;; amdgpu-corpus repo=ROCm/rocBLAS kind=compiled arch=gfx906 opt=O3
	.amdgcn_target "amdgcn-amd-amdhsa--gfx906"
	.amdhsa_code_object_version 6
	.section	.text._ZL26rocblas_syr2k_her2k_kernelIiLb0ELb0ELb0ELi32EfPKfPfEvbiT_T4_T5_S3_lS5_S3_lT6_S3_li,"axG",@progbits,_ZL26rocblas_syr2k_her2k_kernelIiLb0ELb0ELb0ELi32EfPKfPfEvbiT_T4_T5_S3_lS5_S3_lT6_S3_li,comdat
	.globl	_ZL26rocblas_syr2k_her2k_kernelIiLb0ELb0ELb0ELi32EfPKfPfEvbiT_T4_T5_S3_lS5_S3_lT6_S3_li ; -- Begin function _ZL26rocblas_syr2k_her2k_kernelIiLb0ELb0ELb0ELi32EfPKfPfEvbiT_T4_T5_S3_lS5_S3_lT6_S3_li
	.p2align	8
	.type	_ZL26rocblas_syr2k_her2k_kernelIiLb0ELb0ELb0ELi32EfPKfPfEvbiT_T4_T5_S3_lS5_S3_lT6_S3_li,@function
_ZL26rocblas_syr2k_her2k_kernelIiLb0ELb0ELb0ELi32EfPKfPfEvbiT_T4_T5_S3_lS5_S3_lT6_S3_li: ; @_ZL26rocblas_syr2k_her2k_kernelIiLb0ELb0ELb0ELi32EfPKfPfEvbiT_T4_T5_S3_lS5_S3_lT6_S3_li
; %bb.0:
	s_load_dwordx4 s[12:15], s[4:5], 0x0
	s_waitcnt lgkmcnt(0)
	v_cmp_eq_f32_e64 s[0:1], s15, 0
	s_and_b64 vcc, exec, s[0:1]
	s_cbranch_vccnz .LBB0_11
; %bb.1:
	s_and_b32 s2, 1, s12
	s_lshl_b32 s0, s7, 5
	s_lshl_b32 s1, s6, 5
	s_cmp_eq_u32 s2, 1
	s_cselect_b64 vcc, -1, 0
	s_and_b64 s[2:3], vcc, exec
	s_cselect_b32 s2, s1, s0
	s_cselect_b32 s3, s0, s1
	s_cmp_gt_i32 s2, s3
	s_cbranch_scc1 .LBB0_11
; %bb.2:
	s_cmp_lt_i32 s14, 1
	s_cbranch_scc1 .LBB0_11
; %bb.3:
	s_load_dwordx2 s[2:3], s[4:5], 0x10
	s_load_dword s9, s[4:5], 0x18
	s_load_dwordx4 s[16:19], s[4:5], 0x20
	s_load_dword s10, s[4:5], 0x30
	s_load_dwordx4 s[20:23], s[4:5], 0x38
	s_load_dword s11, s[4:5], 0x48
	s_load_dwordx2 s[6:7], s[4:5], 0x50
	s_waitcnt lgkmcnt(0)
	s_mul_i32 s4, s17, s8
	s_mul_hi_u32 s5, s16, s8
	s_add_i32 s5, s5, s4
	s_mul_i32 s4, s16, s8
	s_lshl_b64 s[4:5], s[4:5], 2
	s_add_u32 s4, s2, s4
	s_addc_u32 s5, s3, s5
	s_mul_i32 s2, s21, s8
	s_mul_hi_u32 s3, s20, s8
	v_add_u32_e32 v3, s1, v0
	s_add_i32 s3, s3, s2
	s_mul_i32 s2, s20, s8
	v_ashrrev_i32_e32 v4, 31, v3
	s_lshl_b64 s[2:3], s[2:3], 2
	v_lshlrev_b64 v[12:13], 2, v[3:4]
	s_add_u32 s12, s18, s2
	v_add_u32_e32 v2, s0, v1
	s_addc_u32 s16, s19, s3
	s_mul_i32 s2, s7, s8
	s_mul_hi_u32 s3, s6, s8
	v_cndmask_b32_e32 v14, v3, v2, vcc
	v_cndmask_b32_e32 v15, v2, v3, vcc
	v_cmp_gt_i32_e32 vcc, s13, v3
	v_mov_b32_e32 v3, s5
	v_add_co_u32_e64 v4, s[0:1], s4, v12
	s_add_i32 s3, s3, s2
	s_mul_i32 s2, s6, s8
	v_addc_co_u32_e64 v5, s[0:1], v3, v13, s[0:1]
	v_ashrrev_i32_e32 v3, 31, v2
	s_lshl_b64 s[2:3], s[2:3], 2
	v_lshlrev_b64 v[8:9], 2, v[2:3]
	s_add_u32 s6, s22, s2
	s_addc_u32 s7, s23, s3
	v_mov_b32_e32 v3, s16
	v_add_co_u32_e64 v8, s[2:3], s12, v8
	v_cmp_gt_i32_e64 s[0:1], s13, v2
	v_addc_co_u32_e64 v9, s[2:3], v3, v9, s[2:3]
	v_mad_i64_i32 v[2:3], s[2:3], s11, v2, 0
	v_cmp_le_i32_e64 s[2:3], v15, v14
	s_and_b64 s[4:5], s[0:1], vcc
	v_lshlrev_b64 v[2:3], 2, v[2:3]
	s_and_b64 s[4:5], s[4:5], s[2:3]
	v_mov_b32_e32 v14, s7
	v_add_co_u32_e64 v2, s[2:3], s6, v2
	v_lshlrev_b32_e32 v6, 7, v0
	v_lshlrev_b32_e32 v10, 2, v1
	v_addc_co_u32_e64 v3, s[2:3], v14, v3, s[2:3]
	v_add_u32_e32 v7, v6, v10
	v_or_b32_e32 v10, 0x1000, v10
	v_add_co_u32_e64 v2, s[2:3], v2, v12
	v_add_u32_e32 v11, v10, v6
	v_addc_co_u32_e64 v3, s[2:3], v3, v13, s[2:3]
	s_mov_b32 s8, 0
	v_add_u32_e32 v12, 0x400, v10
	v_add_u32_e32 v13, 0x800, v10
	;; [unrolled: 1-line block ×3, first 2 shown]
	s_branch .LBB0_5
.LBB0_4:                                ;   in Loop: Header=BB0_5 Depth=1
	s_or_b64 exec, exec, s[2:3]
	s_add_i32 s8, s8, 32
	s_cmp_lt_i32 s8, s14
	s_waitcnt vmcnt(0)
	s_barrier
	s_cbranch_scc0 .LBB0_11
.LBB0_5:                                ; =>This Inner Loop Header: Depth=1
	v_add_u32_e32 v16, s8, v1
	v_cmp_gt_i32_e64 s[2:3], s14, v16
	s_and_b64 s[2:3], vcc, s[2:3]
	v_mov_b32_e32 v15, 0
	s_and_saveexec_b64 s[6:7], s[2:3]
	s_cbranch_execz .LBB0_7
; %bb.6:                                ;   in Loop: Header=BB0_5 Depth=1
	v_mad_i64_i32 v[15:16], s[2:3], v16, s9, 0
	v_lshlrev_b64 v[15:16], 2, v[15:16]
	v_add_co_u32_e64 v15, s[2:3], v4, v15
	v_addc_co_u32_e64 v16, s[2:3], v5, v16, s[2:3]
	global_load_dword v15, v[15:16], off
.LBB0_7:                                ;   in Loop: Header=BB0_5 Depth=1
	s_or_b64 exec, exec, s[6:7]
	v_add_u32_e32 v16, s8, v0
	v_cmp_gt_i32_e64 s[2:3], s14, v16
	s_waitcnt vmcnt(0)
	ds_write_b32 v7, v15
	s_and_b64 s[2:3], s[0:1], s[2:3]
	v_mov_b32_e32 v15, 0
	s_and_saveexec_b64 s[6:7], s[2:3]
	s_cbranch_execz .LBB0_9
; %bb.8:                                ;   in Loop: Header=BB0_5 Depth=1
	v_mad_i64_i32 v[15:16], s[2:3], v16, s10, 0
	v_lshlrev_b64 v[15:16], 2, v[15:16]
	v_add_co_u32_e64 v15, s[2:3], v8, v15
	v_addc_co_u32_e64 v16, s[2:3], v9, v16, s[2:3]
	global_load_dword v15, v[15:16], off
.LBB0_9:                                ;   in Loop: Header=BB0_5 Depth=1
	s_or_b64 exec, exec, s[6:7]
	s_waitcnt vmcnt(0)
	ds_write_b32 v11, v15
	s_waitcnt lgkmcnt(0)
	s_barrier
	s_and_saveexec_b64 s[2:3], s[4:5]
	s_cbranch_execz .LBB0_4
; %bb.10:                               ;   in Loop: Header=BB0_5 Depth=1
	global_load_dword v27, v[2:3], off
	ds_read_b128 v[15:18], v6
	ds_read2_b32 v[23:24], v10 offset1:32
	ds_read2_b32 v[25:26], v10 offset0:64 offset1:96
	ds_read_b128 v[19:22], v6 offset:16
	s_waitcnt lgkmcnt(2)
	v_fma_f32 v28, v15, v23, 0
	v_fmac_f32_e32 v28, v16, v24
	ds_read2_b32 v[23:24], v10 offset0:128 offset1:160
	s_waitcnt lgkmcnt(2)
	v_fmac_f32_e32 v28, v17, v25
	v_fmac_f32_e32 v28, v18, v26
	ds_read2_b32 v[25:26], v10 offset0:192 offset1:224
	ds_read_b128 v[15:18], v6 offset:32
	s_waitcnt lgkmcnt(2)
	v_fmac_f32_e32 v28, v19, v23
	v_fmac_f32_e32 v28, v20, v24
	ds_read2_b32 v[23:24], v12 offset1:32
	s_waitcnt lgkmcnt(2)
	v_fmac_f32_e32 v28, v21, v25
	v_fmac_f32_e32 v28, v22, v26
	ds_read_b128 v[19:22], v6 offset:48
	ds_read2_b32 v[25:26], v12 offset0:64 offset1:96
	s_waitcnt lgkmcnt(2)
	v_fmac_f32_e32 v28, v15, v23
	v_fmac_f32_e32 v28, v16, v24
	ds_read2_b32 v[15:16], v12 offset0:128 offset1:160
	s_waitcnt lgkmcnt(1)
	v_fmac_f32_e32 v28, v17, v25
	v_fmac_f32_e32 v28, v18, v26
	;; [unrolled: 4-line block ×3, first 2 shown]
	ds_read_b128 v[15:18], v6 offset:64
	ds_read2_b32 v[25:26], v13 offset1:32
	s_waitcnt lgkmcnt(2)
	v_fmac_f32_e32 v28, v21, v23
	v_fmac_f32_e32 v28, v22, v24
	ds_read2_b32 v[23:24], v13 offset0:64 offset1:96
	ds_read_b128 v[19:22], v6 offset:80
	s_waitcnt lgkmcnt(2)
	v_fmac_f32_e32 v28, v15, v25
	v_fmac_f32_e32 v28, v16, v26
	ds_read2_b32 v[15:16], v13 offset0:128 offset1:160
	s_waitcnt lgkmcnt(2)
	v_fmac_f32_e32 v28, v17, v23
	v_fmac_f32_e32 v28, v18, v24
	ds_read2_b32 v[23:24], v13 offset0:192 offset1:224
	s_waitcnt lgkmcnt(1)
	v_fmac_f32_e32 v28, v19, v15
	v_fmac_f32_e32 v28, v20, v16
	ds_read_b128 v[15:18], v6 offset:96
	ds_read2_b32 v[25:26], v14 offset1:32
	s_waitcnt lgkmcnt(2)
	v_fmac_f32_e32 v28, v21, v23
	v_fmac_f32_e32 v28, v22, v24
	ds_read2_b32 v[23:24], v14 offset0:64 offset1:96
	ds_read_b128 v[19:22], v6 offset:112
	s_waitcnt lgkmcnt(2)
	v_fmac_f32_e32 v28, v15, v25
	v_fmac_f32_e32 v28, v16, v26
	ds_read2_b32 v[15:16], v14 offset0:128 offset1:160
	s_waitcnt lgkmcnt(2)
	v_fmac_f32_e32 v28, v17, v23
	v_fmac_f32_e32 v28, v18, v24
	ds_read2_b32 v[17:18], v14 offset0:192 offset1:224
	s_waitcnt lgkmcnt(1)
	v_fmac_f32_e32 v28, v19, v15
	v_fmac_f32_e32 v28, v20, v16
	s_waitcnt lgkmcnt(0)
	v_fmac_f32_e32 v28, v21, v17
	v_fmac_f32_e32 v28, v22, v18
	s_waitcnt vmcnt(0)
	v_fmac_f32_e32 v27, s15, v28
	global_store_dword v[2:3], v27, off
	s_branch .LBB0_4
.LBB0_11:
	s_endpgm
	.section	.rodata,"a",@progbits
	.p2align	6, 0x0
	.amdhsa_kernel _ZL26rocblas_syr2k_her2k_kernelIiLb0ELb0ELb0ELi32EfPKfPfEvbiT_T4_T5_S3_lS5_S3_lT6_S3_li
		.amdhsa_group_segment_fixed_size 8192
		.amdhsa_private_segment_fixed_size 0
		.amdhsa_kernarg_size 92
		.amdhsa_user_sgpr_count 6
		.amdhsa_user_sgpr_private_segment_buffer 1
		.amdhsa_user_sgpr_dispatch_ptr 0
		.amdhsa_user_sgpr_queue_ptr 0
		.amdhsa_user_sgpr_kernarg_segment_ptr 1
		.amdhsa_user_sgpr_dispatch_id 0
		.amdhsa_user_sgpr_flat_scratch_init 0
		.amdhsa_user_sgpr_private_segment_size 0
		.amdhsa_uses_dynamic_stack 0
		.amdhsa_system_sgpr_private_segment_wavefront_offset 0
		.amdhsa_system_sgpr_workgroup_id_x 1
		.amdhsa_system_sgpr_workgroup_id_y 1
		.amdhsa_system_sgpr_workgroup_id_z 1
		.amdhsa_system_sgpr_workgroup_info 0
		.amdhsa_system_vgpr_workitem_id 1
		.amdhsa_next_free_vgpr 29
		.amdhsa_next_free_sgpr 61
		.amdhsa_reserve_vcc 1
		.amdhsa_reserve_flat_scratch 0
		.amdhsa_float_round_mode_32 0
		.amdhsa_float_round_mode_16_64 0
		.amdhsa_float_denorm_mode_32 3
		.amdhsa_float_denorm_mode_16_64 3
		.amdhsa_dx10_clamp 1
		.amdhsa_ieee_mode 1
		.amdhsa_fp16_overflow 0
		.amdhsa_exception_fp_ieee_invalid_op 0
		.amdhsa_exception_fp_denorm_src 0
		.amdhsa_exception_fp_ieee_div_zero 0
		.amdhsa_exception_fp_ieee_overflow 0
		.amdhsa_exception_fp_ieee_underflow 0
		.amdhsa_exception_fp_ieee_inexact 0
		.amdhsa_exception_int_div_zero 0
	.end_amdhsa_kernel
	.section	.text._ZL26rocblas_syr2k_her2k_kernelIiLb0ELb0ELb0ELi32EfPKfPfEvbiT_T4_T5_S3_lS5_S3_lT6_S3_li,"axG",@progbits,_ZL26rocblas_syr2k_her2k_kernelIiLb0ELb0ELb0ELi32EfPKfPfEvbiT_T4_T5_S3_lS5_S3_lT6_S3_li,comdat
.Lfunc_end0:
	.size	_ZL26rocblas_syr2k_her2k_kernelIiLb0ELb0ELb0ELi32EfPKfPfEvbiT_T4_T5_S3_lS5_S3_lT6_S3_li, .Lfunc_end0-_ZL26rocblas_syr2k_her2k_kernelIiLb0ELb0ELb0ELi32EfPKfPfEvbiT_T4_T5_S3_lS5_S3_lT6_S3_li
                                        ; -- End function
	.set _ZL26rocblas_syr2k_her2k_kernelIiLb0ELb0ELb0ELi32EfPKfPfEvbiT_T4_T5_S3_lS5_S3_lT6_S3_li.num_vgpr, 29
	.set _ZL26rocblas_syr2k_her2k_kernelIiLb0ELb0ELb0ELi32EfPKfPfEvbiT_T4_T5_S3_lS5_S3_lT6_S3_li.num_agpr, 0
	.set _ZL26rocblas_syr2k_her2k_kernelIiLb0ELb0ELb0ELi32EfPKfPfEvbiT_T4_T5_S3_lS5_S3_lT6_S3_li.numbered_sgpr, 24
	.set _ZL26rocblas_syr2k_her2k_kernelIiLb0ELb0ELb0ELi32EfPKfPfEvbiT_T4_T5_S3_lS5_S3_lT6_S3_li.num_named_barrier, 0
	.set _ZL26rocblas_syr2k_her2k_kernelIiLb0ELb0ELb0ELi32EfPKfPfEvbiT_T4_T5_S3_lS5_S3_lT6_S3_li.private_seg_size, 0
	.set _ZL26rocblas_syr2k_her2k_kernelIiLb0ELb0ELb0ELi32EfPKfPfEvbiT_T4_T5_S3_lS5_S3_lT6_S3_li.uses_vcc, 1
	.set _ZL26rocblas_syr2k_her2k_kernelIiLb0ELb0ELb0ELi32EfPKfPfEvbiT_T4_T5_S3_lS5_S3_lT6_S3_li.uses_flat_scratch, 0
	.set _ZL26rocblas_syr2k_her2k_kernelIiLb0ELb0ELb0ELi32EfPKfPfEvbiT_T4_T5_S3_lS5_S3_lT6_S3_li.has_dyn_sized_stack, 0
	.set _ZL26rocblas_syr2k_her2k_kernelIiLb0ELb0ELb0ELi32EfPKfPfEvbiT_T4_T5_S3_lS5_S3_lT6_S3_li.has_recursion, 0
	.set _ZL26rocblas_syr2k_her2k_kernelIiLb0ELb0ELb0ELi32EfPKfPfEvbiT_T4_T5_S3_lS5_S3_lT6_S3_li.has_indirect_call, 0
	.section	.AMDGPU.csdata,"",@progbits
; Kernel info:
; codeLenInByte = 1064
; TotalNumSgprs: 28
; NumVgprs: 29
; ScratchSize: 0
; MemoryBound: 0
; FloatMode: 240
; IeeeMode: 1
; LDSByteSize: 8192 bytes/workgroup (compile time only)
; SGPRBlocks: 8
; VGPRBlocks: 7
; NumSGPRsForWavesPerEU: 65
; NumVGPRsForWavesPerEU: 29
; Occupancy: 8
; WaveLimiterHint : 0
; COMPUTE_PGM_RSRC2:SCRATCH_EN: 0
; COMPUTE_PGM_RSRC2:USER_SGPR: 6
; COMPUTE_PGM_RSRC2:TRAP_HANDLER: 0
; COMPUTE_PGM_RSRC2:TGID_X_EN: 1
; COMPUTE_PGM_RSRC2:TGID_Y_EN: 1
; COMPUTE_PGM_RSRC2:TGID_Z_EN: 1
; COMPUTE_PGM_RSRC2:TIDIG_COMP_CNT: 1
	.section	.text._ZL26rocblas_syr2k_her2k_kernelIiLb0ELb0ELb1ELi32EfPKfPfEvbiT_T4_T5_S3_lS5_S3_lT6_S3_li,"axG",@progbits,_ZL26rocblas_syr2k_her2k_kernelIiLb0ELb0ELb1ELi32EfPKfPfEvbiT_T4_T5_S3_lS5_S3_lT6_S3_li,comdat
	.globl	_ZL26rocblas_syr2k_her2k_kernelIiLb0ELb0ELb1ELi32EfPKfPfEvbiT_T4_T5_S3_lS5_S3_lT6_S3_li ; -- Begin function _ZL26rocblas_syr2k_her2k_kernelIiLb0ELb0ELb1ELi32EfPKfPfEvbiT_T4_T5_S3_lS5_S3_lT6_S3_li
	.p2align	8
	.type	_ZL26rocblas_syr2k_her2k_kernelIiLb0ELb0ELb1ELi32EfPKfPfEvbiT_T4_T5_S3_lS5_S3_lT6_S3_li,@function
_ZL26rocblas_syr2k_her2k_kernelIiLb0ELb0ELb1ELi32EfPKfPfEvbiT_T4_T5_S3_lS5_S3_lT6_S3_li: ; @_ZL26rocblas_syr2k_her2k_kernelIiLb0ELb0ELb1ELi32EfPKfPfEvbiT_T4_T5_S3_lS5_S3_lT6_S3_li
; %bb.0:
	s_load_dwordx4 s[12:15], s[4:5], 0x0
	s_waitcnt lgkmcnt(0)
	v_cmp_eq_f32_e64 s[0:1], s15, 0
	s_and_b64 vcc, exec, s[0:1]
	s_cbranch_vccnz .LBB1_11
; %bb.1:
	s_and_b32 s2, 1, s12
	s_lshl_b32 s0, s7, 5
	s_lshl_b32 s1, s6, 5
	s_cmp_eq_u32 s2, 1
	s_cselect_b64 vcc, -1, 0
	s_and_b64 s[2:3], vcc, exec
	s_cselect_b32 s2, s1, s0
	s_cselect_b32 s3, s0, s1
	s_cmp_gt_i32 s2, s3
	s_cbranch_scc1 .LBB1_11
; %bb.2:
	s_cmp_lt_i32 s14, 1
	s_cbranch_scc1 .LBB1_11
; %bb.3:
	v_add_u32_e32 v2, s1, v0
	s_load_dwordx2 s[2:3], s[4:5], 0x10
	s_load_dword s9, s[4:5], 0x18
	s_load_dwordx4 s[16:19], s[4:5], 0x20
	s_load_dword s10, s[4:5], 0x30
	s_load_dwordx4 s[20:23], s[4:5], 0x38
	s_load_dword s11, s[4:5], 0x48
	s_load_dwordx2 s[6:7], s[4:5], 0x50
	v_add_u32_e32 v14, s0, v1
	s_waitcnt lgkmcnt(0)
	v_mad_i64_i32 v[4:5], s[0:1], s9, v2, 0
	s_mul_i32 s4, s17, s8
	s_mul_hi_u32 s5, s16, s8
	s_add_i32 s5, s5, s4
	s_mul_i32 s4, s16, s8
	s_lshl_b64 s[4:5], s[4:5], 2
	s_add_u32 s4, s2, s4
	v_lshlrev_b64 v[4:5], 2, v[4:5]
	s_addc_u32 s5, s3, s5
	s_mul_i32 s2, s21, s8
	s_mul_hi_u32 s3, s20, s8
	s_add_i32 s3, s3, s2
	s_mul_i32 s2, s20, s8
	v_mov_b32_e32 v7, s5
	v_add_co_u32_e64 v6, s[0:1], s4, v4
	s_lshl_b64 s[2:3], s[2:3], 2
	v_addc_co_u32_e64 v7, s[0:1], v7, v5, s[0:1]
	v_mad_i64_i32 v[4:5], s[0:1], s10, v14, 0
	s_add_u32 s12, s18, s2
	s_addc_u32 s16, s19, s3
	s_mul_i32 s2, s7, s8
	s_mul_hi_u32 s3, s6, s8
	s_add_i32 s3, s3, s2
	s_mul_i32 s2, s6, s8
	s_lshl_b64 s[2:3], s[2:3], 2
	v_lshlrev_b64 v[4:5], 2, v[4:5]
	s_add_u32 s6, s22, s2
	s_addc_u32 s7, s23, s3
	v_mov_b32_e32 v11, s16
	v_add_co_u32_e64 v10, s[2:3], s12, v4
	v_addc_co_u32_e64 v11, s[2:3], v11, v5, s[2:3]
	v_mad_i64_i32 v[4:5], s[2:3], s11, v14, 0
	v_cndmask_b32_e32 v15, v2, v14, vcc
	v_cndmask_b32_e32 v16, v14, v2, vcc
	v_cmp_gt_i32_e32 vcc, s13, v2
	v_cmp_gt_i32_e64 s[0:1], s13, v14
	v_lshlrev_b64 v[4:5], 2, v[4:5]
	v_ashrrev_i32_e32 v3, 31, v2
	v_cmp_le_i32_e64 s[2:3], v16, v15
	s_and_b64 s[4:5], s[0:1], vcc
	s_and_b64 s[4:5], s[4:5], s[2:3]
	v_mov_b32_e32 v14, s7
	v_add_co_u32_e64 v4, s[2:3], s6, v4
	v_lshlrev_b64 v[2:3], 2, v[2:3]
	v_lshlrev_b32_e32 v8, 7, v0
	v_lshlrev_b32_e32 v12, 2, v1
	v_addc_co_u32_e64 v5, s[2:3], v14, v5, s[2:3]
	v_add_u32_e32 v9, v8, v12
	v_or_b32_e32 v12, 0x1000, v12
	v_add_co_u32_e64 v2, s[2:3], v4, v2
	v_add_u32_e32 v13, v12, v8
	v_addc_co_u32_e64 v3, s[2:3], v5, v3, s[2:3]
	s_mov_b32 s8, 0
	v_add_u32_e32 v14, 0x400, v12
	v_add_u32_e32 v15, 0x800, v12
	;; [unrolled: 1-line block ×3, first 2 shown]
	s_branch .LBB1_5
.LBB1_4:                                ;   in Loop: Header=BB1_5 Depth=1
	s_or_b64 exec, exec, s[2:3]
	s_add_i32 s8, s8, 32
	s_cmp_lt_i32 s8, s14
	s_waitcnt vmcnt(0)
	s_barrier
	s_cbranch_scc0 .LBB1_11
.LBB1_5:                                ; =>This Inner Loop Header: Depth=1
	v_add_u32_e32 v4, s8, v1
	v_cmp_gt_i32_e64 s[2:3], s14, v4
	s_and_b64 s[2:3], vcc, s[2:3]
	v_mov_b32_e32 v5, 0
	s_and_saveexec_b64 s[6:7], s[2:3]
	s_cbranch_execz .LBB1_7
; %bb.6:                                ;   in Loop: Header=BB1_5 Depth=1
	v_ashrrev_i32_e32 v5, 31, v4
	v_lshlrev_b64 v[4:5], 2, v[4:5]
	v_add_co_u32_e64 v4, s[2:3], v6, v4
	v_addc_co_u32_e64 v5, s[2:3], v7, v5, s[2:3]
	global_load_dword v5, v[4:5], off
.LBB1_7:                                ;   in Loop: Header=BB1_5 Depth=1
	s_or_b64 exec, exec, s[6:7]
	v_add_u32_e32 v4, s8, v0
	v_cmp_gt_i32_e64 s[2:3], s14, v4
	s_waitcnt vmcnt(0)
	ds_write_b32 v9, v5
	s_and_b64 s[2:3], s[0:1], s[2:3]
	v_mov_b32_e32 v5, 0
	s_and_saveexec_b64 s[6:7], s[2:3]
	s_cbranch_execz .LBB1_9
; %bb.8:                                ;   in Loop: Header=BB1_5 Depth=1
	v_ashrrev_i32_e32 v5, 31, v4
	v_lshlrev_b64 v[4:5], 2, v[4:5]
	v_add_co_u32_e64 v4, s[2:3], v10, v4
	v_addc_co_u32_e64 v5, s[2:3], v11, v5, s[2:3]
	global_load_dword v5, v[4:5], off
.LBB1_9:                                ;   in Loop: Header=BB1_5 Depth=1
	s_or_b64 exec, exec, s[6:7]
	s_waitcnt vmcnt(0)
	ds_write_b32 v13, v5
	s_waitcnt lgkmcnt(0)
	s_barrier
	s_and_saveexec_b64 s[2:3], s[4:5]
	s_cbranch_execz .LBB1_4
; %bb.10:                               ;   in Loop: Header=BB1_5 Depth=1
	global_load_dword v27, v[2:3], off
	ds_read_b128 v[17:20], v8
	ds_read2_b32 v[4:5], v12 offset1:32
	ds_read2_b32 v[25:26], v12 offset0:64 offset1:96
	ds_read_b128 v[21:24], v8 offset:16
	s_waitcnt lgkmcnt(2)
	v_fma_f32 v28, v17, v4, 0
	v_fmac_f32_e32 v28, v18, v5
	ds_read2_b32 v[4:5], v12 offset0:128 offset1:160
	s_waitcnt lgkmcnt(2)
	v_fmac_f32_e32 v28, v19, v25
	v_fmac_f32_e32 v28, v20, v26
	ds_read2_b32 v[25:26], v12 offset0:192 offset1:224
	ds_read_b128 v[17:20], v8 offset:32
	s_waitcnt lgkmcnt(2)
	v_fmac_f32_e32 v28, v21, v4
	v_fmac_f32_e32 v28, v22, v5
	ds_read2_b32 v[4:5], v14 offset1:32
	s_waitcnt lgkmcnt(2)
	v_fmac_f32_e32 v28, v23, v25
	v_fmac_f32_e32 v28, v24, v26
	ds_read_b128 v[21:24], v8 offset:48
	ds_read2_b32 v[25:26], v14 offset0:64 offset1:96
	s_waitcnt lgkmcnt(2)
	v_fmac_f32_e32 v28, v17, v4
	v_fmac_f32_e32 v28, v18, v5
	ds_read2_b32 v[4:5], v14 offset0:128 offset1:160
	s_waitcnt lgkmcnt(1)
	v_fmac_f32_e32 v28, v19, v25
	v_fmac_f32_e32 v28, v20, v26
	;; [unrolled: 4-line block ×3, first 2 shown]
	ds_read_b128 v[17:20], v8 offset:64
	ds_read2_b32 v[4:5], v15 offset1:32
	s_waitcnt lgkmcnt(2)
	v_fmac_f32_e32 v28, v23, v25
	v_fmac_f32_e32 v28, v24, v26
	ds_read2_b32 v[25:26], v15 offset0:64 offset1:96
	ds_read_b128 v[21:24], v8 offset:80
	s_waitcnt lgkmcnt(2)
	v_fmac_f32_e32 v28, v17, v4
	v_fmac_f32_e32 v28, v18, v5
	ds_read2_b32 v[4:5], v15 offset0:128 offset1:160
	s_waitcnt lgkmcnt(2)
	v_fmac_f32_e32 v28, v19, v25
	v_fmac_f32_e32 v28, v20, v26
	ds_read2_b32 v[25:26], v15 offset0:192 offset1:224
	s_waitcnt lgkmcnt(1)
	v_fmac_f32_e32 v28, v21, v4
	v_fmac_f32_e32 v28, v22, v5
	ds_read_b128 v[17:20], v8 offset:96
	ds_read2_b32 v[4:5], v16 offset1:32
	s_waitcnt lgkmcnt(2)
	v_fmac_f32_e32 v28, v23, v25
	v_fmac_f32_e32 v28, v24, v26
	ds_read2_b32 v[25:26], v16 offset0:64 offset1:96
	ds_read_b128 v[21:24], v8 offset:112
	s_waitcnt lgkmcnt(2)
	v_fmac_f32_e32 v28, v17, v4
	v_fmac_f32_e32 v28, v18, v5
	ds_read2_b32 v[4:5], v16 offset0:128 offset1:160
	ds_read2_b32 v[17:18], v16 offset0:192 offset1:224
	s_waitcnt lgkmcnt(3)
	v_fmac_f32_e32 v28, v19, v25
	v_fmac_f32_e32 v28, v20, v26
	s_waitcnt lgkmcnt(1)
	v_fmac_f32_e32 v28, v21, v4
	v_fmac_f32_e32 v28, v22, v5
	;; [unrolled: 3-line block ×3, first 2 shown]
	s_waitcnt vmcnt(0)
	v_fmac_f32_e32 v27, s15, v28
	global_store_dword v[2:3], v27, off
	s_branch .LBB1_4
.LBB1_11:
	s_endpgm
	.section	.rodata,"a",@progbits
	.p2align	6, 0x0
	.amdhsa_kernel _ZL26rocblas_syr2k_her2k_kernelIiLb0ELb0ELb1ELi32EfPKfPfEvbiT_T4_T5_S3_lS5_S3_lT6_S3_li
		.amdhsa_group_segment_fixed_size 8192
		.amdhsa_private_segment_fixed_size 0
		.amdhsa_kernarg_size 92
		.amdhsa_user_sgpr_count 6
		.amdhsa_user_sgpr_private_segment_buffer 1
		.amdhsa_user_sgpr_dispatch_ptr 0
		.amdhsa_user_sgpr_queue_ptr 0
		.amdhsa_user_sgpr_kernarg_segment_ptr 1
		.amdhsa_user_sgpr_dispatch_id 0
		.amdhsa_user_sgpr_flat_scratch_init 0
		.amdhsa_user_sgpr_private_segment_size 0
		.amdhsa_uses_dynamic_stack 0
		.amdhsa_system_sgpr_private_segment_wavefront_offset 0
		.amdhsa_system_sgpr_workgroup_id_x 1
		.amdhsa_system_sgpr_workgroup_id_y 1
		.amdhsa_system_sgpr_workgroup_id_z 1
		.amdhsa_system_sgpr_workgroup_info 0
		.amdhsa_system_vgpr_workitem_id 1
		.amdhsa_next_free_vgpr 29
		.amdhsa_next_free_sgpr 61
		.amdhsa_reserve_vcc 1
		.amdhsa_reserve_flat_scratch 0
		.amdhsa_float_round_mode_32 0
		.amdhsa_float_round_mode_16_64 0
		.amdhsa_float_denorm_mode_32 3
		.amdhsa_float_denorm_mode_16_64 3
		.amdhsa_dx10_clamp 1
		.amdhsa_ieee_mode 1
		.amdhsa_fp16_overflow 0
		.amdhsa_exception_fp_ieee_invalid_op 0
		.amdhsa_exception_fp_denorm_src 0
		.amdhsa_exception_fp_ieee_div_zero 0
		.amdhsa_exception_fp_ieee_overflow 0
		.amdhsa_exception_fp_ieee_underflow 0
		.amdhsa_exception_fp_ieee_inexact 0
		.amdhsa_exception_int_div_zero 0
	.end_amdhsa_kernel
	.section	.text._ZL26rocblas_syr2k_her2k_kernelIiLb0ELb0ELb1ELi32EfPKfPfEvbiT_T4_T5_S3_lS5_S3_lT6_S3_li,"axG",@progbits,_ZL26rocblas_syr2k_her2k_kernelIiLb0ELb0ELb1ELi32EfPKfPfEvbiT_T4_T5_S3_lS5_S3_lT6_S3_li,comdat
.Lfunc_end1:
	.size	_ZL26rocblas_syr2k_her2k_kernelIiLb0ELb0ELb1ELi32EfPKfPfEvbiT_T4_T5_S3_lS5_S3_lT6_S3_li, .Lfunc_end1-_ZL26rocblas_syr2k_her2k_kernelIiLb0ELb0ELb1ELi32EfPKfPfEvbiT_T4_T5_S3_lS5_S3_lT6_S3_li
                                        ; -- End function
	.set _ZL26rocblas_syr2k_her2k_kernelIiLb0ELb0ELb1ELi32EfPKfPfEvbiT_T4_T5_S3_lS5_S3_lT6_S3_li.num_vgpr, 29
	.set _ZL26rocblas_syr2k_her2k_kernelIiLb0ELb0ELb1ELi32EfPKfPfEvbiT_T4_T5_S3_lS5_S3_lT6_S3_li.num_agpr, 0
	.set _ZL26rocblas_syr2k_her2k_kernelIiLb0ELb0ELb1ELi32EfPKfPfEvbiT_T4_T5_S3_lS5_S3_lT6_S3_li.numbered_sgpr, 24
	.set _ZL26rocblas_syr2k_her2k_kernelIiLb0ELb0ELb1ELi32EfPKfPfEvbiT_T4_T5_S3_lS5_S3_lT6_S3_li.num_named_barrier, 0
	.set _ZL26rocblas_syr2k_her2k_kernelIiLb0ELb0ELb1ELi32EfPKfPfEvbiT_T4_T5_S3_lS5_S3_lT6_S3_li.private_seg_size, 0
	.set _ZL26rocblas_syr2k_her2k_kernelIiLb0ELb0ELb1ELi32EfPKfPfEvbiT_T4_T5_S3_lS5_S3_lT6_S3_li.uses_vcc, 1
	.set _ZL26rocblas_syr2k_her2k_kernelIiLb0ELb0ELb1ELi32EfPKfPfEvbiT_T4_T5_S3_lS5_S3_lT6_S3_li.uses_flat_scratch, 0
	.set _ZL26rocblas_syr2k_her2k_kernelIiLb0ELb0ELb1ELi32EfPKfPfEvbiT_T4_T5_S3_lS5_S3_lT6_S3_li.has_dyn_sized_stack, 0
	.set _ZL26rocblas_syr2k_her2k_kernelIiLb0ELb0ELb1ELi32EfPKfPfEvbiT_T4_T5_S3_lS5_S3_lT6_S3_li.has_recursion, 0
	.set _ZL26rocblas_syr2k_her2k_kernelIiLb0ELb0ELb1ELi32EfPKfPfEvbiT_T4_T5_S3_lS5_S3_lT6_S3_li.has_indirect_call, 0
	.section	.AMDGPU.csdata,"",@progbits
; Kernel info:
; codeLenInByte = 1076
; TotalNumSgprs: 28
; NumVgprs: 29
; ScratchSize: 0
; MemoryBound: 0
; FloatMode: 240
; IeeeMode: 1
; LDSByteSize: 8192 bytes/workgroup (compile time only)
; SGPRBlocks: 8
; VGPRBlocks: 7
; NumSGPRsForWavesPerEU: 65
; NumVGPRsForWavesPerEU: 29
; Occupancy: 8
; WaveLimiterHint : 0
; COMPUTE_PGM_RSRC2:SCRATCH_EN: 0
; COMPUTE_PGM_RSRC2:USER_SGPR: 6
; COMPUTE_PGM_RSRC2:TRAP_HANDLER: 0
; COMPUTE_PGM_RSRC2:TGID_X_EN: 1
; COMPUTE_PGM_RSRC2:TGID_Y_EN: 1
; COMPUTE_PGM_RSRC2:TGID_Z_EN: 1
; COMPUTE_PGM_RSRC2:TIDIG_COMP_CNT: 1
	.section	.text._ZL37rocblas_syrkx_herkx_restricted_kernelIifLi16ELi32ELi8ELi1ELi1ELb0ELc84ELc76EKffEviT_PT9_S1_lS3_S1_lPT10_S1_li,"axG",@progbits,_ZL37rocblas_syrkx_herkx_restricted_kernelIifLi16ELi32ELi8ELi1ELi1ELb0ELc84ELc76EKffEviT_PT9_S1_lS3_S1_lPT10_S1_li,comdat
	.globl	_ZL37rocblas_syrkx_herkx_restricted_kernelIifLi16ELi32ELi8ELi1ELi1ELb0ELc84ELc76EKffEviT_PT9_S1_lS3_S1_lPT10_S1_li ; -- Begin function _ZL37rocblas_syrkx_herkx_restricted_kernelIifLi16ELi32ELi8ELi1ELi1ELb0ELc84ELc76EKffEviT_PT9_S1_lS3_S1_lPT10_S1_li
	.p2align	8
	.type	_ZL37rocblas_syrkx_herkx_restricted_kernelIifLi16ELi32ELi8ELi1ELi1ELb0ELc84ELc76EKffEviT_PT9_S1_lS3_S1_lPT10_S1_li,@function
_ZL37rocblas_syrkx_herkx_restricted_kernelIifLi16ELi32ELi8ELi1ELi1ELb0ELc84ELc76EKffEviT_PT9_S1_lS3_S1_lPT10_S1_li: ; @_ZL37rocblas_syrkx_herkx_restricted_kernelIifLi16ELi32ELi8ELi1ELi1ELb0ELc84ELc76EKffEviT_PT9_S1_lS3_S1_lPT10_S1_li
; %bb.0:
	s_load_dwordx2 s[10:11], s[4:5], 0x0
	s_load_dwordx4 s[0:3], s[4:5], 0x30
	s_lshl_b32 s6, s6, 5
	s_lshl_b32 s7, s7, 5
	s_mov_b32 s9, 0
	s_waitcnt lgkmcnt(0)
	s_cmp_lt_i32 s11, 1
	s_cbranch_scc1 .LBB2_3
; %bb.1:
	s_load_dwordx2 s[16:17], s[4:5], 0x8
	s_load_dword s20, s[4:5], 0x10
	s_load_dwordx4 s[12:15], s[4:5], 0x18
	s_load_dword s18, s[4:5], 0x28
	v_lshl_add_u32 v4, v1, 4, v0
	v_lshrrev_b32_e32 v8, 3, v4
	v_add_u32_e32 v5, s7, v8
	v_and_b32_e32 v2, 7, v0
	v_mov_b32_e32 v3, 0
	s_waitcnt lgkmcnt(0)
	v_mad_i64_i32 v[6:7], s[18:19], s18, v5, v[2:3]
	v_lshlrev_b32_e32 v2, 2, v2
	v_lshl_or_b32 v2, v8, 5, v2
	v_and_b32_e32 v9, 31, v4
	v_add_u32_e32 v11, 0x400, v2
	v_mov_b32_e32 v2, 0x400
	v_lshrrev_b32_e32 v4, 5, v4
	v_mov_b32_e32 v5, v3
	v_lshlrev_b32_e32 v10, 2, v9
	v_lshl_add_u32 v13, v1, 5, v2
	v_add_u32_e32 v2, s6, v9
	v_lshl_or_b32 v10, v4, 7, v10
	v_mad_i64_i32 v[4:5], s[18:19], s20, v2, v[4:5]
	s_mul_i32 s13, s13, s8
	s_mul_hi_u32 s21, s12, s8
	s_add_i32 s13, s21, s13
	s_mul_i32 s12, s12, s8
	s_lshl_b64 s[12:13], s[12:13], 2
	v_lshlrev_b64 v[4:5], 2, v[4:5]
	s_add_u32 s12, s16, s12
	v_add_co_u32_e32 v4, vcc, s12, v4
	s_mul_i32 s1, s1, s8
	s_mul_hi_u32 s12, s0, s8
	s_addc_u32 s13, s17, s13
	s_add_i32 s1, s12, s1
	s_mul_i32 s0, s0, s8
	s_lshl_b64 s[0:1], s[0:1], 2
	v_mov_b32_e32 v2, s13
	v_lshlrev_b64 v[6:7], 2, v[6:7]
	s_add_u32 s0, s14, s0
	v_addc_co_u32_e32 v5, vcc, v2, v5, vcc
	s_addc_u32 s1, s15, s1
	v_mov_b32_e32 v2, s1
	v_add_co_u32_e32 v6, vcc, s0, v6
	v_lshlrev_b32_e32 v12, 2, v0
	v_addc_co_u32_e32 v7, vcc, v2, v7, vcc
	v_mov_b32_e32 v2, v3
	v_mov_b32_e32 v8, v3
	;; [unrolled: 1-line block ×3, first 2 shown]
.LBB2_2:                                ; =>This Inner Loop Header: Depth=1
	global_load_dword v14, v[4:5], off
	s_add_i32 s9, s9, 8
	v_add_co_u32_e32 v4, vcc, 32, v4
	v_addc_co_u32_e32 v5, vcc, 0, v5, vcc
	s_cmp_ge_i32 s9, s11
	s_waitcnt vmcnt(0)
	ds_write_b32 v10, v14
	global_load_dword v14, v[6:7], off
	v_add_co_u32_e64 v6, s[0:1], 32, v6
	v_addc_co_u32_e64 v7, vcc, 0, v7, s[0:1]
	s_waitcnt vmcnt(0)
	ds_write_b32 v11, v14
	s_waitcnt lgkmcnt(0)
	s_barrier
	ds_read2_b32 v[18:19], v12 offset1:16
	ds_read_b128 v[14:17], v13
	ds_read2_b32 v[20:21], v12 offset0:32 offset1:48
	ds_read2_b32 v[22:23], v12 offset0:64 offset1:80
	;; [unrolled: 1-line block ×3, first 2 shown]
	s_waitcnt lgkmcnt(3)
	v_fmac_f32_e32 v9, v18, v14
	v_fmac_f32_e32 v8, v19, v14
	s_waitcnt lgkmcnt(2)
	v_fmac_f32_e32 v9, v20, v15
	v_fmac_f32_e32 v8, v21, v15
	;; [unrolled: 3-line block ×4, first 2 shown]
	ds_read_b128 v[14:17], v13 offset:512
	s_waitcnt lgkmcnt(0)
	v_fmac_f32_e32 v2, v18, v14
	v_fmac_f32_e32 v3, v19, v14
	;; [unrolled: 1-line block ×8, first 2 shown]
	ds_read2_b32 v[18:19], v12 offset0:128 offset1:144
	ds_read_b128 v[14:17], v13 offset:16
	ds_read2_b32 v[20:21], v12 offset0:160 offset1:176
	ds_read2_b32 v[22:23], v12 offset0:192 offset1:208
	;; [unrolled: 1-line block ×3, first 2 shown]
	s_waitcnt lgkmcnt(3)
	v_fmac_f32_e32 v9, v18, v14
	v_fmac_f32_e32 v8, v19, v14
	s_waitcnt lgkmcnt(2)
	v_fmac_f32_e32 v9, v20, v15
	v_fmac_f32_e32 v8, v21, v15
	;; [unrolled: 3-line block ×4, first 2 shown]
	ds_read_b128 v[14:17], v13 offset:528
	s_waitcnt lgkmcnt(0)
	s_barrier
	v_fmac_f32_e32 v2, v18, v14
	v_fmac_f32_e32 v3, v19, v14
	;; [unrolled: 1-line block ×8, first 2 shown]
	s_cbranch_scc0 .LBB2_2
	s_branch .LBB2_4
.LBB2_3:
	v_mov_b32_e32 v9, 0
	v_mov_b32_e32 v8, 0
	;; [unrolled: 1-line block ×4, first 2 shown]
.LBB2_4:
	s_load_dwordx2 s[0:1], s[4:5], 0x48
	s_load_dword s9, s[4:5], 0x40
	v_add_u32_e32 v6, s7, v1
	v_add_u32_e32 v0, s6, v0
	s_waitcnt lgkmcnt(0)
	s_mul_i32 s1, s1, s8
	s_mul_hi_u32 s4, s0, s8
	s_add_i32 s1, s4, s1
	v_mad_i64_i32 v[4:5], s[4:5], v6, s9, 0
	s_mul_i32 s0, s0, s8
	s_lshl_b64 s[0:1], s[0:1], 2
	s_add_u32 s7, s2, s0
	v_lshlrev_b64 v[4:5], 2, v[4:5]
	s_addc_u32 s8, s3, s1
	v_mov_b32_e32 v1, s8
	v_add_co_u32_e32 v7, vcc, s7, v4
	v_addc_co_u32_e32 v10, vcc, v1, v5, vcc
	v_cmp_le_i32_e64 s[0:1], v6, v0
	v_cmp_gt_i32_e32 vcc, s10, v0
	s_and_b64 s[0:1], s[0:1], vcc
	s_and_saveexec_b64 s[2:3], s[0:1]
	s_cbranch_execz .LBB2_6
; %bb.5:
	v_ashrrev_i32_e32 v1, 31, v0
	v_lshlrev_b64 v[4:5], 2, v[0:1]
	v_add_co_u32_e64 v4, s[0:1], v7, v4
	v_addc_co_u32_e64 v5, s[0:1], v10, v5, s[0:1]
	global_load_dword v1, v[4:5], off
	s_waitcnt vmcnt(0)
	v_add_f32_e32 v1, v9, v1
	global_store_dword v[4:5], v1, off
.LBB2_6:
	s_or_b64 exec, exec, s[2:3]
	v_add_u32_e32 v4, 16, v0
	v_cmp_le_i32_e64 s[2:3], v6, v4
	v_cmp_gt_i32_e64 s[0:1], s10, v4
	s_and_b64 s[2:3], s[2:3], s[0:1]
	s_and_saveexec_b64 s[4:5], s[2:3]
	s_cbranch_execz .LBB2_8
; %bb.7:
	v_ashrrev_i32_e32 v5, 31, v4
	v_lshlrev_b64 v[11:12], 2, v[4:5]
	v_add_co_u32_e64 v9, s[2:3], v7, v11
	v_addc_co_u32_e64 v10, s[2:3], v10, v12, s[2:3]
	global_load_dword v1, v[9:10], off
	s_waitcnt vmcnt(0)
	v_add_f32_e32 v1, v8, v1
	global_store_dword v[9:10], v1, off
.LBB2_8:
	s_or_b64 exec, exec, s[4:5]
	v_add_u32_e32 v5, 16, v6
	v_mad_i64_i32 v[6:7], s[2:3], v5, s9, 0
	v_mov_b32_e32 v1, s8
	v_lshlrev_b64 v[6:7], 2, v[6:7]
	v_add_co_u32_e64 v6, s[2:3], s7, v6
	v_addc_co_u32_e64 v7, s[2:3], v1, v7, s[2:3]
	v_cmp_le_i32_e64 s[2:3], v5, v0
	s_and_b64 s[4:5], s[2:3], vcc
	s_and_saveexec_b64 s[2:3], s[4:5]
	s_cbranch_execz .LBB2_10
; %bb.9:
	v_ashrrev_i32_e32 v1, 31, v0
	v_lshlrev_b64 v[0:1], 2, v[0:1]
	v_add_co_u32_e32 v0, vcc, v6, v0
	v_addc_co_u32_e32 v1, vcc, v7, v1, vcc
	global_load_dword v8, v[0:1], off
	s_waitcnt vmcnt(0)
	v_add_f32_e32 v2, v2, v8
	global_store_dword v[0:1], v2, off
.LBB2_10:
	s_or_b64 exec, exec, s[2:3]
	v_cmp_le_i32_e32 vcc, v5, v4
	s_and_b64 s[0:1], vcc, s[0:1]
	s_and_saveexec_b64 s[2:3], s[0:1]
	s_cbranch_execz .LBB2_12
; %bb.11:
	v_ashrrev_i32_e32 v5, 31, v4
	v_lshlrev_b64 v[0:1], 2, v[4:5]
	v_add_co_u32_e32 v0, vcc, v6, v0
	v_addc_co_u32_e32 v1, vcc, v7, v1, vcc
	global_load_dword v2, v[0:1], off
	s_waitcnt vmcnt(0)
	v_add_f32_e32 v2, v3, v2
	global_store_dword v[0:1], v2, off
.LBB2_12:
	s_endpgm
	.section	.rodata,"a",@progbits
	.p2align	6, 0x0
	.amdhsa_kernel _ZL37rocblas_syrkx_herkx_restricted_kernelIifLi16ELi32ELi8ELi1ELi1ELb0ELc84ELc76EKffEviT_PT9_S1_lS3_S1_lPT10_S1_li
		.amdhsa_group_segment_fixed_size 2048
		.amdhsa_private_segment_fixed_size 0
		.amdhsa_kernarg_size 84
		.amdhsa_user_sgpr_count 6
		.amdhsa_user_sgpr_private_segment_buffer 1
		.amdhsa_user_sgpr_dispatch_ptr 0
		.amdhsa_user_sgpr_queue_ptr 0
		.amdhsa_user_sgpr_kernarg_segment_ptr 1
		.amdhsa_user_sgpr_dispatch_id 0
		.amdhsa_user_sgpr_flat_scratch_init 0
		.amdhsa_user_sgpr_private_segment_size 0
		.amdhsa_uses_dynamic_stack 0
		.amdhsa_system_sgpr_private_segment_wavefront_offset 0
		.amdhsa_system_sgpr_workgroup_id_x 1
		.amdhsa_system_sgpr_workgroup_id_y 1
		.amdhsa_system_sgpr_workgroup_id_z 1
		.amdhsa_system_sgpr_workgroup_info 0
		.amdhsa_system_vgpr_workitem_id 1
		.amdhsa_next_free_vgpr 26
		.amdhsa_next_free_sgpr 22
		.amdhsa_reserve_vcc 1
		.amdhsa_reserve_flat_scratch 0
		.amdhsa_float_round_mode_32 0
		.amdhsa_float_round_mode_16_64 0
		.amdhsa_float_denorm_mode_32 3
		.amdhsa_float_denorm_mode_16_64 3
		.amdhsa_dx10_clamp 1
		.amdhsa_ieee_mode 1
		.amdhsa_fp16_overflow 0
		.amdhsa_exception_fp_ieee_invalid_op 0
		.amdhsa_exception_fp_denorm_src 0
		.amdhsa_exception_fp_ieee_div_zero 0
		.amdhsa_exception_fp_ieee_overflow 0
		.amdhsa_exception_fp_ieee_underflow 0
		.amdhsa_exception_fp_ieee_inexact 0
		.amdhsa_exception_int_div_zero 0
	.end_amdhsa_kernel
	.section	.text._ZL37rocblas_syrkx_herkx_restricted_kernelIifLi16ELi32ELi8ELi1ELi1ELb0ELc84ELc76EKffEviT_PT9_S1_lS3_S1_lPT10_S1_li,"axG",@progbits,_ZL37rocblas_syrkx_herkx_restricted_kernelIifLi16ELi32ELi8ELi1ELi1ELb0ELc84ELc76EKffEviT_PT9_S1_lS3_S1_lPT10_S1_li,comdat
.Lfunc_end2:
	.size	_ZL37rocblas_syrkx_herkx_restricted_kernelIifLi16ELi32ELi8ELi1ELi1ELb0ELc84ELc76EKffEviT_PT9_S1_lS3_S1_lPT10_S1_li, .Lfunc_end2-_ZL37rocblas_syrkx_herkx_restricted_kernelIifLi16ELi32ELi8ELi1ELi1ELb0ELc84ELc76EKffEviT_PT9_S1_lS3_S1_lPT10_S1_li
                                        ; -- End function
	.set _ZL37rocblas_syrkx_herkx_restricted_kernelIifLi16ELi32ELi8ELi1ELi1ELb0ELc84ELc76EKffEviT_PT9_S1_lS3_S1_lPT10_S1_li.num_vgpr, 26
	.set _ZL37rocblas_syrkx_herkx_restricted_kernelIifLi16ELi32ELi8ELi1ELi1ELb0ELc84ELc76EKffEviT_PT9_S1_lS3_S1_lPT10_S1_li.num_agpr, 0
	.set _ZL37rocblas_syrkx_herkx_restricted_kernelIifLi16ELi32ELi8ELi1ELi1ELb0ELc84ELc76EKffEviT_PT9_S1_lS3_S1_lPT10_S1_li.numbered_sgpr, 22
	.set _ZL37rocblas_syrkx_herkx_restricted_kernelIifLi16ELi32ELi8ELi1ELi1ELb0ELc84ELc76EKffEviT_PT9_S1_lS3_S1_lPT10_S1_li.num_named_barrier, 0
	.set _ZL37rocblas_syrkx_herkx_restricted_kernelIifLi16ELi32ELi8ELi1ELi1ELb0ELc84ELc76EKffEviT_PT9_S1_lS3_S1_lPT10_S1_li.private_seg_size, 0
	.set _ZL37rocblas_syrkx_herkx_restricted_kernelIifLi16ELi32ELi8ELi1ELi1ELb0ELc84ELc76EKffEviT_PT9_S1_lS3_S1_lPT10_S1_li.uses_vcc, 1
	.set _ZL37rocblas_syrkx_herkx_restricted_kernelIifLi16ELi32ELi8ELi1ELi1ELb0ELc84ELc76EKffEviT_PT9_S1_lS3_S1_lPT10_S1_li.uses_flat_scratch, 0
	.set _ZL37rocblas_syrkx_herkx_restricted_kernelIifLi16ELi32ELi8ELi1ELi1ELb0ELc84ELc76EKffEviT_PT9_S1_lS3_S1_lPT10_S1_li.has_dyn_sized_stack, 0
	.set _ZL37rocblas_syrkx_herkx_restricted_kernelIifLi16ELi32ELi8ELi1ELi1ELb0ELc84ELc76EKffEviT_PT9_S1_lS3_S1_lPT10_S1_li.has_recursion, 0
	.set _ZL37rocblas_syrkx_herkx_restricted_kernelIifLi16ELi32ELi8ELi1ELi1ELb0ELc84ELc76EKffEviT_PT9_S1_lS3_S1_lPT10_S1_li.has_indirect_call, 0
	.section	.AMDGPU.csdata,"",@progbits
; Kernel info:
; codeLenInByte = 1088
; TotalNumSgprs: 26
; NumVgprs: 26
; ScratchSize: 0
; MemoryBound: 0
; FloatMode: 240
; IeeeMode: 1
; LDSByteSize: 2048 bytes/workgroup (compile time only)
; SGPRBlocks: 3
; VGPRBlocks: 6
; NumSGPRsForWavesPerEU: 26
; NumVGPRsForWavesPerEU: 26
; Occupancy: 9
; WaveLimiterHint : 0
; COMPUTE_PGM_RSRC2:SCRATCH_EN: 0
; COMPUTE_PGM_RSRC2:USER_SGPR: 6
; COMPUTE_PGM_RSRC2:TRAP_HANDLER: 0
; COMPUTE_PGM_RSRC2:TGID_X_EN: 1
; COMPUTE_PGM_RSRC2:TGID_Y_EN: 1
; COMPUTE_PGM_RSRC2:TGID_Z_EN: 1
; COMPUTE_PGM_RSRC2:TIDIG_COMP_CNT: 1
	.section	.text._ZL37rocblas_syrkx_herkx_restricted_kernelIifLi16ELi32ELi8ELi1ELi1ELb0ELc67ELc76EKffEviT_PT9_S1_lS3_S1_lPT10_S1_li,"axG",@progbits,_ZL37rocblas_syrkx_herkx_restricted_kernelIifLi16ELi32ELi8ELi1ELi1ELb0ELc67ELc76EKffEviT_PT9_S1_lS3_S1_lPT10_S1_li,comdat
	.globl	_ZL37rocblas_syrkx_herkx_restricted_kernelIifLi16ELi32ELi8ELi1ELi1ELb0ELc67ELc76EKffEviT_PT9_S1_lS3_S1_lPT10_S1_li ; -- Begin function _ZL37rocblas_syrkx_herkx_restricted_kernelIifLi16ELi32ELi8ELi1ELi1ELb0ELc67ELc76EKffEviT_PT9_S1_lS3_S1_lPT10_S1_li
	.p2align	8
	.type	_ZL37rocblas_syrkx_herkx_restricted_kernelIifLi16ELi32ELi8ELi1ELi1ELb0ELc67ELc76EKffEviT_PT9_S1_lS3_S1_lPT10_S1_li,@function
_ZL37rocblas_syrkx_herkx_restricted_kernelIifLi16ELi32ELi8ELi1ELi1ELb0ELc67ELc76EKffEviT_PT9_S1_lS3_S1_lPT10_S1_li: ; @_ZL37rocblas_syrkx_herkx_restricted_kernelIifLi16ELi32ELi8ELi1ELi1ELb0ELc67ELc76EKffEviT_PT9_S1_lS3_S1_lPT10_S1_li
; %bb.0:
	s_load_dwordx2 s[10:11], s[4:5], 0x0
	s_load_dwordx4 s[0:3], s[4:5], 0x30
	s_lshl_b32 s6, s6, 5
	s_lshl_b32 s7, s7, 5
	s_mov_b32 s9, 0
	s_waitcnt lgkmcnt(0)
	s_cmp_lt_i32 s11, 1
	s_cbranch_scc1 .LBB3_3
; %bb.1:
	s_load_dwordx2 s[16:17], s[4:5], 0x8
	s_load_dword s20, s[4:5], 0x10
	s_load_dwordx4 s[12:15], s[4:5], 0x18
	s_load_dword s18, s[4:5], 0x28
	v_lshl_add_u32 v4, v1, 4, v0
	v_lshrrev_b32_e32 v8, 3, v4
	v_add_u32_e32 v5, s7, v8
	v_and_b32_e32 v2, 7, v0
	v_mov_b32_e32 v3, 0
	s_waitcnt lgkmcnt(0)
	v_mad_i64_i32 v[6:7], s[18:19], s18, v5, v[2:3]
	v_lshlrev_b32_e32 v2, 2, v2
	v_lshl_or_b32 v2, v8, 5, v2
	v_and_b32_e32 v9, 31, v4
	v_add_u32_e32 v11, 0x400, v2
	v_mov_b32_e32 v2, 0x400
	v_lshrrev_b32_e32 v4, 5, v4
	v_mov_b32_e32 v5, v3
	v_lshlrev_b32_e32 v10, 2, v9
	v_lshl_add_u32 v13, v1, 5, v2
	v_add_u32_e32 v2, s6, v9
	v_lshl_or_b32 v10, v4, 7, v10
	v_mad_i64_i32 v[4:5], s[18:19], s20, v2, v[4:5]
	s_mul_i32 s13, s13, s8
	s_mul_hi_u32 s21, s12, s8
	s_add_i32 s13, s21, s13
	s_mul_i32 s12, s12, s8
	s_lshl_b64 s[12:13], s[12:13], 2
	v_lshlrev_b64 v[4:5], 2, v[4:5]
	s_add_u32 s12, s16, s12
	v_add_co_u32_e32 v4, vcc, s12, v4
	s_mul_i32 s1, s1, s8
	s_mul_hi_u32 s12, s0, s8
	s_addc_u32 s13, s17, s13
	s_add_i32 s1, s12, s1
	s_mul_i32 s0, s0, s8
	s_lshl_b64 s[0:1], s[0:1], 2
	v_mov_b32_e32 v2, s13
	v_lshlrev_b64 v[6:7], 2, v[6:7]
	s_add_u32 s0, s14, s0
	v_addc_co_u32_e32 v5, vcc, v2, v5, vcc
	s_addc_u32 s1, s15, s1
	v_mov_b32_e32 v2, s1
	v_add_co_u32_e32 v6, vcc, s0, v6
	v_lshlrev_b32_e32 v12, 2, v0
	v_addc_co_u32_e32 v7, vcc, v2, v7, vcc
	v_mov_b32_e32 v2, v3
	v_mov_b32_e32 v8, v3
	;; [unrolled: 1-line block ×3, first 2 shown]
.LBB3_2:                                ; =>This Inner Loop Header: Depth=1
	global_load_dword v14, v[4:5], off
	s_add_i32 s9, s9, 8
	v_add_co_u32_e32 v4, vcc, 32, v4
	v_addc_co_u32_e32 v5, vcc, 0, v5, vcc
	s_cmp_ge_i32 s9, s11
	s_waitcnt vmcnt(0)
	ds_write_b32 v10, v14
	global_load_dword v14, v[6:7], off
	v_add_co_u32_e64 v6, s[0:1], 32, v6
	v_addc_co_u32_e64 v7, vcc, 0, v7, s[0:1]
	s_waitcnt vmcnt(0)
	ds_write_b32 v11, v14
	s_waitcnt lgkmcnt(0)
	s_barrier
	ds_read2_b32 v[18:19], v12 offset1:16
	ds_read_b128 v[14:17], v13
	ds_read2_b32 v[20:21], v12 offset0:32 offset1:48
	ds_read2_b32 v[22:23], v12 offset0:64 offset1:80
	;; [unrolled: 1-line block ×3, first 2 shown]
	s_waitcnt lgkmcnt(3)
	v_fmac_f32_e32 v9, v18, v14
	v_fmac_f32_e32 v8, v19, v14
	s_waitcnt lgkmcnt(2)
	v_fmac_f32_e32 v9, v20, v15
	v_fmac_f32_e32 v8, v21, v15
	;; [unrolled: 3-line block ×4, first 2 shown]
	ds_read_b128 v[14:17], v13 offset:512
	s_waitcnt lgkmcnt(0)
	v_fmac_f32_e32 v2, v18, v14
	v_fmac_f32_e32 v3, v19, v14
	;; [unrolled: 1-line block ×8, first 2 shown]
	ds_read2_b32 v[18:19], v12 offset0:128 offset1:144
	ds_read_b128 v[14:17], v13 offset:16
	ds_read2_b32 v[20:21], v12 offset0:160 offset1:176
	ds_read2_b32 v[22:23], v12 offset0:192 offset1:208
	;; [unrolled: 1-line block ×3, first 2 shown]
	s_waitcnt lgkmcnt(3)
	v_fmac_f32_e32 v9, v18, v14
	v_fmac_f32_e32 v8, v19, v14
	s_waitcnt lgkmcnt(2)
	v_fmac_f32_e32 v9, v20, v15
	v_fmac_f32_e32 v8, v21, v15
	s_waitcnt lgkmcnt(1)
	v_fmac_f32_e32 v9, v22, v16
	v_fmac_f32_e32 v8, v23, v16
	s_waitcnt lgkmcnt(0)
	v_fmac_f32_e32 v9, v24, v17
	v_fmac_f32_e32 v8, v25, v17
	ds_read_b128 v[14:17], v13 offset:528
	s_waitcnt lgkmcnt(0)
	s_barrier
	v_fmac_f32_e32 v2, v18, v14
	v_fmac_f32_e32 v3, v19, v14
	;; [unrolled: 1-line block ×8, first 2 shown]
	s_cbranch_scc0 .LBB3_2
	s_branch .LBB3_4
.LBB3_3:
	v_mov_b32_e32 v9, 0
	v_mov_b32_e32 v8, 0
	;; [unrolled: 1-line block ×4, first 2 shown]
.LBB3_4:
	s_load_dwordx2 s[0:1], s[4:5], 0x48
	s_load_dword s9, s[4:5], 0x40
	v_add_u32_e32 v6, s7, v1
	v_add_u32_e32 v0, s6, v0
	s_waitcnt lgkmcnt(0)
	s_mul_i32 s1, s1, s8
	s_mul_hi_u32 s4, s0, s8
	s_add_i32 s1, s4, s1
	v_mad_i64_i32 v[4:5], s[4:5], v6, s9, 0
	s_mul_i32 s0, s0, s8
	s_lshl_b64 s[0:1], s[0:1], 2
	s_add_u32 s7, s2, s0
	v_lshlrev_b64 v[4:5], 2, v[4:5]
	s_addc_u32 s8, s3, s1
	v_mov_b32_e32 v1, s8
	v_add_co_u32_e32 v7, vcc, s7, v4
	v_addc_co_u32_e32 v10, vcc, v1, v5, vcc
	v_cmp_le_i32_e64 s[0:1], v6, v0
	v_cmp_gt_i32_e32 vcc, s10, v0
	s_and_b64 s[0:1], s[0:1], vcc
	s_and_saveexec_b64 s[2:3], s[0:1]
	s_cbranch_execz .LBB3_6
; %bb.5:
	v_ashrrev_i32_e32 v1, 31, v0
	v_lshlrev_b64 v[4:5], 2, v[0:1]
	v_add_co_u32_e64 v4, s[0:1], v7, v4
	v_addc_co_u32_e64 v5, s[0:1], v10, v5, s[0:1]
	global_load_dword v1, v[4:5], off
	s_waitcnt vmcnt(0)
	v_add_f32_e32 v1, v9, v1
	global_store_dword v[4:5], v1, off
.LBB3_6:
	s_or_b64 exec, exec, s[2:3]
	v_add_u32_e32 v4, 16, v0
	v_cmp_le_i32_e64 s[2:3], v6, v4
	v_cmp_gt_i32_e64 s[0:1], s10, v4
	s_and_b64 s[2:3], s[2:3], s[0:1]
	s_and_saveexec_b64 s[4:5], s[2:3]
	s_cbranch_execz .LBB3_8
; %bb.7:
	v_ashrrev_i32_e32 v5, 31, v4
	v_lshlrev_b64 v[11:12], 2, v[4:5]
	v_add_co_u32_e64 v9, s[2:3], v7, v11
	v_addc_co_u32_e64 v10, s[2:3], v10, v12, s[2:3]
	global_load_dword v1, v[9:10], off
	s_waitcnt vmcnt(0)
	v_add_f32_e32 v1, v8, v1
	global_store_dword v[9:10], v1, off
.LBB3_8:
	s_or_b64 exec, exec, s[4:5]
	v_add_u32_e32 v5, 16, v6
	v_mad_i64_i32 v[6:7], s[2:3], v5, s9, 0
	v_mov_b32_e32 v1, s8
	v_lshlrev_b64 v[6:7], 2, v[6:7]
	v_add_co_u32_e64 v6, s[2:3], s7, v6
	v_addc_co_u32_e64 v7, s[2:3], v1, v7, s[2:3]
	v_cmp_le_i32_e64 s[2:3], v5, v0
	s_and_b64 s[4:5], s[2:3], vcc
	s_and_saveexec_b64 s[2:3], s[4:5]
	s_cbranch_execz .LBB3_10
; %bb.9:
	v_ashrrev_i32_e32 v1, 31, v0
	v_lshlrev_b64 v[0:1], 2, v[0:1]
	v_add_co_u32_e32 v0, vcc, v6, v0
	v_addc_co_u32_e32 v1, vcc, v7, v1, vcc
	global_load_dword v8, v[0:1], off
	s_waitcnt vmcnt(0)
	v_add_f32_e32 v2, v2, v8
	global_store_dword v[0:1], v2, off
.LBB3_10:
	s_or_b64 exec, exec, s[2:3]
	v_cmp_le_i32_e32 vcc, v5, v4
	s_and_b64 s[0:1], vcc, s[0:1]
	s_and_saveexec_b64 s[2:3], s[0:1]
	s_cbranch_execz .LBB3_12
; %bb.11:
	v_ashrrev_i32_e32 v5, 31, v4
	v_lshlrev_b64 v[0:1], 2, v[4:5]
	v_add_co_u32_e32 v0, vcc, v6, v0
	v_addc_co_u32_e32 v1, vcc, v7, v1, vcc
	global_load_dword v2, v[0:1], off
	s_waitcnt vmcnt(0)
	v_add_f32_e32 v2, v3, v2
	global_store_dword v[0:1], v2, off
.LBB3_12:
	s_endpgm
	.section	.rodata,"a",@progbits
	.p2align	6, 0x0
	.amdhsa_kernel _ZL37rocblas_syrkx_herkx_restricted_kernelIifLi16ELi32ELi8ELi1ELi1ELb0ELc67ELc76EKffEviT_PT9_S1_lS3_S1_lPT10_S1_li
		.amdhsa_group_segment_fixed_size 2048
		.amdhsa_private_segment_fixed_size 0
		.amdhsa_kernarg_size 84
		.amdhsa_user_sgpr_count 6
		.amdhsa_user_sgpr_private_segment_buffer 1
		.amdhsa_user_sgpr_dispatch_ptr 0
		.amdhsa_user_sgpr_queue_ptr 0
		.amdhsa_user_sgpr_kernarg_segment_ptr 1
		.amdhsa_user_sgpr_dispatch_id 0
		.amdhsa_user_sgpr_flat_scratch_init 0
		.amdhsa_user_sgpr_private_segment_size 0
		.amdhsa_uses_dynamic_stack 0
		.amdhsa_system_sgpr_private_segment_wavefront_offset 0
		.amdhsa_system_sgpr_workgroup_id_x 1
		.amdhsa_system_sgpr_workgroup_id_y 1
		.amdhsa_system_sgpr_workgroup_id_z 1
		.amdhsa_system_sgpr_workgroup_info 0
		.amdhsa_system_vgpr_workitem_id 1
		.amdhsa_next_free_vgpr 26
		.amdhsa_next_free_sgpr 22
		.amdhsa_reserve_vcc 1
		.amdhsa_reserve_flat_scratch 0
		.amdhsa_float_round_mode_32 0
		.amdhsa_float_round_mode_16_64 0
		.amdhsa_float_denorm_mode_32 3
		.amdhsa_float_denorm_mode_16_64 3
		.amdhsa_dx10_clamp 1
		.amdhsa_ieee_mode 1
		.amdhsa_fp16_overflow 0
		.amdhsa_exception_fp_ieee_invalid_op 0
		.amdhsa_exception_fp_denorm_src 0
		.amdhsa_exception_fp_ieee_div_zero 0
		.amdhsa_exception_fp_ieee_overflow 0
		.amdhsa_exception_fp_ieee_underflow 0
		.amdhsa_exception_fp_ieee_inexact 0
		.amdhsa_exception_int_div_zero 0
	.end_amdhsa_kernel
	.section	.text._ZL37rocblas_syrkx_herkx_restricted_kernelIifLi16ELi32ELi8ELi1ELi1ELb0ELc67ELc76EKffEviT_PT9_S1_lS3_S1_lPT10_S1_li,"axG",@progbits,_ZL37rocblas_syrkx_herkx_restricted_kernelIifLi16ELi32ELi8ELi1ELi1ELb0ELc67ELc76EKffEviT_PT9_S1_lS3_S1_lPT10_S1_li,comdat
.Lfunc_end3:
	.size	_ZL37rocblas_syrkx_herkx_restricted_kernelIifLi16ELi32ELi8ELi1ELi1ELb0ELc67ELc76EKffEviT_PT9_S1_lS3_S1_lPT10_S1_li, .Lfunc_end3-_ZL37rocblas_syrkx_herkx_restricted_kernelIifLi16ELi32ELi8ELi1ELi1ELb0ELc67ELc76EKffEviT_PT9_S1_lS3_S1_lPT10_S1_li
                                        ; -- End function
	.set _ZL37rocblas_syrkx_herkx_restricted_kernelIifLi16ELi32ELi8ELi1ELi1ELb0ELc67ELc76EKffEviT_PT9_S1_lS3_S1_lPT10_S1_li.num_vgpr, 26
	.set _ZL37rocblas_syrkx_herkx_restricted_kernelIifLi16ELi32ELi8ELi1ELi1ELb0ELc67ELc76EKffEviT_PT9_S1_lS3_S1_lPT10_S1_li.num_agpr, 0
	.set _ZL37rocblas_syrkx_herkx_restricted_kernelIifLi16ELi32ELi8ELi1ELi1ELb0ELc67ELc76EKffEviT_PT9_S1_lS3_S1_lPT10_S1_li.numbered_sgpr, 22
	.set _ZL37rocblas_syrkx_herkx_restricted_kernelIifLi16ELi32ELi8ELi1ELi1ELb0ELc67ELc76EKffEviT_PT9_S1_lS3_S1_lPT10_S1_li.num_named_barrier, 0
	.set _ZL37rocblas_syrkx_herkx_restricted_kernelIifLi16ELi32ELi8ELi1ELi1ELb0ELc67ELc76EKffEviT_PT9_S1_lS3_S1_lPT10_S1_li.private_seg_size, 0
	.set _ZL37rocblas_syrkx_herkx_restricted_kernelIifLi16ELi32ELi8ELi1ELi1ELb0ELc67ELc76EKffEviT_PT9_S1_lS3_S1_lPT10_S1_li.uses_vcc, 1
	.set _ZL37rocblas_syrkx_herkx_restricted_kernelIifLi16ELi32ELi8ELi1ELi1ELb0ELc67ELc76EKffEviT_PT9_S1_lS3_S1_lPT10_S1_li.uses_flat_scratch, 0
	.set _ZL37rocblas_syrkx_herkx_restricted_kernelIifLi16ELi32ELi8ELi1ELi1ELb0ELc67ELc76EKffEviT_PT9_S1_lS3_S1_lPT10_S1_li.has_dyn_sized_stack, 0
	.set _ZL37rocblas_syrkx_herkx_restricted_kernelIifLi16ELi32ELi8ELi1ELi1ELb0ELc67ELc76EKffEviT_PT9_S1_lS3_S1_lPT10_S1_li.has_recursion, 0
	.set _ZL37rocblas_syrkx_herkx_restricted_kernelIifLi16ELi32ELi8ELi1ELi1ELb0ELc67ELc76EKffEviT_PT9_S1_lS3_S1_lPT10_S1_li.has_indirect_call, 0
	.section	.AMDGPU.csdata,"",@progbits
; Kernel info:
; codeLenInByte = 1088
; TotalNumSgprs: 26
; NumVgprs: 26
; ScratchSize: 0
; MemoryBound: 0
; FloatMode: 240
; IeeeMode: 1
; LDSByteSize: 2048 bytes/workgroup (compile time only)
; SGPRBlocks: 3
; VGPRBlocks: 6
; NumSGPRsForWavesPerEU: 26
; NumVGPRsForWavesPerEU: 26
; Occupancy: 9
; WaveLimiterHint : 0
; COMPUTE_PGM_RSRC2:SCRATCH_EN: 0
; COMPUTE_PGM_RSRC2:USER_SGPR: 6
; COMPUTE_PGM_RSRC2:TRAP_HANDLER: 0
; COMPUTE_PGM_RSRC2:TGID_X_EN: 1
; COMPUTE_PGM_RSRC2:TGID_Y_EN: 1
; COMPUTE_PGM_RSRC2:TGID_Z_EN: 1
; COMPUTE_PGM_RSRC2:TIDIG_COMP_CNT: 1
	.section	.text._ZL37rocblas_syrkx_herkx_restricted_kernelIifLi16ELi32ELi8ELi1ELi1ELb0ELc78ELc76EKffEviT_PT9_S1_lS3_S1_lPT10_S1_li,"axG",@progbits,_ZL37rocblas_syrkx_herkx_restricted_kernelIifLi16ELi32ELi8ELi1ELi1ELb0ELc78ELc76EKffEviT_PT9_S1_lS3_S1_lPT10_S1_li,comdat
	.globl	_ZL37rocblas_syrkx_herkx_restricted_kernelIifLi16ELi32ELi8ELi1ELi1ELb0ELc78ELc76EKffEviT_PT9_S1_lS3_S1_lPT10_S1_li ; -- Begin function _ZL37rocblas_syrkx_herkx_restricted_kernelIifLi16ELi32ELi8ELi1ELi1ELb0ELc78ELc76EKffEviT_PT9_S1_lS3_S1_lPT10_S1_li
	.p2align	8
	.type	_ZL37rocblas_syrkx_herkx_restricted_kernelIifLi16ELi32ELi8ELi1ELi1ELb0ELc78ELc76EKffEviT_PT9_S1_lS3_S1_lPT10_S1_li,@function
_ZL37rocblas_syrkx_herkx_restricted_kernelIifLi16ELi32ELi8ELi1ELi1ELb0ELc78ELc76EKffEviT_PT9_S1_lS3_S1_lPT10_S1_li: ; @_ZL37rocblas_syrkx_herkx_restricted_kernelIifLi16ELi32ELi8ELi1ELi1ELb0ELc78ELc76EKffEviT_PT9_S1_lS3_S1_lPT10_S1_li
; %bb.0:
	s_load_dwordx2 s[10:11], s[4:5], 0x0
	s_load_dwordx4 s[0:3], s[4:5], 0x30
	s_lshl_b32 s9, s6, 5
	s_lshl_b32 s16, s7, 5
	s_mov_b32 s17, 0
	s_waitcnt lgkmcnt(0)
	s_cmp_lt_i32 s11, 1
	s_cbranch_scc1 .LBB4_3
; %bb.1:
	v_lshl_add_u32 v7, v1, 4, v0
	s_load_dword s6, s[4:5], 0x10
	s_load_dword s18, s[4:5], 0x28
	s_load_dwordx2 s[20:21], s[4:5], 0x8
	s_load_dwordx4 s[12:15], s[4:5], 0x18
	v_lshrrev_b32_e32 v8, 3, v7
	v_add_u32_e32 v2, s16, v8
	v_and_b32_e32 v6, 7, v0
	v_ashrrev_i32_e32 v3, 31, v2
	s_waitcnt lgkmcnt(0)
	v_mad_i64_i32 v[4:5], s[22:23], s18, v6, v[2:3]
	v_and_b32_e32 v2, 31, v7
	v_lshrrev_b32_e32 v9, 5, v7
	v_lshlrev_b32_e32 v3, 2, v2
	v_lshl_or_b32 v10, v9, 7, v3
	v_lshlrev_b32_e32 v3, 2, v6
	v_lshl_or_b32 v3, v8, 5, v3
	v_add_u32_e32 v11, 0x400, v3
	v_mov_b32_e32 v3, 0x400
	v_add_u32_e32 v2, s9, v2
	v_lshl_add_u32 v13, v1, 5, v3
	v_ashrrev_i32_e32 v3, 31, v2
	v_mad_i64_i32 v[2:3], s[22:23], s6, v9, v[2:3]
	s_mul_i32 s13, s13, s8
	s_mul_hi_u32 s24, s12, s8
	s_add_i32 s13, s24, s13
	s_mul_i32 s12, s12, s8
	s_ashr_i32 s7, s6, 31
	s_ashr_i32 s19, s18, 31
	s_lshl_b64 s[12:13], s[12:13], 2
	v_lshlrev_b64 v[2:3], 2, v[2:3]
	s_add_u32 s12, s20, s12
	v_add_co_u32_e32 v2, vcc, s12, v2
	s_mul_i32 s1, s1, s8
	s_mul_hi_u32 s12, s0, s8
	s_addc_u32 s13, s21, s13
	s_add_i32 s1, s12, s1
	s_mul_i32 s0, s0, s8
	s_lshl_b64 s[6:7], s[6:7], 5
	s_lshl_b64 s[0:1], s[0:1], 2
	v_mov_b32_e32 v6, s13
	v_lshlrev_b64 v[4:5], 2, v[4:5]
	s_add_u32 s0, s14, s0
	v_addc_co_u32_e32 v3, vcc, v6, v3, vcc
	s_addc_u32 s1, s15, s1
	v_mov_b32_e32 v6, s1
	v_add_co_u32_e32 v4, vcc, s0, v4
	s_lshl_b64 s[12:13], s[18:19], 5
	v_lshlrev_b32_e32 v12, 2, v0
	v_addc_co_u32_e32 v5, vcc, v6, v5, vcc
	v_mov_b32_e32 v6, 0
	v_mov_b32_e32 v14, s7
	v_mov_b32_e32 v15, s13
	v_mov_b32_e32 v7, 0
	v_mov_b32_e32 v8, 0
	v_mov_b32_e32 v9, 0
.LBB4_2:                                ; =>This Inner Loop Header: Depth=1
	global_load_dword v16, v[2:3], off
	global_load_dword v17, v[4:5], off
	s_add_i32 s17, s17, 8
	v_add_co_u32_e32 v2, vcc, s6, v2
	v_add_co_u32_e64 v4, s[0:1], s12, v4
	v_addc_co_u32_e32 v3, vcc, v3, v14, vcc
	v_addc_co_u32_e64 v5, vcc, v5, v15, s[0:1]
	s_cmp_ge_i32 s17, s11
	s_waitcnt vmcnt(1)
	ds_write_b32 v10, v16
	s_waitcnt vmcnt(0)
	ds_write_b32 v11, v17
	s_waitcnt lgkmcnt(0)
	s_barrier
	ds_read2_b32 v[20:21], v12 offset1:16
	ds_read_b128 v[16:19], v13
	ds_read2_b32 v[22:23], v12 offset0:32 offset1:48
	ds_read2_b32 v[24:25], v12 offset0:64 offset1:80
	;; [unrolled: 1-line block ×3, first 2 shown]
	s_waitcnt lgkmcnt(3)
	v_fmac_f32_e32 v9, v20, v16
	v_fmac_f32_e32 v8, v21, v16
	s_waitcnt lgkmcnt(2)
	v_fmac_f32_e32 v9, v22, v17
	v_fmac_f32_e32 v8, v23, v17
	;; [unrolled: 3-line block ×4, first 2 shown]
	ds_read_b128 v[16:19], v13 offset:512
	s_waitcnt lgkmcnt(0)
	v_fmac_f32_e32 v7, v20, v16
	v_fmac_f32_e32 v6, v21, v16
	v_fmac_f32_e32 v7, v22, v17
	v_fmac_f32_e32 v6, v23, v17
	v_fmac_f32_e32 v7, v24, v18
	v_fmac_f32_e32 v6, v25, v18
	v_fmac_f32_e32 v7, v26, v19
	v_fmac_f32_e32 v6, v27, v19
	ds_read2_b32 v[20:21], v12 offset0:128 offset1:144
	ds_read_b128 v[16:19], v13 offset:16
	ds_read2_b32 v[22:23], v12 offset0:160 offset1:176
	ds_read2_b32 v[24:25], v12 offset0:192 offset1:208
	;; [unrolled: 1-line block ×3, first 2 shown]
	s_waitcnt lgkmcnt(3)
	v_fmac_f32_e32 v9, v20, v16
	v_fmac_f32_e32 v8, v21, v16
	s_waitcnt lgkmcnt(2)
	v_fmac_f32_e32 v9, v22, v17
	v_fmac_f32_e32 v8, v23, v17
	;; [unrolled: 3-line block ×4, first 2 shown]
	ds_read_b128 v[16:19], v13 offset:528
	s_waitcnt lgkmcnt(0)
	s_barrier
	v_fmac_f32_e32 v7, v20, v16
	v_fmac_f32_e32 v6, v21, v16
	;; [unrolled: 1-line block ×8, first 2 shown]
	s_cbranch_scc0 .LBB4_2
	s_branch .LBB4_4
.LBB4_3:
	v_mov_b32_e32 v9, 0
	v_mov_b32_e32 v8, 0
	;; [unrolled: 1-line block ×4, first 2 shown]
.LBB4_4:
	s_load_dwordx2 s[0:1], s[4:5], 0x48
	s_load_dword s6, s[4:5], 0x40
	v_add_u32_e32 v4, s16, v1
	v_add_u32_e32 v0, s9, v0
	s_waitcnt lgkmcnt(0)
	s_mul_i32 s1, s1, s8
	s_mul_hi_u32 s4, s0, s8
	s_add_i32 s1, s4, s1
	v_mad_i64_i32 v[1:2], s[4:5], v4, s6, 0
	s_mul_i32 s0, s0, s8
	s_lshl_b64 s[0:1], s[0:1], 2
	s_add_u32 s7, s2, s0
	v_lshlrev_b64 v[1:2], 2, v[1:2]
	s_addc_u32 s8, s3, s1
	v_mov_b32_e32 v3, s8
	v_add_co_u32_e32 v5, vcc, s7, v1
	v_addc_co_u32_e32 v10, vcc, v3, v2, vcc
	v_cmp_le_i32_e64 s[0:1], v4, v0
	v_cmp_gt_i32_e32 vcc, s10, v0
	s_and_b64 s[0:1], s[0:1], vcc
	s_and_saveexec_b64 s[2:3], s[0:1]
	s_cbranch_execz .LBB4_6
; %bb.5:
	v_ashrrev_i32_e32 v1, 31, v0
	v_lshlrev_b64 v[1:2], 2, v[0:1]
	v_add_co_u32_e64 v1, s[0:1], v5, v1
	v_addc_co_u32_e64 v2, s[0:1], v10, v2, s[0:1]
	global_load_dword v3, v[1:2], off
	s_waitcnt vmcnt(0)
	v_add_f32_e32 v3, v9, v3
	global_store_dword v[1:2], v3, off
.LBB4_6:
	s_or_b64 exec, exec, s[2:3]
	v_add_u32_e32 v2, 16, v0
	v_cmp_le_i32_e64 s[2:3], v4, v2
	v_cmp_gt_i32_e64 s[0:1], s10, v2
	s_and_b64 s[2:3], s[2:3], s[0:1]
	s_and_saveexec_b64 s[4:5], s[2:3]
	s_cbranch_execz .LBB4_8
; %bb.7:
	v_ashrrev_i32_e32 v3, 31, v2
	v_lshlrev_b64 v[11:12], 2, v[2:3]
	v_add_co_u32_e64 v9, s[2:3], v5, v11
	v_addc_co_u32_e64 v10, s[2:3], v10, v12, s[2:3]
	global_load_dword v1, v[9:10], off
	s_waitcnt vmcnt(0)
	v_add_f32_e32 v1, v8, v1
	global_store_dword v[9:10], v1, off
.LBB4_8:
	s_or_b64 exec, exec, s[4:5]
	v_add_u32_e32 v3, 16, v4
	v_mad_i64_i32 v[4:5], s[2:3], v3, s6, 0
	v_mov_b32_e32 v1, s8
	v_lshlrev_b64 v[4:5], 2, v[4:5]
	v_add_co_u32_e64 v4, s[2:3], s7, v4
	v_addc_co_u32_e64 v5, s[2:3], v1, v5, s[2:3]
	v_cmp_le_i32_e64 s[2:3], v3, v0
	s_and_b64 s[4:5], s[2:3], vcc
	s_and_saveexec_b64 s[2:3], s[4:5]
	s_cbranch_execz .LBB4_10
; %bb.9:
	v_ashrrev_i32_e32 v1, 31, v0
	v_lshlrev_b64 v[0:1], 2, v[0:1]
	v_add_co_u32_e32 v0, vcc, v4, v0
	v_addc_co_u32_e32 v1, vcc, v5, v1, vcc
	global_load_dword v8, v[0:1], off
	s_waitcnt vmcnt(0)
	v_add_f32_e32 v7, v7, v8
	global_store_dword v[0:1], v7, off
.LBB4_10:
	s_or_b64 exec, exec, s[2:3]
	v_cmp_le_i32_e32 vcc, v3, v2
	s_and_b64 s[0:1], vcc, s[0:1]
	s_and_saveexec_b64 s[2:3], s[0:1]
	s_cbranch_execz .LBB4_12
; %bb.11:
	v_ashrrev_i32_e32 v3, 31, v2
	v_lshlrev_b64 v[0:1], 2, v[2:3]
	v_add_co_u32_e32 v0, vcc, v4, v0
	v_addc_co_u32_e32 v1, vcc, v5, v1, vcc
	global_load_dword v2, v[0:1], off
	s_waitcnt vmcnt(0)
	v_add_f32_e32 v2, v6, v2
	global_store_dword v[0:1], v2, off
.LBB4_12:
	s_endpgm
	.section	.rodata,"a",@progbits
	.p2align	6, 0x0
	.amdhsa_kernel _ZL37rocblas_syrkx_herkx_restricted_kernelIifLi16ELi32ELi8ELi1ELi1ELb0ELc78ELc76EKffEviT_PT9_S1_lS3_S1_lPT10_S1_li
		.amdhsa_group_segment_fixed_size 2048
		.amdhsa_private_segment_fixed_size 0
		.amdhsa_kernarg_size 84
		.amdhsa_user_sgpr_count 6
		.amdhsa_user_sgpr_private_segment_buffer 1
		.amdhsa_user_sgpr_dispatch_ptr 0
		.amdhsa_user_sgpr_queue_ptr 0
		.amdhsa_user_sgpr_kernarg_segment_ptr 1
		.amdhsa_user_sgpr_dispatch_id 0
		.amdhsa_user_sgpr_flat_scratch_init 0
		.amdhsa_user_sgpr_private_segment_size 0
		.amdhsa_uses_dynamic_stack 0
		.amdhsa_system_sgpr_private_segment_wavefront_offset 0
		.amdhsa_system_sgpr_workgroup_id_x 1
		.amdhsa_system_sgpr_workgroup_id_y 1
		.amdhsa_system_sgpr_workgroup_id_z 1
		.amdhsa_system_sgpr_workgroup_info 0
		.amdhsa_system_vgpr_workitem_id 1
		.amdhsa_next_free_vgpr 28
		.amdhsa_next_free_sgpr 25
		.amdhsa_reserve_vcc 1
		.amdhsa_reserve_flat_scratch 0
		.amdhsa_float_round_mode_32 0
		.amdhsa_float_round_mode_16_64 0
		.amdhsa_float_denorm_mode_32 3
		.amdhsa_float_denorm_mode_16_64 3
		.amdhsa_dx10_clamp 1
		.amdhsa_ieee_mode 1
		.amdhsa_fp16_overflow 0
		.amdhsa_exception_fp_ieee_invalid_op 0
		.amdhsa_exception_fp_denorm_src 0
		.amdhsa_exception_fp_ieee_div_zero 0
		.amdhsa_exception_fp_ieee_overflow 0
		.amdhsa_exception_fp_ieee_underflow 0
		.amdhsa_exception_fp_ieee_inexact 0
		.amdhsa_exception_int_div_zero 0
	.end_amdhsa_kernel
	.section	.text._ZL37rocblas_syrkx_herkx_restricted_kernelIifLi16ELi32ELi8ELi1ELi1ELb0ELc78ELc76EKffEviT_PT9_S1_lS3_S1_lPT10_S1_li,"axG",@progbits,_ZL37rocblas_syrkx_herkx_restricted_kernelIifLi16ELi32ELi8ELi1ELi1ELb0ELc78ELc76EKffEviT_PT9_S1_lS3_S1_lPT10_S1_li,comdat
.Lfunc_end4:
	.size	_ZL37rocblas_syrkx_herkx_restricted_kernelIifLi16ELi32ELi8ELi1ELi1ELb0ELc78ELc76EKffEviT_PT9_S1_lS3_S1_lPT10_S1_li, .Lfunc_end4-_ZL37rocblas_syrkx_herkx_restricted_kernelIifLi16ELi32ELi8ELi1ELi1ELb0ELc78ELc76EKffEviT_PT9_S1_lS3_S1_lPT10_S1_li
                                        ; -- End function
	.set _ZL37rocblas_syrkx_herkx_restricted_kernelIifLi16ELi32ELi8ELi1ELi1ELb0ELc78ELc76EKffEviT_PT9_S1_lS3_S1_lPT10_S1_li.num_vgpr, 28
	.set _ZL37rocblas_syrkx_herkx_restricted_kernelIifLi16ELi32ELi8ELi1ELi1ELb0ELc78ELc76EKffEviT_PT9_S1_lS3_S1_lPT10_S1_li.num_agpr, 0
	.set _ZL37rocblas_syrkx_herkx_restricted_kernelIifLi16ELi32ELi8ELi1ELi1ELb0ELc78ELc76EKffEviT_PT9_S1_lS3_S1_lPT10_S1_li.numbered_sgpr, 25
	.set _ZL37rocblas_syrkx_herkx_restricted_kernelIifLi16ELi32ELi8ELi1ELi1ELb0ELc78ELc76EKffEviT_PT9_S1_lS3_S1_lPT10_S1_li.num_named_barrier, 0
	.set _ZL37rocblas_syrkx_herkx_restricted_kernelIifLi16ELi32ELi8ELi1ELi1ELb0ELc78ELc76EKffEviT_PT9_S1_lS3_S1_lPT10_S1_li.private_seg_size, 0
	.set _ZL37rocblas_syrkx_herkx_restricted_kernelIifLi16ELi32ELi8ELi1ELi1ELb0ELc78ELc76EKffEviT_PT9_S1_lS3_S1_lPT10_S1_li.uses_vcc, 1
	.set _ZL37rocblas_syrkx_herkx_restricted_kernelIifLi16ELi32ELi8ELi1ELi1ELb0ELc78ELc76EKffEviT_PT9_S1_lS3_S1_lPT10_S1_li.uses_flat_scratch, 0
	.set _ZL37rocblas_syrkx_herkx_restricted_kernelIifLi16ELi32ELi8ELi1ELi1ELb0ELc78ELc76EKffEviT_PT9_S1_lS3_S1_lPT10_S1_li.has_dyn_sized_stack, 0
	.set _ZL37rocblas_syrkx_herkx_restricted_kernelIifLi16ELi32ELi8ELi1ELi1ELb0ELc78ELc76EKffEviT_PT9_S1_lS3_S1_lPT10_S1_li.has_recursion, 0
	.set _ZL37rocblas_syrkx_herkx_restricted_kernelIifLi16ELi32ELi8ELi1ELi1ELb0ELc78ELc76EKffEviT_PT9_S1_lS3_S1_lPT10_S1_li.has_indirect_call, 0
	.section	.AMDGPU.csdata,"",@progbits
; Kernel info:
; codeLenInByte = 1116
; TotalNumSgprs: 29
; NumVgprs: 28
; ScratchSize: 0
; MemoryBound: 0
; FloatMode: 240
; IeeeMode: 1
; LDSByteSize: 2048 bytes/workgroup (compile time only)
; SGPRBlocks: 3
; VGPRBlocks: 6
; NumSGPRsForWavesPerEU: 29
; NumVGPRsForWavesPerEU: 28
; Occupancy: 9
; WaveLimiterHint : 0
; COMPUTE_PGM_RSRC2:SCRATCH_EN: 0
; COMPUTE_PGM_RSRC2:USER_SGPR: 6
; COMPUTE_PGM_RSRC2:TRAP_HANDLER: 0
; COMPUTE_PGM_RSRC2:TGID_X_EN: 1
; COMPUTE_PGM_RSRC2:TGID_Y_EN: 1
; COMPUTE_PGM_RSRC2:TGID_Z_EN: 1
; COMPUTE_PGM_RSRC2:TIDIG_COMP_CNT: 1
	.section	.text._ZL37rocblas_syrkx_herkx_restricted_kernelIifLi16ELi32ELi8ELi1ELi1ELb0ELc84ELc85EKffEviT_PT9_S1_lS3_S1_lPT10_S1_li,"axG",@progbits,_ZL37rocblas_syrkx_herkx_restricted_kernelIifLi16ELi32ELi8ELi1ELi1ELb0ELc84ELc85EKffEviT_PT9_S1_lS3_S1_lPT10_S1_li,comdat
	.globl	_ZL37rocblas_syrkx_herkx_restricted_kernelIifLi16ELi32ELi8ELi1ELi1ELb0ELc84ELc85EKffEviT_PT9_S1_lS3_S1_lPT10_S1_li ; -- Begin function _ZL37rocblas_syrkx_herkx_restricted_kernelIifLi16ELi32ELi8ELi1ELi1ELb0ELc84ELc85EKffEviT_PT9_S1_lS3_S1_lPT10_S1_li
	.p2align	8
	.type	_ZL37rocblas_syrkx_herkx_restricted_kernelIifLi16ELi32ELi8ELi1ELi1ELb0ELc84ELc85EKffEviT_PT9_S1_lS3_S1_lPT10_S1_li,@function
_ZL37rocblas_syrkx_herkx_restricted_kernelIifLi16ELi32ELi8ELi1ELi1ELb0ELc84ELc85EKffEviT_PT9_S1_lS3_S1_lPT10_S1_li: ; @_ZL37rocblas_syrkx_herkx_restricted_kernelIifLi16ELi32ELi8ELi1ELi1ELb0ELc84ELc85EKffEviT_PT9_S1_lS3_S1_lPT10_S1_li
; %bb.0:
	s_load_dwordx2 s[10:11], s[4:5], 0x0
	s_load_dwordx4 s[0:3], s[4:5], 0x30
	s_lshl_b32 s6, s6, 5
	s_lshl_b32 s7, s7, 5
	s_mov_b32 s9, 0
	s_waitcnt lgkmcnt(0)
	s_cmp_lt_i32 s11, 1
	s_cbranch_scc1 .LBB5_3
; %bb.1:
	s_load_dwordx2 s[16:17], s[4:5], 0x8
	s_load_dword s20, s[4:5], 0x10
	s_load_dwordx4 s[12:15], s[4:5], 0x18
	s_load_dword s18, s[4:5], 0x28
	v_lshl_add_u32 v4, v1, 4, v0
	v_lshrrev_b32_e32 v8, 3, v4
	v_add_u32_e32 v5, s7, v8
	v_and_b32_e32 v2, 7, v0
	v_mov_b32_e32 v3, 0
	s_waitcnt lgkmcnt(0)
	v_mad_i64_i32 v[6:7], s[18:19], s18, v5, v[2:3]
	v_lshlrev_b32_e32 v2, 2, v2
	v_lshl_or_b32 v2, v8, 5, v2
	v_and_b32_e32 v9, 31, v4
	v_add_u32_e32 v11, 0x400, v2
	v_mov_b32_e32 v2, 0x400
	v_lshrrev_b32_e32 v4, 5, v4
	v_mov_b32_e32 v5, v3
	v_lshlrev_b32_e32 v10, 2, v9
	v_lshl_add_u32 v13, v1, 5, v2
	v_add_u32_e32 v2, s6, v9
	v_lshl_or_b32 v10, v4, 7, v10
	v_mad_i64_i32 v[4:5], s[18:19], s20, v2, v[4:5]
	s_mul_i32 s13, s13, s8
	s_mul_hi_u32 s21, s12, s8
	s_add_i32 s13, s21, s13
	s_mul_i32 s12, s12, s8
	s_lshl_b64 s[12:13], s[12:13], 2
	v_lshlrev_b64 v[4:5], 2, v[4:5]
	s_add_u32 s12, s16, s12
	v_add_co_u32_e32 v4, vcc, s12, v4
	s_mul_i32 s1, s1, s8
	s_mul_hi_u32 s12, s0, s8
	s_addc_u32 s13, s17, s13
	s_add_i32 s1, s12, s1
	s_mul_i32 s0, s0, s8
	s_lshl_b64 s[0:1], s[0:1], 2
	v_mov_b32_e32 v2, s13
	v_lshlrev_b64 v[6:7], 2, v[6:7]
	s_add_u32 s0, s14, s0
	v_addc_co_u32_e32 v5, vcc, v2, v5, vcc
	s_addc_u32 s1, s15, s1
	v_mov_b32_e32 v2, s1
	v_add_co_u32_e32 v6, vcc, s0, v6
	v_lshlrev_b32_e32 v12, 2, v0
	v_addc_co_u32_e32 v7, vcc, v2, v7, vcc
	v_mov_b32_e32 v2, v3
	v_mov_b32_e32 v8, v3
	;; [unrolled: 1-line block ×3, first 2 shown]
.LBB5_2:                                ; =>This Inner Loop Header: Depth=1
	global_load_dword v14, v[4:5], off
	s_add_i32 s9, s9, 8
	v_add_co_u32_e32 v4, vcc, 32, v4
	v_addc_co_u32_e32 v5, vcc, 0, v5, vcc
	s_cmp_ge_i32 s9, s11
	s_waitcnt vmcnt(0)
	ds_write_b32 v10, v14
	global_load_dword v14, v[6:7], off
	v_add_co_u32_e64 v6, s[0:1], 32, v6
	v_addc_co_u32_e64 v7, vcc, 0, v7, s[0:1]
	s_waitcnt vmcnt(0)
	ds_write_b32 v11, v14
	s_waitcnt lgkmcnt(0)
	s_barrier
	ds_read2_b32 v[18:19], v12 offset1:16
	ds_read_b128 v[14:17], v13
	ds_read2_b32 v[20:21], v12 offset0:32 offset1:48
	ds_read2_b32 v[22:23], v12 offset0:64 offset1:80
	;; [unrolled: 1-line block ×3, first 2 shown]
	s_waitcnt lgkmcnt(3)
	v_fmac_f32_e32 v9, v18, v14
	v_fmac_f32_e32 v8, v19, v14
	s_waitcnt lgkmcnt(2)
	v_fmac_f32_e32 v9, v20, v15
	v_fmac_f32_e32 v8, v21, v15
	s_waitcnt lgkmcnt(1)
	v_fmac_f32_e32 v9, v22, v16
	v_fmac_f32_e32 v8, v23, v16
	s_waitcnt lgkmcnt(0)
	v_fmac_f32_e32 v9, v24, v17
	v_fmac_f32_e32 v8, v25, v17
	ds_read_b128 v[14:17], v13 offset:512
	s_waitcnt lgkmcnt(0)
	v_fmac_f32_e32 v2, v18, v14
	v_fmac_f32_e32 v3, v19, v14
	;; [unrolled: 1-line block ×8, first 2 shown]
	ds_read2_b32 v[18:19], v12 offset0:128 offset1:144
	ds_read_b128 v[14:17], v13 offset:16
	ds_read2_b32 v[20:21], v12 offset0:160 offset1:176
	ds_read2_b32 v[22:23], v12 offset0:192 offset1:208
	ds_read2_b32 v[24:25], v12 offset0:224 offset1:240
	s_waitcnt lgkmcnt(3)
	v_fmac_f32_e32 v9, v18, v14
	v_fmac_f32_e32 v8, v19, v14
	s_waitcnt lgkmcnt(2)
	v_fmac_f32_e32 v9, v20, v15
	v_fmac_f32_e32 v8, v21, v15
	;; [unrolled: 3-line block ×4, first 2 shown]
	ds_read_b128 v[14:17], v13 offset:528
	s_waitcnt lgkmcnt(0)
	s_barrier
	v_fmac_f32_e32 v2, v18, v14
	v_fmac_f32_e32 v3, v19, v14
	;; [unrolled: 1-line block ×8, first 2 shown]
	s_cbranch_scc0 .LBB5_2
	s_branch .LBB5_4
.LBB5_3:
	v_mov_b32_e32 v9, 0
	v_mov_b32_e32 v8, 0
	;; [unrolled: 1-line block ×4, first 2 shown]
.LBB5_4:
	s_load_dwordx2 s[0:1], s[4:5], 0x48
	s_load_dword s9, s[4:5], 0x40
	v_add_u32_e32 v6, s7, v1
	v_add_u32_e32 v0, s6, v0
	v_cmp_gt_i32_e32 vcc, s10, v6
	s_waitcnt lgkmcnt(0)
	s_mul_i32 s1, s1, s8
	v_mad_i64_i32 v[4:5], s[12:13], v6, s9, 0
	s_mul_hi_u32 s4, s0, s8
	s_mul_i32 s0, s0, s8
	s_add_i32 s1, s4, s1
	s_lshl_b64 s[0:1], s[0:1], 2
	s_add_u32 s4, s2, s0
	v_lshlrev_b64 v[4:5], 2, v[4:5]
	s_addc_u32 s5, s3, s1
	v_mov_b32_e32 v1, s5
	v_add_co_u32_e64 v7, s[0:1], s4, v4
	v_addc_co_u32_e64 v10, s[0:1], v1, v5, s[0:1]
	v_cmp_le_i32_e64 s[0:1], v0, v6
	s_and_b64 s[0:1], vcc, s[0:1]
	s_and_saveexec_b64 s[2:3], s[0:1]
	s_cbranch_execz .LBB5_6
; %bb.5:
	v_ashrrev_i32_e32 v1, 31, v0
	v_lshlrev_b64 v[4:5], 2, v[0:1]
	v_add_co_u32_e64 v4, s[0:1], v7, v4
	v_addc_co_u32_e64 v5, s[0:1], v10, v5, s[0:1]
	global_load_dword v1, v[4:5], off
	s_waitcnt vmcnt(0)
	v_add_f32_e32 v1, v9, v1
	global_store_dword v[4:5], v1, off
.LBB5_6:
	s_or_b64 exec, exec, s[2:3]
	v_add_u32_e32 v4, 16, v0
	v_cmp_le_i32_e64 s[0:1], v4, v6
	s_and_b64 s[2:3], vcc, s[0:1]
	s_and_saveexec_b64 s[0:1], s[2:3]
	s_cbranch_execz .LBB5_8
; %bb.7:
	v_ashrrev_i32_e32 v5, 31, v4
	v_lshlrev_b64 v[11:12], 2, v[4:5]
	v_add_co_u32_e32 v9, vcc, v7, v11
	v_addc_co_u32_e32 v10, vcc, v10, v12, vcc
	global_load_dword v1, v[9:10], off
	s_waitcnt vmcnt(0)
	v_add_f32_e32 v1, v8, v1
	global_store_dword v[9:10], v1, off
.LBB5_8:
	s_or_b64 exec, exec, s[0:1]
	v_add_u32_e32 v5, 16, v6
	v_mad_i64_i32 v[6:7], s[0:1], v5, s9, 0
	v_mov_b32_e32 v1, s5
	v_cmp_gt_i32_e32 vcc, s10, v5
	v_lshlrev_b64 v[6:7], 2, v[6:7]
	v_add_co_u32_e64 v6, s[0:1], s4, v6
	v_addc_co_u32_e64 v7, s[0:1], v1, v7, s[0:1]
	v_cmp_le_i32_e64 s[0:1], v0, v5
	s_and_b64 s[0:1], vcc, s[0:1]
	s_and_saveexec_b64 s[2:3], s[0:1]
	s_cbranch_execz .LBB5_10
; %bb.9:
	v_ashrrev_i32_e32 v1, 31, v0
	v_lshlrev_b64 v[0:1], 2, v[0:1]
	v_add_co_u32_e64 v0, s[0:1], v6, v0
	v_addc_co_u32_e64 v1, s[0:1], v7, v1, s[0:1]
	global_load_dword v8, v[0:1], off
	s_waitcnt vmcnt(0)
	v_add_f32_e32 v2, v2, v8
	global_store_dword v[0:1], v2, off
.LBB5_10:
	s_or_b64 exec, exec, s[2:3]
	v_cmp_le_i32_e64 s[0:1], v4, v5
	s_and_b64 s[0:1], vcc, s[0:1]
	s_and_saveexec_b64 s[2:3], s[0:1]
	s_cbranch_execz .LBB5_12
; %bb.11:
	v_ashrrev_i32_e32 v5, 31, v4
	v_lshlrev_b64 v[0:1], 2, v[4:5]
	v_add_co_u32_e32 v0, vcc, v6, v0
	v_addc_co_u32_e32 v1, vcc, v7, v1, vcc
	global_load_dword v2, v[0:1], off
	s_waitcnt vmcnt(0)
	v_add_f32_e32 v2, v3, v2
	global_store_dword v[0:1], v2, off
.LBB5_12:
	s_endpgm
	.section	.rodata,"a",@progbits
	.p2align	6, 0x0
	.amdhsa_kernel _ZL37rocblas_syrkx_herkx_restricted_kernelIifLi16ELi32ELi8ELi1ELi1ELb0ELc84ELc85EKffEviT_PT9_S1_lS3_S1_lPT10_S1_li
		.amdhsa_group_segment_fixed_size 2048
		.amdhsa_private_segment_fixed_size 0
		.amdhsa_kernarg_size 84
		.amdhsa_user_sgpr_count 6
		.amdhsa_user_sgpr_private_segment_buffer 1
		.amdhsa_user_sgpr_dispatch_ptr 0
		.amdhsa_user_sgpr_queue_ptr 0
		.amdhsa_user_sgpr_kernarg_segment_ptr 1
		.amdhsa_user_sgpr_dispatch_id 0
		.amdhsa_user_sgpr_flat_scratch_init 0
		.amdhsa_user_sgpr_private_segment_size 0
		.amdhsa_uses_dynamic_stack 0
		.amdhsa_system_sgpr_private_segment_wavefront_offset 0
		.amdhsa_system_sgpr_workgroup_id_x 1
		.amdhsa_system_sgpr_workgroup_id_y 1
		.amdhsa_system_sgpr_workgroup_id_z 1
		.amdhsa_system_sgpr_workgroup_info 0
		.amdhsa_system_vgpr_workitem_id 1
		.amdhsa_next_free_vgpr 26
		.amdhsa_next_free_sgpr 22
		.amdhsa_reserve_vcc 1
		.amdhsa_reserve_flat_scratch 0
		.amdhsa_float_round_mode_32 0
		.amdhsa_float_round_mode_16_64 0
		.amdhsa_float_denorm_mode_32 3
		.amdhsa_float_denorm_mode_16_64 3
		.amdhsa_dx10_clamp 1
		.amdhsa_ieee_mode 1
		.amdhsa_fp16_overflow 0
		.amdhsa_exception_fp_ieee_invalid_op 0
		.amdhsa_exception_fp_denorm_src 0
		.amdhsa_exception_fp_ieee_div_zero 0
		.amdhsa_exception_fp_ieee_overflow 0
		.amdhsa_exception_fp_ieee_underflow 0
		.amdhsa_exception_fp_ieee_inexact 0
		.amdhsa_exception_int_div_zero 0
	.end_amdhsa_kernel
	.section	.text._ZL37rocblas_syrkx_herkx_restricted_kernelIifLi16ELi32ELi8ELi1ELi1ELb0ELc84ELc85EKffEviT_PT9_S1_lS3_S1_lPT10_S1_li,"axG",@progbits,_ZL37rocblas_syrkx_herkx_restricted_kernelIifLi16ELi32ELi8ELi1ELi1ELb0ELc84ELc85EKffEviT_PT9_S1_lS3_S1_lPT10_S1_li,comdat
.Lfunc_end5:
	.size	_ZL37rocblas_syrkx_herkx_restricted_kernelIifLi16ELi32ELi8ELi1ELi1ELb0ELc84ELc85EKffEviT_PT9_S1_lS3_S1_lPT10_S1_li, .Lfunc_end5-_ZL37rocblas_syrkx_herkx_restricted_kernelIifLi16ELi32ELi8ELi1ELi1ELb0ELc84ELc85EKffEviT_PT9_S1_lS3_S1_lPT10_S1_li
                                        ; -- End function
	.set _ZL37rocblas_syrkx_herkx_restricted_kernelIifLi16ELi32ELi8ELi1ELi1ELb0ELc84ELc85EKffEviT_PT9_S1_lS3_S1_lPT10_S1_li.num_vgpr, 26
	.set _ZL37rocblas_syrkx_herkx_restricted_kernelIifLi16ELi32ELi8ELi1ELi1ELb0ELc84ELc85EKffEviT_PT9_S1_lS3_S1_lPT10_S1_li.num_agpr, 0
	.set _ZL37rocblas_syrkx_herkx_restricted_kernelIifLi16ELi32ELi8ELi1ELi1ELb0ELc84ELc85EKffEviT_PT9_S1_lS3_S1_lPT10_S1_li.numbered_sgpr, 22
	.set _ZL37rocblas_syrkx_herkx_restricted_kernelIifLi16ELi32ELi8ELi1ELi1ELb0ELc84ELc85EKffEviT_PT9_S1_lS3_S1_lPT10_S1_li.num_named_barrier, 0
	.set _ZL37rocblas_syrkx_herkx_restricted_kernelIifLi16ELi32ELi8ELi1ELi1ELb0ELc84ELc85EKffEviT_PT9_S1_lS3_S1_lPT10_S1_li.private_seg_size, 0
	.set _ZL37rocblas_syrkx_herkx_restricted_kernelIifLi16ELi32ELi8ELi1ELi1ELb0ELc84ELc85EKffEviT_PT9_S1_lS3_S1_lPT10_S1_li.uses_vcc, 1
	.set _ZL37rocblas_syrkx_herkx_restricted_kernelIifLi16ELi32ELi8ELi1ELi1ELb0ELc84ELc85EKffEviT_PT9_S1_lS3_S1_lPT10_S1_li.uses_flat_scratch, 0
	.set _ZL37rocblas_syrkx_herkx_restricted_kernelIifLi16ELi32ELi8ELi1ELi1ELb0ELc84ELc85EKffEviT_PT9_S1_lS3_S1_lPT10_S1_li.has_dyn_sized_stack, 0
	.set _ZL37rocblas_syrkx_herkx_restricted_kernelIifLi16ELi32ELi8ELi1ELi1ELb0ELc84ELc85EKffEviT_PT9_S1_lS3_S1_lPT10_S1_li.has_recursion, 0
	.set _ZL37rocblas_syrkx_herkx_restricted_kernelIifLi16ELi32ELi8ELi1ELi1ELb0ELc84ELc85EKffEviT_PT9_S1_lS3_S1_lPT10_S1_li.has_indirect_call, 0
	.section	.AMDGPU.csdata,"",@progbits
; Kernel info:
; codeLenInByte = 1096
; TotalNumSgprs: 26
; NumVgprs: 26
; ScratchSize: 0
; MemoryBound: 0
; FloatMode: 240
; IeeeMode: 1
; LDSByteSize: 2048 bytes/workgroup (compile time only)
; SGPRBlocks: 3
; VGPRBlocks: 6
; NumSGPRsForWavesPerEU: 26
; NumVGPRsForWavesPerEU: 26
; Occupancy: 9
; WaveLimiterHint : 0
; COMPUTE_PGM_RSRC2:SCRATCH_EN: 0
; COMPUTE_PGM_RSRC2:USER_SGPR: 6
; COMPUTE_PGM_RSRC2:TRAP_HANDLER: 0
; COMPUTE_PGM_RSRC2:TGID_X_EN: 1
; COMPUTE_PGM_RSRC2:TGID_Y_EN: 1
; COMPUTE_PGM_RSRC2:TGID_Z_EN: 1
; COMPUTE_PGM_RSRC2:TIDIG_COMP_CNT: 1
	.section	.text._ZL37rocblas_syrkx_herkx_restricted_kernelIifLi16ELi32ELi8ELi1ELi1ELb0ELc67ELc85EKffEviT_PT9_S1_lS3_S1_lPT10_S1_li,"axG",@progbits,_ZL37rocblas_syrkx_herkx_restricted_kernelIifLi16ELi32ELi8ELi1ELi1ELb0ELc67ELc85EKffEviT_PT9_S1_lS3_S1_lPT10_S1_li,comdat
	.globl	_ZL37rocblas_syrkx_herkx_restricted_kernelIifLi16ELi32ELi8ELi1ELi1ELb0ELc67ELc85EKffEviT_PT9_S1_lS3_S1_lPT10_S1_li ; -- Begin function _ZL37rocblas_syrkx_herkx_restricted_kernelIifLi16ELi32ELi8ELi1ELi1ELb0ELc67ELc85EKffEviT_PT9_S1_lS3_S1_lPT10_S1_li
	.p2align	8
	.type	_ZL37rocblas_syrkx_herkx_restricted_kernelIifLi16ELi32ELi8ELi1ELi1ELb0ELc67ELc85EKffEviT_PT9_S1_lS3_S1_lPT10_S1_li,@function
_ZL37rocblas_syrkx_herkx_restricted_kernelIifLi16ELi32ELi8ELi1ELi1ELb0ELc67ELc85EKffEviT_PT9_S1_lS3_S1_lPT10_S1_li: ; @_ZL37rocblas_syrkx_herkx_restricted_kernelIifLi16ELi32ELi8ELi1ELi1ELb0ELc67ELc85EKffEviT_PT9_S1_lS3_S1_lPT10_S1_li
; %bb.0:
	s_load_dwordx2 s[10:11], s[4:5], 0x0
	s_load_dwordx4 s[0:3], s[4:5], 0x30
	s_lshl_b32 s6, s6, 5
	s_lshl_b32 s7, s7, 5
	s_mov_b32 s9, 0
	s_waitcnt lgkmcnt(0)
	s_cmp_lt_i32 s11, 1
	s_cbranch_scc1 .LBB6_3
; %bb.1:
	s_load_dwordx2 s[16:17], s[4:5], 0x8
	s_load_dword s20, s[4:5], 0x10
	s_load_dwordx4 s[12:15], s[4:5], 0x18
	s_load_dword s18, s[4:5], 0x28
	v_lshl_add_u32 v4, v1, 4, v0
	v_lshrrev_b32_e32 v8, 3, v4
	v_add_u32_e32 v5, s7, v8
	v_and_b32_e32 v2, 7, v0
	v_mov_b32_e32 v3, 0
	s_waitcnt lgkmcnt(0)
	v_mad_i64_i32 v[6:7], s[18:19], s18, v5, v[2:3]
	v_lshlrev_b32_e32 v2, 2, v2
	v_lshl_or_b32 v2, v8, 5, v2
	v_and_b32_e32 v9, 31, v4
	v_add_u32_e32 v11, 0x400, v2
	v_mov_b32_e32 v2, 0x400
	v_lshrrev_b32_e32 v4, 5, v4
	v_mov_b32_e32 v5, v3
	v_lshlrev_b32_e32 v10, 2, v9
	v_lshl_add_u32 v13, v1, 5, v2
	v_add_u32_e32 v2, s6, v9
	v_lshl_or_b32 v10, v4, 7, v10
	v_mad_i64_i32 v[4:5], s[18:19], s20, v2, v[4:5]
	s_mul_i32 s13, s13, s8
	s_mul_hi_u32 s21, s12, s8
	s_add_i32 s13, s21, s13
	s_mul_i32 s12, s12, s8
	s_lshl_b64 s[12:13], s[12:13], 2
	v_lshlrev_b64 v[4:5], 2, v[4:5]
	s_add_u32 s12, s16, s12
	v_add_co_u32_e32 v4, vcc, s12, v4
	s_mul_i32 s1, s1, s8
	s_mul_hi_u32 s12, s0, s8
	s_addc_u32 s13, s17, s13
	s_add_i32 s1, s12, s1
	s_mul_i32 s0, s0, s8
	s_lshl_b64 s[0:1], s[0:1], 2
	v_mov_b32_e32 v2, s13
	v_lshlrev_b64 v[6:7], 2, v[6:7]
	s_add_u32 s0, s14, s0
	v_addc_co_u32_e32 v5, vcc, v2, v5, vcc
	s_addc_u32 s1, s15, s1
	v_mov_b32_e32 v2, s1
	v_add_co_u32_e32 v6, vcc, s0, v6
	v_lshlrev_b32_e32 v12, 2, v0
	v_addc_co_u32_e32 v7, vcc, v2, v7, vcc
	v_mov_b32_e32 v2, v3
	v_mov_b32_e32 v8, v3
	;; [unrolled: 1-line block ×3, first 2 shown]
.LBB6_2:                                ; =>This Inner Loop Header: Depth=1
	global_load_dword v14, v[4:5], off
	s_add_i32 s9, s9, 8
	v_add_co_u32_e32 v4, vcc, 32, v4
	v_addc_co_u32_e32 v5, vcc, 0, v5, vcc
	s_cmp_ge_i32 s9, s11
	s_waitcnt vmcnt(0)
	ds_write_b32 v10, v14
	global_load_dword v14, v[6:7], off
	v_add_co_u32_e64 v6, s[0:1], 32, v6
	v_addc_co_u32_e64 v7, vcc, 0, v7, s[0:1]
	s_waitcnt vmcnt(0)
	ds_write_b32 v11, v14
	s_waitcnt lgkmcnt(0)
	s_barrier
	ds_read2_b32 v[18:19], v12 offset1:16
	ds_read_b128 v[14:17], v13
	ds_read2_b32 v[20:21], v12 offset0:32 offset1:48
	ds_read2_b32 v[22:23], v12 offset0:64 offset1:80
	;; [unrolled: 1-line block ×3, first 2 shown]
	s_waitcnt lgkmcnt(3)
	v_fmac_f32_e32 v9, v18, v14
	v_fmac_f32_e32 v8, v19, v14
	s_waitcnt lgkmcnt(2)
	v_fmac_f32_e32 v9, v20, v15
	v_fmac_f32_e32 v8, v21, v15
	;; [unrolled: 3-line block ×4, first 2 shown]
	ds_read_b128 v[14:17], v13 offset:512
	s_waitcnt lgkmcnt(0)
	v_fmac_f32_e32 v2, v18, v14
	v_fmac_f32_e32 v3, v19, v14
	;; [unrolled: 1-line block ×8, first 2 shown]
	ds_read2_b32 v[18:19], v12 offset0:128 offset1:144
	ds_read_b128 v[14:17], v13 offset:16
	ds_read2_b32 v[20:21], v12 offset0:160 offset1:176
	ds_read2_b32 v[22:23], v12 offset0:192 offset1:208
	;; [unrolled: 1-line block ×3, first 2 shown]
	s_waitcnt lgkmcnt(3)
	v_fmac_f32_e32 v9, v18, v14
	v_fmac_f32_e32 v8, v19, v14
	s_waitcnt lgkmcnt(2)
	v_fmac_f32_e32 v9, v20, v15
	v_fmac_f32_e32 v8, v21, v15
	;; [unrolled: 3-line block ×4, first 2 shown]
	ds_read_b128 v[14:17], v13 offset:528
	s_waitcnt lgkmcnt(0)
	s_barrier
	v_fmac_f32_e32 v2, v18, v14
	v_fmac_f32_e32 v3, v19, v14
	;; [unrolled: 1-line block ×8, first 2 shown]
	s_cbranch_scc0 .LBB6_2
	s_branch .LBB6_4
.LBB6_3:
	v_mov_b32_e32 v9, 0
	v_mov_b32_e32 v8, 0
	;; [unrolled: 1-line block ×4, first 2 shown]
.LBB6_4:
	s_load_dwordx2 s[0:1], s[4:5], 0x48
	s_load_dword s9, s[4:5], 0x40
	v_add_u32_e32 v6, s7, v1
	v_add_u32_e32 v0, s6, v0
	v_cmp_gt_i32_e32 vcc, s10, v6
	s_waitcnt lgkmcnt(0)
	s_mul_i32 s1, s1, s8
	v_mad_i64_i32 v[4:5], s[12:13], v6, s9, 0
	s_mul_hi_u32 s4, s0, s8
	s_mul_i32 s0, s0, s8
	s_add_i32 s1, s4, s1
	s_lshl_b64 s[0:1], s[0:1], 2
	s_add_u32 s4, s2, s0
	v_lshlrev_b64 v[4:5], 2, v[4:5]
	s_addc_u32 s5, s3, s1
	v_mov_b32_e32 v1, s5
	v_add_co_u32_e64 v7, s[0:1], s4, v4
	v_addc_co_u32_e64 v10, s[0:1], v1, v5, s[0:1]
	v_cmp_le_i32_e64 s[0:1], v0, v6
	s_and_b64 s[0:1], vcc, s[0:1]
	s_and_saveexec_b64 s[2:3], s[0:1]
	s_cbranch_execz .LBB6_6
; %bb.5:
	v_ashrrev_i32_e32 v1, 31, v0
	v_lshlrev_b64 v[4:5], 2, v[0:1]
	v_add_co_u32_e64 v4, s[0:1], v7, v4
	v_addc_co_u32_e64 v5, s[0:1], v10, v5, s[0:1]
	global_load_dword v1, v[4:5], off
	s_waitcnt vmcnt(0)
	v_add_f32_e32 v1, v9, v1
	global_store_dword v[4:5], v1, off
.LBB6_6:
	s_or_b64 exec, exec, s[2:3]
	v_add_u32_e32 v4, 16, v0
	v_cmp_le_i32_e64 s[0:1], v4, v6
	s_and_b64 s[2:3], vcc, s[0:1]
	s_and_saveexec_b64 s[0:1], s[2:3]
	s_cbranch_execz .LBB6_8
; %bb.7:
	v_ashrrev_i32_e32 v5, 31, v4
	v_lshlrev_b64 v[11:12], 2, v[4:5]
	v_add_co_u32_e32 v9, vcc, v7, v11
	v_addc_co_u32_e32 v10, vcc, v10, v12, vcc
	global_load_dword v1, v[9:10], off
	s_waitcnt vmcnt(0)
	v_add_f32_e32 v1, v8, v1
	global_store_dword v[9:10], v1, off
.LBB6_8:
	s_or_b64 exec, exec, s[0:1]
	v_add_u32_e32 v5, 16, v6
	v_mad_i64_i32 v[6:7], s[0:1], v5, s9, 0
	v_mov_b32_e32 v1, s5
	v_cmp_gt_i32_e32 vcc, s10, v5
	v_lshlrev_b64 v[6:7], 2, v[6:7]
	v_add_co_u32_e64 v6, s[0:1], s4, v6
	v_addc_co_u32_e64 v7, s[0:1], v1, v7, s[0:1]
	v_cmp_le_i32_e64 s[0:1], v0, v5
	s_and_b64 s[0:1], vcc, s[0:1]
	s_and_saveexec_b64 s[2:3], s[0:1]
	s_cbranch_execz .LBB6_10
; %bb.9:
	v_ashrrev_i32_e32 v1, 31, v0
	v_lshlrev_b64 v[0:1], 2, v[0:1]
	v_add_co_u32_e64 v0, s[0:1], v6, v0
	v_addc_co_u32_e64 v1, s[0:1], v7, v1, s[0:1]
	global_load_dword v8, v[0:1], off
	s_waitcnt vmcnt(0)
	v_add_f32_e32 v2, v2, v8
	global_store_dword v[0:1], v2, off
.LBB6_10:
	s_or_b64 exec, exec, s[2:3]
	v_cmp_le_i32_e64 s[0:1], v4, v5
	s_and_b64 s[0:1], vcc, s[0:1]
	s_and_saveexec_b64 s[2:3], s[0:1]
	s_cbranch_execz .LBB6_12
; %bb.11:
	v_ashrrev_i32_e32 v5, 31, v4
	v_lshlrev_b64 v[0:1], 2, v[4:5]
	v_add_co_u32_e32 v0, vcc, v6, v0
	v_addc_co_u32_e32 v1, vcc, v7, v1, vcc
	global_load_dword v2, v[0:1], off
	s_waitcnt vmcnt(0)
	v_add_f32_e32 v2, v3, v2
	global_store_dword v[0:1], v2, off
.LBB6_12:
	s_endpgm
	.section	.rodata,"a",@progbits
	.p2align	6, 0x0
	.amdhsa_kernel _ZL37rocblas_syrkx_herkx_restricted_kernelIifLi16ELi32ELi8ELi1ELi1ELb0ELc67ELc85EKffEviT_PT9_S1_lS3_S1_lPT10_S1_li
		.amdhsa_group_segment_fixed_size 2048
		.amdhsa_private_segment_fixed_size 0
		.amdhsa_kernarg_size 84
		.amdhsa_user_sgpr_count 6
		.amdhsa_user_sgpr_private_segment_buffer 1
		.amdhsa_user_sgpr_dispatch_ptr 0
		.amdhsa_user_sgpr_queue_ptr 0
		.amdhsa_user_sgpr_kernarg_segment_ptr 1
		.amdhsa_user_sgpr_dispatch_id 0
		.amdhsa_user_sgpr_flat_scratch_init 0
		.amdhsa_user_sgpr_private_segment_size 0
		.amdhsa_uses_dynamic_stack 0
		.amdhsa_system_sgpr_private_segment_wavefront_offset 0
		.amdhsa_system_sgpr_workgroup_id_x 1
		.amdhsa_system_sgpr_workgroup_id_y 1
		.amdhsa_system_sgpr_workgroup_id_z 1
		.amdhsa_system_sgpr_workgroup_info 0
		.amdhsa_system_vgpr_workitem_id 1
		.amdhsa_next_free_vgpr 26
		.amdhsa_next_free_sgpr 22
		.amdhsa_reserve_vcc 1
		.amdhsa_reserve_flat_scratch 0
		.amdhsa_float_round_mode_32 0
		.amdhsa_float_round_mode_16_64 0
		.amdhsa_float_denorm_mode_32 3
		.amdhsa_float_denorm_mode_16_64 3
		.amdhsa_dx10_clamp 1
		.amdhsa_ieee_mode 1
		.amdhsa_fp16_overflow 0
		.amdhsa_exception_fp_ieee_invalid_op 0
		.amdhsa_exception_fp_denorm_src 0
		.amdhsa_exception_fp_ieee_div_zero 0
		.amdhsa_exception_fp_ieee_overflow 0
		.amdhsa_exception_fp_ieee_underflow 0
		.amdhsa_exception_fp_ieee_inexact 0
		.amdhsa_exception_int_div_zero 0
	.end_amdhsa_kernel
	.section	.text._ZL37rocblas_syrkx_herkx_restricted_kernelIifLi16ELi32ELi8ELi1ELi1ELb0ELc67ELc85EKffEviT_PT9_S1_lS3_S1_lPT10_S1_li,"axG",@progbits,_ZL37rocblas_syrkx_herkx_restricted_kernelIifLi16ELi32ELi8ELi1ELi1ELb0ELc67ELc85EKffEviT_PT9_S1_lS3_S1_lPT10_S1_li,comdat
.Lfunc_end6:
	.size	_ZL37rocblas_syrkx_herkx_restricted_kernelIifLi16ELi32ELi8ELi1ELi1ELb0ELc67ELc85EKffEviT_PT9_S1_lS3_S1_lPT10_S1_li, .Lfunc_end6-_ZL37rocblas_syrkx_herkx_restricted_kernelIifLi16ELi32ELi8ELi1ELi1ELb0ELc67ELc85EKffEviT_PT9_S1_lS3_S1_lPT10_S1_li
                                        ; -- End function
	.set _ZL37rocblas_syrkx_herkx_restricted_kernelIifLi16ELi32ELi8ELi1ELi1ELb0ELc67ELc85EKffEviT_PT9_S1_lS3_S1_lPT10_S1_li.num_vgpr, 26
	.set _ZL37rocblas_syrkx_herkx_restricted_kernelIifLi16ELi32ELi8ELi1ELi1ELb0ELc67ELc85EKffEviT_PT9_S1_lS3_S1_lPT10_S1_li.num_agpr, 0
	.set _ZL37rocblas_syrkx_herkx_restricted_kernelIifLi16ELi32ELi8ELi1ELi1ELb0ELc67ELc85EKffEviT_PT9_S1_lS3_S1_lPT10_S1_li.numbered_sgpr, 22
	.set _ZL37rocblas_syrkx_herkx_restricted_kernelIifLi16ELi32ELi8ELi1ELi1ELb0ELc67ELc85EKffEviT_PT9_S1_lS3_S1_lPT10_S1_li.num_named_barrier, 0
	.set _ZL37rocblas_syrkx_herkx_restricted_kernelIifLi16ELi32ELi8ELi1ELi1ELb0ELc67ELc85EKffEviT_PT9_S1_lS3_S1_lPT10_S1_li.private_seg_size, 0
	.set _ZL37rocblas_syrkx_herkx_restricted_kernelIifLi16ELi32ELi8ELi1ELi1ELb0ELc67ELc85EKffEviT_PT9_S1_lS3_S1_lPT10_S1_li.uses_vcc, 1
	.set _ZL37rocblas_syrkx_herkx_restricted_kernelIifLi16ELi32ELi8ELi1ELi1ELb0ELc67ELc85EKffEviT_PT9_S1_lS3_S1_lPT10_S1_li.uses_flat_scratch, 0
	.set _ZL37rocblas_syrkx_herkx_restricted_kernelIifLi16ELi32ELi8ELi1ELi1ELb0ELc67ELc85EKffEviT_PT9_S1_lS3_S1_lPT10_S1_li.has_dyn_sized_stack, 0
	.set _ZL37rocblas_syrkx_herkx_restricted_kernelIifLi16ELi32ELi8ELi1ELi1ELb0ELc67ELc85EKffEviT_PT9_S1_lS3_S1_lPT10_S1_li.has_recursion, 0
	.set _ZL37rocblas_syrkx_herkx_restricted_kernelIifLi16ELi32ELi8ELi1ELi1ELb0ELc67ELc85EKffEviT_PT9_S1_lS3_S1_lPT10_S1_li.has_indirect_call, 0
	.section	.AMDGPU.csdata,"",@progbits
; Kernel info:
; codeLenInByte = 1096
; TotalNumSgprs: 26
; NumVgprs: 26
; ScratchSize: 0
; MemoryBound: 0
; FloatMode: 240
; IeeeMode: 1
; LDSByteSize: 2048 bytes/workgroup (compile time only)
; SGPRBlocks: 3
; VGPRBlocks: 6
; NumSGPRsForWavesPerEU: 26
; NumVGPRsForWavesPerEU: 26
; Occupancy: 9
; WaveLimiterHint : 0
; COMPUTE_PGM_RSRC2:SCRATCH_EN: 0
; COMPUTE_PGM_RSRC2:USER_SGPR: 6
; COMPUTE_PGM_RSRC2:TRAP_HANDLER: 0
; COMPUTE_PGM_RSRC2:TGID_X_EN: 1
; COMPUTE_PGM_RSRC2:TGID_Y_EN: 1
; COMPUTE_PGM_RSRC2:TGID_Z_EN: 1
; COMPUTE_PGM_RSRC2:TIDIG_COMP_CNT: 1
	.section	.text._ZL37rocblas_syrkx_herkx_restricted_kernelIifLi16ELi32ELi8ELi1ELi1ELb0ELc78ELc85EKffEviT_PT9_S1_lS3_S1_lPT10_S1_li,"axG",@progbits,_ZL37rocblas_syrkx_herkx_restricted_kernelIifLi16ELi32ELi8ELi1ELi1ELb0ELc78ELc85EKffEviT_PT9_S1_lS3_S1_lPT10_S1_li,comdat
	.globl	_ZL37rocblas_syrkx_herkx_restricted_kernelIifLi16ELi32ELi8ELi1ELi1ELb0ELc78ELc85EKffEviT_PT9_S1_lS3_S1_lPT10_S1_li ; -- Begin function _ZL37rocblas_syrkx_herkx_restricted_kernelIifLi16ELi32ELi8ELi1ELi1ELb0ELc78ELc85EKffEviT_PT9_S1_lS3_S1_lPT10_S1_li
	.p2align	8
	.type	_ZL37rocblas_syrkx_herkx_restricted_kernelIifLi16ELi32ELi8ELi1ELi1ELb0ELc78ELc85EKffEviT_PT9_S1_lS3_S1_lPT10_S1_li,@function
_ZL37rocblas_syrkx_herkx_restricted_kernelIifLi16ELi32ELi8ELi1ELi1ELb0ELc78ELc85EKffEviT_PT9_S1_lS3_S1_lPT10_S1_li: ; @_ZL37rocblas_syrkx_herkx_restricted_kernelIifLi16ELi32ELi8ELi1ELi1ELb0ELc78ELc85EKffEviT_PT9_S1_lS3_S1_lPT10_S1_li
; %bb.0:
	s_load_dwordx2 s[10:11], s[4:5], 0x0
	s_load_dwordx4 s[0:3], s[4:5], 0x30
	s_lshl_b32 s9, s6, 5
	s_lshl_b32 s16, s7, 5
	s_mov_b32 s17, 0
	s_waitcnt lgkmcnt(0)
	s_cmp_lt_i32 s11, 1
	s_cbranch_scc1 .LBB7_3
; %bb.1:
	v_lshl_add_u32 v7, v1, 4, v0
	s_load_dword s6, s[4:5], 0x10
	s_load_dword s18, s[4:5], 0x28
	s_load_dwordx2 s[20:21], s[4:5], 0x8
	s_load_dwordx4 s[12:15], s[4:5], 0x18
	v_lshrrev_b32_e32 v8, 3, v7
	v_add_u32_e32 v2, s16, v8
	v_and_b32_e32 v6, 7, v0
	v_ashrrev_i32_e32 v3, 31, v2
	s_waitcnt lgkmcnt(0)
	v_mad_i64_i32 v[4:5], s[22:23], s18, v6, v[2:3]
	v_and_b32_e32 v2, 31, v7
	v_lshrrev_b32_e32 v9, 5, v7
	v_lshlrev_b32_e32 v3, 2, v2
	v_lshl_or_b32 v10, v9, 7, v3
	v_lshlrev_b32_e32 v3, 2, v6
	v_lshl_or_b32 v3, v8, 5, v3
	v_add_u32_e32 v11, 0x400, v3
	v_mov_b32_e32 v3, 0x400
	v_add_u32_e32 v2, s9, v2
	v_lshl_add_u32 v13, v1, 5, v3
	v_ashrrev_i32_e32 v3, 31, v2
	v_mad_i64_i32 v[2:3], s[22:23], s6, v9, v[2:3]
	s_mul_i32 s13, s13, s8
	s_mul_hi_u32 s24, s12, s8
	s_add_i32 s13, s24, s13
	s_mul_i32 s12, s12, s8
	s_ashr_i32 s7, s6, 31
	s_ashr_i32 s19, s18, 31
	s_lshl_b64 s[12:13], s[12:13], 2
	v_lshlrev_b64 v[2:3], 2, v[2:3]
	s_add_u32 s12, s20, s12
	v_add_co_u32_e32 v2, vcc, s12, v2
	s_mul_i32 s1, s1, s8
	s_mul_hi_u32 s12, s0, s8
	s_addc_u32 s13, s21, s13
	s_add_i32 s1, s12, s1
	s_mul_i32 s0, s0, s8
	s_lshl_b64 s[6:7], s[6:7], 5
	s_lshl_b64 s[0:1], s[0:1], 2
	v_mov_b32_e32 v6, s13
	v_lshlrev_b64 v[4:5], 2, v[4:5]
	s_add_u32 s0, s14, s0
	v_addc_co_u32_e32 v3, vcc, v6, v3, vcc
	s_addc_u32 s1, s15, s1
	v_mov_b32_e32 v6, s1
	v_add_co_u32_e32 v4, vcc, s0, v4
	s_lshl_b64 s[12:13], s[18:19], 5
	v_lshlrev_b32_e32 v12, 2, v0
	v_addc_co_u32_e32 v5, vcc, v6, v5, vcc
	v_mov_b32_e32 v6, 0
	v_mov_b32_e32 v14, s7
	;; [unrolled: 1-line block ×6, first 2 shown]
.LBB7_2:                                ; =>This Inner Loop Header: Depth=1
	global_load_dword v16, v[2:3], off
	global_load_dword v17, v[4:5], off
	s_add_i32 s17, s17, 8
	v_add_co_u32_e32 v2, vcc, s6, v2
	v_add_co_u32_e64 v4, s[0:1], s12, v4
	v_addc_co_u32_e32 v3, vcc, v3, v14, vcc
	v_addc_co_u32_e64 v5, vcc, v5, v15, s[0:1]
	s_cmp_ge_i32 s17, s11
	s_waitcnt vmcnt(1)
	ds_write_b32 v10, v16
	s_waitcnt vmcnt(0)
	ds_write_b32 v11, v17
	s_waitcnt lgkmcnt(0)
	s_barrier
	ds_read2_b32 v[20:21], v12 offset1:16
	ds_read_b128 v[16:19], v13
	ds_read2_b32 v[22:23], v12 offset0:32 offset1:48
	ds_read2_b32 v[24:25], v12 offset0:64 offset1:80
	ds_read2_b32 v[26:27], v12 offset0:96 offset1:112
	s_waitcnt lgkmcnt(3)
	v_fmac_f32_e32 v9, v20, v16
	v_fmac_f32_e32 v8, v21, v16
	s_waitcnt lgkmcnt(2)
	v_fmac_f32_e32 v9, v22, v17
	v_fmac_f32_e32 v8, v23, v17
	;; [unrolled: 3-line block ×4, first 2 shown]
	ds_read_b128 v[16:19], v13 offset:512
	s_waitcnt lgkmcnt(0)
	v_fmac_f32_e32 v7, v20, v16
	v_fmac_f32_e32 v6, v21, v16
	;; [unrolled: 1-line block ×8, first 2 shown]
	ds_read2_b32 v[20:21], v12 offset0:128 offset1:144
	ds_read_b128 v[16:19], v13 offset:16
	ds_read2_b32 v[22:23], v12 offset0:160 offset1:176
	ds_read2_b32 v[24:25], v12 offset0:192 offset1:208
	;; [unrolled: 1-line block ×3, first 2 shown]
	s_waitcnt lgkmcnt(3)
	v_fmac_f32_e32 v9, v20, v16
	v_fmac_f32_e32 v8, v21, v16
	s_waitcnt lgkmcnt(2)
	v_fmac_f32_e32 v9, v22, v17
	v_fmac_f32_e32 v8, v23, v17
	;; [unrolled: 3-line block ×4, first 2 shown]
	ds_read_b128 v[16:19], v13 offset:528
	s_waitcnt lgkmcnt(0)
	s_barrier
	v_fmac_f32_e32 v7, v20, v16
	v_fmac_f32_e32 v6, v21, v16
	;; [unrolled: 1-line block ×8, first 2 shown]
	s_cbranch_scc0 .LBB7_2
	s_branch .LBB7_4
.LBB7_3:
	v_mov_b32_e32 v9, 0
	v_mov_b32_e32 v8, 0
	;; [unrolled: 1-line block ×4, first 2 shown]
.LBB7_4:
	s_load_dwordx2 s[0:1], s[4:5], 0x48
	s_load_dword s6, s[4:5], 0x40
	v_add_u32_e32 v4, s16, v1
	v_add_u32_e32 v0, s9, v0
	v_cmp_gt_i32_e32 vcc, s10, v4
	s_waitcnt lgkmcnt(0)
	s_mul_i32 s1, s1, s8
	v_mad_i64_i32 v[1:2], s[12:13], v4, s6, 0
	s_mul_hi_u32 s4, s0, s8
	s_mul_i32 s0, s0, s8
	s_add_i32 s1, s4, s1
	s_lshl_b64 s[0:1], s[0:1], 2
	s_add_u32 s4, s2, s0
	v_lshlrev_b64 v[1:2], 2, v[1:2]
	s_addc_u32 s5, s3, s1
	v_mov_b32_e32 v3, s5
	v_add_co_u32_e64 v5, s[0:1], s4, v1
	v_addc_co_u32_e64 v10, s[0:1], v3, v2, s[0:1]
	v_cmp_le_i32_e64 s[0:1], v0, v4
	s_and_b64 s[0:1], vcc, s[0:1]
	s_and_saveexec_b64 s[2:3], s[0:1]
	s_cbranch_execz .LBB7_6
; %bb.5:
	v_ashrrev_i32_e32 v1, 31, v0
	v_lshlrev_b64 v[1:2], 2, v[0:1]
	v_add_co_u32_e64 v1, s[0:1], v5, v1
	v_addc_co_u32_e64 v2, s[0:1], v10, v2, s[0:1]
	global_load_dword v3, v[1:2], off
	s_waitcnt vmcnt(0)
	v_add_f32_e32 v3, v9, v3
	global_store_dword v[1:2], v3, off
.LBB7_6:
	s_or_b64 exec, exec, s[2:3]
	v_add_u32_e32 v2, 16, v0
	v_cmp_le_i32_e64 s[0:1], v2, v4
	s_and_b64 s[2:3], vcc, s[0:1]
	s_and_saveexec_b64 s[0:1], s[2:3]
	s_cbranch_execz .LBB7_8
; %bb.7:
	v_ashrrev_i32_e32 v3, 31, v2
	v_lshlrev_b64 v[11:12], 2, v[2:3]
	v_add_co_u32_e32 v9, vcc, v5, v11
	v_addc_co_u32_e32 v10, vcc, v10, v12, vcc
	global_load_dword v1, v[9:10], off
	s_waitcnt vmcnt(0)
	v_add_f32_e32 v1, v8, v1
	global_store_dword v[9:10], v1, off
.LBB7_8:
	s_or_b64 exec, exec, s[0:1]
	v_add_u32_e32 v3, 16, v4
	v_mad_i64_i32 v[4:5], s[0:1], v3, s6, 0
	v_mov_b32_e32 v1, s5
	v_cmp_gt_i32_e32 vcc, s10, v3
	v_lshlrev_b64 v[4:5], 2, v[4:5]
	v_add_co_u32_e64 v4, s[0:1], s4, v4
	v_addc_co_u32_e64 v5, s[0:1], v1, v5, s[0:1]
	v_cmp_le_i32_e64 s[0:1], v0, v3
	s_and_b64 s[0:1], vcc, s[0:1]
	s_and_saveexec_b64 s[2:3], s[0:1]
	s_cbranch_execz .LBB7_10
; %bb.9:
	v_ashrrev_i32_e32 v1, 31, v0
	v_lshlrev_b64 v[0:1], 2, v[0:1]
	v_add_co_u32_e64 v0, s[0:1], v4, v0
	v_addc_co_u32_e64 v1, s[0:1], v5, v1, s[0:1]
	global_load_dword v8, v[0:1], off
	s_waitcnt vmcnt(0)
	v_add_f32_e32 v7, v7, v8
	global_store_dword v[0:1], v7, off
.LBB7_10:
	s_or_b64 exec, exec, s[2:3]
	v_cmp_le_i32_e64 s[0:1], v2, v3
	s_and_b64 s[0:1], vcc, s[0:1]
	s_and_saveexec_b64 s[2:3], s[0:1]
	s_cbranch_execz .LBB7_12
; %bb.11:
	v_ashrrev_i32_e32 v3, 31, v2
	v_lshlrev_b64 v[0:1], 2, v[2:3]
	v_add_co_u32_e32 v0, vcc, v4, v0
	v_addc_co_u32_e32 v1, vcc, v5, v1, vcc
	global_load_dword v2, v[0:1], off
	s_waitcnt vmcnt(0)
	v_add_f32_e32 v2, v6, v2
	global_store_dword v[0:1], v2, off
.LBB7_12:
	s_endpgm
	.section	.rodata,"a",@progbits
	.p2align	6, 0x0
	.amdhsa_kernel _ZL37rocblas_syrkx_herkx_restricted_kernelIifLi16ELi32ELi8ELi1ELi1ELb0ELc78ELc85EKffEviT_PT9_S1_lS3_S1_lPT10_S1_li
		.amdhsa_group_segment_fixed_size 2048
		.amdhsa_private_segment_fixed_size 0
		.amdhsa_kernarg_size 84
		.amdhsa_user_sgpr_count 6
		.amdhsa_user_sgpr_private_segment_buffer 1
		.amdhsa_user_sgpr_dispatch_ptr 0
		.amdhsa_user_sgpr_queue_ptr 0
		.amdhsa_user_sgpr_kernarg_segment_ptr 1
		.amdhsa_user_sgpr_dispatch_id 0
		.amdhsa_user_sgpr_flat_scratch_init 0
		.amdhsa_user_sgpr_private_segment_size 0
		.amdhsa_uses_dynamic_stack 0
		.amdhsa_system_sgpr_private_segment_wavefront_offset 0
		.amdhsa_system_sgpr_workgroup_id_x 1
		.amdhsa_system_sgpr_workgroup_id_y 1
		.amdhsa_system_sgpr_workgroup_id_z 1
		.amdhsa_system_sgpr_workgroup_info 0
		.amdhsa_system_vgpr_workitem_id 1
		.amdhsa_next_free_vgpr 28
		.amdhsa_next_free_sgpr 25
		.amdhsa_reserve_vcc 1
		.amdhsa_reserve_flat_scratch 0
		.amdhsa_float_round_mode_32 0
		.amdhsa_float_round_mode_16_64 0
		.amdhsa_float_denorm_mode_32 3
		.amdhsa_float_denorm_mode_16_64 3
		.amdhsa_dx10_clamp 1
		.amdhsa_ieee_mode 1
		.amdhsa_fp16_overflow 0
		.amdhsa_exception_fp_ieee_invalid_op 0
		.amdhsa_exception_fp_denorm_src 0
		.amdhsa_exception_fp_ieee_div_zero 0
		.amdhsa_exception_fp_ieee_overflow 0
		.amdhsa_exception_fp_ieee_underflow 0
		.amdhsa_exception_fp_ieee_inexact 0
		.amdhsa_exception_int_div_zero 0
	.end_amdhsa_kernel
	.section	.text._ZL37rocblas_syrkx_herkx_restricted_kernelIifLi16ELi32ELi8ELi1ELi1ELb0ELc78ELc85EKffEviT_PT9_S1_lS3_S1_lPT10_S1_li,"axG",@progbits,_ZL37rocblas_syrkx_herkx_restricted_kernelIifLi16ELi32ELi8ELi1ELi1ELb0ELc78ELc85EKffEviT_PT9_S1_lS3_S1_lPT10_S1_li,comdat
.Lfunc_end7:
	.size	_ZL37rocblas_syrkx_herkx_restricted_kernelIifLi16ELi32ELi8ELi1ELi1ELb0ELc78ELc85EKffEviT_PT9_S1_lS3_S1_lPT10_S1_li, .Lfunc_end7-_ZL37rocblas_syrkx_herkx_restricted_kernelIifLi16ELi32ELi8ELi1ELi1ELb0ELc78ELc85EKffEviT_PT9_S1_lS3_S1_lPT10_S1_li
                                        ; -- End function
	.set _ZL37rocblas_syrkx_herkx_restricted_kernelIifLi16ELi32ELi8ELi1ELi1ELb0ELc78ELc85EKffEviT_PT9_S1_lS3_S1_lPT10_S1_li.num_vgpr, 28
	.set _ZL37rocblas_syrkx_herkx_restricted_kernelIifLi16ELi32ELi8ELi1ELi1ELb0ELc78ELc85EKffEviT_PT9_S1_lS3_S1_lPT10_S1_li.num_agpr, 0
	.set _ZL37rocblas_syrkx_herkx_restricted_kernelIifLi16ELi32ELi8ELi1ELi1ELb0ELc78ELc85EKffEviT_PT9_S1_lS3_S1_lPT10_S1_li.numbered_sgpr, 25
	.set _ZL37rocblas_syrkx_herkx_restricted_kernelIifLi16ELi32ELi8ELi1ELi1ELb0ELc78ELc85EKffEviT_PT9_S1_lS3_S1_lPT10_S1_li.num_named_barrier, 0
	.set _ZL37rocblas_syrkx_herkx_restricted_kernelIifLi16ELi32ELi8ELi1ELi1ELb0ELc78ELc85EKffEviT_PT9_S1_lS3_S1_lPT10_S1_li.private_seg_size, 0
	.set _ZL37rocblas_syrkx_herkx_restricted_kernelIifLi16ELi32ELi8ELi1ELi1ELb0ELc78ELc85EKffEviT_PT9_S1_lS3_S1_lPT10_S1_li.uses_vcc, 1
	.set _ZL37rocblas_syrkx_herkx_restricted_kernelIifLi16ELi32ELi8ELi1ELi1ELb0ELc78ELc85EKffEviT_PT9_S1_lS3_S1_lPT10_S1_li.uses_flat_scratch, 0
	.set _ZL37rocblas_syrkx_herkx_restricted_kernelIifLi16ELi32ELi8ELi1ELi1ELb0ELc78ELc85EKffEviT_PT9_S1_lS3_S1_lPT10_S1_li.has_dyn_sized_stack, 0
	.set _ZL37rocblas_syrkx_herkx_restricted_kernelIifLi16ELi32ELi8ELi1ELi1ELb0ELc78ELc85EKffEviT_PT9_S1_lS3_S1_lPT10_S1_li.has_recursion, 0
	.set _ZL37rocblas_syrkx_herkx_restricted_kernelIifLi16ELi32ELi8ELi1ELi1ELb0ELc78ELc85EKffEviT_PT9_S1_lS3_S1_lPT10_S1_li.has_indirect_call, 0
	.section	.AMDGPU.csdata,"",@progbits
; Kernel info:
; codeLenInByte = 1124
; TotalNumSgprs: 29
; NumVgprs: 28
; ScratchSize: 0
; MemoryBound: 0
; FloatMode: 240
; IeeeMode: 1
; LDSByteSize: 2048 bytes/workgroup (compile time only)
; SGPRBlocks: 3
; VGPRBlocks: 6
; NumSGPRsForWavesPerEU: 29
; NumVGPRsForWavesPerEU: 28
; Occupancy: 9
; WaveLimiterHint : 0
; COMPUTE_PGM_RSRC2:SCRATCH_EN: 0
; COMPUTE_PGM_RSRC2:USER_SGPR: 6
; COMPUTE_PGM_RSRC2:TRAP_HANDLER: 0
; COMPUTE_PGM_RSRC2:TGID_X_EN: 1
; COMPUTE_PGM_RSRC2:TGID_Y_EN: 1
; COMPUTE_PGM_RSRC2:TGID_Z_EN: 1
; COMPUTE_PGM_RSRC2:TIDIG_COMP_CNT: 1
	.section	.text._ZL37rocblas_syrkx_herkx_restricted_kernelIifLi16ELi32ELi8ELi1ELin1ELb0ELc84ELc76EKffEviT_PT9_S1_lS3_S1_lPT10_S1_li,"axG",@progbits,_ZL37rocblas_syrkx_herkx_restricted_kernelIifLi16ELi32ELi8ELi1ELin1ELb0ELc84ELc76EKffEviT_PT9_S1_lS3_S1_lPT10_S1_li,comdat
	.globl	_ZL37rocblas_syrkx_herkx_restricted_kernelIifLi16ELi32ELi8ELi1ELin1ELb0ELc84ELc76EKffEviT_PT9_S1_lS3_S1_lPT10_S1_li ; -- Begin function _ZL37rocblas_syrkx_herkx_restricted_kernelIifLi16ELi32ELi8ELi1ELin1ELb0ELc84ELc76EKffEviT_PT9_S1_lS3_S1_lPT10_S1_li
	.p2align	8
	.type	_ZL37rocblas_syrkx_herkx_restricted_kernelIifLi16ELi32ELi8ELi1ELin1ELb0ELc84ELc76EKffEviT_PT9_S1_lS3_S1_lPT10_S1_li,@function
_ZL37rocblas_syrkx_herkx_restricted_kernelIifLi16ELi32ELi8ELi1ELin1ELb0ELc84ELc76EKffEviT_PT9_S1_lS3_S1_lPT10_S1_li: ; @_ZL37rocblas_syrkx_herkx_restricted_kernelIifLi16ELi32ELi8ELi1ELin1ELb0ELc84ELc76EKffEviT_PT9_S1_lS3_S1_lPT10_S1_li
; %bb.0:
	s_load_dwordx2 s[10:11], s[4:5], 0x0
	s_load_dwordx4 s[0:3], s[4:5], 0x30
	s_lshl_b32 s6, s6, 5
	s_lshl_b32 s7, s7, 5
	s_mov_b32 s9, 0
	s_waitcnt lgkmcnt(0)
	s_cmp_lt_i32 s11, 1
	s_cbranch_scc1 .LBB8_3
; %bb.1:
	s_load_dwordx2 s[16:17], s[4:5], 0x8
	s_load_dword s20, s[4:5], 0x10
	s_load_dwordx4 s[12:15], s[4:5], 0x18
	s_load_dword s18, s[4:5], 0x28
	v_lshl_add_u32 v4, v1, 4, v0
	v_lshrrev_b32_e32 v8, 3, v4
	v_add_u32_e32 v5, s7, v8
	v_and_b32_e32 v2, 7, v0
	v_mov_b32_e32 v3, 0
	s_waitcnt lgkmcnt(0)
	v_mad_i64_i32 v[6:7], s[18:19], s18, v5, v[2:3]
	v_lshlrev_b32_e32 v2, 2, v2
	v_lshl_or_b32 v2, v8, 5, v2
	v_and_b32_e32 v9, 31, v4
	v_add_u32_e32 v11, 0x400, v2
	v_mov_b32_e32 v2, 0x400
	v_lshrrev_b32_e32 v4, 5, v4
	v_mov_b32_e32 v5, v3
	v_lshlrev_b32_e32 v10, 2, v9
	v_lshl_add_u32 v13, v1, 5, v2
	v_add_u32_e32 v2, s6, v9
	v_lshl_or_b32 v10, v4, 7, v10
	v_mad_i64_i32 v[4:5], s[18:19], s20, v2, v[4:5]
	s_mul_i32 s13, s13, s8
	s_mul_hi_u32 s21, s12, s8
	s_add_i32 s13, s21, s13
	s_mul_i32 s12, s12, s8
	s_lshl_b64 s[12:13], s[12:13], 2
	v_lshlrev_b64 v[4:5], 2, v[4:5]
	s_add_u32 s12, s16, s12
	v_add_co_u32_e32 v4, vcc, s12, v4
	s_mul_i32 s1, s1, s8
	s_mul_hi_u32 s12, s0, s8
	s_addc_u32 s13, s17, s13
	s_add_i32 s1, s12, s1
	s_mul_i32 s0, s0, s8
	s_lshl_b64 s[0:1], s[0:1], 2
	v_mov_b32_e32 v2, s13
	v_lshlrev_b64 v[6:7], 2, v[6:7]
	s_add_u32 s0, s14, s0
	v_addc_co_u32_e32 v5, vcc, v2, v5, vcc
	s_addc_u32 s1, s15, s1
	v_mov_b32_e32 v2, s1
	v_add_co_u32_e32 v6, vcc, s0, v6
	v_lshlrev_b32_e32 v12, 2, v0
	v_addc_co_u32_e32 v7, vcc, v2, v7, vcc
	v_mov_b32_e32 v2, v3
	v_mov_b32_e32 v8, v3
	;; [unrolled: 1-line block ×3, first 2 shown]
.LBB8_2:                                ; =>This Inner Loop Header: Depth=1
	global_load_dword v14, v[4:5], off
	s_add_i32 s9, s9, 8
	v_add_co_u32_e32 v4, vcc, 32, v4
	v_addc_co_u32_e32 v5, vcc, 0, v5, vcc
	s_cmp_ge_i32 s9, s11
	s_waitcnt vmcnt(0)
	ds_write_b32 v10, v14
	global_load_dword v14, v[6:7], off
	v_add_co_u32_e64 v6, s[0:1], 32, v6
	v_addc_co_u32_e64 v7, vcc, 0, v7, s[0:1]
	s_waitcnt vmcnt(0)
	ds_write_b32 v11, v14
	s_waitcnt lgkmcnt(0)
	s_barrier
	ds_read2_b32 v[18:19], v12 offset1:16
	ds_read_b128 v[14:17], v13
	ds_read2_b32 v[20:21], v12 offset0:32 offset1:48
	ds_read2_b32 v[22:23], v12 offset0:64 offset1:80
	;; [unrolled: 1-line block ×3, first 2 shown]
	s_waitcnt lgkmcnt(3)
	v_fmac_f32_e32 v9, v18, v14
	v_fmac_f32_e32 v8, v19, v14
	s_waitcnt lgkmcnt(2)
	v_fmac_f32_e32 v9, v20, v15
	v_fmac_f32_e32 v8, v21, v15
	;; [unrolled: 3-line block ×4, first 2 shown]
	ds_read_b128 v[14:17], v13 offset:512
	s_waitcnt lgkmcnt(0)
	v_fmac_f32_e32 v2, v18, v14
	v_fmac_f32_e32 v3, v19, v14
	v_fmac_f32_e32 v2, v20, v15
	v_fmac_f32_e32 v3, v21, v15
	v_fmac_f32_e32 v2, v22, v16
	v_fmac_f32_e32 v3, v23, v16
	v_fmac_f32_e32 v2, v24, v17
	v_fmac_f32_e32 v3, v25, v17
	ds_read2_b32 v[18:19], v12 offset0:128 offset1:144
	ds_read_b128 v[14:17], v13 offset:16
	ds_read2_b32 v[20:21], v12 offset0:160 offset1:176
	ds_read2_b32 v[22:23], v12 offset0:192 offset1:208
	;; [unrolled: 1-line block ×3, first 2 shown]
	s_waitcnt lgkmcnt(3)
	v_fmac_f32_e32 v9, v18, v14
	v_fmac_f32_e32 v8, v19, v14
	s_waitcnt lgkmcnt(2)
	v_fmac_f32_e32 v9, v20, v15
	v_fmac_f32_e32 v8, v21, v15
	;; [unrolled: 3-line block ×4, first 2 shown]
	ds_read_b128 v[14:17], v13 offset:528
	s_waitcnt lgkmcnt(0)
	s_barrier
	v_fmac_f32_e32 v2, v18, v14
	v_fmac_f32_e32 v3, v19, v14
	;; [unrolled: 1-line block ×8, first 2 shown]
	s_cbranch_scc0 .LBB8_2
	s_branch .LBB8_4
.LBB8_3:
	v_mov_b32_e32 v9, 0
	v_mov_b32_e32 v8, 0
	;; [unrolled: 1-line block ×4, first 2 shown]
.LBB8_4:
	s_load_dwordx2 s[0:1], s[4:5], 0x48
	s_load_dword s9, s[4:5], 0x40
	v_add_u32_e32 v6, s7, v1
	v_add_u32_e32 v0, s6, v0
	s_waitcnt lgkmcnt(0)
	s_mul_i32 s1, s1, s8
	s_mul_hi_u32 s4, s0, s8
	s_add_i32 s1, s4, s1
	v_mad_i64_i32 v[4:5], s[4:5], v6, s9, 0
	s_mul_i32 s0, s0, s8
	s_lshl_b64 s[0:1], s[0:1], 2
	s_add_u32 s7, s2, s0
	v_lshlrev_b64 v[4:5], 2, v[4:5]
	s_addc_u32 s8, s3, s1
	v_mov_b32_e32 v1, s8
	v_add_co_u32_e32 v7, vcc, s7, v4
	v_addc_co_u32_e32 v10, vcc, v1, v5, vcc
	v_cmp_le_i32_e64 s[0:1], v6, v0
	v_cmp_gt_i32_e32 vcc, s10, v0
	s_and_b64 s[0:1], s[0:1], vcc
	s_and_saveexec_b64 s[2:3], s[0:1]
	s_cbranch_execz .LBB8_6
; %bb.5:
	v_ashrrev_i32_e32 v1, 31, v0
	v_lshlrev_b64 v[4:5], 2, v[0:1]
	v_add_co_u32_e64 v4, s[0:1], v7, v4
	v_addc_co_u32_e64 v5, s[0:1], v10, v5, s[0:1]
	global_load_dword v1, v[4:5], off
	s_waitcnt vmcnt(0)
	v_sub_f32_e32 v1, v9, v1
	global_store_dword v[4:5], v1, off
.LBB8_6:
	s_or_b64 exec, exec, s[2:3]
	v_add_u32_e32 v4, 16, v0
	v_cmp_le_i32_e64 s[2:3], v6, v4
	v_cmp_gt_i32_e64 s[0:1], s10, v4
	s_and_b64 s[2:3], s[2:3], s[0:1]
	s_and_saveexec_b64 s[4:5], s[2:3]
	s_cbranch_execz .LBB8_8
; %bb.7:
	v_ashrrev_i32_e32 v5, 31, v4
	v_lshlrev_b64 v[11:12], 2, v[4:5]
	v_add_co_u32_e64 v9, s[2:3], v7, v11
	v_addc_co_u32_e64 v10, s[2:3], v10, v12, s[2:3]
	global_load_dword v1, v[9:10], off
	s_waitcnt vmcnt(0)
	v_sub_f32_e32 v1, v8, v1
	global_store_dword v[9:10], v1, off
.LBB8_8:
	s_or_b64 exec, exec, s[4:5]
	v_add_u32_e32 v5, 16, v6
	v_mad_i64_i32 v[6:7], s[2:3], v5, s9, 0
	v_mov_b32_e32 v1, s8
	v_lshlrev_b64 v[6:7], 2, v[6:7]
	v_add_co_u32_e64 v6, s[2:3], s7, v6
	v_addc_co_u32_e64 v7, s[2:3], v1, v7, s[2:3]
	v_cmp_le_i32_e64 s[2:3], v5, v0
	s_and_b64 s[4:5], s[2:3], vcc
	s_and_saveexec_b64 s[2:3], s[4:5]
	s_cbranch_execz .LBB8_10
; %bb.9:
	v_ashrrev_i32_e32 v1, 31, v0
	v_lshlrev_b64 v[0:1], 2, v[0:1]
	v_add_co_u32_e32 v0, vcc, v6, v0
	v_addc_co_u32_e32 v1, vcc, v7, v1, vcc
	global_load_dword v8, v[0:1], off
	s_waitcnt vmcnt(0)
	v_sub_f32_e32 v2, v2, v8
	global_store_dword v[0:1], v2, off
.LBB8_10:
	s_or_b64 exec, exec, s[2:3]
	v_cmp_le_i32_e32 vcc, v5, v4
	s_and_b64 s[0:1], vcc, s[0:1]
	s_and_saveexec_b64 s[2:3], s[0:1]
	s_cbranch_execz .LBB8_12
; %bb.11:
	v_ashrrev_i32_e32 v5, 31, v4
	v_lshlrev_b64 v[0:1], 2, v[4:5]
	v_add_co_u32_e32 v0, vcc, v6, v0
	v_addc_co_u32_e32 v1, vcc, v7, v1, vcc
	global_load_dword v2, v[0:1], off
	s_waitcnt vmcnt(0)
	v_sub_f32_e32 v2, v3, v2
	global_store_dword v[0:1], v2, off
.LBB8_12:
	s_endpgm
	.section	.rodata,"a",@progbits
	.p2align	6, 0x0
	.amdhsa_kernel _ZL37rocblas_syrkx_herkx_restricted_kernelIifLi16ELi32ELi8ELi1ELin1ELb0ELc84ELc76EKffEviT_PT9_S1_lS3_S1_lPT10_S1_li
		.amdhsa_group_segment_fixed_size 2048
		.amdhsa_private_segment_fixed_size 0
		.amdhsa_kernarg_size 84
		.amdhsa_user_sgpr_count 6
		.amdhsa_user_sgpr_private_segment_buffer 1
		.amdhsa_user_sgpr_dispatch_ptr 0
		.amdhsa_user_sgpr_queue_ptr 0
		.amdhsa_user_sgpr_kernarg_segment_ptr 1
		.amdhsa_user_sgpr_dispatch_id 0
		.amdhsa_user_sgpr_flat_scratch_init 0
		.amdhsa_user_sgpr_private_segment_size 0
		.amdhsa_uses_dynamic_stack 0
		.amdhsa_system_sgpr_private_segment_wavefront_offset 0
		.amdhsa_system_sgpr_workgroup_id_x 1
		.amdhsa_system_sgpr_workgroup_id_y 1
		.amdhsa_system_sgpr_workgroup_id_z 1
		.amdhsa_system_sgpr_workgroup_info 0
		.amdhsa_system_vgpr_workitem_id 1
		.amdhsa_next_free_vgpr 26
		.amdhsa_next_free_sgpr 22
		.amdhsa_reserve_vcc 1
		.amdhsa_reserve_flat_scratch 0
		.amdhsa_float_round_mode_32 0
		.amdhsa_float_round_mode_16_64 0
		.amdhsa_float_denorm_mode_32 3
		.amdhsa_float_denorm_mode_16_64 3
		.amdhsa_dx10_clamp 1
		.amdhsa_ieee_mode 1
		.amdhsa_fp16_overflow 0
		.amdhsa_exception_fp_ieee_invalid_op 0
		.amdhsa_exception_fp_denorm_src 0
		.amdhsa_exception_fp_ieee_div_zero 0
		.amdhsa_exception_fp_ieee_overflow 0
		.amdhsa_exception_fp_ieee_underflow 0
		.amdhsa_exception_fp_ieee_inexact 0
		.amdhsa_exception_int_div_zero 0
	.end_amdhsa_kernel
	.section	.text._ZL37rocblas_syrkx_herkx_restricted_kernelIifLi16ELi32ELi8ELi1ELin1ELb0ELc84ELc76EKffEviT_PT9_S1_lS3_S1_lPT10_S1_li,"axG",@progbits,_ZL37rocblas_syrkx_herkx_restricted_kernelIifLi16ELi32ELi8ELi1ELin1ELb0ELc84ELc76EKffEviT_PT9_S1_lS3_S1_lPT10_S1_li,comdat
.Lfunc_end8:
	.size	_ZL37rocblas_syrkx_herkx_restricted_kernelIifLi16ELi32ELi8ELi1ELin1ELb0ELc84ELc76EKffEviT_PT9_S1_lS3_S1_lPT10_S1_li, .Lfunc_end8-_ZL37rocblas_syrkx_herkx_restricted_kernelIifLi16ELi32ELi8ELi1ELin1ELb0ELc84ELc76EKffEviT_PT9_S1_lS3_S1_lPT10_S1_li
                                        ; -- End function
	.set _ZL37rocblas_syrkx_herkx_restricted_kernelIifLi16ELi32ELi8ELi1ELin1ELb0ELc84ELc76EKffEviT_PT9_S1_lS3_S1_lPT10_S1_li.num_vgpr, 26
	.set _ZL37rocblas_syrkx_herkx_restricted_kernelIifLi16ELi32ELi8ELi1ELin1ELb0ELc84ELc76EKffEviT_PT9_S1_lS3_S1_lPT10_S1_li.num_agpr, 0
	.set _ZL37rocblas_syrkx_herkx_restricted_kernelIifLi16ELi32ELi8ELi1ELin1ELb0ELc84ELc76EKffEviT_PT9_S1_lS3_S1_lPT10_S1_li.numbered_sgpr, 22
	.set _ZL37rocblas_syrkx_herkx_restricted_kernelIifLi16ELi32ELi8ELi1ELin1ELb0ELc84ELc76EKffEviT_PT9_S1_lS3_S1_lPT10_S1_li.num_named_barrier, 0
	.set _ZL37rocblas_syrkx_herkx_restricted_kernelIifLi16ELi32ELi8ELi1ELin1ELb0ELc84ELc76EKffEviT_PT9_S1_lS3_S1_lPT10_S1_li.private_seg_size, 0
	.set _ZL37rocblas_syrkx_herkx_restricted_kernelIifLi16ELi32ELi8ELi1ELin1ELb0ELc84ELc76EKffEviT_PT9_S1_lS3_S1_lPT10_S1_li.uses_vcc, 1
	.set _ZL37rocblas_syrkx_herkx_restricted_kernelIifLi16ELi32ELi8ELi1ELin1ELb0ELc84ELc76EKffEviT_PT9_S1_lS3_S1_lPT10_S1_li.uses_flat_scratch, 0
	.set _ZL37rocblas_syrkx_herkx_restricted_kernelIifLi16ELi32ELi8ELi1ELin1ELb0ELc84ELc76EKffEviT_PT9_S1_lS3_S1_lPT10_S1_li.has_dyn_sized_stack, 0
	.set _ZL37rocblas_syrkx_herkx_restricted_kernelIifLi16ELi32ELi8ELi1ELin1ELb0ELc84ELc76EKffEviT_PT9_S1_lS3_S1_lPT10_S1_li.has_recursion, 0
	.set _ZL37rocblas_syrkx_herkx_restricted_kernelIifLi16ELi32ELi8ELi1ELin1ELb0ELc84ELc76EKffEviT_PT9_S1_lS3_S1_lPT10_S1_li.has_indirect_call, 0
	.section	.AMDGPU.csdata,"",@progbits
; Kernel info:
; codeLenInByte = 1088
; TotalNumSgprs: 26
; NumVgprs: 26
; ScratchSize: 0
; MemoryBound: 0
; FloatMode: 240
; IeeeMode: 1
; LDSByteSize: 2048 bytes/workgroup (compile time only)
; SGPRBlocks: 3
; VGPRBlocks: 6
; NumSGPRsForWavesPerEU: 26
; NumVGPRsForWavesPerEU: 26
; Occupancy: 9
; WaveLimiterHint : 0
; COMPUTE_PGM_RSRC2:SCRATCH_EN: 0
; COMPUTE_PGM_RSRC2:USER_SGPR: 6
; COMPUTE_PGM_RSRC2:TRAP_HANDLER: 0
; COMPUTE_PGM_RSRC2:TGID_X_EN: 1
; COMPUTE_PGM_RSRC2:TGID_Y_EN: 1
; COMPUTE_PGM_RSRC2:TGID_Z_EN: 1
; COMPUTE_PGM_RSRC2:TIDIG_COMP_CNT: 1
	.section	.text._ZL37rocblas_syrkx_herkx_restricted_kernelIifLi16ELi32ELi8ELi1ELin1ELb0ELc67ELc76EKffEviT_PT9_S1_lS3_S1_lPT10_S1_li,"axG",@progbits,_ZL37rocblas_syrkx_herkx_restricted_kernelIifLi16ELi32ELi8ELi1ELin1ELb0ELc67ELc76EKffEviT_PT9_S1_lS3_S1_lPT10_S1_li,comdat
	.globl	_ZL37rocblas_syrkx_herkx_restricted_kernelIifLi16ELi32ELi8ELi1ELin1ELb0ELc67ELc76EKffEviT_PT9_S1_lS3_S1_lPT10_S1_li ; -- Begin function _ZL37rocblas_syrkx_herkx_restricted_kernelIifLi16ELi32ELi8ELi1ELin1ELb0ELc67ELc76EKffEviT_PT9_S1_lS3_S1_lPT10_S1_li
	.p2align	8
	.type	_ZL37rocblas_syrkx_herkx_restricted_kernelIifLi16ELi32ELi8ELi1ELin1ELb0ELc67ELc76EKffEviT_PT9_S1_lS3_S1_lPT10_S1_li,@function
_ZL37rocblas_syrkx_herkx_restricted_kernelIifLi16ELi32ELi8ELi1ELin1ELb0ELc67ELc76EKffEviT_PT9_S1_lS3_S1_lPT10_S1_li: ; @_ZL37rocblas_syrkx_herkx_restricted_kernelIifLi16ELi32ELi8ELi1ELin1ELb0ELc67ELc76EKffEviT_PT9_S1_lS3_S1_lPT10_S1_li
; %bb.0:
	s_load_dwordx2 s[10:11], s[4:5], 0x0
	s_load_dwordx4 s[0:3], s[4:5], 0x30
	s_lshl_b32 s6, s6, 5
	s_lshl_b32 s7, s7, 5
	s_mov_b32 s9, 0
	s_waitcnt lgkmcnt(0)
	s_cmp_lt_i32 s11, 1
	s_cbranch_scc1 .LBB9_3
; %bb.1:
	s_load_dwordx2 s[16:17], s[4:5], 0x8
	s_load_dword s20, s[4:5], 0x10
	s_load_dwordx4 s[12:15], s[4:5], 0x18
	s_load_dword s18, s[4:5], 0x28
	v_lshl_add_u32 v4, v1, 4, v0
	v_lshrrev_b32_e32 v8, 3, v4
	v_add_u32_e32 v5, s7, v8
	v_and_b32_e32 v2, 7, v0
	v_mov_b32_e32 v3, 0
	s_waitcnt lgkmcnt(0)
	v_mad_i64_i32 v[6:7], s[18:19], s18, v5, v[2:3]
	v_lshlrev_b32_e32 v2, 2, v2
	v_lshl_or_b32 v2, v8, 5, v2
	v_and_b32_e32 v9, 31, v4
	v_add_u32_e32 v11, 0x400, v2
	v_mov_b32_e32 v2, 0x400
	v_lshrrev_b32_e32 v4, 5, v4
	v_mov_b32_e32 v5, v3
	v_lshlrev_b32_e32 v10, 2, v9
	v_lshl_add_u32 v13, v1, 5, v2
	v_add_u32_e32 v2, s6, v9
	v_lshl_or_b32 v10, v4, 7, v10
	v_mad_i64_i32 v[4:5], s[18:19], s20, v2, v[4:5]
	s_mul_i32 s13, s13, s8
	s_mul_hi_u32 s21, s12, s8
	s_add_i32 s13, s21, s13
	s_mul_i32 s12, s12, s8
	s_lshl_b64 s[12:13], s[12:13], 2
	v_lshlrev_b64 v[4:5], 2, v[4:5]
	s_add_u32 s12, s16, s12
	v_add_co_u32_e32 v4, vcc, s12, v4
	s_mul_i32 s1, s1, s8
	s_mul_hi_u32 s12, s0, s8
	s_addc_u32 s13, s17, s13
	s_add_i32 s1, s12, s1
	s_mul_i32 s0, s0, s8
	s_lshl_b64 s[0:1], s[0:1], 2
	v_mov_b32_e32 v2, s13
	v_lshlrev_b64 v[6:7], 2, v[6:7]
	s_add_u32 s0, s14, s0
	v_addc_co_u32_e32 v5, vcc, v2, v5, vcc
	s_addc_u32 s1, s15, s1
	v_mov_b32_e32 v2, s1
	v_add_co_u32_e32 v6, vcc, s0, v6
	v_lshlrev_b32_e32 v12, 2, v0
	v_addc_co_u32_e32 v7, vcc, v2, v7, vcc
	v_mov_b32_e32 v2, v3
	v_mov_b32_e32 v8, v3
	;; [unrolled: 1-line block ×3, first 2 shown]
.LBB9_2:                                ; =>This Inner Loop Header: Depth=1
	global_load_dword v14, v[4:5], off
	s_add_i32 s9, s9, 8
	v_add_co_u32_e32 v4, vcc, 32, v4
	v_addc_co_u32_e32 v5, vcc, 0, v5, vcc
	s_cmp_ge_i32 s9, s11
	s_waitcnt vmcnt(0)
	ds_write_b32 v10, v14
	global_load_dword v14, v[6:7], off
	v_add_co_u32_e64 v6, s[0:1], 32, v6
	v_addc_co_u32_e64 v7, vcc, 0, v7, s[0:1]
	s_waitcnt vmcnt(0)
	ds_write_b32 v11, v14
	s_waitcnt lgkmcnt(0)
	s_barrier
	ds_read2_b32 v[18:19], v12 offset1:16
	ds_read_b128 v[14:17], v13
	ds_read2_b32 v[20:21], v12 offset0:32 offset1:48
	ds_read2_b32 v[22:23], v12 offset0:64 offset1:80
	;; [unrolled: 1-line block ×3, first 2 shown]
	s_waitcnt lgkmcnt(3)
	v_fmac_f32_e32 v9, v18, v14
	v_fmac_f32_e32 v8, v19, v14
	s_waitcnt lgkmcnt(2)
	v_fmac_f32_e32 v9, v20, v15
	v_fmac_f32_e32 v8, v21, v15
	;; [unrolled: 3-line block ×4, first 2 shown]
	ds_read_b128 v[14:17], v13 offset:512
	s_waitcnt lgkmcnt(0)
	v_fmac_f32_e32 v2, v18, v14
	v_fmac_f32_e32 v3, v19, v14
	;; [unrolled: 1-line block ×8, first 2 shown]
	ds_read2_b32 v[18:19], v12 offset0:128 offset1:144
	ds_read_b128 v[14:17], v13 offset:16
	ds_read2_b32 v[20:21], v12 offset0:160 offset1:176
	ds_read2_b32 v[22:23], v12 offset0:192 offset1:208
	;; [unrolled: 1-line block ×3, first 2 shown]
	s_waitcnt lgkmcnt(3)
	v_fmac_f32_e32 v9, v18, v14
	v_fmac_f32_e32 v8, v19, v14
	s_waitcnt lgkmcnt(2)
	v_fmac_f32_e32 v9, v20, v15
	v_fmac_f32_e32 v8, v21, v15
	;; [unrolled: 3-line block ×4, first 2 shown]
	ds_read_b128 v[14:17], v13 offset:528
	s_waitcnt lgkmcnt(0)
	s_barrier
	v_fmac_f32_e32 v2, v18, v14
	v_fmac_f32_e32 v3, v19, v14
	;; [unrolled: 1-line block ×8, first 2 shown]
	s_cbranch_scc0 .LBB9_2
	s_branch .LBB9_4
.LBB9_3:
	v_mov_b32_e32 v9, 0
	v_mov_b32_e32 v8, 0
	;; [unrolled: 1-line block ×4, first 2 shown]
.LBB9_4:
	s_load_dwordx2 s[0:1], s[4:5], 0x48
	s_load_dword s9, s[4:5], 0x40
	v_add_u32_e32 v6, s7, v1
	v_add_u32_e32 v0, s6, v0
	s_waitcnt lgkmcnt(0)
	s_mul_i32 s1, s1, s8
	s_mul_hi_u32 s4, s0, s8
	s_add_i32 s1, s4, s1
	v_mad_i64_i32 v[4:5], s[4:5], v6, s9, 0
	s_mul_i32 s0, s0, s8
	s_lshl_b64 s[0:1], s[0:1], 2
	s_add_u32 s7, s2, s0
	v_lshlrev_b64 v[4:5], 2, v[4:5]
	s_addc_u32 s8, s3, s1
	v_mov_b32_e32 v1, s8
	v_add_co_u32_e32 v7, vcc, s7, v4
	v_addc_co_u32_e32 v10, vcc, v1, v5, vcc
	v_cmp_le_i32_e64 s[0:1], v6, v0
	v_cmp_gt_i32_e32 vcc, s10, v0
	s_and_b64 s[0:1], s[0:1], vcc
	s_and_saveexec_b64 s[2:3], s[0:1]
	s_cbranch_execz .LBB9_6
; %bb.5:
	v_ashrrev_i32_e32 v1, 31, v0
	v_lshlrev_b64 v[4:5], 2, v[0:1]
	v_add_co_u32_e64 v4, s[0:1], v7, v4
	v_addc_co_u32_e64 v5, s[0:1], v10, v5, s[0:1]
	global_load_dword v1, v[4:5], off
	s_waitcnt vmcnt(0)
	v_sub_f32_e32 v1, v9, v1
	global_store_dword v[4:5], v1, off
.LBB9_6:
	s_or_b64 exec, exec, s[2:3]
	v_add_u32_e32 v4, 16, v0
	v_cmp_le_i32_e64 s[2:3], v6, v4
	v_cmp_gt_i32_e64 s[0:1], s10, v4
	s_and_b64 s[2:3], s[2:3], s[0:1]
	s_and_saveexec_b64 s[4:5], s[2:3]
	s_cbranch_execz .LBB9_8
; %bb.7:
	v_ashrrev_i32_e32 v5, 31, v4
	v_lshlrev_b64 v[11:12], 2, v[4:5]
	v_add_co_u32_e64 v9, s[2:3], v7, v11
	v_addc_co_u32_e64 v10, s[2:3], v10, v12, s[2:3]
	global_load_dword v1, v[9:10], off
	s_waitcnt vmcnt(0)
	v_sub_f32_e32 v1, v8, v1
	global_store_dword v[9:10], v1, off
.LBB9_8:
	s_or_b64 exec, exec, s[4:5]
	v_add_u32_e32 v5, 16, v6
	v_mad_i64_i32 v[6:7], s[2:3], v5, s9, 0
	v_mov_b32_e32 v1, s8
	v_lshlrev_b64 v[6:7], 2, v[6:7]
	v_add_co_u32_e64 v6, s[2:3], s7, v6
	v_addc_co_u32_e64 v7, s[2:3], v1, v7, s[2:3]
	v_cmp_le_i32_e64 s[2:3], v5, v0
	s_and_b64 s[4:5], s[2:3], vcc
	s_and_saveexec_b64 s[2:3], s[4:5]
	s_cbranch_execz .LBB9_10
; %bb.9:
	v_ashrrev_i32_e32 v1, 31, v0
	v_lshlrev_b64 v[0:1], 2, v[0:1]
	v_add_co_u32_e32 v0, vcc, v6, v0
	v_addc_co_u32_e32 v1, vcc, v7, v1, vcc
	global_load_dword v8, v[0:1], off
	s_waitcnt vmcnt(0)
	v_sub_f32_e32 v2, v2, v8
	global_store_dword v[0:1], v2, off
.LBB9_10:
	s_or_b64 exec, exec, s[2:3]
	v_cmp_le_i32_e32 vcc, v5, v4
	s_and_b64 s[0:1], vcc, s[0:1]
	s_and_saveexec_b64 s[2:3], s[0:1]
	s_cbranch_execz .LBB9_12
; %bb.11:
	v_ashrrev_i32_e32 v5, 31, v4
	v_lshlrev_b64 v[0:1], 2, v[4:5]
	v_add_co_u32_e32 v0, vcc, v6, v0
	v_addc_co_u32_e32 v1, vcc, v7, v1, vcc
	global_load_dword v2, v[0:1], off
	s_waitcnt vmcnt(0)
	v_sub_f32_e32 v2, v3, v2
	global_store_dword v[0:1], v2, off
.LBB9_12:
	s_endpgm
	.section	.rodata,"a",@progbits
	.p2align	6, 0x0
	.amdhsa_kernel _ZL37rocblas_syrkx_herkx_restricted_kernelIifLi16ELi32ELi8ELi1ELin1ELb0ELc67ELc76EKffEviT_PT9_S1_lS3_S1_lPT10_S1_li
		.amdhsa_group_segment_fixed_size 2048
		.amdhsa_private_segment_fixed_size 0
		.amdhsa_kernarg_size 84
		.amdhsa_user_sgpr_count 6
		.amdhsa_user_sgpr_private_segment_buffer 1
		.amdhsa_user_sgpr_dispatch_ptr 0
		.amdhsa_user_sgpr_queue_ptr 0
		.amdhsa_user_sgpr_kernarg_segment_ptr 1
		.amdhsa_user_sgpr_dispatch_id 0
		.amdhsa_user_sgpr_flat_scratch_init 0
		.amdhsa_user_sgpr_private_segment_size 0
		.amdhsa_uses_dynamic_stack 0
		.amdhsa_system_sgpr_private_segment_wavefront_offset 0
		.amdhsa_system_sgpr_workgroup_id_x 1
		.amdhsa_system_sgpr_workgroup_id_y 1
		.amdhsa_system_sgpr_workgroup_id_z 1
		.amdhsa_system_sgpr_workgroup_info 0
		.amdhsa_system_vgpr_workitem_id 1
		.amdhsa_next_free_vgpr 26
		.amdhsa_next_free_sgpr 22
		.amdhsa_reserve_vcc 1
		.amdhsa_reserve_flat_scratch 0
		.amdhsa_float_round_mode_32 0
		.amdhsa_float_round_mode_16_64 0
		.amdhsa_float_denorm_mode_32 3
		.amdhsa_float_denorm_mode_16_64 3
		.amdhsa_dx10_clamp 1
		.amdhsa_ieee_mode 1
		.amdhsa_fp16_overflow 0
		.amdhsa_exception_fp_ieee_invalid_op 0
		.amdhsa_exception_fp_denorm_src 0
		.amdhsa_exception_fp_ieee_div_zero 0
		.amdhsa_exception_fp_ieee_overflow 0
		.amdhsa_exception_fp_ieee_underflow 0
		.amdhsa_exception_fp_ieee_inexact 0
		.amdhsa_exception_int_div_zero 0
	.end_amdhsa_kernel
	.section	.text._ZL37rocblas_syrkx_herkx_restricted_kernelIifLi16ELi32ELi8ELi1ELin1ELb0ELc67ELc76EKffEviT_PT9_S1_lS3_S1_lPT10_S1_li,"axG",@progbits,_ZL37rocblas_syrkx_herkx_restricted_kernelIifLi16ELi32ELi8ELi1ELin1ELb0ELc67ELc76EKffEviT_PT9_S1_lS3_S1_lPT10_S1_li,comdat
.Lfunc_end9:
	.size	_ZL37rocblas_syrkx_herkx_restricted_kernelIifLi16ELi32ELi8ELi1ELin1ELb0ELc67ELc76EKffEviT_PT9_S1_lS3_S1_lPT10_S1_li, .Lfunc_end9-_ZL37rocblas_syrkx_herkx_restricted_kernelIifLi16ELi32ELi8ELi1ELin1ELb0ELc67ELc76EKffEviT_PT9_S1_lS3_S1_lPT10_S1_li
                                        ; -- End function
	.set _ZL37rocblas_syrkx_herkx_restricted_kernelIifLi16ELi32ELi8ELi1ELin1ELb0ELc67ELc76EKffEviT_PT9_S1_lS3_S1_lPT10_S1_li.num_vgpr, 26
	.set _ZL37rocblas_syrkx_herkx_restricted_kernelIifLi16ELi32ELi8ELi1ELin1ELb0ELc67ELc76EKffEviT_PT9_S1_lS3_S1_lPT10_S1_li.num_agpr, 0
	.set _ZL37rocblas_syrkx_herkx_restricted_kernelIifLi16ELi32ELi8ELi1ELin1ELb0ELc67ELc76EKffEviT_PT9_S1_lS3_S1_lPT10_S1_li.numbered_sgpr, 22
	.set _ZL37rocblas_syrkx_herkx_restricted_kernelIifLi16ELi32ELi8ELi1ELin1ELb0ELc67ELc76EKffEviT_PT9_S1_lS3_S1_lPT10_S1_li.num_named_barrier, 0
	.set _ZL37rocblas_syrkx_herkx_restricted_kernelIifLi16ELi32ELi8ELi1ELin1ELb0ELc67ELc76EKffEviT_PT9_S1_lS3_S1_lPT10_S1_li.private_seg_size, 0
	.set _ZL37rocblas_syrkx_herkx_restricted_kernelIifLi16ELi32ELi8ELi1ELin1ELb0ELc67ELc76EKffEviT_PT9_S1_lS3_S1_lPT10_S1_li.uses_vcc, 1
	.set _ZL37rocblas_syrkx_herkx_restricted_kernelIifLi16ELi32ELi8ELi1ELin1ELb0ELc67ELc76EKffEviT_PT9_S1_lS3_S1_lPT10_S1_li.uses_flat_scratch, 0
	.set _ZL37rocblas_syrkx_herkx_restricted_kernelIifLi16ELi32ELi8ELi1ELin1ELb0ELc67ELc76EKffEviT_PT9_S1_lS3_S1_lPT10_S1_li.has_dyn_sized_stack, 0
	.set _ZL37rocblas_syrkx_herkx_restricted_kernelIifLi16ELi32ELi8ELi1ELin1ELb0ELc67ELc76EKffEviT_PT9_S1_lS3_S1_lPT10_S1_li.has_recursion, 0
	.set _ZL37rocblas_syrkx_herkx_restricted_kernelIifLi16ELi32ELi8ELi1ELin1ELb0ELc67ELc76EKffEviT_PT9_S1_lS3_S1_lPT10_S1_li.has_indirect_call, 0
	.section	.AMDGPU.csdata,"",@progbits
; Kernel info:
; codeLenInByte = 1088
; TotalNumSgprs: 26
; NumVgprs: 26
; ScratchSize: 0
; MemoryBound: 0
; FloatMode: 240
; IeeeMode: 1
; LDSByteSize: 2048 bytes/workgroup (compile time only)
; SGPRBlocks: 3
; VGPRBlocks: 6
; NumSGPRsForWavesPerEU: 26
; NumVGPRsForWavesPerEU: 26
; Occupancy: 9
; WaveLimiterHint : 0
; COMPUTE_PGM_RSRC2:SCRATCH_EN: 0
; COMPUTE_PGM_RSRC2:USER_SGPR: 6
; COMPUTE_PGM_RSRC2:TRAP_HANDLER: 0
; COMPUTE_PGM_RSRC2:TGID_X_EN: 1
; COMPUTE_PGM_RSRC2:TGID_Y_EN: 1
; COMPUTE_PGM_RSRC2:TGID_Z_EN: 1
; COMPUTE_PGM_RSRC2:TIDIG_COMP_CNT: 1
	.section	.text._ZL37rocblas_syrkx_herkx_restricted_kernelIifLi16ELi32ELi8ELi1ELin1ELb0ELc78ELc76EKffEviT_PT9_S1_lS3_S1_lPT10_S1_li,"axG",@progbits,_ZL37rocblas_syrkx_herkx_restricted_kernelIifLi16ELi32ELi8ELi1ELin1ELb0ELc78ELc76EKffEviT_PT9_S1_lS3_S1_lPT10_S1_li,comdat
	.globl	_ZL37rocblas_syrkx_herkx_restricted_kernelIifLi16ELi32ELi8ELi1ELin1ELb0ELc78ELc76EKffEviT_PT9_S1_lS3_S1_lPT10_S1_li ; -- Begin function _ZL37rocblas_syrkx_herkx_restricted_kernelIifLi16ELi32ELi8ELi1ELin1ELb0ELc78ELc76EKffEviT_PT9_S1_lS3_S1_lPT10_S1_li
	.p2align	8
	.type	_ZL37rocblas_syrkx_herkx_restricted_kernelIifLi16ELi32ELi8ELi1ELin1ELb0ELc78ELc76EKffEviT_PT9_S1_lS3_S1_lPT10_S1_li,@function
_ZL37rocblas_syrkx_herkx_restricted_kernelIifLi16ELi32ELi8ELi1ELin1ELb0ELc78ELc76EKffEviT_PT9_S1_lS3_S1_lPT10_S1_li: ; @_ZL37rocblas_syrkx_herkx_restricted_kernelIifLi16ELi32ELi8ELi1ELin1ELb0ELc78ELc76EKffEviT_PT9_S1_lS3_S1_lPT10_S1_li
; %bb.0:
	s_load_dwordx2 s[10:11], s[4:5], 0x0
	s_load_dwordx4 s[0:3], s[4:5], 0x30
	s_lshl_b32 s9, s6, 5
	s_lshl_b32 s16, s7, 5
	s_mov_b32 s17, 0
	s_waitcnt lgkmcnt(0)
	s_cmp_lt_i32 s11, 1
	s_cbranch_scc1 .LBB10_3
; %bb.1:
	v_lshl_add_u32 v7, v1, 4, v0
	s_load_dword s6, s[4:5], 0x10
	s_load_dword s18, s[4:5], 0x28
	s_load_dwordx2 s[20:21], s[4:5], 0x8
	s_load_dwordx4 s[12:15], s[4:5], 0x18
	v_lshrrev_b32_e32 v8, 3, v7
	v_add_u32_e32 v2, s16, v8
	v_and_b32_e32 v6, 7, v0
	v_ashrrev_i32_e32 v3, 31, v2
	s_waitcnt lgkmcnt(0)
	v_mad_i64_i32 v[4:5], s[22:23], s18, v6, v[2:3]
	v_and_b32_e32 v2, 31, v7
	v_lshrrev_b32_e32 v9, 5, v7
	v_lshlrev_b32_e32 v3, 2, v2
	v_lshl_or_b32 v10, v9, 7, v3
	v_lshlrev_b32_e32 v3, 2, v6
	v_lshl_or_b32 v3, v8, 5, v3
	v_add_u32_e32 v11, 0x400, v3
	v_mov_b32_e32 v3, 0x400
	v_add_u32_e32 v2, s9, v2
	v_lshl_add_u32 v13, v1, 5, v3
	v_ashrrev_i32_e32 v3, 31, v2
	v_mad_i64_i32 v[2:3], s[22:23], s6, v9, v[2:3]
	s_mul_i32 s13, s13, s8
	s_mul_hi_u32 s24, s12, s8
	s_add_i32 s13, s24, s13
	s_mul_i32 s12, s12, s8
	s_ashr_i32 s7, s6, 31
	s_ashr_i32 s19, s18, 31
	s_lshl_b64 s[12:13], s[12:13], 2
	v_lshlrev_b64 v[2:3], 2, v[2:3]
	s_add_u32 s12, s20, s12
	v_add_co_u32_e32 v2, vcc, s12, v2
	s_mul_i32 s1, s1, s8
	s_mul_hi_u32 s12, s0, s8
	s_addc_u32 s13, s21, s13
	s_add_i32 s1, s12, s1
	s_mul_i32 s0, s0, s8
	s_lshl_b64 s[6:7], s[6:7], 5
	s_lshl_b64 s[0:1], s[0:1], 2
	v_mov_b32_e32 v6, s13
	v_lshlrev_b64 v[4:5], 2, v[4:5]
	s_add_u32 s0, s14, s0
	v_addc_co_u32_e32 v3, vcc, v6, v3, vcc
	s_addc_u32 s1, s15, s1
	v_mov_b32_e32 v6, s1
	v_add_co_u32_e32 v4, vcc, s0, v4
	s_lshl_b64 s[12:13], s[18:19], 5
	v_lshlrev_b32_e32 v12, 2, v0
	v_addc_co_u32_e32 v5, vcc, v6, v5, vcc
	v_mov_b32_e32 v6, 0
	v_mov_b32_e32 v14, s7
	;; [unrolled: 1-line block ×6, first 2 shown]
.LBB10_2:                               ; =>This Inner Loop Header: Depth=1
	global_load_dword v16, v[2:3], off
	global_load_dword v17, v[4:5], off
	s_add_i32 s17, s17, 8
	v_add_co_u32_e32 v2, vcc, s6, v2
	v_add_co_u32_e64 v4, s[0:1], s12, v4
	v_addc_co_u32_e32 v3, vcc, v3, v14, vcc
	v_addc_co_u32_e64 v5, vcc, v5, v15, s[0:1]
	s_cmp_ge_i32 s17, s11
	s_waitcnt vmcnt(1)
	ds_write_b32 v10, v16
	s_waitcnt vmcnt(0)
	ds_write_b32 v11, v17
	s_waitcnt lgkmcnt(0)
	s_barrier
	ds_read2_b32 v[20:21], v12 offset1:16
	ds_read_b128 v[16:19], v13
	ds_read2_b32 v[22:23], v12 offset0:32 offset1:48
	ds_read2_b32 v[24:25], v12 offset0:64 offset1:80
	;; [unrolled: 1-line block ×3, first 2 shown]
	s_waitcnt lgkmcnt(3)
	v_fmac_f32_e32 v9, v20, v16
	v_fmac_f32_e32 v8, v21, v16
	s_waitcnt lgkmcnt(2)
	v_fmac_f32_e32 v9, v22, v17
	v_fmac_f32_e32 v8, v23, v17
	;; [unrolled: 3-line block ×4, first 2 shown]
	ds_read_b128 v[16:19], v13 offset:512
	s_waitcnt lgkmcnt(0)
	v_fmac_f32_e32 v7, v20, v16
	v_fmac_f32_e32 v6, v21, v16
	;; [unrolled: 1-line block ×8, first 2 shown]
	ds_read2_b32 v[20:21], v12 offset0:128 offset1:144
	ds_read_b128 v[16:19], v13 offset:16
	ds_read2_b32 v[22:23], v12 offset0:160 offset1:176
	ds_read2_b32 v[24:25], v12 offset0:192 offset1:208
	;; [unrolled: 1-line block ×3, first 2 shown]
	s_waitcnt lgkmcnt(3)
	v_fmac_f32_e32 v9, v20, v16
	v_fmac_f32_e32 v8, v21, v16
	s_waitcnt lgkmcnt(2)
	v_fmac_f32_e32 v9, v22, v17
	v_fmac_f32_e32 v8, v23, v17
	;; [unrolled: 3-line block ×4, first 2 shown]
	ds_read_b128 v[16:19], v13 offset:528
	s_waitcnt lgkmcnt(0)
	s_barrier
	v_fmac_f32_e32 v7, v20, v16
	v_fmac_f32_e32 v6, v21, v16
	;; [unrolled: 1-line block ×8, first 2 shown]
	s_cbranch_scc0 .LBB10_2
	s_branch .LBB10_4
.LBB10_3:
	v_mov_b32_e32 v9, 0
	v_mov_b32_e32 v8, 0
	;; [unrolled: 1-line block ×4, first 2 shown]
.LBB10_4:
	s_load_dwordx2 s[0:1], s[4:5], 0x48
	s_load_dword s6, s[4:5], 0x40
	v_add_u32_e32 v4, s16, v1
	v_add_u32_e32 v0, s9, v0
	s_waitcnt lgkmcnt(0)
	s_mul_i32 s1, s1, s8
	s_mul_hi_u32 s4, s0, s8
	s_add_i32 s1, s4, s1
	v_mad_i64_i32 v[1:2], s[4:5], v4, s6, 0
	s_mul_i32 s0, s0, s8
	s_lshl_b64 s[0:1], s[0:1], 2
	s_add_u32 s7, s2, s0
	v_lshlrev_b64 v[1:2], 2, v[1:2]
	s_addc_u32 s8, s3, s1
	v_mov_b32_e32 v3, s8
	v_add_co_u32_e32 v5, vcc, s7, v1
	v_addc_co_u32_e32 v10, vcc, v3, v2, vcc
	v_cmp_le_i32_e64 s[0:1], v4, v0
	v_cmp_gt_i32_e32 vcc, s10, v0
	s_and_b64 s[0:1], s[0:1], vcc
	s_and_saveexec_b64 s[2:3], s[0:1]
	s_cbranch_execz .LBB10_6
; %bb.5:
	v_ashrrev_i32_e32 v1, 31, v0
	v_lshlrev_b64 v[1:2], 2, v[0:1]
	v_add_co_u32_e64 v1, s[0:1], v5, v1
	v_addc_co_u32_e64 v2, s[0:1], v10, v2, s[0:1]
	global_load_dword v3, v[1:2], off
	s_waitcnt vmcnt(0)
	v_sub_f32_e32 v3, v9, v3
	global_store_dword v[1:2], v3, off
.LBB10_6:
	s_or_b64 exec, exec, s[2:3]
	v_add_u32_e32 v2, 16, v0
	v_cmp_le_i32_e64 s[2:3], v4, v2
	v_cmp_gt_i32_e64 s[0:1], s10, v2
	s_and_b64 s[2:3], s[2:3], s[0:1]
	s_and_saveexec_b64 s[4:5], s[2:3]
	s_cbranch_execz .LBB10_8
; %bb.7:
	v_ashrrev_i32_e32 v3, 31, v2
	v_lshlrev_b64 v[11:12], 2, v[2:3]
	v_add_co_u32_e64 v9, s[2:3], v5, v11
	v_addc_co_u32_e64 v10, s[2:3], v10, v12, s[2:3]
	global_load_dword v1, v[9:10], off
	s_waitcnt vmcnt(0)
	v_sub_f32_e32 v1, v8, v1
	global_store_dword v[9:10], v1, off
.LBB10_8:
	s_or_b64 exec, exec, s[4:5]
	v_add_u32_e32 v3, 16, v4
	v_mad_i64_i32 v[4:5], s[2:3], v3, s6, 0
	v_mov_b32_e32 v1, s8
	v_lshlrev_b64 v[4:5], 2, v[4:5]
	v_add_co_u32_e64 v4, s[2:3], s7, v4
	v_addc_co_u32_e64 v5, s[2:3], v1, v5, s[2:3]
	v_cmp_le_i32_e64 s[2:3], v3, v0
	s_and_b64 s[4:5], s[2:3], vcc
	s_and_saveexec_b64 s[2:3], s[4:5]
	s_cbranch_execz .LBB10_10
; %bb.9:
	v_ashrrev_i32_e32 v1, 31, v0
	v_lshlrev_b64 v[0:1], 2, v[0:1]
	v_add_co_u32_e32 v0, vcc, v4, v0
	v_addc_co_u32_e32 v1, vcc, v5, v1, vcc
	global_load_dword v8, v[0:1], off
	s_waitcnt vmcnt(0)
	v_sub_f32_e32 v7, v7, v8
	global_store_dword v[0:1], v7, off
.LBB10_10:
	s_or_b64 exec, exec, s[2:3]
	v_cmp_le_i32_e32 vcc, v3, v2
	s_and_b64 s[0:1], vcc, s[0:1]
	s_and_saveexec_b64 s[2:3], s[0:1]
	s_cbranch_execz .LBB10_12
; %bb.11:
	v_ashrrev_i32_e32 v3, 31, v2
	v_lshlrev_b64 v[0:1], 2, v[2:3]
	v_add_co_u32_e32 v0, vcc, v4, v0
	v_addc_co_u32_e32 v1, vcc, v5, v1, vcc
	global_load_dword v2, v[0:1], off
	s_waitcnt vmcnt(0)
	v_sub_f32_e32 v2, v6, v2
	global_store_dword v[0:1], v2, off
.LBB10_12:
	s_endpgm
	.section	.rodata,"a",@progbits
	.p2align	6, 0x0
	.amdhsa_kernel _ZL37rocblas_syrkx_herkx_restricted_kernelIifLi16ELi32ELi8ELi1ELin1ELb0ELc78ELc76EKffEviT_PT9_S1_lS3_S1_lPT10_S1_li
		.amdhsa_group_segment_fixed_size 2048
		.amdhsa_private_segment_fixed_size 0
		.amdhsa_kernarg_size 84
		.amdhsa_user_sgpr_count 6
		.amdhsa_user_sgpr_private_segment_buffer 1
		.amdhsa_user_sgpr_dispatch_ptr 0
		.amdhsa_user_sgpr_queue_ptr 0
		.amdhsa_user_sgpr_kernarg_segment_ptr 1
		.amdhsa_user_sgpr_dispatch_id 0
		.amdhsa_user_sgpr_flat_scratch_init 0
		.amdhsa_user_sgpr_private_segment_size 0
		.amdhsa_uses_dynamic_stack 0
		.amdhsa_system_sgpr_private_segment_wavefront_offset 0
		.amdhsa_system_sgpr_workgroup_id_x 1
		.amdhsa_system_sgpr_workgroup_id_y 1
		.amdhsa_system_sgpr_workgroup_id_z 1
		.amdhsa_system_sgpr_workgroup_info 0
		.amdhsa_system_vgpr_workitem_id 1
		.amdhsa_next_free_vgpr 28
		.amdhsa_next_free_sgpr 25
		.amdhsa_reserve_vcc 1
		.amdhsa_reserve_flat_scratch 0
		.amdhsa_float_round_mode_32 0
		.amdhsa_float_round_mode_16_64 0
		.amdhsa_float_denorm_mode_32 3
		.amdhsa_float_denorm_mode_16_64 3
		.amdhsa_dx10_clamp 1
		.amdhsa_ieee_mode 1
		.amdhsa_fp16_overflow 0
		.amdhsa_exception_fp_ieee_invalid_op 0
		.amdhsa_exception_fp_denorm_src 0
		.amdhsa_exception_fp_ieee_div_zero 0
		.amdhsa_exception_fp_ieee_overflow 0
		.amdhsa_exception_fp_ieee_underflow 0
		.amdhsa_exception_fp_ieee_inexact 0
		.amdhsa_exception_int_div_zero 0
	.end_amdhsa_kernel
	.section	.text._ZL37rocblas_syrkx_herkx_restricted_kernelIifLi16ELi32ELi8ELi1ELin1ELb0ELc78ELc76EKffEviT_PT9_S1_lS3_S1_lPT10_S1_li,"axG",@progbits,_ZL37rocblas_syrkx_herkx_restricted_kernelIifLi16ELi32ELi8ELi1ELin1ELb0ELc78ELc76EKffEviT_PT9_S1_lS3_S1_lPT10_S1_li,comdat
.Lfunc_end10:
	.size	_ZL37rocblas_syrkx_herkx_restricted_kernelIifLi16ELi32ELi8ELi1ELin1ELb0ELc78ELc76EKffEviT_PT9_S1_lS3_S1_lPT10_S1_li, .Lfunc_end10-_ZL37rocblas_syrkx_herkx_restricted_kernelIifLi16ELi32ELi8ELi1ELin1ELb0ELc78ELc76EKffEviT_PT9_S1_lS3_S1_lPT10_S1_li
                                        ; -- End function
	.set _ZL37rocblas_syrkx_herkx_restricted_kernelIifLi16ELi32ELi8ELi1ELin1ELb0ELc78ELc76EKffEviT_PT9_S1_lS3_S1_lPT10_S1_li.num_vgpr, 28
	.set _ZL37rocblas_syrkx_herkx_restricted_kernelIifLi16ELi32ELi8ELi1ELin1ELb0ELc78ELc76EKffEviT_PT9_S1_lS3_S1_lPT10_S1_li.num_agpr, 0
	.set _ZL37rocblas_syrkx_herkx_restricted_kernelIifLi16ELi32ELi8ELi1ELin1ELb0ELc78ELc76EKffEviT_PT9_S1_lS3_S1_lPT10_S1_li.numbered_sgpr, 25
	.set _ZL37rocblas_syrkx_herkx_restricted_kernelIifLi16ELi32ELi8ELi1ELin1ELb0ELc78ELc76EKffEviT_PT9_S1_lS3_S1_lPT10_S1_li.num_named_barrier, 0
	.set _ZL37rocblas_syrkx_herkx_restricted_kernelIifLi16ELi32ELi8ELi1ELin1ELb0ELc78ELc76EKffEviT_PT9_S1_lS3_S1_lPT10_S1_li.private_seg_size, 0
	.set _ZL37rocblas_syrkx_herkx_restricted_kernelIifLi16ELi32ELi8ELi1ELin1ELb0ELc78ELc76EKffEviT_PT9_S1_lS3_S1_lPT10_S1_li.uses_vcc, 1
	.set _ZL37rocblas_syrkx_herkx_restricted_kernelIifLi16ELi32ELi8ELi1ELin1ELb0ELc78ELc76EKffEviT_PT9_S1_lS3_S1_lPT10_S1_li.uses_flat_scratch, 0
	.set _ZL37rocblas_syrkx_herkx_restricted_kernelIifLi16ELi32ELi8ELi1ELin1ELb0ELc78ELc76EKffEviT_PT9_S1_lS3_S1_lPT10_S1_li.has_dyn_sized_stack, 0
	.set _ZL37rocblas_syrkx_herkx_restricted_kernelIifLi16ELi32ELi8ELi1ELin1ELb0ELc78ELc76EKffEviT_PT9_S1_lS3_S1_lPT10_S1_li.has_recursion, 0
	.set _ZL37rocblas_syrkx_herkx_restricted_kernelIifLi16ELi32ELi8ELi1ELin1ELb0ELc78ELc76EKffEviT_PT9_S1_lS3_S1_lPT10_S1_li.has_indirect_call, 0
	.section	.AMDGPU.csdata,"",@progbits
; Kernel info:
; codeLenInByte = 1116
; TotalNumSgprs: 29
; NumVgprs: 28
; ScratchSize: 0
; MemoryBound: 0
; FloatMode: 240
; IeeeMode: 1
; LDSByteSize: 2048 bytes/workgroup (compile time only)
; SGPRBlocks: 3
; VGPRBlocks: 6
; NumSGPRsForWavesPerEU: 29
; NumVGPRsForWavesPerEU: 28
; Occupancy: 9
; WaveLimiterHint : 0
; COMPUTE_PGM_RSRC2:SCRATCH_EN: 0
; COMPUTE_PGM_RSRC2:USER_SGPR: 6
; COMPUTE_PGM_RSRC2:TRAP_HANDLER: 0
; COMPUTE_PGM_RSRC2:TGID_X_EN: 1
; COMPUTE_PGM_RSRC2:TGID_Y_EN: 1
; COMPUTE_PGM_RSRC2:TGID_Z_EN: 1
; COMPUTE_PGM_RSRC2:TIDIG_COMP_CNT: 1
	.section	.text._ZL37rocblas_syrkx_herkx_restricted_kernelIifLi16ELi32ELi8ELi1ELin1ELb0ELc84ELc85EKffEviT_PT9_S1_lS3_S1_lPT10_S1_li,"axG",@progbits,_ZL37rocblas_syrkx_herkx_restricted_kernelIifLi16ELi32ELi8ELi1ELin1ELb0ELc84ELc85EKffEviT_PT9_S1_lS3_S1_lPT10_S1_li,comdat
	.globl	_ZL37rocblas_syrkx_herkx_restricted_kernelIifLi16ELi32ELi8ELi1ELin1ELb0ELc84ELc85EKffEviT_PT9_S1_lS3_S1_lPT10_S1_li ; -- Begin function _ZL37rocblas_syrkx_herkx_restricted_kernelIifLi16ELi32ELi8ELi1ELin1ELb0ELc84ELc85EKffEviT_PT9_S1_lS3_S1_lPT10_S1_li
	.p2align	8
	.type	_ZL37rocblas_syrkx_herkx_restricted_kernelIifLi16ELi32ELi8ELi1ELin1ELb0ELc84ELc85EKffEviT_PT9_S1_lS3_S1_lPT10_S1_li,@function
_ZL37rocblas_syrkx_herkx_restricted_kernelIifLi16ELi32ELi8ELi1ELin1ELb0ELc84ELc85EKffEviT_PT9_S1_lS3_S1_lPT10_S1_li: ; @_ZL37rocblas_syrkx_herkx_restricted_kernelIifLi16ELi32ELi8ELi1ELin1ELb0ELc84ELc85EKffEviT_PT9_S1_lS3_S1_lPT10_S1_li
; %bb.0:
	s_load_dwordx2 s[10:11], s[4:5], 0x0
	s_load_dwordx4 s[0:3], s[4:5], 0x30
	s_lshl_b32 s6, s6, 5
	s_lshl_b32 s7, s7, 5
	s_mov_b32 s9, 0
	s_waitcnt lgkmcnt(0)
	s_cmp_lt_i32 s11, 1
	s_cbranch_scc1 .LBB11_3
; %bb.1:
	s_load_dwordx2 s[16:17], s[4:5], 0x8
	s_load_dword s20, s[4:5], 0x10
	s_load_dwordx4 s[12:15], s[4:5], 0x18
	s_load_dword s18, s[4:5], 0x28
	v_lshl_add_u32 v4, v1, 4, v0
	v_lshrrev_b32_e32 v8, 3, v4
	v_add_u32_e32 v5, s7, v8
	v_and_b32_e32 v2, 7, v0
	v_mov_b32_e32 v3, 0
	s_waitcnt lgkmcnt(0)
	v_mad_i64_i32 v[6:7], s[18:19], s18, v5, v[2:3]
	v_lshlrev_b32_e32 v2, 2, v2
	v_lshl_or_b32 v2, v8, 5, v2
	v_and_b32_e32 v9, 31, v4
	v_add_u32_e32 v11, 0x400, v2
	v_mov_b32_e32 v2, 0x400
	v_lshrrev_b32_e32 v4, 5, v4
	v_mov_b32_e32 v5, v3
	v_lshlrev_b32_e32 v10, 2, v9
	v_lshl_add_u32 v13, v1, 5, v2
	v_add_u32_e32 v2, s6, v9
	v_lshl_or_b32 v10, v4, 7, v10
	v_mad_i64_i32 v[4:5], s[18:19], s20, v2, v[4:5]
	s_mul_i32 s13, s13, s8
	s_mul_hi_u32 s21, s12, s8
	s_add_i32 s13, s21, s13
	s_mul_i32 s12, s12, s8
	s_lshl_b64 s[12:13], s[12:13], 2
	v_lshlrev_b64 v[4:5], 2, v[4:5]
	s_add_u32 s12, s16, s12
	v_add_co_u32_e32 v4, vcc, s12, v4
	s_mul_i32 s1, s1, s8
	s_mul_hi_u32 s12, s0, s8
	s_addc_u32 s13, s17, s13
	s_add_i32 s1, s12, s1
	s_mul_i32 s0, s0, s8
	s_lshl_b64 s[0:1], s[0:1], 2
	v_mov_b32_e32 v2, s13
	v_lshlrev_b64 v[6:7], 2, v[6:7]
	s_add_u32 s0, s14, s0
	v_addc_co_u32_e32 v5, vcc, v2, v5, vcc
	s_addc_u32 s1, s15, s1
	v_mov_b32_e32 v2, s1
	v_add_co_u32_e32 v6, vcc, s0, v6
	v_lshlrev_b32_e32 v12, 2, v0
	v_addc_co_u32_e32 v7, vcc, v2, v7, vcc
	v_mov_b32_e32 v2, v3
	v_mov_b32_e32 v8, v3
	;; [unrolled: 1-line block ×3, first 2 shown]
.LBB11_2:                               ; =>This Inner Loop Header: Depth=1
	global_load_dword v14, v[4:5], off
	s_add_i32 s9, s9, 8
	v_add_co_u32_e32 v4, vcc, 32, v4
	v_addc_co_u32_e32 v5, vcc, 0, v5, vcc
	s_cmp_ge_i32 s9, s11
	s_waitcnt vmcnt(0)
	ds_write_b32 v10, v14
	global_load_dword v14, v[6:7], off
	v_add_co_u32_e64 v6, s[0:1], 32, v6
	v_addc_co_u32_e64 v7, vcc, 0, v7, s[0:1]
	s_waitcnt vmcnt(0)
	ds_write_b32 v11, v14
	s_waitcnt lgkmcnt(0)
	s_barrier
	ds_read2_b32 v[18:19], v12 offset1:16
	ds_read_b128 v[14:17], v13
	ds_read2_b32 v[20:21], v12 offset0:32 offset1:48
	ds_read2_b32 v[22:23], v12 offset0:64 offset1:80
	;; [unrolled: 1-line block ×3, first 2 shown]
	s_waitcnt lgkmcnt(3)
	v_fmac_f32_e32 v9, v18, v14
	v_fmac_f32_e32 v8, v19, v14
	s_waitcnt lgkmcnt(2)
	v_fmac_f32_e32 v9, v20, v15
	v_fmac_f32_e32 v8, v21, v15
	;; [unrolled: 3-line block ×4, first 2 shown]
	ds_read_b128 v[14:17], v13 offset:512
	s_waitcnt lgkmcnt(0)
	v_fmac_f32_e32 v2, v18, v14
	v_fmac_f32_e32 v3, v19, v14
	;; [unrolled: 1-line block ×8, first 2 shown]
	ds_read2_b32 v[18:19], v12 offset0:128 offset1:144
	ds_read_b128 v[14:17], v13 offset:16
	ds_read2_b32 v[20:21], v12 offset0:160 offset1:176
	ds_read2_b32 v[22:23], v12 offset0:192 offset1:208
	;; [unrolled: 1-line block ×3, first 2 shown]
	s_waitcnt lgkmcnt(3)
	v_fmac_f32_e32 v9, v18, v14
	v_fmac_f32_e32 v8, v19, v14
	s_waitcnt lgkmcnt(2)
	v_fmac_f32_e32 v9, v20, v15
	v_fmac_f32_e32 v8, v21, v15
	s_waitcnt lgkmcnt(1)
	v_fmac_f32_e32 v9, v22, v16
	v_fmac_f32_e32 v8, v23, v16
	s_waitcnt lgkmcnt(0)
	v_fmac_f32_e32 v9, v24, v17
	v_fmac_f32_e32 v8, v25, v17
	ds_read_b128 v[14:17], v13 offset:528
	s_waitcnt lgkmcnt(0)
	s_barrier
	v_fmac_f32_e32 v2, v18, v14
	v_fmac_f32_e32 v3, v19, v14
	;; [unrolled: 1-line block ×8, first 2 shown]
	s_cbranch_scc0 .LBB11_2
	s_branch .LBB11_4
.LBB11_3:
	v_mov_b32_e32 v9, 0
	v_mov_b32_e32 v8, 0
	;; [unrolled: 1-line block ×4, first 2 shown]
.LBB11_4:
	s_load_dwordx2 s[0:1], s[4:5], 0x48
	s_load_dword s9, s[4:5], 0x40
	v_add_u32_e32 v6, s7, v1
	v_add_u32_e32 v0, s6, v0
	v_cmp_gt_i32_e32 vcc, s10, v6
	s_waitcnt lgkmcnt(0)
	s_mul_i32 s1, s1, s8
	v_mad_i64_i32 v[4:5], s[12:13], v6, s9, 0
	s_mul_hi_u32 s4, s0, s8
	s_mul_i32 s0, s0, s8
	s_add_i32 s1, s4, s1
	s_lshl_b64 s[0:1], s[0:1], 2
	s_add_u32 s4, s2, s0
	v_lshlrev_b64 v[4:5], 2, v[4:5]
	s_addc_u32 s5, s3, s1
	v_mov_b32_e32 v1, s5
	v_add_co_u32_e64 v7, s[0:1], s4, v4
	v_addc_co_u32_e64 v10, s[0:1], v1, v5, s[0:1]
	v_cmp_le_i32_e64 s[0:1], v0, v6
	s_and_b64 s[0:1], vcc, s[0:1]
	s_and_saveexec_b64 s[2:3], s[0:1]
	s_cbranch_execz .LBB11_6
; %bb.5:
	v_ashrrev_i32_e32 v1, 31, v0
	v_lshlrev_b64 v[4:5], 2, v[0:1]
	v_add_co_u32_e64 v4, s[0:1], v7, v4
	v_addc_co_u32_e64 v5, s[0:1], v10, v5, s[0:1]
	global_load_dword v1, v[4:5], off
	s_waitcnt vmcnt(0)
	v_sub_f32_e32 v1, v9, v1
	global_store_dword v[4:5], v1, off
.LBB11_6:
	s_or_b64 exec, exec, s[2:3]
	v_add_u32_e32 v4, 16, v0
	v_cmp_le_i32_e64 s[0:1], v4, v6
	s_and_b64 s[2:3], vcc, s[0:1]
	s_and_saveexec_b64 s[0:1], s[2:3]
	s_cbranch_execz .LBB11_8
; %bb.7:
	v_ashrrev_i32_e32 v5, 31, v4
	v_lshlrev_b64 v[11:12], 2, v[4:5]
	v_add_co_u32_e32 v9, vcc, v7, v11
	v_addc_co_u32_e32 v10, vcc, v10, v12, vcc
	global_load_dword v1, v[9:10], off
	s_waitcnt vmcnt(0)
	v_sub_f32_e32 v1, v8, v1
	global_store_dword v[9:10], v1, off
.LBB11_8:
	s_or_b64 exec, exec, s[0:1]
	v_add_u32_e32 v5, 16, v6
	v_mad_i64_i32 v[6:7], s[0:1], v5, s9, 0
	v_mov_b32_e32 v1, s5
	v_cmp_gt_i32_e32 vcc, s10, v5
	v_lshlrev_b64 v[6:7], 2, v[6:7]
	v_add_co_u32_e64 v6, s[0:1], s4, v6
	v_addc_co_u32_e64 v7, s[0:1], v1, v7, s[0:1]
	v_cmp_le_i32_e64 s[0:1], v0, v5
	s_and_b64 s[0:1], vcc, s[0:1]
	s_and_saveexec_b64 s[2:3], s[0:1]
	s_cbranch_execz .LBB11_10
; %bb.9:
	v_ashrrev_i32_e32 v1, 31, v0
	v_lshlrev_b64 v[0:1], 2, v[0:1]
	v_add_co_u32_e64 v0, s[0:1], v6, v0
	v_addc_co_u32_e64 v1, s[0:1], v7, v1, s[0:1]
	global_load_dword v8, v[0:1], off
	s_waitcnt vmcnt(0)
	v_sub_f32_e32 v2, v2, v8
	global_store_dword v[0:1], v2, off
.LBB11_10:
	s_or_b64 exec, exec, s[2:3]
	v_cmp_le_i32_e64 s[0:1], v4, v5
	s_and_b64 s[0:1], vcc, s[0:1]
	s_and_saveexec_b64 s[2:3], s[0:1]
	s_cbranch_execz .LBB11_12
; %bb.11:
	v_ashrrev_i32_e32 v5, 31, v4
	v_lshlrev_b64 v[0:1], 2, v[4:5]
	v_add_co_u32_e32 v0, vcc, v6, v0
	v_addc_co_u32_e32 v1, vcc, v7, v1, vcc
	global_load_dword v2, v[0:1], off
	s_waitcnt vmcnt(0)
	v_sub_f32_e32 v2, v3, v2
	global_store_dword v[0:1], v2, off
.LBB11_12:
	s_endpgm
	.section	.rodata,"a",@progbits
	.p2align	6, 0x0
	.amdhsa_kernel _ZL37rocblas_syrkx_herkx_restricted_kernelIifLi16ELi32ELi8ELi1ELin1ELb0ELc84ELc85EKffEviT_PT9_S1_lS3_S1_lPT10_S1_li
		.amdhsa_group_segment_fixed_size 2048
		.amdhsa_private_segment_fixed_size 0
		.amdhsa_kernarg_size 84
		.amdhsa_user_sgpr_count 6
		.amdhsa_user_sgpr_private_segment_buffer 1
		.amdhsa_user_sgpr_dispatch_ptr 0
		.amdhsa_user_sgpr_queue_ptr 0
		.amdhsa_user_sgpr_kernarg_segment_ptr 1
		.amdhsa_user_sgpr_dispatch_id 0
		.amdhsa_user_sgpr_flat_scratch_init 0
		.amdhsa_user_sgpr_private_segment_size 0
		.amdhsa_uses_dynamic_stack 0
		.amdhsa_system_sgpr_private_segment_wavefront_offset 0
		.amdhsa_system_sgpr_workgroup_id_x 1
		.amdhsa_system_sgpr_workgroup_id_y 1
		.amdhsa_system_sgpr_workgroup_id_z 1
		.amdhsa_system_sgpr_workgroup_info 0
		.amdhsa_system_vgpr_workitem_id 1
		.amdhsa_next_free_vgpr 26
		.amdhsa_next_free_sgpr 22
		.amdhsa_reserve_vcc 1
		.amdhsa_reserve_flat_scratch 0
		.amdhsa_float_round_mode_32 0
		.amdhsa_float_round_mode_16_64 0
		.amdhsa_float_denorm_mode_32 3
		.amdhsa_float_denorm_mode_16_64 3
		.amdhsa_dx10_clamp 1
		.amdhsa_ieee_mode 1
		.amdhsa_fp16_overflow 0
		.amdhsa_exception_fp_ieee_invalid_op 0
		.amdhsa_exception_fp_denorm_src 0
		.amdhsa_exception_fp_ieee_div_zero 0
		.amdhsa_exception_fp_ieee_overflow 0
		.amdhsa_exception_fp_ieee_underflow 0
		.amdhsa_exception_fp_ieee_inexact 0
		.amdhsa_exception_int_div_zero 0
	.end_amdhsa_kernel
	.section	.text._ZL37rocblas_syrkx_herkx_restricted_kernelIifLi16ELi32ELi8ELi1ELin1ELb0ELc84ELc85EKffEviT_PT9_S1_lS3_S1_lPT10_S1_li,"axG",@progbits,_ZL37rocblas_syrkx_herkx_restricted_kernelIifLi16ELi32ELi8ELi1ELin1ELb0ELc84ELc85EKffEviT_PT9_S1_lS3_S1_lPT10_S1_li,comdat
.Lfunc_end11:
	.size	_ZL37rocblas_syrkx_herkx_restricted_kernelIifLi16ELi32ELi8ELi1ELin1ELb0ELc84ELc85EKffEviT_PT9_S1_lS3_S1_lPT10_S1_li, .Lfunc_end11-_ZL37rocblas_syrkx_herkx_restricted_kernelIifLi16ELi32ELi8ELi1ELin1ELb0ELc84ELc85EKffEviT_PT9_S1_lS3_S1_lPT10_S1_li
                                        ; -- End function
	.set _ZL37rocblas_syrkx_herkx_restricted_kernelIifLi16ELi32ELi8ELi1ELin1ELb0ELc84ELc85EKffEviT_PT9_S1_lS3_S1_lPT10_S1_li.num_vgpr, 26
	.set _ZL37rocblas_syrkx_herkx_restricted_kernelIifLi16ELi32ELi8ELi1ELin1ELb0ELc84ELc85EKffEviT_PT9_S1_lS3_S1_lPT10_S1_li.num_agpr, 0
	.set _ZL37rocblas_syrkx_herkx_restricted_kernelIifLi16ELi32ELi8ELi1ELin1ELb0ELc84ELc85EKffEviT_PT9_S1_lS3_S1_lPT10_S1_li.numbered_sgpr, 22
	.set _ZL37rocblas_syrkx_herkx_restricted_kernelIifLi16ELi32ELi8ELi1ELin1ELb0ELc84ELc85EKffEviT_PT9_S1_lS3_S1_lPT10_S1_li.num_named_barrier, 0
	.set _ZL37rocblas_syrkx_herkx_restricted_kernelIifLi16ELi32ELi8ELi1ELin1ELb0ELc84ELc85EKffEviT_PT9_S1_lS3_S1_lPT10_S1_li.private_seg_size, 0
	.set _ZL37rocblas_syrkx_herkx_restricted_kernelIifLi16ELi32ELi8ELi1ELin1ELb0ELc84ELc85EKffEviT_PT9_S1_lS3_S1_lPT10_S1_li.uses_vcc, 1
	.set _ZL37rocblas_syrkx_herkx_restricted_kernelIifLi16ELi32ELi8ELi1ELin1ELb0ELc84ELc85EKffEviT_PT9_S1_lS3_S1_lPT10_S1_li.uses_flat_scratch, 0
	.set _ZL37rocblas_syrkx_herkx_restricted_kernelIifLi16ELi32ELi8ELi1ELin1ELb0ELc84ELc85EKffEviT_PT9_S1_lS3_S1_lPT10_S1_li.has_dyn_sized_stack, 0
	.set _ZL37rocblas_syrkx_herkx_restricted_kernelIifLi16ELi32ELi8ELi1ELin1ELb0ELc84ELc85EKffEviT_PT9_S1_lS3_S1_lPT10_S1_li.has_recursion, 0
	.set _ZL37rocblas_syrkx_herkx_restricted_kernelIifLi16ELi32ELi8ELi1ELin1ELb0ELc84ELc85EKffEviT_PT9_S1_lS3_S1_lPT10_S1_li.has_indirect_call, 0
	.section	.AMDGPU.csdata,"",@progbits
; Kernel info:
; codeLenInByte = 1096
; TotalNumSgprs: 26
; NumVgprs: 26
; ScratchSize: 0
; MemoryBound: 0
; FloatMode: 240
; IeeeMode: 1
; LDSByteSize: 2048 bytes/workgroup (compile time only)
; SGPRBlocks: 3
; VGPRBlocks: 6
; NumSGPRsForWavesPerEU: 26
; NumVGPRsForWavesPerEU: 26
; Occupancy: 9
; WaveLimiterHint : 0
; COMPUTE_PGM_RSRC2:SCRATCH_EN: 0
; COMPUTE_PGM_RSRC2:USER_SGPR: 6
; COMPUTE_PGM_RSRC2:TRAP_HANDLER: 0
; COMPUTE_PGM_RSRC2:TGID_X_EN: 1
; COMPUTE_PGM_RSRC2:TGID_Y_EN: 1
; COMPUTE_PGM_RSRC2:TGID_Z_EN: 1
; COMPUTE_PGM_RSRC2:TIDIG_COMP_CNT: 1
	.section	.text._ZL37rocblas_syrkx_herkx_restricted_kernelIifLi16ELi32ELi8ELi1ELin1ELb0ELc67ELc85EKffEviT_PT9_S1_lS3_S1_lPT10_S1_li,"axG",@progbits,_ZL37rocblas_syrkx_herkx_restricted_kernelIifLi16ELi32ELi8ELi1ELin1ELb0ELc67ELc85EKffEviT_PT9_S1_lS3_S1_lPT10_S1_li,comdat
	.globl	_ZL37rocblas_syrkx_herkx_restricted_kernelIifLi16ELi32ELi8ELi1ELin1ELb0ELc67ELc85EKffEviT_PT9_S1_lS3_S1_lPT10_S1_li ; -- Begin function _ZL37rocblas_syrkx_herkx_restricted_kernelIifLi16ELi32ELi8ELi1ELin1ELb0ELc67ELc85EKffEviT_PT9_S1_lS3_S1_lPT10_S1_li
	.p2align	8
	.type	_ZL37rocblas_syrkx_herkx_restricted_kernelIifLi16ELi32ELi8ELi1ELin1ELb0ELc67ELc85EKffEviT_PT9_S1_lS3_S1_lPT10_S1_li,@function
_ZL37rocblas_syrkx_herkx_restricted_kernelIifLi16ELi32ELi8ELi1ELin1ELb0ELc67ELc85EKffEviT_PT9_S1_lS3_S1_lPT10_S1_li: ; @_ZL37rocblas_syrkx_herkx_restricted_kernelIifLi16ELi32ELi8ELi1ELin1ELb0ELc67ELc85EKffEviT_PT9_S1_lS3_S1_lPT10_S1_li
; %bb.0:
	s_load_dwordx2 s[10:11], s[4:5], 0x0
	s_load_dwordx4 s[0:3], s[4:5], 0x30
	s_lshl_b32 s6, s6, 5
	s_lshl_b32 s7, s7, 5
	s_mov_b32 s9, 0
	s_waitcnt lgkmcnt(0)
	s_cmp_lt_i32 s11, 1
	s_cbranch_scc1 .LBB12_3
; %bb.1:
	s_load_dwordx2 s[16:17], s[4:5], 0x8
	s_load_dword s20, s[4:5], 0x10
	s_load_dwordx4 s[12:15], s[4:5], 0x18
	s_load_dword s18, s[4:5], 0x28
	v_lshl_add_u32 v4, v1, 4, v0
	v_lshrrev_b32_e32 v8, 3, v4
	v_add_u32_e32 v5, s7, v8
	v_and_b32_e32 v2, 7, v0
	v_mov_b32_e32 v3, 0
	s_waitcnt lgkmcnt(0)
	v_mad_i64_i32 v[6:7], s[18:19], s18, v5, v[2:3]
	v_lshlrev_b32_e32 v2, 2, v2
	v_lshl_or_b32 v2, v8, 5, v2
	v_and_b32_e32 v9, 31, v4
	v_add_u32_e32 v11, 0x400, v2
	v_mov_b32_e32 v2, 0x400
	v_lshrrev_b32_e32 v4, 5, v4
	v_mov_b32_e32 v5, v3
	v_lshlrev_b32_e32 v10, 2, v9
	v_lshl_add_u32 v13, v1, 5, v2
	v_add_u32_e32 v2, s6, v9
	v_lshl_or_b32 v10, v4, 7, v10
	v_mad_i64_i32 v[4:5], s[18:19], s20, v2, v[4:5]
	s_mul_i32 s13, s13, s8
	s_mul_hi_u32 s21, s12, s8
	s_add_i32 s13, s21, s13
	s_mul_i32 s12, s12, s8
	s_lshl_b64 s[12:13], s[12:13], 2
	v_lshlrev_b64 v[4:5], 2, v[4:5]
	s_add_u32 s12, s16, s12
	v_add_co_u32_e32 v4, vcc, s12, v4
	s_mul_i32 s1, s1, s8
	s_mul_hi_u32 s12, s0, s8
	s_addc_u32 s13, s17, s13
	s_add_i32 s1, s12, s1
	s_mul_i32 s0, s0, s8
	s_lshl_b64 s[0:1], s[0:1], 2
	v_mov_b32_e32 v2, s13
	v_lshlrev_b64 v[6:7], 2, v[6:7]
	s_add_u32 s0, s14, s0
	v_addc_co_u32_e32 v5, vcc, v2, v5, vcc
	s_addc_u32 s1, s15, s1
	v_mov_b32_e32 v2, s1
	v_add_co_u32_e32 v6, vcc, s0, v6
	v_lshlrev_b32_e32 v12, 2, v0
	v_addc_co_u32_e32 v7, vcc, v2, v7, vcc
	v_mov_b32_e32 v2, v3
	v_mov_b32_e32 v8, v3
	;; [unrolled: 1-line block ×3, first 2 shown]
.LBB12_2:                               ; =>This Inner Loop Header: Depth=1
	global_load_dword v14, v[4:5], off
	s_add_i32 s9, s9, 8
	v_add_co_u32_e32 v4, vcc, 32, v4
	v_addc_co_u32_e32 v5, vcc, 0, v5, vcc
	s_cmp_ge_i32 s9, s11
	s_waitcnt vmcnt(0)
	ds_write_b32 v10, v14
	global_load_dword v14, v[6:7], off
	v_add_co_u32_e64 v6, s[0:1], 32, v6
	v_addc_co_u32_e64 v7, vcc, 0, v7, s[0:1]
	s_waitcnt vmcnt(0)
	ds_write_b32 v11, v14
	s_waitcnt lgkmcnt(0)
	s_barrier
	ds_read2_b32 v[18:19], v12 offset1:16
	ds_read_b128 v[14:17], v13
	ds_read2_b32 v[20:21], v12 offset0:32 offset1:48
	ds_read2_b32 v[22:23], v12 offset0:64 offset1:80
	;; [unrolled: 1-line block ×3, first 2 shown]
	s_waitcnt lgkmcnt(3)
	v_fmac_f32_e32 v9, v18, v14
	v_fmac_f32_e32 v8, v19, v14
	s_waitcnt lgkmcnt(2)
	v_fmac_f32_e32 v9, v20, v15
	v_fmac_f32_e32 v8, v21, v15
	;; [unrolled: 3-line block ×4, first 2 shown]
	ds_read_b128 v[14:17], v13 offset:512
	s_waitcnt lgkmcnt(0)
	v_fmac_f32_e32 v2, v18, v14
	v_fmac_f32_e32 v3, v19, v14
	;; [unrolled: 1-line block ×8, first 2 shown]
	ds_read2_b32 v[18:19], v12 offset0:128 offset1:144
	ds_read_b128 v[14:17], v13 offset:16
	ds_read2_b32 v[20:21], v12 offset0:160 offset1:176
	ds_read2_b32 v[22:23], v12 offset0:192 offset1:208
	ds_read2_b32 v[24:25], v12 offset0:224 offset1:240
	s_waitcnt lgkmcnt(3)
	v_fmac_f32_e32 v9, v18, v14
	v_fmac_f32_e32 v8, v19, v14
	s_waitcnt lgkmcnt(2)
	v_fmac_f32_e32 v9, v20, v15
	v_fmac_f32_e32 v8, v21, v15
	;; [unrolled: 3-line block ×4, first 2 shown]
	ds_read_b128 v[14:17], v13 offset:528
	s_waitcnt lgkmcnt(0)
	s_barrier
	v_fmac_f32_e32 v2, v18, v14
	v_fmac_f32_e32 v3, v19, v14
	;; [unrolled: 1-line block ×8, first 2 shown]
	s_cbranch_scc0 .LBB12_2
	s_branch .LBB12_4
.LBB12_3:
	v_mov_b32_e32 v9, 0
	v_mov_b32_e32 v8, 0
	v_mov_b32_e32 v2, 0
	v_mov_b32_e32 v3, 0
.LBB12_4:
	s_load_dwordx2 s[0:1], s[4:5], 0x48
	s_load_dword s9, s[4:5], 0x40
	v_add_u32_e32 v6, s7, v1
	v_add_u32_e32 v0, s6, v0
	v_cmp_gt_i32_e32 vcc, s10, v6
	s_waitcnt lgkmcnt(0)
	s_mul_i32 s1, s1, s8
	v_mad_i64_i32 v[4:5], s[12:13], v6, s9, 0
	s_mul_hi_u32 s4, s0, s8
	s_mul_i32 s0, s0, s8
	s_add_i32 s1, s4, s1
	s_lshl_b64 s[0:1], s[0:1], 2
	s_add_u32 s4, s2, s0
	v_lshlrev_b64 v[4:5], 2, v[4:5]
	s_addc_u32 s5, s3, s1
	v_mov_b32_e32 v1, s5
	v_add_co_u32_e64 v7, s[0:1], s4, v4
	v_addc_co_u32_e64 v10, s[0:1], v1, v5, s[0:1]
	v_cmp_le_i32_e64 s[0:1], v0, v6
	s_and_b64 s[0:1], vcc, s[0:1]
	s_and_saveexec_b64 s[2:3], s[0:1]
	s_cbranch_execz .LBB12_6
; %bb.5:
	v_ashrrev_i32_e32 v1, 31, v0
	v_lshlrev_b64 v[4:5], 2, v[0:1]
	v_add_co_u32_e64 v4, s[0:1], v7, v4
	v_addc_co_u32_e64 v5, s[0:1], v10, v5, s[0:1]
	global_load_dword v1, v[4:5], off
	s_waitcnt vmcnt(0)
	v_sub_f32_e32 v1, v9, v1
	global_store_dword v[4:5], v1, off
.LBB12_6:
	s_or_b64 exec, exec, s[2:3]
	v_add_u32_e32 v4, 16, v0
	v_cmp_le_i32_e64 s[0:1], v4, v6
	s_and_b64 s[2:3], vcc, s[0:1]
	s_and_saveexec_b64 s[0:1], s[2:3]
	s_cbranch_execz .LBB12_8
; %bb.7:
	v_ashrrev_i32_e32 v5, 31, v4
	v_lshlrev_b64 v[11:12], 2, v[4:5]
	v_add_co_u32_e32 v9, vcc, v7, v11
	v_addc_co_u32_e32 v10, vcc, v10, v12, vcc
	global_load_dword v1, v[9:10], off
	s_waitcnt vmcnt(0)
	v_sub_f32_e32 v1, v8, v1
	global_store_dword v[9:10], v1, off
.LBB12_8:
	s_or_b64 exec, exec, s[0:1]
	v_add_u32_e32 v5, 16, v6
	v_mad_i64_i32 v[6:7], s[0:1], v5, s9, 0
	v_mov_b32_e32 v1, s5
	v_cmp_gt_i32_e32 vcc, s10, v5
	v_lshlrev_b64 v[6:7], 2, v[6:7]
	v_add_co_u32_e64 v6, s[0:1], s4, v6
	v_addc_co_u32_e64 v7, s[0:1], v1, v7, s[0:1]
	v_cmp_le_i32_e64 s[0:1], v0, v5
	s_and_b64 s[0:1], vcc, s[0:1]
	s_and_saveexec_b64 s[2:3], s[0:1]
	s_cbranch_execz .LBB12_10
; %bb.9:
	v_ashrrev_i32_e32 v1, 31, v0
	v_lshlrev_b64 v[0:1], 2, v[0:1]
	v_add_co_u32_e64 v0, s[0:1], v6, v0
	v_addc_co_u32_e64 v1, s[0:1], v7, v1, s[0:1]
	global_load_dword v8, v[0:1], off
	s_waitcnt vmcnt(0)
	v_sub_f32_e32 v2, v2, v8
	global_store_dword v[0:1], v2, off
.LBB12_10:
	s_or_b64 exec, exec, s[2:3]
	v_cmp_le_i32_e64 s[0:1], v4, v5
	s_and_b64 s[0:1], vcc, s[0:1]
	s_and_saveexec_b64 s[2:3], s[0:1]
	s_cbranch_execz .LBB12_12
; %bb.11:
	v_ashrrev_i32_e32 v5, 31, v4
	v_lshlrev_b64 v[0:1], 2, v[4:5]
	v_add_co_u32_e32 v0, vcc, v6, v0
	v_addc_co_u32_e32 v1, vcc, v7, v1, vcc
	global_load_dword v2, v[0:1], off
	s_waitcnt vmcnt(0)
	v_sub_f32_e32 v2, v3, v2
	global_store_dword v[0:1], v2, off
.LBB12_12:
	s_endpgm
	.section	.rodata,"a",@progbits
	.p2align	6, 0x0
	.amdhsa_kernel _ZL37rocblas_syrkx_herkx_restricted_kernelIifLi16ELi32ELi8ELi1ELin1ELb0ELc67ELc85EKffEviT_PT9_S1_lS3_S1_lPT10_S1_li
		.amdhsa_group_segment_fixed_size 2048
		.amdhsa_private_segment_fixed_size 0
		.amdhsa_kernarg_size 84
		.amdhsa_user_sgpr_count 6
		.amdhsa_user_sgpr_private_segment_buffer 1
		.amdhsa_user_sgpr_dispatch_ptr 0
		.amdhsa_user_sgpr_queue_ptr 0
		.amdhsa_user_sgpr_kernarg_segment_ptr 1
		.amdhsa_user_sgpr_dispatch_id 0
		.amdhsa_user_sgpr_flat_scratch_init 0
		.amdhsa_user_sgpr_private_segment_size 0
		.amdhsa_uses_dynamic_stack 0
		.amdhsa_system_sgpr_private_segment_wavefront_offset 0
		.amdhsa_system_sgpr_workgroup_id_x 1
		.amdhsa_system_sgpr_workgroup_id_y 1
		.amdhsa_system_sgpr_workgroup_id_z 1
		.amdhsa_system_sgpr_workgroup_info 0
		.amdhsa_system_vgpr_workitem_id 1
		.amdhsa_next_free_vgpr 26
		.amdhsa_next_free_sgpr 22
		.amdhsa_reserve_vcc 1
		.amdhsa_reserve_flat_scratch 0
		.amdhsa_float_round_mode_32 0
		.amdhsa_float_round_mode_16_64 0
		.amdhsa_float_denorm_mode_32 3
		.amdhsa_float_denorm_mode_16_64 3
		.amdhsa_dx10_clamp 1
		.amdhsa_ieee_mode 1
		.amdhsa_fp16_overflow 0
		.amdhsa_exception_fp_ieee_invalid_op 0
		.amdhsa_exception_fp_denorm_src 0
		.amdhsa_exception_fp_ieee_div_zero 0
		.amdhsa_exception_fp_ieee_overflow 0
		.amdhsa_exception_fp_ieee_underflow 0
		.amdhsa_exception_fp_ieee_inexact 0
		.amdhsa_exception_int_div_zero 0
	.end_amdhsa_kernel
	.section	.text._ZL37rocblas_syrkx_herkx_restricted_kernelIifLi16ELi32ELi8ELi1ELin1ELb0ELc67ELc85EKffEviT_PT9_S1_lS3_S1_lPT10_S1_li,"axG",@progbits,_ZL37rocblas_syrkx_herkx_restricted_kernelIifLi16ELi32ELi8ELi1ELin1ELb0ELc67ELc85EKffEviT_PT9_S1_lS3_S1_lPT10_S1_li,comdat
.Lfunc_end12:
	.size	_ZL37rocblas_syrkx_herkx_restricted_kernelIifLi16ELi32ELi8ELi1ELin1ELb0ELc67ELc85EKffEviT_PT9_S1_lS3_S1_lPT10_S1_li, .Lfunc_end12-_ZL37rocblas_syrkx_herkx_restricted_kernelIifLi16ELi32ELi8ELi1ELin1ELb0ELc67ELc85EKffEviT_PT9_S1_lS3_S1_lPT10_S1_li
                                        ; -- End function
	.set _ZL37rocblas_syrkx_herkx_restricted_kernelIifLi16ELi32ELi8ELi1ELin1ELb0ELc67ELc85EKffEviT_PT9_S1_lS3_S1_lPT10_S1_li.num_vgpr, 26
	.set _ZL37rocblas_syrkx_herkx_restricted_kernelIifLi16ELi32ELi8ELi1ELin1ELb0ELc67ELc85EKffEviT_PT9_S1_lS3_S1_lPT10_S1_li.num_agpr, 0
	.set _ZL37rocblas_syrkx_herkx_restricted_kernelIifLi16ELi32ELi8ELi1ELin1ELb0ELc67ELc85EKffEviT_PT9_S1_lS3_S1_lPT10_S1_li.numbered_sgpr, 22
	.set _ZL37rocblas_syrkx_herkx_restricted_kernelIifLi16ELi32ELi8ELi1ELin1ELb0ELc67ELc85EKffEviT_PT9_S1_lS3_S1_lPT10_S1_li.num_named_barrier, 0
	.set _ZL37rocblas_syrkx_herkx_restricted_kernelIifLi16ELi32ELi8ELi1ELin1ELb0ELc67ELc85EKffEviT_PT9_S1_lS3_S1_lPT10_S1_li.private_seg_size, 0
	.set _ZL37rocblas_syrkx_herkx_restricted_kernelIifLi16ELi32ELi8ELi1ELin1ELb0ELc67ELc85EKffEviT_PT9_S1_lS3_S1_lPT10_S1_li.uses_vcc, 1
	.set _ZL37rocblas_syrkx_herkx_restricted_kernelIifLi16ELi32ELi8ELi1ELin1ELb0ELc67ELc85EKffEviT_PT9_S1_lS3_S1_lPT10_S1_li.uses_flat_scratch, 0
	.set _ZL37rocblas_syrkx_herkx_restricted_kernelIifLi16ELi32ELi8ELi1ELin1ELb0ELc67ELc85EKffEviT_PT9_S1_lS3_S1_lPT10_S1_li.has_dyn_sized_stack, 0
	.set _ZL37rocblas_syrkx_herkx_restricted_kernelIifLi16ELi32ELi8ELi1ELin1ELb0ELc67ELc85EKffEviT_PT9_S1_lS3_S1_lPT10_S1_li.has_recursion, 0
	.set _ZL37rocblas_syrkx_herkx_restricted_kernelIifLi16ELi32ELi8ELi1ELin1ELb0ELc67ELc85EKffEviT_PT9_S1_lS3_S1_lPT10_S1_li.has_indirect_call, 0
	.section	.AMDGPU.csdata,"",@progbits
; Kernel info:
; codeLenInByte = 1096
; TotalNumSgprs: 26
; NumVgprs: 26
; ScratchSize: 0
; MemoryBound: 0
; FloatMode: 240
; IeeeMode: 1
; LDSByteSize: 2048 bytes/workgroup (compile time only)
; SGPRBlocks: 3
; VGPRBlocks: 6
; NumSGPRsForWavesPerEU: 26
; NumVGPRsForWavesPerEU: 26
; Occupancy: 9
; WaveLimiterHint : 0
; COMPUTE_PGM_RSRC2:SCRATCH_EN: 0
; COMPUTE_PGM_RSRC2:USER_SGPR: 6
; COMPUTE_PGM_RSRC2:TRAP_HANDLER: 0
; COMPUTE_PGM_RSRC2:TGID_X_EN: 1
; COMPUTE_PGM_RSRC2:TGID_Y_EN: 1
; COMPUTE_PGM_RSRC2:TGID_Z_EN: 1
; COMPUTE_PGM_RSRC2:TIDIG_COMP_CNT: 1
	.section	.text._ZL37rocblas_syrkx_herkx_restricted_kernelIifLi16ELi32ELi8ELi1ELin1ELb0ELc78ELc85EKffEviT_PT9_S1_lS3_S1_lPT10_S1_li,"axG",@progbits,_ZL37rocblas_syrkx_herkx_restricted_kernelIifLi16ELi32ELi8ELi1ELin1ELb0ELc78ELc85EKffEviT_PT9_S1_lS3_S1_lPT10_S1_li,comdat
	.globl	_ZL37rocblas_syrkx_herkx_restricted_kernelIifLi16ELi32ELi8ELi1ELin1ELb0ELc78ELc85EKffEviT_PT9_S1_lS3_S1_lPT10_S1_li ; -- Begin function _ZL37rocblas_syrkx_herkx_restricted_kernelIifLi16ELi32ELi8ELi1ELin1ELb0ELc78ELc85EKffEviT_PT9_S1_lS3_S1_lPT10_S1_li
	.p2align	8
	.type	_ZL37rocblas_syrkx_herkx_restricted_kernelIifLi16ELi32ELi8ELi1ELin1ELb0ELc78ELc85EKffEviT_PT9_S1_lS3_S1_lPT10_S1_li,@function
_ZL37rocblas_syrkx_herkx_restricted_kernelIifLi16ELi32ELi8ELi1ELin1ELb0ELc78ELc85EKffEviT_PT9_S1_lS3_S1_lPT10_S1_li: ; @_ZL37rocblas_syrkx_herkx_restricted_kernelIifLi16ELi32ELi8ELi1ELin1ELb0ELc78ELc85EKffEviT_PT9_S1_lS3_S1_lPT10_S1_li
; %bb.0:
	s_load_dwordx2 s[10:11], s[4:5], 0x0
	s_load_dwordx4 s[0:3], s[4:5], 0x30
	s_lshl_b32 s9, s6, 5
	s_lshl_b32 s16, s7, 5
	s_mov_b32 s17, 0
	s_waitcnt lgkmcnt(0)
	s_cmp_lt_i32 s11, 1
	s_cbranch_scc1 .LBB13_3
; %bb.1:
	v_lshl_add_u32 v7, v1, 4, v0
	s_load_dword s6, s[4:5], 0x10
	s_load_dword s18, s[4:5], 0x28
	s_load_dwordx2 s[20:21], s[4:5], 0x8
	s_load_dwordx4 s[12:15], s[4:5], 0x18
	v_lshrrev_b32_e32 v8, 3, v7
	v_add_u32_e32 v2, s16, v8
	v_and_b32_e32 v6, 7, v0
	v_ashrrev_i32_e32 v3, 31, v2
	s_waitcnt lgkmcnt(0)
	v_mad_i64_i32 v[4:5], s[22:23], s18, v6, v[2:3]
	v_and_b32_e32 v2, 31, v7
	v_lshrrev_b32_e32 v9, 5, v7
	v_lshlrev_b32_e32 v3, 2, v2
	v_lshl_or_b32 v10, v9, 7, v3
	v_lshlrev_b32_e32 v3, 2, v6
	v_lshl_or_b32 v3, v8, 5, v3
	v_add_u32_e32 v11, 0x400, v3
	v_mov_b32_e32 v3, 0x400
	v_add_u32_e32 v2, s9, v2
	v_lshl_add_u32 v13, v1, 5, v3
	v_ashrrev_i32_e32 v3, 31, v2
	v_mad_i64_i32 v[2:3], s[22:23], s6, v9, v[2:3]
	s_mul_i32 s13, s13, s8
	s_mul_hi_u32 s24, s12, s8
	s_add_i32 s13, s24, s13
	s_mul_i32 s12, s12, s8
	s_ashr_i32 s7, s6, 31
	s_ashr_i32 s19, s18, 31
	s_lshl_b64 s[12:13], s[12:13], 2
	v_lshlrev_b64 v[2:3], 2, v[2:3]
	s_add_u32 s12, s20, s12
	v_add_co_u32_e32 v2, vcc, s12, v2
	s_mul_i32 s1, s1, s8
	s_mul_hi_u32 s12, s0, s8
	s_addc_u32 s13, s21, s13
	s_add_i32 s1, s12, s1
	s_mul_i32 s0, s0, s8
	s_lshl_b64 s[6:7], s[6:7], 5
	s_lshl_b64 s[0:1], s[0:1], 2
	v_mov_b32_e32 v6, s13
	v_lshlrev_b64 v[4:5], 2, v[4:5]
	s_add_u32 s0, s14, s0
	v_addc_co_u32_e32 v3, vcc, v6, v3, vcc
	s_addc_u32 s1, s15, s1
	v_mov_b32_e32 v6, s1
	v_add_co_u32_e32 v4, vcc, s0, v4
	s_lshl_b64 s[12:13], s[18:19], 5
	v_lshlrev_b32_e32 v12, 2, v0
	v_addc_co_u32_e32 v5, vcc, v6, v5, vcc
	v_mov_b32_e32 v6, 0
	v_mov_b32_e32 v14, s7
	;; [unrolled: 1-line block ×6, first 2 shown]
.LBB13_2:                               ; =>This Inner Loop Header: Depth=1
	global_load_dword v16, v[2:3], off
	global_load_dword v17, v[4:5], off
	s_add_i32 s17, s17, 8
	v_add_co_u32_e32 v2, vcc, s6, v2
	v_add_co_u32_e64 v4, s[0:1], s12, v4
	v_addc_co_u32_e32 v3, vcc, v3, v14, vcc
	v_addc_co_u32_e64 v5, vcc, v5, v15, s[0:1]
	s_cmp_ge_i32 s17, s11
	s_waitcnt vmcnt(1)
	ds_write_b32 v10, v16
	s_waitcnt vmcnt(0)
	ds_write_b32 v11, v17
	s_waitcnt lgkmcnt(0)
	s_barrier
	ds_read2_b32 v[20:21], v12 offset1:16
	ds_read_b128 v[16:19], v13
	ds_read2_b32 v[22:23], v12 offset0:32 offset1:48
	ds_read2_b32 v[24:25], v12 offset0:64 offset1:80
	;; [unrolled: 1-line block ×3, first 2 shown]
	s_waitcnt lgkmcnt(3)
	v_fmac_f32_e32 v9, v20, v16
	v_fmac_f32_e32 v8, v21, v16
	s_waitcnt lgkmcnt(2)
	v_fmac_f32_e32 v9, v22, v17
	v_fmac_f32_e32 v8, v23, v17
	;; [unrolled: 3-line block ×4, first 2 shown]
	ds_read_b128 v[16:19], v13 offset:512
	s_waitcnt lgkmcnt(0)
	v_fmac_f32_e32 v7, v20, v16
	v_fmac_f32_e32 v6, v21, v16
	;; [unrolled: 1-line block ×8, first 2 shown]
	ds_read2_b32 v[20:21], v12 offset0:128 offset1:144
	ds_read_b128 v[16:19], v13 offset:16
	ds_read2_b32 v[22:23], v12 offset0:160 offset1:176
	ds_read2_b32 v[24:25], v12 offset0:192 offset1:208
	;; [unrolled: 1-line block ×3, first 2 shown]
	s_waitcnt lgkmcnt(3)
	v_fmac_f32_e32 v9, v20, v16
	v_fmac_f32_e32 v8, v21, v16
	s_waitcnt lgkmcnt(2)
	v_fmac_f32_e32 v9, v22, v17
	v_fmac_f32_e32 v8, v23, v17
	;; [unrolled: 3-line block ×4, first 2 shown]
	ds_read_b128 v[16:19], v13 offset:528
	s_waitcnt lgkmcnt(0)
	s_barrier
	v_fmac_f32_e32 v7, v20, v16
	v_fmac_f32_e32 v6, v21, v16
	;; [unrolled: 1-line block ×8, first 2 shown]
	s_cbranch_scc0 .LBB13_2
	s_branch .LBB13_4
.LBB13_3:
	v_mov_b32_e32 v9, 0
	v_mov_b32_e32 v8, 0
	v_mov_b32_e32 v7, 0
	v_mov_b32_e32 v6, 0
.LBB13_4:
	s_load_dwordx2 s[0:1], s[4:5], 0x48
	s_load_dword s6, s[4:5], 0x40
	v_add_u32_e32 v4, s16, v1
	v_add_u32_e32 v0, s9, v0
	v_cmp_gt_i32_e32 vcc, s10, v4
	s_waitcnt lgkmcnt(0)
	s_mul_i32 s1, s1, s8
	v_mad_i64_i32 v[1:2], s[12:13], v4, s6, 0
	s_mul_hi_u32 s4, s0, s8
	s_mul_i32 s0, s0, s8
	s_add_i32 s1, s4, s1
	s_lshl_b64 s[0:1], s[0:1], 2
	s_add_u32 s4, s2, s0
	v_lshlrev_b64 v[1:2], 2, v[1:2]
	s_addc_u32 s5, s3, s1
	v_mov_b32_e32 v3, s5
	v_add_co_u32_e64 v5, s[0:1], s4, v1
	v_addc_co_u32_e64 v10, s[0:1], v3, v2, s[0:1]
	v_cmp_le_i32_e64 s[0:1], v0, v4
	s_and_b64 s[0:1], vcc, s[0:1]
	s_and_saveexec_b64 s[2:3], s[0:1]
	s_cbranch_execz .LBB13_6
; %bb.5:
	v_ashrrev_i32_e32 v1, 31, v0
	v_lshlrev_b64 v[1:2], 2, v[0:1]
	v_add_co_u32_e64 v1, s[0:1], v5, v1
	v_addc_co_u32_e64 v2, s[0:1], v10, v2, s[0:1]
	global_load_dword v3, v[1:2], off
	s_waitcnt vmcnt(0)
	v_sub_f32_e32 v3, v9, v3
	global_store_dword v[1:2], v3, off
.LBB13_6:
	s_or_b64 exec, exec, s[2:3]
	v_add_u32_e32 v2, 16, v0
	v_cmp_le_i32_e64 s[0:1], v2, v4
	s_and_b64 s[2:3], vcc, s[0:1]
	s_and_saveexec_b64 s[0:1], s[2:3]
	s_cbranch_execz .LBB13_8
; %bb.7:
	v_ashrrev_i32_e32 v3, 31, v2
	v_lshlrev_b64 v[11:12], 2, v[2:3]
	v_add_co_u32_e32 v9, vcc, v5, v11
	v_addc_co_u32_e32 v10, vcc, v10, v12, vcc
	global_load_dword v1, v[9:10], off
	s_waitcnt vmcnt(0)
	v_sub_f32_e32 v1, v8, v1
	global_store_dword v[9:10], v1, off
.LBB13_8:
	s_or_b64 exec, exec, s[0:1]
	v_add_u32_e32 v3, 16, v4
	v_mad_i64_i32 v[4:5], s[0:1], v3, s6, 0
	v_mov_b32_e32 v1, s5
	v_cmp_gt_i32_e32 vcc, s10, v3
	v_lshlrev_b64 v[4:5], 2, v[4:5]
	v_add_co_u32_e64 v4, s[0:1], s4, v4
	v_addc_co_u32_e64 v5, s[0:1], v1, v5, s[0:1]
	v_cmp_le_i32_e64 s[0:1], v0, v3
	s_and_b64 s[0:1], vcc, s[0:1]
	s_and_saveexec_b64 s[2:3], s[0:1]
	s_cbranch_execz .LBB13_10
; %bb.9:
	v_ashrrev_i32_e32 v1, 31, v0
	v_lshlrev_b64 v[0:1], 2, v[0:1]
	v_add_co_u32_e64 v0, s[0:1], v4, v0
	v_addc_co_u32_e64 v1, s[0:1], v5, v1, s[0:1]
	global_load_dword v8, v[0:1], off
	s_waitcnt vmcnt(0)
	v_sub_f32_e32 v7, v7, v8
	global_store_dword v[0:1], v7, off
.LBB13_10:
	s_or_b64 exec, exec, s[2:3]
	v_cmp_le_i32_e64 s[0:1], v2, v3
	s_and_b64 s[0:1], vcc, s[0:1]
	s_and_saveexec_b64 s[2:3], s[0:1]
	s_cbranch_execz .LBB13_12
; %bb.11:
	v_ashrrev_i32_e32 v3, 31, v2
	v_lshlrev_b64 v[0:1], 2, v[2:3]
	v_add_co_u32_e32 v0, vcc, v4, v0
	v_addc_co_u32_e32 v1, vcc, v5, v1, vcc
	global_load_dword v2, v[0:1], off
	s_waitcnt vmcnt(0)
	v_sub_f32_e32 v2, v6, v2
	global_store_dword v[0:1], v2, off
.LBB13_12:
	s_endpgm
	.section	.rodata,"a",@progbits
	.p2align	6, 0x0
	.amdhsa_kernel _ZL37rocblas_syrkx_herkx_restricted_kernelIifLi16ELi32ELi8ELi1ELin1ELb0ELc78ELc85EKffEviT_PT9_S1_lS3_S1_lPT10_S1_li
		.amdhsa_group_segment_fixed_size 2048
		.amdhsa_private_segment_fixed_size 0
		.amdhsa_kernarg_size 84
		.amdhsa_user_sgpr_count 6
		.amdhsa_user_sgpr_private_segment_buffer 1
		.amdhsa_user_sgpr_dispatch_ptr 0
		.amdhsa_user_sgpr_queue_ptr 0
		.amdhsa_user_sgpr_kernarg_segment_ptr 1
		.amdhsa_user_sgpr_dispatch_id 0
		.amdhsa_user_sgpr_flat_scratch_init 0
		.amdhsa_user_sgpr_private_segment_size 0
		.amdhsa_uses_dynamic_stack 0
		.amdhsa_system_sgpr_private_segment_wavefront_offset 0
		.amdhsa_system_sgpr_workgroup_id_x 1
		.amdhsa_system_sgpr_workgroup_id_y 1
		.amdhsa_system_sgpr_workgroup_id_z 1
		.amdhsa_system_sgpr_workgroup_info 0
		.amdhsa_system_vgpr_workitem_id 1
		.amdhsa_next_free_vgpr 28
		.amdhsa_next_free_sgpr 25
		.amdhsa_reserve_vcc 1
		.amdhsa_reserve_flat_scratch 0
		.amdhsa_float_round_mode_32 0
		.amdhsa_float_round_mode_16_64 0
		.amdhsa_float_denorm_mode_32 3
		.amdhsa_float_denorm_mode_16_64 3
		.amdhsa_dx10_clamp 1
		.amdhsa_ieee_mode 1
		.amdhsa_fp16_overflow 0
		.amdhsa_exception_fp_ieee_invalid_op 0
		.amdhsa_exception_fp_denorm_src 0
		.amdhsa_exception_fp_ieee_div_zero 0
		.amdhsa_exception_fp_ieee_overflow 0
		.amdhsa_exception_fp_ieee_underflow 0
		.amdhsa_exception_fp_ieee_inexact 0
		.amdhsa_exception_int_div_zero 0
	.end_amdhsa_kernel
	.section	.text._ZL37rocblas_syrkx_herkx_restricted_kernelIifLi16ELi32ELi8ELi1ELin1ELb0ELc78ELc85EKffEviT_PT9_S1_lS3_S1_lPT10_S1_li,"axG",@progbits,_ZL37rocblas_syrkx_herkx_restricted_kernelIifLi16ELi32ELi8ELi1ELin1ELb0ELc78ELc85EKffEviT_PT9_S1_lS3_S1_lPT10_S1_li,comdat
.Lfunc_end13:
	.size	_ZL37rocblas_syrkx_herkx_restricted_kernelIifLi16ELi32ELi8ELi1ELin1ELb0ELc78ELc85EKffEviT_PT9_S1_lS3_S1_lPT10_S1_li, .Lfunc_end13-_ZL37rocblas_syrkx_herkx_restricted_kernelIifLi16ELi32ELi8ELi1ELin1ELb0ELc78ELc85EKffEviT_PT9_S1_lS3_S1_lPT10_S1_li
                                        ; -- End function
	.set _ZL37rocblas_syrkx_herkx_restricted_kernelIifLi16ELi32ELi8ELi1ELin1ELb0ELc78ELc85EKffEviT_PT9_S1_lS3_S1_lPT10_S1_li.num_vgpr, 28
	.set _ZL37rocblas_syrkx_herkx_restricted_kernelIifLi16ELi32ELi8ELi1ELin1ELb0ELc78ELc85EKffEviT_PT9_S1_lS3_S1_lPT10_S1_li.num_agpr, 0
	.set _ZL37rocblas_syrkx_herkx_restricted_kernelIifLi16ELi32ELi8ELi1ELin1ELb0ELc78ELc85EKffEviT_PT9_S1_lS3_S1_lPT10_S1_li.numbered_sgpr, 25
	.set _ZL37rocblas_syrkx_herkx_restricted_kernelIifLi16ELi32ELi8ELi1ELin1ELb0ELc78ELc85EKffEviT_PT9_S1_lS3_S1_lPT10_S1_li.num_named_barrier, 0
	.set _ZL37rocblas_syrkx_herkx_restricted_kernelIifLi16ELi32ELi8ELi1ELin1ELb0ELc78ELc85EKffEviT_PT9_S1_lS3_S1_lPT10_S1_li.private_seg_size, 0
	.set _ZL37rocblas_syrkx_herkx_restricted_kernelIifLi16ELi32ELi8ELi1ELin1ELb0ELc78ELc85EKffEviT_PT9_S1_lS3_S1_lPT10_S1_li.uses_vcc, 1
	.set _ZL37rocblas_syrkx_herkx_restricted_kernelIifLi16ELi32ELi8ELi1ELin1ELb0ELc78ELc85EKffEviT_PT9_S1_lS3_S1_lPT10_S1_li.uses_flat_scratch, 0
	.set _ZL37rocblas_syrkx_herkx_restricted_kernelIifLi16ELi32ELi8ELi1ELin1ELb0ELc78ELc85EKffEviT_PT9_S1_lS3_S1_lPT10_S1_li.has_dyn_sized_stack, 0
	.set _ZL37rocblas_syrkx_herkx_restricted_kernelIifLi16ELi32ELi8ELi1ELin1ELb0ELc78ELc85EKffEviT_PT9_S1_lS3_S1_lPT10_S1_li.has_recursion, 0
	.set _ZL37rocblas_syrkx_herkx_restricted_kernelIifLi16ELi32ELi8ELi1ELin1ELb0ELc78ELc85EKffEviT_PT9_S1_lS3_S1_lPT10_S1_li.has_indirect_call, 0
	.section	.AMDGPU.csdata,"",@progbits
; Kernel info:
; codeLenInByte = 1124
; TotalNumSgprs: 29
; NumVgprs: 28
; ScratchSize: 0
; MemoryBound: 0
; FloatMode: 240
; IeeeMode: 1
; LDSByteSize: 2048 bytes/workgroup (compile time only)
; SGPRBlocks: 3
; VGPRBlocks: 6
; NumSGPRsForWavesPerEU: 29
; NumVGPRsForWavesPerEU: 28
; Occupancy: 9
; WaveLimiterHint : 0
; COMPUTE_PGM_RSRC2:SCRATCH_EN: 0
; COMPUTE_PGM_RSRC2:USER_SGPR: 6
; COMPUTE_PGM_RSRC2:TRAP_HANDLER: 0
; COMPUTE_PGM_RSRC2:TGID_X_EN: 1
; COMPUTE_PGM_RSRC2:TGID_Y_EN: 1
; COMPUTE_PGM_RSRC2:TGID_Z_EN: 1
; COMPUTE_PGM_RSRC2:TIDIG_COMP_CNT: 1
	.section	.text._ZL37rocblas_syrkx_herkx_restricted_kernelIifLi16ELi32ELi8ELi1ELi0ELb0ELc84ELc76EKffEviT_PT9_S1_lS3_S1_lPT10_S1_li,"axG",@progbits,_ZL37rocblas_syrkx_herkx_restricted_kernelIifLi16ELi32ELi8ELi1ELi0ELb0ELc84ELc76EKffEviT_PT9_S1_lS3_S1_lPT10_S1_li,comdat
	.globl	_ZL37rocblas_syrkx_herkx_restricted_kernelIifLi16ELi32ELi8ELi1ELi0ELb0ELc84ELc76EKffEviT_PT9_S1_lS3_S1_lPT10_S1_li ; -- Begin function _ZL37rocblas_syrkx_herkx_restricted_kernelIifLi16ELi32ELi8ELi1ELi0ELb0ELc84ELc76EKffEviT_PT9_S1_lS3_S1_lPT10_S1_li
	.p2align	8
	.type	_ZL37rocblas_syrkx_herkx_restricted_kernelIifLi16ELi32ELi8ELi1ELi0ELb0ELc84ELc76EKffEviT_PT9_S1_lS3_S1_lPT10_S1_li,@function
_ZL37rocblas_syrkx_herkx_restricted_kernelIifLi16ELi32ELi8ELi1ELi0ELb0ELc84ELc76EKffEviT_PT9_S1_lS3_S1_lPT10_S1_li: ; @_ZL37rocblas_syrkx_herkx_restricted_kernelIifLi16ELi32ELi8ELi1ELi0ELb0ELc84ELc76EKffEviT_PT9_S1_lS3_S1_lPT10_S1_li
; %bb.0:
	s_load_dwordx2 s[10:11], s[4:5], 0x0
	s_load_dwordx4 s[0:3], s[4:5], 0x30
	s_lshl_b32 s6, s6, 5
	s_lshl_b32 s7, s7, 5
	s_mov_b32 s9, 0
	s_waitcnt lgkmcnt(0)
	s_cmp_lt_i32 s11, 1
	s_cbranch_scc1 .LBB14_3
; %bb.1:
	s_load_dwordx2 s[16:17], s[4:5], 0x8
	s_load_dword s20, s[4:5], 0x10
	s_load_dwordx4 s[12:15], s[4:5], 0x18
	s_load_dword s18, s[4:5], 0x28
	v_lshl_add_u32 v4, v1, 4, v0
	v_lshrrev_b32_e32 v8, 3, v4
	v_add_u32_e32 v5, s7, v8
	v_and_b32_e32 v2, 7, v0
	v_mov_b32_e32 v3, 0
	s_waitcnt lgkmcnt(0)
	v_mad_i64_i32 v[6:7], s[18:19], s18, v5, v[2:3]
	v_lshlrev_b32_e32 v2, 2, v2
	v_lshl_or_b32 v2, v8, 5, v2
	v_and_b32_e32 v9, 31, v4
	v_add_u32_e32 v11, 0x400, v2
	v_mov_b32_e32 v2, 0x400
	v_lshrrev_b32_e32 v4, 5, v4
	v_mov_b32_e32 v5, v3
	v_lshlrev_b32_e32 v10, 2, v9
	v_lshl_add_u32 v13, v1, 5, v2
	v_add_u32_e32 v2, s6, v9
	v_lshl_or_b32 v10, v4, 7, v10
	v_mad_i64_i32 v[4:5], s[18:19], s20, v2, v[4:5]
	s_mul_i32 s13, s13, s8
	s_mul_hi_u32 s21, s12, s8
	s_add_i32 s13, s21, s13
	s_mul_i32 s12, s12, s8
	s_lshl_b64 s[12:13], s[12:13], 2
	v_lshlrev_b64 v[4:5], 2, v[4:5]
	s_add_u32 s12, s16, s12
	v_add_co_u32_e32 v4, vcc, s12, v4
	s_mul_i32 s1, s1, s8
	s_mul_hi_u32 s12, s0, s8
	s_addc_u32 s13, s17, s13
	s_add_i32 s1, s12, s1
	s_mul_i32 s0, s0, s8
	s_lshl_b64 s[0:1], s[0:1], 2
	v_mov_b32_e32 v2, s13
	v_lshlrev_b64 v[6:7], 2, v[6:7]
	s_add_u32 s0, s14, s0
	v_addc_co_u32_e32 v5, vcc, v2, v5, vcc
	s_addc_u32 s1, s15, s1
	v_mov_b32_e32 v2, s1
	v_add_co_u32_e32 v6, vcc, s0, v6
	v_lshlrev_b32_e32 v12, 2, v0
	v_addc_co_u32_e32 v7, vcc, v2, v7, vcc
	v_mov_b32_e32 v2, v3
	v_mov_b32_e32 v8, v3
	;; [unrolled: 1-line block ×3, first 2 shown]
.LBB14_2:                               ; =>This Inner Loop Header: Depth=1
	global_load_dword v14, v[4:5], off
	s_add_i32 s9, s9, 8
	v_add_co_u32_e32 v4, vcc, 32, v4
	v_addc_co_u32_e32 v5, vcc, 0, v5, vcc
	s_cmp_ge_i32 s9, s11
	s_waitcnt vmcnt(0)
	ds_write_b32 v10, v14
	global_load_dword v14, v[6:7], off
	v_add_co_u32_e64 v6, s[0:1], 32, v6
	v_addc_co_u32_e64 v7, vcc, 0, v7, s[0:1]
	s_waitcnt vmcnt(0)
	ds_write_b32 v11, v14
	s_waitcnt lgkmcnt(0)
	s_barrier
	ds_read2_b32 v[18:19], v12 offset1:16
	ds_read_b128 v[14:17], v13
	ds_read2_b32 v[20:21], v12 offset0:32 offset1:48
	ds_read2_b32 v[22:23], v12 offset0:64 offset1:80
	;; [unrolled: 1-line block ×3, first 2 shown]
	s_waitcnt lgkmcnt(3)
	v_fmac_f32_e32 v9, v18, v14
	v_fmac_f32_e32 v8, v19, v14
	s_waitcnt lgkmcnt(2)
	v_fmac_f32_e32 v9, v20, v15
	v_fmac_f32_e32 v8, v21, v15
	;; [unrolled: 3-line block ×4, first 2 shown]
	ds_read_b128 v[14:17], v13 offset:512
	s_waitcnt lgkmcnt(0)
	v_fmac_f32_e32 v2, v18, v14
	v_fmac_f32_e32 v3, v19, v14
	;; [unrolled: 1-line block ×8, first 2 shown]
	ds_read2_b32 v[18:19], v12 offset0:128 offset1:144
	ds_read_b128 v[14:17], v13 offset:16
	ds_read2_b32 v[20:21], v12 offset0:160 offset1:176
	ds_read2_b32 v[22:23], v12 offset0:192 offset1:208
	;; [unrolled: 1-line block ×3, first 2 shown]
	s_waitcnt lgkmcnt(3)
	v_fmac_f32_e32 v9, v18, v14
	v_fmac_f32_e32 v8, v19, v14
	s_waitcnt lgkmcnt(2)
	v_fmac_f32_e32 v9, v20, v15
	v_fmac_f32_e32 v8, v21, v15
	;; [unrolled: 3-line block ×4, first 2 shown]
	ds_read_b128 v[14:17], v13 offset:528
	s_waitcnt lgkmcnt(0)
	s_barrier
	v_fmac_f32_e32 v2, v18, v14
	v_fmac_f32_e32 v3, v19, v14
	;; [unrolled: 1-line block ×8, first 2 shown]
	s_cbranch_scc0 .LBB14_2
	s_branch .LBB14_4
.LBB14_3:
	v_mov_b32_e32 v9, 0
	v_mov_b32_e32 v8, 0
	;; [unrolled: 1-line block ×4, first 2 shown]
.LBB14_4:
	s_load_dwordx2 s[0:1], s[4:5], 0x48
	s_load_dword s9, s[4:5], 0x40
	v_add_u32_e32 v6, s7, v1
	v_add_u32_e32 v0, s6, v0
	s_waitcnt lgkmcnt(0)
	s_mul_i32 s1, s1, s8
	s_mul_hi_u32 s4, s0, s8
	s_add_i32 s1, s4, s1
	v_mad_i64_i32 v[4:5], s[4:5], v6, s9, 0
	s_mul_i32 s0, s0, s8
	s_lshl_b64 s[0:1], s[0:1], 2
	s_add_u32 s7, s2, s0
	v_lshlrev_b64 v[4:5], 2, v[4:5]
	s_addc_u32 s8, s3, s1
	v_mov_b32_e32 v1, s8
	v_add_co_u32_e32 v7, vcc, s7, v4
	v_addc_co_u32_e32 v10, vcc, v1, v5, vcc
	v_cmp_le_i32_e64 s[0:1], v6, v0
	v_cmp_gt_i32_e32 vcc, s10, v0
	s_and_b64 s[0:1], s[0:1], vcc
	s_and_saveexec_b64 s[2:3], s[0:1]
	s_cbranch_execz .LBB14_6
; %bb.5:
	v_ashrrev_i32_e32 v1, 31, v0
	v_lshlrev_b64 v[4:5], 2, v[0:1]
	v_add_co_u32_e64 v4, s[0:1], v7, v4
	v_addc_co_u32_e64 v5, s[0:1], v10, v5, s[0:1]
	global_store_dword v[4:5], v9, off
.LBB14_6:
	s_or_b64 exec, exec, s[2:3]
	v_add_u32_e32 v4, 16, v0
	v_cmp_le_i32_e64 s[2:3], v6, v4
	v_cmp_gt_i32_e64 s[0:1], s10, v4
	s_and_b64 s[2:3], s[2:3], s[0:1]
	s_and_saveexec_b64 s[4:5], s[2:3]
	s_cbranch_execz .LBB14_8
; %bb.7:
	v_ashrrev_i32_e32 v5, 31, v4
	v_lshlrev_b64 v[11:12], 2, v[4:5]
	v_add_co_u32_e64 v9, s[2:3], v7, v11
	v_addc_co_u32_e64 v10, s[2:3], v10, v12, s[2:3]
	global_store_dword v[9:10], v8, off
.LBB14_8:
	s_or_b64 exec, exec, s[4:5]
	v_add_u32_e32 v5, 16, v6
	v_mad_i64_i32 v[6:7], s[2:3], v5, s9, 0
	v_mov_b32_e32 v1, s8
	v_lshlrev_b64 v[6:7], 2, v[6:7]
	v_add_co_u32_e64 v6, s[2:3], s7, v6
	v_addc_co_u32_e64 v7, s[2:3], v1, v7, s[2:3]
	v_cmp_le_i32_e64 s[2:3], v5, v0
	s_and_b64 s[4:5], s[2:3], vcc
	s_and_saveexec_b64 s[2:3], s[4:5]
	s_cbranch_execz .LBB14_10
; %bb.9:
	v_ashrrev_i32_e32 v1, 31, v0
	v_lshlrev_b64 v[0:1], 2, v[0:1]
	v_add_co_u32_e32 v0, vcc, v6, v0
	v_addc_co_u32_e32 v1, vcc, v7, v1, vcc
	global_store_dword v[0:1], v2, off
.LBB14_10:
	s_or_b64 exec, exec, s[2:3]
	v_cmp_le_i32_e32 vcc, v5, v4
	s_and_b64 s[0:1], vcc, s[0:1]
	s_and_saveexec_b64 s[2:3], s[0:1]
	s_cbranch_execz .LBB14_12
; %bb.11:
	v_ashrrev_i32_e32 v5, 31, v4
	v_lshlrev_b64 v[0:1], 2, v[4:5]
	v_add_co_u32_e32 v0, vcc, v6, v0
	v_addc_co_u32_e32 v1, vcc, v7, v1, vcc
	global_store_dword v[0:1], v3, off
.LBB14_12:
	s_endpgm
	.section	.rodata,"a",@progbits
	.p2align	6, 0x0
	.amdhsa_kernel _ZL37rocblas_syrkx_herkx_restricted_kernelIifLi16ELi32ELi8ELi1ELi0ELb0ELc84ELc76EKffEviT_PT9_S1_lS3_S1_lPT10_S1_li
		.amdhsa_group_segment_fixed_size 2048
		.amdhsa_private_segment_fixed_size 0
		.amdhsa_kernarg_size 84
		.amdhsa_user_sgpr_count 6
		.amdhsa_user_sgpr_private_segment_buffer 1
		.amdhsa_user_sgpr_dispatch_ptr 0
		.amdhsa_user_sgpr_queue_ptr 0
		.amdhsa_user_sgpr_kernarg_segment_ptr 1
		.amdhsa_user_sgpr_dispatch_id 0
		.amdhsa_user_sgpr_flat_scratch_init 0
		.amdhsa_user_sgpr_private_segment_size 0
		.amdhsa_uses_dynamic_stack 0
		.amdhsa_system_sgpr_private_segment_wavefront_offset 0
		.amdhsa_system_sgpr_workgroup_id_x 1
		.amdhsa_system_sgpr_workgroup_id_y 1
		.amdhsa_system_sgpr_workgroup_id_z 1
		.amdhsa_system_sgpr_workgroup_info 0
		.amdhsa_system_vgpr_workitem_id 1
		.amdhsa_next_free_vgpr 26
		.amdhsa_next_free_sgpr 22
		.amdhsa_reserve_vcc 1
		.amdhsa_reserve_flat_scratch 0
		.amdhsa_float_round_mode_32 0
		.amdhsa_float_round_mode_16_64 0
		.amdhsa_float_denorm_mode_32 3
		.amdhsa_float_denorm_mode_16_64 3
		.amdhsa_dx10_clamp 1
		.amdhsa_ieee_mode 1
		.amdhsa_fp16_overflow 0
		.amdhsa_exception_fp_ieee_invalid_op 0
		.amdhsa_exception_fp_denorm_src 0
		.amdhsa_exception_fp_ieee_div_zero 0
		.amdhsa_exception_fp_ieee_overflow 0
		.amdhsa_exception_fp_ieee_underflow 0
		.amdhsa_exception_fp_ieee_inexact 0
		.amdhsa_exception_int_div_zero 0
	.end_amdhsa_kernel
	.section	.text._ZL37rocblas_syrkx_herkx_restricted_kernelIifLi16ELi32ELi8ELi1ELi0ELb0ELc84ELc76EKffEviT_PT9_S1_lS3_S1_lPT10_S1_li,"axG",@progbits,_ZL37rocblas_syrkx_herkx_restricted_kernelIifLi16ELi32ELi8ELi1ELi0ELb0ELc84ELc76EKffEviT_PT9_S1_lS3_S1_lPT10_S1_li,comdat
.Lfunc_end14:
	.size	_ZL37rocblas_syrkx_herkx_restricted_kernelIifLi16ELi32ELi8ELi1ELi0ELb0ELc84ELc76EKffEviT_PT9_S1_lS3_S1_lPT10_S1_li, .Lfunc_end14-_ZL37rocblas_syrkx_herkx_restricted_kernelIifLi16ELi32ELi8ELi1ELi0ELb0ELc84ELc76EKffEviT_PT9_S1_lS3_S1_lPT10_S1_li
                                        ; -- End function
	.set _ZL37rocblas_syrkx_herkx_restricted_kernelIifLi16ELi32ELi8ELi1ELi0ELb0ELc84ELc76EKffEviT_PT9_S1_lS3_S1_lPT10_S1_li.num_vgpr, 26
	.set _ZL37rocblas_syrkx_herkx_restricted_kernelIifLi16ELi32ELi8ELi1ELi0ELb0ELc84ELc76EKffEviT_PT9_S1_lS3_S1_lPT10_S1_li.num_agpr, 0
	.set _ZL37rocblas_syrkx_herkx_restricted_kernelIifLi16ELi32ELi8ELi1ELi0ELb0ELc84ELc76EKffEviT_PT9_S1_lS3_S1_lPT10_S1_li.numbered_sgpr, 22
	.set _ZL37rocblas_syrkx_herkx_restricted_kernelIifLi16ELi32ELi8ELi1ELi0ELb0ELc84ELc76EKffEviT_PT9_S1_lS3_S1_lPT10_S1_li.num_named_barrier, 0
	.set _ZL37rocblas_syrkx_herkx_restricted_kernelIifLi16ELi32ELi8ELi1ELi0ELb0ELc84ELc76EKffEviT_PT9_S1_lS3_S1_lPT10_S1_li.private_seg_size, 0
	.set _ZL37rocblas_syrkx_herkx_restricted_kernelIifLi16ELi32ELi8ELi1ELi0ELb0ELc84ELc76EKffEviT_PT9_S1_lS3_S1_lPT10_S1_li.uses_vcc, 1
	.set _ZL37rocblas_syrkx_herkx_restricted_kernelIifLi16ELi32ELi8ELi1ELi0ELb0ELc84ELc76EKffEviT_PT9_S1_lS3_S1_lPT10_S1_li.uses_flat_scratch, 0
	.set _ZL37rocblas_syrkx_herkx_restricted_kernelIifLi16ELi32ELi8ELi1ELi0ELb0ELc84ELc76EKffEviT_PT9_S1_lS3_S1_lPT10_S1_li.has_dyn_sized_stack, 0
	.set _ZL37rocblas_syrkx_herkx_restricted_kernelIifLi16ELi32ELi8ELi1ELi0ELb0ELc84ELc76EKffEviT_PT9_S1_lS3_S1_lPT10_S1_li.has_recursion, 0
	.set _ZL37rocblas_syrkx_herkx_restricted_kernelIifLi16ELi32ELi8ELi1ELi0ELb0ELc84ELc76EKffEviT_PT9_S1_lS3_S1_lPT10_S1_li.has_indirect_call, 0
	.section	.AMDGPU.csdata,"",@progbits
; Kernel info:
; codeLenInByte = 1024
; TotalNumSgprs: 26
; NumVgprs: 26
; ScratchSize: 0
; MemoryBound: 0
; FloatMode: 240
; IeeeMode: 1
; LDSByteSize: 2048 bytes/workgroup (compile time only)
; SGPRBlocks: 3
; VGPRBlocks: 6
; NumSGPRsForWavesPerEU: 26
; NumVGPRsForWavesPerEU: 26
; Occupancy: 9
; WaveLimiterHint : 0
; COMPUTE_PGM_RSRC2:SCRATCH_EN: 0
; COMPUTE_PGM_RSRC2:USER_SGPR: 6
; COMPUTE_PGM_RSRC2:TRAP_HANDLER: 0
; COMPUTE_PGM_RSRC2:TGID_X_EN: 1
; COMPUTE_PGM_RSRC2:TGID_Y_EN: 1
; COMPUTE_PGM_RSRC2:TGID_Z_EN: 1
; COMPUTE_PGM_RSRC2:TIDIG_COMP_CNT: 1
	.section	.text._ZL37rocblas_syrkx_herkx_restricted_kernelIifLi16ELi32ELi8ELi1ELi0ELb0ELc67ELc76EKffEviT_PT9_S1_lS3_S1_lPT10_S1_li,"axG",@progbits,_ZL37rocblas_syrkx_herkx_restricted_kernelIifLi16ELi32ELi8ELi1ELi0ELb0ELc67ELc76EKffEviT_PT9_S1_lS3_S1_lPT10_S1_li,comdat
	.globl	_ZL37rocblas_syrkx_herkx_restricted_kernelIifLi16ELi32ELi8ELi1ELi0ELb0ELc67ELc76EKffEviT_PT9_S1_lS3_S1_lPT10_S1_li ; -- Begin function _ZL37rocblas_syrkx_herkx_restricted_kernelIifLi16ELi32ELi8ELi1ELi0ELb0ELc67ELc76EKffEviT_PT9_S1_lS3_S1_lPT10_S1_li
	.p2align	8
	.type	_ZL37rocblas_syrkx_herkx_restricted_kernelIifLi16ELi32ELi8ELi1ELi0ELb0ELc67ELc76EKffEviT_PT9_S1_lS3_S1_lPT10_S1_li,@function
_ZL37rocblas_syrkx_herkx_restricted_kernelIifLi16ELi32ELi8ELi1ELi0ELb0ELc67ELc76EKffEviT_PT9_S1_lS3_S1_lPT10_S1_li: ; @_ZL37rocblas_syrkx_herkx_restricted_kernelIifLi16ELi32ELi8ELi1ELi0ELb0ELc67ELc76EKffEviT_PT9_S1_lS3_S1_lPT10_S1_li
; %bb.0:
	s_load_dwordx2 s[10:11], s[4:5], 0x0
	s_load_dwordx4 s[0:3], s[4:5], 0x30
	s_lshl_b32 s6, s6, 5
	s_lshl_b32 s7, s7, 5
	s_mov_b32 s9, 0
	s_waitcnt lgkmcnt(0)
	s_cmp_lt_i32 s11, 1
	s_cbranch_scc1 .LBB15_3
; %bb.1:
	s_load_dwordx2 s[16:17], s[4:5], 0x8
	s_load_dword s20, s[4:5], 0x10
	s_load_dwordx4 s[12:15], s[4:5], 0x18
	s_load_dword s18, s[4:5], 0x28
	v_lshl_add_u32 v4, v1, 4, v0
	v_lshrrev_b32_e32 v8, 3, v4
	v_add_u32_e32 v5, s7, v8
	v_and_b32_e32 v2, 7, v0
	v_mov_b32_e32 v3, 0
	s_waitcnt lgkmcnt(0)
	v_mad_i64_i32 v[6:7], s[18:19], s18, v5, v[2:3]
	v_lshlrev_b32_e32 v2, 2, v2
	v_lshl_or_b32 v2, v8, 5, v2
	v_and_b32_e32 v9, 31, v4
	v_add_u32_e32 v11, 0x400, v2
	v_mov_b32_e32 v2, 0x400
	v_lshrrev_b32_e32 v4, 5, v4
	v_mov_b32_e32 v5, v3
	v_lshlrev_b32_e32 v10, 2, v9
	v_lshl_add_u32 v13, v1, 5, v2
	v_add_u32_e32 v2, s6, v9
	v_lshl_or_b32 v10, v4, 7, v10
	v_mad_i64_i32 v[4:5], s[18:19], s20, v2, v[4:5]
	s_mul_i32 s13, s13, s8
	s_mul_hi_u32 s21, s12, s8
	s_add_i32 s13, s21, s13
	s_mul_i32 s12, s12, s8
	s_lshl_b64 s[12:13], s[12:13], 2
	v_lshlrev_b64 v[4:5], 2, v[4:5]
	s_add_u32 s12, s16, s12
	v_add_co_u32_e32 v4, vcc, s12, v4
	s_mul_i32 s1, s1, s8
	s_mul_hi_u32 s12, s0, s8
	s_addc_u32 s13, s17, s13
	s_add_i32 s1, s12, s1
	s_mul_i32 s0, s0, s8
	s_lshl_b64 s[0:1], s[0:1], 2
	v_mov_b32_e32 v2, s13
	v_lshlrev_b64 v[6:7], 2, v[6:7]
	s_add_u32 s0, s14, s0
	v_addc_co_u32_e32 v5, vcc, v2, v5, vcc
	s_addc_u32 s1, s15, s1
	v_mov_b32_e32 v2, s1
	v_add_co_u32_e32 v6, vcc, s0, v6
	v_lshlrev_b32_e32 v12, 2, v0
	v_addc_co_u32_e32 v7, vcc, v2, v7, vcc
	v_mov_b32_e32 v2, v3
	v_mov_b32_e32 v8, v3
	;; [unrolled: 1-line block ×3, first 2 shown]
.LBB15_2:                               ; =>This Inner Loop Header: Depth=1
	global_load_dword v14, v[4:5], off
	s_add_i32 s9, s9, 8
	v_add_co_u32_e32 v4, vcc, 32, v4
	v_addc_co_u32_e32 v5, vcc, 0, v5, vcc
	s_cmp_ge_i32 s9, s11
	s_waitcnt vmcnt(0)
	ds_write_b32 v10, v14
	global_load_dword v14, v[6:7], off
	v_add_co_u32_e64 v6, s[0:1], 32, v6
	v_addc_co_u32_e64 v7, vcc, 0, v7, s[0:1]
	s_waitcnt vmcnt(0)
	ds_write_b32 v11, v14
	s_waitcnt lgkmcnt(0)
	s_barrier
	ds_read2_b32 v[18:19], v12 offset1:16
	ds_read_b128 v[14:17], v13
	ds_read2_b32 v[20:21], v12 offset0:32 offset1:48
	ds_read2_b32 v[22:23], v12 offset0:64 offset1:80
	;; [unrolled: 1-line block ×3, first 2 shown]
	s_waitcnt lgkmcnt(3)
	v_fmac_f32_e32 v9, v18, v14
	v_fmac_f32_e32 v8, v19, v14
	s_waitcnt lgkmcnt(2)
	v_fmac_f32_e32 v9, v20, v15
	v_fmac_f32_e32 v8, v21, v15
	;; [unrolled: 3-line block ×4, first 2 shown]
	ds_read_b128 v[14:17], v13 offset:512
	s_waitcnt lgkmcnt(0)
	v_fmac_f32_e32 v2, v18, v14
	v_fmac_f32_e32 v3, v19, v14
	;; [unrolled: 1-line block ×8, first 2 shown]
	ds_read2_b32 v[18:19], v12 offset0:128 offset1:144
	ds_read_b128 v[14:17], v13 offset:16
	ds_read2_b32 v[20:21], v12 offset0:160 offset1:176
	ds_read2_b32 v[22:23], v12 offset0:192 offset1:208
	;; [unrolled: 1-line block ×3, first 2 shown]
	s_waitcnt lgkmcnt(3)
	v_fmac_f32_e32 v9, v18, v14
	v_fmac_f32_e32 v8, v19, v14
	s_waitcnt lgkmcnt(2)
	v_fmac_f32_e32 v9, v20, v15
	v_fmac_f32_e32 v8, v21, v15
	;; [unrolled: 3-line block ×4, first 2 shown]
	ds_read_b128 v[14:17], v13 offset:528
	s_waitcnt lgkmcnt(0)
	s_barrier
	v_fmac_f32_e32 v2, v18, v14
	v_fmac_f32_e32 v3, v19, v14
	v_fmac_f32_e32 v2, v20, v15
	v_fmac_f32_e32 v3, v21, v15
	v_fmac_f32_e32 v2, v22, v16
	v_fmac_f32_e32 v3, v23, v16
	v_fmac_f32_e32 v2, v24, v17
	v_fmac_f32_e32 v3, v25, v17
	s_cbranch_scc0 .LBB15_2
	s_branch .LBB15_4
.LBB15_3:
	v_mov_b32_e32 v9, 0
	v_mov_b32_e32 v8, 0
	;; [unrolled: 1-line block ×4, first 2 shown]
.LBB15_4:
	s_load_dwordx2 s[0:1], s[4:5], 0x48
	s_load_dword s9, s[4:5], 0x40
	v_add_u32_e32 v6, s7, v1
	v_add_u32_e32 v0, s6, v0
	s_waitcnt lgkmcnt(0)
	s_mul_i32 s1, s1, s8
	s_mul_hi_u32 s4, s0, s8
	s_add_i32 s1, s4, s1
	v_mad_i64_i32 v[4:5], s[4:5], v6, s9, 0
	s_mul_i32 s0, s0, s8
	s_lshl_b64 s[0:1], s[0:1], 2
	s_add_u32 s7, s2, s0
	v_lshlrev_b64 v[4:5], 2, v[4:5]
	s_addc_u32 s8, s3, s1
	v_mov_b32_e32 v1, s8
	v_add_co_u32_e32 v7, vcc, s7, v4
	v_addc_co_u32_e32 v10, vcc, v1, v5, vcc
	v_cmp_le_i32_e64 s[0:1], v6, v0
	v_cmp_gt_i32_e32 vcc, s10, v0
	s_and_b64 s[0:1], s[0:1], vcc
	s_and_saveexec_b64 s[2:3], s[0:1]
	s_cbranch_execz .LBB15_6
; %bb.5:
	v_ashrrev_i32_e32 v1, 31, v0
	v_lshlrev_b64 v[4:5], 2, v[0:1]
	v_add_co_u32_e64 v4, s[0:1], v7, v4
	v_addc_co_u32_e64 v5, s[0:1], v10, v5, s[0:1]
	global_store_dword v[4:5], v9, off
.LBB15_6:
	s_or_b64 exec, exec, s[2:3]
	v_add_u32_e32 v4, 16, v0
	v_cmp_le_i32_e64 s[2:3], v6, v4
	v_cmp_gt_i32_e64 s[0:1], s10, v4
	s_and_b64 s[2:3], s[2:3], s[0:1]
	s_and_saveexec_b64 s[4:5], s[2:3]
	s_cbranch_execz .LBB15_8
; %bb.7:
	v_ashrrev_i32_e32 v5, 31, v4
	v_lshlrev_b64 v[11:12], 2, v[4:5]
	v_add_co_u32_e64 v9, s[2:3], v7, v11
	v_addc_co_u32_e64 v10, s[2:3], v10, v12, s[2:3]
	global_store_dword v[9:10], v8, off
.LBB15_8:
	s_or_b64 exec, exec, s[4:5]
	v_add_u32_e32 v5, 16, v6
	v_mad_i64_i32 v[6:7], s[2:3], v5, s9, 0
	v_mov_b32_e32 v1, s8
	v_lshlrev_b64 v[6:7], 2, v[6:7]
	v_add_co_u32_e64 v6, s[2:3], s7, v6
	v_addc_co_u32_e64 v7, s[2:3], v1, v7, s[2:3]
	v_cmp_le_i32_e64 s[2:3], v5, v0
	s_and_b64 s[4:5], s[2:3], vcc
	s_and_saveexec_b64 s[2:3], s[4:5]
	s_cbranch_execz .LBB15_10
; %bb.9:
	v_ashrrev_i32_e32 v1, 31, v0
	v_lshlrev_b64 v[0:1], 2, v[0:1]
	v_add_co_u32_e32 v0, vcc, v6, v0
	v_addc_co_u32_e32 v1, vcc, v7, v1, vcc
	global_store_dword v[0:1], v2, off
.LBB15_10:
	s_or_b64 exec, exec, s[2:3]
	v_cmp_le_i32_e32 vcc, v5, v4
	s_and_b64 s[0:1], vcc, s[0:1]
	s_and_saveexec_b64 s[2:3], s[0:1]
	s_cbranch_execz .LBB15_12
; %bb.11:
	v_ashrrev_i32_e32 v5, 31, v4
	v_lshlrev_b64 v[0:1], 2, v[4:5]
	v_add_co_u32_e32 v0, vcc, v6, v0
	v_addc_co_u32_e32 v1, vcc, v7, v1, vcc
	global_store_dword v[0:1], v3, off
.LBB15_12:
	s_endpgm
	.section	.rodata,"a",@progbits
	.p2align	6, 0x0
	.amdhsa_kernel _ZL37rocblas_syrkx_herkx_restricted_kernelIifLi16ELi32ELi8ELi1ELi0ELb0ELc67ELc76EKffEviT_PT9_S1_lS3_S1_lPT10_S1_li
		.amdhsa_group_segment_fixed_size 2048
		.amdhsa_private_segment_fixed_size 0
		.amdhsa_kernarg_size 84
		.amdhsa_user_sgpr_count 6
		.amdhsa_user_sgpr_private_segment_buffer 1
		.amdhsa_user_sgpr_dispatch_ptr 0
		.amdhsa_user_sgpr_queue_ptr 0
		.amdhsa_user_sgpr_kernarg_segment_ptr 1
		.amdhsa_user_sgpr_dispatch_id 0
		.amdhsa_user_sgpr_flat_scratch_init 0
		.amdhsa_user_sgpr_private_segment_size 0
		.amdhsa_uses_dynamic_stack 0
		.amdhsa_system_sgpr_private_segment_wavefront_offset 0
		.amdhsa_system_sgpr_workgroup_id_x 1
		.amdhsa_system_sgpr_workgroup_id_y 1
		.amdhsa_system_sgpr_workgroup_id_z 1
		.amdhsa_system_sgpr_workgroup_info 0
		.amdhsa_system_vgpr_workitem_id 1
		.amdhsa_next_free_vgpr 26
		.amdhsa_next_free_sgpr 22
		.amdhsa_reserve_vcc 1
		.amdhsa_reserve_flat_scratch 0
		.amdhsa_float_round_mode_32 0
		.amdhsa_float_round_mode_16_64 0
		.amdhsa_float_denorm_mode_32 3
		.amdhsa_float_denorm_mode_16_64 3
		.amdhsa_dx10_clamp 1
		.amdhsa_ieee_mode 1
		.amdhsa_fp16_overflow 0
		.amdhsa_exception_fp_ieee_invalid_op 0
		.amdhsa_exception_fp_denorm_src 0
		.amdhsa_exception_fp_ieee_div_zero 0
		.amdhsa_exception_fp_ieee_overflow 0
		.amdhsa_exception_fp_ieee_underflow 0
		.amdhsa_exception_fp_ieee_inexact 0
		.amdhsa_exception_int_div_zero 0
	.end_amdhsa_kernel
	.section	.text._ZL37rocblas_syrkx_herkx_restricted_kernelIifLi16ELi32ELi8ELi1ELi0ELb0ELc67ELc76EKffEviT_PT9_S1_lS3_S1_lPT10_S1_li,"axG",@progbits,_ZL37rocblas_syrkx_herkx_restricted_kernelIifLi16ELi32ELi8ELi1ELi0ELb0ELc67ELc76EKffEviT_PT9_S1_lS3_S1_lPT10_S1_li,comdat
.Lfunc_end15:
	.size	_ZL37rocblas_syrkx_herkx_restricted_kernelIifLi16ELi32ELi8ELi1ELi0ELb0ELc67ELc76EKffEviT_PT9_S1_lS3_S1_lPT10_S1_li, .Lfunc_end15-_ZL37rocblas_syrkx_herkx_restricted_kernelIifLi16ELi32ELi8ELi1ELi0ELb0ELc67ELc76EKffEviT_PT9_S1_lS3_S1_lPT10_S1_li
                                        ; -- End function
	.set _ZL37rocblas_syrkx_herkx_restricted_kernelIifLi16ELi32ELi8ELi1ELi0ELb0ELc67ELc76EKffEviT_PT9_S1_lS3_S1_lPT10_S1_li.num_vgpr, 26
	.set _ZL37rocblas_syrkx_herkx_restricted_kernelIifLi16ELi32ELi8ELi1ELi0ELb0ELc67ELc76EKffEviT_PT9_S1_lS3_S1_lPT10_S1_li.num_agpr, 0
	.set _ZL37rocblas_syrkx_herkx_restricted_kernelIifLi16ELi32ELi8ELi1ELi0ELb0ELc67ELc76EKffEviT_PT9_S1_lS3_S1_lPT10_S1_li.numbered_sgpr, 22
	.set _ZL37rocblas_syrkx_herkx_restricted_kernelIifLi16ELi32ELi8ELi1ELi0ELb0ELc67ELc76EKffEviT_PT9_S1_lS3_S1_lPT10_S1_li.num_named_barrier, 0
	.set _ZL37rocblas_syrkx_herkx_restricted_kernelIifLi16ELi32ELi8ELi1ELi0ELb0ELc67ELc76EKffEviT_PT9_S1_lS3_S1_lPT10_S1_li.private_seg_size, 0
	.set _ZL37rocblas_syrkx_herkx_restricted_kernelIifLi16ELi32ELi8ELi1ELi0ELb0ELc67ELc76EKffEviT_PT9_S1_lS3_S1_lPT10_S1_li.uses_vcc, 1
	.set _ZL37rocblas_syrkx_herkx_restricted_kernelIifLi16ELi32ELi8ELi1ELi0ELb0ELc67ELc76EKffEviT_PT9_S1_lS3_S1_lPT10_S1_li.uses_flat_scratch, 0
	.set _ZL37rocblas_syrkx_herkx_restricted_kernelIifLi16ELi32ELi8ELi1ELi0ELb0ELc67ELc76EKffEviT_PT9_S1_lS3_S1_lPT10_S1_li.has_dyn_sized_stack, 0
	.set _ZL37rocblas_syrkx_herkx_restricted_kernelIifLi16ELi32ELi8ELi1ELi0ELb0ELc67ELc76EKffEviT_PT9_S1_lS3_S1_lPT10_S1_li.has_recursion, 0
	.set _ZL37rocblas_syrkx_herkx_restricted_kernelIifLi16ELi32ELi8ELi1ELi0ELb0ELc67ELc76EKffEviT_PT9_S1_lS3_S1_lPT10_S1_li.has_indirect_call, 0
	.section	.AMDGPU.csdata,"",@progbits
; Kernel info:
; codeLenInByte = 1024
; TotalNumSgprs: 26
; NumVgprs: 26
; ScratchSize: 0
; MemoryBound: 0
; FloatMode: 240
; IeeeMode: 1
; LDSByteSize: 2048 bytes/workgroup (compile time only)
; SGPRBlocks: 3
; VGPRBlocks: 6
; NumSGPRsForWavesPerEU: 26
; NumVGPRsForWavesPerEU: 26
; Occupancy: 9
; WaveLimiterHint : 0
; COMPUTE_PGM_RSRC2:SCRATCH_EN: 0
; COMPUTE_PGM_RSRC2:USER_SGPR: 6
; COMPUTE_PGM_RSRC2:TRAP_HANDLER: 0
; COMPUTE_PGM_RSRC2:TGID_X_EN: 1
; COMPUTE_PGM_RSRC2:TGID_Y_EN: 1
; COMPUTE_PGM_RSRC2:TGID_Z_EN: 1
; COMPUTE_PGM_RSRC2:TIDIG_COMP_CNT: 1
	.section	.text._ZL37rocblas_syrkx_herkx_restricted_kernelIifLi16ELi32ELi8ELi1ELi0ELb0ELc78ELc76EKffEviT_PT9_S1_lS3_S1_lPT10_S1_li,"axG",@progbits,_ZL37rocblas_syrkx_herkx_restricted_kernelIifLi16ELi32ELi8ELi1ELi0ELb0ELc78ELc76EKffEviT_PT9_S1_lS3_S1_lPT10_S1_li,comdat
	.globl	_ZL37rocblas_syrkx_herkx_restricted_kernelIifLi16ELi32ELi8ELi1ELi0ELb0ELc78ELc76EKffEviT_PT9_S1_lS3_S1_lPT10_S1_li ; -- Begin function _ZL37rocblas_syrkx_herkx_restricted_kernelIifLi16ELi32ELi8ELi1ELi0ELb0ELc78ELc76EKffEviT_PT9_S1_lS3_S1_lPT10_S1_li
	.p2align	8
	.type	_ZL37rocblas_syrkx_herkx_restricted_kernelIifLi16ELi32ELi8ELi1ELi0ELb0ELc78ELc76EKffEviT_PT9_S1_lS3_S1_lPT10_S1_li,@function
_ZL37rocblas_syrkx_herkx_restricted_kernelIifLi16ELi32ELi8ELi1ELi0ELb0ELc78ELc76EKffEviT_PT9_S1_lS3_S1_lPT10_S1_li: ; @_ZL37rocblas_syrkx_herkx_restricted_kernelIifLi16ELi32ELi8ELi1ELi0ELb0ELc78ELc76EKffEviT_PT9_S1_lS3_S1_lPT10_S1_li
; %bb.0:
	s_load_dwordx2 s[10:11], s[4:5], 0x0
	s_load_dwordx4 s[0:3], s[4:5], 0x30
	s_lshl_b32 s9, s6, 5
	s_lshl_b32 s16, s7, 5
	s_mov_b32 s17, 0
	s_waitcnt lgkmcnt(0)
	s_cmp_lt_i32 s11, 1
	s_cbranch_scc1 .LBB16_3
; %bb.1:
	v_lshl_add_u32 v7, v1, 4, v0
	s_load_dword s6, s[4:5], 0x10
	s_load_dword s18, s[4:5], 0x28
	s_load_dwordx2 s[20:21], s[4:5], 0x8
	s_load_dwordx4 s[12:15], s[4:5], 0x18
	v_lshrrev_b32_e32 v8, 3, v7
	v_add_u32_e32 v2, s16, v8
	v_and_b32_e32 v6, 7, v0
	v_ashrrev_i32_e32 v3, 31, v2
	s_waitcnt lgkmcnt(0)
	v_mad_i64_i32 v[4:5], s[22:23], s18, v6, v[2:3]
	v_and_b32_e32 v2, 31, v7
	v_lshrrev_b32_e32 v9, 5, v7
	v_lshlrev_b32_e32 v3, 2, v2
	v_lshl_or_b32 v10, v9, 7, v3
	v_lshlrev_b32_e32 v3, 2, v6
	v_lshl_or_b32 v3, v8, 5, v3
	v_add_u32_e32 v11, 0x400, v3
	v_mov_b32_e32 v3, 0x400
	v_add_u32_e32 v2, s9, v2
	v_lshl_add_u32 v13, v1, 5, v3
	v_ashrrev_i32_e32 v3, 31, v2
	v_mad_i64_i32 v[2:3], s[22:23], s6, v9, v[2:3]
	s_mul_i32 s13, s13, s8
	s_mul_hi_u32 s24, s12, s8
	s_add_i32 s13, s24, s13
	s_mul_i32 s12, s12, s8
	s_ashr_i32 s7, s6, 31
	s_ashr_i32 s19, s18, 31
	s_lshl_b64 s[12:13], s[12:13], 2
	v_lshlrev_b64 v[2:3], 2, v[2:3]
	s_add_u32 s12, s20, s12
	v_add_co_u32_e32 v2, vcc, s12, v2
	s_mul_i32 s1, s1, s8
	s_mul_hi_u32 s12, s0, s8
	s_addc_u32 s13, s21, s13
	s_add_i32 s1, s12, s1
	s_mul_i32 s0, s0, s8
	s_lshl_b64 s[6:7], s[6:7], 5
	s_lshl_b64 s[0:1], s[0:1], 2
	v_mov_b32_e32 v6, s13
	v_lshlrev_b64 v[4:5], 2, v[4:5]
	s_add_u32 s0, s14, s0
	v_addc_co_u32_e32 v3, vcc, v6, v3, vcc
	s_addc_u32 s1, s15, s1
	v_mov_b32_e32 v6, s1
	v_add_co_u32_e32 v4, vcc, s0, v4
	s_lshl_b64 s[12:13], s[18:19], 5
	v_lshlrev_b32_e32 v12, 2, v0
	v_addc_co_u32_e32 v5, vcc, v6, v5, vcc
	v_mov_b32_e32 v6, 0
	v_mov_b32_e32 v14, s7
	;; [unrolled: 1-line block ×6, first 2 shown]
.LBB16_2:                               ; =>This Inner Loop Header: Depth=1
	global_load_dword v16, v[2:3], off
	global_load_dword v17, v[4:5], off
	s_add_i32 s17, s17, 8
	v_add_co_u32_e32 v2, vcc, s6, v2
	v_add_co_u32_e64 v4, s[0:1], s12, v4
	v_addc_co_u32_e32 v3, vcc, v3, v14, vcc
	v_addc_co_u32_e64 v5, vcc, v5, v15, s[0:1]
	s_cmp_ge_i32 s17, s11
	s_waitcnt vmcnt(1)
	ds_write_b32 v10, v16
	s_waitcnt vmcnt(0)
	ds_write_b32 v11, v17
	s_waitcnt lgkmcnt(0)
	s_barrier
	ds_read2_b32 v[20:21], v12 offset1:16
	ds_read_b128 v[16:19], v13
	ds_read2_b32 v[22:23], v12 offset0:32 offset1:48
	ds_read2_b32 v[24:25], v12 offset0:64 offset1:80
	;; [unrolled: 1-line block ×3, first 2 shown]
	s_waitcnt lgkmcnt(3)
	v_fmac_f32_e32 v9, v20, v16
	v_fmac_f32_e32 v8, v21, v16
	s_waitcnt lgkmcnt(2)
	v_fmac_f32_e32 v9, v22, v17
	v_fmac_f32_e32 v8, v23, v17
	;; [unrolled: 3-line block ×4, first 2 shown]
	ds_read_b128 v[16:19], v13 offset:512
	s_waitcnt lgkmcnt(0)
	v_fmac_f32_e32 v7, v20, v16
	v_fmac_f32_e32 v6, v21, v16
	;; [unrolled: 1-line block ×8, first 2 shown]
	ds_read2_b32 v[20:21], v12 offset0:128 offset1:144
	ds_read_b128 v[16:19], v13 offset:16
	ds_read2_b32 v[22:23], v12 offset0:160 offset1:176
	ds_read2_b32 v[24:25], v12 offset0:192 offset1:208
	;; [unrolled: 1-line block ×3, first 2 shown]
	s_waitcnt lgkmcnt(3)
	v_fmac_f32_e32 v9, v20, v16
	v_fmac_f32_e32 v8, v21, v16
	s_waitcnt lgkmcnt(2)
	v_fmac_f32_e32 v9, v22, v17
	v_fmac_f32_e32 v8, v23, v17
	;; [unrolled: 3-line block ×4, first 2 shown]
	ds_read_b128 v[16:19], v13 offset:528
	s_waitcnt lgkmcnt(0)
	s_barrier
	v_fmac_f32_e32 v7, v20, v16
	v_fmac_f32_e32 v6, v21, v16
	;; [unrolled: 1-line block ×8, first 2 shown]
	s_cbranch_scc0 .LBB16_2
	s_branch .LBB16_4
.LBB16_3:
	v_mov_b32_e32 v9, 0
	v_mov_b32_e32 v8, 0
	;; [unrolled: 1-line block ×4, first 2 shown]
.LBB16_4:
	s_load_dwordx2 s[0:1], s[4:5], 0x48
	s_load_dword s6, s[4:5], 0x40
	v_add_u32_e32 v4, s16, v1
	v_add_u32_e32 v0, s9, v0
	s_waitcnt lgkmcnt(0)
	s_mul_i32 s1, s1, s8
	s_mul_hi_u32 s4, s0, s8
	s_add_i32 s1, s4, s1
	v_mad_i64_i32 v[1:2], s[4:5], v4, s6, 0
	s_mul_i32 s0, s0, s8
	s_lshl_b64 s[0:1], s[0:1], 2
	s_add_u32 s7, s2, s0
	v_lshlrev_b64 v[1:2], 2, v[1:2]
	s_addc_u32 s8, s3, s1
	v_mov_b32_e32 v3, s8
	v_add_co_u32_e32 v5, vcc, s7, v1
	v_addc_co_u32_e32 v10, vcc, v3, v2, vcc
	v_cmp_le_i32_e64 s[0:1], v4, v0
	v_cmp_gt_i32_e32 vcc, s10, v0
	s_and_b64 s[0:1], s[0:1], vcc
	s_and_saveexec_b64 s[2:3], s[0:1]
	s_cbranch_execz .LBB16_6
; %bb.5:
	v_ashrrev_i32_e32 v1, 31, v0
	v_lshlrev_b64 v[1:2], 2, v[0:1]
	v_add_co_u32_e64 v1, s[0:1], v5, v1
	v_addc_co_u32_e64 v2, s[0:1], v10, v2, s[0:1]
	global_store_dword v[1:2], v9, off
.LBB16_6:
	s_or_b64 exec, exec, s[2:3]
	v_add_u32_e32 v2, 16, v0
	v_cmp_le_i32_e64 s[2:3], v4, v2
	v_cmp_gt_i32_e64 s[0:1], s10, v2
	s_and_b64 s[2:3], s[2:3], s[0:1]
	s_and_saveexec_b64 s[4:5], s[2:3]
	s_cbranch_execz .LBB16_8
; %bb.7:
	v_ashrrev_i32_e32 v3, 31, v2
	v_lshlrev_b64 v[11:12], 2, v[2:3]
	v_add_co_u32_e64 v9, s[2:3], v5, v11
	v_addc_co_u32_e64 v10, s[2:3], v10, v12, s[2:3]
	global_store_dword v[9:10], v8, off
.LBB16_8:
	s_or_b64 exec, exec, s[4:5]
	v_add_u32_e32 v3, 16, v4
	v_mad_i64_i32 v[4:5], s[2:3], v3, s6, 0
	v_mov_b32_e32 v1, s8
	v_lshlrev_b64 v[4:5], 2, v[4:5]
	v_add_co_u32_e64 v4, s[2:3], s7, v4
	v_addc_co_u32_e64 v5, s[2:3], v1, v5, s[2:3]
	v_cmp_le_i32_e64 s[2:3], v3, v0
	s_and_b64 s[4:5], s[2:3], vcc
	s_and_saveexec_b64 s[2:3], s[4:5]
	s_cbranch_execz .LBB16_10
; %bb.9:
	v_ashrrev_i32_e32 v1, 31, v0
	v_lshlrev_b64 v[0:1], 2, v[0:1]
	v_add_co_u32_e32 v0, vcc, v4, v0
	v_addc_co_u32_e32 v1, vcc, v5, v1, vcc
	global_store_dword v[0:1], v7, off
.LBB16_10:
	s_or_b64 exec, exec, s[2:3]
	v_cmp_le_i32_e32 vcc, v3, v2
	s_and_b64 s[0:1], vcc, s[0:1]
	s_and_saveexec_b64 s[2:3], s[0:1]
	s_cbranch_execz .LBB16_12
; %bb.11:
	v_ashrrev_i32_e32 v3, 31, v2
	v_lshlrev_b64 v[0:1], 2, v[2:3]
	v_add_co_u32_e32 v0, vcc, v4, v0
	v_addc_co_u32_e32 v1, vcc, v5, v1, vcc
	global_store_dword v[0:1], v6, off
.LBB16_12:
	s_endpgm
	.section	.rodata,"a",@progbits
	.p2align	6, 0x0
	.amdhsa_kernel _ZL37rocblas_syrkx_herkx_restricted_kernelIifLi16ELi32ELi8ELi1ELi0ELb0ELc78ELc76EKffEviT_PT9_S1_lS3_S1_lPT10_S1_li
		.amdhsa_group_segment_fixed_size 2048
		.amdhsa_private_segment_fixed_size 0
		.amdhsa_kernarg_size 84
		.amdhsa_user_sgpr_count 6
		.amdhsa_user_sgpr_private_segment_buffer 1
		.amdhsa_user_sgpr_dispatch_ptr 0
		.amdhsa_user_sgpr_queue_ptr 0
		.amdhsa_user_sgpr_kernarg_segment_ptr 1
		.amdhsa_user_sgpr_dispatch_id 0
		.amdhsa_user_sgpr_flat_scratch_init 0
		.amdhsa_user_sgpr_private_segment_size 0
		.amdhsa_uses_dynamic_stack 0
		.amdhsa_system_sgpr_private_segment_wavefront_offset 0
		.amdhsa_system_sgpr_workgroup_id_x 1
		.amdhsa_system_sgpr_workgroup_id_y 1
		.amdhsa_system_sgpr_workgroup_id_z 1
		.amdhsa_system_sgpr_workgroup_info 0
		.amdhsa_system_vgpr_workitem_id 1
		.amdhsa_next_free_vgpr 28
		.amdhsa_next_free_sgpr 25
		.amdhsa_reserve_vcc 1
		.amdhsa_reserve_flat_scratch 0
		.amdhsa_float_round_mode_32 0
		.amdhsa_float_round_mode_16_64 0
		.amdhsa_float_denorm_mode_32 3
		.amdhsa_float_denorm_mode_16_64 3
		.amdhsa_dx10_clamp 1
		.amdhsa_ieee_mode 1
		.amdhsa_fp16_overflow 0
		.amdhsa_exception_fp_ieee_invalid_op 0
		.amdhsa_exception_fp_denorm_src 0
		.amdhsa_exception_fp_ieee_div_zero 0
		.amdhsa_exception_fp_ieee_overflow 0
		.amdhsa_exception_fp_ieee_underflow 0
		.amdhsa_exception_fp_ieee_inexact 0
		.amdhsa_exception_int_div_zero 0
	.end_amdhsa_kernel
	.section	.text._ZL37rocblas_syrkx_herkx_restricted_kernelIifLi16ELi32ELi8ELi1ELi0ELb0ELc78ELc76EKffEviT_PT9_S1_lS3_S1_lPT10_S1_li,"axG",@progbits,_ZL37rocblas_syrkx_herkx_restricted_kernelIifLi16ELi32ELi8ELi1ELi0ELb0ELc78ELc76EKffEviT_PT9_S1_lS3_S1_lPT10_S1_li,comdat
.Lfunc_end16:
	.size	_ZL37rocblas_syrkx_herkx_restricted_kernelIifLi16ELi32ELi8ELi1ELi0ELb0ELc78ELc76EKffEviT_PT9_S1_lS3_S1_lPT10_S1_li, .Lfunc_end16-_ZL37rocblas_syrkx_herkx_restricted_kernelIifLi16ELi32ELi8ELi1ELi0ELb0ELc78ELc76EKffEviT_PT9_S1_lS3_S1_lPT10_S1_li
                                        ; -- End function
	.set _ZL37rocblas_syrkx_herkx_restricted_kernelIifLi16ELi32ELi8ELi1ELi0ELb0ELc78ELc76EKffEviT_PT9_S1_lS3_S1_lPT10_S1_li.num_vgpr, 28
	.set _ZL37rocblas_syrkx_herkx_restricted_kernelIifLi16ELi32ELi8ELi1ELi0ELb0ELc78ELc76EKffEviT_PT9_S1_lS3_S1_lPT10_S1_li.num_agpr, 0
	.set _ZL37rocblas_syrkx_herkx_restricted_kernelIifLi16ELi32ELi8ELi1ELi0ELb0ELc78ELc76EKffEviT_PT9_S1_lS3_S1_lPT10_S1_li.numbered_sgpr, 25
	.set _ZL37rocblas_syrkx_herkx_restricted_kernelIifLi16ELi32ELi8ELi1ELi0ELb0ELc78ELc76EKffEviT_PT9_S1_lS3_S1_lPT10_S1_li.num_named_barrier, 0
	.set _ZL37rocblas_syrkx_herkx_restricted_kernelIifLi16ELi32ELi8ELi1ELi0ELb0ELc78ELc76EKffEviT_PT9_S1_lS3_S1_lPT10_S1_li.private_seg_size, 0
	.set _ZL37rocblas_syrkx_herkx_restricted_kernelIifLi16ELi32ELi8ELi1ELi0ELb0ELc78ELc76EKffEviT_PT9_S1_lS3_S1_lPT10_S1_li.uses_vcc, 1
	.set _ZL37rocblas_syrkx_herkx_restricted_kernelIifLi16ELi32ELi8ELi1ELi0ELb0ELc78ELc76EKffEviT_PT9_S1_lS3_S1_lPT10_S1_li.uses_flat_scratch, 0
	.set _ZL37rocblas_syrkx_herkx_restricted_kernelIifLi16ELi32ELi8ELi1ELi0ELb0ELc78ELc76EKffEviT_PT9_S1_lS3_S1_lPT10_S1_li.has_dyn_sized_stack, 0
	.set _ZL37rocblas_syrkx_herkx_restricted_kernelIifLi16ELi32ELi8ELi1ELi0ELb0ELc78ELc76EKffEviT_PT9_S1_lS3_S1_lPT10_S1_li.has_recursion, 0
	.set _ZL37rocblas_syrkx_herkx_restricted_kernelIifLi16ELi32ELi8ELi1ELi0ELb0ELc78ELc76EKffEviT_PT9_S1_lS3_S1_lPT10_S1_li.has_indirect_call, 0
	.section	.AMDGPU.csdata,"",@progbits
; Kernel info:
; codeLenInByte = 1052
; TotalNumSgprs: 29
; NumVgprs: 28
; ScratchSize: 0
; MemoryBound: 0
; FloatMode: 240
; IeeeMode: 1
; LDSByteSize: 2048 bytes/workgroup (compile time only)
; SGPRBlocks: 3
; VGPRBlocks: 6
; NumSGPRsForWavesPerEU: 29
; NumVGPRsForWavesPerEU: 28
; Occupancy: 9
; WaveLimiterHint : 0
; COMPUTE_PGM_RSRC2:SCRATCH_EN: 0
; COMPUTE_PGM_RSRC2:USER_SGPR: 6
; COMPUTE_PGM_RSRC2:TRAP_HANDLER: 0
; COMPUTE_PGM_RSRC2:TGID_X_EN: 1
; COMPUTE_PGM_RSRC2:TGID_Y_EN: 1
; COMPUTE_PGM_RSRC2:TGID_Z_EN: 1
; COMPUTE_PGM_RSRC2:TIDIG_COMP_CNT: 1
	.section	.text._ZL37rocblas_syrkx_herkx_restricted_kernelIifLi16ELi32ELi8ELi1ELi0ELb0ELc84ELc85EKffEviT_PT9_S1_lS3_S1_lPT10_S1_li,"axG",@progbits,_ZL37rocblas_syrkx_herkx_restricted_kernelIifLi16ELi32ELi8ELi1ELi0ELb0ELc84ELc85EKffEviT_PT9_S1_lS3_S1_lPT10_S1_li,comdat
	.globl	_ZL37rocblas_syrkx_herkx_restricted_kernelIifLi16ELi32ELi8ELi1ELi0ELb0ELc84ELc85EKffEviT_PT9_S1_lS3_S1_lPT10_S1_li ; -- Begin function _ZL37rocblas_syrkx_herkx_restricted_kernelIifLi16ELi32ELi8ELi1ELi0ELb0ELc84ELc85EKffEviT_PT9_S1_lS3_S1_lPT10_S1_li
	.p2align	8
	.type	_ZL37rocblas_syrkx_herkx_restricted_kernelIifLi16ELi32ELi8ELi1ELi0ELb0ELc84ELc85EKffEviT_PT9_S1_lS3_S1_lPT10_S1_li,@function
_ZL37rocblas_syrkx_herkx_restricted_kernelIifLi16ELi32ELi8ELi1ELi0ELb0ELc84ELc85EKffEviT_PT9_S1_lS3_S1_lPT10_S1_li: ; @_ZL37rocblas_syrkx_herkx_restricted_kernelIifLi16ELi32ELi8ELi1ELi0ELb0ELc84ELc85EKffEviT_PT9_S1_lS3_S1_lPT10_S1_li
; %bb.0:
	s_load_dwordx2 s[10:11], s[4:5], 0x0
	s_load_dwordx4 s[0:3], s[4:5], 0x30
	s_lshl_b32 s6, s6, 5
	s_lshl_b32 s7, s7, 5
	s_mov_b32 s9, 0
	s_waitcnt lgkmcnt(0)
	s_cmp_lt_i32 s11, 1
	s_cbranch_scc1 .LBB17_3
; %bb.1:
	s_load_dwordx2 s[16:17], s[4:5], 0x8
	s_load_dword s20, s[4:5], 0x10
	s_load_dwordx4 s[12:15], s[4:5], 0x18
	s_load_dword s18, s[4:5], 0x28
	v_lshl_add_u32 v4, v1, 4, v0
	v_lshrrev_b32_e32 v8, 3, v4
	v_add_u32_e32 v5, s7, v8
	v_and_b32_e32 v2, 7, v0
	v_mov_b32_e32 v3, 0
	s_waitcnt lgkmcnt(0)
	v_mad_i64_i32 v[6:7], s[18:19], s18, v5, v[2:3]
	v_lshlrev_b32_e32 v2, 2, v2
	v_lshl_or_b32 v2, v8, 5, v2
	v_and_b32_e32 v9, 31, v4
	v_add_u32_e32 v11, 0x400, v2
	v_mov_b32_e32 v2, 0x400
	v_lshrrev_b32_e32 v4, 5, v4
	v_mov_b32_e32 v5, v3
	v_lshlrev_b32_e32 v10, 2, v9
	v_lshl_add_u32 v13, v1, 5, v2
	v_add_u32_e32 v2, s6, v9
	v_lshl_or_b32 v10, v4, 7, v10
	v_mad_i64_i32 v[4:5], s[18:19], s20, v2, v[4:5]
	s_mul_i32 s13, s13, s8
	s_mul_hi_u32 s21, s12, s8
	s_add_i32 s13, s21, s13
	s_mul_i32 s12, s12, s8
	s_lshl_b64 s[12:13], s[12:13], 2
	v_lshlrev_b64 v[4:5], 2, v[4:5]
	s_add_u32 s12, s16, s12
	v_add_co_u32_e32 v4, vcc, s12, v4
	s_mul_i32 s1, s1, s8
	s_mul_hi_u32 s12, s0, s8
	s_addc_u32 s13, s17, s13
	s_add_i32 s1, s12, s1
	s_mul_i32 s0, s0, s8
	s_lshl_b64 s[0:1], s[0:1], 2
	v_mov_b32_e32 v2, s13
	v_lshlrev_b64 v[6:7], 2, v[6:7]
	s_add_u32 s0, s14, s0
	v_addc_co_u32_e32 v5, vcc, v2, v5, vcc
	s_addc_u32 s1, s15, s1
	v_mov_b32_e32 v2, s1
	v_add_co_u32_e32 v6, vcc, s0, v6
	v_lshlrev_b32_e32 v12, 2, v0
	v_addc_co_u32_e32 v7, vcc, v2, v7, vcc
	v_mov_b32_e32 v2, v3
	v_mov_b32_e32 v8, v3
	;; [unrolled: 1-line block ×3, first 2 shown]
.LBB17_2:                               ; =>This Inner Loop Header: Depth=1
	global_load_dword v14, v[4:5], off
	s_add_i32 s9, s9, 8
	v_add_co_u32_e32 v4, vcc, 32, v4
	v_addc_co_u32_e32 v5, vcc, 0, v5, vcc
	s_cmp_ge_i32 s9, s11
	s_waitcnt vmcnt(0)
	ds_write_b32 v10, v14
	global_load_dword v14, v[6:7], off
	v_add_co_u32_e64 v6, s[0:1], 32, v6
	v_addc_co_u32_e64 v7, vcc, 0, v7, s[0:1]
	s_waitcnt vmcnt(0)
	ds_write_b32 v11, v14
	s_waitcnt lgkmcnt(0)
	s_barrier
	ds_read2_b32 v[18:19], v12 offset1:16
	ds_read_b128 v[14:17], v13
	ds_read2_b32 v[20:21], v12 offset0:32 offset1:48
	ds_read2_b32 v[22:23], v12 offset0:64 offset1:80
	;; [unrolled: 1-line block ×3, first 2 shown]
	s_waitcnt lgkmcnt(3)
	v_fmac_f32_e32 v9, v18, v14
	v_fmac_f32_e32 v8, v19, v14
	s_waitcnt lgkmcnt(2)
	v_fmac_f32_e32 v9, v20, v15
	v_fmac_f32_e32 v8, v21, v15
	;; [unrolled: 3-line block ×4, first 2 shown]
	ds_read_b128 v[14:17], v13 offset:512
	s_waitcnt lgkmcnt(0)
	v_fmac_f32_e32 v2, v18, v14
	v_fmac_f32_e32 v3, v19, v14
	;; [unrolled: 1-line block ×8, first 2 shown]
	ds_read2_b32 v[18:19], v12 offset0:128 offset1:144
	ds_read_b128 v[14:17], v13 offset:16
	ds_read2_b32 v[20:21], v12 offset0:160 offset1:176
	ds_read2_b32 v[22:23], v12 offset0:192 offset1:208
	ds_read2_b32 v[24:25], v12 offset0:224 offset1:240
	s_waitcnt lgkmcnt(3)
	v_fmac_f32_e32 v9, v18, v14
	v_fmac_f32_e32 v8, v19, v14
	s_waitcnt lgkmcnt(2)
	v_fmac_f32_e32 v9, v20, v15
	v_fmac_f32_e32 v8, v21, v15
	;; [unrolled: 3-line block ×4, first 2 shown]
	ds_read_b128 v[14:17], v13 offset:528
	s_waitcnt lgkmcnt(0)
	s_barrier
	v_fmac_f32_e32 v2, v18, v14
	v_fmac_f32_e32 v3, v19, v14
	;; [unrolled: 1-line block ×8, first 2 shown]
	s_cbranch_scc0 .LBB17_2
	s_branch .LBB17_4
.LBB17_3:
	v_mov_b32_e32 v9, 0
	v_mov_b32_e32 v8, 0
	;; [unrolled: 1-line block ×4, first 2 shown]
.LBB17_4:
	s_load_dwordx2 s[0:1], s[4:5], 0x48
	s_load_dword s9, s[4:5], 0x40
	v_add_u32_e32 v6, s7, v1
	v_add_u32_e32 v0, s6, v0
	v_cmp_gt_i32_e32 vcc, s10, v6
	s_waitcnt lgkmcnt(0)
	s_mul_i32 s1, s1, s8
	v_mad_i64_i32 v[4:5], s[12:13], v6, s9, 0
	s_mul_hi_u32 s4, s0, s8
	s_mul_i32 s0, s0, s8
	s_add_i32 s1, s4, s1
	s_lshl_b64 s[0:1], s[0:1], 2
	s_add_u32 s4, s2, s0
	v_lshlrev_b64 v[4:5], 2, v[4:5]
	s_addc_u32 s5, s3, s1
	v_mov_b32_e32 v1, s5
	v_add_co_u32_e64 v7, s[0:1], s4, v4
	v_addc_co_u32_e64 v10, s[0:1], v1, v5, s[0:1]
	v_cmp_le_i32_e64 s[0:1], v0, v6
	s_and_b64 s[0:1], vcc, s[0:1]
	s_and_saveexec_b64 s[2:3], s[0:1]
	s_cbranch_execz .LBB17_6
; %bb.5:
	v_ashrrev_i32_e32 v1, 31, v0
	v_lshlrev_b64 v[4:5], 2, v[0:1]
	v_add_co_u32_e64 v4, s[0:1], v7, v4
	v_addc_co_u32_e64 v5, s[0:1], v10, v5, s[0:1]
	global_store_dword v[4:5], v9, off
.LBB17_6:
	s_or_b64 exec, exec, s[2:3]
	v_add_u32_e32 v4, 16, v0
	v_cmp_le_i32_e64 s[0:1], v4, v6
	s_and_b64 s[2:3], vcc, s[0:1]
	s_and_saveexec_b64 s[0:1], s[2:3]
	s_cbranch_execz .LBB17_8
; %bb.7:
	v_ashrrev_i32_e32 v5, 31, v4
	v_lshlrev_b64 v[11:12], 2, v[4:5]
	v_add_co_u32_e32 v9, vcc, v7, v11
	v_addc_co_u32_e32 v10, vcc, v10, v12, vcc
	global_store_dword v[9:10], v8, off
.LBB17_8:
	s_or_b64 exec, exec, s[0:1]
	v_add_u32_e32 v5, 16, v6
	v_mad_i64_i32 v[6:7], s[0:1], v5, s9, 0
	v_mov_b32_e32 v1, s5
	v_cmp_gt_i32_e32 vcc, s10, v5
	v_lshlrev_b64 v[6:7], 2, v[6:7]
	v_add_co_u32_e64 v6, s[0:1], s4, v6
	v_addc_co_u32_e64 v7, s[0:1], v1, v7, s[0:1]
	v_cmp_le_i32_e64 s[0:1], v0, v5
	s_and_b64 s[0:1], vcc, s[0:1]
	s_and_saveexec_b64 s[2:3], s[0:1]
	s_cbranch_execz .LBB17_10
; %bb.9:
	v_ashrrev_i32_e32 v1, 31, v0
	v_lshlrev_b64 v[0:1], 2, v[0:1]
	v_add_co_u32_e64 v0, s[0:1], v6, v0
	v_addc_co_u32_e64 v1, s[0:1], v7, v1, s[0:1]
	global_store_dword v[0:1], v2, off
.LBB17_10:
	s_or_b64 exec, exec, s[2:3]
	v_cmp_le_i32_e64 s[0:1], v4, v5
	s_and_b64 s[0:1], vcc, s[0:1]
	s_and_saveexec_b64 s[2:3], s[0:1]
	s_cbranch_execz .LBB17_12
; %bb.11:
	v_ashrrev_i32_e32 v5, 31, v4
	v_lshlrev_b64 v[0:1], 2, v[4:5]
	v_add_co_u32_e32 v0, vcc, v6, v0
	v_addc_co_u32_e32 v1, vcc, v7, v1, vcc
	global_store_dword v[0:1], v3, off
.LBB17_12:
	s_endpgm
	.section	.rodata,"a",@progbits
	.p2align	6, 0x0
	.amdhsa_kernel _ZL37rocblas_syrkx_herkx_restricted_kernelIifLi16ELi32ELi8ELi1ELi0ELb0ELc84ELc85EKffEviT_PT9_S1_lS3_S1_lPT10_S1_li
		.amdhsa_group_segment_fixed_size 2048
		.amdhsa_private_segment_fixed_size 0
		.amdhsa_kernarg_size 84
		.amdhsa_user_sgpr_count 6
		.amdhsa_user_sgpr_private_segment_buffer 1
		.amdhsa_user_sgpr_dispatch_ptr 0
		.amdhsa_user_sgpr_queue_ptr 0
		.amdhsa_user_sgpr_kernarg_segment_ptr 1
		.amdhsa_user_sgpr_dispatch_id 0
		.amdhsa_user_sgpr_flat_scratch_init 0
		.amdhsa_user_sgpr_private_segment_size 0
		.amdhsa_uses_dynamic_stack 0
		.amdhsa_system_sgpr_private_segment_wavefront_offset 0
		.amdhsa_system_sgpr_workgroup_id_x 1
		.amdhsa_system_sgpr_workgroup_id_y 1
		.amdhsa_system_sgpr_workgroup_id_z 1
		.amdhsa_system_sgpr_workgroup_info 0
		.amdhsa_system_vgpr_workitem_id 1
		.amdhsa_next_free_vgpr 26
		.amdhsa_next_free_sgpr 22
		.amdhsa_reserve_vcc 1
		.amdhsa_reserve_flat_scratch 0
		.amdhsa_float_round_mode_32 0
		.amdhsa_float_round_mode_16_64 0
		.amdhsa_float_denorm_mode_32 3
		.amdhsa_float_denorm_mode_16_64 3
		.amdhsa_dx10_clamp 1
		.amdhsa_ieee_mode 1
		.amdhsa_fp16_overflow 0
		.amdhsa_exception_fp_ieee_invalid_op 0
		.amdhsa_exception_fp_denorm_src 0
		.amdhsa_exception_fp_ieee_div_zero 0
		.amdhsa_exception_fp_ieee_overflow 0
		.amdhsa_exception_fp_ieee_underflow 0
		.amdhsa_exception_fp_ieee_inexact 0
		.amdhsa_exception_int_div_zero 0
	.end_amdhsa_kernel
	.section	.text._ZL37rocblas_syrkx_herkx_restricted_kernelIifLi16ELi32ELi8ELi1ELi0ELb0ELc84ELc85EKffEviT_PT9_S1_lS3_S1_lPT10_S1_li,"axG",@progbits,_ZL37rocblas_syrkx_herkx_restricted_kernelIifLi16ELi32ELi8ELi1ELi0ELb0ELc84ELc85EKffEviT_PT9_S1_lS3_S1_lPT10_S1_li,comdat
.Lfunc_end17:
	.size	_ZL37rocblas_syrkx_herkx_restricted_kernelIifLi16ELi32ELi8ELi1ELi0ELb0ELc84ELc85EKffEviT_PT9_S1_lS3_S1_lPT10_S1_li, .Lfunc_end17-_ZL37rocblas_syrkx_herkx_restricted_kernelIifLi16ELi32ELi8ELi1ELi0ELb0ELc84ELc85EKffEviT_PT9_S1_lS3_S1_lPT10_S1_li
                                        ; -- End function
	.set _ZL37rocblas_syrkx_herkx_restricted_kernelIifLi16ELi32ELi8ELi1ELi0ELb0ELc84ELc85EKffEviT_PT9_S1_lS3_S1_lPT10_S1_li.num_vgpr, 26
	.set _ZL37rocblas_syrkx_herkx_restricted_kernelIifLi16ELi32ELi8ELi1ELi0ELb0ELc84ELc85EKffEviT_PT9_S1_lS3_S1_lPT10_S1_li.num_agpr, 0
	.set _ZL37rocblas_syrkx_herkx_restricted_kernelIifLi16ELi32ELi8ELi1ELi0ELb0ELc84ELc85EKffEviT_PT9_S1_lS3_S1_lPT10_S1_li.numbered_sgpr, 22
	.set _ZL37rocblas_syrkx_herkx_restricted_kernelIifLi16ELi32ELi8ELi1ELi0ELb0ELc84ELc85EKffEviT_PT9_S1_lS3_S1_lPT10_S1_li.num_named_barrier, 0
	.set _ZL37rocblas_syrkx_herkx_restricted_kernelIifLi16ELi32ELi8ELi1ELi0ELb0ELc84ELc85EKffEviT_PT9_S1_lS3_S1_lPT10_S1_li.private_seg_size, 0
	.set _ZL37rocblas_syrkx_herkx_restricted_kernelIifLi16ELi32ELi8ELi1ELi0ELb0ELc84ELc85EKffEviT_PT9_S1_lS3_S1_lPT10_S1_li.uses_vcc, 1
	.set _ZL37rocblas_syrkx_herkx_restricted_kernelIifLi16ELi32ELi8ELi1ELi0ELb0ELc84ELc85EKffEviT_PT9_S1_lS3_S1_lPT10_S1_li.uses_flat_scratch, 0
	.set _ZL37rocblas_syrkx_herkx_restricted_kernelIifLi16ELi32ELi8ELi1ELi0ELb0ELc84ELc85EKffEviT_PT9_S1_lS3_S1_lPT10_S1_li.has_dyn_sized_stack, 0
	.set _ZL37rocblas_syrkx_herkx_restricted_kernelIifLi16ELi32ELi8ELi1ELi0ELb0ELc84ELc85EKffEviT_PT9_S1_lS3_S1_lPT10_S1_li.has_recursion, 0
	.set _ZL37rocblas_syrkx_herkx_restricted_kernelIifLi16ELi32ELi8ELi1ELi0ELb0ELc84ELc85EKffEviT_PT9_S1_lS3_S1_lPT10_S1_li.has_indirect_call, 0
	.section	.AMDGPU.csdata,"",@progbits
; Kernel info:
; codeLenInByte = 1032
; TotalNumSgprs: 26
; NumVgprs: 26
; ScratchSize: 0
; MemoryBound: 0
; FloatMode: 240
; IeeeMode: 1
; LDSByteSize: 2048 bytes/workgroup (compile time only)
; SGPRBlocks: 3
; VGPRBlocks: 6
; NumSGPRsForWavesPerEU: 26
; NumVGPRsForWavesPerEU: 26
; Occupancy: 9
; WaveLimiterHint : 0
; COMPUTE_PGM_RSRC2:SCRATCH_EN: 0
; COMPUTE_PGM_RSRC2:USER_SGPR: 6
; COMPUTE_PGM_RSRC2:TRAP_HANDLER: 0
; COMPUTE_PGM_RSRC2:TGID_X_EN: 1
; COMPUTE_PGM_RSRC2:TGID_Y_EN: 1
; COMPUTE_PGM_RSRC2:TGID_Z_EN: 1
; COMPUTE_PGM_RSRC2:TIDIG_COMP_CNT: 1
	.section	.text._ZL37rocblas_syrkx_herkx_restricted_kernelIifLi16ELi32ELi8ELi1ELi0ELb0ELc67ELc85EKffEviT_PT9_S1_lS3_S1_lPT10_S1_li,"axG",@progbits,_ZL37rocblas_syrkx_herkx_restricted_kernelIifLi16ELi32ELi8ELi1ELi0ELb0ELc67ELc85EKffEviT_PT9_S1_lS3_S1_lPT10_S1_li,comdat
	.globl	_ZL37rocblas_syrkx_herkx_restricted_kernelIifLi16ELi32ELi8ELi1ELi0ELb0ELc67ELc85EKffEviT_PT9_S1_lS3_S1_lPT10_S1_li ; -- Begin function _ZL37rocblas_syrkx_herkx_restricted_kernelIifLi16ELi32ELi8ELi1ELi0ELb0ELc67ELc85EKffEviT_PT9_S1_lS3_S1_lPT10_S1_li
	.p2align	8
	.type	_ZL37rocblas_syrkx_herkx_restricted_kernelIifLi16ELi32ELi8ELi1ELi0ELb0ELc67ELc85EKffEviT_PT9_S1_lS3_S1_lPT10_S1_li,@function
_ZL37rocblas_syrkx_herkx_restricted_kernelIifLi16ELi32ELi8ELi1ELi0ELb0ELc67ELc85EKffEviT_PT9_S1_lS3_S1_lPT10_S1_li: ; @_ZL37rocblas_syrkx_herkx_restricted_kernelIifLi16ELi32ELi8ELi1ELi0ELb0ELc67ELc85EKffEviT_PT9_S1_lS3_S1_lPT10_S1_li
; %bb.0:
	s_load_dwordx2 s[10:11], s[4:5], 0x0
	s_load_dwordx4 s[0:3], s[4:5], 0x30
	s_lshl_b32 s6, s6, 5
	s_lshl_b32 s7, s7, 5
	s_mov_b32 s9, 0
	s_waitcnt lgkmcnt(0)
	s_cmp_lt_i32 s11, 1
	s_cbranch_scc1 .LBB18_3
; %bb.1:
	s_load_dwordx2 s[16:17], s[4:5], 0x8
	s_load_dword s20, s[4:5], 0x10
	s_load_dwordx4 s[12:15], s[4:5], 0x18
	s_load_dword s18, s[4:5], 0x28
	v_lshl_add_u32 v4, v1, 4, v0
	v_lshrrev_b32_e32 v8, 3, v4
	v_add_u32_e32 v5, s7, v8
	v_and_b32_e32 v2, 7, v0
	v_mov_b32_e32 v3, 0
	s_waitcnt lgkmcnt(0)
	v_mad_i64_i32 v[6:7], s[18:19], s18, v5, v[2:3]
	v_lshlrev_b32_e32 v2, 2, v2
	v_lshl_or_b32 v2, v8, 5, v2
	v_and_b32_e32 v9, 31, v4
	v_add_u32_e32 v11, 0x400, v2
	v_mov_b32_e32 v2, 0x400
	v_lshrrev_b32_e32 v4, 5, v4
	v_mov_b32_e32 v5, v3
	v_lshlrev_b32_e32 v10, 2, v9
	v_lshl_add_u32 v13, v1, 5, v2
	v_add_u32_e32 v2, s6, v9
	v_lshl_or_b32 v10, v4, 7, v10
	v_mad_i64_i32 v[4:5], s[18:19], s20, v2, v[4:5]
	s_mul_i32 s13, s13, s8
	s_mul_hi_u32 s21, s12, s8
	s_add_i32 s13, s21, s13
	s_mul_i32 s12, s12, s8
	s_lshl_b64 s[12:13], s[12:13], 2
	v_lshlrev_b64 v[4:5], 2, v[4:5]
	s_add_u32 s12, s16, s12
	v_add_co_u32_e32 v4, vcc, s12, v4
	s_mul_i32 s1, s1, s8
	s_mul_hi_u32 s12, s0, s8
	s_addc_u32 s13, s17, s13
	s_add_i32 s1, s12, s1
	s_mul_i32 s0, s0, s8
	s_lshl_b64 s[0:1], s[0:1], 2
	v_mov_b32_e32 v2, s13
	v_lshlrev_b64 v[6:7], 2, v[6:7]
	s_add_u32 s0, s14, s0
	v_addc_co_u32_e32 v5, vcc, v2, v5, vcc
	s_addc_u32 s1, s15, s1
	v_mov_b32_e32 v2, s1
	v_add_co_u32_e32 v6, vcc, s0, v6
	v_lshlrev_b32_e32 v12, 2, v0
	v_addc_co_u32_e32 v7, vcc, v2, v7, vcc
	v_mov_b32_e32 v2, v3
	v_mov_b32_e32 v8, v3
	;; [unrolled: 1-line block ×3, first 2 shown]
.LBB18_2:                               ; =>This Inner Loop Header: Depth=1
	global_load_dword v14, v[4:5], off
	s_add_i32 s9, s9, 8
	v_add_co_u32_e32 v4, vcc, 32, v4
	v_addc_co_u32_e32 v5, vcc, 0, v5, vcc
	s_cmp_ge_i32 s9, s11
	s_waitcnt vmcnt(0)
	ds_write_b32 v10, v14
	global_load_dword v14, v[6:7], off
	v_add_co_u32_e64 v6, s[0:1], 32, v6
	v_addc_co_u32_e64 v7, vcc, 0, v7, s[0:1]
	s_waitcnt vmcnt(0)
	ds_write_b32 v11, v14
	s_waitcnt lgkmcnt(0)
	s_barrier
	ds_read2_b32 v[18:19], v12 offset1:16
	ds_read_b128 v[14:17], v13
	ds_read2_b32 v[20:21], v12 offset0:32 offset1:48
	ds_read2_b32 v[22:23], v12 offset0:64 offset1:80
	;; [unrolled: 1-line block ×3, first 2 shown]
	s_waitcnt lgkmcnt(3)
	v_fmac_f32_e32 v9, v18, v14
	v_fmac_f32_e32 v8, v19, v14
	s_waitcnt lgkmcnt(2)
	v_fmac_f32_e32 v9, v20, v15
	v_fmac_f32_e32 v8, v21, v15
	;; [unrolled: 3-line block ×4, first 2 shown]
	ds_read_b128 v[14:17], v13 offset:512
	s_waitcnt lgkmcnt(0)
	v_fmac_f32_e32 v2, v18, v14
	v_fmac_f32_e32 v3, v19, v14
	;; [unrolled: 1-line block ×8, first 2 shown]
	ds_read2_b32 v[18:19], v12 offset0:128 offset1:144
	ds_read_b128 v[14:17], v13 offset:16
	ds_read2_b32 v[20:21], v12 offset0:160 offset1:176
	ds_read2_b32 v[22:23], v12 offset0:192 offset1:208
	;; [unrolled: 1-line block ×3, first 2 shown]
	s_waitcnt lgkmcnt(3)
	v_fmac_f32_e32 v9, v18, v14
	v_fmac_f32_e32 v8, v19, v14
	s_waitcnt lgkmcnt(2)
	v_fmac_f32_e32 v9, v20, v15
	v_fmac_f32_e32 v8, v21, v15
	;; [unrolled: 3-line block ×4, first 2 shown]
	ds_read_b128 v[14:17], v13 offset:528
	s_waitcnt lgkmcnt(0)
	s_barrier
	v_fmac_f32_e32 v2, v18, v14
	v_fmac_f32_e32 v3, v19, v14
	;; [unrolled: 1-line block ×8, first 2 shown]
	s_cbranch_scc0 .LBB18_2
	s_branch .LBB18_4
.LBB18_3:
	v_mov_b32_e32 v9, 0
	v_mov_b32_e32 v8, 0
	v_mov_b32_e32 v2, 0
	v_mov_b32_e32 v3, 0
.LBB18_4:
	s_load_dwordx2 s[0:1], s[4:5], 0x48
	s_load_dword s9, s[4:5], 0x40
	v_add_u32_e32 v6, s7, v1
	v_add_u32_e32 v0, s6, v0
	v_cmp_gt_i32_e32 vcc, s10, v6
	s_waitcnt lgkmcnt(0)
	s_mul_i32 s1, s1, s8
	v_mad_i64_i32 v[4:5], s[12:13], v6, s9, 0
	s_mul_hi_u32 s4, s0, s8
	s_mul_i32 s0, s0, s8
	s_add_i32 s1, s4, s1
	s_lshl_b64 s[0:1], s[0:1], 2
	s_add_u32 s4, s2, s0
	v_lshlrev_b64 v[4:5], 2, v[4:5]
	s_addc_u32 s5, s3, s1
	v_mov_b32_e32 v1, s5
	v_add_co_u32_e64 v7, s[0:1], s4, v4
	v_addc_co_u32_e64 v10, s[0:1], v1, v5, s[0:1]
	v_cmp_le_i32_e64 s[0:1], v0, v6
	s_and_b64 s[0:1], vcc, s[0:1]
	s_and_saveexec_b64 s[2:3], s[0:1]
	s_cbranch_execz .LBB18_6
; %bb.5:
	v_ashrrev_i32_e32 v1, 31, v0
	v_lshlrev_b64 v[4:5], 2, v[0:1]
	v_add_co_u32_e64 v4, s[0:1], v7, v4
	v_addc_co_u32_e64 v5, s[0:1], v10, v5, s[0:1]
	global_store_dword v[4:5], v9, off
.LBB18_6:
	s_or_b64 exec, exec, s[2:3]
	v_add_u32_e32 v4, 16, v0
	v_cmp_le_i32_e64 s[0:1], v4, v6
	s_and_b64 s[2:3], vcc, s[0:1]
	s_and_saveexec_b64 s[0:1], s[2:3]
	s_cbranch_execz .LBB18_8
; %bb.7:
	v_ashrrev_i32_e32 v5, 31, v4
	v_lshlrev_b64 v[11:12], 2, v[4:5]
	v_add_co_u32_e32 v9, vcc, v7, v11
	v_addc_co_u32_e32 v10, vcc, v10, v12, vcc
	global_store_dword v[9:10], v8, off
.LBB18_8:
	s_or_b64 exec, exec, s[0:1]
	v_add_u32_e32 v5, 16, v6
	v_mad_i64_i32 v[6:7], s[0:1], v5, s9, 0
	v_mov_b32_e32 v1, s5
	v_cmp_gt_i32_e32 vcc, s10, v5
	v_lshlrev_b64 v[6:7], 2, v[6:7]
	v_add_co_u32_e64 v6, s[0:1], s4, v6
	v_addc_co_u32_e64 v7, s[0:1], v1, v7, s[0:1]
	v_cmp_le_i32_e64 s[0:1], v0, v5
	s_and_b64 s[0:1], vcc, s[0:1]
	s_and_saveexec_b64 s[2:3], s[0:1]
	s_cbranch_execz .LBB18_10
; %bb.9:
	v_ashrrev_i32_e32 v1, 31, v0
	v_lshlrev_b64 v[0:1], 2, v[0:1]
	v_add_co_u32_e64 v0, s[0:1], v6, v0
	v_addc_co_u32_e64 v1, s[0:1], v7, v1, s[0:1]
	global_store_dword v[0:1], v2, off
.LBB18_10:
	s_or_b64 exec, exec, s[2:3]
	v_cmp_le_i32_e64 s[0:1], v4, v5
	s_and_b64 s[0:1], vcc, s[0:1]
	s_and_saveexec_b64 s[2:3], s[0:1]
	s_cbranch_execz .LBB18_12
; %bb.11:
	v_ashrrev_i32_e32 v5, 31, v4
	v_lshlrev_b64 v[0:1], 2, v[4:5]
	v_add_co_u32_e32 v0, vcc, v6, v0
	v_addc_co_u32_e32 v1, vcc, v7, v1, vcc
	global_store_dword v[0:1], v3, off
.LBB18_12:
	s_endpgm
	.section	.rodata,"a",@progbits
	.p2align	6, 0x0
	.amdhsa_kernel _ZL37rocblas_syrkx_herkx_restricted_kernelIifLi16ELi32ELi8ELi1ELi0ELb0ELc67ELc85EKffEviT_PT9_S1_lS3_S1_lPT10_S1_li
		.amdhsa_group_segment_fixed_size 2048
		.amdhsa_private_segment_fixed_size 0
		.amdhsa_kernarg_size 84
		.amdhsa_user_sgpr_count 6
		.amdhsa_user_sgpr_private_segment_buffer 1
		.amdhsa_user_sgpr_dispatch_ptr 0
		.amdhsa_user_sgpr_queue_ptr 0
		.amdhsa_user_sgpr_kernarg_segment_ptr 1
		.amdhsa_user_sgpr_dispatch_id 0
		.amdhsa_user_sgpr_flat_scratch_init 0
		.amdhsa_user_sgpr_private_segment_size 0
		.amdhsa_uses_dynamic_stack 0
		.amdhsa_system_sgpr_private_segment_wavefront_offset 0
		.amdhsa_system_sgpr_workgroup_id_x 1
		.amdhsa_system_sgpr_workgroup_id_y 1
		.amdhsa_system_sgpr_workgroup_id_z 1
		.amdhsa_system_sgpr_workgroup_info 0
		.amdhsa_system_vgpr_workitem_id 1
		.amdhsa_next_free_vgpr 26
		.amdhsa_next_free_sgpr 22
		.amdhsa_reserve_vcc 1
		.amdhsa_reserve_flat_scratch 0
		.amdhsa_float_round_mode_32 0
		.amdhsa_float_round_mode_16_64 0
		.amdhsa_float_denorm_mode_32 3
		.amdhsa_float_denorm_mode_16_64 3
		.amdhsa_dx10_clamp 1
		.amdhsa_ieee_mode 1
		.amdhsa_fp16_overflow 0
		.amdhsa_exception_fp_ieee_invalid_op 0
		.amdhsa_exception_fp_denorm_src 0
		.amdhsa_exception_fp_ieee_div_zero 0
		.amdhsa_exception_fp_ieee_overflow 0
		.amdhsa_exception_fp_ieee_underflow 0
		.amdhsa_exception_fp_ieee_inexact 0
		.amdhsa_exception_int_div_zero 0
	.end_amdhsa_kernel
	.section	.text._ZL37rocblas_syrkx_herkx_restricted_kernelIifLi16ELi32ELi8ELi1ELi0ELb0ELc67ELc85EKffEviT_PT9_S1_lS3_S1_lPT10_S1_li,"axG",@progbits,_ZL37rocblas_syrkx_herkx_restricted_kernelIifLi16ELi32ELi8ELi1ELi0ELb0ELc67ELc85EKffEviT_PT9_S1_lS3_S1_lPT10_S1_li,comdat
.Lfunc_end18:
	.size	_ZL37rocblas_syrkx_herkx_restricted_kernelIifLi16ELi32ELi8ELi1ELi0ELb0ELc67ELc85EKffEviT_PT9_S1_lS3_S1_lPT10_S1_li, .Lfunc_end18-_ZL37rocblas_syrkx_herkx_restricted_kernelIifLi16ELi32ELi8ELi1ELi0ELb0ELc67ELc85EKffEviT_PT9_S1_lS3_S1_lPT10_S1_li
                                        ; -- End function
	.set _ZL37rocblas_syrkx_herkx_restricted_kernelIifLi16ELi32ELi8ELi1ELi0ELb0ELc67ELc85EKffEviT_PT9_S1_lS3_S1_lPT10_S1_li.num_vgpr, 26
	.set _ZL37rocblas_syrkx_herkx_restricted_kernelIifLi16ELi32ELi8ELi1ELi0ELb0ELc67ELc85EKffEviT_PT9_S1_lS3_S1_lPT10_S1_li.num_agpr, 0
	.set _ZL37rocblas_syrkx_herkx_restricted_kernelIifLi16ELi32ELi8ELi1ELi0ELb0ELc67ELc85EKffEviT_PT9_S1_lS3_S1_lPT10_S1_li.numbered_sgpr, 22
	.set _ZL37rocblas_syrkx_herkx_restricted_kernelIifLi16ELi32ELi8ELi1ELi0ELb0ELc67ELc85EKffEviT_PT9_S1_lS3_S1_lPT10_S1_li.num_named_barrier, 0
	.set _ZL37rocblas_syrkx_herkx_restricted_kernelIifLi16ELi32ELi8ELi1ELi0ELb0ELc67ELc85EKffEviT_PT9_S1_lS3_S1_lPT10_S1_li.private_seg_size, 0
	.set _ZL37rocblas_syrkx_herkx_restricted_kernelIifLi16ELi32ELi8ELi1ELi0ELb0ELc67ELc85EKffEviT_PT9_S1_lS3_S1_lPT10_S1_li.uses_vcc, 1
	.set _ZL37rocblas_syrkx_herkx_restricted_kernelIifLi16ELi32ELi8ELi1ELi0ELb0ELc67ELc85EKffEviT_PT9_S1_lS3_S1_lPT10_S1_li.uses_flat_scratch, 0
	.set _ZL37rocblas_syrkx_herkx_restricted_kernelIifLi16ELi32ELi8ELi1ELi0ELb0ELc67ELc85EKffEviT_PT9_S1_lS3_S1_lPT10_S1_li.has_dyn_sized_stack, 0
	.set _ZL37rocblas_syrkx_herkx_restricted_kernelIifLi16ELi32ELi8ELi1ELi0ELb0ELc67ELc85EKffEviT_PT9_S1_lS3_S1_lPT10_S1_li.has_recursion, 0
	.set _ZL37rocblas_syrkx_herkx_restricted_kernelIifLi16ELi32ELi8ELi1ELi0ELb0ELc67ELc85EKffEviT_PT9_S1_lS3_S1_lPT10_S1_li.has_indirect_call, 0
	.section	.AMDGPU.csdata,"",@progbits
; Kernel info:
; codeLenInByte = 1032
; TotalNumSgprs: 26
; NumVgprs: 26
; ScratchSize: 0
; MemoryBound: 0
; FloatMode: 240
; IeeeMode: 1
; LDSByteSize: 2048 bytes/workgroup (compile time only)
; SGPRBlocks: 3
; VGPRBlocks: 6
; NumSGPRsForWavesPerEU: 26
; NumVGPRsForWavesPerEU: 26
; Occupancy: 9
; WaveLimiterHint : 0
; COMPUTE_PGM_RSRC2:SCRATCH_EN: 0
; COMPUTE_PGM_RSRC2:USER_SGPR: 6
; COMPUTE_PGM_RSRC2:TRAP_HANDLER: 0
; COMPUTE_PGM_RSRC2:TGID_X_EN: 1
; COMPUTE_PGM_RSRC2:TGID_Y_EN: 1
; COMPUTE_PGM_RSRC2:TGID_Z_EN: 1
; COMPUTE_PGM_RSRC2:TIDIG_COMP_CNT: 1
	.section	.text._ZL37rocblas_syrkx_herkx_restricted_kernelIifLi16ELi32ELi8ELi1ELi0ELb0ELc78ELc85EKffEviT_PT9_S1_lS3_S1_lPT10_S1_li,"axG",@progbits,_ZL37rocblas_syrkx_herkx_restricted_kernelIifLi16ELi32ELi8ELi1ELi0ELb0ELc78ELc85EKffEviT_PT9_S1_lS3_S1_lPT10_S1_li,comdat
	.globl	_ZL37rocblas_syrkx_herkx_restricted_kernelIifLi16ELi32ELi8ELi1ELi0ELb0ELc78ELc85EKffEviT_PT9_S1_lS3_S1_lPT10_S1_li ; -- Begin function _ZL37rocblas_syrkx_herkx_restricted_kernelIifLi16ELi32ELi8ELi1ELi0ELb0ELc78ELc85EKffEviT_PT9_S1_lS3_S1_lPT10_S1_li
	.p2align	8
	.type	_ZL37rocblas_syrkx_herkx_restricted_kernelIifLi16ELi32ELi8ELi1ELi0ELb0ELc78ELc85EKffEviT_PT9_S1_lS3_S1_lPT10_S1_li,@function
_ZL37rocblas_syrkx_herkx_restricted_kernelIifLi16ELi32ELi8ELi1ELi0ELb0ELc78ELc85EKffEviT_PT9_S1_lS3_S1_lPT10_S1_li: ; @_ZL37rocblas_syrkx_herkx_restricted_kernelIifLi16ELi32ELi8ELi1ELi0ELb0ELc78ELc85EKffEviT_PT9_S1_lS3_S1_lPT10_S1_li
; %bb.0:
	s_load_dwordx2 s[10:11], s[4:5], 0x0
	s_load_dwordx4 s[0:3], s[4:5], 0x30
	s_lshl_b32 s9, s6, 5
	s_lshl_b32 s16, s7, 5
	s_mov_b32 s17, 0
	s_waitcnt lgkmcnt(0)
	s_cmp_lt_i32 s11, 1
	s_cbranch_scc1 .LBB19_3
; %bb.1:
	v_lshl_add_u32 v7, v1, 4, v0
	s_load_dword s6, s[4:5], 0x10
	s_load_dword s18, s[4:5], 0x28
	s_load_dwordx2 s[20:21], s[4:5], 0x8
	s_load_dwordx4 s[12:15], s[4:5], 0x18
	v_lshrrev_b32_e32 v8, 3, v7
	v_add_u32_e32 v2, s16, v8
	v_and_b32_e32 v6, 7, v0
	v_ashrrev_i32_e32 v3, 31, v2
	s_waitcnt lgkmcnt(0)
	v_mad_i64_i32 v[4:5], s[22:23], s18, v6, v[2:3]
	v_and_b32_e32 v2, 31, v7
	v_lshrrev_b32_e32 v9, 5, v7
	v_lshlrev_b32_e32 v3, 2, v2
	v_lshl_or_b32 v10, v9, 7, v3
	v_lshlrev_b32_e32 v3, 2, v6
	v_lshl_or_b32 v3, v8, 5, v3
	v_add_u32_e32 v11, 0x400, v3
	v_mov_b32_e32 v3, 0x400
	v_add_u32_e32 v2, s9, v2
	v_lshl_add_u32 v13, v1, 5, v3
	v_ashrrev_i32_e32 v3, 31, v2
	v_mad_i64_i32 v[2:3], s[22:23], s6, v9, v[2:3]
	s_mul_i32 s13, s13, s8
	s_mul_hi_u32 s24, s12, s8
	s_add_i32 s13, s24, s13
	s_mul_i32 s12, s12, s8
	s_ashr_i32 s7, s6, 31
	s_ashr_i32 s19, s18, 31
	s_lshl_b64 s[12:13], s[12:13], 2
	v_lshlrev_b64 v[2:3], 2, v[2:3]
	s_add_u32 s12, s20, s12
	v_add_co_u32_e32 v2, vcc, s12, v2
	s_mul_i32 s1, s1, s8
	s_mul_hi_u32 s12, s0, s8
	s_addc_u32 s13, s21, s13
	s_add_i32 s1, s12, s1
	s_mul_i32 s0, s0, s8
	s_lshl_b64 s[6:7], s[6:7], 5
	s_lshl_b64 s[0:1], s[0:1], 2
	v_mov_b32_e32 v6, s13
	v_lshlrev_b64 v[4:5], 2, v[4:5]
	s_add_u32 s0, s14, s0
	v_addc_co_u32_e32 v3, vcc, v6, v3, vcc
	s_addc_u32 s1, s15, s1
	v_mov_b32_e32 v6, s1
	v_add_co_u32_e32 v4, vcc, s0, v4
	s_lshl_b64 s[12:13], s[18:19], 5
	v_lshlrev_b32_e32 v12, 2, v0
	v_addc_co_u32_e32 v5, vcc, v6, v5, vcc
	v_mov_b32_e32 v6, 0
	v_mov_b32_e32 v14, s7
	;; [unrolled: 1-line block ×6, first 2 shown]
.LBB19_2:                               ; =>This Inner Loop Header: Depth=1
	global_load_dword v16, v[2:3], off
	global_load_dword v17, v[4:5], off
	s_add_i32 s17, s17, 8
	v_add_co_u32_e32 v2, vcc, s6, v2
	v_add_co_u32_e64 v4, s[0:1], s12, v4
	v_addc_co_u32_e32 v3, vcc, v3, v14, vcc
	v_addc_co_u32_e64 v5, vcc, v5, v15, s[0:1]
	s_cmp_ge_i32 s17, s11
	s_waitcnt vmcnt(1)
	ds_write_b32 v10, v16
	s_waitcnt vmcnt(0)
	ds_write_b32 v11, v17
	s_waitcnt lgkmcnt(0)
	s_barrier
	ds_read2_b32 v[20:21], v12 offset1:16
	ds_read_b128 v[16:19], v13
	ds_read2_b32 v[22:23], v12 offset0:32 offset1:48
	ds_read2_b32 v[24:25], v12 offset0:64 offset1:80
	;; [unrolled: 1-line block ×3, first 2 shown]
	s_waitcnt lgkmcnt(3)
	v_fmac_f32_e32 v9, v20, v16
	v_fmac_f32_e32 v8, v21, v16
	s_waitcnt lgkmcnt(2)
	v_fmac_f32_e32 v9, v22, v17
	v_fmac_f32_e32 v8, v23, v17
	;; [unrolled: 3-line block ×4, first 2 shown]
	ds_read_b128 v[16:19], v13 offset:512
	s_waitcnt lgkmcnt(0)
	v_fmac_f32_e32 v7, v20, v16
	v_fmac_f32_e32 v6, v21, v16
	;; [unrolled: 1-line block ×8, first 2 shown]
	ds_read2_b32 v[20:21], v12 offset0:128 offset1:144
	ds_read_b128 v[16:19], v13 offset:16
	ds_read2_b32 v[22:23], v12 offset0:160 offset1:176
	ds_read2_b32 v[24:25], v12 offset0:192 offset1:208
	;; [unrolled: 1-line block ×3, first 2 shown]
	s_waitcnt lgkmcnt(3)
	v_fmac_f32_e32 v9, v20, v16
	v_fmac_f32_e32 v8, v21, v16
	s_waitcnt lgkmcnt(2)
	v_fmac_f32_e32 v9, v22, v17
	v_fmac_f32_e32 v8, v23, v17
	;; [unrolled: 3-line block ×4, first 2 shown]
	ds_read_b128 v[16:19], v13 offset:528
	s_waitcnt lgkmcnt(0)
	s_barrier
	v_fmac_f32_e32 v7, v20, v16
	v_fmac_f32_e32 v6, v21, v16
	;; [unrolled: 1-line block ×8, first 2 shown]
	s_cbranch_scc0 .LBB19_2
	s_branch .LBB19_4
.LBB19_3:
	v_mov_b32_e32 v9, 0
	v_mov_b32_e32 v8, 0
	;; [unrolled: 1-line block ×4, first 2 shown]
.LBB19_4:
	s_load_dwordx2 s[0:1], s[4:5], 0x48
	s_load_dword s6, s[4:5], 0x40
	v_add_u32_e32 v4, s16, v1
	v_add_u32_e32 v0, s9, v0
	v_cmp_gt_i32_e32 vcc, s10, v4
	s_waitcnt lgkmcnt(0)
	s_mul_i32 s1, s1, s8
	v_mad_i64_i32 v[1:2], s[12:13], v4, s6, 0
	s_mul_hi_u32 s4, s0, s8
	s_mul_i32 s0, s0, s8
	s_add_i32 s1, s4, s1
	s_lshl_b64 s[0:1], s[0:1], 2
	s_add_u32 s4, s2, s0
	v_lshlrev_b64 v[1:2], 2, v[1:2]
	s_addc_u32 s5, s3, s1
	v_mov_b32_e32 v3, s5
	v_add_co_u32_e64 v5, s[0:1], s4, v1
	v_addc_co_u32_e64 v10, s[0:1], v3, v2, s[0:1]
	v_cmp_le_i32_e64 s[0:1], v0, v4
	s_and_b64 s[0:1], vcc, s[0:1]
	s_and_saveexec_b64 s[2:3], s[0:1]
	s_cbranch_execz .LBB19_6
; %bb.5:
	v_ashrrev_i32_e32 v1, 31, v0
	v_lshlrev_b64 v[1:2], 2, v[0:1]
	v_add_co_u32_e64 v1, s[0:1], v5, v1
	v_addc_co_u32_e64 v2, s[0:1], v10, v2, s[0:1]
	global_store_dword v[1:2], v9, off
.LBB19_6:
	s_or_b64 exec, exec, s[2:3]
	v_add_u32_e32 v2, 16, v0
	v_cmp_le_i32_e64 s[0:1], v2, v4
	s_and_b64 s[2:3], vcc, s[0:1]
	s_and_saveexec_b64 s[0:1], s[2:3]
	s_cbranch_execz .LBB19_8
; %bb.7:
	v_ashrrev_i32_e32 v3, 31, v2
	v_lshlrev_b64 v[11:12], 2, v[2:3]
	v_add_co_u32_e32 v9, vcc, v5, v11
	v_addc_co_u32_e32 v10, vcc, v10, v12, vcc
	global_store_dword v[9:10], v8, off
.LBB19_8:
	s_or_b64 exec, exec, s[0:1]
	v_add_u32_e32 v3, 16, v4
	v_mad_i64_i32 v[4:5], s[0:1], v3, s6, 0
	v_mov_b32_e32 v1, s5
	v_cmp_gt_i32_e32 vcc, s10, v3
	v_lshlrev_b64 v[4:5], 2, v[4:5]
	v_add_co_u32_e64 v4, s[0:1], s4, v4
	v_addc_co_u32_e64 v5, s[0:1], v1, v5, s[0:1]
	v_cmp_le_i32_e64 s[0:1], v0, v3
	s_and_b64 s[0:1], vcc, s[0:1]
	s_and_saveexec_b64 s[2:3], s[0:1]
	s_cbranch_execz .LBB19_10
; %bb.9:
	v_ashrrev_i32_e32 v1, 31, v0
	v_lshlrev_b64 v[0:1], 2, v[0:1]
	v_add_co_u32_e64 v0, s[0:1], v4, v0
	v_addc_co_u32_e64 v1, s[0:1], v5, v1, s[0:1]
	global_store_dword v[0:1], v7, off
.LBB19_10:
	s_or_b64 exec, exec, s[2:3]
	v_cmp_le_i32_e64 s[0:1], v2, v3
	s_and_b64 s[0:1], vcc, s[0:1]
	s_and_saveexec_b64 s[2:3], s[0:1]
	s_cbranch_execz .LBB19_12
; %bb.11:
	v_ashrrev_i32_e32 v3, 31, v2
	v_lshlrev_b64 v[0:1], 2, v[2:3]
	v_add_co_u32_e32 v0, vcc, v4, v0
	v_addc_co_u32_e32 v1, vcc, v5, v1, vcc
	global_store_dword v[0:1], v6, off
.LBB19_12:
	s_endpgm
	.section	.rodata,"a",@progbits
	.p2align	6, 0x0
	.amdhsa_kernel _ZL37rocblas_syrkx_herkx_restricted_kernelIifLi16ELi32ELi8ELi1ELi0ELb0ELc78ELc85EKffEviT_PT9_S1_lS3_S1_lPT10_S1_li
		.amdhsa_group_segment_fixed_size 2048
		.amdhsa_private_segment_fixed_size 0
		.amdhsa_kernarg_size 84
		.amdhsa_user_sgpr_count 6
		.amdhsa_user_sgpr_private_segment_buffer 1
		.amdhsa_user_sgpr_dispatch_ptr 0
		.amdhsa_user_sgpr_queue_ptr 0
		.amdhsa_user_sgpr_kernarg_segment_ptr 1
		.amdhsa_user_sgpr_dispatch_id 0
		.amdhsa_user_sgpr_flat_scratch_init 0
		.amdhsa_user_sgpr_private_segment_size 0
		.amdhsa_uses_dynamic_stack 0
		.amdhsa_system_sgpr_private_segment_wavefront_offset 0
		.amdhsa_system_sgpr_workgroup_id_x 1
		.amdhsa_system_sgpr_workgroup_id_y 1
		.amdhsa_system_sgpr_workgroup_id_z 1
		.amdhsa_system_sgpr_workgroup_info 0
		.amdhsa_system_vgpr_workitem_id 1
		.amdhsa_next_free_vgpr 28
		.amdhsa_next_free_sgpr 25
		.amdhsa_reserve_vcc 1
		.amdhsa_reserve_flat_scratch 0
		.amdhsa_float_round_mode_32 0
		.amdhsa_float_round_mode_16_64 0
		.amdhsa_float_denorm_mode_32 3
		.amdhsa_float_denorm_mode_16_64 3
		.amdhsa_dx10_clamp 1
		.amdhsa_ieee_mode 1
		.amdhsa_fp16_overflow 0
		.amdhsa_exception_fp_ieee_invalid_op 0
		.amdhsa_exception_fp_denorm_src 0
		.amdhsa_exception_fp_ieee_div_zero 0
		.amdhsa_exception_fp_ieee_overflow 0
		.amdhsa_exception_fp_ieee_underflow 0
		.amdhsa_exception_fp_ieee_inexact 0
		.amdhsa_exception_int_div_zero 0
	.end_amdhsa_kernel
	.section	.text._ZL37rocblas_syrkx_herkx_restricted_kernelIifLi16ELi32ELi8ELi1ELi0ELb0ELc78ELc85EKffEviT_PT9_S1_lS3_S1_lPT10_S1_li,"axG",@progbits,_ZL37rocblas_syrkx_herkx_restricted_kernelIifLi16ELi32ELi8ELi1ELi0ELb0ELc78ELc85EKffEviT_PT9_S1_lS3_S1_lPT10_S1_li,comdat
.Lfunc_end19:
	.size	_ZL37rocblas_syrkx_herkx_restricted_kernelIifLi16ELi32ELi8ELi1ELi0ELb0ELc78ELc85EKffEviT_PT9_S1_lS3_S1_lPT10_S1_li, .Lfunc_end19-_ZL37rocblas_syrkx_herkx_restricted_kernelIifLi16ELi32ELi8ELi1ELi0ELb0ELc78ELc85EKffEviT_PT9_S1_lS3_S1_lPT10_S1_li
                                        ; -- End function
	.set _ZL37rocblas_syrkx_herkx_restricted_kernelIifLi16ELi32ELi8ELi1ELi0ELb0ELc78ELc85EKffEviT_PT9_S1_lS3_S1_lPT10_S1_li.num_vgpr, 28
	.set _ZL37rocblas_syrkx_herkx_restricted_kernelIifLi16ELi32ELi8ELi1ELi0ELb0ELc78ELc85EKffEviT_PT9_S1_lS3_S1_lPT10_S1_li.num_agpr, 0
	.set _ZL37rocblas_syrkx_herkx_restricted_kernelIifLi16ELi32ELi8ELi1ELi0ELb0ELc78ELc85EKffEviT_PT9_S1_lS3_S1_lPT10_S1_li.numbered_sgpr, 25
	.set _ZL37rocblas_syrkx_herkx_restricted_kernelIifLi16ELi32ELi8ELi1ELi0ELb0ELc78ELc85EKffEviT_PT9_S1_lS3_S1_lPT10_S1_li.num_named_barrier, 0
	.set _ZL37rocblas_syrkx_herkx_restricted_kernelIifLi16ELi32ELi8ELi1ELi0ELb0ELc78ELc85EKffEviT_PT9_S1_lS3_S1_lPT10_S1_li.private_seg_size, 0
	.set _ZL37rocblas_syrkx_herkx_restricted_kernelIifLi16ELi32ELi8ELi1ELi0ELb0ELc78ELc85EKffEviT_PT9_S1_lS3_S1_lPT10_S1_li.uses_vcc, 1
	.set _ZL37rocblas_syrkx_herkx_restricted_kernelIifLi16ELi32ELi8ELi1ELi0ELb0ELc78ELc85EKffEviT_PT9_S1_lS3_S1_lPT10_S1_li.uses_flat_scratch, 0
	.set _ZL37rocblas_syrkx_herkx_restricted_kernelIifLi16ELi32ELi8ELi1ELi0ELb0ELc78ELc85EKffEviT_PT9_S1_lS3_S1_lPT10_S1_li.has_dyn_sized_stack, 0
	.set _ZL37rocblas_syrkx_herkx_restricted_kernelIifLi16ELi32ELi8ELi1ELi0ELb0ELc78ELc85EKffEviT_PT9_S1_lS3_S1_lPT10_S1_li.has_recursion, 0
	.set _ZL37rocblas_syrkx_herkx_restricted_kernelIifLi16ELi32ELi8ELi1ELi0ELb0ELc78ELc85EKffEviT_PT9_S1_lS3_S1_lPT10_S1_li.has_indirect_call, 0
	.section	.AMDGPU.csdata,"",@progbits
; Kernel info:
; codeLenInByte = 1060
; TotalNumSgprs: 29
; NumVgprs: 28
; ScratchSize: 0
; MemoryBound: 0
; FloatMode: 240
; IeeeMode: 1
; LDSByteSize: 2048 bytes/workgroup (compile time only)
; SGPRBlocks: 3
; VGPRBlocks: 6
; NumSGPRsForWavesPerEU: 29
; NumVGPRsForWavesPerEU: 28
; Occupancy: 9
; WaveLimiterHint : 0
; COMPUTE_PGM_RSRC2:SCRATCH_EN: 0
; COMPUTE_PGM_RSRC2:USER_SGPR: 6
; COMPUTE_PGM_RSRC2:TRAP_HANDLER: 0
; COMPUTE_PGM_RSRC2:TGID_X_EN: 1
; COMPUTE_PGM_RSRC2:TGID_Y_EN: 1
; COMPUTE_PGM_RSRC2:TGID_Z_EN: 1
; COMPUTE_PGM_RSRC2:TIDIG_COMP_CNT: 1
	.section	.text._ZL37rocblas_syrkx_herkx_restricted_kernelIifLi16ELi32ELi8ELin1ELi0ELb0ELc84ELc76EKffEviT_PT9_S1_lS3_S1_lPT10_S1_li,"axG",@progbits,_ZL37rocblas_syrkx_herkx_restricted_kernelIifLi16ELi32ELi8ELin1ELi0ELb0ELc84ELc76EKffEviT_PT9_S1_lS3_S1_lPT10_S1_li,comdat
	.globl	_ZL37rocblas_syrkx_herkx_restricted_kernelIifLi16ELi32ELi8ELin1ELi0ELb0ELc84ELc76EKffEviT_PT9_S1_lS3_S1_lPT10_S1_li ; -- Begin function _ZL37rocblas_syrkx_herkx_restricted_kernelIifLi16ELi32ELi8ELin1ELi0ELb0ELc84ELc76EKffEviT_PT9_S1_lS3_S1_lPT10_S1_li
	.p2align	8
	.type	_ZL37rocblas_syrkx_herkx_restricted_kernelIifLi16ELi32ELi8ELin1ELi0ELb0ELc84ELc76EKffEviT_PT9_S1_lS3_S1_lPT10_S1_li,@function
_ZL37rocblas_syrkx_herkx_restricted_kernelIifLi16ELi32ELi8ELin1ELi0ELb0ELc84ELc76EKffEviT_PT9_S1_lS3_S1_lPT10_S1_li: ; @_ZL37rocblas_syrkx_herkx_restricted_kernelIifLi16ELi32ELi8ELin1ELi0ELb0ELc84ELc76EKffEviT_PT9_S1_lS3_S1_lPT10_S1_li
; %bb.0:
	s_load_dwordx2 s[10:11], s[4:5], 0x0
	s_load_dwordx4 s[0:3], s[4:5], 0x30
	s_lshl_b32 s6, s6, 5
	s_lshl_b32 s7, s7, 5
	s_mov_b32 s9, 0
	s_waitcnt lgkmcnt(0)
	s_cmp_lt_i32 s11, 1
	s_cbranch_scc1 .LBB20_3
; %bb.1:
	s_load_dwordx2 s[16:17], s[4:5], 0x8
	s_load_dword s20, s[4:5], 0x10
	s_load_dwordx4 s[12:15], s[4:5], 0x18
	s_load_dword s18, s[4:5], 0x28
	v_lshl_add_u32 v4, v1, 4, v0
	v_lshrrev_b32_e32 v8, 3, v4
	v_add_u32_e32 v5, s7, v8
	v_and_b32_e32 v2, 7, v0
	v_mov_b32_e32 v3, 0
	s_waitcnt lgkmcnt(0)
	v_mad_i64_i32 v[6:7], s[18:19], s18, v5, v[2:3]
	v_lshlrev_b32_e32 v2, 2, v2
	v_lshl_or_b32 v2, v8, 5, v2
	v_and_b32_e32 v9, 31, v4
	v_add_u32_e32 v11, 0x400, v2
	v_mov_b32_e32 v2, 0x400
	v_lshrrev_b32_e32 v4, 5, v4
	v_mov_b32_e32 v5, v3
	v_lshlrev_b32_e32 v10, 2, v9
	v_lshl_add_u32 v13, v1, 5, v2
	v_add_u32_e32 v2, s6, v9
	v_lshl_or_b32 v10, v4, 7, v10
	v_mad_i64_i32 v[4:5], s[18:19], s20, v2, v[4:5]
	s_mul_i32 s13, s13, s8
	s_mul_hi_u32 s21, s12, s8
	s_add_i32 s13, s21, s13
	s_mul_i32 s12, s12, s8
	s_lshl_b64 s[12:13], s[12:13], 2
	v_lshlrev_b64 v[4:5], 2, v[4:5]
	s_add_u32 s12, s16, s12
	v_add_co_u32_e32 v4, vcc, s12, v4
	s_mul_i32 s1, s1, s8
	s_mul_hi_u32 s12, s0, s8
	s_addc_u32 s13, s17, s13
	s_add_i32 s1, s12, s1
	s_mul_i32 s0, s0, s8
	s_lshl_b64 s[0:1], s[0:1], 2
	v_mov_b32_e32 v2, s13
	v_lshlrev_b64 v[6:7], 2, v[6:7]
	s_add_u32 s0, s14, s0
	v_addc_co_u32_e32 v5, vcc, v2, v5, vcc
	s_addc_u32 s1, s15, s1
	v_mov_b32_e32 v2, s1
	v_add_co_u32_e32 v6, vcc, s0, v6
	v_lshlrev_b32_e32 v12, 2, v0
	v_addc_co_u32_e32 v7, vcc, v2, v7, vcc
	v_mov_b32_e32 v2, v3
	v_mov_b32_e32 v8, v3
	;; [unrolled: 1-line block ×3, first 2 shown]
.LBB20_2:                               ; =>This Inner Loop Header: Depth=1
	global_load_dword v14, v[4:5], off
	s_add_i32 s9, s9, 8
	v_add_co_u32_e32 v4, vcc, 32, v4
	v_addc_co_u32_e32 v5, vcc, 0, v5, vcc
	s_cmp_ge_i32 s9, s11
	s_waitcnt vmcnt(0)
	ds_write_b32 v10, v14
	global_load_dword v14, v[6:7], off
	v_add_co_u32_e64 v6, s[0:1], 32, v6
	v_addc_co_u32_e64 v7, vcc, 0, v7, s[0:1]
	s_waitcnt vmcnt(0)
	ds_write_b32 v11, v14
	s_waitcnt lgkmcnt(0)
	s_barrier
	ds_read2_b32 v[18:19], v12 offset1:16
	ds_read_b128 v[14:17], v13
	ds_read2_b32 v[20:21], v12 offset0:32 offset1:48
	ds_read2_b32 v[22:23], v12 offset0:64 offset1:80
	;; [unrolled: 1-line block ×3, first 2 shown]
	s_waitcnt lgkmcnt(3)
	v_fmac_f32_e32 v9, v18, v14
	v_fmac_f32_e32 v8, v19, v14
	s_waitcnt lgkmcnt(2)
	v_fmac_f32_e32 v9, v20, v15
	v_fmac_f32_e32 v8, v21, v15
	;; [unrolled: 3-line block ×4, first 2 shown]
	ds_read_b128 v[14:17], v13 offset:512
	s_waitcnt lgkmcnt(0)
	v_fmac_f32_e32 v2, v18, v14
	v_fmac_f32_e32 v3, v19, v14
	;; [unrolled: 1-line block ×8, first 2 shown]
	ds_read2_b32 v[18:19], v12 offset0:128 offset1:144
	ds_read_b128 v[14:17], v13 offset:16
	ds_read2_b32 v[20:21], v12 offset0:160 offset1:176
	ds_read2_b32 v[22:23], v12 offset0:192 offset1:208
	;; [unrolled: 1-line block ×3, first 2 shown]
	s_waitcnt lgkmcnt(3)
	v_fmac_f32_e32 v9, v18, v14
	v_fmac_f32_e32 v8, v19, v14
	s_waitcnt lgkmcnt(2)
	v_fmac_f32_e32 v9, v20, v15
	v_fmac_f32_e32 v8, v21, v15
	;; [unrolled: 3-line block ×4, first 2 shown]
	ds_read_b128 v[14:17], v13 offset:528
	s_waitcnt lgkmcnt(0)
	s_barrier
	v_fmac_f32_e32 v2, v18, v14
	v_fmac_f32_e32 v3, v19, v14
	;; [unrolled: 1-line block ×8, first 2 shown]
	s_cbranch_scc0 .LBB20_2
	s_branch .LBB20_4
.LBB20_3:
	v_mov_b32_e32 v9, 0
	v_mov_b32_e32 v8, 0
	;; [unrolled: 1-line block ×4, first 2 shown]
.LBB20_4:
	s_load_dwordx2 s[0:1], s[4:5], 0x48
	s_load_dword s9, s[4:5], 0x40
	v_add_u32_e32 v6, s7, v1
	v_add_u32_e32 v0, s6, v0
	s_waitcnt lgkmcnt(0)
	s_mul_i32 s1, s1, s8
	s_mul_hi_u32 s4, s0, s8
	s_add_i32 s1, s4, s1
	v_mad_i64_i32 v[4:5], s[4:5], v6, s9, 0
	s_mul_i32 s0, s0, s8
	s_lshl_b64 s[0:1], s[0:1], 2
	s_add_u32 s7, s2, s0
	v_lshlrev_b64 v[4:5], 2, v[4:5]
	s_addc_u32 s8, s3, s1
	v_mov_b32_e32 v1, s8
	v_add_co_u32_e32 v7, vcc, s7, v4
	v_addc_co_u32_e32 v10, vcc, v1, v5, vcc
	v_cmp_le_i32_e64 s[0:1], v6, v0
	v_cmp_gt_i32_e32 vcc, s10, v0
	s_and_b64 s[0:1], s[0:1], vcc
	s_and_saveexec_b64 s[2:3], s[0:1]
	s_cbranch_execz .LBB20_6
; %bb.5:
	v_ashrrev_i32_e32 v1, 31, v0
	v_lshlrev_b64 v[4:5], 2, v[0:1]
	v_xor_b32_e32 v9, 0x80000000, v9
	v_add_co_u32_e64 v4, s[0:1], v7, v4
	v_addc_co_u32_e64 v5, s[0:1], v10, v5, s[0:1]
	global_store_dword v[4:5], v9, off
.LBB20_6:
	s_or_b64 exec, exec, s[2:3]
	v_add_u32_e32 v4, 16, v0
	v_cmp_le_i32_e64 s[2:3], v6, v4
	v_cmp_gt_i32_e64 s[0:1], s10, v4
	s_and_b64 s[2:3], s[2:3], s[0:1]
	s_and_saveexec_b64 s[4:5], s[2:3]
	s_cbranch_execz .LBB20_8
; %bb.7:
	v_ashrrev_i32_e32 v5, 31, v4
	v_xor_b32_e32 v1, 0x80000000, v8
	v_lshlrev_b64 v[8:9], 2, v[4:5]
	v_add_co_u32_e64 v7, s[2:3], v7, v8
	v_addc_co_u32_e64 v8, s[2:3], v10, v9, s[2:3]
	global_store_dword v[7:8], v1, off
.LBB20_8:
	s_or_b64 exec, exec, s[4:5]
	v_add_u32_e32 v5, 16, v6
	v_mad_i64_i32 v[6:7], s[2:3], v5, s9, 0
	v_mov_b32_e32 v1, s8
	v_lshlrev_b64 v[6:7], 2, v[6:7]
	v_add_co_u32_e64 v6, s[2:3], s7, v6
	v_addc_co_u32_e64 v7, s[2:3], v1, v7, s[2:3]
	v_cmp_le_i32_e64 s[2:3], v5, v0
	s_and_b64 s[4:5], s[2:3], vcc
	s_and_saveexec_b64 s[2:3], s[4:5]
	s_cbranch_execz .LBB20_10
; %bb.9:
	v_ashrrev_i32_e32 v1, 31, v0
	v_lshlrev_b64 v[0:1], 2, v[0:1]
	v_xor_b32_e32 v2, 0x80000000, v2
	v_add_co_u32_e32 v0, vcc, v6, v0
	v_addc_co_u32_e32 v1, vcc, v7, v1, vcc
	global_store_dword v[0:1], v2, off
.LBB20_10:
	s_or_b64 exec, exec, s[2:3]
	v_cmp_le_i32_e32 vcc, v5, v4
	s_and_b64 s[0:1], vcc, s[0:1]
	s_and_saveexec_b64 s[2:3], s[0:1]
	s_cbranch_execz .LBB20_12
; %bb.11:
	v_ashrrev_i32_e32 v5, 31, v4
	v_lshlrev_b64 v[0:1], 2, v[4:5]
	v_xor_b32_e32 v2, 0x80000000, v3
	v_add_co_u32_e32 v0, vcc, v6, v0
	v_addc_co_u32_e32 v1, vcc, v7, v1, vcc
	global_store_dword v[0:1], v2, off
.LBB20_12:
	s_endpgm
	.section	.rodata,"a",@progbits
	.p2align	6, 0x0
	.amdhsa_kernel _ZL37rocblas_syrkx_herkx_restricted_kernelIifLi16ELi32ELi8ELin1ELi0ELb0ELc84ELc76EKffEviT_PT9_S1_lS3_S1_lPT10_S1_li
		.amdhsa_group_segment_fixed_size 2048
		.amdhsa_private_segment_fixed_size 0
		.amdhsa_kernarg_size 84
		.amdhsa_user_sgpr_count 6
		.amdhsa_user_sgpr_private_segment_buffer 1
		.amdhsa_user_sgpr_dispatch_ptr 0
		.amdhsa_user_sgpr_queue_ptr 0
		.amdhsa_user_sgpr_kernarg_segment_ptr 1
		.amdhsa_user_sgpr_dispatch_id 0
		.amdhsa_user_sgpr_flat_scratch_init 0
		.amdhsa_user_sgpr_private_segment_size 0
		.amdhsa_uses_dynamic_stack 0
		.amdhsa_system_sgpr_private_segment_wavefront_offset 0
		.amdhsa_system_sgpr_workgroup_id_x 1
		.amdhsa_system_sgpr_workgroup_id_y 1
		.amdhsa_system_sgpr_workgroup_id_z 1
		.amdhsa_system_sgpr_workgroup_info 0
		.amdhsa_system_vgpr_workitem_id 1
		.amdhsa_next_free_vgpr 26
		.amdhsa_next_free_sgpr 22
		.amdhsa_reserve_vcc 1
		.amdhsa_reserve_flat_scratch 0
		.amdhsa_float_round_mode_32 0
		.amdhsa_float_round_mode_16_64 0
		.amdhsa_float_denorm_mode_32 3
		.amdhsa_float_denorm_mode_16_64 3
		.amdhsa_dx10_clamp 1
		.amdhsa_ieee_mode 1
		.amdhsa_fp16_overflow 0
		.amdhsa_exception_fp_ieee_invalid_op 0
		.amdhsa_exception_fp_denorm_src 0
		.amdhsa_exception_fp_ieee_div_zero 0
		.amdhsa_exception_fp_ieee_overflow 0
		.amdhsa_exception_fp_ieee_underflow 0
		.amdhsa_exception_fp_ieee_inexact 0
		.amdhsa_exception_int_div_zero 0
	.end_amdhsa_kernel
	.section	.text._ZL37rocblas_syrkx_herkx_restricted_kernelIifLi16ELi32ELi8ELin1ELi0ELb0ELc84ELc76EKffEviT_PT9_S1_lS3_S1_lPT10_S1_li,"axG",@progbits,_ZL37rocblas_syrkx_herkx_restricted_kernelIifLi16ELi32ELi8ELin1ELi0ELb0ELc84ELc76EKffEviT_PT9_S1_lS3_S1_lPT10_S1_li,comdat
.Lfunc_end20:
	.size	_ZL37rocblas_syrkx_herkx_restricted_kernelIifLi16ELi32ELi8ELin1ELi0ELb0ELc84ELc76EKffEviT_PT9_S1_lS3_S1_lPT10_S1_li, .Lfunc_end20-_ZL37rocblas_syrkx_herkx_restricted_kernelIifLi16ELi32ELi8ELin1ELi0ELb0ELc84ELc76EKffEviT_PT9_S1_lS3_S1_lPT10_S1_li
                                        ; -- End function
	.set _ZL37rocblas_syrkx_herkx_restricted_kernelIifLi16ELi32ELi8ELin1ELi0ELb0ELc84ELc76EKffEviT_PT9_S1_lS3_S1_lPT10_S1_li.num_vgpr, 26
	.set _ZL37rocblas_syrkx_herkx_restricted_kernelIifLi16ELi32ELi8ELin1ELi0ELb0ELc84ELc76EKffEviT_PT9_S1_lS3_S1_lPT10_S1_li.num_agpr, 0
	.set _ZL37rocblas_syrkx_herkx_restricted_kernelIifLi16ELi32ELi8ELin1ELi0ELb0ELc84ELc76EKffEviT_PT9_S1_lS3_S1_lPT10_S1_li.numbered_sgpr, 22
	.set _ZL37rocblas_syrkx_herkx_restricted_kernelIifLi16ELi32ELi8ELin1ELi0ELb0ELc84ELc76EKffEviT_PT9_S1_lS3_S1_lPT10_S1_li.num_named_barrier, 0
	.set _ZL37rocblas_syrkx_herkx_restricted_kernelIifLi16ELi32ELi8ELin1ELi0ELb0ELc84ELc76EKffEviT_PT9_S1_lS3_S1_lPT10_S1_li.private_seg_size, 0
	.set _ZL37rocblas_syrkx_herkx_restricted_kernelIifLi16ELi32ELi8ELin1ELi0ELb0ELc84ELc76EKffEviT_PT9_S1_lS3_S1_lPT10_S1_li.uses_vcc, 1
	.set _ZL37rocblas_syrkx_herkx_restricted_kernelIifLi16ELi32ELi8ELin1ELi0ELb0ELc84ELc76EKffEviT_PT9_S1_lS3_S1_lPT10_S1_li.uses_flat_scratch, 0
	.set _ZL37rocblas_syrkx_herkx_restricted_kernelIifLi16ELi32ELi8ELin1ELi0ELb0ELc84ELc76EKffEviT_PT9_S1_lS3_S1_lPT10_S1_li.has_dyn_sized_stack, 0
	.set _ZL37rocblas_syrkx_herkx_restricted_kernelIifLi16ELi32ELi8ELin1ELi0ELb0ELc84ELc76EKffEviT_PT9_S1_lS3_S1_lPT10_S1_li.has_recursion, 0
	.set _ZL37rocblas_syrkx_herkx_restricted_kernelIifLi16ELi32ELi8ELin1ELi0ELb0ELc84ELc76EKffEviT_PT9_S1_lS3_S1_lPT10_S1_li.has_indirect_call, 0
	.section	.AMDGPU.csdata,"",@progbits
; Kernel info:
; codeLenInByte = 1056
; TotalNumSgprs: 26
; NumVgprs: 26
; ScratchSize: 0
; MemoryBound: 0
; FloatMode: 240
; IeeeMode: 1
; LDSByteSize: 2048 bytes/workgroup (compile time only)
; SGPRBlocks: 3
; VGPRBlocks: 6
; NumSGPRsForWavesPerEU: 26
; NumVGPRsForWavesPerEU: 26
; Occupancy: 9
; WaveLimiterHint : 0
; COMPUTE_PGM_RSRC2:SCRATCH_EN: 0
; COMPUTE_PGM_RSRC2:USER_SGPR: 6
; COMPUTE_PGM_RSRC2:TRAP_HANDLER: 0
; COMPUTE_PGM_RSRC2:TGID_X_EN: 1
; COMPUTE_PGM_RSRC2:TGID_Y_EN: 1
; COMPUTE_PGM_RSRC2:TGID_Z_EN: 1
; COMPUTE_PGM_RSRC2:TIDIG_COMP_CNT: 1
	.section	.text._ZL37rocblas_syrkx_herkx_restricted_kernelIifLi16ELi32ELi8ELin1ELi0ELb0ELc67ELc76EKffEviT_PT9_S1_lS3_S1_lPT10_S1_li,"axG",@progbits,_ZL37rocblas_syrkx_herkx_restricted_kernelIifLi16ELi32ELi8ELin1ELi0ELb0ELc67ELc76EKffEviT_PT9_S1_lS3_S1_lPT10_S1_li,comdat
	.globl	_ZL37rocblas_syrkx_herkx_restricted_kernelIifLi16ELi32ELi8ELin1ELi0ELb0ELc67ELc76EKffEviT_PT9_S1_lS3_S1_lPT10_S1_li ; -- Begin function _ZL37rocblas_syrkx_herkx_restricted_kernelIifLi16ELi32ELi8ELin1ELi0ELb0ELc67ELc76EKffEviT_PT9_S1_lS3_S1_lPT10_S1_li
	.p2align	8
	.type	_ZL37rocblas_syrkx_herkx_restricted_kernelIifLi16ELi32ELi8ELin1ELi0ELb0ELc67ELc76EKffEviT_PT9_S1_lS3_S1_lPT10_S1_li,@function
_ZL37rocblas_syrkx_herkx_restricted_kernelIifLi16ELi32ELi8ELin1ELi0ELb0ELc67ELc76EKffEviT_PT9_S1_lS3_S1_lPT10_S1_li: ; @_ZL37rocblas_syrkx_herkx_restricted_kernelIifLi16ELi32ELi8ELin1ELi0ELb0ELc67ELc76EKffEviT_PT9_S1_lS3_S1_lPT10_S1_li
; %bb.0:
	s_load_dwordx2 s[10:11], s[4:5], 0x0
	s_load_dwordx4 s[0:3], s[4:5], 0x30
	s_lshl_b32 s6, s6, 5
	s_lshl_b32 s7, s7, 5
	s_mov_b32 s9, 0
	s_waitcnt lgkmcnt(0)
	s_cmp_lt_i32 s11, 1
	s_cbranch_scc1 .LBB21_3
; %bb.1:
	s_load_dwordx2 s[16:17], s[4:5], 0x8
	s_load_dword s20, s[4:5], 0x10
	s_load_dwordx4 s[12:15], s[4:5], 0x18
	s_load_dword s18, s[4:5], 0x28
	v_lshl_add_u32 v4, v1, 4, v0
	v_lshrrev_b32_e32 v8, 3, v4
	v_add_u32_e32 v5, s7, v8
	v_and_b32_e32 v2, 7, v0
	v_mov_b32_e32 v3, 0
	s_waitcnt lgkmcnt(0)
	v_mad_i64_i32 v[6:7], s[18:19], s18, v5, v[2:3]
	v_lshlrev_b32_e32 v2, 2, v2
	v_lshl_or_b32 v2, v8, 5, v2
	v_and_b32_e32 v9, 31, v4
	v_add_u32_e32 v11, 0x400, v2
	v_mov_b32_e32 v2, 0x400
	v_lshrrev_b32_e32 v4, 5, v4
	v_mov_b32_e32 v5, v3
	v_lshlrev_b32_e32 v10, 2, v9
	v_lshl_add_u32 v13, v1, 5, v2
	v_add_u32_e32 v2, s6, v9
	v_lshl_or_b32 v10, v4, 7, v10
	v_mad_i64_i32 v[4:5], s[18:19], s20, v2, v[4:5]
	s_mul_i32 s13, s13, s8
	s_mul_hi_u32 s21, s12, s8
	s_add_i32 s13, s21, s13
	s_mul_i32 s12, s12, s8
	s_lshl_b64 s[12:13], s[12:13], 2
	v_lshlrev_b64 v[4:5], 2, v[4:5]
	s_add_u32 s12, s16, s12
	v_add_co_u32_e32 v4, vcc, s12, v4
	s_mul_i32 s1, s1, s8
	s_mul_hi_u32 s12, s0, s8
	s_addc_u32 s13, s17, s13
	s_add_i32 s1, s12, s1
	s_mul_i32 s0, s0, s8
	s_lshl_b64 s[0:1], s[0:1], 2
	v_mov_b32_e32 v2, s13
	v_lshlrev_b64 v[6:7], 2, v[6:7]
	s_add_u32 s0, s14, s0
	v_addc_co_u32_e32 v5, vcc, v2, v5, vcc
	s_addc_u32 s1, s15, s1
	v_mov_b32_e32 v2, s1
	v_add_co_u32_e32 v6, vcc, s0, v6
	v_lshlrev_b32_e32 v12, 2, v0
	v_addc_co_u32_e32 v7, vcc, v2, v7, vcc
	v_mov_b32_e32 v2, v3
	v_mov_b32_e32 v8, v3
	;; [unrolled: 1-line block ×3, first 2 shown]
.LBB21_2:                               ; =>This Inner Loop Header: Depth=1
	global_load_dword v14, v[4:5], off
	s_add_i32 s9, s9, 8
	v_add_co_u32_e32 v4, vcc, 32, v4
	v_addc_co_u32_e32 v5, vcc, 0, v5, vcc
	s_cmp_ge_i32 s9, s11
	s_waitcnt vmcnt(0)
	ds_write_b32 v10, v14
	global_load_dword v14, v[6:7], off
	v_add_co_u32_e64 v6, s[0:1], 32, v6
	v_addc_co_u32_e64 v7, vcc, 0, v7, s[0:1]
	s_waitcnt vmcnt(0)
	ds_write_b32 v11, v14
	s_waitcnt lgkmcnt(0)
	s_barrier
	ds_read2_b32 v[18:19], v12 offset1:16
	ds_read_b128 v[14:17], v13
	ds_read2_b32 v[20:21], v12 offset0:32 offset1:48
	ds_read2_b32 v[22:23], v12 offset0:64 offset1:80
	;; [unrolled: 1-line block ×3, first 2 shown]
	s_waitcnt lgkmcnt(3)
	v_fmac_f32_e32 v9, v18, v14
	v_fmac_f32_e32 v8, v19, v14
	s_waitcnt lgkmcnt(2)
	v_fmac_f32_e32 v9, v20, v15
	v_fmac_f32_e32 v8, v21, v15
	s_waitcnt lgkmcnt(1)
	v_fmac_f32_e32 v9, v22, v16
	v_fmac_f32_e32 v8, v23, v16
	s_waitcnt lgkmcnt(0)
	v_fmac_f32_e32 v9, v24, v17
	v_fmac_f32_e32 v8, v25, v17
	ds_read_b128 v[14:17], v13 offset:512
	s_waitcnt lgkmcnt(0)
	v_fmac_f32_e32 v2, v18, v14
	v_fmac_f32_e32 v3, v19, v14
	;; [unrolled: 1-line block ×8, first 2 shown]
	ds_read2_b32 v[18:19], v12 offset0:128 offset1:144
	ds_read_b128 v[14:17], v13 offset:16
	ds_read2_b32 v[20:21], v12 offset0:160 offset1:176
	ds_read2_b32 v[22:23], v12 offset0:192 offset1:208
	;; [unrolled: 1-line block ×3, first 2 shown]
	s_waitcnt lgkmcnt(3)
	v_fmac_f32_e32 v9, v18, v14
	v_fmac_f32_e32 v8, v19, v14
	s_waitcnt lgkmcnt(2)
	v_fmac_f32_e32 v9, v20, v15
	v_fmac_f32_e32 v8, v21, v15
	;; [unrolled: 3-line block ×4, first 2 shown]
	ds_read_b128 v[14:17], v13 offset:528
	s_waitcnt lgkmcnt(0)
	s_barrier
	v_fmac_f32_e32 v2, v18, v14
	v_fmac_f32_e32 v3, v19, v14
	v_fmac_f32_e32 v2, v20, v15
	v_fmac_f32_e32 v3, v21, v15
	v_fmac_f32_e32 v2, v22, v16
	v_fmac_f32_e32 v3, v23, v16
	v_fmac_f32_e32 v2, v24, v17
	v_fmac_f32_e32 v3, v25, v17
	s_cbranch_scc0 .LBB21_2
	s_branch .LBB21_4
.LBB21_3:
	v_mov_b32_e32 v9, 0
	v_mov_b32_e32 v8, 0
	;; [unrolled: 1-line block ×4, first 2 shown]
.LBB21_4:
	s_load_dwordx2 s[0:1], s[4:5], 0x48
	s_load_dword s9, s[4:5], 0x40
	v_add_u32_e32 v6, s7, v1
	v_add_u32_e32 v0, s6, v0
	s_waitcnt lgkmcnt(0)
	s_mul_i32 s1, s1, s8
	s_mul_hi_u32 s4, s0, s8
	s_add_i32 s1, s4, s1
	v_mad_i64_i32 v[4:5], s[4:5], v6, s9, 0
	s_mul_i32 s0, s0, s8
	s_lshl_b64 s[0:1], s[0:1], 2
	s_add_u32 s7, s2, s0
	v_lshlrev_b64 v[4:5], 2, v[4:5]
	s_addc_u32 s8, s3, s1
	v_mov_b32_e32 v1, s8
	v_add_co_u32_e32 v7, vcc, s7, v4
	v_addc_co_u32_e32 v10, vcc, v1, v5, vcc
	v_cmp_le_i32_e64 s[0:1], v6, v0
	v_cmp_gt_i32_e32 vcc, s10, v0
	s_and_b64 s[0:1], s[0:1], vcc
	s_and_saveexec_b64 s[2:3], s[0:1]
	s_cbranch_execz .LBB21_6
; %bb.5:
	v_ashrrev_i32_e32 v1, 31, v0
	v_lshlrev_b64 v[4:5], 2, v[0:1]
	v_xor_b32_e32 v9, 0x80000000, v9
	v_add_co_u32_e64 v4, s[0:1], v7, v4
	v_addc_co_u32_e64 v5, s[0:1], v10, v5, s[0:1]
	global_store_dword v[4:5], v9, off
.LBB21_6:
	s_or_b64 exec, exec, s[2:3]
	v_add_u32_e32 v4, 16, v0
	v_cmp_le_i32_e64 s[2:3], v6, v4
	v_cmp_gt_i32_e64 s[0:1], s10, v4
	s_and_b64 s[2:3], s[2:3], s[0:1]
	s_and_saveexec_b64 s[4:5], s[2:3]
	s_cbranch_execz .LBB21_8
; %bb.7:
	v_ashrrev_i32_e32 v5, 31, v4
	v_xor_b32_e32 v1, 0x80000000, v8
	v_lshlrev_b64 v[8:9], 2, v[4:5]
	v_add_co_u32_e64 v7, s[2:3], v7, v8
	v_addc_co_u32_e64 v8, s[2:3], v10, v9, s[2:3]
	global_store_dword v[7:8], v1, off
.LBB21_8:
	s_or_b64 exec, exec, s[4:5]
	v_add_u32_e32 v5, 16, v6
	v_mad_i64_i32 v[6:7], s[2:3], v5, s9, 0
	v_mov_b32_e32 v1, s8
	v_lshlrev_b64 v[6:7], 2, v[6:7]
	v_add_co_u32_e64 v6, s[2:3], s7, v6
	v_addc_co_u32_e64 v7, s[2:3], v1, v7, s[2:3]
	v_cmp_le_i32_e64 s[2:3], v5, v0
	s_and_b64 s[4:5], s[2:3], vcc
	s_and_saveexec_b64 s[2:3], s[4:5]
	s_cbranch_execz .LBB21_10
; %bb.9:
	v_ashrrev_i32_e32 v1, 31, v0
	v_lshlrev_b64 v[0:1], 2, v[0:1]
	v_xor_b32_e32 v2, 0x80000000, v2
	v_add_co_u32_e32 v0, vcc, v6, v0
	v_addc_co_u32_e32 v1, vcc, v7, v1, vcc
	global_store_dword v[0:1], v2, off
.LBB21_10:
	s_or_b64 exec, exec, s[2:3]
	v_cmp_le_i32_e32 vcc, v5, v4
	s_and_b64 s[0:1], vcc, s[0:1]
	s_and_saveexec_b64 s[2:3], s[0:1]
	s_cbranch_execz .LBB21_12
; %bb.11:
	v_ashrrev_i32_e32 v5, 31, v4
	v_lshlrev_b64 v[0:1], 2, v[4:5]
	v_xor_b32_e32 v2, 0x80000000, v3
	v_add_co_u32_e32 v0, vcc, v6, v0
	v_addc_co_u32_e32 v1, vcc, v7, v1, vcc
	global_store_dword v[0:1], v2, off
.LBB21_12:
	s_endpgm
	.section	.rodata,"a",@progbits
	.p2align	6, 0x0
	.amdhsa_kernel _ZL37rocblas_syrkx_herkx_restricted_kernelIifLi16ELi32ELi8ELin1ELi0ELb0ELc67ELc76EKffEviT_PT9_S1_lS3_S1_lPT10_S1_li
		.amdhsa_group_segment_fixed_size 2048
		.amdhsa_private_segment_fixed_size 0
		.amdhsa_kernarg_size 84
		.amdhsa_user_sgpr_count 6
		.amdhsa_user_sgpr_private_segment_buffer 1
		.amdhsa_user_sgpr_dispatch_ptr 0
		.amdhsa_user_sgpr_queue_ptr 0
		.amdhsa_user_sgpr_kernarg_segment_ptr 1
		.amdhsa_user_sgpr_dispatch_id 0
		.amdhsa_user_sgpr_flat_scratch_init 0
		.amdhsa_user_sgpr_private_segment_size 0
		.amdhsa_uses_dynamic_stack 0
		.amdhsa_system_sgpr_private_segment_wavefront_offset 0
		.amdhsa_system_sgpr_workgroup_id_x 1
		.amdhsa_system_sgpr_workgroup_id_y 1
		.amdhsa_system_sgpr_workgroup_id_z 1
		.amdhsa_system_sgpr_workgroup_info 0
		.amdhsa_system_vgpr_workitem_id 1
		.amdhsa_next_free_vgpr 26
		.amdhsa_next_free_sgpr 22
		.amdhsa_reserve_vcc 1
		.amdhsa_reserve_flat_scratch 0
		.amdhsa_float_round_mode_32 0
		.amdhsa_float_round_mode_16_64 0
		.amdhsa_float_denorm_mode_32 3
		.amdhsa_float_denorm_mode_16_64 3
		.amdhsa_dx10_clamp 1
		.amdhsa_ieee_mode 1
		.amdhsa_fp16_overflow 0
		.amdhsa_exception_fp_ieee_invalid_op 0
		.amdhsa_exception_fp_denorm_src 0
		.amdhsa_exception_fp_ieee_div_zero 0
		.amdhsa_exception_fp_ieee_overflow 0
		.amdhsa_exception_fp_ieee_underflow 0
		.amdhsa_exception_fp_ieee_inexact 0
		.amdhsa_exception_int_div_zero 0
	.end_amdhsa_kernel
	.section	.text._ZL37rocblas_syrkx_herkx_restricted_kernelIifLi16ELi32ELi8ELin1ELi0ELb0ELc67ELc76EKffEviT_PT9_S1_lS3_S1_lPT10_S1_li,"axG",@progbits,_ZL37rocblas_syrkx_herkx_restricted_kernelIifLi16ELi32ELi8ELin1ELi0ELb0ELc67ELc76EKffEviT_PT9_S1_lS3_S1_lPT10_S1_li,comdat
.Lfunc_end21:
	.size	_ZL37rocblas_syrkx_herkx_restricted_kernelIifLi16ELi32ELi8ELin1ELi0ELb0ELc67ELc76EKffEviT_PT9_S1_lS3_S1_lPT10_S1_li, .Lfunc_end21-_ZL37rocblas_syrkx_herkx_restricted_kernelIifLi16ELi32ELi8ELin1ELi0ELb0ELc67ELc76EKffEviT_PT9_S1_lS3_S1_lPT10_S1_li
                                        ; -- End function
	.set _ZL37rocblas_syrkx_herkx_restricted_kernelIifLi16ELi32ELi8ELin1ELi0ELb0ELc67ELc76EKffEviT_PT9_S1_lS3_S1_lPT10_S1_li.num_vgpr, 26
	.set _ZL37rocblas_syrkx_herkx_restricted_kernelIifLi16ELi32ELi8ELin1ELi0ELb0ELc67ELc76EKffEviT_PT9_S1_lS3_S1_lPT10_S1_li.num_agpr, 0
	.set _ZL37rocblas_syrkx_herkx_restricted_kernelIifLi16ELi32ELi8ELin1ELi0ELb0ELc67ELc76EKffEviT_PT9_S1_lS3_S1_lPT10_S1_li.numbered_sgpr, 22
	.set _ZL37rocblas_syrkx_herkx_restricted_kernelIifLi16ELi32ELi8ELin1ELi0ELb0ELc67ELc76EKffEviT_PT9_S1_lS3_S1_lPT10_S1_li.num_named_barrier, 0
	.set _ZL37rocblas_syrkx_herkx_restricted_kernelIifLi16ELi32ELi8ELin1ELi0ELb0ELc67ELc76EKffEviT_PT9_S1_lS3_S1_lPT10_S1_li.private_seg_size, 0
	.set _ZL37rocblas_syrkx_herkx_restricted_kernelIifLi16ELi32ELi8ELin1ELi0ELb0ELc67ELc76EKffEviT_PT9_S1_lS3_S1_lPT10_S1_li.uses_vcc, 1
	.set _ZL37rocblas_syrkx_herkx_restricted_kernelIifLi16ELi32ELi8ELin1ELi0ELb0ELc67ELc76EKffEviT_PT9_S1_lS3_S1_lPT10_S1_li.uses_flat_scratch, 0
	.set _ZL37rocblas_syrkx_herkx_restricted_kernelIifLi16ELi32ELi8ELin1ELi0ELb0ELc67ELc76EKffEviT_PT9_S1_lS3_S1_lPT10_S1_li.has_dyn_sized_stack, 0
	.set _ZL37rocblas_syrkx_herkx_restricted_kernelIifLi16ELi32ELi8ELin1ELi0ELb0ELc67ELc76EKffEviT_PT9_S1_lS3_S1_lPT10_S1_li.has_recursion, 0
	.set _ZL37rocblas_syrkx_herkx_restricted_kernelIifLi16ELi32ELi8ELin1ELi0ELb0ELc67ELc76EKffEviT_PT9_S1_lS3_S1_lPT10_S1_li.has_indirect_call, 0
	.section	.AMDGPU.csdata,"",@progbits
; Kernel info:
; codeLenInByte = 1056
; TotalNumSgprs: 26
; NumVgprs: 26
; ScratchSize: 0
; MemoryBound: 0
; FloatMode: 240
; IeeeMode: 1
; LDSByteSize: 2048 bytes/workgroup (compile time only)
; SGPRBlocks: 3
; VGPRBlocks: 6
; NumSGPRsForWavesPerEU: 26
; NumVGPRsForWavesPerEU: 26
; Occupancy: 9
; WaveLimiterHint : 0
; COMPUTE_PGM_RSRC2:SCRATCH_EN: 0
; COMPUTE_PGM_RSRC2:USER_SGPR: 6
; COMPUTE_PGM_RSRC2:TRAP_HANDLER: 0
; COMPUTE_PGM_RSRC2:TGID_X_EN: 1
; COMPUTE_PGM_RSRC2:TGID_Y_EN: 1
; COMPUTE_PGM_RSRC2:TGID_Z_EN: 1
; COMPUTE_PGM_RSRC2:TIDIG_COMP_CNT: 1
	.section	.text._ZL37rocblas_syrkx_herkx_restricted_kernelIifLi16ELi32ELi8ELin1ELi0ELb0ELc78ELc76EKffEviT_PT9_S1_lS3_S1_lPT10_S1_li,"axG",@progbits,_ZL37rocblas_syrkx_herkx_restricted_kernelIifLi16ELi32ELi8ELin1ELi0ELb0ELc78ELc76EKffEviT_PT9_S1_lS3_S1_lPT10_S1_li,comdat
	.globl	_ZL37rocblas_syrkx_herkx_restricted_kernelIifLi16ELi32ELi8ELin1ELi0ELb0ELc78ELc76EKffEviT_PT9_S1_lS3_S1_lPT10_S1_li ; -- Begin function _ZL37rocblas_syrkx_herkx_restricted_kernelIifLi16ELi32ELi8ELin1ELi0ELb0ELc78ELc76EKffEviT_PT9_S1_lS3_S1_lPT10_S1_li
	.p2align	8
	.type	_ZL37rocblas_syrkx_herkx_restricted_kernelIifLi16ELi32ELi8ELin1ELi0ELb0ELc78ELc76EKffEviT_PT9_S1_lS3_S1_lPT10_S1_li,@function
_ZL37rocblas_syrkx_herkx_restricted_kernelIifLi16ELi32ELi8ELin1ELi0ELb0ELc78ELc76EKffEviT_PT9_S1_lS3_S1_lPT10_S1_li: ; @_ZL37rocblas_syrkx_herkx_restricted_kernelIifLi16ELi32ELi8ELin1ELi0ELb0ELc78ELc76EKffEviT_PT9_S1_lS3_S1_lPT10_S1_li
; %bb.0:
	s_load_dwordx2 s[10:11], s[4:5], 0x0
	s_load_dwordx4 s[0:3], s[4:5], 0x30
	s_lshl_b32 s9, s6, 5
	s_lshl_b32 s16, s7, 5
	s_mov_b32 s17, 0
	s_waitcnt lgkmcnt(0)
	s_cmp_lt_i32 s11, 1
	s_cbranch_scc1 .LBB22_3
; %bb.1:
	v_lshl_add_u32 v7, v1, 4, v0
	s_load_dword s6, s[4:5], 0x10
	s_load_dword s18, s[4:5], 0x28
	s_load_dwordx2 s[20:21], s[4:5], 0x8
	s_load_dwordx4 s[12:15], s[4:5], 0x18
	v_lshrrev_b32_e32 v8, 3, v7
	v_add_u32_e32 v2, s16, v8
	v_and_b32_e32 v6, 7, v0
	v_ashrrev_i32_e32 v3, 31, v2
	s_waitcnt lgkmcnt(0)
	v_mad_i64_i32 v[4:5], s[22:23], s18, v6, v[2:3]
	v_and_b32_e32 v2, 31, v7
	v_lshrrev_b32_e32 v9, 5, v7
	v_lshlrev_b32_e32 v3, 2, v2
	v_lshl_or_b32 v10, v9, 7, v3
	v_lshlrev_b32_e32 v3, 2, v6
	v_lshl_or_b32 v3, v8, 5, v3
	v_add_u32_e32 v11, 0x400, v3
	v_mov_b32_e32 v3, 0x400
	v_add_u32_e32 v2, s9, v2
	v_lshl_add_u32 v13, v1, 5, v3
	v_ashrrev_i32_e32 v3, 31, v2
	v_mad_i64_i32 v[2:3], s[22:23], s6, v9, v[2:3]
	s_mul_i32 s13, s13, s8
	s_mul_hi_u32 s24, s12, s8
	s_add_i32 s13, s24, s13
	s_mul_i32 s12, s12, s8
	s_ashr_i32 s7, s6, 31
	s_ashr_i32 s19, s18, 31
	s_lshl_b64 s[12:13], s[12:13], 2
	v_lshlrev_b64 v[2:3], 2, v[2:3]
	s_add_u32 s12, s20, s12
	v_add_co_u32_e32 v2, vcc, s12, v2
	s_mul_i32 s1, s1, s8
	s_mul_hi_u32 s12, s0, s8
	s_addc_u32 s13, s21, s13
	s_add_i32 s1, s12, s1
	s_mul_i32 s0, s0, s8
	s_lshl_b64 s[6:7], s[6:7], 5
	s_lshl_b64 s[0:1], s[0:1], 2
	v_mov_b32_e32 v6, s13
	v_lshlrev_b64 v[4:5], 2, v[4:5]
	s_add_u32 s0, s14, s0
	v_addc_co_u32_e32 v3, vcc, v6, v3, vcc
	s_addc_u32 s1, s15, s1
	v_mov_b32_e32 v6, s1
	v_add_co_u32_e32 v4, vcc, s0, v4
	s_lshl_b64 s[12:13], s[18:19], 5
	v_lshlrev_b32_e32 v12, 2, v0
	v_addc_co_u32_e32 v5, vcc, v6, v5, vcc
	v_mov_b32_e32 v6, 0
	v_mov_b32_e32 v14, s7
	;; [unrolled: 1-line block ×6, first 2 shown]
.LBB22_2:                               ; =>This Inner Loop Header: Depth=1
	global_load_dword v16, v[2:3], off
	global_load_dword v17, v[4:5], off
	s_add_i32 s17, s17, 8
	v_add_co_u32_e32 v2, vcc, s6, v2
	v_add_co_u32_e64 v4, s[0:1], s12, v4
	v_addc_co_u32_e32 v3, vcc, v3, v14, vcc
	v_addc_co_u32_e64 v5, vcc, v5, v15, s[0:1]
	s_cmp_ge_i32 s17, s11
	s_waitcnt vmcnt(1)
	ds_write_b32 v10, v16
	s_waitcnt vmcnt(0)
	ds_write_b32 v11, v17
	s_waitcnt lgkmcnt(0)
	s_barrier
	ds_read2_b32 v[20:21], v12 offset1:16
	ds_read_b128 v[16:19], v13
	ds_read2_b32 v[22:23], v12 offset0:32 offset1:48
	ds_read2_b32 v[24:25], v12 offset0:64 offset1:80
	;; [unrolled: 1-line block ×3, first 2 shown]
	s_waitcnt lgkmcnt(3)
	v_fmac_f32_e32 v9, v20, v16
	v_fmac_f32_e32 v8, v21, v16
	s_waitcnt lgkmcnt(2)
	v_fmac_f32_e32 v9, v22, v17
	v_fmac_f32_e32 v8, v23, v17
	;; [unrolled: 3-line block ×4, first 2 shown]
	ds_read_b128 v[16:19], v13 offset:512
	s_waitcnt lgkmcnt(0)
	v_fmac_f32_e32 v7, v20, v16
	v_fmac_f32_e32 v6, v21, v16
	;; [unrolled: 1-line block ×8, first 2 shown]
	ds_read2_b32 v[20:21], v12 offset0:128 offset1:144
	ds_read_b128 v[16:19], v13 offset:16
	ds_read2_b32 v[22:23], v12 offset0:160 offset1:176
	ds_read2_b32 v[24:25], v12 offset0:192 offset1:208
	;; [unrolled: 1-line block ×3, first 2 shown]
	s_waitcnt lgkmcnt(3)
	v_fmac_f32_e32 v9, v20, v16
	v_fmac_f32_e32 v8, v21, v16
	s_waitcnt lgkmcnt(2)
	v_fmac_f32_e32 v9, v22, v17
	v_fmac_f32_e32 v8, v23, v17
	;; [unrolled: 3-line block ×4, first 2 shown]
	ds_read_b128 v[16:19], v13 offset:528
	s_waitcnt lgkmcnt(0)
	s_barrier
	v_fmac_f32_e32 v7, v20, v16
	v_fmac_f32_e32 v6, v21, v16
	;; [unrolled: 1-line block ×8, first 2 shown]
	s_cbranch_scc0 .LBB22_2
	s_branch .LBB22_4
.LBB22_3:
	v_mov_b32_e32 v9, 0
	v_mov_b32_e32 v8, 0
	;; [unrolled: 1-line block ×4, first 2 shown]
.LBB22_4:
	s_load_dwordx2 s[0:1], s[4:5], 0x48
	s_load_dword s6, s[4:5], 0x40
	v_add_u32_e32 v4, s16, v1
	v_add_u32_e32 v0, s9, v0
	s_waitcnt lgkmcnt(0)
	s_mul_i32 s1, s1, s8
	s_mul_hi_u32 s4, s0, s8
	s_add_i32 s1, s4, s1
	v_mad_i64_i32 v[1:2], s[4:5], v4, s6, 0
	s_mul_i32 s0, s0, s8
	s_lshl_b64 s[0:1], s[0:1], 2
	s_add_u32 s7, s2, s0
	v_lshlrev_b64 v[1:2], 2, v[1:2]
	s_addc_u32 s8, s3, s1
	v_mov_b32_e32 v3, s8
	v_add_co_u32_e32 v5, vcc, s7, v1
	v_addc_co_u32_e32 v10, vcc, v3, v2, vcc
	v_cmp_le_i32_e64 s[0:1], v4, v0
	v_cmp_gt_i32_e32 vcc, s10, v0
	s_and_b64 s[0:1], s[0:1], vcc
	s_and_saveexec_b64 s[2:3], s[0:1]
	s_cbranch_execz .LBB22_6
; %bb.5:
	v_ashrrev_i32_e32 v1, 31, v0
	v_lshlrev_b64 v[1:2], 2, v[0:1]
	v_xor_b32_e32 v3, 0x80000000, v9
	v_add_co_u32_e64 v1, s[0:1], v5, v1
	v_addc_co_u32_e64 v2, s[0:1], v10, v2, s[0:1]
	global_store_dword v[1:2], v3, off
.LBB22_6:
	s_or_b64 exec, exec, s[2:3]
	v_add_u32_e32 v2, 16, v0
	v_cmp_le_i32_e64 s[2:3], v4, v2
	v_cmp_gt_i32_e64 s[0:1], s10, v2
	s_and_b64 s[2:3], s[2:3], s[0:1]
	s_and_saveexec_b64 s[4:5], s[2:3]
	s_cbranch_execz .LBB22_8
; %bb.7:
	v_ashrrev_i32_e32 v3, 31, v2
	v_xor_b32_e32 v1, 0x80000000, v8
	v_lshlrev_b64 v[8:9], 2, v[2:3]
	v_add_co_u32_e64 v8, s[2:3], v5, v8
	v_addc_co_u32_e64 v9, s[2:3], v10, v9, s[2:3]
	global_store_dword v[8:9], v1, off
.LBB22_8:
	s_or_b64 exec, exec, s[4:5]
	v_add_u32_e32 v3, 16, v4
	v_mad_i64_i32 v[4:5], s[2:3], v3, s6, 0
	v_mov_b32_e32 v1, s8
	v_lshlrev_b64 v[4:5], 2, v[4:5]
	v_add_co_u32_e64 v4, s[2:3], s7, v4
	v_addc_co_u32_e64 v5, s[2:3], v1, v5, s[2:3]
	v_cmp_le_i32_e64 s[2:3], v3, v0
	s_and_b64 s[4:5], s[2:3], vcc
	s_and_saveexec_b64 s[2:3], s[4:5]
	s_cbranch_execz .LBB22_10
; %bb.9:
	v_ashrrev_i32_e32 v1, 31, v0
	v_lshlrev_b64 v[0:1], 2, v[0:1]
	v_xor_b32_e32 v7, 0x80000000, v7
	v_add_co_u32_e32 v0, vcc, v4, v0
	v_addc_co_u32_e32 v1, vcc, v5, v1, vcc
	global_store_dword v[0:1], v7, off
.LBB22_10:
	s_or_b64 exec, exec, s[2:3]
	v_cmp_le_i32_e32 vcc, v3, v2
	s_and_b64 s[0:1], vcc, s[0:1]
	s_and_saveexec_b64 s[2:3], s[0:1]
	s_cbranch_execz .LBB22_12
; %bb.11:
	v_ashrrev_i32_e32 v3, 31, v2
	v_lshlrev_b64 v[0:1], 2, v[2:3]
	v_xor_b32_e32 v6, 0x80000000, v6
	v_add_co_u32_e32 v0, vcc, v4, v0
	v_addc_co_u32_e32 v1, vcc, v5, v1, vcc
	global_store_dword v[0:1], v6, off
.LBB22_12:
	s_endpgm
	.section	.rodata,"a",@progbits
	.p2align	6, 0x0
	.amdhsa_kernel _ZL37rocblas_syrkx_herkx_restricted_kernelIifLi16ELi32ELi8ELin1ELi0ELb0ELc78ELc76EKffEviT_PT9_S1_lS3_S1_lPT10_S1_li
		.amdhsa_group_segment_fixed_size 2048
		.amdhsa_private_segment_fixed_size 0
		.amdhsa_kernarg_size 84
		.amdhsa_user_sgpr_count 6
		.amdhsa_user_sgpr_private_segment_buffer 1
		.amdhsa_user_sgpr_dispatch_ptr 0
		.amdhsa_user_sgpr_queue_ptr 0
		.amdhsa_user_sgpr_kernarg_segment_ptr 1
		.amdhsa_user_sgpr_dispatch_id 0
		.amdhsa_user_sgpr_flat_scratch_init 0
		.amdhsa_user_sgpr_private_segment_size 0
		.amdhsa_uses_dynamic_stack 0
		.amdhsa_system_sgpr_private_segment_wavefront_offset 0
		.amdhsa_system_sgpr_workgroup_id_x 1
		.amdhsa_system_sgpr_workgroup_id_y 1
		.amdhsa_system_sgpr_workgroup_id_z 1
		.amdhsa_system_sgpr_workgroup_info 0
		.amdhsa_system_vgpr_workitem_id 1
		.amdhsa_next_free_vgpr 28
		.amdhsa_next_free_sgpr 25
		.amdhsa_reserve_vcc 1
		.amdhsa_reserve_flat_scratch 0
		.amdhsa_float_round_mode_32 0
		.amdhsa_float_round_mode_16_64 0
		.amdhsa_float_denorm_mode_32 3
		.amdhsa_float_denorm_mode_16_64 3
		.amdhsa_dx10_clamp 1
		.amdhsa_ieee_mode 1
		.amdhsa_fp16_overflow 0
		.amdhsa_exception_fp_ieee_invalid_op 0
		.amdhsa_exception_fp_denorm_src 0
		.amdhsa_exception_fp_ieee_div_zero 0
		.amdhsa_exception_fp_ieee_overflow 0
		.amdhsa_exception_fp_ieee_underflow 0
		.amdhsa_exception_fp_ieee_inexact 0
		.amdhsa_exception_int_div_zero 0
	.end_amdhsa_kernel
	.section	.text._ZL37rocblas_syrkx_herkx_restricted_kernelIifLi16ELi32ELi8ELin1ELi0ELb0ELc78ELc76EKffEviT_PT9_S1_lS3_S1_lPT10_S1_li,"axG",@progbits,_ZL37rocblas_syrkx_herkx_restricted_kernelIifLi16ELi32ELi8ELin1ELi0ELb0ELc78ELc76EKffEviT_PT9_S1_lS3_S1_lPT10_S1_li,comdat
.Lfunc_end22:
	.size	_ZL37rocblas_syrkx_herkx_restricted_kernelIifLi16ELi32ELi8ELin1ELi0ELb0ELc78ELc76EKffEviT_PT9_S1_lS3_S1_lPT10_S1_li, .Lfunc_end22-_ZL37rocblas_syrkx_herkx_restricted_kernelIifLi16ELi32ELi8ELin1ELi0ELb0ELc78ELc76EKffEviT_PT9_S1_lS3_S1_lPT10_S1_li
                                        ; -- End function
	.set _ZL37rocblas_syrkx_herkx_restricted_kernelIifLi16ELi32ELi8ELin1ELi0ELb0ELc78ELc76EKffEviT_PT9_S1_lS3_S1_lPT10_S1_li.num_vgpr, 28
	.set _ZL37rocblas_syrkx_herkx_restricted_kernelIifLi16ELi32ELi8ELin1ELi0ELb0ELc78ELc76EKffEviT_PT9_S1_lS3_S1_lPT10_S1_li.num_agpr, 0
	.set _ZL37rocblas_syrkx_herkx_restricted_kernelIifLi16ELi32ELi8ELin1ELi0ELb0ELc78ELc76EKffEviT_PT9_S1_lS3_S1_lPT10_S1_li.numbered_sgpr, 25
	.set _ZL37rocblas_syrkx_herkx_restricted_kernelIifLi16ELi32ELi8ELin1ELi0ELb0ELc78ELc76EKffEviT_PT9_S1_lS3_S1_lPT10_S1_li.num_named_barrier, 0
	.set _ZL37rocblas_syrkx_herkx_restricted_kernelIifLi16ELi32ELi8ELin1ELi0ELb0ELc78ELc76EKffEviT_PT9_S1_lS3_S1_lPT10_S1_li.private_seg_size, 0
	.set _ZL37rocblas_syrkx_herkx_restricted_kernelIifLi16ELi32ELi8ELin1ELi0ELb0ELc78ELc76EKffEviT_PT9_S1_lS3_S1_lPT10_S1_li.uses_vcc, 1
	.set _ZL37rocblas_syrkx_herkx_restricted_kernelIifLi16ELi32ELi8ELin1ELi0ELb0ELc78ELc76EKffEviT_PT9_S1_lS3_S1_lPT10_S1_li.uses_flat_scratch, 0
	.set _ZL37rocblas_syrkx_herkx_restricted_kernelIifLi16ELi32ELi8ELin1ELi0ELb0ELc78ELc76EKffEviT_PT9_S1_lS3_S1_lPT10_S1_li.has_dyn_sized_stack, 0
	.set _ZL37rocblas_syrkx_herkx_restricted_kernelIifLi16ELi32ELi8ELin1ELi0ELb0ELc78ELc76EKffEviT_PT9_S1_lS3_S1_lPT10_S1_li.has_recursion, 0
	.set _ZL37rocblas_syrkx_herkx_restricted_kernelIifLi16ELi32ELi8ELin1ELi0ELb0ELc78ELc76EKffEviT_PT9_S1_lS3_S1_lPT10_S1_li.has_indirect_call, 0
	.section	.AMDGPU.csdata,"",@progbits
; Kernel info:
; codeLenInByte = 1084
; TotalNumSgprs: 29
; NumVgprs: 28
; ScratchSize: 0
; MemoryBound: 0
; FloatMode: 240
; IeeeMode: 1
; LDSByteSize: 2048 bytes/workgroup (compile time only)
; SGPRBlocks: 3
; VGPRBlocks: 6
; NumSGPRsForWavesPerEU: 29
; NumVGPRsForWavesPerEU: 28
; Occupancy: 9
; WaveLimiterHint : 0
; COMPUTE_PGM_RSRC2:SCRATCH_EN: 0
; COMPUTE_PGM_RSRC2:USER_SGPR: 6
; COMPUTE_PGM_RSRC2:TRAP_HANDLER: 0
; COMPUTE_PGM_RSRC2:TGID_X_EN: 1
; COMPUTE_PGM_RSRC2:TGID_Y_EN: 1
; COMPUTE_PGM_RSRC2:TGID_Z_EN: 1
; COMPUTE_PGM_RSRC2:TIDIG_COMP_CNT: 1
	.section	.text._ZL37rocblas_syrkx_herkx_restricted_kernelIifLi16ELi32ELi8ELin1ELi0ELb0ELc84ELc85EKffEviT_PT9_S1_lS3_S1_lPT10_S1_li,"axG",@progbits,_ZL37rocblas_syrkx_herkx_restricted_kernelIifLi16ELi32ELi8ELin1ELi0ELb0ELc84ELc85EKffEviT_PT9_S1_lS3_S1_lPT10_S1_li,comdat
	.globl	_ZL37rocblas_syrkx_herkx_restricted_kernelIifLi16ELi32ELi8ELin1ELi0ELb0ELc84ELc85EKffEviT_PT9_S1_lS3_S1_lPT10_S1_li ; -- Begin function _ZL37rocblas_syrkx_herkx_restricted_kernelIifLi16ELi32ELi8ELin1ELi0ELb0ELc84ELc85EKffEviT_PT9_S1_lS3_S1_lPT10_S1_li
	.p2align	8
	.type	_ZL37rocblas_syrkx_herkx_restricted_kernelIifLi16ELi32ELi8ELin1ELi0ELb0ELc84ELc85EKffEviT_PT9_S1_lS3_S1_lPT10_S1_li,@function
_ZL37rocblas_syrkx_herkx_restricted_kernelIifLi16ELi32ELi8ELin1ELi0ELb0ELc84ELc85EKffEviT_PT9_S1_lS3_S1_lPT10_S1_li: ; @_ZL37rocblas_syrkx_herkx_restricted_kernelIifLi16ELi32ELi8ELin1ELi0ELb0ELc84ELc85EKffEviT_PT9_S1_lS3_S1_lPT10_S1_li
; %bb.0:
	s_load_dwordx2 s[10:11], s[4:5], 0x0
	s_load_dwordx4 s[0:3], s[4:5], 0x30
	s_lshl_b32 s6, s6, 5
	s_lshl_b32 s7, s7, 5
	s_mov_b32 s9, 0
	s_waitcnt lgkmcnt(0)
	s_cmp_lt_i32 s11, 1
	s_cbranch_scc1 .LBB23_3
; %bb.1:
	s_load_dwordx2 s[16:17], s[4:5], 0x8
	s_load_dword s20, s[4:5], 0x10
	s_load_dwordx4 s[12:15], s[4:5], 0x18
	s_load_dword s18, s[4:5], 0x28
	v_lshl_add_u32 v4, v1, 4, v0
	v_lshrrev_b32_e32 v8, 3, v4
	v_add_u32_e32 v5, s7, v8
	v_and_b32_e32 v2, 7, v0
	v_mov_b32_e32 v3, 0
	s_waitcnt lgkmcnt(0)
	v_mad_i64_i32 v[6:7], s[18:19], s18, v5, v[2:3]
	v_lshlrev_b32_e32 v2, 2, v2
	v_lshl_or_b32 v2, v8, 5, v2
	v_and_b32_e32 v9, 31, v4
	v_add_u32_e32 v11, 0x400, v2
	v_mov_b32_e32 v2, 0x400
	v_lshrrev_b32_e32 v4, 5, v4
	v_mov_b32_e32 v5, v3
	v_lshlrev_b32_e32 v10, 2, v9
	v_lshl_add_u32 v13, v1, 5, v2
	v_add_u32_e32 v2, s6, v9
	v_lshl_or_b32 v10, v4, 7, v10
	v_mad_i64_i32 v[4:5], s[18:19], s20, v2, v[4:5]
	s_mul_i32 s13, s13, s8
	s_mul_hi_u32 s21, s12, s8
	s_add_i32 s13, s21, s13
	s_mul_i32 s12, s12, s8
	s_lshl_b64 s[12:13], s[12:13], 2
	v_lshlrev_b64 v[4:5], 2, v[4:5]
	s_add_u32 s12, s16, s12
	v_add_co_u32_e32 v4, vcc, s12, v4
	s_mul_i32 s1, s1, s8
	s_mul_hi_u32 s12, s0, s8
	s_addc_u32 s13, s17, s13
	s_add_i32 s1, s12, s1
	s_mul_i32 s0, s0, s8
	s_lshl_b64 s[0:1], s[0:1], 2
	v_mov_b32_e32 v2, s13
	v_lshlrev_b64 v[6:7], 2, v[6:7]
	s_add_u32 s0, s14, s0
	v_addc_co_u32_e32 v5, vcc, v2, v5, vcc
	s_addc_u32 s1, s15, s1
	v_mov_b32_e32 v2, s1
	v_add_co_u32_e32 v6, vcc, s0, v6
	v_lshlrev_b32_e32 v12, 2, v0
	v_addc_co_u32_e32 v7, vcc, v2, v7, vcc
	v_mov_b32_e32 v2, v3
	v_mov_b32_e32 v8, v3
	;; [unrolled: 1-line block ×3, first 2 shown]
.LBB23_2:                               ; =>This Inner Loop Header: Depth=1
	global_load_dword v14, v[4:5], off
	s_add_i32 s9, s9, 8
	v_add_co_u32_e32 v4, vcc, 32, v4
	v_addc_co_u32_e32 v5, vcc, 0, v5, vcc
	s_cmp_ge_i32 s9, s11
	s_waitcnt vmcnt(0)
	ds_write_b32 v10, v14
	global_load_dword v14, v[6:7], off
	v_add_co_u32_e64 v6, s[0:1], 32, v6
	v_addc_co_u32_e64 v7, vcc, 0, v7, s[0:1]
	s_waitcnt vmcnt(0)
	ds_write_b32 v11, v14
	s_waitcnt lgkmcnt(0)
	s_barrier
	ds_read2_b32 v[18:19], v12 offset1:16
	ds_read_b128 v[14:17], v13
	ds_read2_b32 v[20:21], v12 offset0:32 offset1:48
	ds_read2_b32 v[22:23], v12 offset0:64 offset1:80
	;; [unrolled: 1-line block ×3, first 2 shown]
	s_waitcnt lgkmcnt(3)
	v_fmac_f32_e32 v9, v18, v14
	v_fmac_f32_e32 v8, v19, v14
	s_waitcnt lgkmcnt(2)
	v_fmac_f32_e32 v9, v20, v15
	v_fmac_f32_e32 v8, v21, v15
	s_waitcnt lgkmcnt(1)
	v_fmac_f32_e32 v9, v22, v16
	v_fmac_f32_e32 v8, v23, v16
	s_waitcnt lgkmcnt(0)
	v_fmac_f32_e32 v9, v24, v17
	v_fmac_f32_e32 v8, v25, v17
	ds_read_b128 v[14:17], v13 offset:512
	s_waitcnt lgkmcnt(0)
	v_fmac_f32_e32 v2, v18, v14
	v_fmac_f32_e32 v3, v19, v14
	v_fmac_f32_e32 v2, v20, v15
	v_fmac_f32_e32 v3, v21, v15
	v_fmac_f32_e32 v2, v22, v16
	v_fmac_f32_e32 v3, v23, v16
	v_fmac_f32_e32 v2, v24, v17
	v_fmac_f32_e32 v3, v25, v17
	ds_read2_b32 v[18:19], v12 offset0:128 offset1:144
	ds_read_b128 v[14:17], v13 offset:16
	ds_read2_b32 v[20:21], v12 offset0:160 offset1:176
	ds_read2_b32 v[22:23], v12 offset0:192 offset1:208
	;; [unrolled: 1-line block ×3, first 2 shown]
	s_waitcnt lgkmcnt(3)
	v_fmac_f32_e32 v9, v18, v14
	v_fmac_f32_e32 v8, v19, v14
	s_waitcnt lgkmcnt(2)
	v_fmac_f32_e32 v9, v20, v15
	v_fmac_f32_e32 v8, v21, v15
	s_waitcnt lgkmcnt(1)
	v_fmac_f32_e32 v9, v22, v16
	v_fmac_f32_e32 v8, v23, v16
	s_waitcnt lgkmcnt(0)
	v_fmac_f32_e32 v9, v24, v17
	v_fmac_f32_e32 v8, v25, v17
	ds_read_b128 v[14:17], v13 offset:528
	s_waitcnt lgkmcnt(0)
	s_barrier
	v_fmac_f32_e32 v2, v18, v14
	v_fmac_f32_e32 v3, v19, v14
	;; [unrolled: 1-line block ×8, first 2 shown]
	s_cbranch_scc0 .LBB23_2
	s_branch .LBB23_4
.LBB23_3:
	v_mov_b32_e32 v9, 0
	v_mov_b32_e32 v8, 0
	;; [unrolled: 1-line block ×4, first 2 shown]
.LBB23_4:
	s_load_dwordx2 s[0:1], s[4:5], 0x48
	s_load_dword s9, s[4:5], 0x40
	v_add_u32_e32 v6, s7, v1
	v_add_u32_e32 v0, s6, v0
	v_cmp_gt_i32_e32 vcc, s10, v6
	s_waitcnt lgkmcnt(0)
	s_mul_i32 s1, s1, s8
	v_mad_i64_i32 v[4:5], s[12:13], v6, s9, 0
	s_mul_hi_u32 s4, s0, s8
	s_mul_i32 s0, s0, s8
	s_add_i32 s1, s4, s1
	s_lshl_b64 s[0:1], s[0:1], 2
	s_add_u32 s4, s2, s0
	v_lshlrev_b64 v[4:5], 2, v[4:5]
	s_addc_u32 s5, s3, s1
	v_mov_b32_e32 v1, s5
	v_add_co_u32_e64 v7, s[0:1], s4, v4
	v_addc_co_u32_e64 v10, s[0:1], v1, v5, s[0:1]
	v_cmp_le_i32_e64 s[0:1], v0, v6
	s_and_b64 s[0:1], vcc, s[0:1]
	s_and_saveexec_b64 s[2:3], s[0:1]
	s_cbranch_execz .LBB23_6
; %bb.5:
	v_ashrrev_i32_e32 v1, 31, v0
	v_lshlrev_b64 v[4:5], 2, v[0:1]
	v_xor_b32_e32 v9, 0x80000000, v9
	v_add_co_u32_e64 v4, s[0:1], v7, v4
	v_addc_co_u32_e64 v5, s[0:1], v10, v5, s[0:1]
	global_store_dword v[4:5], v9, off
.LBB23_6:
	s_or_b64 exec, exec, s[2:3]
	v_add_u32_e32 v4, 16, v0
	v_cmp_le_i32_e64 s[0:1], v4, v6
	s_and_b64 s[2:3], vcc, s[0:1]
	s_and_saveexec_b64 s[0:1], s[2:3]
	s_cbranch_execz .LBB23_8
; %bb.7:
	v_ashrrev_i32_e32 v5, 31, v4
	v_xor_b32_e32 v1, 0x80000000, v8
	v_lshlrev_b64 v[8:9], 2, v[4:5]
	v_add_co_u32_e32 v7, vcc, v7, v8
	v_addc_co_u32_e32 v8, vcc, v10, v9, vcc
	global_store_dword v[7:8], v1, off
.LBB23_8:
	s_or_b64 exec, exec, s[0:1]
	v_add_u32_e32 v5, 16, v6
	v_mad_i64_i32 v[6:7], s[0:1], v5, s9, 0
	v_mov_b32_e32 v1, s5
	v_cmp_gt_i32_e32 vcc, s10, v5
	v_lshlrev_b64 v[6:7], 2, v[6:7]
	v_add_co_u32_e64 v6, s[0:1], s4, v6
	v_addc_co_u32_e64 v7, s[0:1], v1, v7, s[0:1]
	v_cmp_le_i32_e64 s[0:1], v0, v5
	s_and_b64 s[0:1], vcc, s[0:1]
	s_and_saveexec_b64 s[2:3], s[0:1]
	s_cbranch_execz .LBB23_10
; %bb.9:
	v_ashrrev_i32_e32 v1, 31, v0
	v_lshlrev_b64 v[0:1], 2, v[0:1]
	v_xor_b32_e32 v2, 0x80000000, v2
	v_add_co_u32_e64 v0, s[0:1], v6, v0
	v_addc_co_u32_e64 v1, s[0:1], v7, v1, s[0:1]
	global_store_dword v[0:1], v2, off
.LBB23_10:
	s_or_b64 exec, exec, s[2:3]
	v_cmp_le_i32_e64 s[0:1], v4, v5
	s_and_b64 s[0:1], vcc, s[0:1]
	s_and_saveexec_b64 s[2:3], s[0:1]
	s_cbranch_execz .LBB23_12
; %bb.11:
	v_ashrrev_i32_e32 v5, 31, v4
	v_lshlrev_b64 v[0:1], 2, v[4:5]
	v_xor_b32_e32 v2, 0x80000000, v3
	v_add_co_u32_e32 v0, vcc, v6, v0
	v_addc_co_u32_e32 v1, vcc, v7, v1, vcc
	global_store_dword v[0:1], v2, off
.LBB23_12:
	s_endpgm
	.section	.rodata,"a",@progbits
	.p2align	6, 0x0
	.amdhsa_kernel _ZL37rocblas_syrkx_herkx_restricted_kernelIifLi16ELi32ELi8ELin1ELi0ELb0ELc84ELc85EKffEviT_PT9_S1_lS3_S1_lPT10_S1_li
		.amdhsa_group_segment_fixed_size 2048
		.amdhsa_private_segment_fixed_size 0
		.amdhsa_kernarg_size 84
		.amdhsa_user_sgpr_count 6
		.amdhsa_user_sgpr_private_segment_buffer 1
		.amdhsa_user_sgpr_dispatch_ptr 0
		.amdhsa_user_sgpr_queue_ptr 0
		.amdhsa_user_sgpr_kernarg_segment_ptr 1
		.amdhsa_user_sgpr_dispatch_id 0
		.amdhsa_user_sgpr_flat_scratch_init 0
		.amdhsa_user_sgpr_private_segment_size 0
		.amdhsa_uses_dynamic_stack 0
		.amdhsa_system_sgpr_private_segment_wavefront_offset 0
		.amdhsa_system_sgpr_workgroup_id_x 1
		.amdhsa_system_sgpr_workgroup_id_y 1
		.amdhsa_system_sgpr_workgroup_id_z 1
		.amdhsa_system_sgpr_workgroup_info 0
		.amdhsa_system_vgpr_workitem_id 1
		.amdhsa_next_free_vgpr 26
		.amdhsa_next_free_sgpr 22
		.amdhsa_reserve_vcc 1
		.amdhsa_reserve_flat_scratch 0
		.amdhsa_float_round_mode_32 0
		.amdhsa_float_round_mode_16_64 0
		.amdhsa_float_denorm_mode_32 3
		.amdhsa_float_denorm_mode_16_64 3
		.amdhsa_dx10_clamp 1
		.amdhsa_ieee_mode 1
		.amdhsa_fp16_overflow 0
		.amdhsa_exception_fp_ieee_invalid_op 0
		.amdhsa_exception_fp_denorm_src 0
		.amdhsa_exception_fp_ieee_div_zero 0
		.amdhsa_exception_fp_ieee_overflow 0
		.amdhsa_exception_fp_ieee_underflow 0
		.amdhsa_exception_fp_ieee_inexact 0
		.amdhsa_exception_int_div_zero 0
	.end_amdhsa_kernel
	.section	.text._ZL37rocblas_syrkx_herkx_restricted_kernelIifLi16ELi32ELi8ELin1ELi0ELb0ELc84ELc85EKffEviT_PT9_S1_lS3_S1_lPT10_S1_li,"axG",@progbits,_ZL37rocblas_syrkx_herkx_restricted_kernelIifLi16ELi32ELi8ELin1ELi0ELb0ELc84ELc85EKffEviT_PT9_S1_lS3_S1_lPT10_S1_li,comdat
.Lfunc_end23:
	.size	_ZL37rocblas_syrkx_herkx_restricted_kernelIifLi16ELi32ELi8ELin1ELi0ELb0ELc84ELc85EKffEviT_PT9_S1_lS3_S1_lPT10_S1_li, .Lfunc_end23-_ZL37rocblas_syrkx_herkx_restricted_kernelIifLi16ELi32ELi8ELin1ELi0ELb0ELc84ELc85EKffEviT_PT9_S1_lS3_S1_lPT10_S1_li
                                        ; -- End function
	.set _ZL37rocblas_syrkx_herkx_restricted_kernelIifLi16ELi32ELi8ELin1ELi0ELb0ELc84ELc85EKffEviT_PT9_S1_lS3_S1_lPT10_S1_li.num_vgpr, 26
	.set _ZL37rocblas_syrkx_herkx_restricted_kernelIifLi16ELi32ELi8ELin1ELi0ELb0ELc84ELc85EKffEviT_PT9_S1_lS3_S1_lPT10_S1_li.num_agpr, 0
	.set _ZL37rocblas_syrkx_herkx_restricted_kernelIifLi16ELi32ELi8ELin1ELi0ELb0ELc84ELc85EKffEviT_PT9_S1_lS3_S1_lPT10_S1_li.numbered_sgpr, 22
	.set _ZL37rocblas_syrkx_herkx_restricted_kernelIifLi16ELi32ELi8ELin1ELi0ELb0ELc84ELc85EKffEviT_PT9_S1_lS3_S1_lPT10_S1_li.num_named_barrier, 0
	.set _ZL37rocblas_syrkx_herkx_restricted_kernelIifLi16ELi32ELi8ELin1ELi0ELb0ELc84ELc85EKffEviT_PT9_S1_lS3_S1_lPT10_S1_li.private_seg_size, 0
	.set _ZL37rocblas_syrkx_herkx_restricted_kernelIifLi16ELi32ELi8ELin1ELi0ELb0ELc84ELc85EKffEviT_PT9_S1_lS3_S1_lPT10_S1_li.uses_vcc, 1
	.set _ZL37rocblas_syrkx_herkx_restricted_kernelIifLi16ELi32ELi8ELin1ELi0ELb0ELc84ELc85EKffEviT_PT9_S1_lS3_S1_lPT10_S1_li.uses_flat_scratch, 0
	.set _ZL37rocblas_syrkx_herkx_restricted_kernelIifLi16ELi32ELi8ELin1ELi0ELb0ELc84ELc85EKffEviT_PT9_S1_lS3_S1_lPT10_S1_li.has_dyn_sized_stack, 0
	.set _ZL37rocblas_syrkx_herkx_restricted_kernelIifLi16ELi32ELi8ELin1ELi0ELb0ELc84ELc85EKffEviT_PT9_S1_lS3_S1_lPT10_S1_li.has_recursion, 0
	.set _ZL37rocblas_syrkx_herkx_restricted_kernelIifLi16ELi32ELi8ELin1ELi0ELb0ELc84ELc85EKffEviT_PT9_S1_lS3_S1_lPT10_S1_li.has_indirect_call, 0
	.section	.AMDGPU.csdata,"",@progbits
; Kernel info:
; codeLenInByte = 1064
; TotalNumSgprs: 26
; NumVgprs: 26
; ScratchSize: 0
; MemoryBound: 0
; FloatMode: 240
; IeeeMode: 1
; LDSByteSize: 2048 bytes/workgroup (compile time only)
; SGPRBlocks: 3
; VGPRBlocks: 6
; NumSGPRsForWavesPerEU: 26
; NumVGPRsForWavesPerEU: 26
; Occupancy: 9
; WaveLimiterHint : 0
; COMPUTE_PGM_RSRC2:SCRATCH_EN: 0
; COMPUTE_PGM_RSRC2:USER_SGPR: 6
; COMPUTE_PGM_RSRC2:TRAP_HANDLER: 0
; COMPUTE_PGM_RSRC2:TGID_X_EN: 1
; COMPUTE_PGM_RSRC2:TGID_Y_EN: 1
; COMPUTE_PGM_RSRC2:TGID_Z_EN: 1
; COMPUTE_PGM_RSRC2:TIDIG_COMP_CNT: 1
	.section	.text._ZL37rocblas_syrkx_herkx_restricted_kernelIifLi16ELi32ELi8ELin1ELi0ELb0ELc67ELc85EKffEviT_PT9_S1_lS3_S1_lPT10_S1_li,"axG",@progbits,_ZL37rocblas_syrkx_herkx_restricted_kernelIifLi16ELi32ELi8ELin1ELi0ELb0ELc67ELc85EKffEviT_PT9_S1_lS3_S1_lPT10_S1_li,comdat
	.globl	_ZL37rocblas_syrkx_herkx_restricted_kernelIifLi16ELi32ELi8ELin1ELi0ELb0ELc67ELc85EKffEviT_PT9_S1_lS3_S1_lPT10_S1_li ; -- Begin function _ZL37rocblas_syrkx_herkx_restricted_kernelIifLi16ELi32ELi8ELin1ELi0ELb0ELc67ELc85EKffEviT_PT9_S1_lS3_S1_lPT10_S1_li
	.p2align	8
	.type	_ZL37rocblas_syrkx_herkx_restricted_kernelIifLi16ELi32ELi8ELin1ELi0ELb0ELc67ELc85EKffEviT_PT9_S1_lS3_S1_lPT10_S1_li,@function
_ZL37rocblas_syrkx_herkx_restricted_kernelIifLi16ELi32ELi8ELin1ELi0ELb0ELc67ELc85EKffEviT_PT9_S1_lS3_S1_lPT10_S1_li: ; @_ZL37rocblas_syrkx_herkx_restricted_kernelIifLi16ELi32ELi8ELin1ELi0ELb0ELc67ELc85EKffEviT_PT9_S1_lS3_S1_lPT10_S1_li
; %bb.0:
	s_load_dwordx2 s[10:11], s[4:5], 0x0
	s_load_dwordx4 s[0:3], s[4:5], 0x30
	s_lshl_b32 s6, s6, 5
	s_lshl_b32 s7, s7, 5
	s_mov_b32 s9, 0
	s_waitcnt lgkmcnt(0)
	s_cmp_lt_i32 s11, 1
	s_cbranch_scc1 .LBB24_3
; %bb.1:
	s_load_dwordx2 s[16:17], s[4:5], 0x8
	s_load_dword s20, s[4:5], 0x10
	s_load_dwordx4 s[12:15], s[4:5], 0x18
	s_load_dword s18, s[4:5], 0x28
	v_lshl_add_u32 v4, v1, 4, v0
	v_lshrrev_b32_e32 v8, 3, v4
	v_add_u32_e32 v5, s7, v8
	v_and_b32_e32 v2, 7, v0
	v_mov_b32_e32 v3, 0
	s_waitcnt lgkmcnt(0)
	v_mad_i64_i32 v[6:7], s[18:19], s18, v5, v[2:3]
	v_lshlrev_b32_e32 v2, 2, v2
	v_lshl_or_b32 v2, v8, 5, v2
	v_and_b32_e32 v9, 31, v4
	v_add_u32_e32 v11, 0x400, v2
	v_mov_b32_e32 v2, 0x400
	v_lshrrev_b32_e32 v4, 5, v4
	v_mov_b32_e32 v5, v3
	v_lshlrev_b32_e32 v10, 2, v9
	v_lshl_add_u32 v13, v1, 5, v2
	v_add_u32_e32 v2, s6, v9
	v_lshl_or_b32 v10, v4, 7, v10
	v_mad_i64_i32 v[4:5], s[18:19], s20, v2, v[4:5]
	s_mul_i32 s13, s13, s8
	s_mul_hi_u32 s21, s12, s8
	s_add_i32 s13, s21, s13
	s_mul_i32 s12, s12, s8
	s_lshl_b64 s[12:13], s[12:13], 2
	v_lshlrev_b64 v[4:5], 2, v[4:5]
	s_add_u32 s12, s16, s12
	v_add_co_u32_e32 v4, vcc, s12, v4
	s_mul_i32 s1, s1, s8
	s_mul_hi_u32 s12, s0, s8
	s_addc_u32 s13, s17, s13
	s_add_i32 s1, s12, s1
	s_mul_i32 s0, s0, s8
	s_lshl_b64 s[0:1], s[0:1], 2
	v_mov_b32_e32 v2, s13
	v_lshlrev_b64 v[6:7], 2, v[6:7]
	s_add_u32 s0, s14, s0
	v_addc_co_u32_e32 v5, vcc, v2, v5, vcc
	s_addc_u32 s1, s15, s1
	v_mov_b32_e32 v2, s1
	v_add_co_u32_e32 v6, vcc, s0, v6
	v_lshlrev_b32_e32 v12, 2, v0
	v_addc_co_u32_e32 v7, vcc, v2, v7, vcc
	v_mov_b32_e32 v2, v3
	v_mov_b32_e32 v8, v3
	;; [unrolled: 1-line block ×3, first 2 shown]
.LBB24_2:                               ; =>This Inner Loop Header: Depth=1
	global_load_dword v14, v[4:5], off
	s_add_i32 s9, s9, 8
	v_add_co_u32_e32 v4, vcc, 32, v4
	v_addc_co_u32_e32 v5, vcc, 0, v5, vcc
	s_cmp_ge_i32 s9, s11
	s_waitcnt vmcnt(0)
	ds_write_b32 v10, v14
	global_load_dword v14, v[6:7], off
	v_add_co_u32_e64 v6, s[0:1], 32, v6
	v_addc_co_u32_e64 v7, vcc, 0, v7, s[0:1]
	s_waitcnt vmcnt(0)
	ds_write_b32 v11, v14
	s_waitcnt lgkmcnt(0)
	s_barrier
	ds_read2_b32 v[18:19], v12 offset1:16
	ds_read_b128 v[14:17], v13
	ds_read2_b32 v[20:21], v12 offset0:32 offset1:48
	ds_read2_b32 v[22:23], v12 offset0:64 offset1:80
	;; [unrolled: 1-line block ×3, first 2 shown]
	s_waitcnt lgkmcnt(3)
	v_fmac_f32_e32 v9, v18, v14
	v_fmac_f32_e32 v8, v19, v14
	s_waitcnt lgkmcnt(2)
	v_fmac_f32_e32 v9, v20, v15
	v_fmac_f32_e32 v8, v21, v15
	s_waitcnt lgkmcnt(1)
	v_fmac_f32_e32 v9, v22, v16
	v_fmac_f32_e32 v8, v23, v16
	s_waitcnt lgkmcnt(0)
	v_fmac_f32_e32 v9, v24, v17
	v_fmac_f32_e32 v8, v25, v17
	ds_read_b128 v[14:17], v13 offset:512
	s_waitcnt lgkmcnt(0)
	v_fmac_f32_e32 v2, v18, v14
	v_fmac_f32_e32 v3, v19, v14
	;; [unrolled: 1-line block ×8, first 2 shown]
	ds_read2_b32 v[18:19], v12 offset0:128 offset1:144
	ds_read_b128 v[14:17], v13 offset:16
	ds_read2_b32 v[20:21], v12 offset0:160 offset1:176
	ds_read2_b32 v[22:23], v12 offset0:192 offset1:208
	;; [unrolled: 1-line block ×3, first 2 shown]
	s_waitcnt lgkmcnt(3)
	v_fmac_f32_e32 v9, v18, v14
	v_fmac_f32_e32 v8, v19, v14
	s_waitcnt lgkmcnt(2)
	v_fmac_f32_e32 v9, v20, v15
	v_fmac_f32_e32 v8, v21, v15
	;; [unrolled: 3-line block ×4, first 2 shown]
	ds_read_b128 v[14:17], v13 offset:528
	s_waitcnt lgkmcnt(0)
	s_barrier
	v_fmac_f32_e32 v2, v18, v14
	v_fmac_f32_e32 v3, v19, v14
	;; [unrolled: 1-line block ×8, first 2 shown]
	s_cbranch_scc0 .LBB24_2
	s_branch .LBB24_4
.LBB24_3:
	v_mov_b32_e32 v9, 0
	v_mov_b32_e32 v8, 0
	;; [unrolled: 1-line block ×4, first 2 shown]
.LBB24_4:
	s_load_dwordx2 s[0:1], s[4:5], 0x48
	s_load_dword s9, s[4:5], 0x40
	v_add_u32_e32 v6, s7, v1
	v_add_u32_e32 v0, s6, v0
	v_cmp_gt_i32_e32 vcc, s10, v6
	s_waitcnt lgkmcnt(0)
	s_mul_i32 s1, s1, s8
	v_mad_i64_i32 v[4:5], s[12:13], v6, s9, 0
	s_mul_hi_u32 s4, s0, s8
	s_mul_i32 s0, s0, s8
	s_add_i32 s1, s4, s1
	s_lshl_b64 s[0:1], s[0:1], 2
	s_add_u32 s4, s2, s0
	v_lshlrev_b64 v[4:5], 2, v[4:5]
	s_addc_u32 s5, s3, s1
	v_mov_b32_e32 v1, s5
	v_add_co_u32_e64 v7, s[0:1], s4, v4
	v_addc_co_u32_e64 v10, s[0:1], v1, v5, s[0:1]
	v_cmp_le_i32_e64 s[0:1], v0, v6
	s_and_b64 s[0:1], vcc, s[0:1]
	s_and_saveexec_b64 s[2:3], s[0:1]
	s_cbranch_execz .LBB24_6
; %bb.5:
	v_ashrrev_i32_e32 v1, 31, v0
	v_lshlrev_b64 v[4:5], 2, v[0:1]
	v_xor_b32_e32 v9, 0x80000000, v9
	v_add_co_u32_e64 v4, s[0:1], v7, v4
	v_addc_co_u32_e64 v5, s[0:1], v10, v5, s[0:1]
	global_store_dword v[4:5], v9, off
.LBB24_6:
	s_or_b64 exec, exec, s[2:3]
	v_add_u32_e32 v4, 16, v0
	v_cmp_le_i32_e64 s[0:1], v4, v6
	s_and_b64 s[2:3], vcc, s[0:1]
	s_and_saveexec_b64 s[0:1], s[2:3]
	s_cbranch_execz .LBB24_8
; %bb.7:
	v_ashrrev_i32_e32 v5, 31, v4
	v_xor_b32_e32 v1, 0x80000000, v8
	v_lshlrev_b64 v[8:9], 2, v[4:5]
	v_add_co_u32_e32 v7, vcc, v7, v8
	v_addc_co_u32_e32 v8, vcc, v10, v9, vcc
	global_store_dword v[7:8], v1, off
.LBB24_8:
	s_or_b64 exec, exec, s[0:1]
	v_add_u32_e32 v5, 16, v6
	v_mad_i64_i32 v[6:7], s[0:1], v5, s9, 0
	v_mov_b32_e32 v1, s5
	v_cmp_gt_i32_e32 vcc, s10, v5
	v_lshlrev_b64 v[6:7], 2, v[6:7]
	v_add_co_u32_e64 v6, s[0:1], s4, v6
	v_addc_co_u32_e64 v7, s[0:1], v1, v7, s[0:1]
	v_cmp_le_i32_e64 s[0:1], v0, v5
	s_and_b64 s[0:1], vcc, s[0:1]
	s_and_saveexec_b64 s[2:3], s[0:1]
	s_cbranch_execz .LBB24_10
; %bb.9:
	v_ashrrev_i32_e32 v1, 31, v0
	v_lshlrev_b64 v[0:1], 2, v[0:1]
	v_xor_b32_e32 v2, 0x80000000, v2
	v_add_co_u32_e64 v0, s[0:1], v6, v0
	v_addc_co_u32_e64 v1, s[0:1], v7, v1, s[0:1]
	global_store_dword v[0:1], v2, off
.LBB24_10:
	s_or_b64 exec, exec, s[2:3]
	v_cmp_le_i32_e64 s[0:1], v4, v5
	s_and_b64 s[0:1], vcc, s[0:1]
	s_and_saveexec_b64 s[2:3], s[0:1]
	s_cbranch_execz .LBB24_12
; %bb.11:
	v_ashrrev_i32_e32 v5, 31, v4
	v_lshlrev_b64 v[0:1], 2, v[4:5]
	v_xor_b32_e32 v2, 0x80000000, v3
	v_add_co_u32_e32 v0, vcc, v6, v0
	v_addc_co_u32_e32 v1, vcc, v7, v1, vcc
	global_store_dword v[0:1], v2, off
.LBB24_12:
	s_endpgm
	.section	.rodata,"a",@progbits
	.p2align	6, 0x0
	.amdhsa_kernel _ZL37rocblas_syrkx_herkx_restricted_kernelIifLi16ELi32ELi8ELin1ELi0ELb0ELc67ELc85EKffEviT_PT9_S1_lS3_S1_lPT10_S1_li
		.amdhsa_group_segment_fixed_size 2048
		.amdhsa_private_segment_fixed_size 0
		.amdhsa_kernarg_size 84
		.amdhsa_user_sgpr_count 6
		.amdhsa_user_sgpr_private_segment_buffer 1
		.amdhsa_user_sgpr_dispatch_ptr 0
		.amdhsa_user_sgpr_queue_ptr 0
		.amdhsa_user_sgpr_kernarg_segment_ptr 1
		.amdhsa_user_sgpr_dispatch_id 0
		.amdhsa_user_sgpr_flat_scratch_init 0
		.amdhsa_user_sgpr_private_segment_size 0
		.amdhsa_uses_dynamic_stack 0
		.amdhsa_system_sgpr_private_segment_wavefront_offset 0
		.amdhsa_system_sgpr_workgroup_id_x 1
		.amdhsa_system_sgpr_workgroup_id_y 1
		.amdhsa_system_sgpr_workgroup_id_z 1
		.amdhsa_system_sgpr_workgroup_info 0
		.amdhsa_system_vgpr_workitem_id 1
		.amdhsa_next_free_vgpr 26
		.amdhsa_next_free_sgpr 22
		.amdhsa_reserve_vcc 1
		.amdhsa_reserve_flat_scratch 0
		.amdhsa_float_round_mode_32 0
		.amdhsa_float_round_mode_16_64 0
		.amdhsa_float_denorm_mode_32 3
		.amdhsa_float_denorm_mode_16_64 3
		.amdhsa_dx10_clamp 1
		.amdhsa_ieee_mode 1
		.amdhsa_fp16_overflow 0
		.amdhsa_exception_fp_ieee_invalid_op 0
		.amdhsa_exception_fp_denorm_src 0
		.amdhsa_exception_fp_ieee_div_zero 0
		.amdhsa_exception_fp_ieee_overflow 0
		.amdhsa_exception_fp_ieee_underflow 0
		.amdhsa_exception_fp_ieee_inexact 0
		.amdhsa_exception_int_div_zero 0
	.end_amdhsa_kernel
	.section	.text._ZL37rocblas_syrkx_herkx_restricted_kernelIifLi16ELi32ELi8ELin1ELi0ELb0ELc67ELc85EKffEviT_PT9_S1_lS3_S1_lPT10_S1_li,"axG",@progbits,_ZL37rocblas_syrkx_herkx_restricted_kernelIifLi16ELi32ELi8ELin1ELi0ELb0ELc67ELc85EKffEviT_PT9_S1_lS3_S1_lPT10_S1_li,comdat
.Lfunc_end24:
	.size	_ZL37rocblas_syrkx_herkx_restricted_kernelIifLi16ELi32ELi8ELin1ELi0ELb0ELc67ELc85EKffEviT_PT9_S1_lS3_S1_lPT10_S1_li, .Lfunc_end24-_ZL37rocblas_syrkx_herkx_restricted_kernelIifLi16ELi32ELi8ELin1ELi0ELb0ELc67ELc85EKffEviT_PT9_S1_lS3_S1_lPT10_S1_li
                                        ; -- End function
	.set _ZL37rocblas_syrkx_herkx_restricted_kernelIifLi16ELi32ELi8ELin1ELi0ELb0ELc67ELc85EKffEviT_PT9_S1_lS3_S1_lPT10_S1_li.num_vgpr, 26
	.set _ZL37rocblas_syrkx_herkx_restricted_kernelIifLi16ELi32ELi8ELin1ELi0ELb0ELc67ELc85EKffEviT_PT9_S1_lS3_S1_lPT10_S1_li.num_agpr, 0
	.set _ZL37rocblas_syrkx_herkx_restricted_kernelIifLi16ELi32ELi8ELin1ELi0ELb0ELc67ELc85EKffEviT_PT9_S1_lS3_S1_lPT10_S1_li.numbered_sgpr, 22
	.set _ZL37rocblas_syrkx_herkx_restricted_kernelIifLi16ELi32ELi8ELin1ELi0ELb0ELc67ELc85EKffEviT_PT9_S1_lS3_S1_lPT10_S1_li.num_named_barrier, 0
	.set _ZL37rocblas_syrkx_herkx_restricted_kernelIifLi16ELi32ELi8ELin1ELi0ELb0ELc67ELc85EKffEviT_PT9_S1_lS3_S1_lPT10_S1_li.private_seg_size, 0
	.set _ZL37rocblas_syrkx_herkx_restricted_kernelIifLi16ELi32ELi8ELin1ELi0ELb0ELc67ELc85EKffEviT_PT9_S1_lS3_S1_lPT10_S1_li.uses_vcc, 1
	.set _ZL37rocblas_syrkx_herkx_restricted_kernelIifLi16ELi32ELi8ELin1ELi0ELb0ELc67ELc85EKffEviT_PT9_S1_lS3_S1_lPT10_S1_li.uses_flat_scratch, 0
	.set _ZL37rocblas_syrkx_herkx_restricted_kernelIifLi16ELi32ELi8ELin1ELi0ELb0ELc67ELc85EKffEviT_PT9_S1_lS3_S1_lPT10_S1_li.has_dyn_sized_stack, 0
	.set _ZL37rocblas_syrkx_herkx_restricted_kernelIifLi16ELi32ELi8ELin1ELi0ELb0ELc67ELc85EKffEviT_PT9_S1_lS3_S1_lPT10_S1_li.has_recursion, 0
	.set _ZL37rocblas_syrkx_herkx_restricted_kernelIifLi16ELi32ELi8ELin1ELi0ELb0ELc67ELc85EKffEviT_PT9_S1_lS3_S1_lPT10_S1_li.has_indirect_call, 0
	.section	.AMDGPU.csdata,"",@progbits
; Kernel info:
; codeLenInByte = 1064
; TotalNumSgprs: 26
; NumVgprs: 26
; ScratchSize: 0
; MemoryBound: 0
; FloatMode: 240
; IeeeMode: 1
; LDSByteSize: 2048 bytes/workgroup (compile time only)
; SGPRBlocks: 3
; VGPRBlocks: 6
; NumSGPRsForWavesPerEU: 26
; NumVGPRsForWavesPerEU: 26
; Occupancy: 9
; WaveLimiterHint : 0
; COMPUTE_PGM_RSRC2:SCRATCH_EN: 0
; COMPUTE_PGM_RSRC2:USER_SGPR: 6
; COMPUTE_PGM_RSRC2:TRAP_HANDLER: 0
; COMPUTE_PGM_RSRC2:TGID_X_EN: 1
; COMPUTE_PGM_RSRC2:TGID_Y_EN: 1
; COMPUTE_PGM_RSRC2:TGID_Z_EN: 1
; COMPUTE_PGM_RSRC2:TIDIG_COMP_CNT: 1
	.section	.text._ZL37rocblas_syrkx_herkx_restricted_kernelIifLi16ELi32ELi8ELin1ELi0ELb0ELc78ELc85EKffEviT_PT9_S1_lS3_S1_lPT10_S1_li,"axG",@progbits,_ZL37rocblas_syrkx_herkx_restricted_kernelIifLi16ELi32ELi8ELin1ELi0ELb0ELc78ELc85EKffEviT_PT9_S1_lS3_S1_lPT10_S1_li,comdat
	.globl	_ZL37rocblas_syrkx_herkx_restricted_kernelIifLi16ELi32ELi8ELin1ELi0ELb0ELc78ELc85EKffEviT_PT9_S1_lS3_S1_lPT10_S1_li ; -- Begin function _ZL37rocblas_syrkx_herkx_restricted_kernelIifLi16ELi32ELi8ELin1ELi0ELb0ELc78ELc85EKffEviT_PT9_S1_lS3_S1_lPT10_S1_li
	.p2align	8
	.type	_ZL37rocblas_syrkx_herkx_restricted_kernelIifLi16ELi32ELi8ELin1ELi0ELb0ELc78ELc85EKffEviT_PT9_S1_lS3_S1_lPT10_S1_li,@function
_ZL37rocblas_syrkx_herkx_restricted_kernelIifLi16ELi32ELi8ELin1ELi0ELb0ELc78ELc85EKffEviT_PT9_S1_lS3_S1_lPT10_S1_li: ; @_ZL37rocblas_syrkx_herkx_restricted_kernelIifLi16ELi32ELi8ELin1ELi0ELb0ELc78ELc85EKffEviT_PT9_S1_lS3_S1_lPT10_S1_li
; %bb.0:
	s_load_dwordx2 s[10:11], s[4:5], 0x0
	s_load_dwordx4 s[0:3], s[4:5], 0x30
	s_lshl_b32 s9, s6, 5
	s_lshl_b32 s16, s7, 5
	s_mov_b32 s17, 0
	s_waitcnt lgkmcnt(0)
	s_cmp_lt_i32 s11, 1
	s_cbranch_scc1 .LBB25_3
; %bb.1:
	v_lshl_add_u32 v7, v1, 4, v0
	s_load_dword s6, s[4:5], 0x10
	s_load_dword s18, s[4:5], 0x28
	s_load_dwordx2 s[20:21], s[4:5], 0x8
	s_load_dwordx4 s[12:15], s[4:5], 0x18
	v_lshrrev_b32_e32 v8, 3, v7
	v_add_u32_e32 v2, s16, v8
	v_and_b32_e32 v6, 7, v0
	v_ashrrev_i32_e32 v3, 31, v2
	s_waitcnt lgkmcnt(0)
	v_mad_i64_i32 v[4:5], s[22:23], s18, v6, v[2:3]
	v_and_b32_e32 v2, 31, v7
	v_lshrrev_b32_e32 v9, 5, v7
	v_lshlrev_b32_e32 v3, 2, v2
	v_lshl_or_b32 v10, v9, 7, v3
	v_lshlrev_b32_e32 v3, 2, v6
	v_lshl_or_b32 v3, v8, 5, v3
	v_add_u32_e32 v11, 0x400, v3
	v_mov_b32_e32 v3, 0x400
	v_add_u32_e32 v2, s9, v2
	v_lshl_add_u32 v13, v1, 5, v3
	v_ashrrev_i32_e32 v3, 31, v2
	v_mad_i64_i32 v[2:3], s[22:23], s6, v9, v[2:3]
	s_mul_i32 s13, s13, s8
	s_mul_hi_u32 s24, s12, s8
	s_add_i32 s13, s24, s13
	s_mul_i32 s12, s12, s8
	s_ashr_i32 s7, s6, 31
	s_ashr_i32 s19, s18, 31
	s_lshl_b64 s[12:13], s[12:13], 2
	v_lshlrev_b64 v[2:3], 2, v[2:3]
	s_add_u32 s12, s20, s12
	v_add_co_u32_e32 v2, vcc, s12, v2
	s_mul_i32 s1, s1, s8
	s_mul_hi_u32 s12, s0, s8
	s_addc_u32 s13, s21, s13
	s_add_i32 s1, s12, s1
	s_mul_i32 s0, s0, s8
	s_lshl_b64 s[6:7], s[6:7], 5
	s_lshl_b64 s[0:1], s[0:1], 2
	v_mov_b32_e32 v6, s13
	v_lshlrev_b64 v[4:5], 2, v[4:5]
	s_add_u32 s0, s14, s0
	v_addc_co_u32_e32 v3, vcc, v6, v3, vcc
	s_addc_u32 s1, s15, s1
	v_mov_b32_e32 v6, s1
	v_add_co_u32_e32 v4, vcc, s0, v4
	s_lshl_b64 s[12:13], s[18:19], 5
	v_lshlrev_b32_e32 v12, 2, v0
	v_addc_co_u32_e32 v5, vcc, v6, v5, vcc
	v_mov_b32_e32 v6, 0
	v_mov_b32_e32 v14, s7
	;; [unrolled: 1-line block ×6, first 2 shown]
.LBB25_2:                               ; =>This Inner Loop Header: Depth=1
	global_load_dword v16, v[2:3], off
	global_load_dword v17, v[4:5], off
	s_add_i32 s17, s17, 8
	v_add_co_u32_e32 v2, vcc, s6, v2
	v_add_co_u32_e64 v4, s[0:1], s12, v4
	v_addc_co_u32_e32 v3, vcc, v3, v14, vcc
	v_addc_co_u32_e64 v5, vcc, v5, v15, s[0:1]
	s_cmp_ge_i32 s17, s11
	s_waitcnt vmcnt(1)
	ds_write_b32 v10, v16
	s_waitcnt vmcnt(0)
	ds_write_b32 v11, v17
	s_waitcnt lgkmcnt(0)
	s_barrier
	ds_read2_b32 v[20:21], v12 offset1:16
	ds_read_b128 v[16:19], v13
	ds_read2_b32 v[22:23], v12 offset0:32 offset1:48
	ds_read2_b32 v[24:25], v12 offset0:64 offset1:80
	;; [unrolled: 1-line block ×3, first 2 shown]
	s_waitcnt lgkmcnt(3)
	v_fmac_f32_e32 v9, v20, v16
	v_fmac_f32_e32 v8, v21, v16
	s_waitcnt lgkmcnt(2)
	v_fmac_f32_e32 v9, v22, v17
	v_fmac_f32_e32 v8, v23, v17
	;; [unrolled: 3-line block ×4, first 2 shown]
	ds_read_b128 v[16:19], v13 offset:512
	s_waitcnt lgkmcnt(0)
	v_fmac_f32_e32 v7, v20, v16
	v_fmac_f32_e32 v6, v21, v16
	;; [unrolled: 1-line block ×8, first 2 shown]
	ds_read2_b32 v[20:21], v12 offset0:128 offset1:144
	ds_read_b128 v[16:19], v13 offset:16
	ds_read2_b32 v[22:23], v12 offset0:160 offset1:176
	ds_read2_b32 v[24:25], v12 offset0:192 offset1:208
	ds_read2_b32 v[26:27], v12 offset0:224 offset1:240
	s_waitcnt lgkmcnt(3)
	v_fmac_f32_e32 v9, v20, v16
	v_fmac_f32_e32 v8, v21, v16
	s_waitcnt lgkmcnt(2)
	v_fmac_f32_e32 v9, v22, v17
	v_fmac_f32_e32 v8, v23, v17
	;; [unrolled: 3-line block ×4, first 2 shown]
	ds_read_b128 v[16:19], v13 offset:528
	s_waitcnt lgkmcnt(0)
	s_barrier
	v_fmac_f32_e32 v7, v20, v16
	v_fmac_f32_e32 v6, v21, v16
	;; [unrolled: 1-line block ×8, first 2 shown]
	s_cbranch_scc0 .LBB25_2
	s_branch .LBB25_4
.LBB25_3:
	v_mov_b32_e32 v9, 0
	v_mov_b32_e32 v8, 0
	;; [unrolled: 1-line block ×4, first 2 shown]
.LBB25_4:
	s_load_dwordx2 s[0:1], s[4:5], 0x48
	s_load_dword s6, s[4:5], 0x40
	v_add_u32_e32 v4, s16, v1
	v_add_u32_e32 v0, s9, v0
	v_cmp_gt_i32_e32 vcc, s10, v4
	s_waitcnt lgkmcnt(0)
	s_mul_i32 s1, s1, s8
	v_mad_i64_i32 v[1:2], s[12:13], v4, s6, 0
	s_mul_hi_u32 s4, s0, s8
	s_mul_i32 s0, s0, s8
	s_add_i32 s1, s4, s1
	s_lshl_b64 s[0:1], s[0:1], 2
	s_add_u32 s4, s2, s0
	v_lshlrev_b64 v[1:2], 2, v[1:2]
	s_addc_u32 s5, s3, s1
	v_mov_b32_e32 v3, s5
	v_add_co_u32_e64 v5, s[0:1], s4, v1
	v_addc_co_u32_e64 v10, s[0:1], v3, v2, s[0:1]
	v_cmp_le_i32_e64 s[0:1], v0, v4
	s_and_b64 s[0:1], vcc, s[0:1]
	s_and_saveexec_b64 s[2:3], s[0:1]
	s_cbranch_execz .LBB25_6
; %bb.5:
	v_ashrrev_i32_e32 v1, 31, v0
	v_lshlrev_b64 v[1:2], 2, v[0:1]
	v_xor_b32_e32 v3, 0x80000000, v9
	v_add_co_u32_e64 v1, s[0:1], v5, v1
	v_addc_co_u32_e64 v2, s[0:1], v10, v2, s[0:1]
	global_store_dword v[1:2], v3, off
.LBB25_6:
	s_or_b64 exec, exec, s[2:3]
	v_add_u32_e32 v2, 16, v0
	v_cmp_le_i32_e64 s[0:1], v2, v4
	s_and_b64 s[2:3], vcc, s[0:1]
	s_and_saveexec_b64 s[0:1], s[2:3]
	s_cbranch_execz .LBB25_8
; %bb.7:
	v_ashrrev_i32_e32 v3, 31, v2
	v_xor_b32_e32 v1, 0x80000000, v8
	v_lshlrev_b64 v[8:9], 2, v[2:3]
	v_add_co_u32_e32 v8, vcc, v5, v8
	v_addc_co_u32_e32 v9, vcc, v10, v9, vcc
	global_store_dword v[8:9], v1, off
.LBB25_8:
	s_or_b64 exec, exec, s[0:1]
	v_add_u32_e32 v3, 16, v4
	v_mad_i64_i32 v[4:5], s[0:1], v3, s6, 0
	v_mov_b32_e32 v1, s5
	v_cmp_gt_i32_e32 vcc, s10, v3
	v_lshlrev_b64 v[4:5], 2, v[4:5]
	v_add_co_u32_e64 v4, s[0:1], s4, v4
	v_addc_co_u32_e64 v5, s[0:1], v1, v5, s[0:1]
	v_cmp_le_i32_e64 s[0:1], v0, v3
	s_and_b64 s[0:1], vcc, s[0:1]
	s_and_saveexec_b64 s[2:3], s[0:1]
	s_cbranch_execz .LBB25_10
; %bb.9:
	v_ashrrev_i32_e32 v1, 31, v0
	v_lshlrev_b64 v[0:1], 2, v[0:1]
	v_xor_b32_e32 v7, 0x80000000, v7
	v_add_co_u32_e64 v0, s[0:1], v4, v0
	v_addc_co_u32_e64 v1, s[0:1], v5, v1, s[0:1]
	global_store_dword v[0:1], v7, off
.LBB25_10:
	s_or_b64 exec, exec, s[2:3]
	v_cmp_le_i32_e64 s[0:1], v2, v3
	s_and_b64 s[0:1], vcc, s[0:1]
	s_and_saveexec_b64 s[2:3], s[0:1]
	s_cbranch_execz .LBB25_12
; %bb.11:
	v_ashrrev_i32_e32 v3, 31, v2
	v_lshlrev_b64 v[0:1], 2, v[2:3]
	v_xor_b32_e32 v6, 0x80000000, v6
	v_add_co_u32_e32 v0, vcc, v4, v0
	v_addc_co_u32_e32 v1, vcc, v5, v1, vcc
	global_store_dword v[0:1], v6, off
.LBB25_12:
	s_endpgm
	.section	.rodata,"a",@progbits
	.p2align	6, 0x0
	.amdhsa_kernel _ZL37rocblas_syrkx_herkx_restricted_kernelIifLi16ELi32ELi8ELin1ELi0ELb0ELc78ELc85EKffEviT_PT9_S1_lS3_S1_lPT10_S1_li
		.amdhsa_group_segment_fixed_size 2048
		.amdhsa_private_segment_fixed_size 0
		.amdhsa_kernarg_size 84
		.amdhsa_user_sgpr_count 6
		.amdhsa_user_sgpr_private_segment_buffer 1
		.amdhsa_user_sgpr_dispatch_ptr 0
		.amdhsa_user_sgpr_queue_ptr 0
		.amdhsa_user_sgpr_kernarg_segment_ptr 1
		.amdhsa_user_sgpr_dispatch_id 0
		.amdhsa_user_sgpr_flat_scratch_init 0
		.amdhsa_user_sgpr_private_segment_size 0
		.amdhsa_uses_dynamic_stack 0
		.amdhsa_system_sgpr_private_segment_wavefront_offset 0
		.amdhsa_system_sgpr_workgroup_id_x 1
		.amdhsa_system_sgpr_workgroup_id_y 1
		.amdhsa_system_sgpr_workgroup_id_z 1
		.amdhsa_system_sgpr_workgroup_info 0
		.amdhsa_system_vgpr_workitem_id 1
		.amdhsa_next_free_vgpr 28
		.amdhsa_next_free_sgpr 25
		.amdhsa_reserve_vcc 1
		.amdhsa_reserve_flat_scratch 0
		.amdhsa_float_round_mode_32 0
		.amdhsa_float_round_mode_16_64 0
		.amdhsa_float_denorm_mode_32 3
		.amdhsa_float_denorm_mode_16_64 3
		.amdhsa_dx10_clamp 1
		.amdhsa_ieee_mode 1
		.amdhsa_fp16_overflow 0
		.amdhsa_exception_fp_ieee_invalid_op 0
		.amdhsa_exception_fp_denorm_src 0
		.amdhsa_exception_fp_ieee_div_zero 0
		.amdhsa_exception_fp_ieee_overflow 0
		.amdhsa_exception_fp_ieee_underflow 0
		.amdhsa_exception_fp_ieee_inexact 0
		.amdhsa_exception_int_div_zero 0
	.end_amdhsa_kernel
	.section	.text._ZL37rocblas_syrkx_herkx_restricted_kernelIifLi16ELi32ELi8ELin1ELi0ELb0ELc78ELc85EKffEviT_PT9_S1_lS3_S1_lPT10_S1_li,"axG",@progbits,_ZL37rocblas_syrkx_herkx_restricted_kernelIifLi16ELi32ELi8ELin1ELi0ELb0ELc78ELc85EKffEviT_PT9_S1_lS3_S1_lPT10_S1_li,comdat
.Lfunc_end25:
	.size	_ZL37rocblas_syrkx_herkx_restricted_kernelIifLi16ELi32ELi8ELin1ELi0ELb0ELc78ELc85EKffEviT_PT9_S1_lS3_S1_lPT10_S1_li, .Lfunc_end25-_ZL37rocblas_syrkx_herkx_restricted_kernelIifLi16ELi32ELi8ELin1ELi0ELb0ELc78ELc85EKffEviT_PT9_S1_lS3_S1_lPT10_S1_li
                                        ; -- End function
	.set _ZL37rocblas_syrkx_herkx_restricted_kernelIifLi16ELi32ELi8ELin1ELi0ELb0ELc78ELc85EKffEviT_PT9_S1_lS3_S1_lPT10_S1_li.num_vgpr, 28
	.set _ZL37rocblas_syrkx_herkx_restricted_kernelIifLi16ELi32ELi8ELin1ELi0ELb0ELc78ELc85EKffEviT_PT9_S1_lS3_S1_lPT10_S1_li.num_agpr, 0
	.set _ZL37rocblas_syrkx_herkx_restricted_kernelIifLi16ELi32ELi8ELin1ELi0ELb0ELc78ELc85EKffEviT_PT9_S1_lS3_S1_lPT10_S1_li.numbered_sgpr, 25
	.set _ZL37rocblas_syrkx_herkx_restricted_kernelIifLi16ELi32ELi8ELin1ELi0ELb0ELc78ELc85EKffEviT_PT9_S1_lS3_S1_lPT10_S1_li.num_named_barrier, 0
	.set _ZL37rocblas_syrkx_herkx_restricted_kernelIifLi16ELi32ELi8ELin1ELi0ELb0ELc78ELc85EKffEviT_PT9_S1_lS3_S1_lPT10_S1_li.private_seg_size, 0
	.set _ZL37rocblas_syrkx_herkx_restricted_kernelIifLi16ELi32ELi8ELin1ELi0ELb0ELc78ELc85EKffEviT_PT9_S1_lS3_S1_lPT10_S1_li.uses_vcc, 1
	.set _ZL37rocblas_syrkx_herkx_restricted_kernelIifLi16ELi32ELi8ELin1ELi0ELb0ELc78ELc85EKffEviT_PT9_S1_lS3_S1_lPT10_S1_li.uses_flat_scratch, 0
	.set _ZL37rocblas_syrkx_herkx_restricted_kernelIifLi16ELi32ELi8ELin1ELi0ELb0ELc78ELc85EKffEviT_PT9_S1_lS3_S1_lPT10_S1_li.has_dyn_sized_stack, 0
	.set _ZL37rocblas_syrkx_herkx_restricted_kernelIifLi16ELi32ELi8ELin1ELi0ELb0ELc78ELc85EKffEviT_PT9_S1_lS3_S1_lPT10_S1_li.has_recursion, 0
	.set _ZL37rocblas_syrkx_herkx_restricted_kernelIifLi16ELi32ELi8ELin1ELi0ELb0ELc78ELc85EKffEviT_PT9_S1_lS3_S1_lPT10_S1_li.has_indirect_call, 0
	.section	.AMDGPU.csdata,"",@progbits
; Kernel info:
; codeLenInByte = 1092
; TotalNumSgprs: 29
; NumVgprs: 28
; ScratchSize: 0
; MemoryBound: 0
; FloatMode: 240
; IeeeMode: 1
; LDSByteSize: 2048 bytes/workgroup (compile time only)
; SGPRBlocks: 3
; VGPRBlocks: 6
; NumSGPRsForWavesPerEU: 29
; NumVGPRsForWavesPerEU: 28
; Occupancy: 9
; WaveLimiterHint : 0
; COMPUTE_PGM_RSRC2:SCRATCH_EN: 0
; COMPUTE_PGM_RSRC2:USER_SGPR: 6
; COMPUTE_PGM_RSRC2:TRAP_HANDLER: 0
; COMPUTE_PGM_RSRC2:TGID_X_EN: 1
; COMPUTE_PGM_RSRC2:TGID_Y_EN: 1
; COMPUTE_PGM_RSRC2:TGID_Z_EN: 1
; COMPUTE_PGM_RSRC2:TIDIG_COMP_CNT: 1
	.section	.text._ZL37rocblas_syrkx_herkx_restricted_kernelIifLi16ELi32ELi8ELb1ELb0ELc84ELc76EKffEviT_T0_PT8_S1_lS4_S1_lS2_PT9_S1_li,"axG",@progbits,_ZL37rocblas_syrkx_herkx_restricted_kernelIifLi16ELi32ELi8ELb1ELb0ELc84ELc76EKffEviT_T0_PT8_S1_lS4_S1_lS2_PT9_S1_li,comdat
	.globl	_ZL37rocblas_syrkx_herkx_restricted_kernelIifLi16ELi32ELi8ELb1ELb0ELc84ELc76EKffEviT_T0_PT8_S1_lS4_S1_lS2_PT9_S1_li ; -- Begin function _ZL37rocblas_syrkx_herkx_restricted_kernelIifLi16ELi32ELi8ELb1ELb0ELc84ELc76EKffEviT_T0_PT8_S1_lS4_S1_lS2_PT9_S1_li
	.p2align	8
	.type	_ZL37rocblas_syrkx_herkx_restricted_kernelIifLi16ELi32ELi8ELb1ELb0ELc84ELc76EKffEviT_T0_PT8_S1_lS4_S1_lS2_PT9_S1_li,@function
_ZL37rocblas_syrkx_herkx_restricted_kernelIifLi16ELi32ELi8ELb1ELb0ELc84ELc76EKffEviT_T0_PT8_S1_lS4_S1_lS2_PT9_S1_li: ; @_ZL37rocblas_syrkx_herkx_restricted_kernelIifLi16ELi32ELi8ELb1ELb0ELc84ELc76EKffEviT_T0_PT8_S1_lS4_S1_lS2_PT9_S1_li
; %bb.0:
	s_load_dwordx4 s[12:15], s[4:5], 0x0
	s_lshl_b32 s6, s6, 5
	s_lshl_b32 s7, s7, 5
	s_mov_b32 s9, 0
	s_waitcnt lgkmcnt(0)
	s_cmp_lt_i32 s13, 1
	s_cbranch_scc1 .LBB26_3
; %bb.1:
	v_lshl_add_u32 v3, v1, 4, v0
	v_and_b32_e32 v8, 31, v3
	s_load_dwordx2 s[10:11], s[4:5], 0x10
	s_load_dword s15, s[4:5], 0x18
	s_load_dwordx4 s[0:3], s[4:5], 0x20
	s_load_dword s18, s[4:5], 0x30
	s_load_dwordx2 s[16:17], s[4:5], 0x38
	v_lshrrev_b32_e32 v6, 5, v3
	v_and_b32_e32 v2, 7, v0
	v_lshlrev_b32_e32 v9, 2, v8
	v_lshrrev_b32_e32 v4, 3, v3
	v_lshl_or_b32 v10, v6, 7, v9
	v_lshlrev_b32_e32 v9, 2, v2
	v_add_u32_e32 v5, s7, v4
	v_lshl_or_b32 v4, v4, 5, v9
	v_mov_b32_e32 v3, 0
	v_add_u32_e32 v11, 0x400, v4
	v_mov_b32_e32 v4, 0x400
	v_lshl_add_u32 v13, v1, 5, v4
	s_waitcnt lgkmcnt(0)
	v_mad_i64_i32 v[4:5], s[18:19], s18, v5, v[2:3]
	s_mul_i32 s17, s17, s8
	s_mul_hi_u32 s20, s16, s8
	s_add_i32 s17, s20, s17
	s_mul_i32 s16, s16, s8
	s_lshl_b64 s[16:17], s[16:17], 2
	v_lshlrev_b64 v[4:5], 2, v[4:5]
	s_add_u32 s2, s2, s16
	s_addc_u32 s3, s3, s17
	v_mov_b32_e32 v2, s3
	v_add_co_u32_e32 v4, vcc, s2, v4
	v_mov_b32_e32 v7, v3
	v_addc_co_u32_e32 v5, vcc, v2, v5, vcc
	v_add_u32_e32 v2, s6, v8
	v_mad_i64_i32 v[6:7], s[2:3], s15, v2, v[6:7]
	s_mul_i32 s1, s1, s8
	s_mul_hi_u32 s16, s0, s8
	s_add_i32 s1, s16, s1
	s_mul_i32 s0, s0, s8
	s_lshl_b64 s[0:1], s[0:1], 2
	v_lshlrev_b64 v[6:7], 2, v[6:7]
	s_add_u32 s0, s10, s0
	s_addc_u32 s1, s11, s1
	v_mov_b32_e32 v2, s1
	v_add_co_u32_e32 v6, vcc, s0, v6
	v_lshlrev_b32_e32 v12, 2, v0
	v_addc_co_u32_e32 v7, vcc, v2, v7, vcc
	v_mov_b32_e32 v2, v3
	v_mov_b32_e32 v8, v3
	;; [unrolled: 1-line block ×3, first 2 shown]
.LBB26_2:                               ; =>This Inner Loop Header: Depth=1
	global_load_dword v14, v[6:7], off
	s_add_i32 s9, s9, 8
	v_add_co_u32_e64 v6, s[0:1], 32, v6
	s_cmp_ge_i32 s9, s13
	s_waitcnt vmcnt(0)
	ds_write_b32 v10, v14
	global_load_dword v14, v[4:5], off
	v_add_co_u32_e32 v4, vcc, 32, v4
	v_addc_co_u32_e32 v5, vcc, 0, v5, vcc
	v_addc_co_u32_e64 v7, vcc, 0, v7, s[0:1]
	s_waitcnt vmcnt(0)
	ds_write_b32 v11, v14
	s_waitcnt lgkmcnt(0)
	s_barrier
	ds_read2_b32 v[18:19], v12 offset1:16
	ds_read_b128 v[14:17], v13
	ds_read2_b32 v[20:21], v12 offset0:32 offset1:48
	ds_read2_b32 v[22:23], v12 offset0:64 offset1:80
	;; [unrolled: 1-line block ×3, first 2 shown]
	s_waitcnt lgkmcnt(3)
	v_fmac_f32_e32 v9, v18, v14
	v_fmac_f32_e32 v8, v19, v14
	s_waitcnt lgkmcnt(2)
	v_fmac_f32_e32 v9, v20, v15
	v_fmac_f32_e32 v8, v21, v15
	;; [unrolled: 3-line block ×4, first 2 shown]
	ds_read_b128 v[14:17], v13 offset:512
	s_waitcnt lgkmcnt(0)
	v_fmac_f32_e32 v2, v18, v14
	v_fmac_f32_e32 v3, v19, v14
	;; [unrolled: 1-line block ×8, first 2 shown]
	ds_read2_b32 v[18:19], v12 offset0:128 offset1:144
	ds_read_b128 v[14:17], v13 offset:16
	ds_read2_b32 v[20:21], v12 offset0:160 offset1:176
	ds_read2_b32 v[22:23], v12 offset0:192 offset1:208
	;; [unrolled: 1-line block ×3, first 2 shown]
	s_waitcnt lgkmcnt(3)
	v_fmac_f32_e32 v9, v18, v14
	v_fmac_f32_e32 v8, v19, v14
	s_waitcnt lgkmcnt(2)
	v_fmac_f32_e32 v9, v20, v15
	v_fmac_f32_e32 v8, v21, v15
	;; [unrolled: 3-line block ×4, first 2 shown]
	ds_read_b128 v[14:17], v13 offset:528
	s_waitcnt lgkmcnt(0)
	s_barrier
	v_fmac_f32_e32 v2, v18, v14
	v_fmac_f32_e32 v3, v19, v14
	v_fmac_f32_e32 v2, v20, v15
	v_fmac_f32_e32 v3, v21, v15
	v_fmac_f32_e32 v2, v22, v16
	v_fmac_f32_e32 v3, v23, v16
	v_fmac_f32_e32 v2, v24, v17
	v_fmac_f32_e32 v3, v25, v17
	s_cbranch_scc0 .LBB26_2
	s_branch .LBB26_4
.LBB26_3:
	v_mov_b32_e32 v9, 0
	v_mov_b32_e32 v8, 0
	;; [unrolled: 1-line block ×4, first 2 shown]
.LBB26_4:
	s_load_dwordx2 s[0:1], s[4:5], 0x58
	s_load_dwordx2 s[2:3], s[4:5], 0x48
	s_load_dword s9, s[4:5], 0x50
	v_add_u32_e32 v6, s7, v1
	v_add_u32_e32 v0, s6, v0
	s_waitcnt lgkmcnt(0)
	s_mul_i32 s1, s1, s8
	s_mul_hi_u32 s4, s0, s8
	s_add_i32 s1, s4, s1
	v_mad_i64_i32 v[4:5], s[4:5], v6, s9, 0
	s_mul_i32 s0, s0, s8
	s_lshl_b64 s[0:1], s[0:1], 2
	s_add_u32 s7, s2, s0
	v_lshlrev_b64 v[4:5], 2, v[4:5]
	s_addc_u32 s8, s3, s1
	v_mov_b32_e32 v1, s8
	v_add_co_u32_e32 v7, vcc, s7, v4
	v_addc_co_u32_e32 v10, vcc, v1, v5, vcc
	v_cmp_le_i32_e64 s[0:1], v6, v0
	v_cmp_gt_i32_e32 vcc, s12, v0
	s_and_b64 s[0:1], s[0:1], vcc
	s_and_saveexec_b64 s[2:3], s[0:1]
	s_cbranch_execz .LBB26_6
; %bb.5:
	v_ashrrev_i32_e32 v1, 31, v0
	v_lshlrev_b64 v[4:5], 2, v[0:1]
	v_mul_f32_e32 v9, s14, v9
	v_add_co_u32_e64 v4, s[0:1], v7, v4
	v_addc_co_u32_e64 v5, s[0:1], v10, v5, s[0:1]
	global_store_dword v[4:5], v9, off
.LBB26_6:
	s_or_b64 exec, exec, s[2:3]
	v_add_u32_e32 v4, 16, v0
	v_cmp_le_i32_e64 s[2:3], v6, v4
	v_cmp_gt_i32_e64 s[0:1], s12, v4
	s_and_b64 s[2:3], s[2:3], s[0:1]
	s_and_saveexec_b64 s[4:5], s[2:3]
	s_cbranch_execz .LBB26_8
; %bb.7:
	v_ashrrev_i32_e32 v5, 31, v4
	v_mul_f32_e32 v1, s14, v8
	v_lshlrev_b64 v[8:9], 2, v[4:5]
	v_add_co_u32_e64 v7, s[2:3], v7, v8
	v_addc_co_u32_e64 v8, s[2:3], v10, v9, s[2:3]
	global_store_dword v[7:8], v1, off
.LBB26_8:
	s_or_b64 exec, exec, s[4:5]
	v_add_u32_e32 v5, 16, v6
	v_mad_i64_i32 v[6:7], s[2:3], v5, s9, 0
	v_mov_b32_e32 v1, s8
	v_lshlrev_b64 v[6:7], 2, v[6:7]
	v_add_co_u32_e64 v6, s[2:3], s7, v6
	v_addc_co_u32_e64 v7, s[2:3], v1, v7, s[2:3]
	v_cmp_le_i32_e64 s[2:3], v5, v0
	s_and_b64 s[4:5], s[2:3], vcc
	s_and_saveexec_b64 s[2:3], s[4:5]
	s_cbranch_execz .LBB26_10
; %bb.9:
	v_ashrrev_i32_e32 v1, 31, v0
	v_lshlrev_b64 v[0:1], 2, v[0:1]
	v_mul_f32_e32 v2, s14, v2
	v_add_co_u32_e32 v0, vcc, v6, v0
	v_addc_co_u32_e32 v1, vcc, v7, v1, vcc
	global_store_dword v[0:1], v2, off
.LBB26_10:
	s_or_b64 exec, exec, s[2:3]
	v_cmp_le_i32_e32 vcc, v5, v4
	s_and_b64 s[0:1], vcc, s[0:1]
	s_and_saveexec_b64 s[2:3], s[0:1]
	s_cbranch_execz .LBB26_12
; %bb.11:
	v_ashrrev_i32_e32 v5, 31, v4
	v_lshlrev_b64 v[0:1], 2, v[4:5]
	v_mul_f32_e32 v2, s14, v3
	v_add_co_u32_e32 v0, vcc, v6, v0
	v_addc_co_u32_e32 v1, vcc, v7, v1, vcc
	global_store_dword v[0:1], v2, off
.LBB26_12:
	s_endpgm
	.section	.rodata,"a",@progbits
	.p2align	6, 0x0
	.amdhsa_kernel _ZL37rocblas_syrkx_herkx_restricted_kernelIifLi16ELi32ELi8ELb1ELb0ELc84ELc76EKffEviT_T0_PT8_S1_lS4_S1_lS2_PT9_S1_li
		.amdhsa_group_segment_fixed_size 2048
		.amdhsa_private_segment_fixed_size 0
		.amdhsa_kernarg_size 100
		.amdhsa_user_sgpr_count 6
		.amdhsa_user_sgpr_private_segment_buffer 1
		.amdhsa_user_sgpr_dispatch_ptr 0
		.amdhsa_user_sgpr_queue_ptr 0
		.amdhsa_user_sgpr_kernarg_segment_ptr 1
		.amdhsa_user_sgpr_dispatch_id 0
		.amdhsa_user_sgpr_flat_scratch_init 0
		.amdhsa_user_sgpr_private_segment_size 0
		.amdhsa_uses_dynamic_stack 0
		.amdhsa_system_sgpr_private_segment_wavefront_offset 0
		.amdhsa_system_sgpr_workgroup_id_x 1
		.amdhsa_system_sgpr_workgroup_id_y 1
		.amdhsa_system_sgpr_workgroup_id_z 1
		.amdhsa_system_sgpr_workgroup_info 0
		.amdhsa_system_vgpr_workitem_id 1
		.amdhsa_next_free_vgpr 26
		.amdhsa_next_free_sgpr 21
		.amdhsa_reserve_vcc 1
		.amdhsa_reserve_flat_scratch 0
		.amdhsa_float_round_mode_32 0
		.amdhsa_float_round_mode_16_64 0
		.amdhsa_float_denorm_mode_32 3
		.amdhsa_float_denorm_mode_16_64 3
		.amdhsa_dx10_clamp 1
		.amdhsa_ieee_mode 1
		.amdhsa_fp16_overflow 0
		.amdhsa_exception_fp_ieee_invalid_op 0
		.amdhsa_exception_fp_denorm_src 0
		.amdhsa_exception_fp_ieee_div_zero 0
		.amdhsa_exception_fp_ieee_overflow 0
		.amdhsa_exception_fp_ieee_underflow 0
		.amdhsa_exception_fp_ieee_inexact 0
		.amdhsa_exception_int_div_zero 0
	.end_amdhsa_kernel
	.section	.text._ZL37rocblas_syrkx_herkx_restricted_kernelIifLi16ELi32ELi8ELb1ELb0ELc84ELc76EKffEviT_T0_PT8_S1_lS4_S1_lS2_PT9_S1_li,"axG",@progbits,_ZL37rocblas_syrkx_herkx_restricted_kernelIifLi16ELi32ELi8ELb1ELb0ELc84ELc76EKffEviT_T0_PT8_S1_lS4_S1_lS2_PT9_S1_li,comdat
.Lfunc_end26:
	.size	_ZL37rocblas_syrkx_herkx_restricted_kernelIifLi16ELi32ELi8ELb1ELb0ELc84ELc76EKffEviT_T0_PT8_S1_lS4_S1_lS2_PT9_S1_li, .Lfunc_end26-_ZL37rocblas_syrkx_herkx_restricted_kernelIifLi16ELi32ELi8ELb1ELb0ELc84ELc76EKffEviT_T0_PT8_S1_lS4_S1_lS2_PT9_S1_li
                                        ; -- End function
	.set _ZL37rocblas_syrkx_herkx_restricted_kernelIifLi16ELi32ELi8ELb1ELb0ELc84ELc76EKffEviT_T0_PT8_S1_lS4_S1_lS2_PT9_S1_li.num_vgpr, 26
	.set _ZL37rocblas_syrkx_herkx_restricted_kernelIifLi16ELi32ELi8ELb1ELb0ELc84ELc76EKffEviT_T0_PT8_S1_lS4_S1_lS2_PT9_S1_li.num_agpr, 0
	.set _ZL37rocblas_syrkx_herkx_restricted_kernelIifLi16ELi32ELi8ELb1ELb0ELc84ELc76EKffEviT_T0_PT8_S1_lS4_S1_lS2_PT9_S1_li.numbered_sgpr, 21
	.set _ZL37rocblas_syrkx_herkx_restricted_kernelIifLi16ELi32ELi8ELb1ELb0ELc84ELc76EKffEviT_T0_PT8_S1_lS4_S1_lS2_PT9_S1_li.num_named_barrier, 0
	.set _ZL37rocblas_syrkx_herkx_restricted_kernelIifLi16ELi32ELi8ELb1ELb0ELc84ELc76EKffEviT_T0_PT8_S1_lS4_S1_lS2_PT9_S1_li.private_seg_size, 0
	.set _ZL37rocblas_syrkx_herkx_restricted_kernelIifLi16ELi32ELi8ELb1ELb0ELc84ELc76EKffEviT_T0_PT8_S1_lS4_S1_lS2_PT9_S1_li.uses_vcc, 1
	.set _ZL37rocblas_syrkx_herkx_restricted_kernelIifLi16ELi32ELi8ELb1ELb0ELc84ELc76EKffEviT_T0_PT8_S1_lS4_S1_lS2_PT9_S1_li.uses_flat_scratch, 0
	.set _ZL37rocblas_syrkx_herkx_restricted_kernelIifLi16ELi32ELi8ELb1ELb0ELc84ELc76EKffEviT_T0_PT8_S1_lS4_S1_lS2_PT9_S1_li.has_dyn_sized_stack, 0
	.set _ZL37rocblas_syrkx_herkx_restricted_kernelIifLi16ELi32ELi8ELb1ELb0ELc84ELc76EKffEviT_T0_PT8_S1_lS4_S1_lS2_PT9_S1_li.has_recursion, 0
	.set _ZL37rocblas_syrkx_herkx_restricted_kernelIifLi16ELi32ELi8ELb1ELb0ELc84ELc76EKffEviT_T0_PT8_S1_lS4_S1_lS2_PT9_S1_li.has_indirect_call, 0
	.section	.AMDGPU.csdata,"",@progbits
; Kernel info:
; codeLenInByte = 1048
; TotalNumSgprs: 25
; NumVgprs: 26
; ScratchSize: 0
; MemoryBound: 0
; FloatMode: 240
; IeeeMode: 1
; LDSByteSize: 2048 bytes/workgroup (compile time only)
; SGPRBlocks: 3
; VGPRBlocks: 6
; NumSGPRsForWavesPerEU: 25
; NumVGPRsForWavesPerEU: 26
; Occupancy: 9
; WaveLimiterHint : 0
; COMPUTE_PGM_RSRC2:SCRATCH_EN: 0
; COMPUTE_PGM_RSRC2:USER_SGPR: 6
; COMPUTE_PGM_RSRC2:TRAP_HANDLER: 0
; COMPUTE_PGM_RSRC2:TGID_X_EN: 1
; COMPUTE_PGM_RSRC2:TGID_Y_EN: 1
; COMPUTE_PGM_RSRC2:TGID_Z_EN: 1
; COMPUTE_PGM_RSRC2:TIDIG_COMP_CNT: 1
	.section	.text._ZL37rocblas_syrkx_herkx_restricted_kernelIifLi16ELi32ELi8ELb1ELb0ELc67ELc76EKffEviT_T0_PT8_S1_lS4_S1_lS2_PT9_S1_li,"axG",@progbits,_ZL37rocblas_syrkx_herkx_restricted_kernelIifLi16ELi32ELi8ELb1ELb0ELc67ELc76EKffEviT_T0_PT8_S1_lS4_S1_lS2_PT9_S1_li,comdat
	.globl	_ZL37rocblas_syrkx_herkx_restricted_kernelIifLi16ELi32ELi8ELb1ELb0ELc67ELc76EKffEviT_T0_PT8_S1_lS4_S1_lS2_PT9_S1_li ; -- Begin function _ZL37rocblas_syrkx_herkx_restricted_kernelIifLi16ELi32ELi8ELb1ELb0ELc67ELc76EKffEviT_T0_PT8_S1_lS4_S1_lS2_PT9_S1_li
	.p2align	8
	.type	_ZL37rocblas_syrkx_herkx_restricted_kernelIifLi16ELi32ELi8ELb1ELb0ELc67ELc76EKffEviT_T0_PT8_S1_lS4_S1_lS2_PT9_S1_li,@function
_ZL37rocblas_syrkx_herkx_restricted_kernelIifLi16ELi32ELi8ELb1ELb0ELc67ELc76EKffEviT_T0_PT8_S1_lS4_S1_lS2_PT9_S1_li: ; @_ZL37rocblas_syrkx_herkx_restricted_kernelIifLi16ELi32ELi8ELb1ELb0ELc67ELc76EKffEviT_T0_PT8_S1_lS4_S1_lS2_PT9_S1_li
; %bb.0:
	s_load_dwordx4 s[12:15], s[4:5], 0x0
	s_lshl_b32 s6, s6, 5
	s_lshl_b32 s7, s7, 5
	s_mov_b32 s9, 0
	s_waitcnt lgkmcnt(0)
	s_cmp_lt_i32 s13, 1
	s_cbranch_scc1 .LBB27_3
; %bb.1:
	v_lshl_add_u32 v3, v1, 4, v0
	v_and_b32_e32 v8, 31, v3
	s_load_dwordx2 s[10:11], s[4:5], 0x10
	s_load_dword s15, s[4:5], 0x18
	s_load_dwordx4 s[0:3], s[4:5], 0x20
	s_load_dword s18, s[4:5], 0x30
	s_load_dwordx2 s[16:17], s[4:5], 0x38
	v_lshrrev_b32_e32 v6, 5, v3
	v_and_b32_e32 v2, 7, v0
	v_lshlrev_b32_e32 v9, 2, v8
	v_lshrrev_b32_e32 v4, 3, v3
	v_lshl_or_b32 v10, v6, 7, v9
	v_lshlrev_b32_e32 v9, 2, v2
	v_add_u32_e32 v5, s7, v4
	v_lshl_or_b32 v4, v4, 5, v9
	v_mov_b32_e32 v3, 0
	v_add_u32_e32 v11, 0x400, v4
	v_mov_b32_e32 v4, 0x400
	v_lshl_add_u32 v13, v1, 5, v4
	s_waitcnt lgkmcnt(0)
	v_mad_i64_i32 v[4:5], s[18:19], s18, v5, v[2:3]
	s_mul_i32 s17, s17, s8
	s_mul_hi_u32 s20, s16, s8
	s_add_i32 s17, s20, s17
	s_mul_i32 s16, s16, s8
	s_lshl_b64 s[16:17], s[16:17], 2
	v_lshlrev_b64 v[4:5], 2, v[4:5]
	s_add_u32 s2, s2, s16
	s_addc_u32 s3, s3, s17
	v_mov_b32_e32 v2, s3
	v_add_co_u32_e32 v4, vcc, s2, v4
	v_mov_b32_e32 v7, v3
	v_addc_co_u32_e32 v5, vcc, v2, v5, vcc
	v_add_u32_e32 v2, s6, v8
	v_mad_i64_i32 v[6:7], s[2:3], s15, v2, v[6:7]
	s_mul_i32 s1, s1, s8
	s_mul_hi_u32 s16, s0, s8
	s_add_i32 s1, s16, s1
	s_mul_i32 s0, s0, s8
	s_lshl_b64 s[0:1], s[0:1], 2
	v_lshlrev_b64 v[6:7], 2, v[6:7]
	s_add_u32 s0, s10, s0
	s_addc_u32 s1, s11, s1
	v_mov_b32_e32 v2, s1
	v_add_co_u32_e32 v6, vcc, s0, v6
	v_lshlrev_b32_e32 v12, 2, v0
	v_addc_co_u32_e32 v7, vcc, v2, v7, vcc
	v_mov_b32_e32 v2, v3
	v_mov_b32_e32 v8, v3
	;; [unrolled: 1-line block ×3, first 2 shown]
.LBB27_2:                               ; =>This Inner Loop Header: Depth=1
	global_load_dword v14, v[6:7], off
	s_add_i32 s9, s9, 8
	v_add_co_u32_e64 v6, s[0:1], 32, v6
	s_cmp_ge_i32 s9, s13
	s_waitcnt vmcnt(0)
	ds_write_b32 v10, v14
	global_load_dword v14, v[4:5], off
	v_add_co_u32_e32 v4, vcc, 32, v4
	v_addc_co_u32_e32 v5, vcc, 0, v5, vcc
	v_addc_co_u32_e64 v7, vcc, 0, v7, s[0:1]
	s_waitcnt vmcnt(0)
	ds_write_b32 v11, v14
	s_waitcnt lgkmcnt(0)
	s_barrier
	ds_read2_b32 v[18:19], v12 offset1:16
	ds_read_b128 v[14:17], v13
	ds_read2_b32 v[20:21], v12 offset0:32 offset1:48
	ds_read2_b32 v[22:23], v12 offset0:64 offset1:80
	;; [unrolled: 1-line block ×3, first 2 shown]
	s_waitcnt lgkmcnt(3)
	v_fmac_f32_e32 v9, v18, v14
	v_fmac_f32_e32 v8, v19, v14
	s_waitcnt lgkmcnt(2)
	v_fmac_f32_e32 v9, v20, v15
	v_fmac_f32_e32 v8, v21, v15
	;; [unrolled: 3-line block ×4, first 2 shown]
	ds_read_b128 v[14:17], v13 offset:512
	s_waitcnt lgkmcnt(0)
	v_fmac_f32_e32 v2, v18, v14
	v_fmac_f32_e32 v3, v19, v14
	;; [unrolled: 1-line block ×8, first 2 shown]
	ds_read2_b32 v[18:19], v12 offset0:128 offset1:144
	ds_read_b128 v[14:17], v13 offset:16
	ds_read2_b32 v[20:21], v12 offset0:160 offset1:176
	ds_read2_b32 v[22:23], v12 offset0:192 offset1:208
	;; [unrolled: 1-line block ×3, first 2 shown]
	s_waitcnt lgkmcnt(3)
	v_fmac_f32_e32 v9, v18, v14
	v_fmac_f32_e32 v8, v19, v14
	s_waitcnt lgkmcnt(2)
	v_fmac_f32_e32 v9, v20, v15
	v_fmac_f32_e32 v8, v21, v15
	;; [unrolled: 3-line block ×4, first 2 shown]
	ds_read_b128 v[14:17], v13 offset:528
	s_waitcnt lgkmcnt(0)
	s_barrier
	v_fmac_f32_e32 v2, v18, v14
	v_fmac_f32_e32 v3, v19, v14
	;; [unrolled: 1-line block ×8, first 2 shown]
	s_cbranch_scc0 .LBB27_2
	s_branch .LBB27_4
.LBB27_3:
	v_mov_b32_e32 v9, 0
	v_mov_b32_e32 v8, 0
	;; [unrolled: 1-line block ×4, first 2 shown]
.LBB27_4:
	s_load_dwordx2 s[0:1], s[4:5], 0x58
	s_load_dwordx2 s[2:3], s[4:5], 0x48
	s_load_dword s9, s[4:5], 0x50
	v_add_u32_e32 v6, s7, v1
	v_add_u32_e32 v0, s6, v0
	s_waitcnt lgkmcnt(0)
	s_mul_i32 s1, s1, s8
	s_mul_hi_u32 s4, s0, s8
	s_add_i32 s1, s4, s1
	v_mad_i64_i32 v[4:5], s[4:5], v6, s9, 0
	s_mul_i32 s0, s0, s8
	s_lshl_b64 s[0:1], s[0:1], 2
	s_add_u32 s7, s2, s0
	v_lshlrev_b64 v[4:5], 2, v[4:5]
	s_addc_u32 s8, s3, s1
	v_mov_b32_e32 v1, s8
	v_add_co_u32_e32 v7, vcc, s7, v4
	v_addc_co_u32_e32 v10, vcc, v1, v5, vcc
	v_cmp_le_i32_e64 s[0:1], v6, v0
	v_cmp_gt_i32_e32 vcc, s12, v0
	s_and_b64 s[0:1], s[0:1], vcc
	s_and_saveexec_b64 s[2:3], s[0:1]
	s_cbranch_execz .LBB27_6
; %bb.5:
	v_ashrrev_i32_e32 v1, 31, v0
	v_lshlrev_b64 v[4:5], 2, v[0:1]
	v_mul_f32_e32 v9, s14, v9
	v_add_co_u32_e64 v4, s[0:1], v7, v4
	v_addc_co_u32_e64 v5, s[0:1], v10, v5, s[0:1]
	global_store_dword v[4:5], v9, off
.LBB27_6:
	s_or_b64 exec, exec, s[2:3]
	v_add_u32_e32 v4, 16, v0
	v_cmp_le_i32_e64 s[2:3], v6, v4
	v_cmp_gt_i32_e64 s[0:1], s12, v4
	s_and_b64 s[2:3], s[2:3], s[0:1]
	s_and_saveexec_b64 s[4:5], s[2:3]
	s_cbranch_execz .LBB27_8
; %bb.7:
	v_ashrrev_i32_e32 v5, 31, v4
	v_mul_f32_e32 v1, s14, v8
	v_lshlrev_b64 v[8:9], 2, v[4:5]
	v_add_co_u32_e64 v7, s[2:3], v7, v8
	v_addc_co_u32_e64 v8, s[2:3], v10, v9, s[2:3]
	global_store_dword v[7:8], v1, off
.LBB27_8:
	s_or_b64 exec, exec, s[4:5]
	v_add_u32_e32 v5, 16, v6
	v_mad_i64_i32 v[6:7], s[2:3], v5, s9, 0
	v_mov_b32_e32 v1, s8
	v_lshlrev_b64 v[6:7], 2, v[6:7]
	v_add_co_u32_e64 v6, s[2:3], s7, v6
	v_addc_co_u32_e64 v7, s[2:3], v1, v7, s[2:3]
	v_cmp_le_i32_e64 s[2:3], v5, v0
	s_and_b64 s[4:5], s[2:3], vcc
	s_and_saveexec_b64 s[2:3], s[4:5]
	s_cbranch_execz .LBB27_10
; %bb.9:
	v_ashrrev_i32_e32 v1, 31, v0
	v_lshlrev_b64 v[0:1], 2, v[0:1]
	v_mul_f32_e32 v2, s14, v2
	v_add_co_u32_e32 v0, vcc, v6, v0
	v_addc_co_u32_e32 v1, vcc, v7, v1, vcc
	global_store_dword v[0:1], v2, off
.LBB27_10:
	s_or_b64 exec, exec, s[2:3]
	v_cmp_le_i32_e32 vcc, v5, v4
	s_and_b64 s[0:1], vcc, s[0:1]
	s_and_saveexec_b64 s[2:3], s[0:1]
	s_cbranch_execz .LBB27_12
; %bb.11:
	v_ashrrev_i32_e32 v5, 31, v4
	v_lshlrev_b64 v[0:1], 2, v[4:5]
	v_mul_f32_e32 v2, s14, v3
	v_add_co_u32_e32 v0, vcc, v6, v0
	v_addc_co_u32_e32 v1, vcc, v7, v1, vcc
	global_store_dword v[0:1], v2, off
.LBB27_12:
	s_endpgm
	.section	.rodata,"a",@progbits
	.p2align	6, 0x0
	.amdhsa_kernel _ZL37rocblas_syrkx_herkx_restricted_kernelIifLi16ELi32ELi8ELb1ELb0ELc67ELc76EKffEviT_T0_PT8_S1_lS4_S1_lS2_PT9_S1_li
		.amdhsa_group_segment_fixed_size 2048
		.amdhsa_private_segment_fixed_size 0
		.amdhsa_kernarg_size 100
		.amdhsa_user_sgpr_count 6
		.amdhsa_user_sgpr_private_segment_buffer 1
		.amdhsa_user_sgpr_dispatch_ptr 0
		.amdhsa_user_sgpr_queue_ptr 0
		.amdhsa_user_sgpr_kernarg_segment_ptr 1
		.amdhsa_user_sgpr_dispatch_id 0
		.amdhsa_user_sgpr_flat_scratch_init 0
		.amdhsa_user_sgpr_private_segment_size 0
		.amdhsa_uses_dynamic_stack 0
		.amdhsa_system_sgpr_private_segment_wavefront_offset 0
		.amdhsa_system_sgpr_workgroup_id_x 1
		.amdhsa_system_sgpr_workgroup_id_y 1
		.amdhsa_system_sgpr_workgroup_id_z 1
		.amdhsa_system_sgpr_workgroup_info 0
		.amdhsa_system_vgpr_workitem_id 1
		.amdhsa_next_free_vgpr 26
		.amdhsa_next_free_sgpr 21
		.amdhsa_reserve_vcc 1
		.amdhsa_reserve_flat_scratch 0
		.amdhsa_float_round_mode_32 0
		.amdhsa_float_round_mode_16_64 0
		.amdhsa_float_denorm_mode_32 3
		.amdhsa_float_denorm_mode_16_64 3
		.amdhsa_dx10_clamp 1
		.amdhsa_ieee_mode 1
		.amdhsa_fp16_overflow 0
		.amdhsa_exception_fp_ieee_invalid_op 0
		.amdhsa_exception_fp_denorm_src 0
		.amdhsa_exception_fp_ieee_div_zero 0
		.amdhsa_exception_fp_ieee_overflow 0
		.amdhsa_exception_fp_ieee_underflow 0
		.amdhsa_exception_fp_ieee_inexact 0
		.amdhsa_exception_int_div_zero 0
	.end_amdhsa_kernel
	.section	.text._ZL37rocblas_syrkx_herkx_restricted_kernelIifLi16ELi32ELi8ELb1ELb0ELc67ELc76EKffEviT_T0_PT8_S1_lS4_S1_lS2_PT9_S1_li,"axG",@progbits,_ZL37rocblas_syrkx_herkx_restricted_kernelIifLi16ELi32ELi8ELb1ELb0ELc67ELc76EKffEviT_T0_PT8_S1_lS4_S1_lS2_PT9_S1_li,comdat
.Lfunc_end27:
	.size	_ZL37rocblas_syrkx_herkx_restricted_kernelIifLi16ELi32ELi8ELb1ELb0ELc67ELc76EKffEviT_T0_PT8_S1_lS4_S1_lS2_PT9_S1_li, .Lfunc_end27-_ZL37rocblas_syrkx_herkx_restricted_kernelIifLi16ELi32ELi8ELb1ELb0ELc67ELc76EKffEviT_T0_PT8_S1_lS4_S1_lS2_PT9_S1_li
                                        ; -- End function
	.set _ZL37rocblas_syrkx_herkx_restricted_kernelIifLi16ELi32ELi8ELb1ELb0ELc67ELc76EKffEviT_T0_PT8_S1_lS4_S1_lS2_PT9_S1_li.num_vgpr, 26
	.set _ZL37rocblas_syrkx_herkx_restricted_kernelIifLi16ELi32ELi8ELb1ELb0ELc67ELc76EKffEviT_T0_PT8_S1_lS4_S1_lS2_PT9_S1_li.num_agpr, 0
	.set _ZL37rocblas_syrkx_herkx_restricted_kernelIifLi16ELi32ELi8ELb1ELb0ELc67ELc76EKffEviT_T0_PT8_S1_lS4_S1_lS2_PT9_S1_li.numbered_sgpr, 21
	.set _ZL37rocblas_syrkx_herkx_restricted_kernelIifLi16ELi32ELi8ELb1ELb0ELc67ELc76EKffEviT_T0_PT8_S1_lS4_S1_lS2_PT9_S1_li.num_named_barrier, 0
	.set _ZL37rocblas_syrkx_herkx_restricted_kernelIifLi16ELi32ELi8ELb1ELb0ELc67ELc76EKffEviT_T0_PT8_S1_lS4_S1_lS2_PT9_S1_li.private_seg_size, 0
	.set _ZL37rocblas_syrkx_herkx_restricted_kernelIifLi16ELi32ELi8ELb1ELb0ELc67ELc76EKffEviT_T0_PT8_S1_lS4_S1_lS2_PT9_S1_li.uses_vcc, 1
	.set _ZL37rocblas_syrkx_herkx_restricted_kernelIifLi16ELi32ELi8ELb1ELb0ELc67ELc76EKffEviT_T0_PT8_S1_lS4_S1_lS2_PT9_S1_li.uses_flat_scratch, 0
	.set _ZL37rocblas_syrkx_herkx_restricted_kernelIifLi16ELi32ELi8ELb1ELb0ELc67ELc76EKffEviT_T0_PT8_S1_lS4_S1_lS2_PT9_S1_li.has_dyn_sized_stack, 0
	.set _ZL37rocblas_syrkx_herkx_restricted_kernelIifLi16ELi32ELi8ELb1ELb0ELc67ELc76EKffEviT_T0_PT8_S1_lS4_S1_lS2_PT9_S1_li.has_recursion, 0
	.set _ZL37rocblas_syrkx_herkx_restricted_kernelIifLi16ELi32ELi8ELb1ELb0ELc67ELc76EKffEviT_T0_PT8_S1_lS4_S1_lS2_PT9_S1_li.has_indirect_call, 0
	.section	.AMDGPU.csdata,"",@progbits
; Kernel info:
; codeLenInByte = 1048
; TotalNumSgprs: 25
; NumVgprs: 26
; ScratchSize: 0
; MemoryBound: 0
; FloatMode: 240
; IeeeMode: 1
; LDSByteSize: 2048 bytes/workgroup (compile time only)
; SGPRBlocks: 3
; VGPRBlocks: 6
; NumSGPRsForWavesPerEU: 25
; NumVGPRsForWavesPerEU: 26
; Occupancy: 9
; WaveLimiterHint : 0
; COMPUTE_PGM_RSRC2:SCRATCH_EN: 0
; COMPUTE_PGM_RSRC2:USER_SGPR: 6
; COMPUTE_PGM_RSRC2:TRAP_HANDLER: 0
; COMPUTE_PGM_RSRC2:TGID_X_EN: 1
; COMPUTE_PGM_RSRC2:TGID_Y_EN: 1
; COMPUTE_PGM_RSRC2:TGID_Z_EN: 1
; COMPUTE_PGM_RSRC2:TIDIG_COMP_CNT: 1
	.section	.text._ZL37rocblas_syrkx_herkx_restricted_kernelIifLi16ELi32ELi8ELb1ELb0ELc78ELc76EKffEviT_T0_PT8_S1_lS4_S1_lS2_PT9_S1_li,"axG",@progbits,_ZL37rocblas_syrkx_herkx_restricted_kernelIifLi16ELi32ELi8ELb1ELb0ELc78ELc76EKffEviT_T0_PT8_S1_lS4_S1_lS2_PT9_S1_li,comdat
	.globl	_ZL37rocblas_syrkx_herkx_restricted_kernelIifLi16ELi32ELi8ELb1ELb0ELc78ELc76EKffEviT_T0_PT8_S1_lS4_S1_lS2_PT9_S1_li ; -- Begin function _ZL37rocblas_syrkx_herkx_restricted_kernelIifLi16ELi32ELi8ELb1ELb0ELc78ELc76EKffEviT_T0_PT8_S1_lS4_S1_lS2_PT9_S1_li
	.p2align	8
	.type	_ZL37rocblas_syrkx_herkx_restricted_kernelIifLi16ELi32ELi8ELb1ELb0ELc78ELc76EKffEviT_T0_PT8_S1_lS4_S1_lS2_PT9_S1_li,@function
_ZL37rocblas_syrkx_herkx_restricted_kernelIifLi16ELi32ELi8ELb1ELb0ELc78ELc76EKffEviT_T0_PT8_S1_lS4_S1_lS2_PT9_S1_li: ; @_ZL37rocblas_syrkx_herkx_restricted_kernelIifLi16ELi32ELi8ELb1ELb0ELc78ELc76EKffEviT_T0_PT8_S1_lS4_S1_lS2_PT9_S1_li
; %bb.0:
	s_load_dwordx4 s[12:15], s[4:5], 0x0
	s_lshl_b32 s9, s6, 5
	s_lshl_b32 s10, s7, 5
	s_mov_b32 s11, 0
	s_waitcnt lgkmcnt(0)
	s_cmp_lt_i32 s13, 1
	s_cbranch_scc1 .LBB28_3
; %bb.1:
	s_load_dword s6, s[4:5], 0x18
	s_load_dword s16, s[4:5], 0x30
	s_load_dwordx2 s[18:19], s[4:5], 0x10
	s_load_dwordx4 s[0:3], s[4:5], 0x20
	s_load_dwordx2 s[20:21], s[4:5], 0x38
	v_lshl_add_u32 v2, v1, 4, v0
	v_lshrrev_b32_e32 v4, 3, v2
	v_lshrrev_b32_e32 v6, 5, v2
	v_and_b32_e32 v7, 31, v2
	v_add_u32_e32 v2, s10, v4
	v_and_b32_e32 v5, 7, v0
	v_ashrrev_i32_e32 v3, 31, v2
	s_waitcnt lgkmcnt(0)
	v_mad_i64_i32 v[2:3], s[22:23], s16, v5, v[2:3]
	s_mul_i32 s15, s21, s8
	s_mul_hi_u32 s21, s20, s8
	v_lshlrev_b32_e32 v8, 2, v7
	s_add_i32 s21, s21, s15
	s_mul_i32 s20, s20, s8
	s_ashr_i32 s7, s6, 31
	s_ashr_i32 s17, s16, 31
	v_lshl_or_b32 v9, v6, 7, v8
	v_lshlrev_b32_e32 v8, 2, v5
	s_lshl_b64 s[20:21], s[20:21], 2
	v_lshl_or_b32 v4, v4, 5, v8
	v_lshlrev_b64 v[2:3], 2, v[2:3]
	s_add_u32 s2, s2, s20
	v_add_u32_e32 v10, 0x400, v4
	v_mov_b32_e32 v4, 0x400
	s_addc_u32 s3, s3, s21
	v_lshl_add_u32 v13, v1, 5, v4
	v_mov_b32_e32 v4, s3
	v_add_co_u32_e32 v2, vcc, s2, v2
	v_addc_co_u32_e32 v3, vcc, v4, v3, vcc
	v_add_u32_e32 v4, s9, v7
	v_ashrrev_i32_e32 v5, 31, v4
	s_lshl_b64 s[2:3], s[16:17], 5
	v_mad_i64_i32 v[4:5], s[16:17], s6, v6, v[4:5]
	s_mul_i32 s1, s1, s8
	s_mul_hi_u32 s15, s0, s8
	s_add_i32 s1, s15, s1
	s_mul_i32 s0, s0, s8
	s_lshl_b64 s[0:1], s[0:1], 2
	v_lshlrev_b64 v[4:5], 2, v[4:5]
	s_add_u32 s0, s18, s0
	s_addc_u32 s1, s19, s1
	v_mov_b32_e32 v6, s1
	v_add_co_u32_e32 v4, vcc, s0, v4
	s_lshl_b64 s[6:7], s[6:7], 5
	v_lshlrev_b32_e32 v12, 2, v0
	v_addc_co_u32_e32 v5, vcc, v6, v5, vcc
	v_mov_b32_e32 v6, 0
	v_mov_b32_e32 v14, s3
	;; [unrolled: 1-line block ×6, first 2 shown]
.LBB28_2:                               ; =>This Inner Loop Header: Depth=1
	global_load_dword v16, v[4:5], off
	global_load_dword v17, v[2:3], off
	s_add_i32 s11, s11, 8
	v_add_co_u32_e32 v2, vcc, s2, v2
	v_add_co_u32_e64 v4, s[0:1], s6, v4
	v_addc_co_u32_e32 v3, vcc, v3, v14, vcc
	v_addc_co_u32_e64 v5, vcc, v5, v15, s[0:1]
	s_cmp_ge_i32 s11, s13
	s_waitcnt vmcnt(1)
	ds_write_b32 v9, v16
	s_waitcnt vmcnt(0)
	ds_write_b32 v10, v17
	s_waitcnt lgkmcnt(0)
	s_barrier
	ds_read2_b32 v[20:21], v12 offset1:16
	ds_read_b128 v[16:19], v13
	ds_read2_b32 v[22:23], v12 offset0:32 offset1:48
	ds_read2_b32 v[24:25], v12 offset0:64 offset1:80
	;; [unrolled: 1-line block ×3, first 2 shown]
	s_waitcnt lgkmcnt(3)
	v_fmac_f32_e32 v11, v20, v16
	v_fmac_f32_e32 v8, v21, v16
	s_waitcnt lgkmcnt(2)
	v_fmac_f32_e32 v11, v22, v17
	v_fmac_f32_e32 v8, v23, v17
	;; [unrolled: 3-line block ×4, first 2 shown]
	ds_read_b128 v[16:19], v13 offset:512
	s_waitcnt lgkmcnt(0)
	v_fmac_f32_e32 v7, v20, v16
	v_fmac_f32_e32 v6, v21, v16
	;; [unrolled: 1-line block ×8, first 2 shown]
	ds_read2_b32 v[20:21], v12 offset0:128 offset1:144
	ds_read_b128 v[16:19], v13 offset:16
	ds_read2_b32 v[22:23], v12 offset0:160 offset1:176
	ds_read2_b32 v[24:25], v12 offset0:192 offset1:208
	;; [unrolled: 1-line block ×3, first 2 shown]
	s_waitcnt lgkmcnt(3)
	v_fmac_f32_e32 v11, v20, v16
	v_fmac_f32_e32 v8, v21, v16
	s_waitcnt lgkmcnt(2)
	v_fmac_f32_e32 v11, v22, v17
	v_fmac_f32_e32 v8, v23, v17
	;; [unrolled: 3-line block ×4, first 2 shown]
	ds_read_b128 v[16:19], v13 offset:528
	s_waitcnt lgkmcnt(0)
	s_barrier
	v_fmac_f32_e32 v7, v20, v16
	v_fmac_f32_e32 v6, v21, v16
	;; [unrolled: 1-line block ×8, first 2 shown]
	s_cbranch_scc0 .LBB28_2
	s_branch .LBB28_4
.LBB28_3:
	v_mov_b32_e32 v11, 0
	v_mov_b32_e32 v8, 0
	;; [unrolled: 1-line block ×4, first 2 shown]
.LBB28_4:
	s_load_dwordx2 s[0:1], s[4:5], 0x58
	s_load_dwordx2 s[2:3], s[4:5], 0x48
	s_load_dword s6, s[4:5], 0x50
	v_add_u32_e32 v4, s10, v1
	v_add_u32_e32 v0, s9, v0
	s_waitcnt lgkmcnt(0)
	s_mul_i32 s1, s1, s8
	s_mul_hi_u32 s4, s0, s8
	s_add_i32 s1, s4, s1
	v_mad_i64_i32 v[1:2], s[4:5], v4, s6, 0
	s_mul_i32 s0, s0, s8
	s_lshl_b64 s[0:1], s[0:1], 2
	s_add_u32 s7, s2, s0
	v_lshlrev_b64 v[1:2], 2, v[1:2]
	s_addc_u32 s8, s3, s1
	v_mov_b32_e32 v3, s8
	v_add_co_u32_e32 v5, vcc, s7, v1
	v_addc_co_u32_e32 v9, vcc, v3, v2, vcc
	v_cmp_le_i32_e64 s[0:1], v4, v0
	v_cmp_gt_i32_e32 vcc, s12, v0
	s_and_b64 s[0:1], s[0:1], vcc
	s_and_saveexec_b64 s[2:3], s[0:1]
	s_cbranch_execz .LBB28_6
; %bb.5:
	v_ashrrev_i32_e32 v1, 31, v0
	v_lshlrev_b64 v[1:2], 2, v[0:1]
	v_mul_f32_e32 v3, s14, v11
	v_add_co_u32_e64 v1, s[0:1], v5, v1
	v_addc_co_u32_e64 v2, s[0:1], v9, v2, s[0:1]
	global_store_dword v[1:2], v3, off
.LBB28_6:
	s_or_b64 exec, exec, s[2:3]
	v_add_u32_e32 v2, 16, v0
	v_cmp_le_i32_e64 s[2:3], v4, v2
	v_cmp_gt_i32_e64 s[0:1], s12, v2
	s_and_b64 s[2:3], s[2:3], s[0:1]
	s_and_saveexec_b64 s[4:5], s[2:3]
	s_cbranch_execz .LBB28_8
; %bb.7:
	v_ashrrev_i32_e32 v3, 31, v2
	v_lshlrev_b64 v[10:11], 2, v[2:3]
	v_mul_f32_e32 v1, s14, v8
	v_add_co_u32_e64 v8, s[2:3], v5, v10
	v_addc_co_u32_e64 v9, s[2:3], v9, v11, s[2:3]
	global_store_dword v[8:9], v1, off
.LBB28_8:
	s_or_b64 exec, exec, s[4:5]
	v_add_u32_e32 v3, 16, v4
	v_mad_i64_i32 v[4:5], s[2:3], v3, s6, 0
	v_mov_b32_e32 v1, s8
	v_lshlrev_b64 v[4:5], 2, v[4:5]
	v_add_co_u32_e64 v4, s[2:3], s7, v4
	v_addc_co_u32_e64 v5, s[2:3], v1, v5, s[2:3]
	v_cmp_le_i32_e64 s[2:3], v3, v0
	s_and_b64 s[4:5], s[2:3], vcc
	s_and_saveexec_b64 s[2:3], s[4:5]
	s_cbranch_execz .LBB28_10
; %bb.9:
	v_ashrrev_i32_e32 v1, 31, v0
	v_lshlrev_b64 v[0:1], 2, v[0:1]
	v_mul_f32_e32 v7, s14, v7
	v_add_co_u32_e32 v0, vcc, v4, v0
	v_addc_co_u32_e32 v1, vcc, v5, v1, vcc
	global_store_dword v[0:1], v7, off
.LBB28_10:
	s_or_b64 exec, exec, s[2:3]
	v_cmp_le_i32_e32 vcc, v3, v2
	s_and_b64 s[0:1], vcc, s[0:1]
	s_and_saveexec_b64 s[2:3], s[0:1]
	s_cbranch_execz .LBB28_12
; %bb.11:
	v_ashrrev_i32_e32 v3, 31, v2
	v_lshlrev_b64 v[0:1], 2, v[2:3]
	v_mul_f32_e32 v6, s14, v6
	v_add_co_u32_e32 v0, vcc, v4, v0
	v_addc_co_u32_e32 v1, vcc, v5, v1, vcc
	global_store_dword v[0:1], v6, off
.LBB28_12:
	s_endpgm
	.section	.rodata,"a",@progbits
	.p2align	6, 0x0
	.amdhsa_kernel _ZL37rocblas_syrkx_herkx_restricted_kernelIifLi16ELi32ELi8ELb1ELb0ELc78ELc76EKffEviT_T0_PT8_S1_lS4_S1_lS2_PT9_S1_li
		.amdhsa_group_segment_fixed_size 2048
		.amdhsa_private_segment_fixed_size 0
		.amdhsa_kernarg_size 100
		.amdhsa_user_sgpr_count 6
		.amdhsa_user_sgpr_private_segment_buffer 1
		.amdhsa_user_sgpr_dispatch_ptr 0
		.amdhsa_user_sgpr_queue_ptr 0
		.amdhsa_user_sgpr_kernarg_segment_ptr 1
		.amdhsa_user_sgpr_dispatch_id 0
		.amdhsa_user_sgpr_flat_scratch_init 0
		.amdhsa_user_sgpr_private_segment_size 0
		.amdhsa_uses_dynamic_stack 0
		.amdhsa_system_sgpr_private_segment_wavefront_offset 0
		.amdhsa_system_sgpr_workgroup_id_x 1
		.amdhsa_system_sgpr_workgroup_id_y 1
		.amdhsa_system_sgpr_workgroup_id_z 1
		.amdhsa_system_sgpr_workgroup_info 0
		.amdhsa_system_vgpr_workitem_id 1
		.amdhsa_next_free_vgpr 28
		.amdhsa_next_free_sgpr 24
		.amdhsa_reserve_vcc 1
		.amdhsa_reserve_flat_scratch 0
		.amdhsa_float_round_mode_32 0
		.amdhsa_float_round_mode_16_64 0
		.amdhsa_float_denorm_mode_32 3
		.amdhsa_float_denorm_mode_16_64 3
		.amdhsa_dx10_clamp 1
		.amdhsa_ieee_mode 1
		.amdhsa_fp16_overflow 0
		.amdhsa_exception_fp_ieee_invalid_op 0
		.amdhsa_exception_fp_denorm_src 0
		.amdhsa_exception_fp_ieee_div_zero 0
		.amdhsa_exception_fp_ieee_overflow 0
		.amdhsa_exception_fp_ieee_underflow 0
		.amdhsa_exception_fp_ieee_inexact 0
		.amdhsa_exception_int_div_zero 0
	.end_amdhsa_kernel
	.section	.text._ZL37rocblas_syrkx_herkx_restricted_kernelIifLi16ELi32ELi8ELb1ELb0ELc78ELc76EKffEviT_T0_PT8_S1_lS4_S1_lS2_PT9_S1_li,"axG",@progbits,_ZL37rocblas_syrkx_herkx_restricted_kernelIifLi16ELi32ELi8ELb1ELb0ELc78ELc76EKffEviT_T0_PT8_S1_lS4_S1_lS2_PT9_S1_li,comdat
.Lfunc_end28:
	.size	_ZL37rocblas_syrkx_herkx_restricted_kernelIifLi16ELi32ELi8ELb1ELb0ELc78ELc76EKffEviT_T0_PT8_S1_lS4_S1_lS2_PT9_S1_li, .Lfunc_end28-_ZL37rocblas_syrkx_herkx_restricted_kernelIifLi16ELi32ELi8ELb1ELb0ELc78ELc76EKffEviT_T0_PT8_S1_lS4_S1_lS2_PT9_S1_li
                                        ; -- End function
	.set _ZL37rocblas_syrkx_herkx_restricted_kernelIifLi16ELi32ELi8ELb1ELb0ELc78ELc76EKffEviT_T0_PT8_S1_lS4_S1_lS2_PT9_S1_li.num_vgpr, 28
	.set _ZL37rocblas_syrkx_herkx_restricted_kernelIifLi16ELi32ELi8ELb1ELb0ELc78ELc76EKffEviT_T0_PT8_S1_lS4_S1_lS2_PT9_S1_li.num_agpr, 0
	.set _ZL37rocblas_syrkx_herkx_restricted_kernelIifLi16ELi32ELi8ELb1ELb0ELc78ELc76EKffEviT_T0_PT8_S1_lS4_S1_lS2_PT9_S1_li.numbered_sgpr, 24
	.set _ZL37rocblas_syrkx_herkx_restricted_kernelIifLi16ELi32ELi8ELb1ELb0ELc78ELc76EKffEviT_T0_PT8_S1_lS4_S1_lS2_PT9_S1_li.num_named_barrier, 0
	.set _ZL37rocblas_syrkx_herkx_restricted_kernelIifLi16ELi32ELi8ELb1ELb0ELc78ELc76EKffEviT_T0_PT8_S1_lS4_S1_lS2_PT9_S1_li.private_seg_size, 0
	.set _ZL37rocblas_syrkx_herkx_restricted_kernelIifLi16ELi32ELi8ELb1ELb0ELc78ELc76EKffEviT_T0_PT8_S1_lS4_S1_lS2_PT9_S1_li.uses_vcc, 1
	.set _ZL37rocblas_syrkx_herkx_restricted_kernelIifLi16ELi32ELi8ELb1ELb0ELc78ELc76EKffEviT_T0_PT8_S1_lS4_S1_lS2_PT9_S1_li.uses_flat_scratch, 0
	.set _ZL37rocblas_syrkx_herkx_restricted_kernelIifLi16ELi32ELi8ELb1ELb0ELc78ELc76EKffEviT_T0_PT8_S1_lS4_S1_lS2_PT9_S1_li.has_dyn_sized_stack, 0
	.set _ZL37rocblas_syrkx_herkx_restricted_kernelIifLi16ELi32ELi8ELb1ELb0ELc78ELc76EKffEviT_T0_PT8_S1_lS4_S1_lS2_PT9_S1_li.has_recursion, 0
	.set _ZL37rocblas_syrkx_herkx_restricted_kernelIifLi16ELi32ELi8ELb1ELb0ELc78ELc76EKffEviT_T0_PT8_S1_lS4_S1_lS2_PT9_S1_li.has_indirect_call, 0
	.section	.AMDGPU.csdata,"",@progbits
; Kernel info:
; codeLenInByte = 1076
; TotalNumSgprs: 28
; NumVgprs: 28
; ScratchSize: 0
; MemoryBound: 0
; FloatMode: 240
; IeeeMode: 1
; LDSByteSize: 2048 bytes/workgroup (compile time only)
; SGPRBlocks: 3
; VGPRBlocks: 6
; NumSGPRsForWavesPerEU: 28
; NumVGPRsForWavesPerEU: 28
; Occupancy: 9
; WaveLimiterHint : 0
; COMPUTE_PGM_RSRC2:SCRATCH_EN: 0
; COMPUTE_PGM_RSRC2:USER_SGPR: 6
; COMPUTE_PGM_RSRC2:TRAP_HANDLER: 0
; COMPUTE_PGM_RSRC2:TGID_X_EN: 1
; COMPUTE_PGM_RSRC2:TGID_Y_EN: 1
; COMPUTE_PGM_RSRC2:TGID_Z_EN: 1
; COMPUTE_PGM_RSRC2:TIDIG_COMP_CNT: 1
	.section	.text._ZL37rocblas_syrkx_herkx_restricted_kernelIifLi16ELi32ELi8ELb1ELb0ELc84ELc85EKffEviT_T0_PT8_S1_lS4_S1_lS2_PT9_S1_li,"axG",@progbits,_ZL37rocblas_syrkx_herkx_restricted_kernelIifLi16ELi32ELi8ELb1ELb0ELc84ELc85EKffEviT_T0_PT8_S1_lS4_S1_lS2_PT9_S1_li,comdat
	.globl	_ZL37rocblas_syrkx_herkx_restricted_kernelIifLi16ELi32ELi8ELb1ELb0ELc84ELc85EKffEviT_T0_PT8_S1_lS4_S1_lS2_PT9_S1_li ; -- Begin function _ZL37rocblas_syrkx_herkx_restricted_kernelIifLi16ELi32ELi8ELb1ELb0ELc84ELc85EKffEviT_T0_PT8_S1_lS4_S1_lS2_PT9_S1_li
	.p2align	8
	.type	_ZL37rocblas_syrkx_herkx_restricted_kernelIifLi16ELi32ELi8ELb1ELb0ELc84ELc85EKffEviT_T0_PT8_S1_lS4_S1_lS2_PT9_S1_li,@function
_ZL37rocblas_syrkx_herkx_restricted_kernelIifLi16ELi32ELi8ELb1ELb0ELc84ELc85EKffEviT_T0_PT8_S1_lS4_S1_lS2_PT9_S1_li: ; @_ZL37rocblas_syrkx_herkx_restricted_kernelIifLi16ELi32ELi8ELb1ELb0ELc84ELc85EKffEviT_T0_PT8_S1_lS4_S1_lS2_PT9_S1_li
; %bb.0:
	s_load_dwordx4 s[12:15], s[4:5], 0x0
	s_lshl_b32 s6, s6, 5
	s_lshl_b32 s7, s7, 5
	s_mov_b32 s9, 0
	s_waitcnt lgkmcnt(0)
	s_cmp_lt_i32 s13, 1
	s_cbranch_scc1 .LBB29_3
; %bb.1:
	v_lshl_add_u32 v3, v1, 4, v0
	v_and_b32_e32 v8, 31, v3
	s_load_dwordx2 s[10:11], s[4:5], 0x10
	s_load_dword s15, s[4:5], 0x18
	s_load_dwordx4 s[0:3], s[4:5], 0x20
	s_load_dword s18, s[4:5], 0x30
	s_load_dwordx2 s[16:17], s[4:5], 0x38
	v_lshrrev_b32_e32 v6, 5, v3
	v_and_b32_e32 v2, 7, v0
	v_lshlrev_b32_e32 v9, 2, v8
	v_lshrrev_b32_e32 v4, 3, v3
	v_lshl_or_b32 v10, v6, 7, v9
	v_lshlrev_b32_e32 v9, 2, v2
	v_add_u32_e32 v5, s7, v4
	v_lshl_or_b32 v4, v4, 5, v9
	v_mov_b32_e32 v3, 0
	v_add_u32_e32 v11, 0x400, v4
	v_mov_b32_e32 v4, 0x400
	v_lshl_add_u32 v13, v1, 5, v4
	s_waitcnt lgkmcnt(0)
	v_mad_i64_i32 v[4:5], s[18:19], s18, v5, v[2:3]
	s_mul_i32 s17, s17, s8
	s_mul_hi_u32 s20, s16, s8
	s_add_i32 s17, s20, s17
	s_mul_i32 s16, s16, s8
	s_lshl_b64 s[16:17], s[16:17], 2
	v_lshlrev_b64 v[4:5], 2, v[4:5]
	s_add_u32 s2, s2, s16
	s_addc_u32 s3, s3, s17
	v_mov_b32_e32 v2, s3
	v_add_co_u32_e32 v4, vcc, s2, v4
	v_mov_b32_e32 v7, v3
	v_addc_co_u32_e32 v5, vcc, v2, v5, vcc
	v_add_u32_e32 v2, s6, v8
	v_mad_i64_i32 v[6:7], s[2:3], s15, v2, v[6:7]
	s_mul_i32 s1, s1, s8
	s_mul_hi_u32 s16, s0, s8
	s_add_i32 s1, s16, s1
	s_mul_i32 s0, s0, s8
	s_lshl_b64 s[0:1], s[0:1], 2
	v_lshlrev_b64 v[6:7], 2, v[6:7]
	s_add_u32 s0, s10, s0
	s_addc_u32 s1, s11, s1
	v_mov_b32_e32 v2, s1
	v_add_co_u32_e32 v6, vcc, s0, v6
	v_lshlrev_b32_e32 v12, 2, v0
	v_addc_co_u32_e32 v7, vcc, v2, v7, vcc
	v_mov_b32_e32 v2, v3
	v_mov_b32_e32 v8, v3
	;; [unrolled: 1-line block ×3, first 2 shown]
.LBB29_2:                               ; =>This Inner Loop Header: Depth=1
	global_load_dword v14, v[6:7], off
	s_add_i32 s9, s9, 8
	v_add_co_u32_e64 v6, s[0:1], 32, v6
	s_cmp_ge_i32 s9, s13
	s_waitcnt vmcnt(0)
	ds_write_b32 v10, v14
	global_load_dword v14, v[4:5], off
	v_add_co_u32_e32 v4, vcc, 32, v4
	v_addc_co_u32_e32 v5, vcc, 0, v5, vcc
	v_addc_co_u32_e64 v7, vcc, 0, v7, s[0:1]
	s_waitcnt vmcnt(0)
	ds_write_b32 v11, v14
	s_waitcnt lgkmcnt(0)
	s_barrier
	ds_read2_b32 v[18:19], v12 offset1:16
	ds_read_b128 v[14:17], v13
	ds_read2_b32 v[20:21], v12 offset0:32 offset1:48
	ds_read2_b32 v[22:23], v12 offset0:64 offset1:80
	;; [unrolled: 1-line block ×3, first 2 shown]
	s_waitcnt lgkmcnt(3)
	v_fmac_f32_e32 v9, v18, v14
	v_fmac_f32_e32 v8, v19, v14
	s_waitcnt lgkmcnt(2)
	v_fmac_f32_e32 v9, v20, v15
	v_fmac_f32_e32 v8, v21, v15
	;; [unrolled: 3-line block ×4, first 2 shown]
	ds_read_b128 v[14:17], v13 offset:512
	s_waitcnt lgkmcnt(0)
	v_fmac_f32_e32 v2, v18, v14
	v_fmac_f32_e32 v3, v19, v14
	;; [unrolled: 1-line block ×8, first 2 shown]
	ds_read2_b32 v[18:19], v12 offset0:128 offset1:144
	ds_read_b128 v[14:17], v13 offset:16
	ds_read2_b32 v[20:21], v12 offset0:160 offset1:176
	ds_read2_b32 v[22:23], v12 offset0:192 offset1:208
	;; [unrolled: 1-line block ×3, first 2 shown]
	s_waitcnt lgkmcnt(3)
	v_fmac_f32_e32 v9, v18, v14
	v_fmac_f32_e32 v8, v19, v14
	s_waitcnt lgkmcnt(2)
	v_fmac_f32_e32 v9, v20, v15
	v_fmac_f32_e32 v8, v21, v15
	;; [unrolled: 3-line block ×4, first 2 shown]
	ds_read_b128 v[14:17], v13 offset:528
	s_waitcnt lgkmcnt(0)
	s_barrier
	v_fmac_f32_e32 v2, v18, v14
	v_fmac_f32_e32 v3, v19, v14
	;; [unrolled: 1-line block ×8, first 2 shown]
	s_cbranch_scc0 .LBB29_2
	s_branch .LBB29_4
.LBB29_3:
	v_mov_b32_e32 v9, 0
	v_mov_b32_e32 v8, 0
	;; [unrolled: 1-line block ×4, first 2 shown]
.LBB29_4:
	s_load_dwordx2 s[0:1], s[4:5], 0x58
	s_load_dwordx2 s[2:3], s[4:5], 0x48
	s_load_dword s9, s[4:5], 0x50
	v_add_u32_e32 v6, s7, v1
	v_add_u32_e32 v0, s6, v0
	s_waitcnt lgkmcnt(0)
	s_mul_i32 s1, s1, s8
	s_mul_hi_u32 s4, s0, s8
	v_mad_i64_i32 v[4:5], s[10:11], v6, s9, 0
	s_mul_i32 s0, s0, s8
	s_add_i32 s1, s4, s1
	s_lshl_b64 s[0:1], s[0:1], 2
	s_add_u32 s4, s2, s0
	v_lshlrev_b64 v[4:5], 2, v[4:5]
	s_addc_u32 s5, s3, s1
	v_mov_b32_e32 v1, s5
	v_add_co_u32_e64 v7, s[0:1], s4, v4
	v_addc_co_u32_e64 v10, s[0:1], v1, v5, s[0:1]
	v_cmp_gt_i32_e32 vcc, s12, v6
	v_cmp_le_i32_e64 s[0:1], v0, v6
	s_and_b64 s[0:1], vcc, s[0:1]
	s_and_saveexec_b64 s[2:3], s[0:1]
	s_cbranch_execz .LBB29_6
; %bb.5:
	v_ashrrev_i32_e32 v1, 31, v0
	v_lshlrev_b64 v[4:5], 2, v[0:1]
	v_mul_f32_e32 v9, s14, v9
	v_add_co_u32_e64 v4, s[0:1], v7, v4
	v_addc_co_u32_e64 v5, s[0:1], v10, v5, s[0:1]
	global_store_dword v[4:5], v9, off
.LBB29_6:
	s_or_b64 exec, exec, s[2:3]
	v_add_u32_e32 v4, 16, v0
	v_cmp_le_i32_e64 s[0:1], v4, v6
	s_and_b64 s[2:3], vcc, s[0:1]
	s_and_saveexec_b64 s[0:1], s[2:3]
	s_cbranch_execz .LBB29_8
; %bb.7:
	v_ashrrev_i32_e32 v5, 31, v4
	v_mul_f32_e32 v1, s14, v8
	v_lshlrev_b64 v[8:9], 2, v[4:5]
	v_add_co_u32_e32 v7, vcc, v7, v8
	v_addc_co_u32_e32 v8, vcc, v10, v9, vcc
	global_store_dword v[7:8], v1, off
.LBB29_8:
	s_or_b64 exec, exec, s[0:1]
	v_add_u32_e32 v5, 16, v6
	v_mad_i64_i32 v[6:7], s[0:1], v5, s9, 0
	v_mov_b32_e32 v1, s5
	v_cmp_gt_i32_e32 vcc, s12, v5
	v_lshlrev_b64 v[6:7], 2, v[6:7]
	v_add_co_u32_e64 v6, s[0:1], s4, v6
	v_addc_co_u32_e64 v7, s[0:1], v1, v7, s[0:1]
	v_cmp_le_i32_e64 s[0:1], v0, v5
	s_and_b64 s[0:1], vcc, s[0:1]
	s_and_saveexec_b64 s[2:3], s[0:1]
	s_cbranch_execz .LBB29_10
; %bb.9:
	v_ashrrev_i32_e32 v1, 31, v0
	v_lshlrev_b64 v[0:1], 2, v[0:1]
	v_mul_f32_e32 v2, s14, v2
	v_add_co_u32_e64 v0, s[0:1], v6, v0
	v_addc_co_u32_e64 v1, s[0:1], v7, v1, s[0:1]
	global_store_dword v[0:1], v2, off
.LBB29_10:
	s_or_b64 exec, exec, s[2:3]
	v_cmp_le_i32_e64 s[0:1], v4, v5
	s_and_b64 s[0:1], vcc, s[0:1]
	s_and_saveexec_b64 s[2:3], s[0:1]
	s_cbranch_execz .LBB29_12
; %bb.11:
	v_ashrrev_i32_e32 v5, 31, v4
	v_lshlrev_b64 v[0:1], 2, v[4:5]
	v_mul_f32_e32 v2, s14, v3
	v_add_co_u32_e32 v0, vcc, v6, v0
	v_addc_co_u32_e32 v1, vcc, v7, v1, vcc
	global_store_dword v[0:1], v2, off
.LBB29_12:
	s_endpgm
	.section	.rodata,"a",@progbits
	.p2align	6, 0x0
	.amdhsa_kernel _ZL37rocblas_syrkx_herkx_restricted_kernelIifLi16ELi32ELi8ELb1ELb0ELc84ELc85EKffEviT_T0_PT8_S1_lS4_S1_lS2_PT9_S1_li
		.amdhsa_group_segment_fixed_size 2048
		.amdhsa_private_segment_fixed_size 0
		.amdhsa_kernarg_size 100
		.amdhsa_user_sgpr_count 6
		.amdhsa_user_sgpr_private_segment_buffer 1
		.amdhsa_user_sgpr_dispatch_ptr 0
		.amdhsa_user_sgpr_queue_ptr 0
		.amdhsa_user_sgpr_kernarg_segment_ptr 1
		.amdhsa_user_sgpr_dispatch_id 0
		.amdhsa_user_sgpr_flat_scratch_init 0
		.amdhsa_user_sgpr_private_segment_size 0
		.amdhsa_uses_dynamic_stack 0
		.amdhsa_system_sgpr_private_segment_wavefront_offset 0
		.amdhsa_system_sgpr_workgroup_id_x 1
		.amdhsa_system_sgpr_workgroup_id_y 1
		.amdhsa_system_sgpr_workgroup_id_z 1
		.amdhsa_system_sgpr_workgroup_info 0
		.amdhsa_system_vgpr_workitem_id 1
		.amdhsa_next_free_vgpr 26
		.amdhsa_next_free_sgpr 21
		.amdhsa_reserve_vcc 1
		.amdhsa_reserve_flat_scratch 0
		.amdhsa_float_round_mode_32 0
		.amdhsa_float_round_mode_16_64 0
		.amdhsa_float_denorm_mode_32 3
		.amdhsa_float_denorm_mode_16_64 3
		.amdhsa_dx10_clamp 1
		.amdhsa_ieee_mode 1
		.amdhsa_fp16_overflow 0
		.amdhsa_exception_fp_ieee_invalid_op 0
		.amdhsa_exception_fp_denorm_src 0
		.amdhsa_exception_fp_ieee_div_zero 0
		.amdhsa_exception_fp_ieee_overflow 0
		.amdhsa_exception_fp_ieee_underflow 0
		.amdhsa_exception_fp_ieee_inexact 0
		.amdhsa_exception_int_div_zero 0
	.end_amdhsa_kernel
	.section	.text._ZL37rocblas_syrkx_herkx_restricted_kernelIifLi16ELi32ELi8ELb1ELb0ELc84ELc85EKffEviT_T0_PT8_S1_lS4_S1_lS2_PT9_S1_li,"axG",@progbits,_ZL37rocblas_syrkx_herkx_restricted_kernelIifLi16ELi32ELi8ELb1ELb0ELc84ELc85EKffEviT_T0_PT8_S1_lS4_S1_lS2_PT9_S1_li,comdat
.Lfunc_end29:
	.size	_ZL37rocblas_syrkx_herkx_restricted_kernelIifLi16ELi32ELi8ELb1ELb0ELc84ELc85EKffEviT_T0_PT8_S1_lS4_S1_lS2_PT9_S1_li, .Lfunc_end29-_ZL37rocblas_syrkx_herkx_restricted_kernelIifLi16ELi32ELi8ELb1ELb0ELc84ELc85EKffEviT_T0_PT8_S1_lS4_S1_lS2_PT9_S1_li
                                        ; -- End function
	.set _ZL37rocblas_syrkx_herkx_restricted_kernelIifLi16ELi32ELi8ELb1ELb0ELc84ELc85EKffEviT_T0_PT8_S1_lS4_S1_lS2_PT9_S1_li.num_vgpr, 26
	.set _ZL37rocblas_syrkx_herkx_restricted_kernelIifLi16ELi32ELi8ELb1ELb0ELc84ELc85EKffEviT_T0_PT8_S1_lS4_S1_lS2_PT9_S1_li.num_agpr, 0
	.set _ZL37rocblas_syrkx_herkx_restricted_kernelIifLi16ELi32ELi8ELb1ELb0ELc84ELc85EKffEviT_T0_PT8_S1_lS4_S1_lS2_PT9_S1_li.numbered_sgpr, 21
	.set _ZL37rocblas_syrkx_herkx_restricted_kernelIifLi16ELi32ELi8ELb1ELb0ELc84ELc85EKffEviT_T0_PT8_S1_lS4_S1_lS2_PT9_S1_li.num_named_barrier, 0
	.set _ZL37rocblas_syrkx_herkx_restricted_kernelIifLi16ELi32ELi8ELb1ELb0ELc84ELc85EKffEviT_T0_PT8_S1_lS4_S1_lS2_PT9_S1_li.private_seg_size, 0
	.set _ZL37rocblas_syrkx_herkx_restricted_kernelIifLi16ELi32ELi8ELb1ELb0ELc84ELc85EKffEviT_T0_PT8_S1_lS4_S1_lS2_PT9_S1_li.uses_vcc, 1
	.set _ZL37rocblas_syrkx_herkx_restricted_kernelIifLi16ELi32ELi8ELb1ELb0ELc84ELc85EKffEviT_T0_PT8_S1_lS4_S1_lS2_PT9_S1_li.uses_flat_scratch, 0
	.set _ZL37rocblas_syrkx_herkx_restricted_kernelIifLi16ELi32ELi8ELb1ELb0ELc84ELc85EKffEviT_T0_PT8_S1_lS4_S1_lS2_PT9_S1_li.has_dyn_sized_stack, 0
	.set _ZL37rocblas_syrkx_herkx_restricted_kernelIifLi16ELi32ELi8ELb1ELb0ELc84ELc85EKffEviT_T0_PT8_S1_lS4_S1_lS2_PT9_S1_li.has_recursion, 0
	.set _ZL37rocblas_syrkx_herkx_restricted_kernelIifLi16ELi32ELi8ELb1ELb0ELc84ELc85EKffEviT_T0_PT8_S1_lS4_S1_lS2_PT9_S1_li.has_indirect_call, 0
	.section	.AMDGPU.csdata,"",@progbits
; Kernel info:
; codeLenInByte = 1056
; TotalNumSgprs: 25
; NumVgprs: 26
; ScratchSize: 0
; MemoryBound: 0
; FloatMode: 240
; IeeeMode: 1
; LDSByteSize: 2048 bytes/workgroup (compile time only)
; SGPRBlocks: 3
; VGPRBlocks: 6
; NumSGPRsForWavesPerEU: 25
; NumVGPRsForWavesPerEU: 26
; Occupancy: 9
; WaveLimiterHint : 0
; COMPUTE_PGM_RSRC2:SCRATCH_EN: 0
; COMPUTE_PGM_RSRC2:USER_SGPR: 6
; COMPUTE_PGM_RSRC2:TRAP_HANDLER: 0
; COMPUTE_PGM_RSRC2:TGID_X_EN: 1
; COMPUTE_PGM_RSRC2:TGID_Y_EN: 1
; COMPUTE_PGM_RSRC2:TGID_Z_EN: 1
; COMPUTE_PGM_RSRC2:TIDIG_COMP_CNT: 1
	.section	.text._ZL37rocblas_syrkx_herkx_restricted_kernelIifLi16ELi32ELi8ELb1ELb0ELc67ELc85EKffEviT_T0_PT8_S1_lS4_S1_lS2_PT9_S1_li,"axG",@progbits,_ZL37rocblas_syrkx_herkx_restricted_kernelIifLi16ELi32ELi8ELb1ELb0ELc67ELc85EKffEviT_T0_PT8_S1_lS4_S1_lS2_PT9_S1_li,comdat
	.globl	_ZL37rocblas_syrkx_herkx_restricted_kernelIifLi16ELi32ELi8ELb1ELb0ELc67ELc85EKffEviT_T0_PT8_S1_lS4_S1_lS2_PT9_S1_li ; -- Begin function _ZL37rocblas_syrkx_herkx_restricted_kernelIifLi16ELi32ELi8ELb1ELb0ELc67ELc85EKffEviT_T0_PT8_S1_lS4_S1_lS2_PT9_S1_li
	.p2align	8
	.type	_ZL37rocblas_syrkx_herkx_restricted_kernelIifLi16ELi32ELi8ELb1ELb0ELc67ELc85EKffEviT_T0_PT8_S1_lS4_S1_lS2_PT9_S1_li,@function
_ZL37rocblas_syrkx_herkx_restricted_kernelIifLi16ELi32ELi8ELb1ELb0ELc67ELc85EKffEviT_T0_PT8_S1_lS4_S1_lS2_PT9_S1_li: ; @_ZL37rocblas_syrkx_herkx_restricted_kernelIifLi16ELi32ELi8ELb1ELb0ELc67ELc85EKffEviT_T0_PT8_S1_lS4_S1_lS2_PT9_S1_li
; %bb.0:
	s_load_dwordx4 s[12:15], s[4:5], 0x0
	s_lshl_b32 s6, s6, 5
	s_lshl_b32 s7, s7, 5
	s_mov_b32 s9, 0
	s_waitcnt lgkmcnt(0)
	s_cmp_lt_i32 s13, 1
	s_cbranch_scc1 .LBB30_3
; %bb.1:
	v_lshl_add_u32 v3, v1, 4, v0
	v_and_b32_e32 v8, 31, v3
	s_load_dwordx2 s[10:11], s[4:5], 0x10
	s_load_dword s15, s[4:5], 0x18
	s_load_dwordx4 s[0:3], s[4:5], 0x20
	s_load_dword s18, s[4:5], 0x30
	s_load_dwordx2 s[16:17], s[4:5], 0x38
	v_lshrrev_b32_e32 v6, 5, v3
	v_and_b32_e32 v2, 7, v0
	v_lshlrev_b32_e32 v9, 2, v8
	v_lshrrev_b32_e32 v4, 3, v3
	v_lshl_or_b32 v10, v6, 7, v9
	v_lshlrev_b32_e32 v9, 2, v2
	v_add_u32_e32 v5, s7, v4
	v_lshl_or_b32 v4, v4, 5, v9
	v_mov_b32_e32 v3, 0
	v_add_u32_e32 v11, 0x400, v4
	v_mov_b32_e32 v4, 0x400
	v_lshl_add_u32 v13, v1, 5, v4
	s_waitcnt lgkmcnt(0)
	v_mad_i64_i32 v[4:5], s[18:19], s18, v5, v[2:3]
	s_mul_i32 s17, s17, s8
	s_mul_hi_u32 s20, s16, s8
	s_add_i32 s17, s20, s17
	s_mul_i32 s16, s16, s8
	s_lshl_b64 s[16:17], s[16:17], 2
	v_lshlrev_b64 v[4:5], 2, v[4:5]
	s_add_u32 s2, s2, s16
	s_addc_u32 s3, s3, s17
	v_mov_b32_e32 v2, s3
	v_add_co_u32_e32 v4, vcc, s2, v4
	v_mov_b32_e32 v7, v3
	v_addc_co_u32_e32 v5, vcc, v2, v5, vcc
	v_add_u32_e32 v2, s6, v8
	v_mad_i64_i32 v[6:7], s[2:3], s15, v2, v[6:7]
	s_mul_i32 s1, s1, s8
	s_mul_hi_u32 s16, s0, s8
	s_add_i32 s1, s16, s1
	s_mul_i32 s0, s0, s8
	s_lshl_b64 s[0:1], s[0:1], 2
	v_lshlrev_b64 v[6:7], 2, v[6:7]
	s_add_u32 s0, s10, s0
	s_addc_u32 s1, s11, s1
	v_mov_b32_e32 v2, s1
	v_add_co_u32_e32 v6, vcc, s0, v6
	v_lshlrev_b32_e32 v12, 2, v0
	v_addc_co_u32_e32 v7, vcc, v2, v7, vcc
	v_mov_b32_e32 v2, v3
	v_mov_b32_e32 v8, v3
	v_mov_b32_e32 v9, v3
.LBB30_2:                               ; =>This Inner Loop Header: Depth=1
	global_load_dword v14, v[6:7], off
	s_add_i32 s9, s9, 8
	v_add_co_u32_e64 v6, s[0:1], 32, v6
	s_cmp_ge_i32 s9, s13
	s_waitcnt vmcnt(0)
	ds_write_b32 v10, v14
	global_load_dword v14, v[4:5], off
	v_add_co_u32_e32 v4, vcc, 32, v4
	v_addc_co_u32_e32 v5, vcc, 0, v5, vcc
	v_addc_co_u32_e64 v7, vcc, 0, v7, s[0:1]
	s_waitcnt vmcnt(0)
	ds_write_b32 v11, v14
	s_waitcnt lgkmcnt(0)
	s_barrier
	ds_read2_b32 v[18:19], v12 offset1:16
	ds_read_b128 v[14:17], v13
	ds_read2_b32 v[20:21], v12 offset0:32 offset1:48
	ds_read2_b32 v[22:23], v12 offset0:64 offset1:80
	;; [unrolled: 1-line block ×3, first 2 shown]
	s_waitcnt lgkmcnt(3)
	v_fmac_f32_e32 v9, v18, v14
	v_fmac_f32_e32 v8, v19, v14
	s_waitcnt lgkmcnt(2)
	v_fmac_f32_e32 v9, v20, v15
	v_fmac_f32_e32 v8, v21, v15
	;; [unrolled: 3-line block ×4, first 2 shown]
	ds_read_b128 v[14:17], v13 offset:512
	s_waitcnt lgkmcnt(0)
	v_fmac_f32_e32 v2, v18, v14
	v_fmac_f32_e32 v3, v19, v14
	;; [unrolled: 1-line block ×8, first 2 shown]
	ds_read2_b32 v[18:19], v12 offset0:128 offset1:144
	ds_read_b128 v[14:17], v13 offset:16
	ds_read2_b32 v[20:21], v12 offset0:160 offset1:176
	ds_read2_b32 v[22:23], v12 offset0:192 offset1:208
	ds_read2_b32 v[24:25], v12 offset0:224 offset1:240
	s_waitcnt lgkmcnt(3)
	v_fmac_f32_e32 v9, v18, v14
	v_fmac_f32_e32 v8, v19, v14
	s_waitcnt lgkmcnt(2)
	v_fmac_f32_e32 v9, v20, v15
	v_fmac_f32_e32 v8, v21, v15
	s_waitcnt lgkmcnt(1)
	v_fmac_f32_e32 v9, v22, v16
	v_fmac_f32_e32 v8, v23, v16
	s_waitcnt lgkmcnt(0)
	v_fmac_f32_e32 v9, v24, v17
	v_fmac_f32_e32 v8, v25, v17
	ds_read_b128 v[14:17], v13 offset:528
	s_waitcnt lgkmcnt(0)
	s_barrier
	v_fmac_f32_e32 v2, v18, v14
	v_fmac_f32_e32 v3, v19, v14
	;; [unrolled: 1-line block ×8, first 2 shown]
	s_cbranch_scc0 .LBB30_2
	s_branch .LBB30_4
.LBB30_3:
	v_mov_b32_e32 v9, 0
	v_mov_b32_e32 v8, 0
	;; [unrolled: 1-line block ×4, first 2 shown]
.LBB30_4:
	s_load_dwordx2 s[0:1], s[4:5], 0x58
	s_load_dwordx2 s[2:3], s[4:5], 0x48
	s_load_dword s9, s[4:5], 0x50
	v_add_u32_e32 v6, s7, v1
	v_add_u32_e32 v0, s6, v0
	s_waitcnt lgkmcnt(0)
	s_mul_i32 s1, s1, s8
	s_mul_hi_u32 s4, s0, s8
	v_mad_i64_i32 v[4:5], s[10:11], v6, s9, 0
	s_mul_i32 s0, s0, s8
	s_add_i32 s1, s4, s1
	s_lshl_b64 s[0:1], s[0:1], 2
	s_add_u32 s4, s2, s0
	v_lshlrev_b64 v[4:5], 2, v[4:5]
	s_addc_u32 s5, s3, s1
	v_mov_b32_e32 v1, s5
	v_add_co_u32_e64 v7, s[0:1], s4, v4
	v_addc_co_u32_e64 v10, s[0:1], v1, v5, s[0:1]
	v_cmp_gt_i32_e32 vcc, s12, v6
	v_cmp_le_i32_e64 s[0:1], v0, v6
	s_and_b64 s[0:1], vcc, s[0:1]
	s_and_saveexec_b64 s[2:3], s[0:1]
	s_cbranch_execz .LBB30_6
; %bb.5:
	v_ashrrev_i32_e32 v1, 31, v0
	v_lshlrev_b64 v[4:5], 2, v[0:1]
	v_mul_f32_e32 v9, s14, v9
	v_add_co_u32_e64 v4, s[0:1], v7, v4
	v_addc_co_u32_e64 v5, s[0:1], v10, v5, s[0:1]
	global_store_dword v[4:5], v9, off
.LBB30_6:
	s_or_b64 exec, exec, s[2:3]
	v_add_u32_e32 v4, 16, v0
	v_cmp_le_i32_e64 s[0:1], v4, v6
	s_and_b64 s[2:3], vcc, s[0:1]
	s_and_saveexec_b64 s[0:1], s[2:3]
	s_cbranch_execz .LBB30_8
; %bb.7:
	v_ashrrev_i32_e32 v5, 31, v4
	v_mul_f32_e32 v1, s14, v8
	v_lshlrev_b64 v[8:9], 2, v[4:5]
	v_add_co_u32_e32 v7, vcc, v7, v8
	v_addc_co_u32_e32 v8, vcc, v10, v9, vcc
	global_store_dword v[7:8], v1, off
.LBB30_8:
	s_or_b64 exec, exec, s[0:1]
	v_add_u32_e32 v5, 16, v6
	v_mad_i64_i32 v[6:7], s[0:1], v5, s9, 0
	v_mov_b32_e32 v1, s5
	v_cmp_gt_i32_e32 vcc, s12, v5
	v_lshlrev_b64 v[6:7], 2, v[6:7]
	v_add_co_u32_e64 v6, s[0:1], s4, v6
	v_addc_co_u32_e64 v7, s[0:1], v1, v7, s[0:1]
	v_cmp_le_i32_e64 s[0:1], v0, v5
	s_and_b64 s[0:1], vcc, s[0:1]
	s_and_saveexec_b64 s[2:3], s[0:1]
	s_cbranch_execz .LBB30_10
; %bb.9:
	v_ashrrev_i32_e32 v1, 31, v0
	v_lshlrev_b64 v[0:1], 2, v[0:1]
	v_mul_f32_e32 v2, s14, v2
	v_add_co_u32_e64 v0, s[0:1], v6, v0
	v_addc_co_u32_e64 v1, s[0:1], v7, v1, s[0:1]
	global_store_dword v[0:1], v2, off
.LBB30_10:
	s_or_b64 exec, exec, s[2:3]
	v_cmp_le_i32_e64 s[0:1], v4, v5
	s_and_b64 s[0:1], vcc, s[0:1]
	s_and_saveexec_b64 s[2:3], s[0:1]
	s_cbranch_execz .LBB30_12
; %bb.11:
	v_ashrrev_i32_e32 v5, 31, v4
	v_lshlrev_b64 v[0:1], 2, v[4:5]
	v_mul_f32_e32 v2, s14, v3
	v_add_co_u32_e32 v0, vcc, v6, v0
	v_addc_co_u32_e32 v1, vcc, v7, v1, vcc
	global_store_dword v[0:1], v2, off
.LBB30_12:
	s_endpgm
	.section	.rodata,"a",@progbits
	.p2align	6, 0x0
	.amdhsa_kernel _ZL37rocblas_syrkx_herkx_restricted_kernelIifLi16ELi32ELi8ELb1ELb0ELc67ELc85EKffEviT_T0_PT8_S1_lS4_S1_lS2_PT9_S1_li
		.amdhsa_group_segment_fixed_size 2048
		.amdhsa_private_segment_fixed_size 0
		.amdhsa_kernarg_size 100
		.amdhsa_user_sgpr_count 6
		.amdhsa_user_sgpr_private_segment_buffer 1
		.amdhsa_user_sgpr_dispatch_ptr 0
		.amdhsa_user_sgpr_queue_ptr 0
		.amdhsa_user_sgpr_kernarg_segment_ptr 1
		.amdhsa_user_sgpr_dispatch_id 0
		.amdhsa_user_sgpr_flat_scratch_init 0
		.amdhsa_user_sgpr_private_segment_size 0
		.amdhsa_uses_dynamic_stack 0
		.amdhsa_system_sgpr_private_segment_wavefront_offset 0
		.amdhsa_system_sgpr_workgroup_id_x 1
		.amdhsa_system_sgpr_workgroup_id_y 1
		.amdhsa_system_sgpr_workgroup_id_z 1
		.amdhsa_system_sgpr_workgroup_info 0
		.amdhsa_system_vgpr_workitem_id 1
		.amdhsa_next_free_vgpr 26
		.amdhsa_next_free_sgpr 21
		.amdhsa_reserve_vcc 1
		.amdhsa_reserve_flat_scratch 0
		.amdhsa_float_round_mode_32 0
		.amdhsa_float_round_mode_16_64 0
		.amdhsa_float_denorm_mode_32 3
		.amdhsa_float_denorm_mode_16_64 3
		.amdhsa_dx10_clamp 1
		.amdhsa_ieee_mode 1
		.amdhsa_fp16_overflow 0
		.amdhsa_exception_fp_ieee_invalid_op 0
		.amdhsa_exception_fp_denorm_src 0
		.amdhsa_exception_fp_ieee_div_zero 0
		.amdhsa_exception_fp_ieee_overflow 0
		.amdhsa_exception_fp_ieee_underflow 0
		.amdhsa_exception_fp_ieee_inexact 0
		.amdhsa_exception_int_div_zero 0
	.end_amdhsa_kernel
	.section	.text._ZL37rocblas_syrkx_herkx_restricted_kernelIifLi16ELi32ELi8ELb1ELb0ELc67ELc85EKffEviT_T0_PT8_S1_lS4_S1_lS2_PT9_S1_li,"axG",@progbits,_ZL37rocblas_syrkx_herkx_restricted_kernelIifLi16ELi32ELi8ELb1ELb0ELc67ELc85EKffEviT_T0_PT8_S1_lS4_S1_lS2_PT9_S1_li,comdat
.Lfunc_end30:
	.size	_ZL37rocblas_syrkx_herkx_restricted_kernelIifLi16ELi32ELi8ELb1ELb0ELc67ELc85EKffEviT_T0_PT8_S1_lS4_S1_lS2_PT9_S1_li, .Lfunc_end30-_ZL37rocblas_syrkx_herkx_restricted_kernelIifLi16ELi32ELi8ELb1ELb0ELc67ELc85EKffEviT_T0_PT8_S1_lS4_S1_lS2_PT9_S1_li
                                        ; -- End function
	.set _ZL37rocblas_syrkx_herkx_restricted_kernelIifLi16ELi32ELi8ELb1ELb0ELc67ELc85EKffEviT_T0_PT8_S1_lS4_S1_lS2_PT9_S1_li.num_vgpr, 26
	.set _ZL37rocblas_syrkx_herkx_restricted_kernelIifLi16ELi32ELi8ELb1ELb0ELc67ELc85EKffEviT_T0_PT8_S1_lS4_S1_lS2_PT9_S1_li.num_agpr, 0
	.set _ZL37rocblas_syrkx_herkx_restricted_kernelIifLi16ELi32ELi8ELb1ELb0ELc67ELc85EKffEviT_T0_PT8_S1_lS4_S1_lS2_PT9_S1_li.numbered_sgpr, 21
	.set _ZL37rocblas_syrkx_herkx_restricted_kernelIifLi16ELi32ELi8ELb1ELb0ELc67ELc85EKffEviT_T0_PT8_S1_lS4_S1_lS2_PT9_S1_li.num_named_barrier, 0
	.set _ZL37rocblas_syrkx_herkx_restricted_kernelIifLi16ELi32ELi8ELb1ELb0ELc67ELc85EKffEviT_T0_PT8_S1_lS4_S1_lS2_PT9_S1_li.private_seg_size, 0
	.set _ZL37rocblas_syrkx_herkx_restricted_kernelIifLi16ELi32ELi8ELb1ELb0ELc67ELc85EKffEviT_T0_PT8_S1_lS4_S1_lS2_PT9_S1_li.uses_vcc, 1
	.set _ZL37rocblas_syrkx_herkx_restricted_kernelIifLi16ELi32ELi8ELb1ELb0ELc67ELc85EKffEviT_T0_PT8_S1_lS4_S1_lS2_PT9_S1_li.uses_flat_scratch, 0
	.set _ZL37rocblas_syrkx_herkx_restricted_kernelIifLi16ELi32ELi8ELb1ELb0ELc67ELc85EKffEviT_T0_PT8_S1_lS4_S1_lS2_PT9_S1_li.has_dyn_sized_stack, 0
	.set _ZL37rocblas_syrkx_herkx_restricted_kernelIifLi16ELi32ELi8ELb1ELb0ELc67ELc85EKffEviT_T0_PT8_S1_lS4_S1_lS2_PT9_S1_li.has_recursion, 0
	.set _ZL37rocblas_syrkx_herkx_restricted_kernelIifLi16ELi32ELi8ELb1ELb0ELc67ELc85EKffEviT_T0_PT8_S1_lS4_S1_lS2_PT9_S1_li.has_indirect_call, 0
	.section	.AMDGPU.csdata,"",@progbits
; Kernel info:
; codeLenInByte = 1056
; TotalNumSgprs: 25
; NumVgprs: 26
; ScratchSize: 0
; MemoryBound: 0
; FloatMode: 240
; IeeeMode: 1
; LDSByteSize: 2048 bytes/workgroup (compile time only)
; SGPRBlocks: 3
; VGPRBlocks: 6
; NumSGPRsForWavesPerEU: 25
; NumVGPRsForWavesPerEU: 26
; Occupancy: 9
; WaveLimiterHint : 0
; COMPUTE_PGM_RSRC2:SCRATCH_EN: 0
; COMPUTE_PGM_RSRC2:USER_SGPR: 6
; COMPUTE_PGM_RSRC2:TRAP_HANDLER: 0
; COMPUTE_PGM_RSRC2:TGID_X_EN: 1
; COMPUTE_PGM_RSRC2:TGID_Y_EN: 1
; COMPUTE_PGM_RSRC2:TGID_Z_EN: 1
; COMPUTE_PGM_RSRC2:TIDIG_COMP_CNT: 1
	.section	.text._ZL37rocblas_syrkx_herkx_restricted_kernelIifLi16ELi32ELi8ELb1ELb0ELc78ELc85EKffEviT_T0_PT8_S1_lS4_S1_lS2_PT9_S1_li,"axG",@progbits,_ZL37rocblas_syrkx_herkx_restricted_kernelIifLi16ELi32ELi8ELb1ELb0ELc78ELc85EKffEviT_T0_PT8_S1_lS4_S1_lS2_PT9_S1_li,comdat
	.globl	_ZL37rocblas_syrkx_herkx_restricted_kernelIifLi16ELi32ELi8ELb1ELb0ELc78ELc85EKffEviT_T0_PT8_S1_lS4_S1_lS2_PT9_S1_li ; -- Begin function _ZL37rocblas_syrkx_herkx_restricted_kernelIifLi16ELi32ELi8ELb1ELb0ELc78ELc85EKffEviT_T0_PT8_S1_lS4_S1_lS2_PT9_S1_li
	.p2align	8
	.type	_ZL37rocblas_syrkx_herkx_restricted_kernelIifLi16ELi32ELi8ELb1ELb0ELc78ELc85EKffEviT_T0_PT8_S1_lS4_S1_lS2_PT9_S1_li,@function
_ZL37rocblas_syrkx_herkx_restricted_kernelIifLi16ELi32ELi8ELb1ELb0ELc78ELc85EKffEviT_T0_PT8_S1_lS4_S1_lS2_PT9_S1_li: ; @_ZL37rocblas_syrkx_herkx_restricted_kernelIifLi16ELi32ELi8ELb1ELb0ELc78ELc85EKffEviT_T0_PT8_S1_lS4_S1_lS2_PT9_S1_li
; %bb.0:
	s_load_dwordx4 s[12:15], s[4:5], 0x0
	s_lshl_b32 s9, s6, 5
	s_lshl_b32 s10, s7, 5
	s_mov_b32 s11, 0
	s_waitcnt lgkmcnt(0)
	s_cmp_lt_i32 s13, 1
	s_cbranch_scc1 .LBB31_3
; %bb.1:
	s_load_dword s6, s[4:5], 0x18
	s_load_dword s16, s[4:5], 0x30
	s_load_dwordx2 s[18:19], s[4:5], 0x10
	s_load_dwordx4 s[0:3], s[4:5], 0x20
	s_load_dwordx2 s[20:21], s[4:5], 0x38
	v_lshl_add_u32 v2, v1, 4, v0
	v_lshrrev_b32_e32 v4, 3, v2
	v_lshrrev_b32_e32 v6, 5, v2
	v_and_b32_e32 v7, 31, v2
	v_add_u32_e32 v2, s10, v4
	v_and_b32_e32 v5, 7, v0
	v_ashrrev_i32_e32 v3, 31, v2
	s_waitcnt lgkmcnt(0)
	v_mad_i64_i32 v[2:3], s[22:23], s16, v5, v[2:3]
	s_mul_i32 s15, s21, s8
	s_mul_hi_u32 s21, s20, s8
	v_lshlrev_b32_e32 v8, 2, v7
	s_add_i32 s21, s21, s15
	s_mul_i32 s20, s20, s8
	s_ashr_i32 s7, s6, 31
	s_ashr_i32 s17, s16, 31
	v_lshl_or_b32 v9, v6, 7, v8
	v_lshlrev_b32_e32 v8, 2, v5
	s_lshl_b64 s[20:21], s[20:21], 2
	v_lshl_or_b32 v4, v4, 5, v8
	v_lshlrev_b64 v[2:3], 2, v[2:3]
	s_add_u32 s2, s2, s20
	v_add_u32_e32 v10, 0x400, v4
	v_mov_b32_e32 v4, 0x400
	s_addc_u32 s3, s3, s21
	v_lshl_add_u32 v13, v1, 5, v4
	v_mov_b32_e32 v4, s3
	v_add_co_u32_e32 v2, vcc, s2, v2
	v_addc_co_u32_e32 v3, vcc, v4, v3, vcc
	v_add_u32_e32 v4, s9, v7
	v_ashrrev_i32_e32 v5, 31, v4
	s_lshl_b64 s[2:3], s[16:17], 5
	v_mad_i64_i32 v[4:5], s[16:17], s6, v6, v[4:5]
	s_mul_i32 s1, s1, s8
	s_mul_hi_u32 s15, s0, s8
	s_add_i32 s1, s15, s1
	s_mul_i32 s0, s0, s8
	s_lshl_b64 s[0:1], s[0:1], 2
	v_lshlrev_b64 v[4:5], 2, v[4:5]
	s_add_u32 s0, s18, s0
	s_addc_u32 s1, s19, s1
	v_mov_b32_e32 v6, s1
	v_add_co_u32_e32 v4, vcc, s0, v4
	s_lshl_b64 s[6:7], s[6:7], 5
	v_lshlrev_b32_e32 v12, 2, v0
	v_addc_co_u32_e32 v5, vcc, v6, v5, vcc
	v_mov_b32_e32 v6, 0
	v_mov_b32_e32 v14, s3
	;; [unrolled: 1-line block ×6, first 2 shown]
.LBB31_2:                               ; =>This Inner Loop Header: Depth=1
	global_load_dword v16, v[4:5], off
	global_load_dword v17, v[2:3], off
	s_add_i32 s11, s11, 8
	v_add_co_u32_e32 v2, vcc, s2, v2
	v_add_co_u32_e64 v4, s[0:1], s6, v4
	v_addc_co_u32_e32 v3, vcc, v3, v14, vcc
	v_addc_co_u32_e64 v5, vcc, v5, v15, s[0:1]
	s_cmp_ge_i32 s11, s13
	s_waitcnt vmcnt(1)
	ds_write_b32 v9, v16
	s_waitcnt vmcnt(0)
	ds_write_b32 v10, v17
	s_waitcnt lgkmcnt(0)
	s_barrier
	ds_read2_b32 v[20:21], v12 offset1:16
	ds_read_b128 v[16:19], v13
	ds_read2_b32 v[22:23], v12 offset0:32 offset1:48
	ds_read2_b32 v[24:25], v12 offset0:64 offset1:80
	;; [unrolled: 1-line block ×3, first 2 shown]
	s_waitcnt lgkmcnt(3)
	v_fmac_f32_e32 v11, v20, v16
	v_fmac_f32_e32 v8, v21, v16
	s_waitcnt lgkmcnt(2)
	v_fmac_f32_e32 v11, v22, v17
	v_fmac_f32_e32 v8, v23, v17
	;; [unrolled: 3-line block ×4, first 2 shown]
	ds_read_b128 v[16:19], v13 offset:512
	s_waitcnt lgkmcnt(0)
	v_fmac_f32_e32 v7, v20, v16
	v_fmac_f32_e32 v6, v21, v16
	v_fmac_f32_e32 v7, v22, v17
	v_fmac_f32_e32 v6, v23, v17
	v_fmac_f32_e32 v7, v24, v18
	v_fmac_f32_e32 v6, v25, v18
	v_fmac_f32_e32 v7, v26, v19
	v_fmac_f32_e32 v6, v27, v19
	ds_read2_b32 v[20:21], v12 offset0:128 offset1:144
	ds_read_b128 v[16:19], v13 offset:16
	ds_read2_b32 v[22:23], v12 offset0:160 offset1:176
	ds_read2_b32 v[24:25], v12 offset0:192 offset1:208
	;; [unrolled: 1-line block ×3, first 2 shown]
	s_waitcnt lgkmcnt(3)
	v_fmac_f32_e32 v11, v20, v16
	v_fmac_f32_e32 v8, v21, v16
	s_waitcnt lgkmcnt(2)
	v_fmac_f32_e32 v11, v22, v17
	v_fmac_f32_e32 v8, v23, v17
	;; [unrolled: 3-line block ×4, first 2 shown]
	ds_read_b128 v[16:19], v13 offset:528
	s_waitcnt lgkmcnt(0)
	s_barrier
	v_fmac_f32_e32 v7, v20, v16
	v_fmac_f32_e32 v6, v21, v16
	;; [unrolled: 1-line block ×8, first 2 shown]
	s_cbranch_scc0 .LBB31_2
	s_branch .LBB31_4
.LBB31_3:
	v_mov_b32_e32 v11, 0
	v_mov_b32_e32 v8, 0
	;; [unrolled: 1-line block ×4, first 2 shown]
.LBB31_4:
	s_load_dwordx2 s[0:1], s[4:5], 0x58
	s_load_dwordx2 s[2:3], s[4:5], 0x48
	s_load_dword s6, s[4:5], 0x50
	v_add_u32_e32 v4, s10, v1
	v_add_u32_e32 v0, s9, v0
	s_waitcnt lgkmcnt(0)
	s_mul_i32 s1, s1, s8
	s_mul_hi_u32 s4, s0, s8
	v_mad_i64_i32 v[1:2], s[10:11], v4, s6, 0
	s_mul_i32 s0, s0, s8
	s_add_i32 s1, s4, s1
	s_lshl_b64 s[0:1], s[0:1], 2
	s_add_u32 s4, s2, s0
	v_lshlrev_b64 v[1:2], 2, v[1:2]
	s_addc_u32 s5, s3, s1
	v_mov_b32_e32 v3, s5
	v_add_co_u32_e64 v5, s[0:1], s4, v1
	v_addc_co_u32_e64 v9, s[0:1], v3, v2, s[0:1]
	v_cmp_gt_i32_e32 vcc, s12, v4
	v_cmp_le_i32_e64 s[0:1], v0, v4
	s_and_b64 s[0:1], vcc, s[0:1]
	s_and_saveexec_b64 s[2:3], s[0:1]
	s_cbranch_execz .LBB31_6
; %bb.5:
	v_ashrrev_i32_e32 v1, 31, v0
	v_lshlrev_b64 v[1:2], 2, v[0:1]
	v_mul_f32_e32 v3, s14, v11
	v_add_co_u32_e64 v1, s[0:1], v5, v1
	v_addc_co_u32_e64 v2, s[0:1], v9, v2, s[0:1]
	global_store_dword v[1:2], v3, off
.LBB31_6:
	s_or_b64 exec, exec, s[2:3]
	v_add_u32_e32 v2, 16, v0
	v_cmp_le_i32_e64 s[0:1], v2, v4
	s_and_b64 s[2:3], vcc, s[0:1]
	s_and_saveexec_b64 s[0:1], s[2:3]
	s_cbranch_execz .LBB31_8
; %bb.7:
	v_ashrrev_i32_e32 v3, 31, v2
	v_lshlrev_b64 v[10:11], 2, v[2:3]
	v_mul_f32_e32 v1, s14, v8
	v_add_co_u32_e32 v8, vcc, v5, v10
	v_addc_co_u32_e32 v9, vcc, v9, v11, vcc
	global_store_dword v[8:9], v1, off
.LBB31_8:
	s_or_b64 exec, exec, s[0:1]
	v_add_u32_e32 v3, 16, v4
	v_mad_i64_i32 v[4:5], s[0:1], v3, s6, 0
	v_mov_b32_e32 v1, s5
	v_cmp_gt_i32_e32 vcc, s12, v3
	v_lshlrev_b64 v[4:5], 2, v[4:5]
	v_add_co_u32_e64 v4, s[0:1], s4, v4
	v_addc_co_u32_e64 v5, s[0:1], v1, v5, s[0:1]
	v_cmp_le_i32_e64 s[0:1], v0, v3
	s_and_b64 s[0:1], vcc, s[0:1]
	s_and_saveexec_b64 s[2:3], s[0:1]
	s_cbranch_execz .LBB31_10
; %bb.9:
	v_ashrrev_i32_e32 v1, 31, v0
	v_lshlrev_b64 v[0:1], 2, v[0:1]
	v_mul_f32_e32 v7, s14, v7
	v_add_co_u32_e64 v0, s[0:1], v4, v0
	v_addc_co_u32_e64 v1, s[0:1], v5, v1, s[0:1]
	global_store_dword v[0:1], v7, off
.LBB31_10:
	s_or_b64 exec, exec, s[2:3]
	v_cmp_le_i32_e64 s[0:1], v2, v3
	s_and_b64 s[0:1], vcc, s[0:1]
	s_and_saveexec_b64 s[2:3], s[0:1]
	s_cbranch_execz .LBB31_12
; %bb.11:
	v_ashrrev_i32_e32 v3, 31, v2
	v_lshlrev_b64 v[0:1], 2, v[2:3]
	v_mul_f32_e32 v6, s14, v6
	v_add_co_u32_e32 v0, vcc, v4, v0
	v_addc_co_u32_e32 v1, vcc, v5, v1, vcc
	global_store_dword v[0:1], v6, off
.LBB31_12:
	s_endpgm
	.section	.rodata,"a",@progbits
	.p2align	6, 0x0
	.amdhsa_kernel _ZL37rocblas_syrkx_herkx_restricted_kernelIifLi16ELi32ELi8ELb1ELb0ELc78ELc85EKffEviT_T0_PT8_S1_lS4_S1_lS2_PT9_S1_li
		.amdhsa_group_segment_fixed_size 2048
		.amdhsa_private_segment_fixed_size 0
		.amdhsa_kernarg_size 100
		.amdhsa_user_sgpr_count 6
		.amdhsa_user_sgpr_private_segment_buffer 1
		.amdhsa_user_sgpr_dispatch_ptr 0
		.amdhsa_user_sgpr_queue_ptr 0
		.amdhsa_user_sgpr_kernarg_segment_ptr 1
		.amdhsa_user_sgpr_dispatch_id 0
		.amdhsa_user_sgpr_flat_scratch_init 0
		.amdhsa_user_sgpr_private_segment_size 0
		.amdhsa_uses_dynamic_stack 0
		.amdhsa_system_sgpr_private_segment_wavefront_offset 0
		.amdhsa_system_sgpr_workgroup_id_x 1
		.amdhsa_system_sgpr_workgroup_id_y 1
		.amdhsa_system_sgpr_workgroup_id_z 1
		.amdhsa_system_sgpr_workgroup_info 0
		.amdhsa_system_vgpr_workitem_id 1
		.amdhsa_next_free_vgpr 28
		.amdhsa_next_free_sgpr 24
		.amdhsa_reserve_vcc 1
		.amdhsa_reserve_flat_scratch 0
		.amdhsa_float_round_mode_32 0
		.amdhsa_float_round_mode_16_64 0
		.amdhsa_float_denorm_mode_32 3
		.amdhsa_float_denorm_mode_16_64 3
		.amdhsa_dx10_clamp 1
		.amdhsa_ieee_mode 1
		.amdhsa_fp16_overflow 0
		.amdhsa_exception_fp_ieee_invalid_op 0
		.amdhsa_exception_fp_denorm_src 0
		.amdhsa_exception_fp_ieee_div_zero 0
		.amdhsa_exception_fp_ieee_overflow 0
		.amdhsa_exception_fp_ieee_underflow 0
		.amdhsa_exception_fp_ieee_inexact 0
		.amdhsa_exception_int_div_zero 0
	.end_amdhsa_kernel
	.section	.text._ZL37rocblas_syrkx_herkx_restricted_kernelIifLi16ELi32ELi8ELb1ELb0ELc78ELc85EKffEviT_T0_PT8_S1_lS4_S1_lS2_PT9_S1_li,"axG",@progbits,_ZL37rocblas_syrkx_herkx_restricted_kernelIifLi16ELi32ELi8ELb1ELb0ELc78ELc85EKffEviT_T0_PT8_S1_lS4_S1_lS2_PT9_S1_li,comdat
.Lfunc_end31:
	.size	_ZL37rocblas_syrkx_herkx_restricted_kernelIifLi16ELi32ELi8ELb1ELb0ELc78ELc85EKffEviT_T0_PT8_S1_lS4_S1_lS2_PT9_S1_li, .Lfunc_end31-_ZL37rocblas_syrkx_herkx_restricted_kernelIifLi16ELi32ELi8ELb1ELb0ELc78ELc85EKffEviT_T0_PT8_S1_lS4_S1_lS2_PT9_S1_li
                                        ; -- End function
	.set _ZL37rocblas_syrkx_herkx_restricted_kernelIifLi16ELi32ELi8ELb1ELb0ELc78ELc85EKffEviT_T0_PT8_S1_lS4_S1_lS2_PT9_S1_li.num_vgpr, 28
	.set _ZL37rocblas_syrkx_herkx_restricted_kernelIifLi16ELi32ELi8ELb1ELb0ELc78ELc85EKffEviT_T0_PT8_S1_lS4_S1_lS2_PT9_S1_li.num_agpr, 0
	.set _ZL37rocblas_syrkx_herkx_restricted_kernelIifLi16ELi32ELi8ELb1ELb0ELc78ELc85EKffEviT_T0_PT8_S1_lS4_S1_lS2_PT9_S1_li.numbered_sgpr, 24
	.set _ZL37rocblas_syrkx_herkx_restricted_kernelIifLi16ELi32ELi8ELb1ELb0ELc78ELc85EKffEviT_T0_PT8_S1_lS4_S1_lS2_PT9_S1_li.num_named_barrier, 0
	.set _ZL37rocblas_syrkx_herkx_restricted_kernelIifLi16ELi32ELi8ELb1ELb0ELc78ELc85EKffEviT_T0_PT8_S1_lS4_S1_lS2_PT9_S1_li.private_seg_size, 0
	.set _ZL37rocblas_syrkx_herkx_restricted_kernelIifLi16ELi32ELi8ELb1ELb0ELc78ELc85EKffEviT_T0_PT8_S1_lS4_S1_lS2_PT9_S1_li.uses_vcc, 1
	.set _ZL37rocblas_syrkx_herkx_restricted_kernelIifLi16ELi32ELi8ELb1ELb0ELc78ELc85EKffEviT_T0_PT8_S1_lS4_S1_lS2_PT9_S1_li.uses_flat_scratch, 0
	.set _ZL37rocblas_syrkx_herkx_restricted_kernelIifLi16ELi32ELi8ELb1ELb0ELc78ELc85EKffEviT_T0_PT8_S1_lS4_S1_lS2_PT9_S1_li.has_dyn_sized_stack, 0
	.set _ZL37rocblas_syrkx_herkx_restricted_kernelIifLi16ELi32ELi8ELb1ELb0ELc78ELc85EKffEviT_T0_PT8_S1_lS4_S1_lS2_PT9_S1_li.has_recursion, 0
	.set _ZL37rocblas_syrkx_herkx_restricted_kernelIifLi16ELi32ELi8ELb1ELb0ELc78ELc85EKffEviT_T0_PT8_S1_lS4_S1_lS2_PT9_S1_li.has_indirect_call, 0
	.section	.AMDGPU.csdata,"",@progbits
; Kernel info:
; codeLenInByte = 1084
; TotalNumSgprs: 28
; NumVgprs: 28
; ScratchSize: 0
; MemoryBound: 0
; FloatMode: 240
; IeeeMode: 1
; LDSByteSize: 2048 bytes/workgroup (compile time only)
; SGPRBlocks: 3
; VGPRBlocks: 6
; NumSGPRsForWavesPerEU: 28
; NumVGPRsForWavesPerEU: 28
; Occupancy: 9
; WaveLimiterHint : 0
; COMPUTE_PGM_RSRC2:SCRATCH_EN: 0
; COMPUTE_PGM_RSRC2:USER_SGPR: 6
; COMPUTE_PGM_RSRC2:TRAP_HANDLER: 0
; COMPUTE_PGM_RSRC2:TGID_X_EN: 1
; COMPUTE_PGM_RSRC2:TGID_Y_EN: 1
; COMPUTE_PGM_RSRC2:TGID_Z_EN: 1
; COMPUTE_PGM_RSRC2:TIDIG_COMP_CNT: 1
	.section	.text._ZL37rocblas_syrkx_herkx_restricted_kernelIifLi16ELi32ELi8ELb0ELb0ELc84ELc76EKffEviT_T0_PT8_S1_lS4_S1_lS2_PT9_S1_li,"axG",@progbits,_ZL37rocblas_syrkx_herkx_restricted_kernelIifLi16ELi32ELi8ELb0ELb0ELc84ELc76EKffEviT_T0_PT8_S1_lS4_S1_lS2_PT9_S1_li,comdat
	.globl	_ZL37rocblas_syrkx_herkx_restricted_kernelIifLi16ELi32ELi8ELb0ELb0ELc84ELc76EKffEviT_T0_PT8_S1_lS4_S1_lS2_PT9_S1_li ; -- Begin function _ZL37rocblas_syrkx_herkx_restricted_kernelIifLi16ELi32ELi8ELb0ELb0ELc84ELc76EKffEviT_T0_PT8_S1_lS4_S1_lS2_PT9_S1_li
	.p2align	8
	.type	_ZL37rocblas_syrkx_herkx_restricted_kernelIifLi16ELi32ELi8ELb0ELb0ELc84ELc76EKffEviT_T0_PT8_S1_lS4_S1_lS2_PT9_S1_li,@function
_ZL37rocblas_syrkx_herkx_restricted_kernelIifLi16ELi32ELi8ELb0ELb0ELc84ELc76EKffEviT_T0_PT8_S1_lS4_S1_lS2_PT9_S1_li: ; @_ZL37rocblas_syrkx_herkx_restricted_kernelIifLi16ELi32ELi8ELb0ELb0ELc84ELc76EKffEviT_T0_PT8_S1_lS4_S1_lS2_PT9_S1_li
; %bb.0:
	s_load_dwordx4 s[12:15], s[4:5], 0x0
	s_lshl_b32 s6, s6, 5
	s_lshl_b32 s7, s7, 5
	s_mov_b32 s9, 0
	s_waitcnt lgkmcnt(0)
	s_cmp_lt_i32 s13, 1
	s_cbranch_scc1 .LBB32_3
; %bb.1:
	v_lshl_add_u32 v3, v1, 4, v0
	v_and_b32_e32 v8, 31, v3
	s_load_dwordx2 s[10:11], s[4:5], 0x10
	s_load_dword s15, s[4:5], 0x18
	s_load_dwordx4 s[0:3], s[4:5], 0x20
	s_load_dword s18, s[4:5], 0x30
	s_load_dwordx2 s[16:17], s[4:5], 0x38
	v_lshrrev_b32_e32 v6, 5, v3
	v_and_b32_e32 v2, 7, v0
	v_lshlrev_b32_e32 v9, 2, v8
	v_lshrrev_b32_e32 v4, 3, v3
	v_lshl_or_b32 v10, v6, 7, v9
	v_lshlrev_b32_e32 v9, 2, v2
	v_add_u32_e32 v5, s7, v4
	v_lshl_or_b32 v4, v4, 5, v9
	v_mov_b32_e32 v3, 0
	v_add_u32_e32 v11, 0x400, v4
	v_mov_b32_e32 v4, 0x400
	v_lshl_add_u32 v13, v1, 5, v4
	s_waitcnt lgkmcnt(0)
	v_mad_i64_i32 v[4:5], s[18:19], s18, v5, v[2:3]
	s_mul_i32 s17, s17, s8
	s_mul_hi_u32 s20, s16, s8
	s_add_i32 s17, s20, s17
	s_mul_i32 s16, s16, s8
	s_lshl_b64 s[16:17], s[16:17], 2
	v_lshlrev_b64 v[4:5], 2, v[4:5]
	s_add_u32 s2, s2, s16
	s_addc_u32 s3, s3, s17
	v_mov_b32_e32 v2, s3
	v_add_co_u32_e32 v4, vcc, s2, v4
	v_mov_b32_e32 v7, v3
	v_addc_co_u32_e32 v5, vcc, v2, v5, vcc
	v_add_u32_e32 v2, s6, v8
	v_mad_i64_i32 v[6:7], s[2:3], s15, v2, v[6:7]
	s_mul_i32 s1, s1, s8
	s_mul_hi_u32 s16, s0, s8
	s_add_i32 s1, s16, s1
	s_mul_i32 s0, s0, s8
	s_lshl_b64 s[0:1], s[0:1], 2
	v_lshlrev_b64 v[6:7], 2, v[6:7]
	s_add_u32 s0, s10, s0
	s_addc_u32 s1, s11, s1
	v_mov_b32_e32 v2, s1
	v_add_co_u32_e32 v6, vcc, s0, v6
	v_lshlrev_b32_e32 v12, 2, v0
	v_addc_co_u32_e32 v7, vcc, v2, v7, vcc
	v_mov_b32_e32 v2, v3
	v_mov_b32_e32 v8, v3
	;; [unrolled: 1-line block ×3, first 2 shown]
.LBB32_2:                               ; =>This Inner Loop Header: Depth=1
	global_load_dword v14, v[6:7], off
	s_add_i32 s9, s9, 8
	v_add_co_u32_e64 v6, s[0:1], 32, v6
	s_cmp_ge_i32 s9, s13
	s_waitcnt vmcnt(0)
	ds_write_b32 v10, v14
	global_load_dword v14, v[4:5], off
	v_add_co_u32_e32 v4, vcc, 32, v4
	v_addc_co_u32_e32 v5, vcc, 0, v5, vcc
	v_addc_co_u32_e64 v7, vcc, 0, v7, s[0:1]
	s_waitcnt vmcnt(0)
	ds_write_b32 v11, v14
	s_waitcnt lgkmcnt(0)
	s_barrier
	ds_read2_b32 v[18:19], v12 offset1:16
	ds_read_b128 v[14:17], v13
	ds_read2_b32 v[20:21], v12 offset0:32 offset1:48
	ds_read2_b32 v[22:23], v12 offset0:64 offset1:80
	;; [unrolled: 1-line block ×3, first 2 shown]
	s_waitcnt lgkmcnt(3)
	v_fmac_f32_e32 v9, v18, v14
	v_fmac_f32_e32 v8, v19, v14
	s_waitcnt lgkmcnt(2)
	v_fmac_f32_e32 v9, v20, v15
	v_fmac_f32_e32 v8, v21, v15
	;; [unrolled: 3-line block ×4, first 2 shown]
	ds_read_b128 v[14:17], v13 offset:512
	s_waitcnt lgkmcnt(0)
	v_fmac_f32_e32 v2, v18, v14
	v_fmac_f32_e32 v3, v19, v14
	v_fmac_f32_e32 v2, v20, v15
	v_fmac_f32_e32 v3, v21, v15
	v_fmac_f32_e32 v2, v22, v16
	v_fmac_f32_e32 v3, v23, v16
	v_fmac_f32_e32 v2, v24, v17
	v_fmac_f32_e32 v3, v25, v17
	ds_read2_b32 v[18:19], v12 offset0:128 offset1:144
	ds_read_b128 v[14:17], v13 offset:16
	ds_read2_b32 v[20:21], v12 offset0:160 offset1:176
	ds_read2_b32 v[22:23], v12 offset0:192 offset1:208
	;; [unrolled: 1-line block ×3, first 2 shown]
	s_waitcnt lgkmcnt(3)
	v_fmac_f32_e32 v9, v18, v14
	v_fmac_f32_e32 v8, v19, v14
	s_waitcnt lgkmcnt(2)
	v_fmac_f32_e32 v9, v20, v15
	v_fmac_f32_e32 v8, v21, v15
	;; [unrolled: 3-line block ×4, first 2 shown]
	ds_read_b128 v[14:17], v13 offset:528
	s_waitcnt lgkmcnt(0)
	s_barrier
	v_fmac_f32_e32 v2, v18, v14
	v_fmac_f32_e32 v3, v19, v14
	;; [unrolled: 1-line block ×8, first 2 shown]
	s_cbranch_scc0 .LBB32_2
	s_branch .LBB32_4
.LBB32_3:
	v_mov_b32_e32 v9, 0
	v_mov_b32_e32 v8, 0
	;; [unrolled: 1-line block ×4, first 2 shown]
.LBB32_4:
	s_load_dwordx2 s[0:1], s[4:5], 0x58
	s_load_dword s9, s[4:5], 0x40
	s_load_dwordx2 s[2:3], s[4:5], 0x48
	s_load_dword s10, s[4:5], 0x50
	v_add_u32_e32 v6, s7, v1
	s_waitcnt lgkmcnt(0)
	s_mul_i32 s1, s1, s8
	s_mul_hi_u32 s4, s0, s8
	s_add_i32 s1, s4, s1
	v_mad_i64_i32 v[4:5], s[4:5], v6, s10, 0
	s_mul_i32 s0, s0, s8
	s_lshl_b64 s[0:1], s[0:1], 2
	s_add_u32 s7, s2, s0
	v_lshlrev_b64 v[4:5], 2, v[4:5]
	s_addc_u32 s8, s3, s1
	v_mov_b32_e32 v1, s8
	v_add_co_u32_e32 v7, vcc, s7, v4
	v_add_u32_e32 v0, s6, v0
	v_addc_co_u32_e32 v10, vcc, v1, v5, vcc
	v_cmp_le_i32_e64 s[0:1], v6, v0
	v_cmp_gt_i32_e32 vcc, s12, v0
	s_and_b64 s[0:1], s[0:1], vcc
	s_and_saveexec_b64 s[2:3], s[0:1]
	s_cbranch_execz .LBB32_6
; %bb.5:
	v_ashrrev_i32_e32 v1, 31, v0
	v_lshlrev_b64 v[4:5], 2, v[0:1]
	v_add_co_u32_e64 v4, s[0:1], v7, v4
	v_addc_co_u32_e64 v5, s[0:1], v10, v5, s[0:1]
	global_load_dword v1, v[4:5], off
	s_waitcnt vmcnt(0)
	v_mul_f32_e32 v1, s9, v1
	v_fmac_f32_e32 v1, s14, v9
	global_store_dword v[4:5], v1, off
.LBB32_6:
	s_or_b64 exec, exec, s[2:3]
	v_add_u32_e32 v4, 16, v0
	v_cmp_le_i32_e64 s[2:3], v6, v4
	v_cmp_gt_i32_e64 s[0:1], s12, v4
	s_and_b64 s[2:3], s[2:3], s[0:1]
	s_and_saveexec_b64 s[4:5], s[2:3]
	s_cbranch_execz .LBB32_8
; %bb.7:
	v_ashrrev_i32_e32 v5, 31, v4
	v_lshlrev_b64 v[11:12], 2, v[4:5]
	v_add_co_u32_e64 v9, s[2:3], v7, v11
	v_addc_co_u32_e64 v10, s[2:3], v10, v12, s[2:3]
	global_load_dword v1, v[9:10], off
	s_waitcnt vmcnt(0)
	v_mul_f32_e32 v1, s9, v1
	v_fmac_f32_e32 v1, s14, v8
	global_store_dword v[9:10], v1, off
.LBB32_8:
	s_or_b64 exec, exec, s[4:5]
	v_add_u32_e32 v5, 16, v6
	v_mad_i64_i32 v[6:7], s[2:3], v5, s10, 0
	v_mov_b32_e32 v1, s8
	v_lshlrev_b64 v[6:7], 2, v[6:7]
	v_add_co_u32_e64 v6, s[2:3], s7, v6
	v_addc_co_u32_e64 v7, s[2:3], v1, v7, s[2:3]
	v_cmp_le_i32_e64 s[2:3], v5, v0
	s_and_b64 s[4:5], s[2:3], vcc
	s_and_saveexec_b64 s[2:3], s[4:5]
	s_cbranch_execz .LBB32_10
; %bb.9:
	v_ashrrev_i32_e32 v1, 31, v0
	v_lshlrev_b64 v[0:1], 2, v[0:1]
	v_add_co_u32_e32 v0, vcc, v6, v0
	v_addc_co_u32_e32 v1, vcc, v7, v1, vcc
	global_load_dword v8, v[0:1], off
	s_waitcnt vmcnt(0)
	v_mul_f32_e32 v8, s9, v8
	v_fmac_f32_e32 v8, s14, v2
	global_store_dword v[0:1], v8, off
.LBB32_10:
	s_or_b64 exec, exec, s[2:3]
	v_cmp_le_i32_e32 vcc, v5, v4
	s_and_b64 s[0:1], vcc, s[0:1]
	s_and_saveexec_b64 s[2:3], s[0:1]
	s_cbranch_execz .LBB32_12
; %bb.11:
	v_ashrrev_i32_e32 v5, 31, v4
	v_lshlrev_b64 v[0:1], 2, v[4:5]
	v_add_co_u32_e32 v0, vcc, v6, v0
	v_addc_co_u32_e32 v1, vcc, v7, v1, vcc
	global_load_dword v2, v[0:1], off
	s_waitcnt vmcnt(0)
	v_mul_f32_e32 v2, s9, v2
	v_fmac_f32_e32 v2, s14, v3
	global_store_dword v[0:1], v2, off
.LBB32_12:
	s_endpgm
	.section	.rodata,"a",@progbits
	.p2align	6, 0x0
	.amdhsa_kernel _ZL37rocblas_syrkx_herkx_restricted_kernelIifLi16ELi32ELi8ELb0ELb0ELc84ELc76EKffEviT_T0_PT8_S1_lS4_S1_lS2_PT9_S1_li
		.amdhsa_group_segment_fixed_size 2048
		.amdhsa_private_segment_fixed_size 0
		.amdhsa_kernarg_size 100
		.amdhsa_user_sgpr_count 6
		.amdhsa_user_sgpr_private_segment_buffer 1
		.amdhsa_user_sgpr_dispatch_ptr 0
		.amdhsa_user_sgpr_queue_ptr 0
		.amdhsa_user_sgpr_kernarg_segment_ptr 1
		.amdhsa_user_sgpr_dispatch_id 0
		.amdhsa_user_sgpr_flat_scratch_init 0
		.amdhsa_user_sgpr_private_segment_size 0
		.amdhsa_uses_dynamic_stack 0
		.amdhsa_system_sgpr_private_segment_wavefront_offset 0
		.amdhsa_system_sgpr_workgroup_id_x 1
		.amdhsa_system_sgpr_workgroup_id_y 1
		.amdhsa_system_sgpr_workgroup_id_z 1
		.amdhsa_system_sgpr_workgroup_info 0
		.amdhsa_system_vgpr_workitem_id 1
		.amdhsa_next_free_vgpr 26
		.amdhsa_next_free_sgpr 21
		.amdhsa_reserve_vcc 1
		.amdhsa_reserve_flat_scratch 0
		.amdhsa_float_round_mode_32 0
		.amdhsa_float_round_mode_16_64 0
		.amdhsa_float_denorm_mode_32 3
		.amdhsa_float_denorm_mode_16_64 3
		.amdhsa_dx10_clamp 1
		.amdhsa_ieee_mode 1
		.amdhsa_fp16_overflow 0
		.amdhsa_exception_fp_ieee_invalid_op 0
		.amdhsa_exception_fp_denorm_src 0
		.amdhsa_exception_fp_ieee_div_zero 0
		.amdhsa_exception_fp_ieee_overflow 0
		.amdhsa_exception_fp_ieee_underflow 0
		.amdhsa_exception_fp_ieee_inexact 0
		.amdhsa_exception_int_div_zero 0
	.end_amdhsa_kernel
	.section	.text._ZL37rocblas_syrkx_herkx_restricted_kernelIifLi16ELi32ELi8ELb0ELb0ELc84ELc76EKffEviT_T0_PT8_S1_lS4_S1_lS2_PT9_S1_li,"axG",@progbits,_ZL37rocblas_syrkx_herkx_restricted_kernelIifLi16ELi32ELi8ELb0ELb0ELc84ELc76EKffEviT_T0_PT8_S1_lS4_S1_lS2_PT9_S1_li,comdat
.Lfunc_end32:
	.size	_ZL37rocblas_syrkx_herkx_restricted_kernelIifLi16ELi32ELi8ELb0ELb0ELc84ELc76EKffEviT_T0_PT8_S1_lS4_S1_lS2_PT9_S1_li, .Lfunc_end32-_ZL37rocblas_syrkx_herkx_restricted_kernelIifLi16ELi32ELi8ELb0ELb0ELc84ELc76EKffEviT_T0_PT8_S1_lS4_S1_lS2_PT9_S1_li
                                        ; -- End function
	.set _ZL37rocblas_syrkx_herkx_restricted_kernelIifLi16ELi32ELi8ELb0ELb0ELc84ELc76EKffEviT_T0_PT8_S1_lS4_S1_lS2_PT9_S1_li.num_vgpr, 26
	.set _ZL37rocblas_syrkx_herkx_restricted_kernelIifLi16ELi32ELi8ELb0ELb0ELc84ELc76EKffEviT_T0_PT8_S1_lS4_S1_lS2_PT9_S1_li.num_agpr, 0
	.set _ZL37rocblas_syrkx_herkx_restricted_kernelIifLi16ELi32ELi8ELb0ELb0ELc84ELc76EKffEviT_T0_PT8_S1_lS4_S1_lS2_PT9_S1_li.numbered_sgpr, 21
	.set _ZL37rocblas_syrkx_herkx_restricted_kernelIifLi16ELi32ELi8ELb0ELb0ELc84ELc76EKffEviT_T0_PT8_S1_lS4_S1_lS2_PT9_S1_li.num_named_barrier, 0
	.set _ZL37rocblas_syrkx_herkx_restricted_kernelIifLi16ELi32ELi8ELb0ELb0ELc84ELc76EKffEviT_T0_PT8_S1_lS4_S1_lS2_PT9_S1_li.private_seg_size, 0
	.set _ZL37rocblas_syrkx_herkx_restricted_kernelIifLi16ELi32ELi8ELb0ELb0ELc84ELc76EKffEviT_T0_PT8_S1_lS4_S1_lS2_PT9_S1_li.uses_vcc, 1
	.set _ZL37rocblas_syrkx_herkx_restricted_kernelIifLi16ELi32ELi8ELb0ELb0ELc84ELc76EKffEviT_T0_PT8_S1_lS4_S1_lS2_PT9_S1_li.uses_flat_scratch, 0
	.set _ZL37rocblas_syrkx_herkx_restricted_kernelIifLi16ELi32ELi8ELb0ELb0ELc84ELc76EKffEviT_T0_PT8_S1_lS4_S1_lS2_PT9_S1_li.has_dyn_sized_stack, 0
	.set _ZL37rocblas_syrkx_herkx_restricted_kernelIifLi16ELi32ELi8ELb0ELb0ELc84ELc76EKffEviT_T0_PT8_S1_lS4_S1_lS2_PT9_S1_li.has_recursion, 0
	.set _ZL37rocblas_syrkx_herkx_restricted_kernelIifLi16ELi32ELi8ELb0ELb0ELc84ELc76EKffEviT_T0_PT8_S1_lS4_S1_lS2_PT9_S1_li.has_indirect_call, 0
	.section	.AMDGPU.csdata,"",@progbits
; Kernel info:
; codeLenInByte = 1120
; TotalNumSgprs: 25
; NumVgprs: 26
; ScratchSize: 0
; MemoryBound: 0
; FloatMode: 240
; IeeeMode: 1
; LDSByteSize: 2048 bytes/workgroup (compile time only)
; SGPRBlocks: 3
; VGPRBlocks: 6
; NumSGPRsForWavesPerEU: 25
; NumVGPRsForWavesPerEU: 26
; Occupancy: 9
; WaveLimiterHint : 0
; COMPUTE_PGM_RSRC2:SCRATCH_EN: 0
; COMPUTE_PGM_RSRC2:USER_SGPR: 6
; COMPUTE_PGM_RSRC2:TRAP_HANDLER: 0
; COMPUTE_PGM_RSRC2:TGID_X_EN: 1
; COMPUTE_PGM_RSRC2:TGID_Y_EN: 1
; COMPUTE_PGM_RSRC2:TGID_Z_EN: 1
; COMPUTE_PGM_RSRC2:TIDIG_COMP_CNT: 1
	.section	.text._ZL37rocblas_syrkx_herkx_restricted_kernelIifLi16ELi32ELi8ELb0ELb0ELc67ELc76EKffEviT_T0_PT8_S1_lS4_S1_lS2_PT9_S1_li,"axG",@progbits,_ZL37rocblas_syrkx_herkx_restricted_kernelIifLi16ELi32ELi8ELb0ELb0ELc67ELc76EKffEviT_T0_PT8_S1_lS4_S1_lS2_PT9_S1_li,comdat
	.globl	_ZL37rocblas_syrkx_herkx_restricted_kernelIifLi16ELi32ELi8ELb0ELb0ELc67ELc76EKffEviT_T0_PT8_S1_lS4_S1_lS2_PT9_S1_li ; -- Begin function _ZL37rocblas_syrkx_herkx_restricted_kernelIifLi16ELi32ELi8ELb0ELb0ELc67ELc76EKffEviT_T0_PT8_S1_lS4_S1_lS2_PT9_S1_li
	.p2align	8
	.type	_ZL37rocblas_syrkx_herkx_restricted_kernelIifLi16ELi32ELi8ELb0ELb0ELc67ELc76EKffEviT_T0_PT8_S1_lS4_S1_lS2_PT9_S1_li,@function
_ZL37rocblas_syrkx_herkx_restricted_kernelIifLi16ELi32ELi8ELb0ELb0ELc67ELc76EKffEviT_T0_PT8_S1_lS4_S1_lS2_PT9_S1_li: ; @_ZL37rocblas_syrkx_herkx_restricted_kernelIifLi16ELi32ELi8ELb0ELb0ELc67ELc76EKffEviT_T0_PT8_S1_lS4_S1_lS2_PT9_S1_li
; %bb.0:
	s_load_dwordx4 s[12:15], s[4:5], 0x0
	s_lshl_b32 s6, s6, 5
	s_lshl_b32 s7, s7, 5
	s_mov_b32 s9, 0
	s_waitcnt lgkmcnt(0)
	s_cmp_lt_i32 s13, 1
	s_cbranch_scc1 .LBB33_3
; %bb.1:
	v_lshl_add_u32 v3, v1, 4, v0
	v_and_b32_e32 v8, 31, v3
	s_load_dwordx2 s[10:11], s[4:5], 0x10
	s_load_dword s15, s[4:5], 0x18
	s_load_dwordx4 s[0:3], s[4:5], 0x20
	s_load_dword s18, s[4:5], 0x30
	s_load_dwordx2 s[16:17], s[4:5], 0x38
	v_lshrrev_b32_e32 v6, 5, v3
	v_and_b32_e32 v2, 7, v0
	v_lshlrev_b32_e32 v9, 2, v8
	v_lshrrev_b32_e32 v4, 3, v3
	v_lshl_or_b32 v10, v6, 7, v9
	v_lshlrev_b32_e32 v9, 2, v2
	v_add_u32_e32 v5, s7, v4
	v_lshl_or_b32 v4, v4, 5, v9
	v_mov_b32_e32 v3, 0
	v_add_u32_e32 v11, 0x400, v4
	v_mov_b32_e32 v4, 0x400
	v_lshl_add_u32 v13, v1, 5, v4
	s_waitcnt lgkmcnt(0)
	v_mad_i64_i32 v[4:5], s[18:19], s18, v5, v[2:3]
	s_mul_i32 s17, s17, s8
	s_mul_hi_u32 s20, s16, s8
	s_add_i32 s17, s20, s17
	s_mul_i32 s16, s16, s8
	s_lshl_b64 s[16:17], s[16:17], 2
	v_lshlrev_b64 v[4:5], 2, v[4:5]
	s_add_u32 s2, s2, s16
	s_addc_u32 s3, s3, s17
	v_mov_b32_e32 v2, s3
	v_add_co_u32_e32 v4, vcc, s2, v4
	v_mov_b32_e32 v7, v3
	v_addc_co_u32_e32 v5, vcc, v2, v5, vcc
	v_add_u32_e32 v2, s6, v8
	v_mad_i64_i32 v[6:7], s[2:3], s15, v2, v[6:7]
	s_mul_i32 s1, s1, s8
	s_mul_hi_u32 s16, s0, s8
	s_add_i32 s1, s16, s1
	s_mul_i32 s0, s0, s8
	s_lshl_b64 s[0:1], s[0:1], 2
	v_lshlrev_b64 v[6:7], 2, v[6:7]
	s_add_u32 s0, s10, s0
	s_addc_u32 s1, s11, s1
	v_mov_b32_e32 v2, s1
	v_add_co_u32_e32 v6, vcc, s0, v6
	v_lshlrev_b32_e32 v12, 2, v0
	v_addc_co_u32_e32 v7, vcc, v2, v7, vcc
	v_mov_b32_e32 v2, v3
	v_mov_b32_e32 v8, v3
	;; [unrolled: 1-line block ×3, first 2 shown]
.LBB33_2:                               ; =>This Inner Loop Header: Depth=1
	global_load_dword v14, v[6:7], off
	s_add_i32 s9, s9, 8
	v_add_co_u32_e64 v6, s[0:1], 32, v6
	s_cmp_ge_i32 s9, s13
	s_waitcnt vmcnt(0)
	ds_write_b32 v10, v14
	global_load_dword v14, v[4:5], off
	v_add_co_u32_e32 v4, vcc, 32, v4
	v_addc_co_u32_e32 v5, vcc, 0, v5, vcc
	v_addc_co_u32_e64 v7, vcc, 0, v7, s[0:1]
	s_waitcnt vmcnt(0)
	ds_write_b32 v11, v14
	s_waitcnt lgkmcnt(0)
	s_barrier
	ds_read2_b32 v[18:19], v12 offset1:16
	ds_read_b128 v[14:17], v13
	ds_read2_b32 v[20:21], v12 offset0:32 offset1:48
	ds_read2_b32 v[22:23], v12 offset0:64 offset1:80
	;; [unrolled: 1-line block ×3, first 2 shown]
	s_waitcnt lgkmcnt(3)
	v_fmac_f32_e32 v9, v18, v14
	v_fmac_f32_e32 v8, v19, v14
	s_waitcnt lgkmcnt(2)
	v_fmac_f32_e32 v9, v20, v15
	v_fmac_f32_e32 v8, v21, v15
	s_waitcnt lgkmcnt(1)
	v_fmac_f32_e32 v9, v22, v16
	v_fmac_f32_e32 v8, v23, v16
	s_waitcnt lgkmcnt(0)
	v_fmac_f32_e32 v9, v24, v17
	v_fmac_f32_e32 v8, v25, v17
	ds_read_b128 v[14:17], v13 offset:512
	s_waitcnt lgkmcnt(0)
	v_fmac_f32_e32 v2, v18, v14
	v_fmac_f32_e32 v3, v19, v14
	;; [unrolled: 1-line block ×8, first 2 shown]
	ds_read2_b32 v[18:19], v12 offset0:128 offset1:144
	ds_read_b128 v[14:17], v13 offset:16
	ds_read2_b32 v[20:21], v12 offset0:160 offset1:176
	ds_read2_b32 v[22:23], v12 offset0:192 offset1:208
	;; [unrolled: 1-line block ×3, first 2 shown]
	s_waitcnt lgkmcnt(3)
	v_fmac_f32_e32 v9, v18, v14
	v_fmac_f32_e32 v8, v19, v14
	s_waitcnt lgkmcnt(2)
	v_fmac_f32_e32 v9, v20, v15
	v_fmac_f32_e32 v8, v21, v15
	;; [unrolled: 3-line block ×4, first 2 shown]
	ds_read_b128 v[14:17], v13 offset:528
	s_waitcnt lgkmcnt(0)
	s_barrier
	v_fmac_f32_e32 v2, v18, v14
	v_fmac_f32_e32 v3, v19, v14
	;; [unrolled: 1-line block ×8, first 2 shown]
	s_cbranch_scc0 .LBB33_2
	s_branch .LBB33_4
.LBB33_3:
	v_mov_b32_e32 v9, 0
	v_mov_b32_e32 v8, 0
	;; [unrolled: 1-line block ×4, first 2 shown]
.LBB33_4:
	s_load_dwordx2 s[0:1], s[4:5], 0x58
	s_load_dword s9, s[4:5], 0x40
	s_load_dwordx2 s[2:3], s[4:5], 0x48
	s_load_dword s10, s[4:5], 0x50
	v_add_u32_e32 v6, s7, v1
	s_waitcnt lgkmcnt(0)
	s_mul_i32 s1, s1, s8
	s_mul_hi_u32 s4, s0, s8
	s_add_i32 s1, s4, s1
	v_mad_i64_i32 v[4:5], s[4:5], v6, s10, 0
	s_mul_i32 s0, s0, s8
	s_lshl_b64 s[0:1], s[0:1], 2
	s_add_u32 s7, s2, s0
	v_lshlrev_b64 v[4:5], 2, v[4:5]
	s_addc_u32 s8, s3, s1
	v_mov_b32_e32 v1, s8
	v_add_co_u32_e32 v7, vcc, s7, v4
	v_add_u32_e32 v0, s6, v0
	v_addc_co_u32_e32 v10, vcc, v1, v5, vcc
	v_cmp_le_i32_e64 s[0:1], v6, v0
	v_cmp_gt_i32_e32 vcc, s12, v0
	s_and_b64 s[0:1], s[0:1], vcc
	s_and_saveexec_b64 s[2:3], s[0:1]
	s_cbranch_execz .LBB33_6
; %bb.5:
	v_ashrrev_i32_e32 v1, 31, v0
	v_lshlrev_b64 v[4:5], 2, v[0:1]
	v_add_co_u32_e64 v4, s[0:1], v7, v4
	v_addc_co_u32_e64 v5, s[0:1], v10, v5, s[0:1]
	global_load_dword v1, v[4:5], off
	s_waitcnt vmcnt(0)
	v_mul_f32_e32 v1, s9, v1
	v_fmac_f32_e32 v1, s14, v9
	global_store_dword v[4:5], v1, off
.LBB33_6:
	s_or_b64 exec, exec, s[2:3]
	v_add_u32_e32 v4, 16, v0
	v_cmp_le_i32_e64 s[2:3], v6, v4
	v_cmp_gt_i32_e64 s[0:1], s12, v4
	s_and_b64 s[2:3], s[2:3], s[0:1]
	s_and_saveexec_b64 s[4:5], s[2:3]
	s_cbranch_execz .LBB33_8
; %bb.7:
	v_ashrrev_i32_e32 v5, 31, v4
	v_lshlrev_b64 v[11:12], 2, v[4:5]
	v_add_co_u32_e64 v9, s[2:3], v7, v11
	v_addc_co_u32_e64 v10, s[2:3], v10, v12, s[2:3]
	global_load_dword v1, v[9:10], off
	s_waitcnt vmcnt(0)
	v_mul_f32_e32 v1, s9, v1
	v_fmac_f32_e32 v1, s14, v8
	global_store_dword v[9:10], v1, off
.LBB33_8:
	s_or_b64 exec, exec, s[4:5]
	v_add_u32_e32 v5, 16, v6
	v_mad_i64_i32 v[6:7], s[2:3], v5, s10, 0
	v_mov_b32_e32 v1, s8
	v_lshlrev_b64 v[6:7], 2, v[6:7]
	v_add_co_u32_e64 v6, s[2:3], s7, v6
	v_addc_co_u32_e64 v7, s[2:3], v1, v7, s[2:3]
	v_cmp_le_i32_e64 s[2:3], v5, v0
	s_and_b64 s[4:5], s[2:3], vcc
	s_and_saveexec_b64 s[2:3], s[4:5]
	s_cbranch_execz .LBB33_10
; %bb.9:
	v_ashrrev_i32_e32 v1, 31, v0
	v_lshlrev_b64 v[0:1], 2, v[0:1]
	v_add_co_u32_e32 v0, vcc, v6, v0
	v_addc_co_u32_e32 v1, vcc, v7, v1, vcc
	global_load_dword v8, v[0:1], off
	s_waitcnt vmcnt(0)
	v_mul_f32_e32 v8, s9, v8
	v_fmac_f32_e32 v8, s14, v2
	global_store_dword v[0:1], v8, off
.LBB33_10:
	s_or_b64 exec, exec, s[2:3]
	v_cmp_le_i32_e32 vcc, v5, v4
	s_and_b64 s[0:1], vcc, s[0:1]
	s_and_saveexec_b64 s[2:3], s[0:1]
	s_cbranch_execz .LBB33_12
; %bb.11:
	v_ashrrev_i32_e32 v5, 31, v4
	v_lshlrev_b64 v[0:1], 2, v[4:5]
	v_add_co_u32_e32 v0, vcc, v6, v0
	v_addc_co_u32_e32 v1, vcc, v7, v1, vcc
	global_load_dword v2, v[0:1], off
	s_waitcnt vmcnt(0)
	v_mul_f32_e32 v2, s9, v2
	v_fmac_f32_e32 v2, s14, v3
	global_store_dword v[0:1], v2, off
.LBB33_12:
	s_endpgm
	.section	.rodata,"a",@progbits
	.p2align	6, 0x0
	.amdhsa_kernel _ZL37rocblas_syrkx_herkx_restricted_kernelIifLi16ELi32ELi8ELb0ELb0ELc67ELc76EKffEviT_T0_PT8_S1_lS4_S1_lS2_PT9_S1_li
		.amdhsa_group_segment_fixed_size 2048
		.amdhsa_private_segment_fixed_size 0
		.amdhsa_kernarg_size 100
		.amdhsa_user_sgpr_count 6
		.amdhsa_user_sgpr_private_segment_buffer 1
		.amdhsa_user_sgpr_dispatch_ptr 0
		.amdhsa_user_sgpr_queue_ptr 0
		.amdhsa_user_sgpr_kernarg_segment_ptr 1
		.amdhsa_user_sgpr_dispatch_id 0
		.amdhsa_user_sgpr_flat_scratch_init 0
		.amdhsa_user_sgpr_private_segment_size 0
		.amdhsa_uses_dynamic_stack 0
		.amdhsa_system_sgpr_private_segment_wavefront_offset 0
		.amdhsa_system_sgpr_workgroup_id_x 1
		.amdhsa_system_sgpr_workgroup_id_y 1
		.amdhsa_system_sgpr_workgroup_id_z 1
		.amdhsa_system_sgpr_workgroup_info 0
		.amdhsa_system_vgpr_workitem_id 1
		.amdhsa_next_free_vgpr 26
		.amdhsa_next_free_sgpr 21
		.amdhsa_reserve_vcc 1
		.amdhsa_reserve_flat_scratch 0
		.amdhsa_float_round_mode_32 0
		.amdhsa_float_round_mode_16_64 0
		.amdhsa_float_denorm_mode_32 3
		.amdhsa_float_denorm_mode_16_64 3
		.amdhsa_dx10_clamp 1
		.amdhsa_ieee_mode 1
		.amdhsa_fp16_overflow 0
		.amdhsa_exception_fp_ieee_invalid_op 0
		.amdhsa_exception_fp_denorm_src 0
		.amdhsa_exception_fp_ieee_div_zero 0
		.amdhsa_exception_fp_ieee_overflow 0
		.amdhsa_exception_fp_ieee_underflow 0
		.amdhsa_exception_fp_ieee_inexact 0
		.amdhsa_exception_int_div_zero 0
	.end_amdhsa_kernel
	.section	.text._ZL37rocblas_syrkx_herkx_restricted_kernelIifLi16ELi32ELi8ELb0ELb0ELc67ELc76EKffEviT_T0_PT8_S1_lS4_S1_lS2_PT9_S1_li,"axG",@progbits,_ZL37rocblas_syrkx_herkx_restricted_kernelIifLi16ELi32ELi8ELb0ELb0ELc67ELc76EKffEviT_T0_PT8_S1_lS4_S1_lS2_PT9_S1_li,comdat
.Lfunc_end33:
	.size	_ZL37rocblas_syrkx_herkx_restricted_kernelIifLi16ELi32ELi8ELb0ELb0ELc67ELc76EKffEviT_T0_PT8_S1_lS4_S1_lS2_PT9_S1_li, .Lfunc_end33-_ZL37rocblas_syrkx_herkx_restricted_kernelIifLi16ELi32ELi8ELb0ELb0ELc67ELc76EKffEviT_T0_PT8_S1_lS4_S1_lS2_PT9_S1_li
                                        ; -- End function
	.set _ZL37rocblas_syrkx_herkx_restricted_kernelIifLi16ELi32ELi8ELb0ELb0ELc67ELc76EKffEviT_T0_PT8_S1_lS4_S1_lS2_PT9_S1_li.num_vgpr, 26
	.set _ZL37rocblas_syrkx_herkx_restricted_kernelIifLi16ELi32ELi8ELb0ELb0ELc67ELc76EKffEviT_T0_PT8_S1_lS4_S1_lS2_PT9_S1_li.num_agpr, 0
	.set _ZL37rocblas_syrkx_herkx_restricted_kernelIifLi16ELi32ELi8ELb0ELb0ELc67ELc76EKffEviT_T0_PT8_S1_lS4_S1_lS2_PT9_S1_li.numbered_sgpr, 21
	.set _ZL37rocblas_syrkx_herkx_restricted_kernelIifLi16ELi32ELi8ELb0ELb0ELc67ELc76EKffEviT_T0_PT8_S1_lS4_S1_lS2_PT9_S1_li.num_named_barrier, 0
	.set _ZL37rocblas_syrkx_herkx_restricted_kernelIifLi16ELi32ELi8ELb0ELb0ELc67ELc76EKffEviT_T0_PT8_S1_lS4_S1_lS2_PT9_S1_li.private_seg_size, 0
	.set _ZL37rocblas_syrkx_herkx_restricted_kernelIifLi16ELi32ELi8ELb0ELb0ELc67ELc76EKffEviT_T0_PT8_S1_lS4_S1_lS2_PT9_S1_li.uses_vcc, 1
	.set _ZL37rocblas_syrkx_herkx_restricted_kernelIifLi16ELi32ELi8ELb0ELb0ELc67ELc76EKffEviT_T0_PT8_S1_lS4_S1_lS2_PT9_S1_li.uses_flat_scratch, 0
	.set _ZL37rocblas_syrkx_herkx_restricted_kernelIifLi16ELi32ELi8ELb0ELb0ELc67ELc76EKffEviT_T0_PT8_S1_lS4_S1_lS2_PT9_S1_li.has_dyn_sized_stack, 0
	.set _ZL37rocblas_syrkx_herkx_restricted_kernelIifLi16ELi32ELi8ELb0ELb0ELc67ELc76EKffEviT_T0_PT8_S1_lS4_S1_lS2_PT9_S1_li.has_recursion, 0
	.set _ZL37rocblas_syrkx_herkx_restricted_kernelIifLi16ELi32ELi8ELb0ELb0ELc67ELc76EKffEviT_T0_PT8_S1_lS4_S1_lS2_PT9_S1_li.has_indirect_call, 0
	.section	.AMDGPU.csdata,"",@progbits
; Kernel info:
; codeLenInByte = 1120
; TotalNumSgprs: 25
; NumVgprs: 26
; ScratchSize: 0
; MemoryBound: 0
; FloatMode: 240
; IeeeMode: 1
; LDSByteSize: 2048 bytes/workgroup (compile time only)
; SGPRBlocks: 3
; VGPRBlocks: 6
; NumSGPRsForWavesPerEU: 25
; NumVGPRsForWavesPerEU: 26
; Occupancy: 9
; WaveLimiterHint : 0
; COMPUTE_PGM_RSRC2:SCRATCH_EN: 0
; COMPUTE_PGM_RSRC2:USER_SGPR: 6
; COMPUTE_PGM_RSRC2:TRAP_HANDLER: 0
; COMPUTE_PGM_RSRC2:TGID_X_EN: 1
; COMPUTE_PGM_RSRC2:TGID_Y_EN: 1
; COMPUTE_PGM_RSRC2:TGID_Z_EN: 1
; COMPUTE_PGM_RSRC2:TIDIG_COMP_CNT: 1
	.section	.text._ZL37rocblas_syrkx_herkx_restricted_kernelIifLi16ELi32ELi8ELb0ELb0ELc78ELc76EKffEviT_T0_PT8_S1_lS4_S1_lS2_PT9_S1_li,"axG",@progbits,_ZL37rocblas_syrkx_herkx_restricted_kernelIifLi16ELi32ELi8ELb0ELb0ELc78ELc76EKffEviT_T0_PT8_S1_lS4_S1_lS2_PT9_S1_li,comdat
	.globl	_ZL37rocblas_syrkx_herkx_restricted_kernelIifLi16ELi32ELi8ELb0ELb0ELc78ELc76EKffEviT_T0_PT8_S1_lS4_S1_lS2_PT9_S1_li ; -- Begin function _ZL37rocblas_syrkx_herkx_restricted_kernelIifLi16ELi32ELi8ELb0ELb0ELc78ELc76EKffEviT_T0_PT8_S1_lS4_S1_lS2_PT9_S1_li
	.p2align	8
	.type	_ZL37rocblas_syrkx_herkx_restricted_kernelIifLi16ELi32ELi8ELb0ELb0ELc78ELc76EKffEviT_T0_PT8_S1_lS4_S1_lS2_PT9_S1_li,@function
_ZL37rocblas_syrkx_herkx_restricted_kernelIifLi16ELi32ELi8ELb0ELb0ELc78ELc76EKffEviT_T0_PT8_S1_lS4_S1_lS2_PT9_S1_li: ; @_ZL37rocblas_syrkx_herkx_restricted_kernelIifLi16ELi32ELi8ELb0ELb0ELc78ELc76EKffEviT_T0_PT8_S1_lS4_S1_lS2_PT9_S1_li
; %bb.0:
	s_load_dwordx4 s[12:15], s[4:5], 0x0
	s_lshl_b32 s9, s6, 5
	s_lshl_b32 s10, s7, 5
	s_mov_b32 s11, 0
	s_waitcnt lgkmcnt(0)
	s_cmp_lt_i32 s13, 1
	s_cbranch_scc1 .LBB34_3
; %bb.1:
	s_load_dword s6, s[4:5], 0x18
	s_load_dword s16, s[4:5], 0x30
	s_load_dwordx2 s[18:19], s[4:5], 0x10
	s_load_dwordx4 s[0:3], s[4:5], 0x20
	s_load_dwordx2 s[20:21], s[4:5], 0x38
	v_lshl_add_u32 v2, v1, 4, v0
	v_lshrrev_b32_e32 v4, 3, v2
	v_lshrrev_b32_e32 v6, 5, v2
	v_and_b32_e32 v7, 31, v2
	v_add_u32_e32 v2, s10, v4
	v_and_b32_e32 v5, 7, v0
	v_ashrrev_i32_e32 v3, 31, v2
	s_waitcnt lgkmcnt(0)
	v_mad_i64_i32 v[2:3], s[22:23], s16, v5, v[2:3]
	s_mul_i32 s15, s21, s8
	s_mul_hi_u32 s21, s20, s8
	v_lshlrev_b32_e32 v8, 2, v7
	s_add_i32 s21, s21, s15
	s_mul_i32 s20, s20, s8
	s_ashr_i32 s7, s6, 31
	s_ashr_i32 s17, s16, 31
	v_lshl_or_b32 v10, v6, 7, v8
	v_lshlrev_b32_e32 v8, 2, v5
	s_lshl_b64 s[20:21], s[20:21], 2
	v_lshl_or_b32 v4, v4, 5, v8
	v_lshlrev_b64 v[2:3], 2, v[2:3]
	s_add_u32 s2, s2, s20
	v_add_u32_e32 v11, 0x400, v4
	v_mov_b32_e32 v4, 0x400
	s_addc_u32 s3, s3, s21
	v_lshl_add_u32 v13, v1, 5, v4
	v_mov_b32_e32 v4, s3
	v_add_co_u32_e32 v2, vcc, s2, v2
	v_addc_co_u32_e32 v3, vcc, v4, v3, vcc
	v_add_u32_e32 v4, s9, v7
	v_ashrrev_i32_e32 v5, 31, v4
	s_lshl_b64 s[2:3], s[16:17], 5
	v_mad_i64_i32 v[4:5], s[16:17], s6, v6, v[4:5]
	s_mul_i32 s1, s1, s8
	s_mul_hi_u32 s15, s0, s8
	s_add_i32 s1, s15, s1
	s_mul_i32 s0, s0, s8
	s_lshl_b64 s[0:1], s[0:1], 2
	v_lshlrev_b64 v[4:5], 2, v[4:5]
	s_add_u32 s0, s18, s0
	s_addc_u32 s1, s19, s1
	v_mov_b32_e32 v6, s1
	v_add_co_u32_e32 v4, vcc, s0, v4
	s_lshl_b64 s[6:7], s[6:7], 5
	v_lshlrev_b32_e32 v12, 2, v0
	v_addc_co_u32_e32 v5, vcc, v6, v5, vcc
	v_mov_b32_e32 v6, 0
	v_mov_b32_e32 v14, s3
	;; [unrolled: 1-line block ×6, first 2 shown]
.LBB34_2:                               ; =>This Inner Loop Header: Depth=1
	global_load_dword v16, v[4:5], off
	global_load_dword v17, v[2:3], off
	s_add_i32 s11, s11, 8
	v_add_co_u32_e32 v2, vcc, s2, v2
	v_add_co_u32_e64 v4, s[0:1], s6, v4
	v_addc_co_u32_e32 v3, vcc, v3, v14, vcc
	v_addc_co_u32_e64 v5, vcc, v5, v15, s[0:1]
	s_cmp_ge_i32 s11, s13
	s_waitcnt vmcnt(1)
	ds_write_b32 v10, v16
	s_waitcnt vmcnt(0)
	ds_write_b32 v11, v17
	s_waitcnt lgkmcnt(0)
	s_barrier
	ds_read2_b32 v[20:21], v12 offset1:16
	ds_read_b128 v[16:19], v13
	ds_read2_b32 v[22:23], v12 offset0:32 offset1:48
	ds_read2_b32 v[24:25], v12 offset0:64 offset1:80
	;; [unrolled: 1-line block ×3, first 2 shown]
	s_waitcnt lgkmcnt(3)
	v_fmac_f32_e32 v9, v20, v16
	v_fmac_f32_e32 v8, v21, v16
	s_waitcnt lgkmcnt(2)
	v_fmac_f32_e32 v9, v22, v17
	v_fmac_f32_e32 v8, v23, v17
	s_waitcnt lgkmcnt(1)
	v_fmac_f32_e32 v9, v24, v18
	v_fmac_f32_e32 v8, v25, v18
	s_waitcnt lgkmcnt(0)
	v_fmac_f32_e32 v9, v26, v19
	v_fmac_f32_e32 v8, v27, v19
	ds_read_b128 v[16:19], v13 offset:512
	s_waitcnt lgkmcnt(0)
	v_fmac_f32_e32 v7, v20, v16
	v_fmac_f32_e32 v6, v21, v16
	;; [unrolled: 1-line block ×8, first 2 shown]
	ds_read2_b32 v[20:21], v12 offset0:128 offset1:144
	ds_read_b128 v[16:19], v13 offset:16
	ds_read2_b32 v[22:23], v12 offset0:160 offset1:176
	ds_read2_b32 v[24:25], v12 offset0:192 offset1:208
	;; [unrolled: 1-line block ×3, first 2 shown]
	s_waitcnt lgkmcnt(3)
	v_fmac_f32_e32 v9, v20, v16
	v_fmac_f32_e32 v8, v21, v16
	s_waitcnt lgkmcnt(2)
	v_fmac_f32_e32 v9, v22, v17
	v_fmac_f32_e32 v8, v23, v17
	;; [unrolled: 3-line block ×4, first 2 shown]
	ds_read_b128 v[16:19], v13 offset:528
	s_waitcnt lgkmcnt(0)
	s_barrier
	v_fmac_f32_e32 v7, v20, v16
	v_fmac_f32_e32 v6, v21, v16
	;; [unrolled: 1-line block ×8, first 2 shown]
	s_cbranch_scc0 .LBB34_2
	s_branch .LBB34_4
.LBB34_3:
	v_mov_b32_e32 v9, 0
	v_mov_b32_e32 v8, 0
	;; [unrolled: 1-line block ×4, first 2 shown]
.LBB34_4:
	s_load_dwordx2 s[0:1], s[4:5], 0x58
	s_load_dword s6, s[4:5], 0x40
	s_load_dwordx2 s[2:3], s[4:5], 0x48
	s_load_dword s7, s[4:5], 0x50
	v_add_u32_e32 v4, s10, v1
	s_waitcnt lgkmcnt(0)
	s_mul_i32 s1, s1, s8
	s_mul_hi_u32 s4, s0, s8
	s_add_i32 s1, s4, s1
	v_mad_i64_i32 v[1:2], s[4:5], v4, s7, 0
	s_mul_i32 s0, s0, s8
	s_lshl_b64 s[0:1], s[0:1], 2
	s_add_u32 s8, s2, s0
	v_lshlrev_b64 v[1:2], 2, v[1:2]
	s_addc_u32 s10, s3, s1
	v_mov_b32_e32 v3, s10
	v_add_co_u32_e32 v5, vcc, s8, v1
	v_add_u32_e32 v0, s9, v0
	v_addc_co_u32_e32 v10, vcc, v3, v2, vcc
	v_cmp_le_i32_e64 s[0:1], v4, v0
	v_cmp_gt_i32_e32 vcc, s12, v0
	s_and_b64 s[0:1], s[0:1], vcc
	s_and_saveexec_b64 s[2:3], s[0:1]
	s_cbranch_execz .LBB34_6
; %bb.5:
	v_ashrrev_i32_e32 v1, 31, v0
	v_lshlrev_b64 v[1:2], 2, v[0:1]
	v_add_co_u32_e64 v1, s[0:1], v5, v1
	v_addc_co_u32_e64 v2, s[0:1], v10, v2, s[0:1]
	global_load_dword v3, v[1:2], off
	s_waitcnt vmcnt(0)
	v_mul_f32_e32 v3, s6, v3
	v_fmac_f32_e32 v3, s14, v9
	global_store_dword v[1:2], v3, off
.LBB34_6:
	s_or_b64 exec, exec, s[2:3]
	v_add_u32_e32 v2, 16, v0
	v_cmp_le_i32_e64 s[2:3], v4, v2
	v_cmp_gt_i32_e64 s[0:1], s12, v2
	s_and_b64 s[2:3], s[2:3], s[0:1]
	s_and_saveexec_b64 s[4:5], s[2:3]
	s_cbranch_execz .LBB34_8
; %bb.7:
	v_ashrrev_i32_e32 v3, 31, v2
	v_lshlrev_b64 v[11:12], 2, v[2:3]
	v_add_co_u32_e64 v9, s[2:3], v5, v11
	v_addc_co_u32_e64 v10, s[2:3], v10, v12, s[2:3]
	global_load_dword v1, v[9:10], off
	s_waitcnt vmcnt(0)
	v_mul_f32_e32 v1, s6, v1
	v_fmac_f32_e32 v1, s14, v8
	global_store_dword v[9:10], v1, off
.LBB34_8:
	s_or_b64 exec, exec, s[4:5]
	v_add_u32_e32 v3, 16, v4
	v_mad_i64_i32 v[4:5], s[2:3], v3, s7, 0
	v_mov_b32_e32 v1, s10
	v_lshlrev_b64 v[4:5], 2, v[4:5]
	v_add_co_u32_e64 v4, s[2:3], s8, v4
	v_addc_co_u32_e64 v5, s[2:3], v1, v5, s[2:3]
	v_cmp_le_i32_e64 s[2:3], v3, v0
	s_and_b64 s[4:5], s[2:3], vcc
	s_and_saveexec_b64 s[2:3], s[4:5]
	s_cbranch_execz .LBB34_10
; %bb.9:
	v_ashrrev_i32_e32 v1, 31, v0
	v_lshlrev_b64 v[0:1], 2, v[0:1]
	v_add_co_u32_e32 v0, vcc, v4, v0
	v_addc_co_u32_e32 v1, vcc, v5, v1, vcc
	global_load_dword v8, v[0:1], off
	s_waitcnt vmcnt(0)
	v_mul_f32_e32 v8, s6, v8
	v_fmac_f32_e32 v8, s14, v7
	global_store_dword v[0:1], v8, off
.LBB34_10:
	s_or_b64 exec, exec, s[2:3]
	v_cmp_le_i32_e32 vcc, v3, v2
	s_and_b64 s[0:1], vcc, s[0:1]
	s_and_saveexec_b64 s[2:3], s[0:1]
	s_cbranch_execz .LBB34_12
; %bb.11:
	v_ashrrev_i32_e32 v3, 31, v2
	v_lshlrev_b64 v[0:1], 2, v[2:3]
	v_add_co_u32_e32 v0, vcc, v4, v0
	v_addc_co_u32_e32 v1, vcc, v5, v1, vcc
	global_load_dword v2, v[0:1], off
	s_waitcnt vmcnt(0)
	v_mul_f32_e32 v2, s6, v2
	v_fmac_f32_e32 v2, s14, v6
	global_store_dword v[0:1], v2, off
.LBB34_12:
	s_endpgm
	.section	.rodata,"a",@progbits
	.p2align	6, 0x0
	.amdhsa_kernel _ZL37rocblas_syrkx_herkx_restricted_kernelIifLi16ELi32ELi8ELb0ELb0ELc78ELc76EKffEviT_T0_PT8_S1_lS4_S1_lS2_PT9_S1_li
		.amdhsa_group_segment_fixed_size 2048
		.amdhsa_private_segment_fixed_size 0
		.amdhsa_kernarg_size 100
		.amdhsa_user_sgpr_count 6
		.amdhsa_user_sgpr_private_segment_buffer 1
		.amdhsa_user_sgpr_dispatch_ptr 0
		.amdhsa_user_sgpr_queue_ptr 0
		.amdhsa_user_sgpr_kernarg_segment_ptr 1
		.amdhsa_user_sgpr_dispatch_id 0
		.amdhsa_user_sgpr_flat_scratch_init 0
		.amdhsa_user_sgpr_private_segment_size 0
		.amdhsa_uses_dynamic_stack 0
		.amdhsa_system_sgpr_private_segment_wavefront_offset 0
		.amdhsa_system_sgpr_workgroup_id_x 1
		.amdhsa_system_sgpr_workgroup_id_y 1
		.amdhsa_system_sgpr_workgroup_id_z 1
		.amdhsa_system_sgpr_workgroup_info 0
		.amdhsa_system_vgpr_workitem_id 1
		.amdhsa_next_free_vgpr 28
		.amdhsa_next_free_sgpr 24
		.amdhsa_reserve_vcc 1
		.amdhsa_reserve_flat_scratch 0
		.amdhsa_float_round_mode_32 0
		.amdhsa_float_round_mode_16_64 0
		.amdhsa_float_denorm_mode_32 3
		.amdhsa_float_denorm_mode_16_64 3
		.amdhsa_dx10_clamp 1
		.amdhsa_ieee_mode 1
		.amdhsa_fp16_overflow 0
		.amdhsa_exception_fp_ieee_invalid_op 0
		.amdhsa_exception_fp_denorm_src 0
		.amdhsa_exception_fp_ieee_div_zero 0
		.amdhsa_exception_fp_ieee_overflow 0
		.amdhsa_exception_fp_ieee_underflow 0
		.amdhsa_exception_fp_ieee_inexact 0
		.amdhsa_exception_int_div_zero 0
	.end_amdhsa_kernel
	.section	.text._ZL37rocblas_syrkx_herkx_restricted_kernelIifLi16ELi32ELi8ELb0ELb0ELc78ELc76EKffEviT_T0_PT8_S1_lS4_S1_lS2_PT9_S1_li,"axG",@progbits,_ZL37rocblas_syrkx_herkx_restricted_kernelIifLi16ELi32ELi8ELb0ELb0ELc78ELc76EKffEviT_T0_PT8_S1_lS4_S1_lS2_PT9_S1_li,comdat
.Lfunc_end34:
	.size	_ZL37rocblas_syrkx_herkx_restricted_kernelIifLi16ELi32ELi8ELb0ELb0ELc78ELc76EKffEviT_T0_PT8_S1_lS4_S1_lS2_PT9_S1_li, .Lfunc_end34-_ZL37rocblas_syrkx_herkx_restricted_kernelIifLi16ELi32ELi8ELb0ELb0ELc78ELc76EKffEviT_T0_PT8_S1_lS4_S1_lS2_PT9_S1_li
                                        ; -- End function
	.set _ZL37rocblas_syrkx_herkx_restricted_kernelIifLi16ELi32ELi8ELb0ELb0ELc78ELc76EKffEviT_T0_PT8_S1_lS4_S1_lS2_PT9_S1_li.num_vgpr, 28
	.set _ZL37rocblas_syrkx_herkx_restricted_kernelIifLi16ELi32ELi8ELb0ELb0ELc78ELc76EKffEviT_T0_PT8_S1_lS4_S1_lS2_PT9_S1_li.num_agpr, 0
	.set _ZL37rocblas_syrkx_herkx_restricted_kernelIifLi16ELi32ELi8ELb0ELb0ELc78ELc76EKffEviT_T0_PT8_S1_lS4_S1_lS2_PT9_S1_li.numbered_sgpr, 24
	.set _ZL37rocblas_syrkx_herkx_restricted_kernelIifLi16ELi32ELi8ELb0ELb0ELc78ELc76EKffEviT_T0_PT8_S1_lS4_S1_lS2_PT9_S1_li.num_named_barrier, 0
	.set _ZL37rocblas_syrkx_herkx_restricted_kernelIifLi16ELi32ELi8ELb0ELb0ELc78ELc76EKffEviT_T0_PT8_S1_lS4_S1_lS2_PT9_S1_li.private_seg_size, 0
	.set _ZL37rocblas_syrkx_herkx_restricted_kernelIifLi16ELi32ELi8ELb0ELb0ELc78ELc76EKffEviT_T0_PT8_S1_lS4_S1_lS2_PT9_S1_li.uses_vcc, 1
	.set _ZL37rocblas_syrkx_herkx_restricted_kernelIifLi16ELi32ELi8ELb0ELb0ELc78ELc76EKffEviT_T0_PT8_S1_lS4_S1_lS2_PT9_S1_li.uses_flat_scratch, 0
	.set _ZL37rocblas_syrkx_herkx_restricted_kernelIifLi16ELi32ELi8ELb0ELb0ELc78ELc76EKffEviT_T0_PT8_S1_lS4_S1_lS2_PT9_S1_li.has_dyn_sized_stack, 0
	.set _ZL37rocblas_syrkx_herkx_restricted_kernelIifLi16ELi32ELi8ELb0ELb0ELc78ELc76EKffEviT_T0_PT8_S1_lS4_S1_lS2_PT9_S1_li.has_recursion, 0
	.set _ZL37rocblas_syrkx_herkx_restricted_kernelIifLi16ELi32ELi8ELb0ELb0ELc78ELc76EKffEviT_T0_PT8_S1_lS4_S1_lS2_PT9_S1_li.has_indirect_call, 0
	.section	.AMDGPU.csdata,"",@progbits
; Kernel info:
; codeLenInByte = 1148
; TotalNumSgprs: 28
; NumVgprs: 28
; ScratchSize: 0
; MemoryBound: 0
; FloatMode: 240
; IeeeMode: 1
; LDSByteSize: 2048 bytes/workgroup (compile time only)
; SGPRBlocks: 3
; VGPRBlocks: 6
; NumSGPRsForWavesPerEU: 28
; NumVGPRsForWavesPerEU: 28
; Occupancy: 9
; WaveLimiterHint : 0
; COMPUTE_PGM_RSRC2:SCRATCH_EN: 0
; COMPUTE_PGM_RSRC2:USER_SGPR: 6
; COMPUTE_PGM_RSRC2:TRAP_HANDLER: 0
; COMPUTE_PGM_RSRC2:TGID_X_EN: 1
; COMPUTE_PGM_RSRC2:TGID_Y_EN: 1
; COMPUTE_PGM_RSRC2:TGID_Z_EN: 1
; COMPUTE_PGM_RSRC2:TIDIG_COMP_CNT: 1
	.section	.text._ZL37rocblas_syrkx_herkx_restricted_kernelIifLi16ELi32ELi8ELb0ELb0ELc84ELc85EKffEviT_T0_PT8_S1_lS4_S1_lS2_PT9_S1_li,"axG",@progbits,_ZL37rocblas_syrkx_herkx_restricted_kernelIifLi16ELi32ELi8ELb0ELb0ELc84ELc85EKffEviT_T0_PT8_S1_lS4_S1_lS2_PT9_S1_li,comdat
	.globl	_ZL37rocblas_syrkx_herkx_restricted_kernelIifLi16ELi32ELi8ELb0ELb0ELc84ELc85EKffEviT_T0_PT8_S1_lS4_S1_lS2_PT9_S1_li ; -- Begin function _ZL37rocblas_syrkx_herkx_restricted_kernelIifLi16ELi32ELi8ELb0ELb0ELc84ELc85EKffEviT_T0_PT8_S1_lS4_S1_lS2_PT9_S1_li
	.p2align	8
	.type	_ZL37rocblas_syrkx_herkx_restricted_kernelIifLi16ELi32ELi8ELb0ELb0ELc84ELc85EKffEviT_T0_PT8_S1_lS4_S1_lS2_PT9_S1_li,@function
_ZL37rocblas_syrkx_herkx_restricted_kernelIifLi16ELi32ELi8ELb0ELb0ELc84ELc85EKffEviT_T0_PT8_S1_lS4_S1_lS2_PT9_S1_li: ; @_ZL37rocblas_syrkx_herkx_restricted_kernelIifLi16ELi32ELi8ELb0ELb0ELc84ELc85EKffEviT_T0_PT8_S1_lS4_S1_lS2_PT9_S1_li
; %bb.0:
	s_load_dwordx4 s[12:15], s[4:5], 0x0
	s_lshl_b32 s6, s6, 5
	s_lshl_b32 s7, s7, 5
	s_mov_b32 s9, 0
	s_waitcnt lgkmcnt(0)
	s_cmp_lt_i32 s13, 1
	s_cbranch_scc1 .LBB35_3
; %bb.1:
	v_lshl_add_u32 v3, v1, 4, v0
	v_and_b32_e32 v8, 31, v3
	s_load_dwordx2 s[10:11], s[4:5], 0x10
	s_load_dword s15, s[4:5], 0x18
	s_load_dwordx4 s[0:3], s[4:5], 0x20
	s_load_dword s18, s[4:5], 0x30
	s_load_dwordx2 s[16:17], s[4:5], 0x38
	v_lshrrev_b32_e32 v6, 5, v3
	v_and_b32_e32 v2, 7, v0
	v_lshlrev_b32_e32 v9, 2, v8
	v_lshrrev_b32_e32 v4, 3, v3
	v_lshl_or_b32 v10, v6, 7, v9
	v_lshlrev_b32_e32 v9, 2, v2
	v_add_u32_e32 v5, s7, v4
	v_lshl_or_b32 v4, v4, 5, v9
	v_mov_b32_e32 v3, 0
	v_add_u32_e32 v11, 0x400, v4
	v_mov_b32_e32 v4, 0x400
	v_lshl_add_u32 v13, v1, 5, v4
	s_waitcnt lgkmcnt(0)
	v_mad_i64_i32 v[4:5], s[18:19], s18, v5, v[2:3]
	s_mul_i32 s17, s17, s8
	s_mul_hi_u32 s20, s16, s8
	s_add_i32 s17, s20, s17
	s_mul_i32 s16, s16, s8
	s_lshl_b64 s[16:17], s[16:17], 2
	v_lshlrev_b64 v[4:5], 2, v[4:5]
	s_add_u32 s2, s2, s16
	s_addc_u32 s3, s3, s17
	v_mov_b32_e32 v2, s3
	v_add_co_u32_e32 v4, vcc, s2, v4
	v_mov_b32_e32 v7, v3
	v_addc_co_u32_e32 v5, vcc, v2, v5, vcc
	v_add_u32_e32 v2, s6, v8
	v_mad_i64_i32 v[6:7], s[2:3], s15, v2, v[6:7]
	s_mul_i32 s1, s1, s8
	s_mul_hi_u32 s16, s0, s8
	s_add_i32 s1, s16, s1
	s_mul_i32 s0, s0, s8
	s_lshl_b64 s[0:1], s[0:1], 2
	v_lshlrev_b64 v[6:7], 2, v[6:7]
	s_add_u32 s0, s10, s0
	s_addc_u32 s1, s11, s1
	v_mov_b32_e32 v2, s1
	v_add_co_u32_e32 v6, vcc, s0, v6
	v_lshlrev_b32_e32 v12, 2, v0
	v_addc_co_u32_e32 v7, vcc, v2, v7, vcc
	v_mov_b32_e32 v2, v3
	v_mov_b32_e32 v8, v3
	;; [unrolled: 1-line block ×3, first 2 shown]
.LBB35_2:                               ; =>This Inner Loop Header: Depth=1
	global_load_dword v14, v[6:7], off
	s_add_i32 s9, s9, 8
	v_add_co_u32_e64 v6, s[0:1], 32, v6
	s_cmp_ge_i32 s9, s13
	s_waitcnt vmcnt(0)
	ds_write_b32 v10, v14
	global_load_dword v14, v[4:5], off
	v_add_co_u32_e32 v4, vcc, 32, v4
	v_addc_co_u32_e32 v5, vcc, 0, v5, vcc
	v_addc_co_u32_e64 v7, vcc, 0, v7, s[0:1]
	s_waitcnt vmcnt(0)
	ds_write_b32 v11, v14
	s_waitcnt lgkmcnt(0)
	s_barrier
	ds_read2_b32 v[18:19], v12 offset1:16
	ds_read_b128 v[14:17], v13
	ds_read2_b32 v[20:21], v12 offset0:32 offset1:48
	ds_read2_b32 v[22:23], v12 offset0:64 offset1:80
	;; [unrolled: 1-line block ×3, first 2 shown]
	s_waitcnt lgkmcnt(3)
	v_fmac_f32_e32 v9, v18, v14
	v_fmac_f32_e32 v8, v19, v14
	s_waitcnt lgkmcnt(2)
	v_fmac_f32_e32 v9, v20, v15
	v_fmac_f32_e32 v8, v21, v15
	;; [unrolled: 3-line block ×4, first 2 shown]
	ds_read_b128 v[14:17], v13 offset:512
	s_waitcnt lgkmcnt(0)
	v_fmac_f32_e32 v2, v18, v14
	v_fmac_f32_e32 v3, v19, v14
	;; [unrolled: 1-line block ×8, first 2 shown]
	ds_read2_b32 v[18:19], v12 offset0:128 offset1:144
	ds_read_b128 v[14:17], v13 offset:16
	ds_read2_b32 v[20:21], v12 offset0:160 offset1:176
	ds_read2_b32 v[22:23], v12 offset0:192 offset1:208
	;; [unrolled: 1-line block ×3, first 2 shown]
	s_waitcnt lgkmcnt(3)
	v_fmac_f32_e32 v9, v18, v14
	v_fmac_f32_e32 v8, v19, v14
	s_waitcnt lgkmcnt(2)
	v_fmac_f32_e32 v9, v20, v15
	v_fmac_f32_e32 v8, v21, v15
	;; [unrolled: 3-line block ×4, first 2 shown]
	ds_read_b128 v[14:17], v13 offset:528
	s_waitcnt lgkmcnt(0)
	s_barrier
	v_fmac_f32_e32 v2, v18, v14
	v_fmac_f32_e32 v3, v19, v14
	;; [unrolled: 1-line block ×8, first 2 shown]
	s_cbranch_scc0 .LBB35_2
	s_branch .LBB35_4
.LBB35_3:
	v_mov_b32_e32 v9, 0
	v_mov_b32_e32 v8, 0
	v_mov_b32_e32 v2, 0
	v_mov_b32_e32 v3, 0
.LBB35_4:
	s_load_dwordx2 s[0:1], s[4:5], 0x58
	s_load_dword s9, s[4:5], 0x40
	s_load_dwordx2 s[2:3], s[4:5], 0x48
	s_load_dword s10, s[4:5], 0x50
	v_add_u32_e32 v6, s7, v1
	s_waitcnt lgkmcnt(0)
	s_mul_i32 s1, s1, s8
	s_mul_hi_u32 s4, s0, s8
	s_add_i32 s1, s4, s1
	v_mad_i64_i32 v[4:5], s[16:17], v6, s10, 0
	s_mul_i32 s0, s0, s8
	s_lshl_b64 s[0:1], s[0:1], 2
	s_add_u32 s4, s2, s0
	v_lshlrev_b64 v[4:5], 2, v[4:5]
	s_addc_u32 s5, s3, s1
	v_mov_b32_e32 v1, s5
	v_add_co_u32_e64 v7, s[0:1], s4, v4
	v_add_u32_e32 v0, s6, v0
	v_addc_co_u32_e64 v10, s[0:1], v1, v5, s[0:1]
	v_cmp_gt_i32_e32 vcc, s12, v6
	v_cmp_le_i32_e64 s[0:1], v0, v6
	s_and_b64 s[0:1], vcc, s[0:1]
	s_and_saveexec_b64 s[2:3], s[0:1]
	s_cbranch_execz .LBB35_6
; %bb.5:
	v_ashrrev_i32_e32 v1, 31, v0
	v_lshlrev_b64 v[4:5], 2, v[0:1]
	v_add_co_u32_e64 v4, s[0:1], v7, v4
	v_addc_co_u32_e64 v5, s[0:1], v10, v5, s[0:1]
	global_load_dword v1, v[4:5], off
	s_waitcnt vmcnt(0)
	v_mul_f32_e32 v1, s9, v1
	v_fmac_f32_e32 v1, s14, v9
	global_store_dword v[4:5], v1, off
.LBB35_6:
	s_or_b64 exec, exec, s[2:3]
	v_add_u32_e32 v4, 16, v0
	v_cmp_le_i32_e64 s[0:1], v4, v6
	s_and_b64 s[2:3], vcc, s[0:1]
	s_and_saveexec_b64 s[0:1], s[2:3]
	s_cbranch_execz .LBB35_8
; %bb.7:
	v_ashrrev_i32_e32 v5, 31, v4
	v_lshlrev_b64 v[11:12], 2, v[4:5]
	v_add_co_u32_e32 v9, vcc, v7, v11
	v_addc_co_u32_e32 v10, vcc, v10, v12, vcc
	global_load_dword v1, v[9:10], off
	s_waitcnt vmcnt(0)
	v_mul_f32_e32 v1, s9, v1
	v_fmac_f32_e32 v1, s14, v8
	global_store_dword v[9:10], v1, off
.LBB35_8:
	s_or_b64 exec, exec, s[0:1]
	v_add_u32_e32 v5, 16, v6
	v_mad_i64_i32 v[6:7], s[0:1], v5, s10, 0
	v_mov_b32_e32 v1, s5
	v_cmp_gt_i32_e32 vcc, s12, v5
	v_lshlrev_b64 v[6:7], 2, v[6:7]
	v_add_co_u32_e64 v6, s[0:1], s4, v6
	v_addc_co_u32_e64 v7, s[0:1], v1, v7, s[0:1]
	v_cmp_le_i32_e64 s[0:1], v0, v5
	s_and_b64 s[0:1], vcc, s[0:1]
	s_and_saveexec_b64 s[2:3], s[0:1]
	s_cbranch_execz .LBB35_10
; %bb.9:
	v_ashrrev_i32_e32 v1, 31, v0
	v_lshlrev_b64 v[0:1], 2, v[0:1]
	v_add_co_u32_e64 v0, s[0:1], v6, v0
	v_addc_co_u32_e64 v1, s[0:1], v7, v1, s[0:1]
	global_load_dword v8, v[0:1], off
	s_waitcnt vmcnt(0)
	v_mul_f32_e32 v8, s9, v8
	v_fmac_f32_e32 v8, s14, v2
	global_store_dword v[0:1], v8, off
.LBB35_10:
	s_or_b64 exec, exec, s[2:3]
	v_cmp_le_i32_e64 s[0:1], v4, v5
	s_and_b64 s[0:1], vcc, s[0:1]
	s_and_saveexec_b64 s[2:3], s[0:1]
	s_cbranch_execz .LBB35_12
; %bb.11:
	v_ashrrev_i32_e32 v5, 31, v4
	v_lshlrev_b64 v[0:1], 2, v[4:5]
	v_add_co_u32_e32 v0, vcc, v6, v0
	v_addc_co_u32_e32 v1, vcc, v7, v1, vcc
	global_load_dword v2, v[0:1], off
	s_waitcnt vmcnt(0)
	v_mul_f32_e32 v2, s9, v2
	v_fmac_f32_e32 v2, s14, v3
	global_store_dword v[0:1], v2, off
.LBB35_12:
	s_endpgm
	.section	.rodata,"a",@progbits
	.p2align	6, 0x0
	.amdhsa_kernel _ZL37rocblas_syrkx_herkx_restricted_kernelIifLi16ELi32ELi8ELb0ELb0ELc84ELc85EKffEviT_T0_PT8_S1_lS4_S1_lS2_PT9_S1_li
		.amdhsa_group_segment_fixed_size 2048
		.amdhsa_private_segment_fixed_size 0
		.amdhsa_kernarg_size 100
		.amdhsa_user_sgpr_count 6
		.amdhsa_user_sgpr_private_segment_buffer 1
		.amdhsa_user_sgpr_dispatch_ptr 0
		.amdhsa_user_sgpr_queue_ptr 0
		.amdhsa_user_sgpr_kernarg_segment_ptr 1
		.amdhsa_user_sgpr_dispatch_id 0
		.amdhsa_user_sgpr_flat_scratch_init 0
		.amdhsa_user_sgpr_private_segment_size 0
		.amdhsa_uses_dynamic_stack 0
		.amdhsa_system_sgpr_private_segment_wavefront_offset 0
		.amdhsa_system_sgpr_workgroup_id_x 1
		.amdhsa_system_sgpr_workgroup_id_y 1
		.amdhsa_system_sgpr_workgroup_id_z 1
		.amdhsa_system_sgpr_workgroup_info 0
		.amdhsa_system_vgpr_workitem_id 1
		.amdhsa_next_free_vgpr 26
		.amdhsa_next_free_sgpr 21
		.amdhsa_reserve_vcc 1
		.amdhsa_reserve_flat_scratch 0
		.amdhsa_float_round_mode_32 0
		.amdhsa_float_round_mode_16_64 0
		.amdhsa_float_denorm_mode_32 3
		.amdhsa_float_denorm_mode_16_64 3
		.amdhsa_dx10_clamp 1
		.amdhsa_ieee_mode 1
		.amdhsa_fp16_overflow 0
		.amdhsa_exception_fp_ieee_invalid_op 0
		.amdhsa_exception_fp_denorm_src 0
		.amdhsa_exception_fp_ieee_div_zero 0
		.amdhsa_exception_fp_ieee_overflow 0
		.amdhsa_exception_fp_ieee_underflow 0
		.amdhsa_exception_fp_ieee_inexact 0
		.amdhsa_exception_int_div_zero 0
	.end_amdhsa_kernel
	.section	.text._ZL37rocblas_syrkx_herkx_restricted_kernelIifLi16ELi32ELi8ELb0ELb0ELc84ELc85EKffEviT_T0_PT8_S1_lS4_S1_lS2_PT9_S1_li,"axG",@progbits,_ZL37rocblas_syrkx_herkx_restricted_kernelIifLi16ELi32ELi8ELb0ELb0ELc84ELc85EKffEviT_T0_PT8_S1_lS4_S1_lS2_PT9_S1_li,comdat
.Lfunc_end35:
	.size	_ZL37rocblas_syrkx_herkx_restricted_kernelIifLi16ELi32ELi8ELb0ELb0ELc84ELc85EKffEviT_T0_PT8_S1_lS4_S1_lS2_PT9_S1_li, .Lfunc_end35-_ZL37rocblas_syrkx_herkx_restricted_kernelIifLi16ELi32ELi8ELb0ELb0ELc84ELc85EKffEviT_T0_PT8_S1_lS4_S1_lS2_PT9_S1_li
                                        ; -- End function
	.set _ZL37rocblas_syrkx_herkx_restricted_kernelIifLi16ELi32ELi8ELb0ELb0ELc84ELc85EKffEviT_T0_PT8_S1_lS4_S1_lS2_PT9_S1_li.num_vgpr, 26
	.set _ZL37rocblas_syrkx_herkx_restricted_kernelIifLi16ELi32ELi8ELb0ELb0ELc84ELc85EKffEviT_T0_PT8_S1_lS4_S1_lS2_PT9_S1_li.num_agpr, 0
	.set _ZL37rocblas_syrkx_herkx_restricted_kernelIifLi16ELi32ELi8ELb0ELb0ELc84ELc85EKffEviT_T0_PT8_S1_lS4_S1_lS2_PT9_S1_li.numbered_sgpr, 21
	.set _ZL37rocblas_syrkx_herkx_restricted_kernelIifLi16ELi32ELi8ELb0ELb0ELc84ELc85EKffEviT_T0_PT8_S1_lS4_S1_lS2_PT9_S1_li.num_named_barrier, 0
	.set _ZL37rocblas_syrkx_herkx_restricted_kernelIifLi16ELi32ELi8ELb0ELb0ELc84ELc85EKffEviT_T0_PT8_S1_lS4_S1_lS2_PT9_S1_li.private_seg_size, 0
	.set _ZL37rocblas_syrkx_herkx_restricted_kernelIifLi16ELi32ELi8ELb0ELb0ELc84ELc85EKffEviT_T0_PT8_S1_lS4_S1_lS2_PT9_S1_li.uses_vcc, 1
	.set _ZL37rocblas_syrkx_herkx_restricted_kernelIifLi16ELi32ELi8ELb0ELb0ELc84ELc85EKffEviT_T0_PT8_S1_lS4_S1_lS2_PT9_S1_li.uses_flat_scratch, 0
	.set _ZL37rocblas_syrkx_herkx_restricted_kernelIifLi16ELi32ELi8ELb0ELb0ELc84ELc85EKffEviT_T0_PT8_S1_lS4_S1_lS2_PT9_S1_li.has_dyn_sized_stack, 0
	.set _ZL37rocblas_syrkx_herkx_restricted_kernelIifLi16ELi32ELi8ELb0ELb0ELc84ELc85EKffEviT_T0_PT8_S1_lS4_S1_lS2_PT9_S1_li.has_recursion, 0
	.set _ZL37rocblas_syrkx_herkx_restricted_kernelIifLi16ELi32ELi8ELb0ELb0ELc84ELc85EKffEviT_T0_PT8_S1_lS4_S1_lS2_PT9_S1_li.has_indirect_call, 0
	.section	.AMDGPU.csdata,"",@progbits
; Kernel info:
; codeLenInByte = 1128
; TotalNumSgprs: 25
; NumVgprs: 26
; ScratchSize: 0
; MemoryBound: 0
; FloatMode: 240
; IeeeMode: 1
; LDSByteSize: 2048 bytes/workgroup (compile time only)
; SGPRBlocks: 3
; VGPRBlocks: 6
; NumSGPRsForWavesPerEU: 25
; NumVGPRsForWavesPerEU: 26
; Occupancy: 9
; WaveLimiterHint : 0
; COMPUTE_PGM_RSRC2:SCRATCH_EN: 0
; COMPUTE_PGM_RSRC2:USER_SGPR: 6
; COMPUTE_PGM_RSRC2:TRAP_HANDLER: 0
; COMPUTE_PGM_RSRC2:TGID_X_EN: 1
; COMPUTE_PGM_RSRC2:TGID_Y_EN: 1
; COMPUTE_PGM_RSRC2:TGID_Z_EN: 1
; COMPUTE_PGM_RSRC2:TIDIG_COMP_CNT: 1
	.section	.text._ZL37rocblas_syrkx_herkx_restricted_kernelIifLi16ELi32ELi8ELb0ELb0ELc67ELc85EKffEviT_T0_PT8_S1_lS4_S1_lS2_PT9_S1_li,"axG",@progbits,_ZL37rocblas_syrkx_herkx_restricted_kernelIifLi16ELi32ELi8ELb0ELb0ELc67ELc85EKffEviT_T0_PT8_S1_lS4_S1_lS2_PT9_S1_li,comdat
	.globl	_ZL37rocblas_syrkx_herkx_restricted_kernelIifLi16ELi32ELi8ELb0ELb0ELc67ELc85EKffEviT_T0_PT8_S1_lS4_S1_lS2_PT9_S1_li ; -- Begin function _ZL37rocblas_syrkx_herkx_restricted_kernelIifLi16ELi32ELi8ELb0ELb0ELc67ELc85EKffEviT_T0_PT8_S1_lS4_S1_lS2_PT9_S1_li
	.p2align	8
	.type	_ZL37rocblas_syrkx_herkx_restricted_kernelIifLi16ELi32ELi8ELb0ELb0ELc67ELc85EKffEviT_T0_PT8_S1_lS4_S1_lS2_PT9_S1_li,@function
_ZL37rocblas_syrkx_herkx_restricted_kernelIifLi16ELi32ELi8ELb0ELb0ELc67ELc85EKffEviT_T0_PT8_S1_lS4_S1_lS2_PT9_S1_li: ; @_ZL37rocblas_syrkx_herkx_restricted_kernelIifLi16ELi32ELi8ELb0ELb0ELc67ELc85EKffEviT_T0_PT8_S1_lS4_S1_lS2_PT9_S1_li
; %bb.0:
	s_load_dwordx4 s[12:15], s[4:5], 0x0
	s_lshl_b32 s6, s6, 5
	s_lshl_b32 s7, s7, 5
	s_mov_b32 s9, 0
	s_waitcnt lgkmcnt(0)
	s_cmp_lt_i32 s13, 1
	s_cbranch_scc1 .LBB36_3
; %bb.1:
	v_lshl_add_u32 v3, v1, 4, v0
	v_and_b32_e32 v8, 31, v3
	s_load_dwordx2 s[10:11], s[4:5], 0x10
	s_load_dword s15, s[4:5], 0x18
	s_load_dwordx4 s[0:3], s[4:5], 0x20
	s_load_dword s18, s[4:5], 0x30
	s_load_dwordx2 s[16:17], s[4:5], 0x38
	v_lshrrev_b32_e32 v6, 5, v3
	v_and_b32_e32 v2, 7, v0
	v_lshlrev_b32_e32 v9, 2, v8
	v_lshrrev_b32_e32 v4, 3, v3
	v_lshl_or_b32 v10, v6, 7, v9
	v_lshlrev_b32_e32 v9, 2, v2
	v_add_u32_e32 v5, s7, v4
	v_lshl_or_b32 v4, v4, 5, v9
	v_mov_b32_e32 v3, 0
	v_add_u32_e32 v11, 0x400, v4
	v_mov_b32_e32 v4, 0x400
	v_lshl_add_u32 v13, v1, 5, v4
	s_waitcnt lgkmcnt(0)
	v_mad_i64_i32 v[4:5], s[18:19], s18, v5, v[2:3]
	s_mul_i32 s17, s17, s8
	s_mul_hi_u32 s20, s16, s8
	s_add_i32 s17, s20, s17
	s_mul_i32 s16, s16, s8
	s_lshl_b64 s[16:17], s[16:17], 2
	v_lshlrev_b64 v[4:5], 2, v[4:5]
	s_add_u32 s2, s2, s16
	s_addc_u32 s3, s3, s17
	v_mov_b32_e32 v2, s3
	v_add_co_u32_e32 v4, vcc, s2, v4
	v_mov_b32_e32 v7, v3
	v_addc_co_u32_e32 v5, vcc, v2, v5, vcc
	v_add_u32_e32 v2, s6, v8
	v_mad_i64_i32 v[6:7], s[2:3], s15, v2, v[6:7]
	s_mul_i32 s1, s1, s8
	s_mul_hi_u32 s16, s0, s8
	s_add_i32 s1, s16, s1
	s_mul_i32 s0, s0, s8
	s_lshl_b64 s[0:1], s[0:1], 2
	v_lshlrev_b64 v[6:7], 2, v[6:7]
	s_add_u32 s0, s10, s0
	s_addc_u32 s1, s11, s1
	v_mov_b32_e32 v2, s1
	v_add_co_u32_e32 v6, vcc, s0, v6
	v_lshlrev_b32_e32 v12, 2, v0
	v_addc_co_u32_e32 v7, vcc, v2, v7, vcc
	v_mov_b32_e32 v2, v3
	v_mov_b32_e32 v8, v3
	;; [unrolled: 1-line block ×3, first 2 shown]
.LBB36_2:                               ; =>This Inner Loop Header: Depth=1
	global_load_dword v14, v[6:7], off
	s_add_i32 s9, s9, 8
	v_add_co_u32_e64 v6, s[0:1], 32, v6
	s_cmp_ge_i32 s9, s13
	s_waitcnt vmcnt(0)
	ds_write_b32 v10, v14
	global_load_dword v14, v[4:5], off
	v_add_co_u32_e32 v4, vcc, 32, v4
	v_addc_co_u32_e32 v5, vcc, 0, v5, vcc
	v_addc_co_u32_e64 v7, vcc, 0, v7, s[0:1]
	s_waitcnt vmcnt(0)
	ds_write_b32 v11, v14
	s_waitcnt lgkmcnt(0)
	s_barrier
	ds_read2_b32 v[18:19], v12 offset1:16
	ds_read_b128 v[14:17], v13
	ds_read2_b32 v[20:21], v12 offset0:32 offset1:48
	ds_read2_b32 v[22:23], v12 offset0:64 offset1:80
	;; [unrolled: 1-line block ×3, first 2 shown]
	s_waitcnt lgkmcnt(3)
	v_fmac_f32_e32 v9, v18, v14
	v_fmac_f32_e32 v8, v19, v14
	s_waitcnt lgkmcnt(2)
	v_fmac_f32_e32 v9, v20, v15
	v_fmac_f32_e32 v8, v21, v15
	;; [unrolled: 3-line block ×4, first 2 shown]
	ds_read_b128 v[14:17], v13 offset:512
	s_waitcnt lgkmcnt(0)
	v_fmac_f32_e32 v2, v18, v14
	v_fmac_f32_e32 v3, v19, v14
	;; [unrolled: 1-line block ×8, first 2 shown]
	ds_read2_b32 v[18:19], v12 offset0:128 offset1:144
	ds_read_b128 v[14:17], v13 offset:16
	ds_read2_b32 v[20:21], v12 offset0:160 offset1:176
	ds_read2_b32 v[22:23], v12 offset0:192 offset1:208
	;; [unrolled: 1-line block ×3, first 2 shown]
	s_waitcnt lgkmcnt(3)
	v_fmac_f32_e32 v9, v18, v14
	v_fmac_f32_e32 v8, v19, v14
	s_waitcnt lgkmcnt(2)
	v_fmac_f32_e32 v9, v20, v15
	v_fmac_f32_e32 v8, v21, v15
	;; [unrolled: 3-line block ×4, first 2 shown]
	ds_read_b128 v[14:17], v13 offset:528
	s_waitcnt lgkmcnt(0)
	s_barrier
	v_fmac_f32_e32 v2, v18, v14
	v_fmac_f32_e32 v3, v19, v14
	;; [unrolled: 1-line block ×8, first 2 shown]
	s_cbranch_scc0 .LBB36_2
	s_branch .LBB36_4
.LBB36_3:
	v_mov_b32_e32 v9, 0
	v_mov_b32_e32 v8, 0
	;; [unrolled: 1-line block ×4, first 2 shown]
.LBB36_4:
	s_load_dwordx2 s[0:1], s[4:5], 0x58
	s_load_dword s9, s[4:5], 0x40
	s_load_dwordx2 s[2:3], s[4:5], 0x48
	s_load_dword s10, s[4:5], 0x50
	v_add_u32_e32 v6, s7, v1
	s_waitcnt lgkmcnt(0)
	s_mul_i32 s1, s1, s8
	s_mul_hi_u32 s4, s0, s8
	s_add_i32 s1, s4, s1
	v_mad_i64_i32 v[4:5], s[16:17], v6, s10, 0
	s_mul_i32 s0, s0, s8
	s_lshl_b64 s[0:1], s[0:1], 2
	s_add_u32 s4, s2, s0
	v_lshlrev_b64 v[4:5], 2, v[4:5]
	s_addc_u32 s5, s3, s1
	v_mov_b32_e32 v1, s5
	v_add_co_u32_e64 v7, s[0:1], s4, v4
	v_add_u32_e32 v0, s6, v0
	v_addc_co_u32_e64 v10, s[0:1], v1, v5, s[0:1]
	v_cmp_gt_i32_e32 vcc, s12, v6
	v_cmp_le_i32_e64 s[0:1], v0, v6
	s_and_b64 s[0:1], vcc, s[0:1]
	s_and_saveexec_b64 s[2:3], s[0:1]
	s_cbranch_execz .LBB36_6
; %bb.5:
	v_ashrrev_i32_e32 v1, 31, v0
	v_lshlrev_b64 v[4:5], 2, v[0:1]
	v_add_co_u32_e64 v4, s[0:1], v7, v4
	v_addc_co_u32_e64 v5, s[0:1], v10, v5, s[0:1]
	global_load_dword v1, v[4:5], off
	s_waitcnt vmcnt(0)
	v_mul_f32_e32 v1, s9, v1
	v_fmac_f32_e32 v1, s14, v9
	global_store_dword v[4:5], v1, off
.LBB36_6:
	s_or_b64 exec, exec, s[2:3]
	v_add_u32_e32 v4, 16, v0
	v_cmp_le_i32_e64 s[0:1], v4, v6
	s_and_b64 s[2:3], vcc, s[0:1]
	s_and_saveexec_b64 s[0:1], s[2:3]
	s_cbranch_execz .LBB36_8
; %bb.7:
	v_ashrrev_i32_e32 v5, 31, v4
	v_lshlrev_b64 v[11:12], 2, v[4:5]
	v_add_co_u32_e32 v9, vcc, v7, v11
	v_addc_co_u32_e32 v10, vcc, v10, v12, vcc
	global_load_dword v1, v[9:10], off
	s_waitcnt vmcnt(0)
	v_mul_f32_e32 v1, s9, v1
	v_fmac_f32_e32 v1, s14, v8
	global_store_dword v[9:10], v1, off
.LBB36_8:
	s_or_b64 exec, exec, s[0:1]
	v_add_u32_e32 v5, 16, v6
	v_mad_i64_i32 v[6:7], s[0:1], v5, s10, 0
	v_mov_b32_e32 v1, s5
	v_cmp_gt_i32_e32 vcc, s12, v5
	v_lshlrev_b64 v[6:7], 2, v[6:7]
	v_add_co_u32_e64 v6, s[0:1], s4, v6
	v_addc_co_u32_e64 v7, s[0:1], v1, v7, s[0:1]
	v_cmp_le_i32_e64 s[0:1], v0, v5
	s_and_b64 s[0:1], vcc, s[0:1]
	s_and_saveexec_b64 s[2:3], s[0:1]
	s_cbranch_execz .LBB36_10
; %bb.9:
	v_ashrrev_i32_e32 v1, 31, v0
	v_lshlrev_b64 v[0:1], 2, v[0:1]
	v_add_co_u32_e64 v0, s[0:1], v6, v0
	v_addc_co_u32_e64 v1, s[0:1], v7, v1, s[0:1]
	global_load_dword v8, v[0:1], off
	s_waitcnt vmcnt(0)
	v_mul_f32_e32 v8, s9, v8
	v_fmac_f32_e32 v8, s14, v2
	global_store_dword v[0:1], v8, off
.LBB36_10:
	s_or_b64 exec, exec, s[2:3]
	v_cmp_le_i32_e64 s[0:1], v4, v5
	s_and_b64 s[0:1], vcc, s[0:1]
	s_and_saveexec_b64 s[2:3], s[0:1]
	s_cbranch_execz .LBB36_12
; %bb.11:
	v_ashrrev_i32_e32 v5, 31, v4
	v_lshlrev_b64 v[0:1], 2, v[4:5]
	v_add_co_u32_e32 v0, vcc, v6, v0
	v_addc_co_u32_e32 v1, vcc, v7, v1, vcc
	global_load_dword v2, v[0:1], off
	s_waitcnt vmcnt(0)
	v_mul_f32_e32 v2, s9, v2
	v_fmac_f32_e32 v2, s14, v3
	global_store_dword v[0:1], v2, off
.LBB36_12:
	s_endpgm
	.section	.rodata,"a",@progbits
	.p2align	6, 0x0
	.amdhsa_kernel _ZL37rocblas_syrkx_herkx_restricted_kernelIifLi16ELi32ELi8ELb0ELb0ELc67ELc85EKffEviT_T0_PT8_S1_lS4_S1_lS2_PT9_S1_li
		.amdhsa_group_segment_fixed_size 2048
		.amdhsa_private_segment_fixed_size 0
		.amdhsa_kernarg_size 100
		.amdhsa_user_sgpr_count 6
		.amdhsa_user_sgpr_private_segment_buffer 1
		.amdhsa_user_sgpr_dispatch_ptr 0
		.amdhsa_user_sgpr_queue_ptr 0
		.amdhsa_user_sgpr_kernarg_segment_ptr 1
		.amdhsa_user_sgpr_dispatch_id 0
		.amdhsa_user_sgpr_flat_scratch_init 0
		.amdhsa_user_sgpr_private_segment_size 0
		.amdhsa_uses_dynamic_stack 0
		.amdhsa_system_sgpr_private_segment_wavefront_offset 0
		.amdhsa_system_sgpr_workgroup_id_x 1
		.amdhsa_system_sgpr_workgroup_id_y 1
		.amdhsa_system_sgpr_workgroup_id_z 1
		.amdhsa_system_sgpr_workgroup_info 0
		.amdhsa_system_vgpr_workitem_id 1
		.amdhsa_next_free_vgpr 26
		.amdhsa_next_free_sgpr 21
		.amdhsa_reserve_vcc 1
		.amdhsa_reserve_flat_scratch 0
		.amdhsa_float_round_mode_32 0
		.amdhsa_float_round_mode_16_64 0
		.amdhsa_float_denorm_mode_32 3
		.amdhsa_float_denorm_mode_16_64 3
		.amdhsa_dx10_clamp 1
		.amdhsa_ieee_mode 1
		.amdhsa_fp16_overflow 0
		.amdhsa_exception_fp_ieee_invalid_op 0
		.amdhsa_exception_fp_denorm_src 0
		.amdhsa_exception_fp_ieee_div_zero 0
		.amdhsa_exception_fp_ieee_overflow 0
		.amdhsa_exception_fp_ieee_underflow 0
		.amdhsa_exception_fp_ieee_inexact 0
		.amdhsa_exception_int_div_zero 0
	.end_amdhsa_kernel
	.section	.text._ZL37rocblas_syrkx_herkx_restricted_kernelIifLi16ELi32ELi8ELb0ELb0ELc67ELc85EKffEviT_T0_PT8_S1_lS4_S1_lS2_PT9_S1_li,"axG",@progbits,_ZL37rocblas_syrkx_herkx_restricted_kernelIifLi16ELi32ELi8ELb0ELb0ELc67ELc85EKffEviT_T0_PT8_S1_lS4_S1_lS2_PT9_S1_li,comdat
.Lfunc_end36:
	.size	_ZL37rocblas_syrkx_herkx_restricted_kernelIifLi16ELi32ELi8ELb0ELb0ELc67ELc85EKffEviT_T0_PT8_S1_lS4_S1_lS2_PT9_S1_li, .Lfunc_end36-_ZL37rocblas_syrkx_herkx_restricted_kernelIifLi16ELi32ELi8ELb0ELb0ELc67ELc85EKffEviT_T0_PT8_S1_lS4_S1_lS2_PT9_S1_li
                                        ; -- End function
	.set _ZL37rocblas_syrkx_herkx_restricted_kernelIifLi16ELi32ELi8ELb0ELb0ELc67ELc85EKffEviT_T0_PT8_S1_lS4_S1_lS2_PT9_S1_li.num_vgpr, 26
	.set _ZL37rocblas_syrkx_herkx_restricted_kernelIifLi16ELi32ELi8ELb0ELb0ELc67ELc85EKffEviT_T0_PT8_S1_lS4_S1_lS2_PT9_S1_li.num_agpr, 0
	.set _ZL37rocblas_syrkx_herkx_restricted_kernelIifLi16ELi32ELi8ELb0ELb0ELc67ELc85EKffEviT_T0_PT8_S1_lS4_S1_lS2_PT9_S1_li.numbered_sgpr, 21
	.set _ZL37rocblas_syrkx_herkx_restricted_kernelIifLi16ELi32ELi8ELb0ELb0ELc67ELc85EKffEviT_T0_PT8_S1_lS4_S1_lS2_PT9_S1_li.num_named_barrier, 0
	.set _ZL37rocblas_syrkx_herkx_restricted_kernelIifLi16ELi32ELi8ELb0ELb0ELc67ELc85EKffEviT_T0_PT8_S1_lS4_S1_lS2_PT9_S1_li.private_seg_size, 0
	.set _ZL37rocblas_syrkx_herkx_restricted_kernelIifLi16ELi32ELi8ELb0ELb0ELc67ELc85EKffEviT_T0_PT8_S1_lS4_S1_lS2_PT9_S1_li.uses_vcc, 1
	.set _ZL37rocblas_syrkx_herkx_restricted_kernelIifLi16ELi32ELi8ELb0ELb0ELc67ELc85EKffEviT_T0_PT8_S1_lS4_S1_lS2_PT9_S1_li.uses_flat_scratch, 0
	.set _ZL37rocblas_syrkx_herkx_restricted_kernelIifLi16ELi32ELi8ELb0ELb0ELc67ELc85EKffEviT_T0_PT8_S1_lS4_S1_lS2_PT9_S1_li.has_dyn_sized_stack, 0
	.set _ZL37rocblas_syrkx_herkx_restricted_kernelIifLi16ELi32ELi8ELb0ELb0ELc67ELc85EKffEviT_T0_PT8_S1_lS4_S1_lS2_PT9_S1_li.has_recursion, 0
	.set _ZL37rocblas_syrkx_herkx_restricted_kernelIifLi16ELi32ELi8ELb0ELb0ELc67ELc85EKffEviT_T0_PT8_S1_lS4_S1_lS2_PT9_S1_li.has_indirect_call, 0
	.section	.AMDGPU.csdata,"",@progbits
; Kernel info:
; codeLenInByte = 1128
; TotalNumSgprs: 25
; NumVgprs: 26
; ScratchSize: 0
; MemoryBound: 0
; FloatMode: 240
; IeeeMode: 1
; LDSByteSize: 2048 bytes/workgroup (compile time only)
; SGPRBlocks: 3
; VGPRBlocks: 6
; NumSGPRsForWavesPerEU: 25
; NumVGPRsForWavesPerEU: 26
; Occupancy: 9
; WaveLimiterHint : 0
; COMPUTE_PGM_RSRC2:SCRATCH_EN: 0
; COMPUTE_PGM_RSRC2:USER_SGPR: 6
; COMPUTE_PGM_RSRC2:TRAP_HANDLER: 0
; COMPUTE_PGM_RSRC2:TGID_X_EN: 1
; COMPUTE_PGM_RSRC2:TGID_Y_EN: 1
; COMPUTE_PGM_RSRC2:TGID_Z_EN: 1
; COMPUTE_PGM_RSRC2:TIDIG_COMP_CNT: 1
	.section	.text._ZL37rocblas_syrkx_herkx_restricted_kernelIifLi16ELi32ELi8ELb0ELb0ELc78ELc85EKffEviT_T0_PT8_S1_lS4_S1_lS2_PT9_S1_li,"axG",@progbits,_ZL37rocblas_syrkx_herkx_restricted_kernelIifLi16ELi32ELi8ELb0ELb0ELc78ELc85EKffEviT_T0_PT8_S1_lS4_S1_lS2_PT9_S1_li,comdat
	.globl	_ZL37rocblas_syrkx_herkx_restricted_kernelIifLi16ELi32ELi8ELb0ELb0ELc78ELc85EKffEviT_T0_PT8_S1_lS4_S1_lS2_PT9_S1_li ; -- Begin function _ZL37rocblas_syrkx_herkx_restricted_kernelIifLi16ELi32ELi8ELb0ELb0ELc78ELc85EKffEviT_T0_PT8_S1_lS4_S1_lS2_PT9_S1_li
	.p2align	8
	.type	_ZL37rocblas_syrkx_herkx_restricted_kernelIifLi16ELi32ELi8ELb0ELb0ELc78ELc85EKffEviT_T0_PT8_S1_lS4_S1_lS2_PT9_S1_li,@function
_ZL37rocblas_syrkx_herkx_restricted_kernelIifLi16ELi32ELi8ELb0ELb0ELc78ELc85EKffEviT_T0_PT8_S1_lS4_S1_lS2_PT9_S1_li: ; @_ZL37rocblas_syrkx_herkx_restricted_kernelIifLi16ELi32ELi8ELb0ELb0ELc78ELc85EKffEviT_T0_PT8_S1_lS4_S1_lS2_PT9_S1_li
; %bb.0:
	s_load_dwordx4 s[12:15], s[4:5], 0x0
	s_lshl_b32 s9, s6, 5
	s_lshl_b32 s10, s7, 5
	s_mov_b32 s11, 0
	s_waitcnt lgkmcnt(0)
	s_cmp_lt_i32 s13, 1
	s_cbranch_scc1 .LBB37_3
; %bb.1:
	s_load_dword s6, s[4:5], 0x18
	s_load_dword s16, s[4:5], 0x30
	s_load_dwordx2 s[18:19], s[4:5], 0x10
	s_load_dwordx4 s[0:3], s[4:5], 0x20
	s_load_dwordx2 s[20:21], s[4:5], 0x38
	v_lshl_add_u32 v2, v1, 4, v0
	v_lshrrev_b32_e32 v4, 3, v2
	v_lshrrev_b32_e32 v6, 5, v2
	v_and_b32_e32 v7, 31, v2
	v_add_u32_e32 v2, s10, v4
	v_and_b32_e32 v5, 7, v0
	v_ashrrev_i32_e32 v3, 31, v2
	s_waitcnt lgkmcnt(0)
	v_mad_i64_i32 v[2:3], s[22:23], s16, v5, v[2:3]
	s_mul_i32 s15, s21, s8
	s_mul_hi_u32 s21, s20, s8
	v_lshlrev_b32_e32 v8, 2, v7
	s_add_i32 s21, s21, s15
	s_mul_i32 s20, s20, s8
	s_ashr_i32 s7, s6, 31
	s_ashr_i32 s17, s16, 31
	v_lshl_or_b32 v10, v6, 7, v8
	v_lshlrev_b32_e32 v8, 2, v5
	s_lshl_b64 s[20:21], s[20:21], 2
	v_lshl_or_b32 v4, v4, 5, v8
	v_lshlrev_b64 v[2:3], 2, v[2:3]
	s_add_u32 s2, s2, s20
	v_add_u32_e32 v11, 0x400, v4
	v_mov_b32_e32 v4, 0x400
	s_addc_u32 s3, s3, s21
	v_lshl_add_u32 v13, v1, 5, v4
	v_mov_b32_e32 v4, s3
	v_add_co_u32_e32 v2, vcc, s2, v2
	v_addc_co_u32_e32 v3, vcc, v4, v3, vcc
	v_add_u32_e32 v4, s9, v7
	v_ashrrev_i32_e32 v5, 31, v4
	s_lshl_b64 s[2:3], s[16:17], 5
	v_mad_i64_i32 v[4:5], s[16:17], s6, v6, v[4:5]
	s_mul_i32 s1, s1, s8
	s_mul_hi_u32 s15, s0, s8
	s_add_i32 s1, s15, s1
	s_mul_i32 s0, s0, s8
	s_lshl_b64 s[0:1], s[0:1], 2
	v_lshlrev_b64 v[4:5], 2, v[4:5]
	s_add_u32 s0, s18, s0
	s_addc_u32 s1, s19, s1
	v_mov_b32_e32 v6, s1
	v_add_co_u32_e32 v4, vcc, s0, v4
	s_lshl_b64 s[6:7], s[6:7], 5
	v_lshlrev_b32_e32 v12, 2, v0
	v_addc_co_u32_e32 v5, vcc, v6, v5, vcc
	v_mov_b32_e32 v6, 0
	v_mov_b32_e32 v14, s3
	;; [unrolled: 1-line block ×6, first 2 shown]
.LBB37_2:                               ; =>This Inner Loop Header: Depth=1
	global_load_dword v16, v[4:5], off
	global_load_dword v17, v[2:3], off
	s_add_i32 s11, s11, 8
	v_add_co_u32_e32 v2, vcc, s2, v2
	v_add_co_u32_e64 v4, s[0:1], s6, v4
	v_addc_co_u32_e32 v3, vcc, v3, v14, vcc
	v_addc_co_u32_e64 v5, vcc, v5, v15, s[0:1]
	s_cmp_ge_i32 s11, s13
	s_waitcnt vmcnt(1)
	ds_write_b32 v10, v16
	s_waitcnt vmcnt(0)
	ds_write_b32 v11, v17
	s_waitcnt lgkmcnt(0)
	s_barrier
	ds_read2_b32 v[20:21], v12 offset1:16
	ds_read_b128 v[16:19], v13
	ds_read2_b32 v[22:23], v12 offset0:32 offset1:48
	ds_read2_b32 v[24:25], v12 offset0:64 offset1:80
	;; [unrolled: 1-line block ×3, first 2 shown]
	s_waitcnt lgkmcnt(3)
	v_fmac_f32_e32 v9, v20, v16
	v_fmac_f32_e32 v8, v21, v16
	s_waitcnt lgkmcnt(2)
	v_fmac_f32_e32 v9, v22, v17
	v_fmac_f32_e32 v8, v23, v17
	;; [unrolled: 3-line block ×4, first 2 shown]
	ds_read_b128 v[16:19], v13 offset:512
	s_waitcnt lgkmcnt(0)
	v_fmac_f32_e32 v7, v20, v16
	v_fmac_f32_e32 v6, v21, v16
	;; [unrolled: 1-line block ×8, first 2 shown]
	ds_read2_b32 v[20:21], v12 offset0:128 offset1:144
	ds_read_b128 v[16:19], v13 offset:16
	ds_read2_b32 v[22:23], v12 offset0:160 offset1:176
	ds_read2_b32 v[24:25], v12 offset0:192 offset1:208
	;; [unrolled: 1-line block ×3, first 2 shown]
	s_waitcnt lgkmcnt(3)
	v_fmac_f32_e32 v9, v20, v16
	v_fmac_f32_e32 v8, v21, v16
	s_waitcnt lgkmcnt(2)
	v_fmac_f32_e32 v9, v22, v17
	v_fmac_f32_e32 v8, v23, v17
	;; [unrolled: 3-line block ×4, first 2 shown]
	ds_read_b128 v[16:19], v13 offset:528
	s_waitcnt lgkmcnt(0)
	s_barrier
	v_fmac_f32_e32 v7, v20, v16
	v_fmac_f32_e32 v6, v21, v16
	;; [unrolled: 1-line block ×8, first 2 shown]
	s_cbranch_scc0 .LBB37_2
	s_branch .LBB37_4
.LBB37_3:
	v_mov_b32_e32 v9, 0
	v_mov_b32_e32 v8, 0
	;; [unrolled: 1-line block ×4, first 2 shown]
.LBB37_4:
	s_load_dwordx2 s[0:1], s[4:5], 0x58
	s_load_dword s6, s[4:5], 0x40
	s_load_dwordx2 s[2:3], s[4:5], 0x48
	s_load_dword s7, s[4:5], 0x50
	v_add_u32_e32 v4, s10, v1
	s_waitcnt lgkmcnt(0)
	s_mul_i32 s1, s1, s8
	s_mul_hi_u32 s4, s0, s8
	s_add_i32 s1, s4, s1
	v_mad_i64_i32 v[1:2], s[10:11], v4, s7, 0
	s_mul_i32 s0, s0, s8
	s_lshl_b64 s[0:1], s[0:1], 2
	s_add_u32 s4, s2, s0
	v_lshlrev_b64 v[1:2], 2, v[1:2]
	s_addc_u32 s5, s3, s1
	v_mov_b32_e32 v3, s5
	v_add_co_u32_e64 v5, s[0:1], s4, v1
	v_add_u32_e32 v0, s9, v0
	v_addc_co_u32_e64 v10, s[0:1], v3, v2, s[0:1]
	v_cmp_gt_i32_e32 vcc, s12, v4
	v_cmp_le_i32_e64 s[0:1], v0, v4
	s_and_b64 s[0:1], vcc, s[0:1]
	s_and_saveexec_b64 s[2:3], s[0:1]
	s_cbranch_execz .LBB37_6
; %bb.5:
	v_ashrrev_i32_e32 v1, 31, v0
	v_lshlrev_b64 v[1:2], 2, v[0:1]
	v_add_co_u32_e64 v1, s[0:1], v5, v1
	v_addc_co_u32_e64 v2, s[0:1], v10, v2, s[0:1]
	global_load_dword v3, v[1:2], off
	s_waitcnt vmcnt(0)
	v_mul_f32_e32 v3, s6, v3
	v_fmac_f32_e32 v3, s14, v9
	global_store_dword v[1:2], v3, off
.LBB37_6:
	s_or_b64 exec, exec, s[2:3]
	v_add_u32_e32 v2, 16, v0
	v_cmp_le_i32_e64 s[0:1], v2, v4
	s_and_b64 s[2:3], vcc, s[0:1]
	s_and_saveexec_b64 s[0:1], s[2:3]
	s_cbranch_execz .LBB37_8
; %bb.7:
	v_ashrrev_i32_e32 v3, 31, v2
	v_lshlrev_b64 v[11:12], 2, v[2:3]
	v_add_co_u32_e32 v9, vcc, v5, v11
	v_addc_co_u32_e32 v10, vcc, v10, v12, vcc
	global_load_dword v1, v[9:10], off
	s_waitcnt vmcnt(0)
	v_mul_f32_e32 v1, s6, v1
	v_fmac_f32_e32 v1, s14, v8
	global_store_dword v[9:10], v1, off
.LBB37_8:
	s_or_b64 exec, exec, s[0:1]
	v_add_u32_e32 v3, 16, v4
	v_mad_i64_i32 v[4:5], s[0:1], v3, s7, 0
	v_mov_b32_e32 v1, s5
	v_cmp_gt_i32_e32 vcc, s12, v3
	v_lshlrev_b64 v[4:5], 2, v[4:5]
	v_add_co_u32_e64 v4, s[0:1], s4, v4
	v_addc_co_u32_e64 v5, s[0:1], v1, v5, s[0:1]
	v_cmp_le_i32_e64 s[0:1], v0, v3
	s_and_b64 s[0:1], vcc, s[0:1]
	s_and_saveexec_b64 s[2:3], s[0:1]
	s_cbranch_execz .LBB37_10
; %bb.9:
	v_ashrrev_i32_e32 v1, 31, v0
	v_lshlrev_b64 v[0:1], 2, v[0:1]
	v_add_co_u32_e64 v0, s[0:1], v4, v0
	v_addc_co_u32_e64 v1, s[0:1], v5, v1, s[0:1]
	global_load_dword v8, v[0:1], off
	s_waitcnt vmcnt(0)
	v_mul_f32_e32 v8, s6, v8
	v_fmac_f32_e32 v8, s14, v7
	global_store_dword v[0:1], v8, off
.LBB37_10:
	s_or_b64 exec, exec, s[2:3]
	v_cmp_le_i32_e64 s[0:1], v2, v3
	s_and_b64 s[0:1], vcc, s[0:1]
	s_and_saveexec_b64 s[2:3], s[0:1]
	s_cbranch_execz .LBB37_12
; %bb.11:
	v_ashrrev_i32_e32 v3, 31, v2
	v_lshlrev_b64 v[0:1], 2, v[2:3]
	v_add_co_u32_e32 v0, vcc, v4, v0
	v_addc_co_u32_e32 v1, vcc, v5, v1, vcc
	global_load_dword v2, v[0:1], off
	s_waitcnt vmcnt(0)
	v_mul_f32_e32 v2, s6, v2
	v_fmac_f32_e32 v2, s14, v6
	global_store_dword v[0:1], v2, off
.LBB37_12:
	s_endpgm
	.section	.rodata,"a",@progbits
	.p2align	6, 0x0
	.amdhsa_kernel _ZL37rocblas_syrkx_herkx_restricted_kernelIifLi16ELi32ELi8ELb0ELb0ELc78ELc85EKffEviT_T0_PT8_S1_lS4_S1_lS2_PT9_S1_li
		.amdhsa_group_segment_fixed_size 2048
		.amdhsa_private_segment_fixed_size 0
		.amdhsa_kernarg_size 100
		.amdhsa_user_sgpr_count 6
		.amdhsa_user_sgpr_private_segment_buffer 1
		.amdhsa_user_sgpr_dispatch_ptr 0
		.amdhsa_user_sgpr_queue_ptr 0
		.amdhsa_user_sgpr_kernarg_segment_ptr 1
		.amdhsa_user_sgpr_dispatch_id 0
		.amdhsa_user_sgpr_flat_scratch_init 0
		.amdhsa_user_sgpr_private_segment_size 0
		.amdhsa_uses_dynamic_stack 0
		.amdhsa_system_sgpr_private_segment_wavefront_offset 0
		.amdhsa_system_sgpr_workgroup_id_x 1
		.amdhsa_system_sgpr_workgroup_id_y 1
		.amdhsa_system_sgpr_workgroup_id_z 1
		.amdhsa_system_sgpr_workgroup_info 0
		.amdhsa_system_vgpr_workitem_id 1
		.amdhsa_next_free_vgpr 28
		.amdhsa_next_free_sgpr 24
		.amdhsa_reserve_vcc 1
		.amdhsa_reserve_flat_scratch 0
		.amdhsa_float_round_mode_32 0
		.amdhsa_float_round_mode_16_64 0
		.amdhsa_float_denorm_mode_32 3
		.amdhsa_float_denorm_mode_16_64 3
		.amdhsa_dx10_clamp 1
		.amdhsa_ieee_mode 1
		.amdhsa_fp16_overflow 0
		.amdhsa_exception_fp_ieee_invalid_op 0
		.amdhsa_exception_fp_denorm_src 0
		.amdhsa_exception_fp_ieee_div_zero 0
		.amdhsa_exception_fp_ieee_overflow 0
		.amdhsa_exception_fp_ieee_underflow 0
		.amdhsa_exception_fp_ieee_inexact 0
		.amdhsa_exception_int_div_zero 0
	.end_amdhsa_kernel
	.section	.text._ZL37rocblas_syrkx_herkx_restricted_kernelIifLi16ELi32ELi8ELb0ELb0ELc78ELc85EKffEviT_T0_PT8_S1_lS4_S1_lS2_PT9_S1_li,"axG",@progbits,_ZL37rocblas_syrkx_herkx_restricted_kernelIifLi16ELi32ELi8ELb0ELb0ELc78ELc85EKffEviT_T0_PT8_S1_lS4_S1_lS2_PT9_S1_li,comdat
.Lfunc_end37:
	.size	_ZL37rocblas_syrkx_herkx_restricted_kernelIifLi16ELi32ELi8ELb0ELb0ELc78ELc85EKffEviT_T0_PT8_S1_lS4_S1_lS2_PT9_S1_li, .Lfunc_end37-_ZL37rocblas_syrkx_herkx_restricted_kernelIifLi16ELi32ELi8ELb0ELb0ELc78ELc85EKffEviT_T0_PT8_S1_lS4_S1_lS2_PT9_S1_li
                                        ; -- End function
	.set _ZL37rocblas_syrkx_herkx_restricted_kernelIifLi16ELi32ELi8ELb0ELb0ELc78ELc85EKffEviT_T0_PT8_S1_lS4_S1_lS2_PT9_S1_li.num_vgpr, 28
	.set _ZL37rocblas_syrkx_herkx_restricted_kernelIifLi16ELi32ELi8ELb0ELb0ELc78ELc85EKffEviT_T0_PT8_S1_lS4_S1_lS2_PT9_S1_li.num_agpr, 0
	.set _ZL37rocblas_syrkx_herkx_restricted_kernelIifLi16ELi32ELi8ELb0ELb0ELc78ELc85EKffEviT_T0_PT8_S1_lS4_S1_lS2_PT9_S1_li.numbered_sgpr, 24
	.set _ZL37rocblas_syrkx_herkx_restricted_kernelIifLi16ELi32ELi8ELb0ELb0ELc78ELc85EKffEviT_T0_PT8_S1_lS4_S1_lS2_PT9_S1_li.num_named_barrier, 0
	.set _ZL37rocblas_syrkx_herkx_restricted_kernelIifLi16ELi32ELi8ELb0ELb0ELc78ELc85EKffEviT_T0_PT8_S1_lS4_S1_lS2_PT9_S1_li.private_seg_size, 0
	.set _ZL37rocblas_syrkx_herkx_restricted_kernelIifLi16ELi32ELi8ELb0ELb0ELc78ELc85EKffEviT_T0_PT8_S1_lS4_S1_lS2_PT9_S1_li.uses_vcc, 1
	.set _ZL37rocblas_syrkx_herkx_restricted_kernelIifLi16ELi32ELi8ELb0ELb0ELc78ELc85EKffEviT_T0_PT8_S1_lS4_S1_lS2_PT9_S1_li.uses_flat_scratch, 0
	.set _ZL37rocblas_syrkx_herkx_restricted_kernelIifLi16ELi32ELi8ELb0ELb0ELc78ELc85EKffEviT_T0_PT8_S1_lS4_S1_lS2_PT9_S1_li.has_dyn_sized_stack, 0
	.set _ZL37rocblas_syrkx_herkx_restricted_kernelIifLi16ELi32ELi8ELb0ELb0ELc78ELc85EKffEviT_T0_PT8_S1_lS4_S1_lS2_PT9_S1_li.has_recursion, 0
	.set _ZL37rocblas_syrkx_herkx_restricted_kernelIifLi16ELi32ELi8ELb0ELb0ELc78ELc85EKffEviT_T0_PT8_S1_lS4_S1_lS2_PT9_S1_li.has_indirect_call, 0
	.section	.AMDGPU.csdata,"",@progbits
; Kernel info:
; codeLenInByte = 1156
; TotalNumSgprs: 28
; NumVgprs: 28
; ScratchSize: 0
; MemoryBound: 0
; FloatMode: 240
; IeeeMode: 1
; LDSByteSize: 2048 bytes/workgroup (compile time only)
; SGPRBlocks: 3
; VGPRBlocks: 6
; NumSGPRsForWavesPerEU: 28
; NumVGPRsForWavesPerEU: 28
; Occupancy: 9
; WaveLimiterHint : 0
; COMPUTE_PGM_RSRC2:SCRATCH_EN: 0
; COMPUTE_PGM_RSRC2:USER_SGPR: 6
; COMPUTE_PGM_RSRC2:TRAP_HANDLER: 0
; COMPUTE_PGM_RSRC2:TGID_X_EN: 1
; COMPUTE_PGM_RSRC2:TGID_Y_EN: 1
; COMPUTE_PGM_RSRC2:TGID_Z_EN: 1
; COMPUTE_PGM_RSRC2:TIDIG_COMP_CNT: 1
	.section	.text._ZL41rocblas_syrkx_herkx_small_restrict_kernelIifLi16ELb1ELb0ELc84ELc76EKffEviT_T0_PT6_S1_lS4_S1_lS2_PT7_S1_li,"axG",@progbits,_ZL41rocblas_syrkx_herkx_small_restrict_kernelIifLi16ELb1ELb0ELc84ELc76EKffEviT_T0_PT6_S1_lS4_S1_lS2_PT7_S1_li,comdat
	.globl	_ZL41rocblas_syrkx_herkx_small_restrict_kernelIifLi16ELb1ELb0ELc84ELc76EKffEviT_T0_PT6_S1_lS4_S1_lS2_PT7_S1_li ; -- Begin function _ZL41rocblas_syrkx_herkx_small_restrict_kernelIifLi16ELb1ELb0ELc84ELc76EKffEviT_T0_PT6_S1_lS4_S1_lS2_PT7_S1_li
	.p2align	8
	.type	_ZL41rocblas_syrkx_herkx_small_restrict_kernelIifLi16ELb1ELb0ELc84ELc76EKffEviT_T0_PT6_S1_lS4_S1_lS2_PT7_S1_li,@function
_ZL41rocblas_syrkx_herkx_small_restrict_kernelIifLi16ELb1ELb0ELc84ELc76EKffEviT_T0_PT6_S1_lS4_S1_lS2_PT7_S1_li: ; @_ZL41rocblas_syrkx_herkx_small_restrict_kernelIifLi16ELb1ELb0ELc84ELc76EKffEviT_T0_PT6_S1_lS4_S1_lS2_PT7_S1_li
; %bb.0:
	s_load_dwordx2 s[0:1], s[4:5], 0x4
	s_mov_b32 s2, 0
	v_lshl_add_u32 v2, s6, 4, v0
	v_lshl_add_u32 v5, s7, 4, v1
	s_waitcnt lgkmcnt(0)
	s_cmp_lt_i32 s0, 1
	s_cbranch_scc1 .LBB38_6
; %bb.1:
	s_load_dwordx2 s[6:7], s[4:5], 0x10
	s_load_dword s3, s[4:5], 0x18
	s_load_dwordx4 s[12:15], s[4:5], 0x20
	s_load_dword s9, s[4:5], 0x30
	s_load_dwordx2 s[10:11], s[4:5], 0x38
	v_lshlrev_b32_e32 v7, 2, v0
	v_lshlrev_b32_e32 v6, 6, v1
	v_lshlrev_b32_e32 v1, 2, v1
	s_waitcnt lgkmcnt(0)
	v_mad_i64_i32 v[3:4], s[16:17], s9, v5, 0
	s_mul_i32 s9, s11, s8
	s_mul_hi_u32 s11, s10, s8
	v_lshlrev_b64 v[3:4], 2, v[3:4]
	s_add_i32 s11, s11, s9
	s_mul_i32 s10, s10, s8
	s_lshl_b64 s[10:11], s[10:11], 2
	v_mov_b32_e32 v0, s11
	v_add_co_u32_e32 v3, vcc, s10, v3
	v_mad_i64_i32 v[11:12], s[10:11], s3, v2, 0
	v_addc_co_u32_e32 v0, vcc, v4, v0, vcc
	v_add_co_u32_e32 v3, vcc, v3, v7
	v_addc_co_u32_e32 v0, vcc, 0, v0, vcc
	s_mul_i32 s3, s13, s8
	s_mul_hi_u32 s9, s12, s8
	v_mov_b32_e32 v4, s15
	v_add_co_u32_e32 v3, vcc, s14, v3
	v_lshlrev_b64 v[11:12], 2, v[11:12]
	s_add_i32 s11, s9, s3
	s_mul_i32 s10, s12, s8
	v_addc_co_u32_e32 v4, vcc, v4, v0, vcc
	s_lshl_b64 s[10:11], s[10:11], 2
	v_mov_b32_e32 v0, s11
	v_add_co_u32_e32 v11, vcc, s10, v11
	v_addc_co_u32_e32 v0, vcc, v12, v0, vcc
	v_add_co_u32_e32 v1, vcc, v11, v1
	v_addc_co_u32_e32 v11, vcc, 0, v0, vcc
	v_add_u32_e32 v9, 0x400, v6
	v_mov_b32_e32 v12, s7
	v_add_co_u32_e32 v0, vcc, s6, v1
	v_add_u32_e32 v8, v7, v6
	v_add_u32_e32 v10, v9, v7
	v_mov_b32_e32 v6, 0
	v_addc_co_u32_e32 v1, vcc, v12, v11, vcc
.LBB38_2:                               ; =>This Inner Loop Header: Depth=1
	global_load_dword v11, v[0:1], off
	global_load_dword v12, v[3:4], off
	v_add_co_u32_e32 v3, vcc, 64, v3
	v_addc_co_u32_e32 v4, vcc, 0, v4, vcc
	s_add_i32 s2, s2, 16
	v_add_co_u32_e32 v0, vcc, 64, v0
	v_addc_co_u32_e32 v1, vcc, 0, v1, vcc
	s_cmp_lt_i32 s2, s0
	s_waitcnt vmcnt(1)
	ds_write_b32 v8, v11
	s_waitcnt vmcnt(0)
	ds_write_b32 v10, v12
	s_waitcnt lgkmcnt(0)
	s_barrier
	ds_read2_b32 v[19:20], v7 offset1:16
	ds_read_b128 v[11:14], v9
	ds_read_b128 v[15:18], v9 offset:16
	s_waitcnt lgkmcnt(1)
	v_fmac_f32_e32 v6, v19, v11
	v_fmac_f32_e32 v6, v20, v12
	ds_read2_b32 v[11:12], v7 offset0:32 offset1:48
	s_waitcnt lgkmcnt(0)
	v_fmac_f32_e32 v6, v11, v13
	v_fmac_f32_e32 v6, v12, v14
	ds_read2_b32 v[11:12], v7 offset0:64 offset1:80
	ds_read2_b32 v[13:14], v7 offset0:96 offset1:112
	;; [unrolled: 1-line block ×3, first 2 shown]
	s_waitcnt lgkmcnt(2)
	v_fmac_f32_e32 v6, v11, v15
	v_fmac_f32_e32 v6, v12, v16
	s_waitcnt lgkmcnt(1)
	v_fmac_f32_e32 v6, v13, v17
	v_fmac_f32_e32 v6, v14, v18
	ds_read_b128 v[11:14], v9 offset:32
	ds_read_b128 v[15:18], v9 offset:48
	s_waitcnt lgkmcnt(1)
	v_fmac_f32_e32 v6, v19, v11
	v_fmac_f32_e32 v6, v20, v12
	ds_read2_b32 v[11:12], v7 offset0:160 offset1:176
	s_waitcnt lgkmcnt(0)
	v_fmac_f32_e32 v6, v11, v13
	v_fmac_f32_e32 v6, v12, v14
	ds_read2_b32 v[11:12], v7 offset0:192 offset1:208
	ds_read2_b32 v[13:14], v7 offset0:224 offset1:240
	s_waitcnt lgkmcnt(0)
	s_barrier
	v_fmac_f32_e32 v6, v11, v15
	v_fmac_f32_e32 v6, v12, v16
	;; [unrolled: 1-line block ×4, first 2 shown]
	s_cbranch_scc1 .LBB38_2
; %bb.3:
	v_cmp_le_i32_e32 vcc, v5, v2
	s_and_saveexec_b64 s[2:3], vcc
	s_cbranch_execz .LBB38_5
.LBB38_4:
	s_load_dwordx2 s[2:3], s[4:5], 0x58
	s_load_dwordx2 s[6:7], s[4:5], 0x48
	s_load_dword s0, s[4:5], 0x50
	v_mul_f32_e32 v4, s1, v6
	v_ashrrev_i32_e32 v3, 31, v2
	s_waitcnt lgkmcnt(0)
	s_mul_i32 s3, s3, s8
	s_mul_hi_u32 s4, s2, s8
	s_add_i32 s3, s4, s3
	v_mad_i64_i32 v[0:1], s[4:5], s0, v5, 0
	s_mul_i32 s2, s2, s8
	s_lshl_b64 s[2:3], s[2:3], 2
	s_add_u32 s2, s6, s2
	v_lshlrev_b64 v[0:1], 2, v[0:1]
	s_addc_u32 s0, s7, s3
	v_mov_b32_e32 v5, s0
	v_add_co_u32_e32 v6, vcc, s2, v0
	v_addc_co_u32_e32 v5, vcc, v5, v1, vcc
	v_lshlrev_b64 v[0:1], 2, v[2:3]
	v_add_co_u32_e32 v0, vcc, v6, v0
	v_addc_co_u32_e32 v1, vcc, v5, v1, vcc
	global_store_dword v[0:1], v4, off
.LBB38_5:
	s_endpgm
.LBB38_6:
	v_mov_b32_e32 v6, 0
	v_cmp_le_i32_e32 vcc, v5, v2
	s_and_saveexec_b64 s[2:3], vcc
	s_cbranch_execnz .LBB38_4
	s_branch .LBB38_5
	.section	.rodata,"a",@progbits
	.p2align	6, 0x0
	.amdhsa_kernel _ZL41rocblas_syrkx_herkx_small_restrict_kernelIifLi16ELb1ELb0ELc84ELc76EKffEviT_T0_PT6_S1_lS4_S1_lS2_PT7_S1_li
		.amdhsa_group_segment_fixed_size 2048
		.amdhsa_private_segment_fixed_size 0
		.amdhsa_kernarg_size 100
		.amdhsa_user_sgpr_count 6
		.amdhsa_user_sgpr_private_segment_buffer 1
		.amdhsa_user_sgpr_dispatch_ptr 0
		.amdhsa_user_sgpr_queue_ptr 0
		.amdhsa_user_sgpr_kernarg_segment_ptr 1
		.amdhsa_user_sgpr_dispatch_id 0
		.amdhsa_user_sgpr_flat_scratch_init 0
		.amdhsa_user_sgpr_private_segment_size 0
		.amdhsa_uses_dynamic_stack 0
		.amdhsa_system_sgpr_private_segment_wavefront_offset 0
		.amdhsa_system_sgpr_workgroup_id_x 1
		.amdhsa_system_sgpr_workgroup_id_y 1
		.amdhsa_system_sgpr_workgroup_id_z 1
		.amdhsa_system_sgpr_workgroup_info 0
		.amdhsa_system_vgpr_workitem_id 1
		.amdhsa_next_free_vgpr 21
		.amdhsa_next_free_sgpr 18
		.amdhsa_reserve_vcc 1
		.amdhsa_reserve_flat_scratch 0
		.amdhsa_float_round_mode_32 0
		.amdhsa_float_round_mode_16_64 0
		.amdhsa_float_denorm_mode_32 3
		.amdhsa_float_denorm_mode_16_64 3
		.amdhsa_dx10_clamp 1
		.amdhsa_ieee_mode 1
		.amdhsa_fp16_overflow 0
		.amdhsa_exception_fp_ieee_invalid_op 0
		.amdhsa_exception_fp_denorm_src 0
		.amdhsa_exception_fp_ieee_div_zero 0
		.amdhsa_exception_fp_ieee_overflow 0
		.amdhsa_exception_fp_ieee_underflow 0
		.amdhsa_exception_fp_ieee_inexact 0
		.amdhsa_exception_int_div_zero 0
	.end_amdhsa_kernel
	.section	.text._ZL41rocblas_syrkx_herkx_small_restrict_kernelIifLi16ELb1ELb0ELc84ELc76EKffEviT_T0_PT6_S1_lS4_S1_lS2_PT7_S1_li,"axG",@progbits,_ZL41rocblas_syrkx_herkx_small_restrict_kernelIifLi16ELb1ELb0ELc84ELc76EKffEviT_T0_PT6_S1_lS4_S1_lS2_PT7_S1_li,comdat
.Lfunc_end38:
	.size	_ZL41rocblas_syrkx_herkx_small_restrict_kernelIifLi16ELb1ELb0ELc84ELc76EKffEviT_T0_PT6_S1_lS4_S1_lS2_PT7_S1_li, .Lfunc_end38-_ZL41rocblas_syrkx_herkx_small_restrict_kernelIifLi16ELb1ELb0ELc84ELc76EKffEviT_T0_PT6_S1_lS4_S1_lS2_PT7_S1_li
                                        ; -- End function
	.set _ZL41rocblas_syrkx_herkx_small_restrict_kernelIifLi16ELb1ELb0ELc84ELc76EKffEviT_T0_PT6_S1_lS4_S1_lS2_PT7_S1_li.num_vgpr, 21
	.set _ZL41rocblas_syrkx_herkx_small_restrict_kernelIifLi16ELb1ELb0ELc84ELc76EKffEviT_T0_PT6_S1_lS4_S1_lS2_PT7_S1_li.num_agpr, 0
	.set _ZL41rocblas_syrkx_herkx_small_restrict_kernelIifLi16ELb1ELb0ELc84ELc76EKffEviT_T0_PT6_S1_lS4_S1_lS2_PT7_S1_li.numbered_sgpr, 18
	.set _ZL41rocblas_syrkx_herkx_small_restrict_kernelIifLi16ELb1ELb0ELc84ELc76EKffEviT_T0_PT6_S1_lS4_S1_lS2_PT7_S1_li.num_named_barrier, 0
	.set _ZL41rocblas_syrkx_herkx_small_restrict_kernelIifLi16ELb1ELb0ELc84ELc76EKffEviT_T0_PT6_S1_lS4_S1_lS2_PT7_S1_li.private_seg_size, 0
	.set _ZL41rocblas_syrkx_herkx_small_restrict_kernelIifLi16ELb1ELb0ELc84ELc76EKffEviT_T0_PT6_S1_lS4_S1_lS2_PT7_S1_li.uses_vcc, 1
	.set _ZL41rocblas_syrkx_herkx_small_restrict_kernelIifLi16ELb1ELb0ELc84ELc76EKffEviT_T0_PT6_S1_lS4_S1_lS2_PT7_S1_li.uses_flat_scratch, 0
	.set _ZL41rocblas_syrkx_herkx_small_restrict_kernelIifLi16ELb1ELb0ELc84ELc76EKffEviT_T0_PT6_S1_lS4_S1_lS2_PT7_S1_li.has_dyn_sized_stack, 0
	.set _ZL41rocblas_syrkx_herkx_small_restrict_kernelIifLi16ELb1ELb0ELc84ELc76EKffEviT_T0_PT6_S1_lS4_S1_lS2_PT7_S1_li.has_recursion, 0
	.set _ZL41rocblas_syrkx_herkx_small_restrict_kernelIifLi16ELb1ELb0ELc84ELc76EKffEviT_T0_PT6_S1_lS4_S1_lS2_PT7_S1_li.has_indirect_call, 0
	.section	.AMDGPU.csdata,"",@progbits
; Kernel info:
; codeLenInByte = 672
; TotalNumSgprs: 22
; NumVgprs: 21
; ScratchSize: 0
; MemoryBound: 0
; FloatMode: 240
; IeeeMode: 1
; LDSByteSize: 2048 bytes/workgroup (compile time only)
; SGPRBlocks: 2
; VGPRBlocks: 5
; NumSGPRsForWavesPerEU: 22
; NumVGPRsForWavesPerEU: 21
; Occupancy: 10
; WaveLimiterHint : 0
; COMPUTE_PGM_RSRC2:SCRATCH_EN: 0
; COMPUTE_PGM_RSRC2:USER_SGPR: 6
; COMPUTE_PGM_RSRC2:TRAP_HANDLER: 0
; COMPUTE_PGM_RSRC2:TGID_X_EN: 1
; COMPUTE_PGM_RSRC2:TGID_Y_EN: 1
; COMPUTE_PGM_RSRC2:TGID_Z_EN: 1
; COMPUTE_PGM_RSRC2:TIDIG_COMP_CNT: 1
	.section	.text._ZL41rocblas_syrkx_herkx_small_restrict_kernelIifLi16ELb1ELb0ELc67ELc76EKffEviT_T0_PT6_S1_lS4_S1_lS2_PT7_S1_li,"axG",@progbits,_ZL41rocblas_syrkx_herkx_small_restrict_kernelIifLi16ELb1ELb0ELc67ELc76EKffEviT_T0_PT6_S1_lS4_S1_lS2_PT7_S1_li,comdat
	.globl	_ZL41rocblas_syrkx_herkx_small_restrict_kernelIifLi16ELb1ELb0ELc67ELc76EKffEviT_T0_PT6_S1_lS4_S1_lS2_PT7_S1_li ; -- Begin function _ZL41rocblas_syrkx_herkx_small_restrict_kernelIifLi16ELb1ELb0ELc67ELc76EKffEviT_T0_PT6_S1_lS4_S1_lS2_PT7_S1_li
	.p2align	8
	.type	_ZL41rocblas_syrkx_herkx_small_restrict_kernelIifLi16ELb1ELb0ELc67ELc76EKffEviT_T0_PT6_S1_lS4_S1_lS2_PT7_S1_li,@function
_ZL41rocblas_syrkx_herkx_small_restrict_kernelIifLi16ELb1ELb0ELc67ELc76EKffEviT_T0_PT6_S1_lS4_S1_lS2_PT7_S1_li: ; @_ZL41rocblas_syrkx_herkx_small_restrict_kernelIifLi16ELb1ELb0ELc67ELc76EKffEviT_T0_PT6_S1_lS4_S1_lS2_PT7_S1_li
; %bb.0:
	s_load_dwordx2 s[0:1], s[4:5], 0x4
	s_mov_b32 s2, 0
	v_lshl_add_u32 v2, s6, 4, v0
	v_lshl_add_u32 v5, s7, 4, v1
	s_waitcnt lgkmcnt(0)
	s_cmp_lt_i32 s0, 1
	s_cbranch_scc1 .LBB39_6
; %bb.1:
	s_load_dwordx2 s[6:7], s[4:5], 0x10
	s_load_dword s3, s[4:5], 0x18
	s_load_dwordx4 s[12:15], s[4:5], 0x20
	s_load_dword s9, s[4:5], 0x30
	s_load_dwordx2 s[10:11], s[4:5], 0x38
	v_lshlrev_b32_e32 v7, 2, v0
	v_lshlrev_b32_e32 v6, 6, v1
	;; [unrolled: 1-line block ×3, first 2 shown]
	s_waitcnt lgkmcnt(0)
	v_mad_i64_i32 v[3:4], s[16:17], s9, v5, 0
	s_mul_i32 s9, s11, s8
	s_mul_hi_u32 s11, s10, s8
	v_lshlrev_b64 v[3:4], 2, v[3:4]
	s_add_i32 s11, s11, s9
	s_mul_i32 s10, s10, s8
	s_lshl_b64 s[10:11], s[10:11], 2
	v_mov_b32_e32 v0, s11
	v_add_co_u32_e32 v3, vcc, s10, v3
	v_mad_i64_i32 v[11:12], s[10:11], s3, v2, 0
	v_addc_co_u32_e32 v0, vcc, v4, v0, vcc
	v_add_co_u32_e32 v3, vcc, v3, v7
	v_addc_co_u32_e32 v0, vcc, 0, v0, vcc
	s_mul_i32 s3, s13, s8
	s_mul_hi_u32 s9, s12, s8
	v_mov_b32_e32 v4, s15
	v_add_co_u32_e32 v3, vcc, s14, v3
	v_lshlrev_b64 v[11:12], 2, v[11:12]
	s_add_i32 s11, s9, s3
	s_mul_i32 s10, s12, s8
	v_addc_co_u32_e32 v4, vcc, v4, v0, vcc
	s_lshl_b64 s[10:11], s[10:11], 2
	v_mov_b32_e32 v0, s11
	v_add_co_u32_e32 v11, vcc, s10, v11
	v_addc_co_u32_e32 v0, vcc, v12, v0, vcc
	v_add_co_u32_e32 v1, vcc, v11, v1
	v_addc_co_u32_e32 v11, vcc, 0, v0, vcc
	v_add_u32_e32 v9, 0x400, v6
	v_mov_b32_e32 v12, s7
	v_add_co_u32_e32 v0, vcc, s6, v1
	v_add_u32_e32 v8, v7, v6
	v_add_u32_e32 v10, v9, v7
	v_mov_b32_e32 v6, 0
	v_addc_co_u32_e32 v1, vcc, v12, v11, vcc
.LBB39_2:                               ; =>This Inner Loop Header: Depth=1
	global_load_dword v11, v[0:1], off
	global_load_dword v12, v[3:4], off
	v_add_co_u32_e32 v3, vcc, 64, v3
	v_addc_co_u32_e32 v4, vcc, 0, v4, vcc
	s_add_i32 s2, s2, 16
	v_add_co_u32_e32 v0, vcc, 64, v0
	v_addc_co_u32_e32 v1, vcc, 0, v1, vcc
	s_cmp_lt_i32 s2, s0
	s_waitcnt vmcnt(1)
	ds_write_b32 v8, v11
	s_waitcnt vmcnt(0)
	ds_write_b32 v10, v12
	s_waitcnt lgkmcnt(0)
	s_barrier
	ds_read2_b32 v[19:20], v7 offset1:16
	ds_read_b128 v[11:14], v9
	ds_read_b128 v[15:18], v9 offset:16
	s_waitcnt lgkmcnt(1)
	v_fmac_f32_e32 v6, v19, v11
	v_fmac_f32_e32 v6, v20, v12
	ds_read2_b32 v[11:12], v7 offset0:32 offset1:48
	s_waitcnt lgkmcnt(0)
	v_fmac_f32_e32 v6, v11, v13
	v_fmac_f32_e32 v6, v12, v14
	ds_read2_b32 v[11:12], v7 offset0:64 offset1:80
	ds_read2_b32 v[13:14], v7 offset0:96 offset1:112
	;; [unrolled: 1-line block ×3, first 2 shown]
	s_waitcnt lgkmcnt(2)
	v_fmac_f32_e32 v6, v11, v15
	v_fmac_f32_e32 v6, v12, v16
	s_waitcnt lgkmcnt(1)
	v_fmac_f32_e32 v6, v13, v17
	v_fmac_f32_e32 v6, v14, v18
	ds_read_b128 v[11:14], v9 offset:32
	ds_read_b128 v[15:18], v9 offset:48
	s_waitcnt lgkmcnt(1)
	v_fmac_f32_e32 v6, v19, v11
	v_fmac_f32_e32 v6, v20, v12
	ds_read2_b32 v[11:12], v7 offset0:160 offset1:176
	s_waitcnt lgkmcnt(0)
	v_fmac_f32_e32 v6, v11, v13
	v_fmac_f32_e32 v6, v12, v14
	ds_read2_b32 v[11:12], v7 offset0:192 offset1:208
	ds_read2_b32 v[13:14], v7 offset0:224 offset1:240
	s_waitcnt lgkmcnt(0)
	s_barrier
	v_fmac_f32_e32 v6, v11, v15
	v_fmac_f32_e32 v6, v12, v16
	;; [unrolled: 1-line block ×4, first 2 shown]
	s_cbranch_scc1 .LBB39_2
; %bb.3:
	v_cmp_le_i32_e32 vcc, v5, v2
	s_and_saveexec_b64 s[2:3], vcc
	s_cbranch_execz .LBB39_5
.LBB39_4:
	s_load_dwordx2 s[2:3], s[4:5], 0x58
	s_load_dwordx2 s[6:7], s[4:5], 0x48
	s_load_dword s0, s[4:5], 0x50
	v_mul_f32_e32 v4, s1, v6
	v_ashrrev_i32_e32 v3, 31, v2
	s_waitcnt lgkmcnt(0)
	s_mul_i32 s3, s3, s8
	s_mul_hi_u32 s4, s2, s8
	s_add_i32 s3, s4, s3
	v_mad_i64_i32 v[0:1], s[4:5], s0, v5, 0
	s_mul_i32 s2, s2, s8
	s_lshl_b64 s[2:3], s[2:3], 2
	s_add_u32 s2, s6, s2
	v_lshlrev_b64 v[0:1], 2, v[0:1]
	s_addc_u32 s0, s7, s3
	v_mov_b32_e32 v5, s0
	v_add_co_u32_e32 v6, vcc, s2, v0
	v_addc_co_u32_e32 v5, vcc, v5, v1, vcc
	v_lshlrev_b64 v[0:1], 2, v[2:3]
	v_add_co_u32_e32 v0, vcc, v6, v0
	v_addc_co_u32_e32 v1, vcc, v5, v1, vcc
	global_store_dword v[0:1], v4, off
.LBB39_5:
	s_endpgm
.LBB39_6:
	v_mov_b32_e32 v6, 0
	v_cmp_le_i32_e32 vcc, v5, v2
	s_and_saveexec_b64 s[2:3], vcc
	s_cbranch_execnz .LBB39_4
	s_branch .LBB39_5
	.section	.rodata,"a",@progbits
	.p2align	6, 0x0
	.amdhsa_kernel _ZL41rocblas_syrkx_herkx_small_restrict_kernelIifLi16ELb1ELb0ELc67ELc76EKffEviT_T0_PT6_S1_lS4_S1_lS2_PT7_S1_li
		.amdhsa_group_segment_fixed_size 2048
		.amdhsa_private_segment_fixed_size 0
		.amdhsa_kernarg_size 100
		.amdhsa_user_sgpr_count 6
		.amdhsa_user_sgpr_private_segment_buffer 1
		.amdhsa_user_sgpr_dispatch_ptr 0
		.amdhsa_user_sgpr_queue_ptr 0
		.amdhsa_user_sgpr_kernarg_segment_ptr 1
		.amdhsa_user_sgpr_dispatch_id 0
		.amdhsa_user_sgpr_flat_scratch_init 0
		.amdhsa_user_sgpr_private_segment_size 0
		.amdhsa_uses_dynamic_stack 0
		.amdhsa_system_sgpr_private_segment_wavefront_offset 0
		.amdhsa_system_sgpr_workgroup_id_x 1
		.amdhsa_system_sgpr_workgroup_id_y 1
		.amdhsa_system_sgpr_workgroup_id_z 1
		.amdhsa_system_sgpr_workgroup_info 0
		.amdhsa_system_vgpr_workitem_id 1
		.amdhsa_next_free_vgpr 21
		.amdhsa_next_free_sgpr 18
		.amdhsa_reserve_vcc 1
		.amdhsa_reserve_flat_scratch 0
		.amdhsa_float_round_mode_32 0
		.amdhsa_float_round_mode_16_64 0
		.amdhsa_float_denorm_mode_32 3
		.amdhsa_float_denorm_mode_16_64 3
		.amdhsa_dx10_clamp 1
		.amdhsa_ieee_mode 1
		.amdhsa_fp16_overflow 0
		.amdhsa_exception_fp_ieee_invalid_op 0
		.amdhsa_exception_fp_denorm_src 0
		.amdhsa_exception_fp_ieee_div_zero 0
		.amdhsa_exception_fp_ieee_overflow 0
		.amdhsa_exception_fp_ieee_underflow 0
		.amdhsa_exception_fp_ieee_inexact 0
		.amdhsa_exception_int_div_zero 0
	.end_amdhsa_kernel
	.section	.text._ZL41rocblas_syrkx_herkx_small_restrict_kernelIifLi16ELb1ELb0ELc67ELc76EKffEviT_T0_PT6_S1_lS4_S1_lS2_PT7_S1_li,"axG",@progbits,_ZL41rocblas_syrkx_herkx_small_restrict_kernelIifLi16ELb1ELb0ELc67ELc76EKffEviT_T0_PT6_S1_lS4_S1_lS2_PT7_S1_li,comdat
.Lfunc_end39:
	.size	_ZL41rocblas_syrkx_herkx_small_restrict_kernelIifLi16ELb1ELb0ELc67ELc76EKffEviT_T0_PT6_S1_lS4_S1_lS2_PT7_S1_li, .Lfunc_end39-_ZL41rocblas_syrkx_herkx_small_restrict_kernelIifLi16ELb1ELb0ELc67ELc76EKffEviT_T0_PT6_S1_lS4_S1_lS2_PT7_S1_li
                                        ; -- End function
	.set _ZL41rocblas_syrkx_herkx_small_restrict_kernelIifLi16ELb1ELb0ELc67ELc76EKffEviT_T0_PT6_S1_lS4_S1_lS2_PT7_S1_li.num_vgpr, 21
	.set _ZL41rocblas_syrkx_herkx_small_restrict_kernelIifLi16ELb1ELb0ELc67ELc76EKffEviT_T0_PT6_S1_lS4_S1_lS2_PT7_S1_li.num_agpr, 0
	.set _ZL41rocblas_syrkx_herkx_small_restrict_kernelIifLi16ELb1ELb0ELc67ELc76EKffEviT_T0_PT6_S1_lS4_S1_lS2_PT7_S1_li.numbered_sgpr, 18
	.set _ZL41rocblas_syrkx_herkx_small_restrict_kernelIifLi16ELb1ELb0ELc67ELc76EKffEviT_T0_PT6_S1_lS4_S1_lS2_PT7_S1_li.num_named_barrier, 0
	.set _ZL41rocblas_syrkx_herkx_small_restrict_kernelIifLi16ELb1ELb0ELc67ELc76EKffEviT_T0_PT6_S1_lS4_S1_lS2_PT7_S1_li.private_seg_size, 0
	.set _ZL41rocblas_syrkx_herkx_small_restrict_kernelIifLi16ELb1ELb0ELc67ELc76EKffEviT_T0_PT6_S1_lS4_S1_lS2_PT7_S1_li.uses_vcc, 1
	.set _ZL41rocblas_syrkx_herkx_small_restrict_kernelIifLi16ELb1ELb0ELc67ELc76EKffEviT_T0_PT6_S1_lS4_S1_lS2_PT7_S1_li.uses_flat_scratch, 0
	.set _ZL41rocblas_syrkx_herkx_small_restrict_kernelIifLi16ELb1ELb0ELc67ELc76EKffEviT_T0_PT6_S1_lS4_S1_lS2_PT7_S1_li.has_dyn_sized_stack, 0
	.set _ZL41rocblas_syrkx_herkx_small_restrict_kernelIifLi16ELb1ELb0ELc67ELc76EKffEviT_T0_PT6_S1_lS4_S1_lS2_PT7_S1_li.has_recursion, 0
	.set _ZL41rocblas_syrkx_herkx_small_restrict_kernelIifLi16ELb1ELb0ELc67ELc76EKffEviT_T0_PT6_S1_lS4_S1_lS2_PT7_S1_li.has_indirect_call, 0
	.section	.AMDGPU.csdata,"",@progbits
; Kernel info:
; codeLenInByte = 672
; TotalNumSgprs: 22
; NumVgprs: 21
; ScratchSize: 0
; MemoryBound: 0
; FloatMode: 240
; IeeeMode: 1
; LDSByteSize: 2048 bytes/workgroup (compile time only)
; SGPRBlocks: 2
; VGPRBlocks: 5
; NumSGPRsForWavesPerEU: 22
; NumVGPRsForWavesPerEU: 21
; Occupancy: 10
; WaveLimiterHint : 0
; COMPUTE_PGM_RSRC2:SCRATCH_EN: 0
; COMPUTE_PGM_RSRC2:USER_SGPR: 6
; COMPUTE_PGM_RSRC2:TRAP_HANDLER: 0
; COMPUTE_PGM_RSRC2:TGID_X_EN: 1
; COMPUTE_PGM_RSRC2:TGID_Y_EN: 1
; COMPUTE_PGM_RSRC2:TGID_Z_EN: 1
; COMPUTE_PGM_RSRC2:TIDIG_COMP_CNT: 1
	.section	.text._ZL41rocblas_syrkx_herkx_small_restrict_kernelIifLi16ELb1ELb0ELc78ELc76EKffEviT_T0_PT6_S1_lS4_S1_lS2_PT7_S1_li,"axG",@progbits,_ZL41rocblas_syrkx_herkx_small_restrict_kernelIifLi16ELb1ELb0ELc78ELc76EKffEviT_T0_PT6_S1_lS4_S1_lS2_PT7_S1_li,comdat
	.globl	_ZL41rocblas_syrkx_herkx_small_restrict_kernelIifLi16ELb1ELb0ELc78ELc76EKffEviT_T0_PT6_S1_lS4_S1_lS2_PT7_S1_li ; -- Begin function _ZL41rocblas_syrkx_herkx_small_restrict_kernelIifLi16ELb1ELb0ELc78ELc76EKffEviT_T0_PT6_S1_lS4_S1_lS2_PT7_S1_li
	.p2align	8
	.type	_ZL41rocblas_syrkx_herkx_small_restrict_kernelIifLi16ELb1ELb0ELc78ELc76EKffEviT_T0_PT6_S1_lS4_S1_lS2_PT7_S1_li,@function
_ZL41rocblas_syrkx_herkx_small_restrict_kernelIifLi16ELb1ELb0ELc78ELc76EKffEviT_T0_PT6_S1_lS4_S1_lS2_PT7_S1_li: ; @_ZL41rocblas_syrkx_herkx_small_restrict_kernelIifLi16ELb1ELb0ELc78ELc76EKffEviT_T0_PT6_S1_lS4_S1_lS2_PT7_S1_li
; %bb.0:
	s_load_dwordx2 s[10:11], s[4:5], 0x4
	v_lshl_add_u32 v2, s6, 4, v0
	s_mov_b32 s9, 0
	v_lshl_add_u32 v4, s7, 4, v1
	v_ashrrev_i32_e32 v3, 31, v2
	s_waitcnt lgkmcnt(0)
	s_cmp_lt_i32 s10, 1
	s_cbranch_scc1 .LBB40_6
; %bb.1:
	s_load_dword s6, s[4:5], 0x18
	s_load_dword s12, s[4:5], 0x30
	s_load_dwordx2 s[14:15], s[4:5], 0x10
	s_load_dwordx4 s[0:3], s[4:5], 0x20
	s_load_dwordx2 s[16:17], s[4:5], 0x38
	v_lshlrev_b32_e32 v6, 6, v1
	s_waitcnt lgkmcnt(0)
	v_mad_i64_i32 v[11:12], s[18:19], s12, v0, 0
	v_lshlrev_b32_e32 v7, 2, v0
	s_mul_i32 s17, s17, s8
	s_mul_hi_u32 s20, s16, s8
	s_add_i32 s17, s20, s17
	s_mul_i32 s16, s16, s8
	v_lshlrev_b64 v[11:12], 2, v[11:12]
	v_ashrrev_i32_e32 v5, 31, v4
	s_lshl_b64 s[16:17], s[16:17], 2
	v_add_u32_e32 v8, v7, v6
	v_add_u32_e32 v9, 0x400, v6
	v_mov_b32_e32 v0, s17
	v_add_co_u32_e32 v11, vcc, s16, v11
	v_lshlrev_b64 v[5:6], 2, v[4:5]
	v_addc_co_u32_e32 v0, vcc, v0, v12, vcc
	v_add_co_u32_e32 v5, vcc, v11, v5
	v_addc_co_u32_e32 v0, vcc, v0, v6, vcc
	s_ashr_i32 s13, s12, 31
	v_mov_b32_e32 v6, s3
	v_add_co_u32_e32 v5, vcc, s2, v5
	v_addc_co_u32_e32 v6, vcc, v6, v0, vcc
	s_lshl_b64 s[2:3], s[12:13], 6
	v_mad_i64_i32 v[0:1], s[12:13], s6, v1, 0
	s_mul_i32 s1, s1, s8
	s_mul_hi_u32 s16, s0, s8
	s_add_i32 s1, s16, s1
	s_mul_i32 s0, s0, s8
	v_lshlrev_b64 v[0:1], 2, v[0:1]
	s_lshl_b64 s[0:1], s[0:1], 2
	v_mov_b32_e32 v11, s1
	v_add_co_u32_e32 v12, vcc, s0, v0
	v_addc_co_u32_e32 v11, vcc, v11, v1, vcc
	v_lshlrev_b64 v[0:1], 2, v[2:3]
	s_ashr_i32 s7, s6, 31
	v_add_co_u32_e32 v0, vcc, v12, v0
	v_addc_co_u32_e32 v1, vcc, v11, v1, vcc
	v_mov_b32_e32 v11, s15
	v_add_co_u32_e32 v0, vcc, s14, v0
	v_add_u32_e32 v10, v9, v7
	v_addc_co_u32_e32 v1, vcc, v11, v1, vcc
	s_lshl_b64 s[0:1], s[6:7], 6
	v_mov_b32_e32 v11, 0
	v_mov_b32_e32 v12, s3
.LBB40_2:                               ; =>This Inner Loop Header: Depth=1
	global_load_dword v13, v[0:1], off
	global_load_dword v14, v[5:6], off
	v_add_co_u32_e32 v5, vcc, s2, v5
	v_addc_co_u32_e32 v6, vcc, v6, v12, vcc
	v_mov_b32_e32 v15, s1
	v_add_co_u32_e32 v0, vcc, s0, v0
	v_addc_co_u32_e32 v1, vcc, v1, v15, vcc
	s_add_i32 s9, s9, 16
	s_cmp_lt_i32 s9, s10
	s_waitcnt vmcnt(1)
	ds_write_b32 v8, v13
	s_waitcnt vmcnt(0)
	ds_write_b32 v10, v14
	s_waitcnt lgkmcnt(0)
	s_barrier
	ds_read2_b32 v[21:22], v7 offset1:16
	ds_read_b128 v[13:16], v9
	ds_read_b128 v[17:20], v9 offset:16
	s_waitcnt lgkmcnt(1)
	v_fmac_f32_e32 v11, v21, v13
	v_fmac_f32_e32 v11, v22, v14
	ds_read2_b32 v[13:14], v7 offset0:32 offset1:48
	s_waitcnt lgkmcnt(0)
	v_fmac_f32_e32 v11, v13, v15
	v_fmac_f32_e32 v11, v14, v16
	ds_read2_b32 v[13:14], v7 offset0:64 offset1:80
	ds_read2_b32 v[15:16], v7 offset0:96 offset1:112
	;; [unrolled: 1-line block ×3, first 2 shown]
	s_waitcnt lgkmcnt(2)
	v_fmac_f32_e32 v11, v13, v17
	v_fmac_f32_e32 v11, v14, v18
	s_waitcnt lgkmcnt(1)
	v_fmac_f32_e32 v11, v15, v19
	v_fmac_f32_e32 v11, v16, v20
	ds_read_b128 v[13:16], v9 offset:32
	ds_read_b128 v[17:20], v9 offset:48
	s_waitcnt lgkmcnt(1)
	v_fmac_f32_e32 v11, v21, v13
	v_fmac_f32_e32 v11, v22, v14
	ds_read2_b32 v[13:14], v7 offset0:160 offset1:176
	s_waitcnt lgkmcnt(0)
	v_fmac_f32_e32 v11, v13, v15
	v_fmac_f32_e32 v11, v14, v16
	ds_read2_b32 v[13:14], v7 offset0:192 offset1:208
	ds_read2_b32 v[15:16], v7 offset0:224 offset1:240
	s_waitcnt lgkmcnt(0)
	s_barrier
	v_fmac_f32_e32 v11, v13, v17
	v_fmac_f32_e32 v11, v14, v18
	;; [unrolled: 1-line block ×4, first 2 shown]
	s_cbranch_scc1 .LBB40_2
; %bb.3:
	v_cmp_le_i32_e32 vcc, v4, v2
	s_and_saveexec_b64 s[0:1], vcc
	s_cbranch_execz .LBB40_5
.LBB40_4:
	s_load_dwordx2 s[0:1], s[4:5], 0x58
	s_load_dwordx2 s[2:3], s[4:5], 0x48
	s_load_dword s6, s[4:5], 0x50
	s_waitcnt lgkmcnt(0)
	s_mul_i32 s1, s1, s8
	s_mul_hi_u32 s4, s0, s8
	s_add_i32 s1, s4, s1
	v_mad_i64_i32 v[0:1], s[4:5], s6, v4, 0
	s_mul_i32 s0, s0, s8
	s_lshl_b64 s[0:1], s[0:1], 2
	s_add_u32 s0, s2, s0
	v_lshlrev_b64 v[0:1], 2, v[0:1]
	s_addc_u32 s1, s3, s1
	v_mov_b32_e32 v5, s1
	v_add_co_u32_e32 v6, vcc, s0, v0
	v_addc_co_u32_e32 v5, vcc, v5, v1, vcc
	v_lshlrev_b64 v[0:1], 2, v[2:3]
	v_mul_f32_e32 v4, s11, v11
	v_add_co_u32_e32 v0, vcc, v6, v0
	v_addc_co_u32_e32 v1, vcc, v5, v1, vcc
	global_store_dword v[0:1], v4, off
.LBB40_5:
	s_endpgm
.LBB40_6:
	v_mov_b32_e32 v11, 0
	v_cmp_le_i32_e32 vcc, v4, v2
	s_and_saveexec_b64 s[0:1], vcc
	s_cbranch_execnz .LBB40_4
	s_branch .LBB40_5
	.section	.rodata,"a",@progbits
	.p2align	6, 0x0
	.amdhsa_kernel _ZL41rocblas_syrkx_herkx_small_restrict_kernelIifLi16ELb1ELb0ELc78ELc76EKffEviT_T0_PT6_S1_lS4_S1_lS2_PT7_S1_li
		.amdhsa_group_segment_fixed_size 2048
		.amdhsa_private_segment_fixed_size 0
		.amdhsa_kernarg_size 100
		.amdhsa_user_sgpr_count 6
		.amdhsa_user_sgpr_private_segment_buffer 1
		.amdhsa_user_sgpr_dispatch_ptr 0
		.amdhsa_user_sgpr_queue_ptr 0
		.amdhsa_user_sgpr_kernarg_segment_ptr 1
		.amdhsa_user_sgpr_dispatch_id 0
		.amdhsa_user_sgpr_flat_scratch_init 0
		.amdhsa_user_sgpr_private_segment_size 0
		.amdhsa_uses_dynamic_stack 0
		.amdhsa_system_sgpr_private_segment_wavefront_offset 0
		.amdhsa_system_sgpr_workgroup_id_x 1
		.amdhsa_system_sgpr_workgroup_id_y 1
		.amdhsa_system_sgpr_workgroup_id_z 1
		.amdhsa_system_sgpr_workgroup_info 0
		.amdhsa_system_vgpr_workitem_id 1
		.amdhsa_next_free_vgpr 23
		.amdhsa_next_free_sgpr 21
		.amdhsa_reserve_vcc 1
		.amdhsa_reserve_flat_scratch 0
		.amdhsa_float_round_mode_32 0
		.amdhsa_float_round_mode_16_64 0
		.amdhsa_float_denorm_mode_32 3
		.amdhsa_float_denorm_mode_16_64 3
		.amdhsa_dx10_clamp 1
		.amdhsa_ieee_mode 1
		.amdhsa_fp16_overflow 0
		.amdhsa_exception_fp_ieee_invalid_op 0
		.amdhsa_exception_fp_denorm_src 0
		.amdhsa_exception_fp_ieee_div_zero 0
		.amdhsa_exception_fp_ieee_overflow 0
		.amdhsa_exception_fp_ieee_underflow 0
		.amdhsa_exception_fp_ieee_inexact 0
		.amdhsa_exception_int_div_zero 0
	.end_amdhsa_kernel
	.section	.text._ZL41rocblas_syrkx_herkx_small_restrict_kernelIifLi16ELb1ELb0ELc78ELc76EKffEviT_T0_PT6_S1_lS4_S1_lS2_PT7_S1_li,"axG",@progbits,_ZL41rocblas_syrkx_herkx_small_restrict_kernelIifLi16ELb1ELb0ELc78ELc76EKffEviT_T0_PT6_S1_lS4_S1_lS2_PT7_S1_li,comdat
.Lfunc_end40:
	.size	_ZL41rocblas_syrkx_herkx_small_restrict_kernelIifLi16ELb1ELb0ELc78ELc76EKffEviT_T0_PT6_S1_lS4_S1_lS2_PT7_S1_li, .Lfunc_end40-_ZL41rocblas_syrkx_herkx_small_restrict_kernelIifLi16ELb1ELb0ELc78ELc76EKffEviT_T0_PT6_S1_lS4_S1_lS2_PT7_S1_li
                                        ; -- End function
	.set _ZL41rocblas_syrkx_herkx_small_restrict_kernelIifLi16ELb1ELb0ELc78ELc76EKffEviT_T0_PT6_S1_lS4_S1_lS2_PT7_S1_li.num_vgpr, 23
	.set _ZL41rocblas_syrkx_herkx_small_restrict_kernelIifLi16ELb1ELb0ELc78ELc76EKffEviT_T0_PT6_S1_lS4_S1_lS2_PT7_S1_li.num_agpr, 0
	.set _ZL41rocblas_syrkx_herkx_small_restrict_kernelIifLi16ELb1ELb0ELc78ELc76EKffEviT_T0_PT6_S1_lS4_S1_lS2_PT7_S1_li.numbered_sgpr, 21
	.set _ZL41rocblas_syrkx_herkx_small_restrict_kernelIifLi16ELb1ELb0ELc78ELc76EKffEviT_T0_PT6_S1_lS4_S1_lS2_PT7_S1_li.num_named_barrier, 0
	.set _ZL41rocblas_syrkx_herkx_small_restrict_kernelIifLi16ELb1ELb0ELc78ELc76EKffEviT_T0_PT6_S1_lS4_S1_lS2_PT7_S1_li.private_seg_size, 0
	.set _ZL41rocblas_syrkx_herkx_small_restrict_kernelIifLi16ELb1ELb0ELc78ELc76EKffEviT_T0_PT6_S1_lS4_S1_lS2_PT7_S1_li.uses_vcc, 1
	.set _ZL41rocblas_syrkx_herkx_small_restrict_kernelIifLi16ELb1ELb0ELc78ELc76EKffEviT_T0_PT6_S1_lS4_S1_lS2_PT7_S1_li.uses_flat_scratch, 0
	.set _ZL41rocblas_syrkx_herkx_small_restrict_kernelIifLi16ELb1ELb0ELc78ELc76EKffEviT_T0_PT6_S1_lS4_S1_lS2_PT7_S1_li.has_dyn_sized_stack, 0
	.set _ZL41rocblas_syrkx_herkx_small_restrict_kernelIifLi16ELb1ELb0ELc78ELc76EKffEviT_T0_PT6_S1_lS4_S1_lS2_PT7_S1_li.has_recursion, 0
	.set _ZL41rocblas_syrkx_herkx_small_restrict_kernelIifLi16ELb1ELb0ELc78ELc76EKffEviT_T0_PT6_S1_lS4_S1_lS2_PT7_S1_li.has_indirect_call, 0
	.section	.AMDGPU.csdata,"",@progbits
; Kernel info:
; codeLenInByte = 712
; TotalNumSgprs: 25
; NumVgprs: 23
; ScratchSize: 0
; MemoryBound: 0
; FloatMode: 240
; IeeeMode: 1
; LDSByteSize: 2048 bytes/workgroup (compile time only)
; SGPRBlocks: 3
; VGPRBlocks: 5
; NumSGPRsForWavesPerEU: 25
; NumVGPRsForWavesPerEU: 23
; Occupancy: 10
; WaveLimiterHint : 0
; COMPUTE_PGM_RSRC2:SCRATCH_EN: 0
; COMPUTE_PGM_RSRC2:USER_SGPR: 6
; COMPUTE_PGM_RSRC2:TRAP_HANDLER: 0
; COMPUTE_PGM_RSRC2:TGID_X_EN: 1
; COMPUTE_PGM_RSRC2:TGID_Y_EN: 1
; COMPUTE_PGM_RSRC2:TGID_Z_EN: 1
; COMPUTE_PGM_RSRC2:TIDIG_COMP_CNT: 1
	.section	.text._ZL41rocblas_syrkx_herkx_small_restrict_kernelIifLi16ELb1ELb0ELc84ELc85EKffEviT_T0_PT6_S1_lS4_S1_lS2_PT7_S1_li,"axG",@progbits,_ZL41rocblas_syrkx_herkx_small_restrict_kernelIifLi16ELb1ELb0ELc84ELc85EKffEviT_T0_PT6_S1_lS4_S1_lS2_PT7_S1_li,comdat
	.globl	_ZL41rocblas_syrkx_herkx_small_restrict_kernelIifLi16ELb1ELb0ELc84ELc85EKffEviT_T0_PT6_S1_lS4_S1_lS2_PT7_S1_li ; -- Begin function _ZL41rocblas_syrkx_herkx_small_restrict_kernelIifLi16ELb1ELb0ELc84ELc85EKffEviT_T0_PT6_S1_lS4_S1_lS2_PT7_S1_li
	.p2align	8
	.type	_ZL41rocblas_syrkx_herkx_small_restrict_kernelIifLi16ELb1ELb0ELc84ELc85EKffEviT_T0_PT6_S1_lS4_S1_lS2_PT7_S1_li,@function
_ZL41rocblas_syrkx_herkx_small_restrict_kernelIifLi16ELb1ELb0ELc84ELc85EKffEviT_T0_PT6_S1_lS4_S1_lS2_PT7_S1_li: ; @_ZL41rocblas_syrkx_herkx_small_restrict_kernelIifLi16ELb1ELb0ELc84ELc85EKffEviT_T0_PT6_S1_lS4_S1_lS2_PT7_S1_li
; %bb.0:
	s_load_dwordx2 s[0:1], s[4:5], 0x4
	s_mov_b32 s2, 0
	v_lshl_add_u32 v2, s6, 4, v0
	v_lshl_add_u32 v5, s7, 4, v1
	s_waitcnt lgkmcnt(0)
	s_cmp_lt_i32 s0, 1
	s_cbranch_scc1 .LBB41_6
; %bb.1:
	s_load_dwordx2 s[6:7], s[4:5], 0x10
	s_load_dword s3, s[4:5], 0x18
	s_load_dwordx4 s[12:15], s[4:5], 0x20
	s_load_dword s9, s[4:5], 0x30
	s_load_dwordx2 s[10:11], s[4:5], 0x38
	v_lshlrev_b32_e32 v7, 2, v0
	v_lshlrev_b32_e32 v6, 6, v1
	;; [unrolled: 1-line block ×3, first 2 shown]
	s_waitcnt lgkmcnt(0)
	v_mad_i64_i32 v[3:4], s[16:17], s9, v5, 0
	s_mul_i32 s9, s11, s8
	s_mul_hi_u32 s11, s10, s8
	v_lshlrev_b64 v[3:4], 2, v[3:4]
	s_add_i32 s11, s11, s9
	s_mul_i32 s10, s10, s8
	s_lshl_b64 s[10:11], s[10:11], 2
	v_mov_b32_e32 v0, s11
	v_add_co_u32_e32 v3, vcc, s10, v3
	v_mad_i64_i32 v[11:12], s[10:11], s3, v2, 0
	v_addc_co_u32_e32 v0, vcc, v4, v0, vcc
	v_add_co_u32_e32 v3, vcc, v3, v7
	v_addc_co_u32_e32 v0, vcc, 0, v0, vcc
	s_mul_i32 s3, s13, s8
	s_mul_hi_u32 s9, s12, s8
	v_mov_b32_e32 v4, s15
	v_add_co_u32_e32 v3, vcc, s14, v3
	v_lshlrev_b64 v[11:12], 2, v[11:12]
	s_add_i32 s11, s9, s3
	s_mul_i32 s10, s12, s8
	v_addc_co_u32_e32 v4, vcc, v4, v0, vcc
	s_lshl_b64 s[10:11], s[10:11], 2
	v_mov_b32_e32 v0, s11
	v_add_co_u32_e32 v11, vcc, s10, v11
	v_addc_co_u32_e32 v0, vcc, v12, v0, vcc
	v_add_co_u32_e32 v1, vcc, v11, v1
	v_addc_co_u32_e32 v11, vcc, 0, v0, vcc
	v_add_u32_e32 v9, 0x400, v6
	v_mov_b32_e32 v12, s7
	v_add_co_u32_e32 v0, vcc, s6, v1
	v_add_u32_e32 v8, v7, v6
	v_add_u32_e32 v10, v9, v7
	v_mov_b32_e32 v6, 0
	v_addc_co_u32_e32 v1, vcc, v12, v11, vcc
.LBB41_2:                               ; =>This Inner Loop Header: Depth=1
	global_load_dword v11, v[0:1], off
	global_load_dword v12, v[3:4], off
	v_add_co_u32_e32 v3, vcc, 64, v3
	v_addc_co_u32_e32 v4, vcc, 0, v4, vcc
	s_add_i32 s2, s2, 16
	v_add_co_u32_e32 v0, vcc, 64, v0
	v_addc_co_u32_e32 v1, vcc, 0, v1, vcc
	s_cmp_lt_i32 s2, s0
	s_waitcnt vmcnt(1)
	ds_write_b32 v8, v11
	s_waitcnt vmcnt(0)
	ds_write_b32 v10, v12
	s_waitcnt lgkmcnt(0)
	s_barrier
	ds_read2_b32 v[19:20], v7 offset1:16
	ds_read_b128 v[11:14], v9
	ds_read_b128 v[15:18], v9 offset:16
	s_waitcnt lgkmcnt(1)
	v_fmac_f32_e32 v6, v19, v11
	v_fmac_f32_e32 v6, v20, v12
	ds_read2_b32 v[11:12], v7 offset0:32 offset1:48
	s_waitcnt lgkmcnt(0)
	v_fmac_f32_e32 v6, v11, v13
	v_fmac_f32_e32 v6, v12, v14
	ds_read2_b32 v[11:12], v7 offset0:64 offset1:80
	ds_read2_b32 v[13:14], v7 offset0:96 offset1:112
	;; [unrolled: 1-line block ×3, first 2 shown]
	s_waitcnt lgkmcnt(2)
	v_fmac_f32_e32 v6, v11, v15
	v_fmac_f32_e32 v6, v12, v16
	s_waitcnt lgkmcnt(1)
	v_fmac_f32_e32 v6, v13, v17
	v_fmac_f32_e32 v6, v14, v18
	ds_read_b128 v[11:14], v9 offset:32
	ds_read_b128 v[15:18], v9 offset:48
	s_waitcnt lgkmcnt(1)
	v_fmac_f32_e32 v6, v19, v11
	v_fmac_f32_e32 v6, v20, v12
	ds_read2_b32 v[11:12], v7 offset0:160 offset1:176
	s_waitcnt lgkmcnt(0)
	v_fmac_f32_e32 v6, v11, v13
	v_fmac_f32_e32 v6, v12, v14
	ds_read2_b32 v[11:12], v7 offset0:192 offset1:208
	ds_read2_b32 v[13:14], v7 offset0:224 offset1:240
	s_waitcnt lgkmcnt(0)
	s_barrier
	v_fmac_f32_e32 v6, v11, v15
	v_fmac_f32_e32 v6, v12, v16
	;; [unrolled: 1-line block ×4, first 2 shown]
	s_cbranch_scc1 .LBB41_2
; %bb.3:
	v_cmp_le_i32_e32 vcc, v2, v5
	s_and_saveexec_b64 s[2:3], vcc
	s_cbranch_execz .LBB41_5
.LBB41_4:
	s_load_dwordx2 s[2:3], s[4:5], 0x58
	s_load_dwordx2 s[6:7], s[4:5], 0x48
	s_load_dword s0, s[4:5], 0x50
	v_mul_f32_e32 v4, s1, v6
	v_ashrrev_i32_e32 v3, 31, v2
	s_waitcnt lgkmcnt(0)
	s_mul_i32 s3, s3, s8
	s_mul_hi_u32 s4, s2, s8
	s_add_i32 s3, s4, s3
	v_mad_i64_i32 v[0:1], s[4:5], s0, v5, 0
	s_mul_i32 s2, s2, s8
	s_lshl_b64 s[2:3], s[2:3], 2
	s_add_u32 s2, s6, s2
	v_lshlrev_b64 v[0:1], 2, v[0:1]
	s_addc_u32 s0, s7, s3
	v_mov_b32_e32 v5, s0
	v_add_co_u32_e32 v6, vcc, s2, v0
	v_addc_co_u32_e32 v5, vcc, v5, v1, vcc
	v_lshlrev_b64 v[0:1], 2, v[2:3]
	v_add_co_u32_e32 v0, vcc, v6, v0
	v_addc_co_u32_e32 v1, vcc, v5, v1, vcc
	global_store_dword v[0:1], v4, off
.LBB41_5:
	s_endpgm
.LBB41_6:
	v_mov_b32_e32 v6, 0
	v_cmp_le_i32_e32 vcc, v2, v5
	s_and_saveexec_b64 s[2:3], vcc
	s_cbranch_execnz .LBB41_4
	s_branch .LBB41_5
	.section	.rodata,"a",@progbits
	.p2align	6, 0x0
	.amdhsa_kernel _ZL41rocblas_syrkx_herkx_small_restrict_kernelIifLi16ELb1ELb0ELc84ELc85EKffEviT_T0_PT6_S1_lS4_S1_lS2_PT7_S1_li
		.amdhsa_group_segment_fixed_size 2048
		.amdhsa_private_segment_fixed_size 0
		.amdhsa_kernarg_size 100
		.amdhsa_user_sgpr_count 6
		.amdhsa_user_sgpr_private_segment_buffer 1
		.amdhsa_user_sgpr_dispatch_ptr 0
		.amdhsa_user_sgpr_queue_ptr 0
		.amdhsa_user_sgpr_kernarg_segment_ptr 1
		.amdhsa_user_sgpr_dispatch_id 0
		.amdhsa_user_sgpr_flat_scratch_init 0
		.amdhsa_user_sgpr_private_segment_size 0
		.amdhsa_uses_dynamic_stack 0
		.amdhsa_system_sgpr_private_segment_wavefront_offset 0
		.amdhsa_system_sgpr_workgroup_id_x 1
		.amdhsa_system_sgpr_workgroup_id_y 1
		.amdhsa_system_sgpr_workgroup_id_z 1
		.amdhsa_system_sgpr_workgroup_info 0
		.amdhsa_system_vgpr_workitem_id 1
		.amdhsa_next_free_vgpr 21
		.amdhsa_next_free_sgpr 18
		.amdhsa_reserve_vcc 1
		.amdhsa_reserve_flat_scratch 0
		.amdhsa_float_round_mode_32 0
		.amdhsa_float_round_mode_16_64 0
		.amdhsa_float_denorm_mode_32 3
		.amdhsa_float_denorm_mode_16_64 3
		.amdhsa_dx10_clamp 1
		.amdhsa_ieee_mode 1
		.amdhsa_fp16_overflow 0
		.amdhsa_exception_fp_ieee_invalid_op 0
		.amdhsa_exception_fp_denorm_src 0
		.amdhsa_exception_fp_ieee_div_zero 0
		.amdhsa_exception_fp_ieee_overflow 0
		.amdhsa_exception_fp_ieee_underflow 0
		.amdhsa_exception_fp_ieee_inexact 0
		.amdhsa_exception_int_div_zero 0
	.end_amdhsa_kernel
	.section	.text._ZL41rocblas_syrkx_herkx_small_restrict_kernelIifLi16ELb1ELb0ELc84ELc85EKffEviT_T0_PT6_S1_lS4_S1_lS2_PT7_S1_li,"axG",@progbits,_ZL41rocblas_syrkx_herkx_small_restrict_kernelIifLi16ELb1ELb0ELc84ELc85EKffEviT_T0_PT6_S1_lS4_S1_lS2_PT7_S1_li,comdat
.Lfunc_end41:
	.size	_ZL41rocblas_syrkx_herkx_small_restrict_kernelIifLi16ELb1ELb0ELc84ELc85EKffEviT_T0_PT6_S1_lS4_S1_lS2_PT7_S1_li, .Lfunc_end41-_ZL41rocblas_syrkx_herkx_small_restrict_kernelIifLi16ELb1ELb0ELc84ELc85EKffEviT_T0_PT6_S1_lS4_S1_lS2_PT7_S1_li
                                        ; -- End function
	.set _ZL41rocblas_syrkx_herkx_small_restrict_kernelIifLi16ELb1ELb0ELc84ELc85EKffEviT_T0_PT6_S1_lS4_S1_lS2_PT7_S1_li.num_vgpr, 21
	.set _ZL41rocblas_syrkx_herkx_small_restrict_kernelIifLi16ELb1ELb0ELc84ELc85EKffEviT_T0_PT6_S1_lS4_S1_lS2_PT7_S1_li.num_agpr, 0
	.set _ZL41rocblas_syrkx_herkx_small_restrict_kernelIifLi16ELb1ELb0ELc84ELc85EKffEviT_T0_PT6_S1_lS4_S1_lS2_PT7_S1_li.numbered_sgpr, 18
	.set _ZL41rocblas_syrkx_herkx_small_restrict_kernelIifLi16ELb1ELb0ELc84ELc85EKffEviT_T0_PT6_S1_lS4_S1_lS2_PT7_S1_li.num_named_barrier, 0
	.set _ZL41rocblas_syrkx_herkx_small_restrict_kernelIifLi16ELb1ELb0ELc84ELc85EKffEviT_T0_PT6_S1_lS4_S1_lS2_PT7_S1_li.private_seg_size, 0
	.set _ZL41rocblas_syrkx_herkx_small_restrict_kernelIifLi16ELb1ELb0ELc84ELc85EKffEviT_T0_PT6_S1_lS4_S1_lS2_PT7_S1_li.uses_vcc, 1
	.set _ZL41rocblas_syrkx_herkx_small_restrict_kernelIifLi16ELb1ELb0ELc84ELc85EKffEviT_T0_PT6_S1_lS4_S1_lS2_PT7_S1_li.uses_flat_scratch, 0
	.set _ZL41rocblas_syrkx_herkx_small_restrict_kernelIifLi16ELb1ELb0ELc84ELc85EKffEviT_T0_PT6_S1_lS4_S1_lS2_PT7_S1_li.has_dyn_sized_stack, 0
	.set _ZL41rocblas_syrkx_herkx_small_restrict_kernelIifLi16ELb1ELb0ELc84ELc85EKffEviT_T0_PT6_S1_lS4_S1_lS2_PT7_S1_li.has_recursion, 0
	.set _ZL41rocblas_syrkx_herkx_small_restrict_kernelIifLi16ELb1ELb0ELc84ELc85EKffEviT_T0_PT6_S1_lS4_S1_lS2_PT7_S1_li.has_indirect_call, 0
	.section	.AMDGPU.csdata,"",@progbits
; Kernel info:
; codeLenInByte = 672
; TotalNumSgprs: 22
; NumVgprs: 21
; ScratchSize: 0
; MemoryBound: 0
; FloatMode: 240
; IeeeMode: 1
; LDSByteSize: 2048 bytes/workgroup (compile time only)
; SGPRBlocks: 2
; VGPRBlocks: 5
; NumSGPRsForWavesPerEU: 22
; NumVGPRsForWavesPerEU: 21
; Occupancy: 10
; WaveLimiterHint : 0
; COMPUTE_PGM_RSRC2:SCRATCH_EN: 0
; COMPUTE_PGM_RSRC2:USER_SGPR: 6
; COMPUTE_PGM_RSRC2:TRAP_HANDLER: 0
; COMPUTE_PGM_RSRC2:TGID_X_EN: 1
; COMPUTE_PGM_RSRC2:TGID_Y_EN: 1
; COMPUTE_PGM_RSRC2:TGID_Z_EN: 1
; COMPUTE_PGM_RSRC2:TIDIG_COMP_CNT: 1
	.section	.text._ZL41rocblas_syrkx_herkx_small_restrict_kernelIifLi16ELb1ELb0ELc67ELc85EKffEviT_T0_PT6_S1_lS4_S1_lS2_PT7_S1_li,"axG",@progbits,_ZL41rocblas_syrkx_herkx_small_restrict_kernelIifLi16ELb1ELb0ELc67ELc85EKffEviT_T0_PT6_S1_lS4_S1_lS2_PT7_S1_li,comdat
	.globl	_ZL41rocblas_syrkx_herkx_small_restrict_kernelIifLi16ELb1ELb0ELc67ELc85EKffEviT_T0_PT6_S1_lS4_S1_lS2_PT7_S1_li ; -- Begin function _ZL41rocblas_syrkx_herkx_small_restrict_kernelIifLi16ELb1ELb0ELc67ELc85EKffEviT_T0_PT6_S1_lS4_S1_lS2_PT7_S1_li
	.p2align	8
	.type	_ZL41rocblas_syrkx_herkx_small_restrict_kernelIifLi16ELb1ELb0ELc67ELc85EKffEviT_T0_PT6_S1_lS4_S1_lS2_PT7_S1_li,@function
_ZL41rocblas_syrkx_herkx_small_restrict_kernelIifLi16ELb1ELb0ELc67ELc85EKffEviT_T0_PT6_S1_lS4_S1_lS2_PT7_S1_li: ; @_ZL41rocblas_syrkx_herkx_small_restrict_kernelIifLi16ELb1ELb0ELc67ELc85EKffEviT_T0_PT6_S1_lS4_S1_lS2_PT7_S1_li
; %bb.0:
	s_load_dwordx2 s[0:1], s[4:5], 0x4
	s_mov_b32 s2, 0
	v_lshl_add_u32 v2, s6, 4, v0
	v_lshl_add_u32 v5, s7, 4, v1
	s_waitcnt lgkmcnt(0)
	s_cmp_lt_i32 s0, 1
	s_cbranch_scc1 .LBB42_6
; %bb.1:
	s_load_dwordx2 s[6:7], s[4:5], 0x10
	s_load_dword s3, s[4:5], 0x18
	s_load_dwordx4 s[12:15], s[4:5], 0x20
	s_load_dword s9, s[4:5], 0x30
	s_load_dwordx2 s[10:11], s[4:5], 0x38
	v_lshlrev_b32_e32 v7, 2, v0
	v_lshlrev_b32_e32 v6, 6, v1
	;; [unrolled: 1-line block ×3, first 2 shown]
	s_waitcnt lgkmcnt(0)
	v_mad_i64_i32 v[3:4], s[16:17], s9, v5, 0
	s_mul_i32 s9, s11, s8
	s_mul_hi_u32 s11, s10, s8
	v_lshlrev_b64 v[3:4], 2, v[3:4]
	s_add_i32 s11, s11, s9
	s_mul_i32 s10, s10, s8
	s_lshl_b64 s[10:11], s[10:11], 2
	v_mov_b32_e32 v0, s11
	v_add_co_u32_e32 v3, vcc, s10, v3
	v_mad_i64_i32 v[11:12], s[10:11], s3, v2, 0
	v_addc_co_u32_e32 v0, vcc, v4, v0, vcc
	v_add_co_u32_e32 v3, vcc, v3, v7
	v_addc_co_u32_e32 v0, vcc, 0, v0, vcc
	s_mul_i32 s3, s13, s8
	s_mul_hi_u32 s9, s12, s8
	v_mov_b32_e32 v4, s15
	v_add_co_u32_e32 v3, vcc, s14, v3
	v_lshlrev_b64 v[11:12], 2, v[11:12]
	s_add_i32 s11, s9, s3
	s_mul_i32 s10, s12, s8
	v_addc_co_u32_e32 v4, vcc, v4, v0, vcc
	s_lshl_b64 s[10:11], s[10:11], 2
	v_mov_b32_e32 v0, s11
	v_add_co_u32_e32 v11, vcc, s10, v11
	v_addc_co_u32_e32 v0, vcc, v12, v0, vcc
	v_add_co_u32_e32 v1, vcc, v11, v1
	v_addc_co_u32_e32 v11, vcc, 0, v0, vcc
	v_add_u32_e32 v9, 0x400, v6
	v_mov_b32_e32 v12, s7
	v_add_co_u32_e32 v0, vcc, s6, v1
	v_add_u32_e32 v8, v7, v6
	v_add_u32_e32 v10, v9, v7
	v_mov_b32_e32 v6, 0
	v_addc_co_u32_e32 v1, vcc, v12, v11, vcc
.LBB42_2:                               ; =>This Inner Loop Header: Depth=1
	global_load_dword v11, v[0:1], off
	global_load_dword v12, v[3:4], off
	v_add_co_u32_e32 v3, vcc, 64, v3
	v_addc_co_u32_e32 v4, vcc, 0, v4, vcc
	s_add_i32 s2, s2, 16
	v_add_co_u32_e32 v0, vcc, 64, v0
	v_addc_co_u32_e32 v1, vcc, 0, v1, vcc
	s_cmp_lt_i32 s2, s0
	s_waitcnt vmcnt(1)
	ds_write_b32 v8, v11
	s_waitcnt vmcnt(0)
	ds_write_b32 v10, v12
	s_waitcnt lgkmcnt(0)
	s_barrier
	ds_read2_b32 v[19:20], v7 offset1:16
	ds_read_b128 v[11:14], v9
	ds_read_b128 v[15:18], v9 offset:16
	s_waitcnt lgkmcnt(1)
	v_fmac_f32_e32 v6, v19, v11
	v_fmac_f32_e32 v6, v20, v12
	ds_read2_b32 v[11:12], v7 offset0:32 offset1:48
	s_waitcnt lgkmcnt(0)
	v_fmac_f32_e32 v6, v11, v13
	v_fmac_f32_e32 v6, v12, v14
	ds_read2_b32 v[11:12], v7 offset0:64 offset1:80
	ds_read2_b32 v[13:14], v7 offset0:96 offset1:112
	;; [unrolled: 1-line block ×3, first 2 shown]
	s_waitcnt lgkmcnt(2)
	v_fmac_f32_e32 v6, v11, v15
	v_fmac_f32_e32 v6, v12, v16
	s_waitcnt lgkmcnt(1)
	v_fmac_f32_e32 v6, v13, v17
	v_fmac_f32_e32 v6, v14, v18
	ds_read_b128 v[11:14], v9 offset:32
	ds_read_b128 v[15:18], v9 offset:48
	s_waitcnt lgkmcnt(1)
	v_fmac_f32_e32 v6, v19, v11
	v_fmac_f32_e32 v6, v20, v12
	ds_read2_b32 v[11:12], v7 offset0:160 offset1:176
	s_waitcnt lgkmcnt(0)
	v_fmac_f32_e32 v6, v11, v13
	v_fmac_f32_e32 v6, v12, v14
	ds_read2_b32 v[11:12], v7 offset0:192 offset1:208
	ds_read2_b32 v[13:14], v7 offset0:224 offset1:240
	s_waitcnt lgkmcnt(0)
	s_barrier
	v_fmac_f32_e32 v6, v11, v15
	v_fmac_f32_e32 v6, v12, v16
	;; [unrolled: 1-line block ×4, first 2 shown]
	s_cbranch_scc1 .LBB42_2
; %bb.3:
	v_cmp_le_i32_e32 vcc, v2, v5
	s_and_saveexec_b64 s[2:3], vcc
	s_cbranch_execz .LBB42_5
.LBB42_4:
	s_load_dwordx2 s[2:3], s[4:5], 0x58
	s_load_dwordx2 s[6:7], s[4:5], 0x48
	s_load_dword s0, s[4:5], 0x50
	v_mul_f32_e32 v4, s1, v6
	v_ashrrev_i32_e32 v3, 31, v2
	s_waitcnt lgkmcnt(0)
	s_mul_i32 s3, s3, s8
	s_mul_hi_u32 s4, s2, s8
	s_add_i32 s3, s4, s3
	v_mad_i64_i32 v[0:1], s[4:5], s0, v5, 0
	s_mul_i32 s2, s2, s8
	s_lshl_b64 s[2:3], s[2:3], 2
	s_add_u32 s2, s6, s2
	v_lshlrev_b64 v[0:1], 2, v[0:1]
	s_addc_u32 s0, s7, s3
	v_mov_b32_e32 v5, s0
	v_add_co_u32_e32 v6, vcc, s2, v0
	v_addc_co_u32_e32 v5, vcc, v5, v1, vcc
	v_lshlrev_b64 v[0:1], 2, v[2:3]
	v_add_co_u32_e32 v0, vcc, v6, v0
	v_addc_co_u32_e32 v1, vcc, v5, v1, vcc
	global_store_dword v[0:1], v4, off
.LBB42_5:
	s_endpgm
.LBB42_6:
	v_mov_b32_e32 v6, 0
	v_cmp_le_i32_e32 vcc, v2, v5
	s_and_saveexec_b64 s[2:3], vcc
	s_cbranch_execnz .LBB42_4
	s_branch .LBB42_5
	.section	.rodata,"a",@progbits
	.p2align	6, 0x0
	.amdhsa_kernel _ZL41rocblas_syrkx_herkx_small_restrict_kernelIifLi16ELb1ELb0ELc67ELc85EKffEviT_T0_PT6_S1_lS4_S1_lS2_PT7_S1_li
		.amdhsa_group_segment_fixed_size 2048
		.amdhsa_private_segment_fixed_size 0
		.amdhsa_kernarg_size 100
		.amdhsa_user_sgpr_count 6
		.amdhsa_user_sgpr_private_segment_buffer 1
		.amdhsa_user_sgpr_dispatch_ptr 0
		.amdhsa_user_sgpr_queue_ptr 0
		.amdhsa_user_sgpr_kernarg_segment_ptr 1
		.amdhsa_user_sgpr_dispatch_id 0
		.amdhsa_user_sgpr_flat_scratch_init 0
		.amdhsa_user_sgpr_private_segment_size 0
		.amdhsa_uses_dynamic_stack 0
		.amdhsa_system_sgpr_private_segment_wavefront_offset 0
		.amdhsa_system_sgpr_workgroup_id_x 1
		.amdhsa_system_sgpr_workgroup_id_y 1
		.amdhsa_system_sgpr_workgroup_id_z 1
		.amdhsa_system_sgpr_workgroup_info 0
		.amdhsa_system_vgpr_workitem_id 1
		.amdhsa_next_free_vgpr 21
		.amdhsa_next_free_sgpr 18
		.amdhsa_reserve_vcc 1
		.amdhsa_reserve_flat_scratch 0
		.amdhsa_float_round_mode_32 0
		.amdhsa_float_round_mode_16_64 0
		.amdhsa_float_denorm_mode_32 3
		.amdhsa_float_denorm_mode_16_64 3
		.amdhsa_dx10_clamp 1
		.amdhsa_ieee_mode 1
		.amdhsa_fp16_overflow 0
		.amdhsa_exception_fp_ieee_invalid_op 0
		.amdhsa_exception_fp_denorm_src 0
		.amdhsa_exception_fp_ieee_div_zero 0
		.amdhsa_exception_fp_ieee_overflow 0
		.amdhsa_exception_fp_ieee_underflow 0
		.amdhsa_exception_fp_ieee_inexact 0
		.amdhsa_exception_int_div_zero 0
	.end_amdhsa_kernel
	.section	.text._ZL41rocblas_syrkx_herkx_small_restrict_kernelIifLi16ELb1ELb0ELc67ELc85EKffEviT_T0_PT6_S1_lS4_S1_lS2_PT7_S1_li,"axG",@progbits,_ZL41rocblas_syrkx_herkx_small_restrict_kernelIifLi16ELb1ELb0ELc67ELc85EKffEviT_T0_PT6_S1_lS4_S1_lS2_PT7_S1_li,comdat
.Lfunc_end42:
	.size	_ZL41rocblas_syrkx_herkx_small_restrict_kernelIifLi16ELb1ELb0ELc67ELc85EKffEviT_T0_PT6_S1_lS4_S1_lS2_PT7_S1_li, .Lfunc_end42-_ZL41rocblas_syrkx_herkx_small_restrict_kernelIifLi16ELb1ELb0ELc67ELc85EKffEviT_T0_PT6_S1_lS4_S1_lS2_PT7_S1_li
                                        ; -- End function
	.set _ZL41rocblas_syrkx_herkx_small_restrict_kernelIifLi16ELb1ELb0ELc67ELc85EKffEviT_T0_PT6_S1_lS4_S1_lS2_PT7_S1_li.num_vgpr, 21
	.set _ZL41rocblas_syrkx_herkx_small_restrict_kernelIifLi16ELb1ELb0ELc67ELc85EKffEviT_T0_PT6_S1_lS4_S1_lS2_PT7_S1_li.num_agpr, 0
	.set _ZL41rocblas_syrkx_herkx_small_restrict_kernelIifLi16ELb1ELb0ELc67ELc85EKffEviT_T0_PT6_S1_lS4_S1_lS2_PT7_S1_li.numbered_sgpr, 18
	.set _ZL41rocblas_syrkx_herkx_small_restrict_kernelIifLi16ELb1ELb0ELc67ELc85EKffEviT_T0_PT6_S1_lS4_S1_lS2_PT7_S1_li.num_named_barrier, 0
	.set _ZL41rocblas_syrkx_herkx_small_restrict_kernelIifLi16ELb1ELb0ELc67ELc85EKffEviT_T0_PT6_S1_lS4_S1_lS2_PT7_S1_li.private_seg_size, 0
	.set _ZL41rocblas_syrkx_herkx_small_restrict_kernelIifLi16ELb1ELb0ELc67ELc85EKffEviT_T0_PT6_S1_lS4_S1_lS2_PT7_S1_li.uses_vcc, 1
	.set _ZL41rocblas_syrkx_herkx_small_restrict_kernelIifLi16ELb1ELb0ELc67ELc85EKffEviT_T0_PT6_S1_lS4_S1_lS2_PT7_S1_li.uses_flat_scratch, 0
	.set _ZL41rocblas_syrkx_herkx_small_restrict_kernelIifLi16ELb1ELb0ELc67ELc85EKffEviT_T0_PT6_S1_lS4_S1_lS2_PT7_S1_li.has_dyn_sized_stack, 0
	.set _ZL41rocblas_syrkx_herkx_small_restrict_kernelIifLi16ELb1ELb0ELc67ELc85EKffEviT_T0_PT6_S1_lS4_S1_lS2_PT7_S1_li.has_recursion, 0
	.set _ZL41rocblas_syrkx_herkx_small_restrict_kernelIifLi16ELb1ELb0ELc67ELc85EKffEviT_T0_PT6_S1_lS4_S1_lS2_PT7_S1_li.has_indirect_call, 0
	.section	.AMDGPU.csdata,"",@progbits
; Kernel info:
; codeLenInByte = 672
; TotalNumSgprs: 22
; NumVgprs: 21
; ScratchSize: 0
; MemoryBound: 0
; FloatMode: 240
; IeeeMode: 1
; LDSByteSize: 2048 bytes/workgroup (compile time only)
; SGPRBlocks: 2
; VGPRBlocks: 5
; NumSGPRsForWavesPerEU: 22
; NumVGPRsForWavesPerEU: 21
; Occupancy: 10
; WaveLimiterHint : 0
; COMPUTE_PGM_RSRC2:SCRATCH_EN: 0
; COMPUTE_PGM_RSRC2:USER_SGPR: 6
; COMPUTE_PGM_RSRC2:TRAP_HANDLER: 0
; COMPUTE_PGM_RSRC2:TGID_X_EN: 1
; COMPUTE_PGM_RSRC2:TGID_Y_EN: 1
; COMPUTE_PGM_RSRC2:TGID_Z_EN: 1
; COMPUTE_PGM_RSRC2:TIDIG_COMP_CNT: 1
	.section	.text._ZL41rocblas_syrkx_herkx_small_restrict_kernelIifLi16ELb1ELb0ELc78ELc85EKffEviT_T0_PT6_S1_lS4_S1_lS2_PT7_S1_li,"axG",@progbits,_ZL41rocblas_syrkx_herkx_small_restrict_kernelIifLi16ELb1ELb0ELc78ELc85EKffEviT_T0_PT6_S1_lS4_S1_lS2_PT7_S1_li,comdat
	.globl	_ZL41rocblas_syrkx_herkx_small_restrict_kernelIifLi16ELb1ELb0ELc78ELc85EKffEviT_T0_PT6_S1_lS4_S1_lS2_PT7_S1_li ; -- Begin function _ZL41rocblas_syrkx_herkx_small_restrict_kernelIifLi16ELb1ELb0ELc78ELc85EKffEviT_T0_PT6_S1_lS4_S1_lS2_PT7_S1_li
	.p2align	8
	.type	_ZL41rocblas_syrkx_herkx_small_restrict_kernelIifLi16ELb1ELb0ELc78ELc85EKffEviT_T0_PT6_S1_lS4_S1_lS2_PT7_S1_li,@function
_ZL41rocblas_syrkx_herkx_small_restrict_kernelIifLi16ELb1ELb0ELc78ELc85EKffEviT_T0_PT6_S1_lS4_S1_lS2_PT7_S1_li: ; @_ZL41rocblas_syrkx_herkx_small_restrict_kernelIifLi16ELb1ELb0ELc78ELc85EKffEviT_T0_PT6_S1_lS4_S1_lS2_PT7_S1_li
; %bb.0:
	s_load_dwordx2 s[10:11], s[4:5], 0x4
	v_lshl_add_u32 v2, s6, 4, v0
	s_mov_b32 s9, 0
	v_lshl_add_u32 v4, s7, 4, v1
	v_ashrrev_i32_e32 v3, 31, v2
	s_waitcnt lgkmcnt(0)
	s_cmp_lt_i32 s10, 1
	s_cbranch_scc1 .LBB43_6
; %bb.1:
	s_load_dword s6, s[4:5], 0x18
	s_load_dword s12, s[4:5], 0x30
	s_load_dwordx2 s[14:15], s[4:5], 0x10
	s_load_dwordx4 s[0:3], s[4:5], 0x20
	s_load_dwordx2 s[16:17], s[4:5], 0x38
	v_lshlrev_b32_e32 v6, 6, v1
	s_waitcnt lgkmcnt(0)
	v_mad_i64_i32 v[11:12], s[18:19], s12, v0, 0
	v_lshlrev_b32_e32 v7, 2, v0
	s_mul_i32 s17, s17, s8
	s_mul_hi_u32 s20, s16, s8
	s_add_i32 s17, s20, s17
	s_mul_i32 s16, s16, s8
	v_lshlrev_b64 v[11:12], 2, v[11:12]
	v_ashrrev_i32_e32 v5, 31, v4
	s_lshl_b64 s[16:17], s[16:17], 2
	v_add_u32_e32 v8, v7, v6
	v_add_u32_e32 v9, 0x400, v6
	v_mov_b32_e32 v0, s17
	v_add_co_u32_e32 v11, vcc, s16, v11
	v_lshlrev_b64 v[5:6], 2, v[4:5]
	v_addc_co_u32_e32 v0, vcc, v0, v12, vcc
	v_add_co_u32_e32 v5, vcc, v11, v5
	v_addc_co_u32_e32 v0, vcc, v0, v6, vcc
	s_ashr_i32 s13, s12, 31
	v_mov_b32_e32 v6, s3
	v_add_co_u32_e32 v5, vcc, s2, v5
	v_addc_co_u32_e32 v6, vcc, v6, v0, vcc
	s_lshl_b64 s[2:3], s[12:13], 6
	v_mad_i64_i32 v[0:1], s[12:13], s6, v1, 0
	s_mul_i32 s1, s1, s8
	s_mul_hi_u32 s16, s0, s8
	s_add_i32 s1, s16, s1
	s_mul_i32 s0, s0, s8
	v_lshlrev_b64 v[0:1], 2, v[0:1]
	s_lshl_b64 s[0:1], s[0:1], 2
	v_mov_b32_e32 v11, s1
	v_add_co_u32_e32 v12, vcc, s0, v0
	v_addc_co_u32_e32 v11, vcc, v11, v1, vcc
	v_lshlrev_b64 v[0:1], 2, v[2:3]
	s_ashr_i32 s7, s6, 31
	v_add_co_u32_e32 v0, vcc, v12, v0
	v_addc_co_u32_e32 v1, vcc, v11, v1, vcc
	v_mov_b32_e32 v11, s15
	v_add_co_u32_e32 v0, vcc, s14, v0
	v_add_u32_e32 v10, v9, v7
	v_addc_co_u32_e32 v1, vcc, v11, v1, vcc
	s_lshl_b64 s[0:1], s[6:7], 6
	v_mov_b32_e32 v11, 0
	v_mov_b32_e32 v12, s3
.LBB43_2:                               ; =>This Inner Loop Header: Depth=1
	global_load_dword v13, v[0:1], off
	global_load_dword v14, v[5:6], off
	v_add_co_u32_e32 v5, vcc, s2, v5
	v_addc_co_u32_e32 v6, vcc, v6, v12, vcc
	v_mov_b32_e32 v15, s1
	v_add_co_u32_e32 v0, vcc, s0, v0
	v_addc_co_u32_e32 v1, vcc, v1, v15, vcc
	s_add_i32 s9, s9, 16
	s_cmp_lt_i32 s9, s10
	s_waitcnt vmcnt(1)
	ds_write_b32 v8, v13
	s_waitcnt vmcnt(0)
	ds_write_b32 v10, v14
	s_waitcnt lgkmcnt(0)
	s_barrier
	ds_read2_b32 v[21:22], v7 offset1:16
	ds_read_b128 v[13:16], v9
	ds_read_b128 v[17:20], v9 offset:16
	s_waitcnt lgkmcnt(1)
	v_fmac_f32_e32 v11, v21, v13
	v_fmac_f32_e32 v11, v22, v14
	ds_read2_b32 v[13:14], v7 offset0:32 offset1:48
	s_waitcnt lgkmcnt(0)
	v_fmac_f32_e32 v11, v13, v15
	v_fmac_f32_e32 v11, v14, v16
	ds_read2_b32 v[13:14], v7 offset0:64 offset1:80
	ds_read2_b32 v[15:16], v7 offset0:96 offset1:112
	;; [unrolled: 1-line block ×3, first 2 shown]
	s_waitcnt lgkmcnt(2)
	v_fmac_f32_e32 v11, v13, v17
	v_fmac_f32_e32 v11, v14, v18
	s_waitcnt lgkmcnt(1)
	v_fmac_f32_e32 v11, v15, v19
	v_fmac_f32_e32 v11, v16, v20
	ds_read_b128 v[13:16], v9 offset:32
	ds_read_b128 v[17:20], v9 offset:48
	s_waitcnt lgkmcnt(1)
	v_fmac_f32_e32 v11, v21, v13
	v_fmac_f32_e32 v11, v22, v14
	ds_read2_b32 v[13:14], v7 offset0:160 offset1:176
	s_waitcnt lgkmcnt(0)
	v_fmac_f32_e32 v11, v13, v15
	v_fmac_f32_e32 v11, v14, v16
	ds_read2_b32 v[13:14], v7 offset0:192 offset1:208
	ds_read2_b32 v[15:16], v7 offset0:224 offset1:240
	s_waitcnt lgkmcnt(0)
	s_barrier
	v_fmac_f32_e32 v11, v13, v17
	v_fmac_f32_e32 v11, v14, v18
	;; [unrolled: 1-line block ×4, first 2 shown]
	s_cbranch_scc1 .LBB43_2
; %bb.3:
	v_cmp_le_i32_e32 vcc, v2, v4
	s_and_saveexec_b64 s[0:1], vcc
	s_cbranch_execz .LBB43_5
.LBB43_4:
	s_load_dwordx2 s[0:1], s[4:5], 0x58
	s_load_dwordx2 s[2:3], s[4:5], 0x48
	s_load_dword s6, s[4:5], 0x50
	s_waitcnt lgkmcnt(0)
	s_mul_i32 s1, s1, s8
	s_mul_hi_u32 s4, s0, s8
	s_add_i32 s1, s4, s1
	v_mad_i64_i32 v[0:1], s[4:5], s6, v4, 0
	s_mul_i32 s0, s0, s8
	s_lshl_b64 s[0:1], s[0:1], 2
	s_add_u32 s0, s2, s0
	v_lshlrev_b64 v[0:1], 2, v[0:1]
	s_addc_u32 s1, s3, s1
	v_mov_b32_e32 v5, s1
	v_add_co_u32_e32 v6, vcc, s0, v0
	v_addc_co_u32_e32 v5, vcc, v5, v1, vcc
	v_lshlrev_b64 v[0:1], 2, v[2:3]
	v_mul_f32_e32 v4, s11, v11
	v_add_co_u32_e32 v0, vcc, v6, v0
	v_addc_co_u32_e32 v1, vcc, v5, v1, vcc
	global_store_dword v[0:1], v4, off
.LBB43_5:
	s_endpgm
.LBB43_6:
	v_mov_b32_e32 v11, 0
	v_cmp_le_i32_e32 vcc, v2, v4
	s_and_saveexec_b64 s[0:1], vcc
	s_cbranch_execnz .LBB43_4
	s_branch .LBB43_5
	.section	.rodata,"a",@progbits
	.p2align	6, 0x0
	.amdhsa_kernel _ZL41rocblas_syrkx_herkx_small_restrict_kernelIifLi16ELb1ELb0ELc78ELc85EKffEviT_T0_PT6_S1_lS4_S1_lS2_PT7_S1_li
		.amdhsa_group_segment_fixed_size 2048
		.amdhsa_private_segment_fixed_size 0
		.amdhsa_kernarg_size 100
		.amdhsa_user_sgpr_count 6
		.amdhsa_user_sgpr_private_segment_buffer 1
		.amdhsa_user_sgpr_dispatch_ptr 0
		.amdhsa_user_sgpr_queue_ptr 0
		.amdhsa_user_sgpr_kernarg_segment_ptr 1
		.amdhsa_user_sgpr_dispatch_id 0
		.amdhsa_user_sgpr_flat_scratch_init 0
		.amdhsa_user_sgpr_private_segment_size 0
		.amdhsa_uses_dynamic_stack 0
		.amdhsa_system_sgpr_private_segment_wavefront_offset 0
		.amdhsa_system_sgpr_workgroup_id_x 1
		.amdhsa_system_sgpr_workgroup_id_y 1
		.amdhsa_system_sgpr_workgroup_id_z 1
		.amdhsa_system_sgpr_workgroup_info 0
		.amdhsa_system_vgpr_workitem_id 1
		.amdhsa_next_free_vgpr 23
		.amdhsa_next_free_sgpr 21
		.amdhsa_reserve_vcc 1
		.amdhsa_reserve_flat_scratch 0
		.amdhsa_float_round_mode_32 0
		.amdhsa_float_round_mode_16_64 0
		.amdhsa_float_denorm_mode_32 3
		.amdhsa_float_denorm_mode_16_64 3
		.amdhsa_dx10_clamp 1
		.amdhsa_ieee_mode 1
		.amdhsa_fp16_overflow 0
		.amdhsa_exception_fp_ieee_invalid_op 0
		.amdhsa_exception_fp_denorm_src 0
		.amdhsa_exception_fp_ieee_div_zero 0
		.amdhsa_exception_fp_ieee_overflow 0
		.amdhsa_exception_fp_ieee_underflow 0
		.amdhsa_exception_fp_ieee_inexact 0
		.amdhsa_exception_int_div_zero 0
	.end_amdhsa_kernel
	.section	.text._ZL41rocblas_syrkx_herkx_small_restrict_kernelIifLi16ELb1ELb0ELc78ELc85EKffEviT_T0_PT6_S1_lS4_S1_lS2_PT7_S1_li,"axG",@progbits,_ZL41rocblas_syrkx_herkx_small_restrict_kernelIifLi16ELb1ELb0ELc78ELc85EKffEviT_T0_PT6_S1_lS4_S1_lS2_PT7_S1_li,comdat
.Lfunc_end43:
	.size	_ZL41rocblas_syrkx_herkx_small_restrict_kernelIifLi16ELb1ELb0ELc78ELc85EKffEviT_T0_PT6_S1_lS4_S1_lS2_PT7_S1_li, .Lfunc_end43-_ZL41rocblas_syrkx_herkx_small_restrict_kernelIifLi16ELb1ELb0ELc78ELc85EKffEviT_T0_PT6_S1_lS4_S1_lS2_PT7_S1_li
                                        ; -- End function
	.set _ZL41rocblas_syrkx_herkx_small_restrict_kernelIifLi16ELb1ELb0ELc78ELc85EKffEviT_T0_PT6_S1_lS4_S1_lS2_PT7_S1_li.num_vgpr, 23
	.set _ZL41rocblas_syrkx_herkx_small_restrict_kernelIifLi16ELb1ELb0ELc78ELc85EKffEviT_T0_PT6_S1_lS4_S1_lS2_PT7_S1_li.num_agpr, 0
	.set _ZL41rocblas_syrkx_herkx_small_restrict_kernelIifLi16ELb1ELb0ELc78ELc85EKffEviT_T0_PT6_S1_lS4_S1_lS2_PT7_S1_li.numbered_sgpr, 21
	.set _ZL41rocblas_syrkx_herkx_small_restrict_kernelIifLi16ELb1ELb0ELc78ELc85EKffEviT_T0_PT6_S1_lS4_S1_lS2_PT7_S1_li.num_named_barrier, 0
	.set _ZL41rocblas_syrkx_herkx_small_restrict_kernelIifLi16ELb1ELb0ELc78ELc85EKffEviT_T0_PT6_S1_lS4_S1_lS2_PT7_S1_li.private_seg_size, 0
	.set _ZL41rocblas_syrkx_herkx_small_restrict_kernelIifLi16ELb1ELb0ELc78ELc85EKffEviT_T0_PT6_S1_lS4_S1_lS2_PT7_S1_li.uses_vcc, 1
	.set _ZL41rocblas_syrkx_herkx_small_restrict_kernelIifLi16ELb1ELb0ELc78ELc85EKffEviT_T0_PT6_S1_lS4_S1_lS2_PT7_S1_li.uses_flat_scratch, 0
	.set _ZL41rocblas_syrkx_herkx_small_restrict_kernelIifLi16ELb1ELb0ELc78ELc85EKffEviT_T0_PT6_S1_lS4_S1_lS2_PT7_S1_li.has_dyn_sized_stack, 0
	.set _ZL41rocblas_syrkx_herkx_small_restrict_kernelIifLi16ELb1ELb0ELc78ELc85EKffEviT_T0_PT6_S1_lS4_S1_lS2_PT7_S1_li.has_recursion, 0
	.set _ZL41rocblas_syrkx_herkx_small_restrict_kernelIifLi16ELb1ELb0ELc78ELc85EKffEviT_T0_PT6_S1_lS4_S1_lS2_PT7_S1_li.has_indirect_call, 0
	.section	.AMDGPU.csdata,"",@progbits
; Kernel info:
; codeLenInByte = 712
; TotalNumSgprs: 25
; NumVgprs: 23
; ScratchSize: 0
; MemoryBound: 0
; FloatMode: 240
; IeeeMode: 1
; LDSByteSize: 2048 bytes/workgroup (compile time only)
; SGPRBlocks: 3
; VGPRBlocks: 5
; NumSGPRsForWavesPerEU: 25
; NumVGPRsForWavesPerEU: 23
; Occupancy: 10
; WaveLimiterHint : 0
; COMPUTE_PGM_RSRC2:SCRATCH_EN: 0
; COMPUTE_PGM_RSRC2:USER_SGPR: 6
; COMPUTE_PGM_RSRC2:TRAP_HANDLER: 0
; COMPUTE_PGM_RSRC2:TGID_X_EN: 1
; COMPUTE_PGM_RSRC2:TGID_Y_EN: 1
; COMPUTE_PGM_RSRC2:TGID_Z_EN: 1
; COMPUTE_PGM_RSRC2:TIDIG_COMP_CNT: 1
	.section	.text._ZL41rocblas_syrkx_herkx_small_restrict_kernelIifLi16ELb0ELb0ELc84ELc76EKffEviT_T0_PT6_S1_lS4_S1_lS2_PT7_S1_li,"axG",@progbits,_ZL41rocblas_syrkx_herkx_small_restrict_kernelIifLi16ELb0ELb0ELc84ELc76EKffEviT_T0_PT6_S1_lS4_S1_lS2_PT7_S1_li,comdat
	.globl	_ZL41rocblas_syrkx_herkx_small_restrict_kernelIifLi16ELb0ELb0ELc84ELc76EKffEviT_T0_PT6_S1_lS4_S1_lS2_PT7_S1_li ; -- Begin function _ZL41rocblas_syrkx_herkx_small_restrict_kernelIifLi16ELb0ELb0ELc84ELc76EKffEviT_T0_PT6_S1_lS4_S1_lS2_PT7_S1_li
	.p2align	8
	.type	_ZL41rocblas_syrkx_herkx_small_restrict_kernelIifLi16ELb0ELb0ELc84ELc76EKffEviT_T0_PT6_S1_lS4_S1_lS2_PT7_S1_li,@function
_ZL41rocblas_syrkx_herkx_small_restrict_kernelIifLi16ELb0ELb0ELc84ELc76EKffEviT_T0_PT6_S1_lS4_S1_lS2_PT7_S1_li: ; @_ZL41rocblas_syrkx_herkx_small_restrict_kernelIifLi16ELb0ELb0ELc84ELc76EKffEviT_T0_PT6_S1_lS4_S1_lS2_PT7_S1_li
; %bb.0:
	s_load_dwordx2 s[0:1], s[4:5], 0x4
	s_mov_b32 s2, 0
	v_lshl_add_u32 v2, s6, 4, v0
	v_lshl_add_u32 v5, s7, 4, v1
	s_waitcnt lgkmcnt(0)
	s_cmp_lt_i32 s0, 1
	s_cbranch_scc1 .LBB44_6
; %bb.1:
	s_load_dwordx2 s[6:7], s[4:5], 0x10
	s_load_dword s3, s[4:5], 0x18
	s_load_dwordx4 s[12:15], s[4:5], 0x20
	s_load_dword s9, s[4:5], 0x30
	s_load_dwordx2 s[10:11], s[4:5], 0x38
	v_lshlrev_b32_e32 v7, 2, v0
	v_lshlrev_b32_e32 v6, 6, v1
	;; [unrolled: 1-line block ×3, first 2 shown]
	s_waitcnt lgkmcnt(0)
	v_mad_i64_i32 v[3:4], s[16:17], s9, v5, 0
	s_mul_i32 s9, s11, s8
	s_mul_hi_u32 s11, s10, s8
	v_lshlrev_b64 v[3:4], 2, v[3:4]
	s_add_i32 s11, s11, s9
	s_mul_i32 s10, s10, s8
	s_lshl_b64 s[10:11], s[10:11], 2
	v_mov_b32_e32 v0, s11
	v_add_co_u32_e32 v3, vcc, s10, v3
	v_mad_i64_i32 v[11:12], s[10:11], s3, v2, 0
	v_addc_co_u32_e32 v0, vcc, v4, v0, vcc
	v_add_co_u32_e32 v3, vcc, v3, v7
	v_addc_co_u32_e32 v0, vcc, 0, v0, vcc
	s_mul_i32 s3, s13, s8
	s_mul_hi_u32 s9, s12, s8
	v_mov_b32_e32 v4, s15
	v_add_co_u32_e32 v3, vcc, s14, v3
	v_lshlrev_b64 v[11:12], 2, v[11:12]
	s_add_i32 s11, s9, s3
	s_mul_i32 s10, s12, s8
	v_addc_co_u32_e32 v4, vcc, v4, v0, vcc
	s_lshl_b64 s[10:11], s[10:11], 2
	v_mov_b32_e32 v0, s11
	v_add_co_u32_e32 v11, vcc, s10, v11
	v_addc_co_u32_e32 v0, vcc, v12, v0, vcc
	v_add_co_u32_e32 v1, vcc, v11, v1
	v_addc_co_u32_e32 v11, vcc, 0, v0, vcc
	v_add_u32_e32 v9, 0x400, v6
	v_mov_b32_e32 v12, s7
	v_add_co_u32_e32 v0, vcc, s6, v1
	v_add_u32_e32 v8, v7, v6
	v_add_u32_e32 v10, v9, v7
	v_mov_b32_e32 v6, 0
	v_addc_co_u32_e32 v1, vcc, v12, v11, vcc
.LBB44_2:                               ; =>This Inner Loop Header: Depth=1
	global_load_dword v11, v[0:1], off
	global_load_dword v12, v[3:4], off
	v_add_co_u32_e32 v3, vcc, 64, v3
	v_addc_co_u32_e32 v4, vcc, 0, v4, vcc
	s_add_i32 s2, s2, 16
	v_add_co_u32_e32 v0, vcc, 64, v0
	v_addc_co_u32_e32 v1, vcc, 0, v1, vcc
	s_cmp_lt_i32 s2, s0
	s_waitcnt vmcnt(1)
	ds_write_b32 v8, v11
	s_waitcnt vmcnt(0)
	ds_write_b32 v10, v12
	s_waitcnt lgkmcnt(0)
	s_barrier
	ds_read2_b32 v[19:20], v7 offset1:16
	ds_read_b128 v[11:14], v9
	ds_read_b128 v[15:18], v9 offset:16
	s_waitcnt lgkmcnt(1)
	v_fmac_f32_e32 v6, v19, v11
	v_fmac_f32_e32 v6, v20, v12
	ds_read2_b32 v[11:12], v7 offset0:32 offset1:48
	s_waitcnt lgkmcnt(0)
	v_fmac_f32_e32 v6, v11, v13
	v_fmac_f32_e32 v6, v12, v14
	ds_read2_b32 v[11:12], v7 offset0:64 offset1:80
	ds_read2_b32 v[13:14], v7 offset0:96 offset1:112
	;; [unrolled: 1-line block ×3, first 2 shown]
	s_waitcnt lgkmcnt(2)
	v_fmac_f32_e32 v6, v11, v15
	v_fmac_f32_e32 v6, v12, v16
	s_waitcnt lgkmcnt(1)
	v_fmac_f32_e32 v6, v13, v17
	v_fmac_f32_e32 v6, v14, v18
	ds_read_b128 v[11:14], v9 offset:32
	ds_read_b128 v[15:18], v9 offset:48
	s_waitcnt lgkmcnt(1)
	v_fmac_f32_e32 v6, v19, v11
	v_fmac_f32_e32 v6, v20, v12
	ds_read2_b32 v[11:12], v7 offset0:160 offset1:176
	s_waitcnt lgkmcnt(0)
	v_fmac_f32_e32 v6, v11, v13
	v_fmac_f32_e32 v6, v12, v14
	ds_read2_b32 v[11:12], v7 offset0:192 offset1:208
	ds_read2_b32 v[13:14], v7 offset0:224 offset1:240
	s_waitcnt lgkmcnt(0)
	s_barrier
	v_fmac_f32_e32 v6, v11, v15
	v_fmac_f32_e32 v6, v12, v16
	;; [unrolled: 1-line block ×4, first 2 shown]
	s_cbranch_scc1 .LBB44_2
; %bb.3:
	v_cmp_le_i32_e32 vcc, v5, v2
	s_and_saveexec_b64 s[2:3], vcc
	s_cbranch_execz .LBB44_5
.LBB44_4:
	s_load_dwordx2 s[2:3], s[4:5], 0x58
	s_load_dwordx2 s[6:7], s[4:5], 0x48
	s_load_dword s0, s[4:5], 0x50
	v_ashrrev_i32_e32 v3, 31, v2
	s_waitcnt lgkmcnt(0)
	s_mul_i32 s3, s3, s8
	s_mul_hi_u32 s9, s2, s8
	s_mul_i32 s2, s2, s8
	s_add_i32 s3, s9, s3
	v_mad_i64_i32 v[0:1], s[8:9], s0, v5, 0
	s_lshl_b64 s[2:3], s[2:3], 2
	s_add_u32 s0, s6, s2
	v_lshlrev_b64 v[0:1], 2, v[0:1]
	s_addc_u32 s2, s7, s3
	v_mov_b32_e32 v4, s2
	v_add_co_u32_e32 v5, vcc, s0, v0
	v_addc_co_u32_e32 v4, vcc, v4, v1, vcc
	v_lshlrev_b64 v[0:1], 2, v[2:3]
	s_load_dword s0, s[4:5], 0x40
	v_add_co_u32_e32 v0, vcc, v5, v0
	v_addc_co_u32_e32 v1, vcc, v4, v1, vcc
	global_load_dword v2, v[0:1], off
	s_waitcnt vmcnt(0) lgkmcnt(0)
	v_mul_f32_e32 v2, s0, v2
	v_fmac_f32_e32 v2, s1, v6
	global_store_dword v[0:1], v2, off
.LBB44_5:
	s_endpgm
.LBB44_6:
	v_mov_b32_e32 v6, 0
	v_cmp_le_i32_e32 vcc, v5, v2
	s_and_saveexec_b64 s[2:3], vcc
	s_cbranch_execnz .LBB44_4
	s_branch .LBB44_5
	.section	.rodata,"a",@progbits
	.p2align	6, 0x0
	.amdhsa_kernel _ZL41rocblas_syrkx_herkx_small_restrict_kernelIifLi16ELb0ELb0ELc84ELc76EKffEviT_T0_PT6_S1_lS4_S1_lS2_PT7_S1_li
		.amdhsa_group_segment_fixed_size 2048
		.amdhsa_private_segment_fixed_size 0
		.amdhsa_kernarg_size 100
		.amdhsa_user_sgpr_count 6
		.amdhsa_user_sgpr_private_segment_buffer 1
		.amdhsa_user_sgpr_dispatch_ptr 0
		.amdhsa_user_sgpr_queue_ptr 0
		.amdhsa_user_sgpr_kernarg_segment_ptr 1
		.amdhsa_user_sgpr_dispatch_id 0
		.amdhsa_user_sgpr_flat_scratch_init 0
		.amdhsa_user_sgpr_private_segment_size 0
		.amdhsa_uses_dynamic_stack 0
		.amdhsa_system_sgpr_private_segment_wavefront_offset 0
		.amdhsa_system_sgpr_workgroup_id_x 1
		.amdhsa_system_sgpr_workgroup_id_y 1
		.amdhsa_system_sgpr_workgroup_id_z 1
		.amdhsa_system_sgpr_workgroup_info 0
		.amdhsa_system_vgpr_workitem_id 1
		.amdhsa_next_free_vgpr 21
		.amdhsa_next_free_sgpr 18
		.amdhsa_reserve_vcc 1
		.amdhsa_reserve_flat_scratch 0
		.amdhsa_float_round_mode_32 0
		.amdhsa_float_round_mode_16_64 0
		.amdhsa_float_denorm_mode_32 3
		.amdhsa_float_denorm_mode_16_64 3
		.amdhsa_dx10_clamp 1
		.amdhsa_ieee_mode 1
		.amdhsa_fp16_overflow 0
		.amdhsa_exception_fp_ieee_invalid_op 0
		.amdhsa_exception_fp_denorm_src 0
		.amdhsa_exception_fp_ieee_div_zero 0
		.amdhsa_exception_fp_ieee_overflow 0
		.amdhsa_exception_fp_ieee_underflow 0
		.amdhsa_exception_fp_ieee_inexact 0
		.amdhsa_exception_int_div_zero 0
	.end_amdhsa_kernel
	.section	.text._ZL41rocblas_syrkx_herkx_small_restrict_kernelIifLi16ELb0ELb0ELc84ELc76EKffEviT_T0_PT6_S1_lS4_S1_lS2_PT7_S1_li,"axG",@progbits,_ZL41rocblas_syrkx_herkx_small_restrict_kernelIifLi16ELb0ELb0ELc84ELc76EKffEviT_T0_PT6_S1_lS4_S1_lS2_PT7_S1_li,comdat
.Lfunc_end44:
	.size	_ZL41rocblas_syrkx_herkx_small_restrict_kernelIifLi16ELb0ELb0ELc84ELc76EKffEviT_T0_PT6_S1_lS4_S1_lS2_PT7_S1_li, .Lfunc_end44-_ZL41rocblas_syrkx_herkx_small_restrict_kernelIifLi16ELb0ELb0ELc84ELc76EKffEviT_T0_PT6_S1_lS4_S1_lS2_PT7_S1_li
                                        ; -- End function
	.set _ZL41rocblas_syrkx_herkx_small_restrict_kernelIifLi16ELb0ELb0ELc84ELc76EKffEviT_T0_PT6_S1_lS4_S1_lS2_PT7_S1_li.num_vgpr, 21
	.set _ZL41rocblas_syrkx_herkx_small_restrict_kernelIifLi16ELb0ELb0ELc84ELc76EKffEviT_T0_PT6_S1_lS4_S1_lS2_PT7_S1_li.num_agpr, 0
	.set _ZL41rocblas_syrkx_herkx_small_restrict_kernelIifLi16ELb0ELb0ELc84ELc76EKffEviT_T0_PT6_S1_lS4_S1_lS2_PT7_S1_li.numbered_sgpr, 18
	.set _ZL41rocblas_syrkx_herkx_small_restrict_kernelIifLi16ELb0ELb0ELc84ELc76EKffEviT_T0_PT6_S1_lS4_S1_lS2_PT7_S1_li.num_named_barrier, 0
	.set _ZL41rocblas_syrkx_herkx_small_restrict_kernelIifLi16ELb0ELb0ELc84ELc76EKffEviT_T0_PT6_S1_lS4_S1_lS2_PT7_S1_li.private_seg_size, 0
	.set _ZL41rocblas_syrkx_herkx_small_restrict_kernelIifLi16ELb0ELb0ELc84ELc76EKffEviT_T0_PT6_S1_lS4_S1_lS2_PT7_S1_li.uses_vcc, 1
	.set _ZL41rocblas_syrkx_herkx_small_restrict_kernelIifLi16ELb0ELb0ELc84ELc76EKffEviT_T0_PT6_S1_lS4_S1_lS2_PT7_S1_li.uses_flat_scratch, 0
	.set _ZL41rocblas_syrkx_herkx_small_restrict_kernelIifLi16ELb0ELb0ELc84ELc76EKffEviT_T0_PT6_S1_lS4_S1_lS2_PT7_S1_li.has_dyn_sized_stack, 0
	.set _ZL41rocblas_syrkx_herkx_small_restrict_kernelIifLi16ELb0ELb0ELc84ELc76EKffEviT_T0_PT6_S1_lS4_S1_lS2_PT7_S1_li.has_recursion, 0
	.set _ZL41rocblas_syrkx_herkx_small_restrict_kernelIifLi16ELb0ELb0ELc84ELc76EKffEviT_T0_PT6_S1_lS4_S1_lS2_PT7_S1_li.has_indirect_call, 0
	.section	.AMDGPU.csdata,"",@progbits
; Kernel info:
; codeLenInByte = 696
; TotalNumSgprs: 22
; NumVgprs: 21
; ScratchSize: 0
; MemoryBound: 0
; FloatMode: 240
; IeeeMode: 1
; LDSByteSize: 2048 bytes/workgroup (compile time only)
; SGPRBlocks: 2
; VGPRBlocks: 5
; NumSGPRsForWavesPerEU: 22
; NumVGPRsForWavesPerEU: 21
; Occupancy: 10
; WaveLimiterHint : 0
; COMPUTE_PGM_RSRC2:SCRATCH_EN: 0
; COMPUTE_PGM_RSRC2:USER_SGPR: 6
; COMPUTE_PGM_RSRC2:TRAP_HANDLER: 0
; COMPUTE_PGM_RSRC2:TGID_X_EN: 1
; COMPUTE_PGM_RSRC2:TGID_Y_EN: 1
; COMPUTE_PGM_RSRC2:TGID_Z_EN: 1
; COMPUTE_PGM_RSRC2:TIDIG_COMP_CNT: 1
	.section	.text._ZL41rocblas_syrkx_herkx_small_restrict_kernelIifLi16ELb0ELb0ELc67ELc76EKffEviT_T0_PT6_S1_lS4_S1_lS2_PT7_S1_li,"axG",@progbits,_ZL41rocblas_syrkx_herkx_small_restrict_kernelIifLi16ELb0ELb0ELc67ELc76EKffEviT_T0_PT6_S1_lS4_S1_lS2_PT7_S1_li,comdat
	.globl	_ZL41rocblas_syrkx_herkx_small_restrict_kernelIifLi16ELb0ELb0ELc67ELc76EKffEviT_T0_PT6_S1_lS4_S1_lS2_PT7_S1_li ; -- Begin function _ZL41rocblas_syrkx_herkx_small_restrict_kernelIifLi16ELb0ELb0ELc67ELc76EKffEviT_T0_PT6_S1_lS4_S1_lS2_PT7_S1_li
	.p2align	8
	.type	_ZL41rocblas_syrkx_herkx_small_restrict_kernelIifLi16ELb0ELb0ELc67ELc76EKffEviT_T0_PT6_S1_lS4_S1_lS2_PT7_S1_li,@function
_ZL41rocblas_syrkx_herkx_small_restrict_kernelIifLi16ELb0ELb0ELc67ELc76EKffEviT_T0_PT6_S1_lS4_S1_lS2_PT7_S1_li: ; @_ZL41rocblas_syrkx_herkx_small_restrict_kernelIifLi16ELb0ELb0ELc67ELc76EKffEviT_T0_PT6_S1_lS4_S1_lS2_PT7_S1_li
; %bb.0:
	s_load_dwordx2 s[0:1], s[4:5], 0x4
	s_mov_b32 s2, 0
	v_lshl_add_u32 v2, s6, 4, v0
	v_lshl_add_u32 v5, s7, 4, v1
	s_waitcnt lgkmcnt(0)
	s_cmp_lt_i32 s0, 1
	s_cbranch_scc1 .LBB45_6
; %bb.1:
	s_load_dwordx2 s[6:7], s[4:5], 0x10
	s_load_dword s3, s[4:5], 0x18
	s_load_dwordx4 s[12:15], s[4:5], 0x20
	s_load_dword s9, s[4:5], 0x30
	s_load_dwordx2 s[10:11], s[4:5], 0x38
	v_lshlrev_b32_e32 v7, 2, v0
	v_lshlrev_b32_e32 v6, 6, v1
	;; [unrolled: 1-line block ×3, first 2 shown]
	s_waitcnt lgkmcnt(0)
	v_mad_i64_i32 v[3:4], s[16:17], s9, v5, 0
	s_mul_i32 s9, s11, s8
	s_mul_hi_u32 s11, s10, s8
	v_lshlrev_b64 v[3:4], 2, v[3:4]
	s_add_i32 s11, s11, s9
	s_mul_i32 s10, s10, s8
	s_lshl_b64 s[10:11], s[10:11], 2
	v_mov_b32_e32 v0, s11
	v_add_co_u32_e32 v3, vcc, s10, v3
	v_mad_i64_i32 v[11:12], s[10:11], s3, v2, 0
	v_addc_co_u32_e32 v0, vcc, v4, v0, vcc
	v_add_co_u32_e32 v3, vcc, v3, v7
	v_addc_co_u32_e32 v0, vcc, 0, v0, vcc
	s_mul_i32 s3, s13, s8
	s_mul_hi_u32 s9, s12, s8
	v_mov_b32_e32 v4, s15
	v_add_co_u32_e32 v3, vcc, s14, v3
	v_lshlrev_b64 v[11:12], 2, v[11:12]
	s_add_i32 s11, s9, s3
	s_mul_i32 s10, s12, s8
	v_addc_co_u32_e32 v4, vcc, v4, v0, vcc
	s_lshl_b64 s[10:11], s[10:11], 2
	v_mov_b32_e32 v0, s11
	v_add_co_u32_e32 v11, vcc, s10, v11
	v_addc_co_u32_e32 v0, vcc, v12, v0, vcc
	v_add_co_u32_e32 v1, vcc, v11, v1
	v_addc_co_u32_e32 v11, vcc, 0, v0, vcc
	v_add_u32_e32 v9, 0x400, v6
	v_mov_b32_e32 v12, s7
	v_add_co_u32_e32 v0, vcc, s6, v1
	v_add_u32_e32 v8, v7, v6
	v_add_u32_e32 v10, v9, v7
	v_mov_b32_e32 v6, 0
	v_addc_co_u32_e32 v1, vcc, v12, v11, vcc
.LBB45_2:                               ; =>This Inner Loop Header: Depth=1
	global_load_dword v11, v[0:1], off
	global_load_dword v12, v[3:4], off
	v_add_co_u32_e32 v3, vcc, 64, v3
	v_addc_co_u32_e32 v4, vcc, 0, v4, vcc
	s_add_i32 s2, s2, 16
	v_add_co_u32_e32 v0, vcc, 64, v0
	v_addc_co_u32_e32 v1, vcc, 0, v1, vcc
	s_cmp_lt_i32 s2, s0
	s_waitcnt vmcnt(1)
	ds_write_b32 v8, v11
	s_waitcnt vmcnt(0)
	ds_write_b32 v10, v12
	s_waitcnt lgkmcnt(0)
	s_barrier
	ds_read2_b32 v[19:20], v7 offset1:16
	ds_read_b128 v[11:14], v9
	ds_read_b128 v[15:18], v9 offset:16
	s_waitcnt lgkmcnt(1)
	v_fmac_f32_e32 v6, v19, v11
	v_fmac_f32_e32 v6, v20, v12
	ds_read2_b32 v[11:12], v7 offset0:32 offset1:48
	s_waitcnt lgkmcnt(0)
	v_fmac_f32_e32 v6, v11, v13
	v_fmac_f32_e32 v6, v12, v14
	ds_read2_b32 v[11:12], v7 offset0:64 offset1:80
	ds_read2_b32 v[13:14], v7 offset0:96 offset1:112
	;; [unrolled: 1-line block ×3, first 2 shown]
	s_waitcnt lgkmcnt(2)
	v_fmac_f32_e32 v6, v11, v15
	v_fmac_f32_e32 v6, v12, v16
	s_waitcnt lgkmcnt(1)
	v_fmac_f32_e32 v6, v13, v17
	v_fmac_f32_e32 v6, v14, v18
	ds_read_b128 v[11:14], v9 offset:32
	ds_read_b128 v[15:18], v9 offset:48
	s_waitcnt lgkmcnt(1)
	v_fmac_f32_e32 v6, v19, v11
	v_fmac_f32_e32 v6, v20, v12
	ds_read2_b32 v[11:12], v7 offset0:160 offset1:176
	s_waitcnt lgkmcnt(0)
	v_fmac_f32_e32 v6, v11, v13
	v_fmac_f32_e32 v6, v12, v14
	ds_read2_b32 v[11:12], v7 offset0:192 offset1:208
	ds_read2_b32 v[13:14], v7 offset0:224 offset1:240
	s_waitcnt lgkmcnt(0)
	s_barrier
	v_fmac_f32_e32 v6, v11, v15
	v_fmac_f32_e32 v6, v12, v16
	;; [unrolled: 1-line block ×4, first 2 shown]
	s_cbranch_scc1 .LBB45_2
; %bb.3:
	v_cmp_le_i32_e32 vcc, v5, v2
	s_and_saveexec_b64 s[2:3], vcc
	s_cbranch_execz .LBB45_5
.LBB45_4:
	s_load_dwordx2 s[2:3], s[4:5], 0x58
	s_load_dwordx2 s[6:7], s[4:5], 0x48
	s_load_dword s0, s[4:5], 0x50
	v_ashrrev_i32_e32 v3, 31, v2
	s_waitcnt lgkmcnt(0)
	s_mul_i32 s3, s3, s8
	s_mul_hi_u32 s9, s2, s8
	s_mul_i32 s2, s2, s8
	s_add_i32 s3, s9, s3
	v_mad_i64_i32 v[0:1], s[8:9], s0, v5, 0
	s_lshl_b64 s[2:3], s[2:3], 2
	s_add_u32 s0, s6, s2
	v_lshlrev_b64 v[0:1], 2, v[0:1]
	s_addc_u32 s2, s7, s3
	v_mov_b32_e32 v4, s2
	v_add_co_u32_e32 v5, vcc, s0, v0
	v_addc_co_u32_e32 v4, vcc, v4, v1, vcc
	v_lshlrev_b64 v[0:1], 2, v[2:3]
	s_load_dword s0, s[4:5], 0x40
	v_add_co_u32_e32 v0, vcc, v5, v0
	v_addc_co_u32_e32 v1, vcc, v4, v1, vcc
	global_load_dword v2, v[0:1], off
	s_waitcnt vmcnt(0) lgkmcnt(0)
	v_mul_f32_e32 v2, s0, v2
	v_fmac_f32_e32 v2, s1, v6
	global_store_dword v[0:1], v2, off
.LBB45_5:
	s_endpgm
.LBB45_6:
	v_mov_b32_e32 v6, 0
	v_cmp_le_i32_e32 vcc, v5, v2
	s_and_saveexec_b64 s[2:3], vcc
	s_cbranch_execnz .LBB45_4
	s_branch .LBB45_5
	.section	.rodata,"a",@progbits
	.p2align	6, 0x0
	.amdhsa_kernel _ZL41rocblas_syrkx_herkx_small_restrict_kernelIifLi16ELb0ELb0ELc67ELc76EKffEviT_T0_PT6_S1_lS4_S1_lS2_PT7_S1_li
		.amdhsa_group_segment_fixed_size 2048
		.amdhsa_private_segment_fixed_size 0
		.amdhsa_kernarg_size 100
		.amdhsa_user_sgpr_count 6
		.amdhsa_user_sgpr_private_segment_buffer 1
		.amdhsa_user_sgpr_dispatch_ptr 0
		.amdhsa_user_sgpr_queue_ptr 0
		.amdhsa_user_sgpr_kernarg_segment_ptr 1
		.amdhsa_user_sgpr_dispatch_id 0
		.amdhsa_user_sgpr_flat_scratch_init 0
		.amdhsa_user_sgpr_private_segment_size 0
		.amdhsa_uses_dynamic_stack 0
		.amdhsa_system_sgpr_private_segment_wavefront_offset 0
		.amdhsa_system_sgpr_workgroup_id_x 1
		.amdhsa_system_sgpr_workgroup_id_y 1
		.amdhsa_system_sgpr_workgroup_id_z 1
		.amdhsa_system_sgpr_workgroup_info 0
		.amdhsa_system_vgpr_workitem_id 1
		.amdhsa_next_free_vgpr 21
		.amdhsa_next_free_sgpr 18
		.amdhsa_reserve_vcc 1
		.amdhsa_reserve_flat_scratch 0
		.amdhsa_float_round_mode_32 0
		.amdhsa_float_round_mode_16_64 0
		.amdhsa_float_denorm_mode_32 3
		.amdhsa_float_denorm_mode_16_64 3
		.amdhsa_dx10_clamp 1
		.amdhsa_ieee_mode 1
		.amdhsa_fp16_overflow 0
		.amdhsa_exception_fp_ieee_invalid_op 0
		.amdhsa_exception_fp_denorm_src 0
		.amdhsa_exception_fp_ieee_div_zero 0
		.amdhsa_exception_fp_ieee_overflow 0
		.amdhsa_exception_fp_ieee_underflow 0
		.amdhsa_exception_fp_ieee_inexact 0
		.amdhsa_exception_int_div_zero 0
	.end_amdhsa_kernel
	.section	.text._ZL41rocblas_syrkx_herkx_small_restrict_kernelIifLi16ELb0ELb0ELc67ELc76EKffEviT_T0_PT6_S1_lS4_S1_lS2_PT7_S1_li,"axG",@progbits,_ZL41rocblas_syrkx_herkx_small_restrict_kernelIifLi16ELb0ELb0ELc67ELc76EKffEviT_T0_PT6_S1_lS4_S1_lS2_PT7_S1_li,comdat
.Lfunc_end45:
	.size	_ZL41rocblas_syrkx_herkx_small_restrict_kernelIifLi16ELb0ELb0ELc67ELc76EKffEviT_T0_PT6_S1_lS4_S1_lS2_PT7_S1_li, .Lfunc_end45-_ZL41rocblas_syrkx_herkx_small_restrict_kernelIifLi16ELb0ELb0ELc67ELc76EKffEviT_T0_PT6_S1_lS4_S1_lS2_PT7_S1_li
                                        ; -- End function
	.set _ZL41rocblas_syrkx_herkx_small_restrict_kernelIifLi16ELb0ELb0ELc67ELc76EKffEviT_T0_PT6_S1_lS4_S1_lS2_PT7_S1_li.num_vgpr, 21
	.set _ZL41rocblas_syrkx_herkx_small_restrict_kernelIifLi16ELb0ELb0ELc67ELc76EKffEviT_T0_PT6_S1_lS4_S1_lS2_PT7_S1_li.num_agpr, 0
	.set _ZL41rocblas_syrkx_herkx_small_restrict_kernelIifLi16ELb0ELb0ELc67ELc76EKffEviT_T0_PT6_S1_lS4_S1_lS2_PT7_S1_li.numbered_sgpr, 18
	.set _ZL41rocblas_syrkx_herkx_small_restrict_kernelIifLi16ELb0ELb0ELc67ELc76EKffEviT_T0_PT6_S1_lS4_S1_lS2_PT7_S1_li.num_named_barrier, 0
	.set _ZL41rocblas_syrkx_herkx_small_restrict_kernelIifLi16ELb0ELb0ELc67ELc76EKffEviT_T0_PT6_S1_lS4_S1_lS2_PT7_S1_li.private_seg_size, 0
	.set _ZL41rocblas_syrkx_herkx_small_restrict_kernelIifLi16ELb0ELb0ELc67ELc76EKffEviT_T0_PT6_S1_lS4_S1_lS2_PT7_S1_li.uses_vcc, 1
	.set _ZL41rocblas_syrkx_herkx_small_restrict_kernelIifLi16ELb0ELb0ELc67ELc76EKffEviT_T0_PT6_S1_lS4_S1_lS2_PT7_S1_li.uses_flat_scratch, 0
	.set _ZL41rocblas_syrkx_herkx_small_restrict_kernelIifLi16ELb0ELb0ELc67ELc76EKffEviT_T0_PT6_S1_lS4_S1_lS2_PT7_S1_li.has_dyn_sized_stack, 0
	.set _ZL41rocblas_syrkx_herkx_small_restrict_kernelIifLi16ELb0ELb0ELc67ELc76EKffEviT_T0_PT6_S1_lS4_S1_lS2_PT7_S1_li.has_recursion, 0
	.set _ZL41rocblas_syrkx_herkx_small_restrict_kernelIifLi16ELb0ELb0ELc67ELc76EKffEviT_T0_PT6_S1_lS4_S1_lS2_PT7_S1_li.has_indirect_call, 0
	.section	.AMDGPU.csdata,"",@progbits
; Kernel info:
; codeLenInByte = 696
; TotalNumSgprs: 22
; NumVgprs: 21
; ScratchSize: 0
; MemoryBound: 0
; FloatMode: 240
; IeeeMode: 1
; LDSByteSize: 2048 bytes/workgroup (compile time only)
; SGPRBlocks: 2
; VGPRBlocks: 5
; NumSGPRsForWavesPerEU: 22
; NumVGPRsForWavesPerEU: 21
; Occupancy: 10
; WaveLimiterHint : 0
; COMPUTE_PGM_RSRC2:SCRATCH_EN: 0
; COMPUTE_PGM_RSRC2:USER_SGPR: 6
; COMPUTE_PGM_RSRC2:TRAP_HANDLER: 0
; COMPUTE_PGM_RSRC2:TGID_X_EN: 1
; COMPUTE_PGM_RSRC2:TGID_Y_EN: 1
; COMPUTE_PGM_RSRC2:TGID_Z_EN: 1
; COMPUTE_PGM_RSRC2:TIDIG_COMP_CNT: 1
	.section	.text._ZL41rocblas_syrkx_herkx_small_restrict_kernelIifLi16ELb0ELb0ELc78ELc76EKffEviT_T0_PT6_S1_lS4_S1_lS2_PT7_S1_li,"axG",@progbits,_ZL41rocblas_syrkx_herkx_small_restrict_kernelIifLi16ELb0ELb0ELc78ELc76EKffEviT_T0_PT6_S1_lS4_S1_lS2_PT7_S1_li,comdat
	.globl	_ZL41rocblas_syrkx_herkx_small_restrict_kernelIifLi16ELb0ELb0ELc78ELc76EKffEviT_T0_PT6_S1_lS4_S1_lS2_PT7_S1_li ; -- Begin function _ZL41rocblas_syrkx_herkx_small_restrict_kernelIifLi16ELb0ELb0ELc78ELc76EKffEviT_T0_PT6_S1_lS4_S1_lS2_PT7_S1_li
	.p2align	8
	.type	_ZL41rocblas_syrkx_herkx_small_restrict_kernelIifLi16ELb0ELb0ELc78ELc76EKffEviT_T0_PT6_S1_lS4_S1_lS2_PT7_S1_li,@function
_ZL41rocblas_syrkx_herkx_small_restrict_kernelIifLi16ELb0ELb0ELc78ELc76EKffEviT_T0_PT6_S1_lS4_S1_lS2_PT7_S1_li: ; @_ZL41rocblas_syrkx_herkx_small_restrict_kernelIifLi16ELb0ELb0ELc78ELc76EKffEviT_T0_PT6_S1_lS4_S1_lS2_PT7_S1_li
; %bb.0:
	s_load_dwordx2 s[10:11], s[4:5], 0x4
	v_lshl_add_u32 v2, s6, 4, v0
	s_mov_b32 s9, 0
	v_lshl_add_u32 v4, s7, 4, v1
	v_ashrrev_i32_e32 v3, 31, v2
	s_waitcnt lgkmcnt(0)
	s_cmp_lt_i32 s10, 1
	s_cbranch_scc1 .LBB46_6
; %bb.1:
	s_load_dword s6, s[4:5], 0x18
	s_load_dword s12, s[4:5], 0x30
	s_load_dwordx2 s[14:15], s[4:5], 0x10
	s_load_dwordx4 s[0:3], s[4:5], 0x20
	s_load_dwordx2 s[16:17], s[4:5], 0x38
	v_lshlrev_b32_e32 v6, 6, v1
	s_waitcnt lgkmcnt(0)
	v_mad_i64_i32 v[11:12], s[18:19], s12, v0, 0
	v_lshlrev_b32_e32 v7, 2, v0
	s_mul_i32 s17, s17, s8
	s_mul_hi_u32 s20, s16, s8
	s_add_i32 s17, s20, s17
	s_mul_i32 s16, s16, s8
	v_lshlrev_b64 v[11:12], 2, v[11:12]
	v_ashrrev_i32_e32 v5, 31, v4
	s_lshl_b64 s[16:17], s[16:17], 2
	v_add_u32_e32 v8, v7, v6
	v_add_u32_e32 v9, 0x400, v6
	v_mov_b32_e32 v0, s17
	v_add_co_u32_e32 v11, vcc, s16, v11
	v_lshlrev_b64 v[5:6], 2, v[4:5]
	v_addc_co_u32_e32 v0, vcc, v0, v12, vcc
	v_add_co_u32_e32 v5, vcc, v11, v5
	v_addc_co_u32_e32 v0, vcc, v0, v6, vcc
	s_ashr_i32 s13, s12, 31
	v_mov_b32_e32 v6, s3
	v_add_co_u32_e32 v5, vcc, s2, v5
	v_addc_co_u32_e32 v6, vcc, v6, v0, vcc
	s_lshl_b64 s[2:3], s[12:13], 6
	v_mad_i64_i32 v[0:1], s[12:13], s6, v1, 0
	s_mul_i32 s1, s1, s8
	s_mul_hi_u32 s16, s0, s8
	s_add_i32 s1, s16, s1
	s_mul_i32 s0, s0, s8
	v_lshlrev_b64 v[0:1], 2, v[0:1]
	s_lshl_b64 s[0:1], s[0:1], 2
	v_mov_b32_e32 v11, s1
	v_add_co_u32_e32 v12, vcc, s0, v0
	v_addc_co_u32_e32 v11, vcc, v11, v1, vcc
	v_lshlrev_b64 v[0:1], 2, v[2:3]
	s_ashr_i32 s7, s6, 31
	v_add_co_u32_e32 v0, vcc, v12, v0
	v_addc_co_u32_e32 v1, vcc, v11, v1, vcc
	v_mov_b32_e32 v11, s15
	v_add_co_u32_e32 v0, vcc, s14, v0
	v_add_u32_e32 v10, v9, v7
	v_addc_co_u32_e32 v1, vcc, v11, v1, vcc
	s_lshl_b64 s[0:1], s[6:7], 6
	v_mov_b32_e32 v11, 0
	v_mov_b32_e32 v12, s3
.LBB46_2:                               ; =>This Inner Loop Header: Depth=1
	global_load_dword v13, v[0:1], off
	global_load_dword v14, v[5:6], off
	v_add_co_u32_e32 v5, vcc, s2, v5
	v_addc_co_u32_e32 v6, vcc, v6, v12, vcc
	v_mov_b32_e32 v15, s1
	v_add_co_u32_e32 v0, vcc, s0, v0
	v_addc_co_u32_e32 v1, vcc, v1, v15, vcc
	s_add_i32 s9, s9, 16
	s_cmp_lt_i32 s9, s10
	s_waitcnt vmcnt(1)
	ds_write_b32 v8, v13
	s_waitcnt vmcnt(0)
	ds_write_b32 v10, v14
	s_waitcnt lgkmcnt(0)
	s_barrier
	ds_read2_b32 v[21:22], v7 offset1:16
	ds_read_b128 v[13:16], v9
	ds_read_b128 v[17:20], v9 offset:16
	s_waitcnt lgkmcnt(1)
	v_fmac_f32_e32 v11, v21, v13
	v_fmac_f32_e32 v11, v22, v14
	ds_read2_b32 v[13:14], v7 offset0:32 offset1:48
	s_waitcnt lgkmcnt(0)
	v_fmac_f32_e32 v11, v13, v15
	v_fmac_f32_e32 v11, v14, v16
	ds_read2_b32 v[13:14], v7 offset0:64 offset1:80
	ds_read2_b32 v[15:16], v7 offset0:96 offset1:112
	;; [unrolled: 1-line block ×3, first 2 shown]
	s_waitcnt lgkmcnt(2)
	v_fmac_f32_e32 v11, v13, v17
	v_fmac_f32_e32 v11, v14, v18
	s_waitcnt lgkmcnt(1)
	v_fmac_f32_e32 v11, v15, v19
	v_fmac_f32_e32 v11, v16, v20
	ds_read_b128 v[13:16], v9 offset:32
	ds_read_b128 v[17:20], v9 offset:48
	s_waitcnt lgkmcnt(1)
	v_fmac_f32_e32 v11, v21, v13
	v_fmac_f32_e32 v11, v22, v14
	ds_read2_b32 v[13:14], v7 offset0:160 offset1:176
	s_waitcnt lgkmcnt(0)
	v_fmac_f32_e32 v11, v13, v15
	v_fmac_f32_e32 v11, v14, v16
	ds_read2_b32 v[13:14], v7 offset0:192 offset1:208
	ds_read2_b32 v[15:16], v7 offset0:224 offset1:240
	s_waitcnt lgkmcnt(0)
	s_barrier
	v_fmac_f32_e32 v11, v13, v17
	v_fmac_f32_e32 v11, v14, v18
	;; [unrolled: 1-line block ×4, first 2 shown]
	s_cbranch_scc1 .LBB46_2
; %bb.3:
	v_cmp_le_i32_e32 vcc, v4, v2
	s_and_saveexec_b64 s[0:1], vcc
	s_cbranch_execz .LBB46_5
.LBB46_4:
	s_load_dwordx2 s[0:1], s[4:5], 0x58
	s_load_dwordx2 s[2:3], s[4:5], 0x48
	s_load_dword s6, s[4:5], 0x50
	s_waitcnt lgkmcnt(0)
	s_mul_i32 s1, s1, s8
	s_mul_hi_u32 s7, s0, s8
	s_add_i32 s1, s7, s1
	v_mad_i64_i32 v[0:1], s[6:7], s6, v4, 0
	s_mul_i32 s0, s0, s8
	s_lshl_b64 s[0:1], s[0:1], 2
	s_add_u32 s0, s2, s0
	v_lshlrev_b64 v[0:1], 2, v[0:1]
	s_addc_u32 s1, s3, s1
	v_mov_b32_e32 v4, s1
	v_add_co_u32_e32 v5, vcc, s0, v0
	v_addc_co_u32_e32 v4, vcc, v4, v1, vcc
	v_lshlrev_b64 v[0:1], 2, v[2:3]
	s_load_dword s0, s[4:5], 0x40
	v_add_co_u32_e32 v0, vcc, v5, v0
	v_addc_co_u32_e32 v1, vcc, v4, v1, vcc
	global_load_dword v2, v[0:1], off
	s_waitcnt vmcnt(0) lgkmcnt(0)
	v_mul_f32_e32 v2, s0, v2
	v_fmac_f32_e32 v2, s11, v11
	global_store_dword v[0:1], v2, off
.LBB46_5:
	s_endpgm
.LBB46_6:
	v_mov_b32_e32 v11, 0
	v_cmp_le_i32_e32 vcc, v4, v2
	s_and_saveexec_b64 s[0:1], vcc
	s_cbranch_execnz .LBB46_4
	s_branch .LBB46_5
	.section	.rodata,"a",@progbits
	.p2align	6, 0x0
	.amdhsa_kernel _ZL41rocblas_syrkx_herkx_small_restrict_kernelIifLi16ELb0ELb0ELc78ELc76EKffEviT_T0_PT6_S1_lS4_S1_lS2_PT7_S1_li
		.amdhsa_group_segment_fixed_size 2048
		.amdhsa_private_segment_fixed_size 0
		.amdhsa_kernarg_size 100
		.amdhsa_user_sgpr_count 6
		.amdhsa_user_sgpr_private_segment_buffer 1
		.amdhsa_user_sgpr_dispatch_ptr 0
		.amdhsa_user_sgpr_queue_ptr 0
		.amdhsa_user_sgpr_kernarg_segment_ptr 1
		.amdhsa_user_sgpr_dispatch_id 0
		.amdhsa_user_sgpr_flat_scratch_init 0
		.amdhsa_user_sgpr_private_segment_size 0
		.amdhsa_uses_dynamic_stack 0
		.amdhsa_system_sgpr_private_segment_wavefront_offset 0
		.amdhsa_system_sgpr_workgroup_id_x 1
		.amdhsa_system_sgpr_workgroup_id_y 1
		.amdhsa_system_sgpr_workgroup_id_z 1
		.amdhsa_system_sgpr_workgroup_info 0
		.amdhsa_system_vgpr_workitem_id 1
		.amdhsa_next_free_vgpr 23
		.amdhsa_next_free_sgpr 21
		.amdhsa_reserve_vcc 1
		.amdhsa_reserve_flat_scratch 0
		.amdhsa_float_round_mode_32 0
		.amdhsa_float_round_mode_16_64 0
		.amdhsa_float_denorm_mode_32 3
		.amdhsa_float_denorm_mode_16_64 3
		.amdhsa_dx10_clamp 1
		.amdhsa_ieee_mode 1
		.amdhsa_fp16_overflow 0
		.amdhsa_exception_fp_ieee_invalid_op 0
		.amdhsa_exception_fp_denorm_src 0
		.amdhsa_exception_fp_ieee_div_zero 0
		.amdhsa_exception_fp_ieee_overflow 0
		.amdhsa_exception_fp_ieee_underflow 0
		.amdhsa_exception_fp_ieee_inexact 0
		.amdhsa_exception_int_div_zero 0
	.end_amdhsa_kernel
	.section	.text._ZL41rocblas_syrkx_herkx_small_restrict_kernelIifLi16ELb0ELb0ELc78ELc76EKffEviT_T0_PT6_S1_lS4_S1_lS2_PT7_S1_li,"axG",@progbits,_ZL41rocblas_syrkx_herkx_small_restrict_kernelIifLi16ELb0ELb0ELc78ELc76EKffEviT_T0_PT6_S1_lS4_S1_lS2_PT7_S1_li,comdat
.Lfunc_end46:
	.size	_ZL41rocblas_syrkx_herkx_small_restrict_kernelIifLi16ELb0ELb0ELc78ELc76EKffEviT_T0_PT6_S1_lS4_S1_lS2_PT7_S1_li, .Lfunc_end46-_ZL41rocblas_syrkx_herkx_small_restrict_kernelIifLi16ELb0ELb0ELc78ELc76EKffEviT_T0_PT6_S1_lS4_S1_lS2_PT7_S1_li
                                        ; -- End function
	.set _ZL41rocblas_syrkx_herkx_small_restrict_kernelIifLi16ELb0ELb0ELc78ELc76EKffEviT_T0_PT6_S1_lS4_S1_lS2_PT7_S1_li.num_vgpr, 23
	.set _ZL41rocblas_syrkx_herkx_small_restrict_kernelIifLi16ELb0ELb0ELc78ELc76EKffEviT_T0_PT6_S1_lS4_S1_lS2_PT7_S1_li.num_agpr, 0
	.set _ZL41rocblas_syrkx_herkx_small_restrict_kernelIifLi16ELb0ELb0ELc78ELc76EKffEviT_T0_PT6_S1_lS4_S1_lS2_PT7_S1_li.numbered_sgpr, 21
	.set _ZL41rocblas_syrkx_herkx_small_restrict_kernelIifLi16ELb0ELb0ELc78ELc76EKffEviT_T0_PT6_S1_lS4_S1_lS2_PT7_S1_li.num_named_barrier, 0
	.set _ZL41rocblas_syrkx_herkx_small_restrict_kernelIifLi16ELb0ELb0ELc78ELc76EKffEviT_T0_PT6_S1_lS4_S1_lS2_PT7_S1_li.private_seg_size, 0
	.set _ZL41rocblas_syrkx_herkx_small_restrict_kernelIifLi16ELb0ELb0ELc78ELc76EKffEviT_T0_PT6_S1_lS4_S1_lS2_PT7_S1_li.uses_vcc, 1
	.set _ZL41rocblas_syrkx_herkx_small_restrict_kernelIifLi16ELb0ELb0ELc78ELc76EKffEviT_T0_PT6_S1_lS4_S1_lS2_PT7_S1_li.uses_flat_scratch, 0
	.set _ZL41rocblas_syrkx_herkx_small_restrict_kernelIifLi16ELb0ELb0ELc78ELc76EKffEviT_T0_PT6_S1_lS4_S1_lS2_PT7_S1_li.has_dyn_sized_stack, 0
	.set _ZL41rocblas_syrkx_herkx_small_restrict_kernelIifLi16ELb0ELb0ELc78ELc76EKffEviT_T0_PT6_S1_lS4_S1_lS2_PT7_S1_li.has_recursion, 0
	.set _ZL41rocblas_syrkx_herkx_small_restrict_kernelIifLi16ELb0ELb0ELc78ELc76EKffEviT_T0_PT6_S1_lS4_S1_lS2_PT7_S1_li.has_indirect_call, 0
	.section	.AMDGPU.csdata,"",@progbits
; Kernel info:
; codeLenInByte = 736
; TotalNumSgprs: 25
; NumVgprs: 23
; ScratchSize: 0
; MemoryBound: 0
; FloatMode: 240
; IeeeMode: 1
; LDSByteSize: 2048 bytes/workgroup (compile time only)
; SGPRBlocks: 3
; VGPRBlocks: 5
; NumSGPRsForWavesPerEU: 25
; NumVGPRsForWavesPerEU: 23
; Occupancy: 10
; WaveLimiterHint : 0
; COMPUTE_PGM_RSRC2:SCRATCH_EN: 0
; COMPUTE_PGM_RSRC2:USER_SGPR: 6
; COMPUTE_PGM_RSRC2:TRAP_HANDLER: 0
; COMPUTE_PGM_RSRC2:TGID_X_EN: 1
; COMPUTE_PGM_RSRC2:TGID_Y_EN: 1
; COMPUTE_PGM_RSRC2:TGID_Z_EN: 1
; COMPUTE_PGM_RSRC2:TIDIG_COMP_CNT: 1
	.section	.text._ZL41rocblas_syrkx_herkx_small_restrict_kernelIifLi16ELb0ELb0ELc84ELc85EKffEviT_T0_PT6_S1_lS4_S1_lS2_PT7_S1_li,"axG",@progbits,_ZL41rocblas_syrkx_herkx_small_restrict_kernelIifLi16ELb0ELb0ELc84ELc85EKffEviT_T0_PT6_S1_lS4_S1_lS2_PT7_S1_li,comdat
	.globl	_ZL41rocblas_syrkx_herkx_small_restrict_kernelIifLi16ELb0ELb0ELc84ELc85EKffEviT_T0_PT6_S1_lS4_S1_lS2_PT7_S1_li ; -- Begin function _ZL41rocblas_syrkx_herkx_small_restrict_kernelIifLi16ELb0ELb0ELc84ELc85EKffEviT_T0_PT6_S1_lS4_S1_lS2_PT7_S1_li
	.p2align	8
	.type	_ZL41rocblas_syrkx_herkx_small_restrict_kernelIifLi16ELb0ELb0ELc84ELc85EKffEviT_T0_PT6_S1_lS4_S1_lS2_PT7_S1_li,@function
_ZL41rocblas_syrkx_herkx_small_restrict_kernelIifLi16ELb0ELb0ELc84ELc85EKffEviT_T0_PT6_S1_lS4_S1_lS2_PT7_S1_li: ; @_ZL41rocblas_syrkx_herkx_small_restrict_kernelIifLi16ELb0ELb0ELc84ELc85EKffEviT_T0_PT6_S1_lS4_S1_lS2_PT7_S1_li
; %bb.0:
	s_load_dwordx2 s[0:1], s[4:5], 0x4
	s_mov_b32 s2, 0
	v_lshl_add_u32 v2, s6, 4, v0
	v_lshl_add_u32 v5, s7, 4, v1
	s_waitcnt lgkmcnt(0)
	s_cmp_lt_i32 s0, 1
	s_cbranch_scc1 .LBB47_6
; %bb.1:
	s_load_dwordx2 s[6:7], s[4:5], 0x10
	s_load_dword s3, s[4:5], 0x18
	s_load_dwordx4 s[12:15], s[4:5], 0x20
	s_load_dword s9, s[4:5], 0x30
	s_load_dwordx2 s[10:11], s[4:5], 0x38
	v_lshlrev_b32_e32 v7, 2, v0
	v_lshlrev_b32_e32 v6, 6, v1
	;; [unrolled: 1-line block ×3, first 2 shown]
	s_waitcnt lgkmcnt(0)
	v_mad_i64_i32 v[3:4], s[16:17], s9, v5, 0
	s_mul_i32 s9, s11, s8
	s_mul_hi_u32 s11, s10, s8
	v_lshlrev_b64 v[3:4], 2, v[3:4]
	s_add_i32 s11, s11, s9
	s_mul_i32 s10, s10, s8
	s_lshl_b64 s[10:11], s[10:11], 2
	v_mov_b32_e32 v0, s11
	v_add_co_u32_e32 v3, vcc, s10, v3
	v_mad_i64_i32 v[11:12], s[10:11], s3, v2, 0
	v_addc_co_u32_e32 v0, vcc, v4, v0, vcc
	v_add_co_u32_e32 v3, vcc, v3, v7
	v_addc_co_u32_e32 v0, vcc, 0, v0, vcc
	s_mul_i32 s3, s13, s8
	s_mul_hi_u32 s9, s12, s8
	v_mov_b32_e32 v4, s15
	v_add_co_u32_e32 v3, vcc, s14, v3
	v_lshlrev_b64 v[11:12], 2, v[11:12]
	s_add_i32 s11, s9, s3
	s_mul_i32 s10, s12, s8
	v_addc_co_u32_e32 v4, vcc, v4, v0, vcc
	s_lshl_b64 s[10:11], s[10:11], 2
	v_mov_b32_e32 v0, s11
	v_add_co_u32_e32 v11, vcc, s10, v11
	v_addc_co_u32_e32 v0, vcc, v12, v0, vcc
	v_add_co_u32_e32 v1, vcc, v11, v1
	v_addc_co_u32_e32 v11, vcc, 0, v0, vcc
	v_add_u32_e32 v9, 0x400, v6
	v_mov_b32_e32 v12, s7
	v_add_co_u32_e32 v0, vcc, s6, v1
	v_add_u32_e32 v8, v7, v6
	v_add_u32_e32 v10, v9, v7
	v_mov_b32_e32 v6, 0
	v_addc_co_u32_e32 v1, vcc, v12, v11, vcc
.LBB47_2:                               ; =>This Inner Loop Header: Depth=1
	global_load_dword v11, v[0:1], off
	global_load_dword v12, v[3:4], off
	v_add_co_u32_e32 v3, vcc, 64, v3
	v_addc_co_u32_e32 v4, vcc, 0, v4, vcc
	s_add_i32 s2, s2, 16
	v_add_co_u32_e32 v0, vcc, 64, v0
	v_addc_co_u32_e32 v1, vcc, 0, v1, vcc
	s_cmp_lt_i32 s2, s0
	s_waitcnt vmcnt(1)
	ds_write_b32 v8, v11
	s_waitcnt vmcnt(0)
	ds_write_b32 v10, v12
	s_waitcnt lgkmcnt(0)
	s_barrier
	ds_read2_b32 v[19:20], v7 offset1:16
	ds_read_b128 v[11:14], v9
	ds_read_b128 v[15:18], v9 offset:16
	s_waitcnt lgkmcnt(1)
	v_fmac_f32_e32 v6, v19, v11
	v_fmac_f32_e32 v6, v20, v12
	ds_read2_b32 v[11:12], v7 offset0:32 offset1:48
	s_waitcnt lgkmcnt(0)
	v_fmac_f32_e32 v6, v11, v13
	v_fmac_f32_e32 v6, v12, v14
	ds_read2_b32 v[11:12], v7 offset0:64 offset1:80
	ds_read2_b32 v[13:14], v7 offset0:96 offset1:112
	;; [unrolled: 1-line block ×3, first 2 shown]
	s_waitcnt lgkmcnt(2)
	v_fmac_f32_e32 v6, v11, v15
	v_fmac_f32_e32 v6, v12, v16
	s_waitcnt lgkmcnt(1)
	v_fmac_f32_e32 v6, v13, v17
	v_fmac_f32_e32 v6, v14, v18
	ds_read_b128 v[11:14], v9 offset:32
	ds_read_b128 v[15:18], v9 offset:48
	s_waitcnt lgkmcnt(1)
	v_fmac_f32_e32 v6, v19, v11
	v_fmac_f32_e32 v6, v20, v12
	ds_read2_b32 v[11:12], v7 offset0:160 offset1:176
	s_waitcnt lgkmcnt(0)
	v_fmac_f32_e32 v6, v11, v13
	v_fmac_f32_e32 v6, v12, v14
	ds_read2_b32 v[11:12], v7 offset0:192 offset1:208
	ds_read2_b32 v[13:14], v7 offset0:224 offset1:240
	s_waitcnt lgkmcnt(0)
	s_barrier
	v_fmac_f32_e32 v6, v11, v15
	v_fmac_f32_e32 v6, v12, v16
	;; [unrolled: 1-line block ×4, first 2 shown]
	s_cbranch_scc1 .LBB47_2
; %bb.3:
	v_cmp_le_i32_e32 vcc, v2, v5
	s_and_saveexec_b64 s[2:3], vcc
	s_cbranch_execz .LBB47_5
.LBB47_4:
	s_load_dwordx2 s[2:3], s[4:5], 0x58
	s_load_dwordx2 s[6:7], s[4:5], 0x48
	s_load_dword s0, s[4:5], 0x50
	v_ashrrev_i32_e32 v3, 31, v2
	s_waitcnt lgkmcnt(0)
	s_mul_i32 s3, s3, s8
	s_mul_hi_u32 s9, s2, s8
	s_mul_i32 s2, s2, s8
	s_add_i32 s3, s9, s3
	v_mad_i64_i32 v[0:1], s[8:9], s0, v5, 0
	s_lshl_b64 s[2:3], s[2:3], 2
	s_add_u32 s0, s6, s2
	v_lshlrev_b64 v[0:1], 2, v[0:1]
	s_addc_u32 s2, s7, s3
	v_mov_b32_e32 v4, s2
	v_add_co_u32_e32 v5, vcc, s0, v0
	v_addc_co_u32_e32 v4, vcc, v4, v1, vcc
	v_lshlrev_b64 v[0:1], 2, v[2:3]
	s_load_dword s0, s[4:5], 0x40
	v_add_co_u32_e32 v0, vcc, v5, v0
	v_addc_co_u32_e32 v1, vcc, v4, v1, vcc
	global_load_dword v2, v[0:1], off
	s_waitcnt vmcnt(0) lgkmcnt(0)
	v_mul_f32_e32 v2, s0, v2
	v_fmac_f32_e32 v2, s1, v6
	global_store_dword v[0:1], v2, off
.LBB47_5:
	s_endpgm
.LBB47_6:
	v_mov_b32_e32 v6, 0
	v_cmp_le_i32_e32 vcc, v2, v5
	s_and_saveexec_b64 s[2:3], vcc
	s_cbranch_execnz .LBB47_4
	s_branch .LBB47_5
	.section	.rodata,"a",@progbits
	.p2align	6, 0x0
	.amdhsa_kernel _ZL41rocblas_syrkx_herkx_small_restrict_kernelIifLi16ELb0ELb0ELc84ELc85EKffEviT_T0_PT6_S1_lS4_S1_lS2_PT7_S1_li
		.amdhsa_group_segment_fixed_size 2048
		.amdhsa_private_segment_fixed_size 0
		.amdhsa_kernarg_size 100
		.amdhsa_user_sgpr_count 6
		.amdhsa_user_sgpr_private_segment_buffer 1
		.amdhsa_user_sgpr_dispatch_ptr 0
		.amdhsa_user_sgpr_queue_ptr 0
		.amdhsa_user_sgpr_kernarg_segment_ptr 1
		.amdhsa_user_sgpr_dispatch_id 0
		.amdhsa_user_sgpr_flat_scratch_init 0
		.amdhsa_user_sgpr_private_segment_size 0
		.amdhsa_uses_dynamic_stack 0
		.amdhsa_system_sgpr_private_segment_wavefront_offset 0
		.amdhsa_system_sgpr_workgroup_id_x 1
		.amdhsa_system_sgpr_workgroup_id_y 1
		.amdhsa_system_sgpr_workgroup_id_z 1
		.amdhsa_system_sgpr_workgroup_info 0
		.amdhsa_system_vgpr_workitem_id 1
		.amdhsa_next_free_vgpr 21
		.amdhsa_next_free_sgpr 18
		.amdhsa_reserve_vcc 1
		.amdhsa_reserve_flat_scratch 0
		.amdhsa_float_round_mode_32 0
		.amdhsa_float_round_mode_16_64 0
		.amdhsa_float_denorm_mode_32 3
		.amdhsa_float_denorm_mode_16_64 3
		.amdhsa_dx10_clamp 1
		.amdhsa_ieee_mode 1
		.amdhsa_fp16_overflow 0
		.amdhsa_exception_fp_ieee_invalid_op 0
		.amdhsa_exception_fp_denorm_src 0
		.amdhsa_exception_fp_ieee_div_zero 0
		.amdhsa_exception_fp_ieee_overflow 0
		.amdhsa_exception_fp_ieee_underflow 0
		.amdhsa_exception_fp_ieee_inexact 0
		.amdhsa_exception_int_div_zero 0
	.end_amdhsa_kernel
	.section	.text._ZL41rocblas_syrkx_herkx_small_restrict_kernelIifLi16ELb0ELb0ELc84ELc85EKffEviT_T0_PT6_S1_lS4_S1_lS2_PT7_S1_li,"axG",@progbits,_ZL41rocblas_syrkx_herkx_small_restrict_kernelIifLi16ELb0ELb0ELc84ELc85EKffEviT_T0_PT6_S1_lS4_S1_lS2_PT7_S1_li,comdat
.Lfunc_end47:
	.size	_ZL41rocblas_syrkx_herkx_small_restrict_kernelIifLi16ELb0ELb0ELc84ELc85EKffEviT_T0_PT6_S1_lS4_S1_lS2_PT7_S1_li, .Lfunc_end47-_ZL41rocblas_syrkx_herkx_small_restrict_kernelIifLi16ELb0ELb0ELc84ELc85EKffEviT_T0_PT6_S1_lS4_S1_lS2_PT7_S1_li
                                        ; -- End function
	.set _ZL41rocblas_syrkx_herkx_small_restrict_kernelIifLi16ELb0ELb0ELc84ELc85EKffEviT_T0_PT6_S1_lS4_S1_lS2_PT7_S1_li.num_vgpr, 21
	.set _ZL41rocblas_syrkx_herkx_small_restrict_kernelIifLi16ELb0ELb0ELc84ELc85EKffEviT_T0_PT6_S1_lS4_S1_lS2_PT7_S1_li.num_agpr, 0
	.set _ZL41rocblas_syrkx_herkx_small_restrict_kernelIifLi16ELb0ELb0ELc84ELc85EKffEviT_T0_PT6_S1_lS4_S1_lS2_PT7_S1_li.numbered_sgpr, 18
	.set _ZL41rocblas_syrkx_herkx_small_restrict_kernelIifLi16ELb0ELb0ELc84ELc85EKffEviT_T0_PT6_S1_lS4_S1_lS2_PT7_S1_li.num_named_barrier, 0
	.set _ZL41rocblas_syrkx_herkx_small_restrict_kernelIifLi16ELb0ELb0ELc84ELc85EKffEviT_T0_PT6_S1_lS4_S1_lS2_PT7_S1_li.private_seg_size, 0
	.set _ZL41rocblas_syrkx_herkx_small_restrict_kernelIifLi16ELb0ELb0ELc84ELc85EKffEviT_T0_PT6_S1_lS4_S1_lS2_PT7_S1_li.uses_vcc, 1
	.set _ZL41rocblas_syrkx_herkx_small_restrict_kernelIifLi16ELb0ELb0ELc84ELc85EKffEviT_T0_PT6_S1_lS4_S1_lS2_PT7_S1_li.uses_flat_scratch, 0
	.set _ZL41rocblas_syrkx_herkx_small_restrict_kernelIifLi16ELb0ELb0ELc84ELc85EKffEviT_T0_PT6_S1_lS4_S1_lS2_PT7_S1_li.has_dyn_sized_stack, 0
	.set _ZL41rocblas_syrkx_herkx_small_restrict_kernelIifLi16ELb0ELb0ELc84ELc85EKffEviT_T0_PT6_S1_lS4_S1_lS2_PT7_S1_li.has_recursion, 0
	.set _ZL41rocblas_syrkx_herkx_small_restrict_kernelIifLi16ELb0ELb0ELc84ELc85EKffEviT_T0_PT6_S1_lS4_S1_lS2_PT7_S1_li.has_indirect_call, 0
	.section	.AMDGPU.csdata,"",@progbits
; Kernel info:
; codeLenInByte = 696
; TotalNumSgprs: 22
; NumVgprs: 21
; ScratchSize: 0
; MemoryBound: 0
; FloatMode: 240
; IeeeMode: 1
; LDSByteSize: 2048 bytes/workgroup (compile time only)
; SGPRBlocks: 2
; VGPRBlocks: 5
; NumSGPRsForWavesPerEU: 22
; NumVGPRsForWavesPerEU: 21
; Occupancy: 10
; WaveLimiterHint : 0
; COMPUTE_PGM_RSRC2:SCRATCH_EN: 0
; COMPUTE_PGM_RSRC2:USER_SGPR: 6
; COMPUTE_PGM_RSRC2:TRAP_HANDLER: 0
; COMPUTE_PGM_RSRC2:TGID_X_EN: 1
; COMPUTE_PGM_RSRC2:TGID_Y_EN: 1
; COMPUTE_PGM_RSRC2:TGID_Z_EN: 1
; COMPUTE_PGM_RSRC2:TIDIG_COMP_CNT: 1
	.section	.text._ZL41rocblas_syrkx_herkx_small_restrict_kernelIifLi16ELb0ELb0ELc67ELc85EKffEviT_T0_PT6_S1_lS4_S1_lS2_PT7_S1_li,"axG",@progbits,_ZL41rocblas_syrkx_herkx_small_restrict_kernelIifLi16ELb0ELb0ELc67ELc85EKffEviT_T0_PT6_S1_lS4_S1_lS2_PT7_S1_li,comdat
	.globl	_ZL41rocblas_syrkx_herkx_small_restrict_kernelIifLi16ELb0ELb0ELc67ELc85EKffEviT_T0_PT6_S1_lS4_S1_lS2_PT7_S1_li ; -- Begin function _ZL41rocblas_syrkx_herkx_small_restrict_kernelIifLi16ELb0ELb0ELc67ELc85EKffEviT_T0_PT6_S1_lS4_S1_lS2_PT7_S1_li
	.p2align	8
	.type	_ZL41rocblas_syrkx_herkx_small_restrict_kernelIifLi16ELb0ELb0ELc67ELc85EKffEviT_T0_PT6_S1_lS4_S1_lS2_PT7_S1_li,@function
_ZL41rocblas_syrkx_herkx_small_restrict_kernelIifLi16ELb0ELb0ELc67ELc85EKffEviT_T0_PT6_S1_lS4_S1_lS2_PT7_S1_li: ; @_ZL41rocblas_syrkx_herkx_small_restrict_kernelIifLi16ELb0ELb0ELc67ELc85EKffEviT_T0_PT6_S1_lS4_S1_lS2_PT7_S1_li
; %bb.0:
	s_load_dwordx2 s[0:1], s[4:5], 0x4
	s_mov_b32 s2, 0
	v_lshl_add_u32 v2, s6, 4, v0
	v_lshl_add_u32 v5, s7, 4, v1
	s_waitcnt lgkmcnt(0)
	s_cmp_lt_i32 s0, 1
	s_cbranch_scc1 .LBB48_6
; %bb.1:
	s_load_dwordx2 s[6:7], s[4:5], 0x10
	s_load_dword s3, s[4:5], 0x18
	s_load_dwordx4 s[12:15], s[4:5], 0x20
	s_load_dword s9, s[4:5], 0x30
	s_load_dwordx2 s[10:11], s[4:5], 0x38
	v_lshlrev_b32_e32 v7, 2, v0
	v_lshlrev_b32_e32 v6, 6, v1
	;; [unrolled: 1-line block ×3, first 2 shown]
	s_waitcnt lgkmcnt(0)
	v_mad_i64_i32 v[3:4], s[16:17], s9, v5, 0
	s_mul_i32 s9, s11, s8
	s_mul_hi_u32 s11, s10, s8
	v_lshlrev_b64 v[3:4], 2, v[3:4]
	s_add_i32 s11, s11, s9
	s_mul_i32 s10, s10, s8
	s_lshl_b64 s[10:11], s[10:11], 2
	v_mov_b32_e32 v0, s11
	v_add_co_u32_e32 v3, vcc, s10, v3
	v_mad_i64_i32 v[11:12], s[10:11], s3, v2, 0
	v_addc_co_u32_e32 v0, vcc, v4, v0, vcc
	v_add_co_u32_e32 v3, vcc, v3, v7
	v_addc_co_u32_e32 v0, vcc, 0, v0, vcc
	s_mul_i32 s3, s13, s8
	s_mul_hi_u32 s9, s12, s8
	v_mov_b32_e32 v4, s15
	v_add_co_u32_e32 v3, vcc, s14, v3
	v_lshlrev_b64 v[11:12], 2, v[11:12]
	s_add_i32 s11, s9, s3
	s_mul_i32 s10, s12, s8
	v_addc_co_u32_e32 v4, vcc, v4, v0, vcc
	s_lshl_b64 s[10:11], s[10:11], 2
	v_mov_b32_e32 v0, s11
	v_add_co_u32_e32 v11, vcc, s10, v11
	v_addc_co_u32_e32 v0, vcc, v12, v0, vcc
	v_add_co_u32_e32 v1, vcc, v11, v1
	v_addc_co_u32_e32 v11, vcc, 0, v0, vcc
	v_add_u32_e32 v9, 0x400, v6
	v_mov_b32_e32 v12, s7
	v_add_co_u32_e32 v0, vcc, s6, v1
	v_add_u32_e32 v8, v7, v6
	v_add_u32_e32 v10, v9, v7
	v_mov_b32_e32 v6, 0
	v_addc_co_u32_e32 v1, vcc, v12, v11, vcc
.LBB48_2:                               ; =>This Inner Loop Header: Depth=1
	global_load_dword v11, v[0:1], off
	global_load_dword v12, v[3:4], off
	v_add_co_u32_e32 v3, vcc, 64, v3
	v_addc_co_u32_e32 v4, vcc, 0, v4, vcc
	s_add_i32 s2, s2, 16
	v_add_co_u32_e32 v0, vcc, 64, v0
	v_addc_co_u32_e32 v1, vcc, 0, v1, vcc
	s_cmp_lt_i32 s2, s0
	s_waitcnt vmcnt(1)
	ds_write_b32 v8, v11
	s_waitcnt vmcnt(0)
	ds_write_b32 v10, v12
	s_waitcnt lgkmcnt(0)
	s_barrier
	ds_read2_b32 v[19:20], v7 offset1:16
	ds_read_b128 v[11:14], v9
	ds_read_b128 v[15:18], v9 offset:16
	s_waitcnt lgkmcnt(1)
	v_fmac_f32_e32 v6, v19, v11
	v_fmac_f32_e32 v6, v20, v12
	ds_read2_b32 v[11:12], v7 offset0:32 offset1:48
	s_waitcnt lgkmcnt(0)
	v_fmac_f32_e32 v6, v11, v13
	v_fmac_f32_e32 v6, v12, v14
	ds_read2_b32 v[11:12], v7 offset0:64 offset1:80
	ds_read2_b32 v[13:14], v7 offset0:96 offset1:112
	;; [unrolled: 1-line block ×3, first 2 shown]
	s_waitcnt lgkmcnt(2)
	v_fmac_f32_e32 v6, v11, v15
	v_fmac_f32_e32 v6, v12, v16
	s_waitcnt lgkmcnt(1)
	v_fmac_f32_e32 v6, v13, v17
	v_fmac_f32_e32 v6, v14, v18
	ds_read_b128 v[11:14], v9 offset:32
	ds_read_b128 v[15:18], v9 offset:48
	s_waitcnt lgkmcnt(1)
	v_fmac_f32_e32 v6, v19, v11
	v_fmac_f32_e32 v6, v20, v12
	ds_read2_b32 v[11:12], v7 offset0:160 offset1:176
	s_waitcnt lgkmcnt(0)
	v_fmac_f32_e32 v6, v11, v13
	v_fmac_f32_e32 v6, v12, v14
	ds_read2_b32 v[11:12], v7 offset0:192 offset1:208
	ds_read2_b32 v[13:14], v7 offset0:224 offset1:240
	s_waitcnt lgkmcnt(0)
	s_barrier
	v_fmac_f32_e32 v6, v11, v15
	v_fmac_f32_e32 v6, v12, v16
	;; [unrolled: 1-line block ×4, first 2 shown]
	s_cbranch_scc1 .LBB48_2
; %bb.3:
	v_cmp_le_i32_e32 vcc, v2, v5
	s_and_saveexec_b64 s[2:3], vcc
	s_cbranch_execz .LBB48_5
.LBB48_4:
	s_load_dwordx2 s[2:3], s[4:5], 0x58
	s_load_dwordx2 s[6:7], s[4:5], 0x48
	s_load_dword s0, s[4:5], 0x50
	v_ashrrev_i32_e32 v3, 31, v2
	s_waitcnt lgkmcnt(0)
	s_mul_i32 s3, s3, s8
	s_mul_hi_u32 s9, s2, s8
	s_mul_i32 s2, s2, s8
	s_add_i32 s3, s9, s3
	v_mad_i64_i32 v[0:1], s[8:9], s0, v5, 0
	s_lshl_b64 s[2:3], s[2:3], 2
	s_add_u32 s0, s6, s2
	v_lshlrev_b64 v[0:1], 2, v[0:1]
	s_addc_u32 s2, s7, s3
	v_mov_b32_e32 v4, s2
	v_add_co_u32_e32 v5, vcc, s0, v0
	v_addc_co_u32_e32 v4, vcc, v4, v1, vcc
	v_lshlrev_b64 v[0:1], 2, v[2:3]
	s_load_dword s0, s[4:5], 0x40
	v_add_co_u32_e32 v0, vcc, v5, v0
	v_addc_co_u32_e32 v1, vcc, v4, v1, vcc
	global_load_dword v2, v[0:1], off
	s_waitcnt vmcnt(0) lgkmcnt(0)
	v_mul_f32_e32 v2, s0, v2
	v_fmac_f32_e32 v2, s1, v6
	global_store_dword v[0:1], v2, off
.LBB48_5:
	s_endpgm
.LBB48_6:
	v_mov_b32_e32 v6, 0
	v_cmp_le_i32_e32 vcc, v2, v5
	s_and_saveexec_b64 s[2:3], vcc
	s_cbranch_execnz .LBB48_4
	s_branch .LBB48_5
	.section	.rodata,"a",@progbits
	.p2align	6, 0x0
	.amdhsa_kernel _ZL41rocblas_syrkx_herkx_small_restrict_kernelIifLi16ELb0ELb0ELc67ELc85EKffEviT_T0_PT6_S1_lS4_S1_lS2_PT7_S1_li
		.amdhsa_group_segment_fixed_size 2048
		.amdhsa_private_segment_fixed_size 0
		.amdhsa_kernarg_size 100
		.amdhsa_user_sgpr_count 6
		.amdhsa_user_sgpr_private_segment_buffer 1
		.amdhsa_user_sgpr_dispatch_ptr 0
		.amdhsa_user_sgpr_queue_ptr 0
		.amdhsa_user_sgpr_kernarg_segment_ptr 1
		.amdhsa_user_sgpr_dispatch_id 0
		.amdhsa_user_sgpr_flat_scratch_init 0
		.amdhsa_user_sgpr_private_segment_size 0
		.amdhsa_uses_dynamic_stack 0
		.amdhsa_system_sgpr_private_segment_wavefront_offset 0
		.amdhsa_system_sgpr_workgroup_id_x 1
		.amdhsa_system_sgpr_workgroup_id_y 1
		.amdhsa_system_sgpr_workgroup_id_z 1
		.amdhsa_system_sgpr_workgroup_info 0
		.amdhsa_system_vgpr_workitem_id 1
		.amdhsa_next_free_vgpr 21
		.amdhsa_next_free_sgpr 18
		.amdhsa_reserve_vcc 1
		.amdhsa_reserve_flat_scratch 0
		.amdhsa_float_round_mode_32 0
		.amdhsa_float_round_mode_16_64 0
		.amdhsa_float_denorm_mode_32 3
		.amdhsa_float_denorm_mode_16_64 3
		.amdhsa_dx10_clamp 1
		.amdhsa_ieee_mode 1
		.amdhsa_fp16_overflow 0
		.amdhsa_exception_fp_ieee_invalid_op 0
		.amdhsa_exception_fp_denorm_src 0
		.amdhsa_exception_fp_ieee_div_zero 0
		.amdhsa_exception_fp_ieee_overflow 0
		.amdhsa_exception_fp_ieee_underflow 0
		.amdhsa_exception_fp_ieee_inexact 0
		.amdhsa_exception_int_div_zero 0
	.end_amdhsa_kernel
	.section	.text._ZL41rocblas_syrkx_herkx_small_restrict_kernelIifLi16ELb0ELb0ELc67ELc85EKffEviT_T0_PT6_S1_lS4_S1_lS2_PT7_S1_li,"axG",@progbits,_ZL41rocblas_syrkx_herkx_small_restrict_kernelIifLi16ELb0ELb0ELc67ELc85EKffEviT_T0_PT6_S1_lS4_S1_lS2_PT7_S1_li,comdat
.Lfunc_end48:
	.size	_ZL41rocblas_syrkx_herkx_small_restrict_kernelIifLi16ELb0ELb0ELc67ELc85EKffEviT_T0_PT6_S1_lS4_S1_lS2_PT7_S1_li, .Lfunc_end48-_ZL41rocblas_syrkx_herkx_small_restrict_kernelIifLi16ELb0ELb0ELc67ELc85EKffEviT_T0_PT6_S1_lS4_S1_lS2_PT7_S1_li
                                        ; -- End function
	.set _ZL41rocblas_syrkx_herkx_small_restrict_kernelIifLi16ELb0ELb0ELc67ELc85EKffEviT_T0_PT6_S1_lS4_S1_lS2_PT7_S1_li.num_vgpr, 21
	.set _ZL41rocblas_syrkx_herkx_small_restrict_kernelIifLi16ELb0ELb0ELc67ELc85EKffEviT_T0_PT6_S1_lS4_S1_lS2_PT7_S1_li.num_agpr, 0
	.set _ZL41rocblas_syrkx_herkx_small_restrict_kernelIifLi16ELb0ELb0ELc67ELc85EKffEviT_T0_PT6_S1_lS4_S1_lS2_PT7_S1_li.numbered_sgpr, 18
	.set _ZL41rocblas_syrkx_herkx_small_restrict_kernelIifLi16ELb0ELb0ELc67ELc85EKffEviT_T0_PT6_S1_lS4_S1_lS2_PT7_S1_li.num_named_barrier, 0
	.set _ZL41rocblas_syrkx_herkx_small_restrict_kernelIifLi16ELb0ELb0ELc67ELc85EKffEviT_T0_PT6_S1_lS4_S1_lS2_PT7_S1_li.private_seg_size, 0
	.set _ZL41rocblas_syrkx_herkx_small_restrict_kernelIifLi16ELb0ELb0ELc67ELc85EKffEviT_T0_PT6_S1_lS4_S1_lS2_PT7_S1_li.uses_vcc, 1
	.set _ZL41rocblas_syrkx_herkx_small_restrict_kernelIifLi16ELb0ELb0ELc67ELc85EKffEviT_T0_PT6_S1_lS4_S1_lS2_PT7_S1_li.uses_flat_scratch, 0
	.set _ZL41rocblas_syrkx_herkx_small_restrict_kernelIifLi16ELb0ELb0ELc67ELc85EKffEviT_T0_PT6_S1_lS4_S1_lS2_PT7_S1_li.has_dyn_sized_stack, 0
	.set _ZL41rocblas_syrkx_herkx_small_restrict_kernelIifLi16ELb0ELb0ELc67ELc85EKffEviT_T0_PT6_S1_lS4_S1_lS2_PT7_S1_li.has_recursion, 0
	.set _ZL41rocblas_syrkx_herkx_small_restrict_kernelIifLi16ELb0ELb0ELc67ELc85EKffEviT_T0_PT6_S1_lS4_S1_lS2_PT7_S1_li.has_indirect_call, 0
	.section	.AMDGPU.csdata,"",@progbits
; Kernel info:
; codeLenInByte = 696
; TotalNumSgprs: 22
; NumVgprs: 21
; ScratchSize: 0
; MemoryBound: 0
; FloatMode: 240
; IeeeMode: 1
; LDSByteSize: 2048 bytes/workgroup (compile time only)
; SGPRBlocks: 2
; VGPRBlocks: 5
; NumSGPRsForWavesPerEU: 22
; NumVGPRsForWavesPerEU: 21
; Occupancy: 10
; WaveLimiterHint : 0
; COMPUTE_PGM_RSRC2:SCRATCH_EN: 0
; COMPUTE_PGM_RSRC2:USER_SGPR: 6
; COMPUTE_PGM_RSRC2:TRAP_HANDLER: 0
; COMPUTE_PGM_RSRC2:TGID_X_EN: 1
; COMPUTE_PGM_RSRC2:TGID_Y_EN: 1
; COMPUTE_PGM_RSRC2:TGID_Z_EN: 1
; COMPUTE_PGM_RSRC2:TIDIG_COMP_CNT: 1
	.section	.text._ZL41rocblas_syrkx_herkx_small_restrict_kernelIifLi16ELb0ELb0ELc78ELc85EKffEviT_T0_PT6_S1_lS4_S1_lS2_PT7_S1_li,"axG",@progbits,_ZL41rocblas_syrkx_herkx_small_restrict_kernelIifLi16ELb0ELb0ELc78ELc85EKffEviT_T0_PT6_S1_lS4_S1_lS2_PT7_S1_li,comdat
	.globl	_ZL41rocblas_syrkx_herkx_small_restrict_kernelIifLi16ELb0ELb0ELc78ELc85EKffEviT_T0_PT6_S1_lS4_S1_lS2_PT7_S1_li ; -- Begin function _ZL41rocblas_syrkx_herkx_small_restrict_kernelIifLi16ELb0ELb0ELc78ELc85EKffEviT_T0_PT6_S1_lS4_S1_lS2_PT7_S1_li
	.p2align	8
	.type	_ZL41rocblas_syrkx_herkx_small_restrict_kernelIifLi16ELb0ELb0ELc78ELc85EKffEviT_T0_PT6_S1_lS4_S1_lS2_PT7_S1_li,@function
_ZL41rocblas_syrkx_herkx_small_restrict_kernelIifLi16ELb0ELb0ELc78ELc85EKffEviT_T0_PT6_S1_lS4_S1_lS2_PT7_S1_li: ; @_ZL41rocblas_syrkx_herkx_small_restrict_kernelIifLi16ELb0ELb0ELc78ELc85EKffEviT_T0_PT6_S1_lS4_S1_lS2_PT7_S1_li
; %bb.0:
	s_load_dwordx2 s[10:11], s[4:5], 0x4
	v_lshl_add_u32 v2, s6, 4, v0
	s_mov_b32 s9, 0
	v_lshl_add_u32 v4, s7, 4, v1
	v_ashrrev_i32_e32 v3, 31, v2
	s_waitcnt lgkmcnt(0)
	s_cmp_lt_i32 s10, 1
	s_cbranch_scc1 .LBB49_6
; %bb.1:
	s_load_dword s6, s[4:5], 0x18
	s_load_dword s12, s[4:5], 0x30
	s_load_dwordx2 s[14:15], s[4:5], 0x10
	s_load_dwordx4 s[0:3], s[4:5], 0x20
	s_load_dwordx2 s[16:17], s[4:5], 0x38
	v_lshlrev_b32_e32 v6, 6, v1
	s_waitcnt lgkmcnt(0)
	v_mad_i64_i32 v[11:12], s[18:19], s12, v0, 0
	v_lshlrev_b32_e32 v7, 2, v0
	s_mul_i32 s17, s17, s8
	s_mul_hi_u32 s20, s16, s8
	s_add_i32 s17, s20, s17
	s_mul_i32 s16, s16, s8
	v_lshlrev_b64 v[11:12], 2, v[11:12]
	v_ashrrev_i32_e32 v5, 31, v4
	s_lshl_b64 s[16:17], s[16:17], 2
	v_add_u32_e32 v8, v7, v6
	v_add_u32_e32 v9, 0x400, v6
	v_mov_b32_e32 v0, s17
	v_add_co_u32_e32 v11, vcc, s16, v11
	v_lshlrev_b64 v[5:6], 2, v[4:5]
	v_addc_co_u32_e32 v0, vcc, v0, v12, vcc
	v_add_co_u32_e32 v5, vcc, v11, v5
	v_addc_co_u32_e32 v0, vcc, v0, v6, vcc
	s_ashr_i32 s13, s12, 31
	v_mov_b32_e32 v6, s3
	v_add_co_u32_e32 v5, vcc, s2, v5
	v_addc_co_u32_e32 v6, vcc, v6, v0, vcc
	s_lshl_b64 s[2:3], s[12:13], 6
	v_mad_i64_i32 v[0:1], s[12:13], s6, v1, 0
	s_mul_i32 s1, s1, s8
	s_mul_hi_u32 s16, s0, s8
	s_add_i32 s1, s16, s1
	s_mul_i32 s0, s0, s8
	v_lshlrev_b64 v[0:1], 2, v[0:1]
	s_lshl_b64 s[0:1], s[0:1], 2
	v_mov_b32_e32 v11, s1
	v_add_co_u32_e32 v12, vcc, s0, v0
	v_addc_co_u32_e32 v11, vcc, v11, v1, vcc
	v_lshlrev_b64 v[0:1], 2, v[2:3]
	s_ashr_i32 s7, s6, 31
	v_add_co_u32_e32 v0, vcc, v12, v0
	v_addc_co_u32_e32 v1, vcc, v11, v1, vcc
	v_mov_b32_e32 v11, s15
	v_add_co_u32_e32 v0, vcc, s14, v0
	v_add_u32_e32 v10, v9, v7
	v_addc_co_u32_e32 v1, vcc, v11, v1, vcc
	s_lshl_b64 s[0:1], s[6:7], 6
	v_mov_b32_e32 v11, 0
	v_mov_b32_e32 v12, s3
.LBB49_2:                               ; =>This Inner Loop Header: Depth=1
	global_load_dword v13, v[0:1], off
	global_load_dword v14, v[5:6], off
	v_add_co_u32_e32 v5, vcc, s2, v5
	v_addc_co_u32_e32 v6, vcc, v6, v12, vcc
	v_mov_b32_e32 v15, s1
	v_add_co_u32_e32 v0, vcc, s0, v0
	v_addc_co_u32_e32 v1, vcc, v1, v15, vcc
	s_add_i32 s9, s9, 16
	s_cmp_lt_i32 s9, s10
	s_waitcnt vmcnt(1)
	ds_write_b32 v8, v13
	s_waitcnt vmcnt(0)
	ds_write_b32 v10, v14
	s_waitcnt lgkmcnt(0)
	s_barrier
	ds_read2_b32 v[21:22], v7 offset1:16
	ds_read_b128 v[13:16], v9
	ds_read_b128 v[17:20], v9 offset:16
	s_waitcnt lgkmcnt(1)
	v_fmac_f32_e32 v11, v21, v13
	v_fmac_f32_e32 v11, v22, v14
	ds_read2_b32 v[13:14], v7 offset0:32 offset1:48
	s_waitcnt lgkmcnt(0)
	v_fmac_f32_e32 v11, v13, v15
	v_fmac_f32_e32 v11, v14, v16
	ds_read2_b32 v[13:14], v7 offset0:64 offset1:80
	ds_read2_b32 v[15:16], v7 offset0:96 offset1:112
	;; [unrolled: 1-line block ×3, first 2 shown]
	s_waitcnt lgkmcnt(2)
	v_fmac_f32_e32 v11, v13, v17
	v_fmac_f32_e32 v11, v14, v18
	s_waitcnt lgkmcnt(1)
	v_fmac_f32_e32 v11, v15, v19
	v_fmac_f32_e32 v11, v16, v20
	ds_read_b128 v[13:16], v9 offset:32
	ds_read_b128 v[17:20], v9 offset:48
	s_waitcnt lgkmcnt(1)
	v_fmac_f32_e32 v11, v21, v13
	v_fmac_f32_e32 v11, v22, v14
	ds_read2_b32 v[13:14], v7 offset0:160 offset1:176
	s_waitcnt lgkmcnt(0)
	v_fmac_f32_e32 v11, v13, v15
	v_fmac_f32_e32 v11, v14, v16
	ds_read2_b32 v[13:14], v7 offset0:192 offset1:208
	ds_read2_b32 v[15:16], v7 offset0:224 offset1:240
	s_waitcnt lgkmcnt(0)
	s_barrier
	v_fmac_f32_e32 v11, v13, v17
	v_fmac_f32_e32 v11, v14, v18
	;; [unrolled: 1-line block ×4, first 2 shown]
	s_cbranch_scc1 .LBB49_2
; %bb.3:
	v_cmp_le_i32_e32 vcc, v2, v4
	s_and_saveexec_b64 s[0:1], vcc
	s_cbranch_execz .LBB49_5
.LBB49_4:
	s_load_dwordx2 s[0:1], s[4:5], 0x58
	s_load_dwordx2 s[2:3], s[4:5], 0x48
	s_load_dword s6, s[4:5], 0x50
	s_waitcnt lgkmcnt(0)
	s_mul_i32 s1, s1, s8
	s_mul_hi_u32 s7, s0, s8
	s_add_i32 s1, s7, s1
	v_mad_i64_i32 v[0:1], s[6:7], s6, v4, 0
	s_mul_i32 s0, s0, s8
	s_lshl_b64 s[0:1], s[0:1], 2
	s_add_u32 s0, s2, s0
	v_lshlrev_b64 v[0:1], 2, v[0:1]
	s_addc_u32 s1, s3, s1
	v_mov_b32_e32 v4, s1
	v_add_co_u32_e32 v5, vcc, s0, v0
	v_addc_co_u32_e32 v4, vcc, v4, v1, vcc
	v_lshlrev_b64 v[0:1], 2, v[2:3]
	s_load_dword s0, s[4:5], 0x40
	v_add_co_u32_e32 v0, vcc, v5, v0
	v_addc_co_u32_e32 v1, vcc, v4, v1, vcc
	global_load_dword v2, v[0:1], off
	s_waitcnt vmcnt(0) lgkmcnt(0)
	v_mul_f32_e32 v2, s0, v2
	v_fmac_f32_e32 v2, s11, v11
	global_store_dword v[0:1], v2, off
.LBB49_5:
	s_endpgm
.LBB49_6:
	v_mov_b32_e32 v11, 0
	v_cmp_le_i32_e32 vcc, v2, v4
	s_and_saveexec_b64 s[0:1], vcc
	s_cbranch_execnz .LBB49_4
	s_branch .LBB49_5
	.section	.rodata,"a",@progbits
	.p2align	6, 0x0
	.amdhsa_kernel _ZL41rocblas_syrkx_herkx_small_restrict_kernelIifLi16ELb0ELb0ELc78ELc85EKffEviT_T0_PT6_S1_lS4_S1_lS2_PT7_S1_li
		.amdhsa_group_segment_fixed_size 2048
		.amdhsa_private_segment_fixed_size 0
		.amdhsa_kernarg_size 100
		.amdhsa_user_sgpr_count 6
		.amdhsa_user_sgpr_private_segment_buffer 1
		.amdhsa_user_sgpr_dispatch_ptr 0
		.amdhsa_user_sgpr_queue_ptr 0
		.amdhsa_user_sgpr_kernarg_segment_ptr 1
		.amdhsa_user_sgpr_dispatch_id 0
		.amdhsa_user_sgpr_flat_scratch_init 0
		.amdhsa_user_sgpr_private_segment_size 0
		.amdhsa_uses_dynamic_stack 0
		.amdhsa_system_sgpr_private_segment_wavefront_offset 0
		.amdhsa_system_sgpr_workgroup_id_x 1
		.amdhsa_system_sgpr_workgroup_id_y 1
		.amdhsa_system_sgpr_workgroup_id_z 1
		.amdhsa_system_sgpr_workgroup_info 0
		.amdhsa_system_vgpr_workitem_id 1
		.amdhsa_next_free_vgpr 23
		.amdhsa_next_free_sgpr 21
		.amdhsa_reserve_vcc 1
		.amdhsa_reserve_flat_scratch 0
		.amdhsa_float_round_mode_32 0
		.amdhsa_float_round_mode_16_64 0
		.amdhsa_float_denorm_mode_32 3
		.amdhsa_float_denorm_mode_16_64 3
		.amdhsa_dx10_clamp 1
		.amdhsa_ieee_mode 1
		.amdhsa_fp16_overflow 0
		.amdhsa_exception_fp_ieee_invalid_op 0
		.amdhsa_exception_fp_denorm_src 0
		.amdhsa_exception_fp_ieee_div_zero 0
		.amdhsa_exception_fp_ieee_overflow 0
		.amdhsa_exception_fp_ieee_underflow 0
		.amdhsa_exception_fp_ieee_inexact 0
		.amdhsa_exception_int_div_zero 0
	.end_amdhsa_kernel
	.section	.text._ZL41rocblas_syrkx_herkx_small_restrict_kernelIifLi16ELb0ELb0ELc78ELc85EKffEviT_T0_PT6_S1_lS4_S1_lS2_PT7_S1_li,"axG",@progbits,_ZL41rocblas_syrkx_herkx_small_restrict_kernelIifLi16ELb0ELb0ELc78ELc85EKffEviT_T0_PT6_S1_lS4_S1_lS2_PT7_S1_li,comdat
.Lfunc_end49:
	.size	_ZL41rocblas_syrkx_herkx_small_restrict_kernelIifLi16ELb0ELb0ELc78ELc85EKffEviT_T0_PT6_S1_lS4_S1_lS2_PT7_S1_li, .Lfunc_end49-_ZL41rocblas_syrkx_herkx_small_restrict_kernelIifLi16ELb0ELb0ELc78ELc85EKffEviT_T0_PT6_S1_lS4_S1_lS2_PT7_S1_li
                                        ; -- End function
	.set _ZL41rocblas_syrkx_herkx_small_restrict_kernelIifLi16ELb0ELb0ELc78ELc85EKffEviT_T0_PT6_S1_lS4_S1_lS2_PT7_S1_li.num_vgpr, 23
	.set _ZL41rocblas_syrkx_herkx_small_restrict_kernelIifLi16ELb0ELb0ELc78ELc85EKffEviT_T0_PT6_S1_lS4_S1_lS2_PT7_S1_li.num_agpr, 0
	.set _ZL41rocblas_syrkx_herkx_small_restrict_kernelIifLi16ELb0ELb0ELc78ELc85EKffEviT_T0_PT6_S1_lS4_S1_lS2_PT7_S1_li.numbered_sgpr, 21
	.set _ZL41rocblas_syrkx_herkx_small_restrict_kernelIifLi16ELb0ELb0ELc78ELc85EKffEviT_T0_PT6_S1_lS4_S1_lS2_PT7_S1_li.num_named_barrier, 0
	.set _ZL41rocblas_syrkx_herkx_small_restrict_kernelIifLi16ELb0ELb0ELc78ELc85EKffEviT_T0_PT6_S1_lS4_S1_lS2_PT7_S1_li.private_seg_size, 0
	.set _ZL41rocblas_syrkx_herkx_small_restrict_kernelIifLi16ELb0ELb0ELc78ELc85EKffEviT_T0_PT6_S1_lS4_S1_lS2_PT7_S1_li.uses_vcc, 1
	.set _ZL41rocblas_syrkx_herkx_small_restrict_kernelIifLi16ELb0ELb0ELc78ELc85EKffEviT_T0_PT6_S1_lS4_S1_lS2_PT7_S1_li.uses_flat_scratch, 0
	.set _ZL41rocblas_syrkx_herkx_small_restrict_kernelIifLi16ELb0ELb0ELc78ELc85EKffEviT_T0_PT6_S1_lS4_S1_lS2_PT7_S1_li.has_dyn_sized_stack, 0
	.set _ZL41rocblas_syrkx_herkx_small_restrict_kernelIifLi16ELb0ELb0ELc78ELc85EKffEviT_T0_PT6_S1_lS4_S1_lS2_PT7_S1_li.has_recursion, 0
	.set _ZL41rocblas_syrkx_herkx_small_restrict_kernelIifLi16ELb0ELb0ELc78ELc85EKffEviT_T0_PT6_S1_lS4_S1_lS2_PT7_S1_li.has_indirect_call, 0
	.section	.AMDGPU.csdata,"",@progbits
; Kernel info:
; codeLenInByte = 736
; TotalNumSgprs: 25
; NumVgprs: 23
; ScratchSize: 0
; MemoryBound: 0
; FloatMode: 240
; IeeeMode: 1
; LDSByteSize: 2048 bytes/workgroup (compile time only)
; SGPRBlocks: 3
; VGPRBlocks: 5
; NumSGPRsForWavesPerEU: 25
; NumVGPRsForWavesPerEU: 23
; Occupancy: 10
; WaveLimiterHint : 0
; COMPUTE_PGM_RSRC2:SCRATCH_EN: 0
; COMPUTE_PGM_RSRC2:USER_SGPR: 6
; COMPUTE_PGM_RSRC2:TRAP_HANDLER: 0
; COMPUTE_PGM_RSRC2:TGID_X_EN: 1
; COMPUTE_PGM_RSRC2:TGID_Y_EN: 1
; COMPUTE_PGM_RSRC2:TGID_Z_EN: 1
; COMPUTE_PGM_RSRC2:TIDIG_COMP_CNT: 1
	.section	.text._ZL32rocblas_syrkx_herkx_small_kernelIifLi16ELb1ELb0ELc84ELc76EKffEviT_T0_PT6_S1_lS4_S1_lS2_PT7_S1_li,"axG",@progbits,_ZL32rocblas_syrkx_herkx_small_kernelIifLi16ELb1ELb0ELc84ELc76EKffEviT_T0_PT6_S1_lS4_S1_lS2_PT7_S1_li,comdat
	.globl	_ZL32rocblas_syrkx_herkx_small_kernelIifLi16ELb1ELb0ELc84ELc76EKffEviT_T0_PT6_S1_lS4_S1_lS2_PT7_S1_li ; -- Begin function _ZL32rocblas_syrkx_herkx_small_kernelIifLi16ELb1ELb0ELc84ELc76EKffEviT_T0_PT6_S1_lS4_S1_lS2_PT7_S1_li
	.p2align	8
	.type	_ZL32rocblas_syrkx_herkx_small_kernelIifLi16ELb1ELb0ELc84ELc76EKffEviT_T0_PT6_S1_lS4_S1_lS2_PT7_S1_li,@function
_ZL32rocblas_syrkx_herkx_small_kernelIifLi16ELb1ELb0ELc84ELc76EKffEviT_T0_PT6_S1_lS4_S1_lS2_PT7_S1_li: ; @_ZL32rocblas_syrkx_herkx_small_kernelIifLi16ELb1ELb0ELc84ELc76EKffEviT_T0_PT6_S1_lS4_S1_lS2_PT7_S1_li
; %bb.0:
	s_load_dwordx4 s[12:15], s[4:5], 0x0
	v_lshl_add_u32 v2, s6, 4, v0
	s_mov_b32 s9, 0
	v_lshl_add_u32 v7, s7, 4, v1
	s_waitcnt lgkmcnt(0)
	s_cmp_lt_i32 s13, 1
	v_cmp_gt_i32_e32 vcc, s12, v2
	s_cbranch_scc1 .LBB50_7
; %bb.1:
	s_load_dwordx2 s[6:7], s[4:5], 0x10
	s_load_dword s10, s[4:5], 0x18
	s_load_dwordx4 s[16:19], s[4:5], 0x20
	s_load_dword s0, s[4:5], 0x30
	s_load_dwordx2 s[2:3], s[4:5], 0x38
	v_lshlrev_b32_e32 v5, 6, v1
	v_lshlrev_b32_e32 v9, 2, v0
	v_add_u32_e32 v10, v9, v5
	s_waitcnt lgkmcnt(0)
	v_mad_i64_i32 v[3:4], s[0:1], s0, v7, 0
	s_mul_i32 s3, s3, s8
	s_mul_hi_u32 s11, s2, s8
	v_lshlrev_b64 v[3:4], 2, v[3:4]
	s_add_i32 s3, s11, s3
	s_mul_i32 s2, s2, s8
	s_lshl_b64 s[2:3], s[2:3], 2
	v_add_u32_e32 v11, 0x400, v5
	v_mov_b32_e32 v5, s3
	v_add_co_u32_e64 v3, s[2:3], s2, v3
	v_addc_co_u32_e64 v4, s[2:3], v4, v5, s[2:3]
	v_add_co_u32_e64 v3, s[2:3], v3, v9
	v_addc_co_u32_e64 v4, s[2:3], 0, v4, s[2:3]
	v_mad_i64_i32 v[5:6], s[2:3], s10, v2, 0
	v_mov_b32_e32 v13, s19
	v_add_co_u32_e64 v3, s[2:3], s18, v3
	v_addc_co_u32_e64 v4, s[2:3], v13, v4, s[2:3]
	s_mul_i32 s2, s17, s8
	s_mul_hi_u32 s3, s16, s8
	v_lshlrev_b64 v[5:6], 2, v[5:6]
	s_add_i32 s3, s3, s2
	s_mul_i32 s2, s16, s8
	s_lshl_b64 s[2:3], s[2:3], 2
	v_mov_b32_e32 v13, s3
	v_add_co_u32_e64 v5, s[2:3], s2, v5
	v_addc_co_u32_e64 v6, s[2:3], v6, v13, s[2:3]
	v_lshlrev_b32_e32 v13, 2, v1
	v_add_co_u32_e64 v5, s[2:3], v5, v13
	v_addc_co_u32_e64 v6, s[2:3], 0, v6, s[2:3]
	v_mov_b32_e32 v13, s7
	v_add_co_u32_e64 v5, s[2:3], s6, v5
	v_cmp_gt_i32_e64 s[0:1], s12, v7
	v_add_u32_e32 v12, v11, v9
	v_mov_b32_e32 v8, 0
	v_addc_co_u32_e64 v6, s[2:3], v13, v6, s[2:3]
	s_branch .LBB50_3
.LBB50_2:                               ;   in Loop: Header=BB50_3 Depth=1
	s_or_b64 exec, exec, s[2:3]
	s_waitcnt vmcnt(0)
	ds_write_b32 v12, v13
	s_waitcnt lgkmcnt(0)
	s_barrier
	ds_read2_b32 v[21:22], v9 offset1:16
	ds_read_b128 v[13:16], v11
	ds_read2_b32 v[23:24], v9 offset0:32 offset1:48
	ds_read_b128 v[17:20], v11 offset:16
	v_add_co_u32_e64 v3, s[2:3], 64, v3
	s_waitcnt lgkmcnt(2)
	v_fmac_f32_e32 v8, v21, v13
	v_fmac_f32_e32 v8, v22, v14
	ds_read2_b32 v[21:22], v9 offset0:64 offset1:80
	s_waitcnt lgkmcnt(2)
	v_fmac_f32_e32 v8, v23, v15
	v_fmac_f32_e32 v8, v24, v16
	ds_read2_b32 v[23:24], v9 offset0:96 offset1:112
	ds_read_b128 v[13:16], v11 offset:32
	v_addc_co_u32_e64 v4, s[2:3], 0, v4, s[2:3]
	s_waitcnt lgkmcnt(2)
	v_fmac_f32_e32 v8, v21, v17
	v_fmac_f32_e32 v8, v22, v18
	ds_read2_b32 v[21:22], v9 offset0:128 offset1:144
	s_waitcnt lgkmcnt(2)
	v_fmac_f32_e32 v8, v23, v19
	v_fmac_f32_e32 v8, v24, v20
	ds_read2_b32 v[23:24], v9 offset0:160 offset1:176
	ds_read_b128 v[17:20], v11 offset:48
	s_add_i32 s9, s9, 16
	s_waitcnt lgkmcnt(2)
	v_fmac_f32_e32 v8, v21, v13
	v_fmac_f32_e32 v8, v22, v14
	ds_read2_b32 v[13:14], v9 offset0:192 offset1:208
	s_waitcnt lgkmcnt(2)
	v_fmac_f32_e32 v8, v23, v15
	v_fmac_f32_e32 v8, v24, v16
	ds_read2_b32 v[15:16], v9 offset0:224 offset1:240
	v_add_co_u32_e64 v5, s[2:3], 64, v5
	s_waitcnt lgkmcnt(1)
	v_fmac_f32_e32 v8, v13, v17
	v_fmac_f32_e32 v8, v14, v18
	s_waitcnt lgkmcnt(0)
	v_fmac_f32_e32 v8, v15, v19
	v_fmac_f32_e32 v8, v16, v20
	s_cmp_ge_i32 s9, s13
	v_addc_co_u32_e64 v6, s[2:3], 0, v6, s[2:3]
	s_barrier
	s_cbranch_scc1 .LBB50_8
.LBB50_3:                               ; =>This Inner Loop Header: Depth=1
	v_add_u32_e32 v13, s9, v1
	v_cmp_gt_i32_e64 s[2:3], s13, v13
	s_and_b64 s[6:7], vcc, s[2:3]
	v_mov_b32_e32 v13, 0
	s_and_saveexec_b64 s[2:3], s[6:7]
	s_cbranch_execz .LBB50_5
; %bb.4:                                ;   in Loop: Header=BB50_3 Depth=1
	global_load_dword v13, v[5:6], off
.LBB50_5:                               ;   in Loop: Header=BB50_3 Depth=1
	s_or_b64 exec, exec, s[2:3]
	s_waitcnt vmcnt(0)
	ds_write_b32 v10, v13
	v_add_u32_e32 v13, s9, v0
	v_cmp_gt_i32_e64 s[2:3], s13, v13
	s_and_b64 s[6:7], s[0:1], s[2:3]
	v_mov_b32_e32 v13, 0
	s_and_saveexec_b64 s[2:3], s[6:7]
	s_cbranch_execz .LBB50_2
; %bb.6:                                ;   in Loop: Header=BB50_3 Depth=1
	global_load_dword v13, v[3:4], off
	s_branch .LBB50_2
.LBB50_7:
	v_mov_b32_e32 v8, 0
.LBB50_8:
	v_cmp_le_i32_e32 vcc, v7, v2
	v_cmp_gt_i32_e64 s[0:1], s12, v2
	s_and_b64 s[0:1], vcc, s[0:1]
	s_and_saveexec_b64 s[2:3], s[0:1]
	s_cbranch_execz .LBB50_10
; %bb.9:
	s_load_dwordx2 s[0:1], s[4:5], 0x58
	s_load_dwordx2 s[2:3], s[4:5], 0x48
	s_load_dword s6, s[4:5], 0x50
	v_ashrrev_i32_e32 v3, 31, v2
	v_mul_f32_e32 v4, s14, v8
	s_waitcnt lgkmcnt(0)
	s_mul_i32 s1, s1, s8
	s_mul_hi_u32 s4, s0, s8
	s_add_i32 s1, s4, s1
	v_mad_i64_i32 v[0:1], s[4:5], s6, v7, 0
	s_mul_i32 s0, s0, s8
	s_lshl_b64 s[0:1], s[0:1], 2
	s_add_u32 s0, s2, s0
	v_lshlrev_b64 v[0:1], 2, v[0:1]
	s_addc_u32 s1, s3, s1
	v_mov_b32_e32 v5, s1
	v_add_co_u32_e32 v6, vcc, s0, v0
	v_addc_co_u32_e32 v5, vcc, v5, v1, vcc
	v_lshlrev_b64 v[0:1], 2, v[2:3]
	v_add_co_u32_e32 v0, vcc, v6, v0
	v_addc_co_u32_e32 v1, vcc, v5, v1, vcc
	global_store_dword v[0:1], v4, off
.LBB50_10:
	s_endpgm
	.section	.rodata,"a",@progbits
	.p2align	6, 0x0
	.amdhsa_kernel _ZL32rocblas_syrkx_herkx_small_kernelIifLi16ELb1ELb0ELc84ELc76EKffEviT_T0_PT6_S1_lS4_S1_lS2_PT7_S1_li
		.amdhsa_group_segment_fixed_size 2048
		.amdhsa_private_segment_fixed_size 0
		.amdhsa_kernarg_size 100
		.amdhsa_user_sgpr_count 6
		.amdhsa_user_sgpr_private_segment_buffer 1
		.amdhsa_user_sgpr_dispatch_ptr 0
		.amdhsa_user_sgpr_queue_ptr 0
		.amdhsa_user_sgpr_kernarg_segment_ptr 1
		.amdhsa_user_sgpr_dispatch_id 0
		.amdhsa_user_sgpr_flat_scratch_init 0
		.amdhsa_user_sgpr_private_segment_size 0
		.amdhsa_uses_dynamic_stack 0
		.amdhsa_system_sgpr_private_segment_wavefront_offset 0
		.amdhsa_system_sgpr_workgroup_id_x 1
		.amdhsa_system_sgpr_workgroup_id_y 1
		.amdhsa_system_sgpr_workgroup_id_z 1
		.amdhsa_system_sgpr_workgroup_info 0
		.amdhsa_system_vgpr_workitem_id 1
		.amdhsa_next_free_vgpr 25
		.amdhsa_next_free_sgpr 20
		.amdhsa_reserve_vcc 1
		.amdhsa_reserve_flat_scratch 0
		.amdhsa_float_round_mode_32 0
		.amdhsa_float_round_mode_16_64 0
		.amdhsa_float_denorm_mode_32 3
		.amdhsa_float_denorm_mode_16_64 3
		.amdhsa_dx10_clamp 1
		.amdhsa_ieee_mode 1
		.amdhsa_fp16_overflow 0
		.amdhsa_exception_fp_ieee_invalid_op 0
		.amdhsa_exception_fp_denorm_src 0
		.amdhsa_exception_fp_ieee_div_zero 0
		.amdhsa_exception_fp_ieee_overflow 0
		.amdhsa_exception_fp_ieee_underflow 0
		.amdhsa_exception_fp_ieee_inexact 0
		.amdhsa_exception_int_div_zero 0
	.end_amdhsa_kernel
	.section	.text._ZL32rocblas_syrkx_herkx_small_kernelIifLi16ELb1ELb0ELc84ELc76EKffEviT_T0_PT6_S1_lS4_S1_lS2_PT7_S1_li,"axG",@progbits,_ZL32rocblas_syrkx_herkx_small_kernelIifLi16ELb1ELb0ELc84ELc76EKffEviT_T0_PT6_S1_lS4_S1_lS2_PT7_S1_li,comdat
.Lfunc_end50:
	.size	_ZL32rocblas_syrkx_herkx_small_kernelIifLi16ELb1ELb0ELc84ELc76EKffEviT_T0_PT6_S1_lS4_S1_lS2_PT7_S1_li, .Lfunc_end50-_ZL32rocblas_syrkx_herkx_small_kernelIifLi16ELb1ELb0ELc84ELc76EKffEviT_T0_PT6_S1_lS4_S1_lS2_PT7_S1_li
                                        ; -- End function
	.set _ZL32rocblas_syrkx_herkx_small_kernelIifLi16ELb1ELb0ELc84ELc76EKffEviT_T0_PT6_S1_lS4_S1_lS2_PT7_S1_li.num_vgpr, 25
	.set _ZL32rocblas_syrkx_herkx_small_kernelIifLi16ELb1ELb0ELc84ELc76EKffEviT_T0_PT6_S1_lS4_S1_lS2_PT7_S1_li.num_agpr, 0
	.set _ZL32rocblas_syrkx_herkx_small_kernelIifLi16ELb1ELb0ELc84ELc76EKffEviT_T0_PT6_S1_lS4_S1_lS2_PT7_S1_li.numbered_sgpr, 20
	.set _ZL32rocblas_syrkx_herkx_small_kernelIifLi16ELb1ELb0ELc84ELc76EKffEviT_T0_PT6_S1_lS4_S1_lS2_PT7_S1_li.num_named_barrier, 0
	.set _ZL32rocblas_syrkx_herkx_small_kernelIifLi16ELb1ELb0ELc84ELc76EKffEviT_T0_PT6_S1_lS4_S1_lS2_PT7_S1_li.private_seg_size, 0
	.set _ZL32rocblas_syrkx_herkx_small_kernelIifLi16ELb1ELb0ELc84ELc76EKffEviT_T0_PT6_S1_lS4_S1_lS2_PT7_S1_li.uses_vcc, 1
	.set _ZL32rocblas_syrkx_herkx_small_kernelIifLi16ELb1ELb0ELc84ELc76EKffEviT_T0_PT6_S1_lS4_S1_lS2_PT7_S1_li.uses_flat_scratch, 0
	.set _ZL32rocblas_syrkx_herkx_small_kernelIifLi16ELb1ELb0ELc84ELc76EKffEviT_T0_PT6_S1_lS4_S1_lS2_PT7_S1_li.has_dyn_sized_stack, 0
	.set _ZL32rocblas_syrkx_herkx_small_kernelIifLi16ELb1ELb0ELc84ELc76EKffEviT_T0_PT6_S1_lS4_S1_lS2_PT7_S1_li.has_recursion, 0
	.set _ZL32rocblas_syrkx_herkx_small_kernelIifLi16ELb1ELb0ELc84ELc76EKffEviT_T0_PT6_S1_lS4_S1_lS2_PT7_S1_li.has_indirect_call, 0
	.section	.AMDGPU.csdata,"",@progbits
; Kernel info:
; codeLenInByte = 820
; TotalNumSgprs: 24
; NumVgprs: 25
; ScratchSize: 0
; MemoryBound: 0
; FloatMode: 240
; IeeeMode: 1
; LDSByteSize: 2048 bytes/workgroup (compile time only)
; SGPRBlocks: 2
; VGPRBlocks: 6
; NumSGPRsForWavesPerEU: 24
; NumVGPRsForWavesPerEU: 25
; Occupancy: 9
; WaveLimiterHint : 0
; COMPUTE_PGM_RSRC2:SCRATCH_EN: 0
; COMPUTE_PGM_RSRC2:USER_SGPR: 6
; COMPUTE_PGM_RSRC2:TRAP_HANDLER: 0
; COMPUTE_PGM_RSRC2:TGID_X_EN: 1
; COMPUTE_PGM_RSRC2:TGID_Y_EN: 1
; COMPUTE_PGM_RSRC2:TGID_Z_EN: 1
; COMPUTE_PGM_RSRC2:TIDIG_COMP_CNT: 1
	.section	.text._ZL32rocblas_syrkx_herkx_small_kernelIifLi16ELb1ELb0ELc67ELc76EKffEviT_T0_PT6_S1_lS4_S1_lS2_PT7_S1_li,"axG",@progbits,_ZL32rocblas_syrkx_herkx_small_kernelIifLi16ELb1ELb0ELc67ELc76EKffEviT_T0_PT6_S1_lS4_S1_lS2_PT7_S1_li,comdat
	.globl	_ZL32rocblas_syrkx_herkx_small_kernelIifLi16ELb1ELb0ELc67ELc76EKffEviT_T0_PT6_S1_lS4_S1_lS2_PT7_S1_li ; -- Begin function _ZL32rocblas_syrkx_herkx_small_kernelIifLi16ELb1ELb0ELc67ELc76EKffEviT_T0_PT6_S1_lS4_S1_lS2_PT7_S1_li
	.p2align	8
	.type	_ZL32rocblas_syrkx_herkx_small_kernelIifLi16ELb1ELb0ELc67ELc76EKffEviT_T0_PT6_S1_lS4_S1_lS2_PT7_S1_li,@function
_ZL32rocblas_syrkx_herkx_small_kernelIifLi16ELb1ELb0ELc67ELc76EKffEviT_T0_PT6_S1_lS4_S1_lS2_PT7_S1_li: ; @_ZL32rocblas_syrkx_herkx_small_kernelIifLi16ELb1ELb0ELc67ELc76EKffEviT_T0_PT6_S1_lS4_S1_lS2_PT7_S1_li
; %bb.0:
	s_load_dwordx4 s[12:15], s[4:5], 0x0
	v_lshl_add_u32 v2, s6, 4, v0
	s_mov_b32 s9, 0
	v_lshl_add_u32 v7, s7, 4, v1
	s_waitcnt lgkmcnt(0)
	s_cmp_lt_i32 s13, 1
	v_cmp_gt_i32_e32 vcc, s12, v2
	s_cbranch_scc1 .LBB51_7
; %bb.1:
	s_load_dwordx2 s[6:7], s[4:5], 0x10
	s_load_dword s10, s[4:5], 0x18
	s_load_dwordx4 s[16:19], s[4:5], 0x20
	s_load_dword s0, s[4:5], 0x30
	s_load_dwordx2 s[2:3], s[4:5], 0x38
	v_lshlrev_b32_e32 v5, 6, v1
	v_lshlrev_b32_e32 v9, 2, v0
	v_add_u32_e32 v10, v9, v5
	s_waitcnt lgkmcnt(0)
	v_mad_i64_i32 v[3:4], s[0:1], s0, v7, 0
	s_mul_i32 s3, s3, s8
	s_mul_hi_u32 s11, s2, s8
	v_lshlrev_b64 v[3:4], 2, v[3:4]
	s_add_i32 s3, s11, s3
	s_mul_i32 s2, s2, s8
	s_lshl_b64 s[2:3], s[2:3], 2
	v_add_u32_e32 v11, 0x400, v5
	v_mov_b32_e32 v5, s3
	v_add_co_u32_e64 v3, s[2:3], s2, v3
	v_addc_co_u32_e64 v4, s[2:3], v4, v5, s[2:3]
	v_add_co_u32_e64 v3, s[2:3], v3, v9
	v_addc_co_u32_e64 v4, s[2:3], 0, v4, s[2:3]
	v_mad_i64_i32 v[5:6], s[2:3], s10, v2, 0
	v_mov_b32_e32 v13, s19
	v_add_co_u32_e64 v3, s[2:3], s18, v3
	v_addc_co_u32_e64 v4, s[2:3], v13, v4, s[2:3]
	s_mul_i32 s2, s17, s8
	s_mul_hi_u32 s3, s16, s8
	v_lshlrev_b64 v[5:6], 2, v[5:6]
	s_add_i32 s3, s3, s2
	s_mul_i32 s2, s16, s8
	s_lshl_b64 s[2:3], s[2:3], 2
	v_mov_b32_e32 v13, s3
	v_add_co_u32_e64 v5, s[2:3], s2, v5
	v_addc_co_u32_e64 v6, s[2:3], v6, v13, s[2:3]
	v_lshlrev_b32_e32 v13, 2, v1
	v_add_co_u32_e64 v5, s[2:3], v5, v13
	v_addc_co_u32_e64 v6, s[2:3], 0, v6, s[2:3]
	v_mov_b32_e32 v13, s7
	v_add_co_u32_e64 v5, s[2:3], s6, v5
	v_cmp_gt_i32_e64 s[0:1], s12, v7
	v_add_u32_e32 v12, v11, v9
	v_mov_b32_e32 v8, 0
	v_addc_co_u32_e64 v6, s[2:3], v13, v6, s[2:3]
	s_branch .LBB51_3
.LBB51_2:                               ;   in Loop: Header=BB51_3 Depth=1
	s_or_b64 exec, exec, s[2:3]
	s_waitcnt vmcnt(0)
	ds_write_b32 v12, v13
	s_waitcnt lgkmcnt(0)
	s_barrier
	ds_read2_b32 v[21:22], v9 offset1:16
	ds_read_b128 v[13:16], v11
	ds_read2_b32 v[23:24], v9 offset0:32 offset1:48
	ds_read_b128 v[17:20], v11 offset:16
	v_add_co_u32_e64 v3, s[2:3], 64, v3
	s_waitcnt lgkmcnt(2)
	v_fmac_f32_e32 v8, v21, v13
	v_fmac_f32_e32 v8, v22, v14
	ds_read2_b32 v[21:22], v9 offset0:64 offset1:80
	s_waitcnt lgkmcnt(2)
	v_fmac_f32_e32 v8, v23, v15
	v_fmac_f32_e32 v8, v24, v16
	ds_read2_b32 v[23:24], v9 offset0:96 offset1:112
	ds_read_b128 v[13:16], v11 offset:32
	v_addc_co_u32_e64 v4, s[2:3], 0, v4, s[2:3]
	s_waitcnt lgkmcnt(2)
	v_fmac_f32_e32 v8, v21, v17
	v_fmac_f32_e32 v8, v22, v18
	ds_read2_b32 v[21:22], v9 offset0:128 offset1:144
	s_waitcnt lgkmcnt(2)
	v_fmac_f32_e32 v8, v23, v19
	v_fmac_f32_e32 v8, v24, v20
	ds_read2_b32 v[23:24], v9 offset0:160 offset1:176
	ds_read_b128 v[17:20], v11 offset:48
	s_add_i32 s9, s9, 16
	s_waitcnt lgkmcnt(2)
	v_fmac_f32_e32 v8, v21, v13
	v_fmac_f32_e32 v8, v22, v14
	ds_read2_b32 v[13:14], v9 offset0:192 offset1:208
	s_waitcnt lgkmcnt(2)
	v_fmac_f32_e32 v8, v23, v15
	v_fmac_f32_e32 v8, v24, v16
	ds_read2_b32 v[15:16], v9 offset0:224 offset1:240
	v_add_co_u32_e64 v5, s[2:3], 64, v5
	s_waitcnt lgkmcnt(1)
	v_fmac_f32_e32 v8, v13, v17
	v_fmac_f32_e32 v8, v14, v18
	s_waitcnt lgkmcnt(0)
	v_fmac_f32_e32 v8, v15, v19
	v_fmac_f32_e32 v8, v16, v20
	s_cmp_ge_i32 s9, s13
	v_addc_co_u32_e64 v6, s[2:3], 0, v6, s[2:3]
	s_barrier
	s_cbranch_scc1 .LBB51_8
.LBB51_3:                               ; =>This Inner Loop Header: Depth=1
	v_add_u32_e32 v13, s9, v1
	v_cmp_gt_i32_e64 s[2:3], s13, v13
	s_and_b64 s[6:7], vcc, s[2:3]
	v_mov_b32_e32 v13, 0
	s_and_saveexec_b64 s[2:3], s[6:7]
	s_cbranch_execz .LBB51_5
; %bb.4:                                ;   in Loop: Header=BB51_3 Depth=1
	global_load_dword v13, v[5:6], off
.LBB51_5:                               ;   in Loop: Header=BB51_3 Depth=1
	s_or_b64 exec, exec, s[2:3]
	s_waitcnt vmcnt(0)
	ds_write_b32 v10, v13
	v_add_u32_e32 v13, s9, v0
	v_cmp_gt_i32_e64 s[2:3], s13, v13
	s_and_b64 s[6:7], s[0:1], s[2:3]
	v_mov_b32_e32 v13, 0
	s_and_saveexec_b64 s[2:3], s[6:7]
	s_cbranch_execz .LBB51_2
; %bb.6:                                ;   in Loop: Header=BB51_3 Depth=1
	global_load_dword v13, v[3:4], off
	s_branch .LBB51_2
.LBB51_7:
	v_mov_b32_e32 v8, 0
.LBB51_8:
	v_cmp_le_i32_e32 vcc, v7, v2
	v_cmp_gt_i32_e64 s[0:1], s12, v2
	s_and_b64 s[0:1], vcc, s[0:1]
	s_and_saveexec_b64 s[2:3], s[0:1]
	s_cbranch_execz .LBB51_10
; %bb.9:
	s_load_dwordx2 s[0:1], s[4:5], 0x58
	s_load_dwordx2 s[2:3], s[4:5], 0x48
	s_load_dword s6, s[4:5], 0x50
	v_ashrrev_i32_e32 v3, 31, v2
	v_mul_f32_e32 v4, s14, v8
	s_waitcnt lgkmcnt(0)
	s_mul_i32 s1, s1, s8
	s_mul_hi_u32 s4, s0, s8
	s_add_i32 s1, s4, s1
	v_mad_i64_i32 v[0:1], s[4:5], s6, v7, 0
	s_mul_i32 s0, s0, s8
	s_lshl_b64 s[0:1], s[0:1], 2
	s_add_u32 s0, s2, s0
	v_lshlrev_b64 v[0:1], 2, v[0:1]
	s_addc_u32 s1, s3, s1
	v_mov_b32_e32 v5, s1
	v_add_co_u32_e32 v6, vcc, s0, v0
	v_addc_co_u32_e32 v5, vcc, v5, v1, vcc
	v_lshlrev_b64 v[0:1], 2, v[2:3]
	v_add_co_u32_e32 v0, vcc, v6, v0
	v_addc_co_u32_e32 v1, vcc, v5, v1, vcc
	global_store_dword v[0:1], v4, off
.LBB51_10:
	s_endpgm
	.section	.rodata,"a",@progbits
	.p2align	6, 0x0
	.amdhsa_kernel _ZL32rocblas_syrkx_herkx_small_kernelIifLi16ELb1ELb0ELc67ELc76EKffEviT_T0_PT6_S1_lS4_S1_lS2_PT7_S1_li
		.amdhsa_group_segment_fixed_size 2048
		.amdhsa_private_segment_fixed_size 0
		.amdhsa_kernarg_size 100
		.amdhsa_user_sgpr_count 6
		.amdhsa_user_sgpr_private_segment_buffer 1
		.amdhsa_user_sgpr_dispatch_ptr 0
		.amdhsa_user_sgpr_queue_ptr 0
		.amdhsa_user_sgpr_kernarg_segment_ptr 1
		.amdhsa_user_sgpr_dispatch_id 0
		.amdhsa_user_sgpr_flat_scratch_init 0
		.amdhsa_user_sgpr_private_segment_size 0
		.amdhsa_uses_dynamic_stack 0
		.amdhsa_system_sgpr_private_segment_wavefront_offset 0
		.amdhsa_system_sgpr_workgroup_id_x 1
		.amdhsa_system_sgpr_workgroup_id_y 1
		.amdhsa_system_sgpr_workgroup_id_z 1
		.amdhsa_system_sgpr_workgroup_info 0
		.amdhsa_system_vgpr_workitem_id 1
		.amdhsa_next_free_vgpr 25
		.amdhsa_next_free_sgpr 20
		.amdhsa_reserve_vcc 1
		.amdhsa_reserve_flat_scratch 0
		.amdhsa_float_round_mode_32 0
		.amdhsa_float_round_mode_16_64 0
		.amdhsa_float_denorm_mode_32 3
		.amdhsa_float_denorm_mode_16_64 3
		.amdhsa_dx10_clamp 1
		.amdhsa_ieee_mode 1
		.amdhsa_fp16_overflow 0
		.amdhsa_exception_fp_ieee_invalid_op 0
		.amdhsa_exception_fp_denorm_src 0
		.amdhsa_exception_fp_ieee_div_zero 0
		.amdhsa_exception_fp_ieee_overflow 0
		.amdhsa_exception_fp_ieee_underflow 0
		.amdhsa_exception_fp_ieee_inexact 0
		.amdhsa_exception_int_div_zero 0
	.end_amdhsa_kernel
	.section	.text._ZL32rocblas_syrkx_herkx_small_kernelIifLi16ELb1ELb0ELc67ELc76EKffEviT_T0_PT6_S1_lS4_S1_lS2_PT7_S1_li,"axG",@progbits,_ZL32rocblas_syrkx_herkx_small_kernelIifLi16ELb1ELb0ELc67ELc76EKffEviT_T0_PT6_S1_lS4_S1_lS2_PT7_S1_li,comdat
.Lfunc_end51:
	.size	_ZL32rocblas_syrkx_herkx_small_kernelIifLi16ELb1ELb0ELc67ELc76EKffEviT_T0_PT6_S1_lS4_S1_lS2_PT7_S1_li, .Lfunc_end51-_ZL32rocblas_syrkx_herkx_small_kernelIifLi16ELb1ELb0ELc67ELc76EKffEviT_T0_PT6_S1_lS4_S1_lS2_PT7_S1_li
                                        ; -- End function
	.set _ZL32rocblas_syrkx_herkx_small_kernelIifLi16ELb1ELb0ELc67ELc76EKffEviT_T0_PT6_S1_lS4_S1_lS2_PT7_S1_li.num_vgpr, 25
	.set _ZL32rocblas_syrkx_herkx_small_kernelIifLi16ELb1ELb0ELc67ELc76EKffEviT_T0_PT6_S1_lS4_S1_lS2_PT7_S1_li.num_agpr, 0
	.set _ZL32rocblas_syrkx_herkx_small_kernelIifLi16ELb1ELb0ELc67ELc76EKffEviT_T0_PT6_S1_lS4_S1_lS2_PT7_S1_li.numbered_sgpr, 20
	.set _ZL32rocblas_syrkx_herkx_small_kernelIifLi16ELb1ELb0ELc67ELc76EKffEviT_T0_PT6_S1_lS4_S1_lS2_PT7_S1_li.num_named_barrier, 0
	.set _ZL32rocblas_syrkx_herkx_small_kernelIifLi16ELb1ELb0ELc67ELc76EKffEviT_T0_PT6_S1_lS4_S1_lS2_PT7_S1_li.private_seg_size, 0
	.set _ZL32rocblas_syrkx_herkx_small_kernelIifLi16ELb1ELb0ELc67ELc76EKffEviT_T0_PT6_S1_lS4_S1_lS2_PT7_S1_li.uses_vcc, 1
	.set _ZL32rocblas_syrkx_herkx_small_kernelIifLi16ELb1ELb0ELc67ELc76EKffEviT_T0_PT6_S1_lS4_S1_lS2_PT7_S1_li.uses_flat_scratch, 0
	.set _ZL32rocblas_syrkx_herkx_small_kernelIifLi16ELb1ELb0ELc67ELc76EKffEviT_T0_PT6_S1_lS4_S1_lS2_PT7_S1_li.has_dyn_sized_stack, 0
	.set _ZL32rocblas_syrkx_herkx_small_kernelIifLi16ELb1ELb0ELc67ELc76EKffEviT_T0_PT6_S1_lS4_S1_lS2_PT7_S1_li.has_recursion, 0
	.set _ZL32rocblas_syrkx_herkx_small_kernelIifLi16ELb1ELb0ELc67ELc76EKffEviT_T0_PT6_S1_lS4_S1_lS2_PT7_S1_li.has_indirect_call, 0
	.section	.AMDGPU.csdata,"",@progbits
; Kernel info:
; codeLenInByte = 820
; TotalNumSgprs: 24
; NumVgprs: 25
; ScratchSize: 0
; MemoryBound: 0
; FloatMode: 240
; IeeeMode: 1
; LDSByteSize: 2048 bytes/workgroup (compile time only)
; SGPRBlocks: 2
; VGPRBlocks: 6
; NumSGPRsForWavesPerEU: 24
; NumVGPRsForWavesPerEU: 25
; Occupancy: 9
; WaveLimiterHint : 0
; COMPUTE_PGM_RSRC2:SCRATCH_EN: 0
; COMPUTE_PGM_RSRC2:USER_SGPR: 6
; COMPUTE_PGM_RSRC2:TRAP_HANDLER: 0
; COMPUTE_PGM_RSRC2:TGID_X_EN: 1
; COMPUTE_PGM_RSRC2:TGID_Y_EN: 1
; COMPUTE_PGM_RSRC2:TGID_Z_EN: 1
; COMPUTE_PGM_RSRC2:TIDIG_COMP_CNT: 1
	.section	.text._ZL32rocblas_syrkx_herkx_small_kernelIifLi16ELb1ELb0ELc78ELc76EKffEviT_T0_PT6_S1_lS4_S1_lS2_PT7_S1_li,"axG",@progbits,_ZL32rocblas_syrkx_herkx_small_kernelIifLi16ELb1ELb0ELc78ELc76EKffEviT_T0_PT6_S1_lS4_S1_lS2_PT7_S1_li,comdat
	.globl	_ZL32rocblas_syrkx_herkx_small_kernelIifLi16ELb1ELb0ELc78ELc76EKffEviT_T0_PT6_S1_lS4_S1_lS2_PT7_S1_li ; -- Begin function _ZL32rocblas_syrkx_herkx_small_kernelIifLi16ELb1ELb0ELc78ELc76EKffEviT_T0_PT6_S1_lS4_S1_lS2_PT7_S1_li
	.p2align	8
	.type	_ZL32rocblas_syrkx_herkx_small_kernelIifLi16ELb1ELb0ELc78ELc76EKffEviT_T0_PT6_S1_lS4_S1_lS2_PT7_S1_li,@function
_ZL32rocblas_syrkx_herkx_small_kernelIifLi16ELb1ELb0ELc78ELc76EKffEviT_T0_PT6_S1_lS4_S1_lS2_PT7_S1_li: ; @_ZL32rocblas_syrkx_herkx_small_kernelIifLi16ELb1ELb0ELc78ELc76EKffEviT_T0_PT6_S1_lS4_S1_lS2_PT7_S1_li
; %bb.0:
	s_load_dwordx4 s[12:15], s[4:5], 0x0
	v_lshl_add_u32 v2, s6, 4, v0
	s_mov_b32 s9, 0
	v_lshl_add_u32 v4, s7, 4, v1
	v_ashrrev_i32_e32 v3, 31, v2
	s_waitcnt lgkmcnt(0)
	s_cmp_lt_i32 s13, 1
	v_cmp_gt_i32_e32 vcc, s12, v2
	s_cbranch_scc1 .LBB52_7
; %bb.1:
	s_load_dword s10, s[4:5], 0x18
	s_load_dword s6, s[4:5], 0x30
	s_load_dwordx2 s[20:21], s[4:5], 0x10
	s_load_dwordx4 s[16:19], s[4:5], 0x20
	s_load_dwordx2 s[2:3], s[4:5], 0x38
	v_lshlrev_b32_e32 v5, 6, v1
	s_waitcnt lgkmcnt(0)
	v_mad_i64_i32 v[6:7], s[22:23], s6, v0, 0
	v_lshlrev_b32_e32 v9, 2, v0
	s_mul_i32 s3, s3, s8
	s_mul_hi_u32 s15, s2, s8
	s_add_i32 s3, s15, s3
	s_mul_i32 s2, s2, s8
	v_lshlrev_b64 v[6:7], 2, v[6:7]
	v_add_u32_e32 v10, v9, v5
	v_add_u32_e32 v11, 0x400, v5
	v_ashrrev_i32_e32 v5, 31, v4
	s_lshl_b64 s[2:3], s[2:3], 2
	v_mov_b32_e32 v8, s3
	v_add_co_u32_e64 v13, s[2:3], s2, v6
	v_lshlrev_b64 v[5:6], 2, v[4:5]
	v_addc_co_u32_e64 v7, s[2:3], v8, v7, s[2:3]
	v_add_co_u32_e64 v5, s[2:3], v13, v5
	v_addc_co_u32_e64 v6, s[2:3], v7, v6, s[2:3]
	v_mov_b32_e32 v7, s19
	v_add_co_u32_e64 v5, s[2:3], s18, v5
	v_addc_co_u32_e64 v6, s[2:3], v7, v6, s[2:3]
	v_mad_i64_i32 v[7:8], s[2:3], s10, v1, 0
	s_mul_i32 s15, s17, s8
	s_mul_hi_u32 s17, s16, s8
	s_add_i32 s3, s17, s15
	s_mul_i32 s2, s16, s8
	v_lshlrev_b64 v[7:8], 2, v[7:8]
	s_lshl_b64 s[2:3], s[2:3], 2
	v_mov_b32_e32 v13, s3
	v_add_co_u32_e64 v14, s[2:3], s2, v7
	v_addc_co_u32_e64 v13, s[2:3], v13, v8, s[2:3]
	v_lshlrev_b64 v[7:8], 2, v[2:3]
	s_ashr_i32 s11, s10, 31
	v_add_co_u32_e64 v7, s[2:3], v14, v7
	v_addc_co_u32_e64 v8, s[2:3], v13, v8, s[2:3]
	s_ashr_i32 s7, s6, 31
	v_mov_b32_e32 v13, s21
	v_add_co_u32_e64 v7, s[2:3], s20, v7
	v_cmp_gt_i32_e64 s[0:1], s12, v4
	v_add_u32_e32 v12, v11, v9
	s_lshl_b64 s[6:7], s[6:7], 6
	v_addc_co_u32_e64 v8, s[2:3], v13, v8, s[2:3]
	s_lshl_b64 s[10:11], s[10:11], 6
	v_mov_b32_e32 v13, 0
	s_branch .LBB52_3
.LBB52_2:                               ;   in Loop: Header=BB52_3 Depth=1
	s_or_b64 exec, exec, s[2:3]
	s_waitcnt vmcnt(0)
	ds_write_b32 v12, v14
	s_waitcnt lgkmcnt(0)
	s_barrier
	ds_read2_b32 v[22:23], v9 offset1:16
	ds_read_b128 v[14:17], v11
	ds_read2_b32 v[24:25], v9 offset0:32 offset1:48
	ds_read_b128 v[18:21], v11 offset:16
	v_add_co_u32_e64 v5, s[2:3], s6, v5
	s_waitcnt lgkmcnt(2)
	v_fmac_f32_e32 v13, v22, v14
	v_fmac_f32_e32 v13, v23, v15
	ds_read2_b32 v[22:23], v9 offset0:64 offset1:80
	s_waitcnt lgkmcnt(2)
	v_fmac_f32_e32 v13, v24, v16
	v_fmac_f32_e32 v13, v25, v17
	ds_read2_b32 v[24:25], v9 offset0:96 offset1:112
	ds_read_b128 v[14:17], v11 offset:32
	s_add_i32 s9, s9, 16
	s_waitcnt lgkmcnt(2)
	v_fmac_f32_e32 v13, v22, v18
	v_fmac_f32_e32 v13, v23, v19
	ds_read2_b32 v[22:23], v9 offset0:128 offset1:144
	s_waitcnt lgkmcnt(2)
	v_fmac_f32_e32 v13, v24, v20
	v_fmac_f32_e32 v13, v25, v21
	ds_read2_b32 v[24:25], v9 offset0:160 offset1:176
	ds_read_b128 v[18:21], v11 offset:48
	s_cmp_ge_i32 s9, s13
	s_waitcnt lgkmcnt(2)
	v_fmac_f32_e32 v13, v22, v14
	v_fmac_f32_e32 v13, v23, v15
	ds_read2_b32 v[14:15], v9 offset0:192 offset1:208
	s_waitcnt lgkmcnt(2)
	v_fmac_f32_e32 v13, v24, v16
	v_fmac_f32_e32 v13, v25, v17
	ds_read2_b32 v[16:17], v9 offset0:224 offset1:240
	s_waitcnt lgkmcnt(0)
	v_fmac_f32_e32 v13, v14, v18
	v_mov_b32_e32 v14, s7
	v_fmac_f32_e32 v13, v15, v19
	v_addc_co_u32_e64 v6, s[2:3], v6, v14, s[2:3]
	v_fmac_f32_e32 v13, v16, v20
	v_mov_b32_e32 v14, s11
	v_add_co_u32_e64 v7, s[2:3], s10, v7
	v_fmac_f32_e32 v13, v17, v21
	v_addc_co_u32_e64 v8, s[2:3], v8, v14, s[2:3]
	s_barrier
	s_cbranch_scc1 .LBB52_8
.LBB52_3:                               ; =>This Inner Loop Header: Depth=1
	v_add_u32_e32 v14, s9, v1
	v_cmp_gt_i32_e64 s[2:3], s13, v14
	s_and_b64 s[16:17], vcc, s[2:3]
	v_mov_b32_e32 v14, 0
	s_and_saveexec_b64 s[2:3], s[16:17]
	s_cbranch_execz .LBB52_5
; %bb.4:                                ;   in Loop: Header=BB52_3 Depth=1
	global_load_dword v14, v[7:8], off
.LBB52_5:                               ;   in Loop: Header=BB52_3 Depth=1
	s_or_b64 exec, exec, s[2:3]
	s_waitcnt vmcnt(0)
	ds_write_b32 v10, v14
	v_add_u32_e32 v14, s9, v0
	v_cmp_gt_i32_e64 s[2:3], s13, v14
	s_and_b64 s[16:17], s[0:1], s[2:3]
	v_mov_b32_e32 v14, 0
	s_and_saveexec_b64 s[2:3], s[16:17]
	s_cbranch_execz .LBB52_2
; %bb.6:                                ;   in Loop: Header=BB52_3 Depth=1
	global_load_dword v14, v[5:6], off
	s_branch .LBB52_2
.LBB52_7:
	v_mov_b32_e32 v13, 0
.LBB52_8:
	v_cmp_le_i32_e32 vcc, v4, v2
	v_cmp_gt_i32_e64 s[0:1], s12, v2
	s_and_b64 s[0:1], vcc, s[0:1]
	s_and_saveexec_b64 s[2:3], s[0:1]
	s_cbranch_execz .LBB52_10
; %bb.9:
	s_load_dwordx2 s[0:1], s[4:5], 0x58
	s_load_dwordx2 s[2:3], s[4:5], 0x48
	s_load_dword s6, s[4:5], 0x50
	s_waitcnt lgkmcnt(0)
	s_mul_i32 s1, s1, s8
	s_mul_hi_u32 s4, s0, s8
	s_add_i32 s1, s4, s1
	v_mad_i64_i32 v[0:1], s[4:5], s6, v4, 0
	s_mul_i32 s0, s0, s8
	s_lshl_b64 s[0:1], s[0:1], 2
	s_add_u32 s0, s2, s0
	v_lshlrev_b64 v[0:1], 2, v[0:1]
	s_addc_u32 s1, s3, s1
	v_mov_b32_e32 v5, s1
	v_add_co_u32_e32 v6, vcc, s0, v0
	v_addc_co_u32_e32 v5, vcc, v5, v1, vcc
	v_lshlrev_b64 v[0:1], 2, v[2:3]
	v_mul_f32_e32 v4, s14, v13
	v_add_co_u32_e32 v0, vcc, v6, v0
	v_addc_co_u32_e32 v1, vcc, v5, v1, vcc
	global_store_dword v[0:1], v4, off
.LBB52_10:
	s_endpgm
	.section	.rodata,"a",@progbits
	.p2align	6, 0x0
	.amdhsa_kernel _ZL32rocblas_syrkx_herkx_small_kernelIifLi16ELb1ELb0ELc78ELc76EKffEviT_T0_PT6_S1_lS4_S1_lS2_PT7_S1_li
		.amdhsa_group_segment_fixed_size 2048
		.amdhsa_private_segment_fixed_size 0
		.amdhsa_kernarg_size 100
		.amdhsa_user_sgpr_count 6
		.amdhsa_user_sgpr_private_segment_buffer 1
		.amdhsa_user_sgpr_dispatch_ptr 0
		.amdhsa_user_sgpr_queue_ptr 0
		.amdhsa_user_sgpr_kernarg_segment_ptr 1
		.amdhsa_user_sgpr_dispatch_id 0
		.amdhsa_user_sgpr_flat_scratch_init 0
		.amdhsa_user_sgpr_private_segment_size 0
		.amdhsa_uses_dynamic_stack 0
		.amdhsa_system_sgpr_private_segment_wavefront_offset 0
		.amdhsa_system_sgpr_workgroup_id_x 1
		.amdhsa_system_sgpr_workgroup_id_y 1
		.amdhsa_system_sgpr_workgroup_id_z 1
		.amdhsa_system_sgpr_workgroup_info 0
		.amdhsa_system_vgpr_workitem_id 1
		.amdhsa_next_free_vgpr 26
		.amdhsa_next_free_sgpr 24
		.amdhsa_reserve_vcc 1
		.amdhsa_reserve_flat_scratch 0
		.amdhsa_float_round_mode_32 0
		.amdhsa_float_round_mode_16_64 0
		.amdhsa_float_denorm_mode_32 3
		.amdhsa_float_denorm_mode_16_64 3
		.amdhsa_dx10_clamp 1
		.amdhsa_ieee_mode 1
		.amdhsa_fp16_overflow 0
		.amdhsa_exception_fp_ieee_invalid_op 0
		.amdhsa_exception_fp_denorm_src 0
		.amdhsa_exception_fp_ieee_div_zero 0
		.amdhsa_exception_fp_ieee_overflow 0
		.amdhsa_exception_fp_ieee_underflow 0
		.amdhsa_exception_fp_ieee_inexact 0
		.amdhsa_exception_int_div_zero 0
	.end_amdhsa_kernel
	.section	.text._ZL32rocblas_syrkx_herkx_small_kernelIifLi16ELb1ELb0ELc78ELc76EKffEviT_T0_PT6_S1_lS4_S1_lS2_PT7_S1_li,"axG",@progbits,_ZL32rocblas_syrkx_herkx_small_kernelIifLi16ELb1ELb0ELc78ELc76EKffEviT_T0_PT6_S1_lS4_S1_lS2_PT7_S1_li,comdat
.Lfunc_end52:
	.size	_ZL32rocblas_syrkx_herkx_small_kernelIifLi16ELb1ELb0ELc78ELc76EKffEviT_T0_PT6_S1_lS4_S1_lS2_PT7_S1_li, .Lfunc_end52-_ZL32rocblas_syrkx_herkx_small_kernelIifLi16ELb1ELb0ELc78ELc76EKffEviT_T0_PT6_S1_lS4_S1_lS2_PT7_S1_li
                                        ; -- End function
	.set _ZL32rocblas_syrkx_herkx_small_kernelIifLi16ELb1ELb0ELc78ELc76EKffEviT_T0_PT6_S1_lS4_S1_lS2_PT7_S1_li.num_vgpr, 26
	.set _ZL32rocblas_syrkx_herkx_small_kernelIifLi16ELb1ELb0ELc78ELc76EKffEviT_T0_PT6_S1_lS4_S1_lS2_PT7_S1_li.num_agpr, 0
	.set _ZL32rocblas_syrkx_herkx_small_kernelIifLi16ELb1ELb0ELc78ELc76EKffEviT_T0_PT6_S1_lS4_S1_lS2_PT7_S1_li.numbered_sgpr, 24
	.set _ZL32rocblas_syrkx_herkx_small_kernelIifLi16ELb1ELb0ELc78ELc76EKffEviT_T0_PT6_S1_lS4_S1_lS2_PT7_S1_li.num_named_barrier, 0
	.set _ZL32rocblas_syrkx_herkx_small_kernelIifLi16ELb1ELb0ELc78ELc76EKffEviT_T0_PT6_S1_lS4_S1_lS2_PT7_S1_li.private_seg_size, 0
	.set _ZL32rocblas_syrkx_herkx_small_kernelIifLi16ELb1ELb0ELc78ELc76EKffEviT_T0_PT6_S1_lS4_S1_lS2_PT7_S1_li.uses_vcc, 1
	.set _ZL32rocblas_syrkx_herkx_small_kernelIifLi16ELb1ELb0ELc78ELc76EKffEviT_T0_PT6_S1_lS4_S1_lS2_PT7_S1_li.uses_flat_scratch, 0
	.set _ZL32rocblas_syrkx_herkx_small_kernelIifLi16ELb1ELb0ELc78ELc76EKffEviT_T0_PT6_S1_lS4_S1_lS2_PT7_S1_li.has_dyn_sized_stack, 0
	.set _ZL32rocblas_syrkx_herkx_small_kernelIifLi16ELb1ELb0ELc78ELc76EKffEviT_T0_PT6_S1_lS4_S1_lS2_PT7_S1_li.has_recursion, 0
	.set _ZL32rocblas_syrkx_herkx_small_kernelIifLi16ELb1ELb0ELc78ELc76EKffEviT_T0_PT6_S1_lS4_S1_lS2_PT7_S1_li.has_indirect_call, 0
	.section	.AMDGPU.csdata,"",@progbits
; Kernel info:
; codeLenInByte = 856
; TotalNumSgprs: 28
; NumVgprs: 26
; ScratchSize: 0
; MemoryBound: 0
; FloatMode: 240
; IeeeMode: 1
; LDSByteSize: 2048 bytes/workgroup (compile time only)
; SGPRBlocks: 3
; VGPRBlocks: 6
; NumSGPRsForWavesPerEU: 28
; NumVGPRsForWavesPerEU: 26
; Occupancy: 9
; WaveLimiterHint : 0
; COMPUTE_PGM_RSRC2:SCRATCH_EN: 0
; COMPUTE_PGM_RSRC2:USER_SGPR: 6
; COMPUTE_PGM_RSRC2:TRAP_HANDLER: 0
; COMPUTE_PGM_RSRC2:TGID_X_EN: 1
; COMPUTE_PGM_RSRC2:TGID_Y_EN: 1
; COMPUTE_PGM_RSRC2:TGID_Z_EN: 1
; COMPUTE_PGM_RSRC2:TIDIG_COMP_CNT: 1
	.section	.text._ZL32rocblas_syrkx_herkx_small_kernelIifLi16ELb1ELb0ELc84ELc85EKffEviT_T0_PT6_S1_lS4_S1_lS2_PT7_S1_li,"axG",@progbits,_ZL32rocblas_syrkx_herkx_small_kernelIifLi16ELb1ELb0ELc84ELc85EKffEviT_T0_PT6_S1_lS4_S1_lS2_PT7_S1_li,comdat
	.globl	_ZL32rocblas_syrkx_herkx_small_kernelIifLi16ELb1ELb0ELc84ELc85EKffEviT_T0_PT6_S1_lS4_S1_lS2_PT7_S1_li ; -- Begin function _ZL32rocblas_syrkx_herkx_small_kernelIifLi16ELb1ELb0ELc84ELc85EKffEviT_T0_PT6_S1_lS4_S1_lS2_PT7_S1_li
	.p2align	8
	.type	_ZL32rocblas_syrkx_herkx_small_kernelIifLi16ELb1ELb0ELc84ELc85EKffEviT_T0_PT6_S1_lS4_S1_lS2_PT7_S1_li,@function
_ZL32rocblas_syrkx_herkx_small_kernelIifLi16ELb1ELb0ELc84ELc85EKffEviT_T0_PT6_S1_lS4_S1_lS2_PT7_S1_li: ; @_ZL32rocblas_syrkx_herkx_small_kernelIifLi16ELb1ELb0ELc84ELc85EKffEviT_T0_PT6_S1_lS4_S1_lS2_PT7_S1_li
; %bb.0:
	s_load_dwordx4 s[12:15], s[4:5], 0x0
	v_lshl_add_u32 v7, s7, 4, v1
	s_mov_b32 s9, 0
	v_lshl_add_u32 v2, s6, 4, v0
	s_waitcnt lgkmcnt(0)
	s_cmp_lt_i32 s13, 1
	v_cmp_gt_i32_e32 vcc, s12, v7
	s_cbranch_scc1 .LBB53_7
; %bb.1:
	s_load_dwordx2 s[6:7], s[4:5], 0x10
	s_load_dword s15, s[4:5], 0x18
	s_load_dwordx4 s[16:19], s[4:5], 0x20
	s_load_dword s10, s[4:5], 0x30
	s_load_dwordx2 s[2:3], s[4:5], 0x38
	v_lshlrev_b32_e32 v5, 6, v1
	v_lshlrev_b32_e32 v9, 2, v0
	v_add_u32_e32 v10, v9, v5
	s_waitcnt lgkmcnt(0)
	v_mad_i64_i32 v[3:4], s[10:11], s10, v7, 0
	s_mul_i32 s3, s3, s8
	s_mul_hi_u32 s10, s2, s8
	v_lshlrev_b64 v[3:4], 2, v[3:4]
	s_add_i32 s3, s10, s3
	s_mul_i32 s2, s2, s8
	s_lshl_b64 s[2:3], s[2:3], 2
	v_add_u32_e32 v11, 0x400, v5
	v_mov_b32_e32 v5, s3
	v_add_co_u32_e64 v3, s[2:3], s2, v3
	v_addc_co_u32_e64 v4, s[2:3], v4, v5, s[2:3]
	v_add_co_u32_e64 v3, s[2:3], v3, v9
	v_addc_co_u32_e64 v4, s[2:3], 0, v4, s[2:3]
	v_mad_i64_i32 v[5:6], s[2:3], s15, v2, 0
	v_mov_b32_e32 v13, s19
	v_add_co_u32_e64 v3, s[2:3], s18, v3
	v_addc_co_u32_e64 v4, s[2:3], v13, v4, s[2:3]
	s_mul_i32 s2, s17, s8
	s_mul_hi_u32 s3, s16, s8
	v_lshlrev_b64 v[5:6], 2, v[5:6]
	s_add_i32 s3, s3, s2
	s_mul_i32 s2, s16, s8
	s_lshl_b64 s[2:3], s[2:3], 2
	v_mov_b32_e32 v13, s3
	v_add_co_u32_e64 v5, s[2:3], s2, v5
	v_addc_co_u32_e64 v6, s[2:3], v6, v13, s[2:3]
	v_lshlrev_b32_e32 v13, 2, v1
	v_add_co_u32_e64 v5, s[2:3], v5, v13
	v_addc_co_u32_e64 v6, s[2:3], 0, v6, s[2:3]
	v_mov_b32_e32 v13, s7
	v_add_co_u32_e64 v5, s[2:3], s6, v5
	v_cmp_gt_i32_e64 s[0:1], s12, v2
	v_add_u32_e32 v12, v11, v9
	v_mov_b32_e32 v8, 0
	v_addc_co_u32_e64 v6, s[2:3], v13, v6, s[2:3]
	s_branch .LBB53_3
.LBB53_2:                               ;   in Loop: Header=BB53_3 Depth=1
	s_or_b64 exec, exec, s[2:3]
	s_waitcnt vmcnt(0)
	ds_write_b32 v12, v13
	s_waitcnt lgkmcnt(0)
	s_barrier
	ds_read2_b32 v[21:22], v9 offset1:16
	ds_read_b128 v[13:16], v11
	ds_read2_b32 v[23:24], v9 offset0:32 offset1:48
	ds_read_b128 v[17:20], v11 offset:16
	v_add_co_u32_e64 v3, s[2:3], 64, v3
	s_waitcnt lgkmcnt(2)
	v_fmac_f32_e32 v8, v21, v13
	v_fmac_f32_e32 v8, v22, v14
	ds_read2_b32 v[21:22], v9 offset0:64 offset1:80
	s_waitcnt lgkmcnt(2)
	v_fmac_f32_e32 v8, v23, v15
	v_fmac_f32_e32 v8, v24, v16
	ds_read2_b32 v[23:24], v9 offset0:96 offset1:112
	ds_read_b128 v[13:16], v11 offset:32
	v_addc_co_u32_e64 v4, s[2:3], 0, v4, s[2:3]
	s_waitcnt lgkmcnt(2)
	v_fmac_f32_e32 v8, v21, v17
	v_fmac_f32_e32 v8, v22, v18
	ds_read2_b32 v[21:22], v9 offset0:128 offset1:144
	s_waitcnt lgkmcnt(2)
	v_fmac_f32_e32 v8, v23, v19
	v_fmac_f32_e32 v8, v24, v20
	ds_read2_b32 v[23:24], v9 offset0:160 offset1:176
	ds_read_b128 v[17:20], v11 offset:48
	s_add_i32 s9, s9, 16
	s_waitcnt lgkmcnt(2)
	v_fmac_f32_e32 v8, v21, v13
	v_fmac_f32_e32 v8, v22, v14
	ds_read2_b32 v[13:14], v9 offset0:192 offset1:208
	s_waitcnt lgkmcnt(2)
	v_fmac_f32_e32 v8, v23, v15
	v_fmac_f32_e32 v8, v24, v16
	ds_read2_b32 v[15:16], v9 offset0:224 offset1:240
	v_add_co_u32_e64 v5, s[2:3], 64, v5
	s_waitcnt lgkmcnt(1)
	v_fmac_f32_e32 v8, v13, v17
	v_fmac_f32_e32 v8, v14, v18
	s_waitcnt lgkmcnt(0)
	v_fmac_f32_e32 v8, v15, v19
	v_fmac_f32_e32 v8, v16, v20
	s_cmp_ge_i32 s9, s13
	v_addc_co_u32_e64 v6, s[2:3], 0, v6, s[2:3]
	s_barrier
	s_cbranch_scc1 .LBB53_8
.LBB53_3:                               ; =>This Inner Loop Header: Depth=1
	v_add_u32_e32 v13, s9, v1
	v_cmp_gt_i32_e64 s[2:3], s13, v13
	s_and_b64 s[6:7], s[0:1], s[2:3]
	v_mov_b32_e32 v13, 0
	s_and_saveexec_b64 s[2:3], s[6:7]
	s_cbranch_execz .LBB53_5
; %bb.4:                                ;   in Loop: Header=BB53_3 Depth=1
	global_load_dword v13, v[5:6], off
.LBB53_5:                               ;   in Loop: Header=BB53_3 Depth=1
	s_or_b64 exec, exec, s[2:3]
	s_waitcnt vmcnt(0)
	ds_write_b32 v10, v13
	v_add_u32_e32 v13, s9, v0
	v_cmp_gt_i32_e64 s[2:3], s13, v13
	s_and_b64 s[6:7], vcc, s[2:3]
	v_mov_b32_e32 v13, 0
	s_and_saveexec_b64 s[2:3], s[6:7]
	s_cbranch_execz .LBB53_2
; %bb.6:                                ;   in Loop: Header=BB53_3 Depth=1
	global_load_dword v13, v[3:4], off
	s_branch .LBB53_2
.LBB53_7:
	v_mov_b32_e32 v8, 0
.LBB53_8:
	v_cmp_le_i32_e32 vcc, v2, v7
	v_cmp_gt_i32_e64 s[0:1], s12, v7
	s_and_b64 s[0:1], vcc, s[0:1]
	s_and_saveexec_b64 s[2:3], s[0:1]
	s_cbranch_execz .LBB53_10
; %bb.9:
	s_load_dwordx2 s[0:1], s[4:5], 0x58
	s_load_dwordx2 s[2:3], s[4:5], 0x48
	s_load_dword s6, s[4:5], 0x50
	v_ashrrev_i32_e32 v3, 31, v2
	v_mul_f32_e32 v4, s14, v8
	s_waitcnt lgkmcnt(0)
	s_mul_i32 s1, s1, s8
	s_mul_hi_u32 s4, s0, s8
	s_add_i32 s1, s4, s1
	v_mad_i64_i32 v[0:1], s[4:5], s6, v7, 0
	s_mul_i32 s0, s0, s8
	s_lshl_b64 s[0:1], s[0:1], 2
	s_add_u32 s0, s2, s0
	v_lshlrev_b64 v[0:1], 2, v[0:1]
	s_addc_u32 s1, s3, s1
	v_mov_b32_e32 v5, s1
	v_add_co_u32_e32 v6, vcc, s0, v0
	v_addc_co_u32_e32 v5, vcc, v5, v1, vcc
	v_lshlrev_b64 v[0:1], 2, v[2:3]
	v_add_co_u32_e32 v0, vcc, v6, v0
	v_addc_co_u32_e32 v1, vcc, v5, v1, vcc
	global_store_dword v[0:1], v4, off
.LBB53_10:
	s_endpgm
	.section	.rodata,"a",@progbits
	.p2align	6, 0x0
	.amdhsa_kernel _ZL32rocblas_syrkx_herkx_small_kernelIifLi16ELb1ELb0ELc84ELc85EKffEviT_T0_PT6_S1_lS4_S1_lS2_PT7_S1_li
		.amdhsa_group_segment_fixed_size 2048
		.amdhsa_private_segment_fixed_size 0
		.amdhsa_kernarg_size 100
		.amdhsa_user_sgpr_count 6
		.amdhsa_user_sgpr_private_segment_buffer 1
		.amdhsa_user_sgpr_dispatch_ptr 0
		.amdhsa_user_sgpr_queue_ptr 0
		.amdhsa_user_sgpr_kernarg_segment_ptr 1
		.amdhsa_user_sgpr_dispatch_id 0
		.amdhsa_user_sgpr_flat_scratch_init 0
		.amdhsa_user_sgpr_private_segment_size 0
		.amdhsa_uses_dynamic_stack 0
		.amdhsa_system_sgpr_private_segment_wavefront_offset 0
		.amdhsa_system_sgpr_workgroup_id_x 1
		.amdhsa_system_sgpr_workgroup_id_y 1
		.amdhsa_system_sgpr_workgroup_id_z 1
		.amdhsa_system_sgpr_workgroup_info 0
		.amdhsa_system_vgpr_workitem_id 1
		.amdhsa_next_free_vgpr 25
		.amdhsa_next_free_sgpr 20
		.amdhsa_reserve_vcc 1
		.amdhsa_reserve_flat_scratch 0
		.amdhsa_float_round_mode_32 0
		.amdhsa_float_round_mode_16_64 0
		.amdhsa_float_denorm_mode_32 3
		.amdhsa_float_denorm_mode_16_64 3
		.amdhsa_dx10_clamp 1
		.amdhsa_ieee_mode 1
		.amdhsa_fp16_overflow 0
		.amdhsa_exception_fp_ieee_invalid_op 0
		.amdhsa_exception_fp_denorm_src 0
		.amdhsa_exception_fp_ieee_div_zero 0
		.amdhsa_exception_fp_ieee_overflow 0
		.amdhsa_exception_fp_ieee_underflow 0
		.amdhsa_exception_fp_ieee_inexact 0
		.amdhsa_exception_int_div_zero 0
	.end_amdhsa_kernel
	.section	.text._ZL32rocblas_syrkx_herkx_small_kernelIifLi16ELb1ELb0ELc84ELc85EKffEviT_T0_PT6_S1_lS4_S1_lS2_PT7_S1_li,"axG",@progbits,_ZL32rocblas_syrkx_herkx_small_kernelIifLi16ELb1ELb0ELc84ELc85EKffEviT_T0_PT6_S1_lS4_S1_lS2_PT7_S1_li,comdat
.Lfunc_end53:
	.size	_ZL32rocblas_syrkx_herkx_small_kernelIifLi16ELb1ELb0ELc84ELc85EKffEviT_T0_PT6_S1_lS4_S1_lS2_PT7_S1_li, .Lfunc_end53-_ZL32rocblas_syrkx_herkx_small_kernelIifLi16ELb1ELb0ELc84ELc85EKffEviT_T0_PT6_S1_lS4_S1_lS2_PT7_S1_li
                                        ; -- End function
	.set _ZL32rocblas_syrkx_herkx_small_kernelIifLi16ELb1ELb0ELc84ELc85EKffEviT_T0_PT6_S1_lS4_S1_lS2_PT7_S1_li.num_vgpr, 25
	.set _ZL32rocblas_syrkx_herkx_small_kernelIifLi16ELb1ELb0ELc84ELc85EKffEviT_T0_PT6_S1_lS4_S1_lS2_PT7_S1_li.num_agpr, 0
	.set _ZL32rocblas_syrkx_herkx_small_kernelIifLi16ELb1ELb0ELc84ELc85EKffEviT_T0_PT6_S1_lS4_S1_lS2_PT7_S1_li.numbered_sgpr, 20
	.set _ZL32rocblas_syrkx_herkx_small_kernelIifLi16ELb1ELb0ELc84ELc85EKffEviT_T0_PT6_S1_lS4_S1_lS2_PT7_S1_li.num_named_barrier, 0
	.set _ZL32rocblas_syrkx_herkx_small_kernelIifLi16ELb1ELb0ELc84ELc85EKffEviT_T0_PT6_S1_lS4_S1_lS2_PT7_S1_li.private_seg_size, 0
	.set _ZL32rocblas_syrkx_herkx_small_kernelIifLi16ELb1ELb0ELc84ELc85EKffEviT_T0_PT6_S1_lS4_S1_lS2_PT7_S1_li.uses_vcc, 1
	.set _ZL32rocblas_syrkx_herkx_small_kernelIifLi16ELb1ELb0ELc84ELc85EKffEviT_T0_PT6_S1_lS4_S1_lS2_PT7_S1_li.uses_flat_scratch, 0
	.set _ZL32rocblas_syrkx_herkx_small_kernelIifLi16ELb1ELb0ELc84ELc85EKffEviT_T0_PT6_S1_lS4_S1_lS2_PT7_S1_li.has_dyn_sized_stack, 0
	.set _ZL32rocblas_syrkx_herkx_small_kernelIifLi16ELb1ELb0ELc84ELc85EKffEviT_T0_PT6_S1_lS4_S1_lS2_PT7_S1_li.has_recursion, 0
	.set _ZL32rocblas_syrkx_herkx_small_kernelIifLi16ELb1ELb0ELc84ELc85EKffEviT_T0_PT6_S1_lS4_S1_lS2_PT7_S1_li.has_indirect_call, 0
	.section	.AMDGPU.csdata,"",@progbits
; Kernel info:
; codeLenInByte = 820
; TotalNumSgprs: 24
; NumVgprs: 25
; ScratchSize: 0
; MemoryBound: 0
; FloatMode: 240
; IeeeMode: 1
; LDSByteSize: 2048 bytes/workgroup (compile time only)
; SGPRBlocks: 2
; VGPRBlocks: 6
; NumSGPRsForWavesPerEU: 24
; NumVGPRsForWavesPerEU: 25
; Occupancy: 9
; WaveLimiterHint : 0
; COMPUTE_PGM_RSRC2:SCRATCH_EN: 0
; COMPUTE_PGM_RSRC2:USER_SGPR: 6
; COMPUTE_PGM_RSRC2:TRAP_HANDLER: 0
; COMPUTE_PGM_RSRC2:TGID_X_EN: 1
; COMPUTE_PGM_RSRC2:TGID_Y_EN: 1
; COMPUTE_PGM_RSRC2:TGID_Z_EN: 1
; COMPUTE_PGM_RSRC2:TIDIG_COMP_CNT: 1
	.section	.text._ZL32rocblas_syrkx_herkx_small_kernelIifLi16ELb1ELb0ELc67ELc85EKffEviT_T0_PT6_S1_lS4_S1_lS2_PT7_S1_li,"axG",@progbits,_ZL32rocblas_syrkx_herkx_small_kernelIifLi16ELb1ELb0ELc67ELc85EKffEviT_T0_PT6_S1_lS4_S1_lS2_PT7_S1_li,comdat
	.globl	_ZL32rocblas_syrkx_herkx_small_kernelIifLi16ELb1ELb0ELc67ELc85EKffEviT_T0_PT6_S1_lS4_S1_lS2_PT7_S1_li ; -- Begin function _ZL32rocblas_syrkx_herkx_small_kernelIifLi16ELb1ELb0ELc67ELc85EKffEviT_T0_PT6_S1_lS4_S1_lS2_PT7_S1_li
	.p2align	8
	.type	_ZL32rocblas_syrkx_herkx_small_kernelIifLi16ELb1ELb0ELc67ELc85EKffEviT_T0_PT6_S1_lS4_S1_lS2_PT7_S1_li,@function
_ZL32rocblas_syrkx_herkx_small_kernelIifLi16ELb1ELb0ELc67ELc85EKffEviT_T0_PT6_S1_lS4_S1_lS2_PT7_S1_li: ; @_ZL32rocblas_syrkx_herkx_small_kernelIifLi16ELb1ELb0ELc67ELc85EKffEviT_T0_PT6_S1_lS4_S1_lS2_PT7_S1_li
; %bb.0:
	s_load_dwordx4 s[12:15], s[4:5], 0x0
	v_lshl_add_u32 v7, s7, 4, v1
	s_mov_b32 s9, 0
	v_lshl_add_u32 v2, s6, 4, v0
	s_waitcnt lgkmcnt(0)
	s_cmp_lt_i32 s13, 1
	v_cmp_gt_i32_e32 vcc, s12, v7
	s_cbranch_scc1 .LBB54_7
; %bb.1:
	s_load_dwordx2 s[6:7], s[4:5], 0x10
	s_load_dword s15, s[4:5], 0x18
	s_load_dwordx4 s[16:19], s[4:5], 0x20
	s_load_dword s10, s[4:5], 0x30
	s_load_dwordx2 s[2:3], s[4:5], 0x38
	v_lshlrev_b32_e32 v5, 6, v1
	v_lshlrev_b32_e32 v9, 2, v0
	v_add_u32_e32 v10, v9, v5
	s_waitcnt lgkmcnt(0)
	v_mad_i64_i32 v[3:4], s[10:11], s10, v7, 0
	s_mul_i32 s3, s3, s8
	s_mul_hi_u32 s10, s2, s8
	v_lshlrev_b64 v[3:4], 2, v[3:4]
	s_add_i32 s3, s10, s3
	s_mul_i32 s2, s2, s8
	s_lshl_b64 s[2:3], s[2:3], 2
	v_add_u32_e32 v11, 0x400, v5
	v_mov_b32_e32 v5, s3
	v_add_co_u32_e64 v3, s[2:3], s2, v3
	v_addc_co_u32_e64 v4, s[2:3], v4, v5, s[2:3]
	v_add_co_u32_e64 v3, s[2:3], v3, v9
	v_addc_co_u32_e64 v4, s[2:3], 0, v4, s[2:3]
	v_mad_i64_i32 v[5:6], s[2:3], s15, v2, 0
	v_mov_b32_e32 v13, s19
	v_add_co_u32_e64 v3, s[2:3], s18, v3
	v_addc_co_u32_e64 v4, s[2:3], v13, v4, s[2:3]
	s_mul_i32 s2, s17, s8
	s_mul_hi_u32 s3, s16, s8
	v_lshlrev_b64 v[5:6], 2, v[5:6]
	s_add_i32 s3, s3, s2
	s_mul_i32 s2, s16, s8
	s_lshl_b64 s[2:3], s[2:3], 2
	v_mov_b32_e32 v13, s3
	v_add_co_u32_e64 v5, s[2:3], s2, v5
	v_addc_co_u32_e64 v6, s[2:3], v6, v13, s[2:3]
	v_lshlrev_b32_e32 v13, 2, v1
	v_add_co_u32_e64 v5, s[2:3], v5, v13
	v_addc_co_u32_e64 v6, s[2:3], 0, v6, s[2:3]
	v_mov_b32_e32 v13, s7
	v_add_co_u32_e64 v5, s[2:3], s6, v5
	v_cmp_gt_i32_e64 s[0:1], s12, v2
	v_add_u32_e32 v12, v11, v9
	v_mov_b32_e32 v8, 0
	v_addc_co_u32_e64 v6, s[2:3], v13, v6, s[2:3]
	s_branch .LBB54_3
.LBB54_2:                               ;   in Loop: Header=BB54_3 Depth=1
	s_or_b64 exec, exec, s[2:3]
	s_waitcnt vmcnt(0)
	ds_write_b32 v12, v13
	s_waitcnt lgkmcnt(0)
	s_barrier
	ds_read2_b32 v[21:22], v9 offset1:16
	ds_read_b128 v[13:16], v11
	ds_read2_b32 v[23:24], v9 offset0:32 offset1:48
	ds_read_b128 v[17:20], v11 offset:16
	v_add_co_u32_e64 v3, s[2:3], 64, v3
	s_waitcnt lgkmcnt(2)
	v_fmac_f32_e32 v8, v21, v13
	v_fmac_f32_e32 v8, v22, v14
	ds_read2_b32 v[21:22], v9 offset0:64 offset1:80
	s_waitcnt lgkmcnt(2)
	v_fmac_f32_e32 v8, v23, v15
	v_fmac_f32_e32 v8, v24, v16
	ds_read2_b32 v[23:24], v9 offset0:96 offset1:112
	ds_read_b128 v[13:16], v11 offset:32
	v_addc_co_u32_e64 v4, s[2:3], 0, v4, s[2:3]
	s_waitcnt lgkmcnt(2)
	v_fmac_f32_e32 v8, v21, v17
	v_fmac_f32_e32 v8, v22, v18
	ds_read2_b32 v[21:22], v9 offset0:128 offset1:144
	s_waitcnt lgkmcnt(2)
	v_fmac_f32_e32 v8, v23, v19
	v_fmac_f32_e32 v8, v24, v20
	ds_read2_b32 v[23:24], v9 offset0:160 offset1:176
	ds_read_b128 v[17:20], v11 offset:48
	s_add_i32 s9, s9, 16
	s_waitcnt lgkmcnt(2)
	v_fmac_f32_e32 v8, v21, v13
	v_fmac_f32_e32 v8, v22, v14
	ds_read2_b32 v[13:14], v9 offset0:192 offset1:208
	s_waitcnt lgkmcnt(2)
	v_fmac_f32_e32 v8, v23, v15
	v_fmac_f32_e32 v8, v24, v16
	ds_read2_b32 v[15:16], v9 offset0:224 offset1:240
	v_add_co_u32_e64 v5, s[2:3], 64, v5
	s_waitcnt lgkmcnt(1)
	v_fmac_f32_e32 v8, v13, v17
	v_fmac_f32_e32 v8, v14, v18
	s_waitcnt lgkmcnt(0)
	v_fmac_f32_e32 v8, v15, v19
	v_fmac_f32_e32 v8, v16, v20
	s_cmp_ge_i32 s9, s13
	v_addc_co_u32_e64 v6, s[2:3], 0, v6, s[2:3]
	s_barrier
	s_cbranch_scc1 .LBB54_8
.LBB54_3:                               ; =>This Inner Loop Header: Depth=1
	v_add_u32_e32 v13, s9, v1
	v_cmp_gt_i32_e64 s[2:3], s13, v13
	s_and_b64 s[6:7], s[0:1], s[2:3]
	v_mov_b32_e32 v13, 0
	s_and_saveexec_b64 s[2:3], s[6:7]
	s_cbranch_execz .LBB54_5
; %bb.4:                                ;   in Loop: Header=BB54_3 Depth=1
	global_load_dword v13, v[5:6], off
.LBB54_5:                               ;   in Loop: Header=BB54_3 Depth=1
	s_or_b64 exec, exec, s[2:3]
	s_waitcnt vmcnt(0)
	ds_write_b32 v10, v13
	v_add_u32_e32 v13, s9, v0
	v_cmp_gt_i32_e64 s[2:3], s13, v13
	s_and_b64 s[6:7], vcc, s[2:3]
	v_mov_b32_e32 v13, 0
	s_and_saveexec_b64 s[2:3], s[6:7]
	s_cbranch_execz .LBB54_2
; %bb.6:                                ;   in Loop: Header=BB54_3 Depth=1
	global_load_dword v13, v[3:4], off
	s_branch .LBB54_2
.LBB54_7:
	v_mov_b32_e32 v8, 0
.LBB54_8:
	v_cmp_le_i32_e32 vcc, v2, v7
	v_cmp_gt_i32_e64 s[0:1], s12, v7
	s_and_b64 s[0:1], vcc, s[0:1]
	s_and_saveexec_b64 s[2:3], s[0:1]
	s_cbranch_execz .LBB54_10
; %bb.9:
	s_load_dwordx2 s[0:1], s[4:5], 0x58
	s_load_dwordx2 s[2:3], s[4:5], 0x48
	s_load_dword s6, s[4:5], 0x50
	v_ashrrev_i32_e32 v3, 31, v2
	v_mul_f32_e32 v4, s14, v8
	s_waitcnt lgkmcnt(0)
	s_mul_i32 s1, s1, s8
	s_mul_hi_u32 s4, s0, s8
	s_add_i32 s1, s4, s1
	v_mad_i64_i32 v[0:1], s[4:5], s6, v7, 0
	s_mul_i32 s0, s0, s8
	s_lshl_b64 s[0:1], s[0:1], 2
	s_add_u32 s0, s2, s0
	v_lshlrev_b64 v[0:1], 2, v[0:1]
	s_addc_u32 s1, s3, s1
	v_mov_b32_e32 v5, s1
	v_add_co_u32_e32 v6, vcc, s0, v0
	v_addc_co_u32_e32 v5, vcc, v5, v1, vcc
	v_lshlrev_b64 v[0:1], 2, v[2:3]
	v_add_co_u32_e32 v0, vcc, v6, v0
	v_addc_co_u32_e32 v1, vcc, v5, v1, vcc
	global_store_dword v[0:1], v4, off
.LBB54_10:
	s_endpgm
	.section	.rodata,"a",@progbits
	.p2align	6, 0x0
	.amdhsa_kernel _ZL32rocblas_syrkx_herkx_small_kernelIifLi16ELb1ELb0ELc67ELc85EKffEviT_T0_PT6_S1_lS4_S1_lS2_PT7_S1_li
		.amdhsa_group_segment_fixed_size 2048
		.amdhsa_private_segment_fixed_size 0
		.amdhsa_kernarg_size 100
		.amdhsa_user_sgpr_count 6
		.amdhsa_user_sgpr_private_segment_buffer 1
		.amdhsa_user_sgpr_dispatch_ptr 0
		.amdhsa_user_sgpr_queue_ptr 0
		.amdhsa_user_sgpr_kernarg_segment_ptr 1
		.amdhsa_user_sgpr_dispatch_id 0
		.amdhsa_user_sgpr_flat_scratch_init 0
		.amdhsa_user_sgpr_private_segment_size 0
		.amdhsa_uses_dynamic_stack 0
		.amdhsa_system_sgpr_private_segment_wavefront_offset 0
		.amdhsa_system_sgpr_workgroup_id_x 1
		.amdhsa_system_sgpr_workgroup_id_y 1
		.amdhsa_system_sgpr_workgroup_id_z 1
		.amdhsa_system_sgpr_workgroup_info 0
		.amdhsa_system_vgpr_workitem_id 1
		.amdhsa_next_free_vgpr 25
		.amdhsa_next_free_sgpr 20
		.amdhsa_reserve_vcc 1
		.amdhsa_reserve_flat_scratch 0
		.amdhsa_float_round_mode_32 0
		.amdhsa_float_round_mode_16_64 0
		.amdhsa_float_denorm_mode_32 3
		.amdhsa_float_denorm_mode_16_64 3
		.amdhsa_dx10_clamp 1
		.amdhsa_ieee_mode 1
		.amdhsa_fp16_overflow 0
		.amdhsa_exception_fp_ieee_invalid_op 0
		.amdhsa_exception_fp_denorm_src 0
		.amdhsa_exception_fp_ieee_div_zero 0
		.amdhsa_exception_fp_ieee_overflow 0
		.amdhsa_exception_fp_ieee_underflow 0
		.amdhsa_exception_fp_ieee_inexact 0
		.amdhsa_exception_int_div_zero 0
	.end_amdhsa_kernel
	.section	.text._ZL32rocblas_syrkx_herkx_small_kernelIifLi16ELb1ELb0ELc67ELc85EKffEviT_T0_PT6_S1_lS4_S1_lS2_PT7_S1_li,"axG",@progbits,_ZL32rocblas_syrkx_herkx_small_kernelIifLi16ELb1ELb0ELc67ELc85EKffEviT_T0_PT6_S1_lS4_S1_lS2_PT7_S1_li,comdat
.Lfunc_end54:
	.size	_ZL32rocblas_syrkx_herkx_small_kernelIifLi16ELb1ELb0ELc67ELc85EKffEviT_T0_PT6_S1_lS4_S1_lS2_PT7_S1_li, .Lfunc_end54-_ZL32rocblas_syrkx_herkx_small_kernelIifLi16ELb1ELb0ELc67ELc85EKffEviT_T0_PT6_S1_lS4_S1_lS2_PT7_S1_li
                                        ; -- End function
	.set _ZL32rocblas_syrkx_herkx_small_kernelIifLi16ELb1ELb0ELc67ELc85EKffEviT_T0_PT6_S1_lS4_S1_lS2_PT7_S1_li.num_vgpr, 25
	.set _ZL32rocblas_syrkx_herkx_small_kernelIifLi16ELb1ELb0ELc67ELc85EKffEviT_T0_PT6_S1_lS4_S1_lS2_PT7_S1_li.num_agpr, 0
	.set _ZL32rocblas_syrkx_herkx_small_kernelIifLi16ELb1ELb0ELc67ELc85EKffEviT_T0_PT6_S1_lS4_S1_lS2_PT7_S1_li.numbered_sgpr, 20
	.set _ZL32rocblas_syrkx_herkx_small_kernelIifLi16ELb1ELb0ELc67ELc85EKffEviT_T0_PT6_S1_lS4_S1_lS2_PT7_S1_li.num_named_barrier, 0
	.set _ZL32rocblas_syrkx_herkx_small_kernelIifLi16ELb1ELb0ELc67ELc85EKffEviT_T0_PT6_S1_lS4_S1_lS2_PT7_S1_li.private_seg_size, 0
	.set _ZL32rocblas_syrkx_herkx_small_kernelIifLi16ELb1ELb0ELc67ELc85EKffEviT_T0_PT6_S1_lS4_S1_lS2_PT7_S1_li.uses_vcc, 1
	.set _ZL32rocblas_syrkx_herkx_small_kernelIifLi16ELb1ELb0ELc67ELc85EKffEviT_T0_PT6_S1_lS4_S1_lS2_PT7_S1_li.uses_flat_scratch, 0
	.set _ZL32rocblas_syrkx_herkx_small_kernelIifLi16ELb1ELb0ELc67ELc85EKffEviT_T0_PT6_S1_lS4_S1_lS2_PT7_S1_li.has_dyn_sized_stack, 0
	.set _ZL32rocblas_syrkx_herkx_small_kernelIifLi16ELb1ELb0ELc67ELc85EKffEviT_T0_PT6_S1_lS4_S1_lS2_PT7_S1_li.has_recursion, 0
	.set _ZL32rocblas_syrkx_herkx_small_kernelIifLi16ELb1ELb0ELc67ELc85EKffEviT_T0_PT6_S1_lS4_S1_lS2_PT7_S1_li.has_indirect_call, 0
	.section	.AMDGPU.csdata,"",@progbits
; Kernel info:
; codeLenInByte = 820
; TotalNumSgprs: 24
; NumVgprs: 25
; ScratchSize: 0
; MemoryBound: 0
; FloatMode: 240
; IeeeMode: 1
; LDSByteSize: 2048 bytes/workgroup (compile time only)
; SGPRBlocks: 2
; VGPRBlocks: 6
; NumSGPRsForWavesPerEU: 24
; NumVGPRsForWavesPerEU: 25
; Occupancy: 9
; WaveLimiterHint : 0
; COMPUTE_PGM_RSRC2:SCRATCH_EN: 0
; COMPUTE_PGM_RSRC2:USER_SGPR: 6
; COMPUTE_PGM_RSRC2:TRAP_HANDLER: 0
; COMPUTE_PGM_RSRC2:TGID_X_EN: 1
; COMPUTE_PGM_RSRC2:TGID_Y_EN: 1
; COMPUTE_PGM_RSRC2:TGID_Z_EN: 1
; COMPUTE_PGM_RSRC2:TIDIG_COMP_CNT: 1
	.section	.text._ZL32rocblas_syrkx_herkx_small_kernelIifLi16ELb1ELb0ELc78ELc85EKffEviT_T0_PT6_S1_lS4_S1_lS2_PT7_S1_li,"axG",@progbits,_ZL32rocblas_syrkx_herkx_small_kernelIifLi16ELb1ELb0ELc78ELc85EKffEviT_T0_PT6_S1_lS4_S1_lS2_PT7_S1_li,comdat
	.globl	_ZL32rocblas_syrkx_herkx_small_kernelIifLi16ELb1ELb0ELc78ELc85EKffEviT_T0_PT6_S1_lS4_S1_lS2_PT7_S1_li ; -- Begin function _ZL32rocblas_syrkx_herkx_small_kernelIifLi16ELb1ELb0ELc78ELc85EKffEviT_T0_PT6_S1_lS4_S1_lS2_PT7_S1_li
	.p2align	8
	.type	_ZL32rocblas_syrkx_herkx_small_kernelIifLi16ELb1ELb0ELc78ELc85EKffEviT_T0_PT6_S1_lS4_S1_lS2_PT7_S1_li,@function
_ZL32rocblas_syrkx_herkx_small_kernelIifLi16ELb1ELb0ELc78ELc85EKffEviT_T0_PT6_S1_lS4_S1_lS2_PT7_S1_li: ; @_ZL32rocblas_syrkx_herkx_small_kernelIifLi16ELb1ELb0ELc78ELc85EKffEviT_T0_PT6_S1_lS4_S1_lS2_PT7_S1_li
; %bb.0:
	s_load_dwordx4 s[12:15], s[4:5], 0x0
	v_lshl_add_u32 v2, s6, 4, v0
	v_lshl_add_u32 v4, s7, 4, v1
	s_mov_b32 s9, 0
	v_ashrrev_i32_e32 v3, 31, v2
	s_waitcnt lgkmcnt(0)
	s_cmp_lt_i32 s13, 1
	v_cmp_gt_i32_e32 vcc, s12, v4
	s_cbranch_scc1 .LBB55_7
; %bb.1:
	s_load_dword s10, s[4:5], 0x18
	s_load_dword s6, s[4:5], 0x30
	s_load_dwordx2 s[20:21], s[4:5], 0x10
	s_load_dwordx4 s[16:19], s[4:5], 0x20
	s_load_dwordx2 s[2:3], s[4:5], 0x38
	v_lshlrev_b32_e32 v5, 6, v1
	s_waitcnt lgkmcnt(0)
	v_mad_i64_i32 v[6:7], s[22:23], s6, v0, 0
	v_lshlrev_b32_e32 v9, 2, v0
	s_mul_i32 s3, s3, s8
	s_mul_hi_u32 s15, s2, s8
	s_add_i32 s3, s15, s3
	s_mul_i32 s2, s2, s8
	v_lshlrev_b64 v[6:7], 2, v[6:7]
	v_add_u32_e32 v10, v9, v5
	v_add_u32_e32 v11, 0x400, v5
	v_ashrrev_i32_e32 v5, 31, v4
	s_lshl_b64 s[2:3], s[2:3], 2
	v_mov_b32_e32 v8, s3
	v_add_co_u32_e64 v13, s[2:3], s2, v6
	v_lshlrev_b64 v[5:6], 2, v[4:5]
	v_addc_co_u32_e64 v7, s[2:3], v8, v7, s[2:3]
	v_add_co_u32_e64 v5, s[2:3], v13, v5
	v_addc_co_u32_e64 v6, s[2:3], v7, v6, s[2:3]
	v_mov_b32_e32 v7, s19
	v_add_co_u32_e64 v5, s[2:3], s18, v5
	v_addc_co_u32_e64 v6, s[2:3], v7, v6, s[2:3]
	v_mad_i64_i32 v[7:8], s[2:3], s10, v1, 0
	s_mul_i32 s15, s17, s8
	s_mul_hi_u32 s17, s16, s8
	s_add_i32 s3, s17, s15
	s_mul_i32 s2, s16, s8
	v_lshlrev_b64 v[7:8], 2, v[7:8]
	s_lshl_b64 s[2:3], s[2:3], 2
	v_mov_b32_e32 v13, s3
	v_add_co_u32_e64 v14, s[2:3], s2, v7
	v_addc_co_u32_e64 v13, s[2:3], v13, v8, s[2:3]
	v_lshlrev_b64 v[7:8], 2, v[2:3]
	s_ashr_i32 s11, s10, 31
	v_add_co_u32_e64 v7, s[2:3], v14, v7
	v_addc_co_u32_e64 v8, s[2:3], v13, v8, s[2:3]
	s_ashr_i32 s7, s6, 31
	v_mov_b32_e32 v13, s21
	v_add_co_u32_e64 v7, s[2:3], s20, v7
	v_cmp_gt_i32_e64 s[0:1], s12, v2
	v_add_u32_e32 v12, v11, v9
	s_lshl_b64 s[6:7], s[6:7], 6
	v_addc_co_u32_e64 v8, s[2:3], v13, v8, s[2:3]
	s_lshl_b64 s[10:11], s[10:11], 6
	v_mov_b32_e32 v13, 0
	s_branch .LBB55_3
.LBB55_2:                               ;   in Loop: Header=BB55_3 Depth=1
	s_or_b64 exec, exec, s[2:3]
	s_waitcnt vmcnt(0)
	ds_write_b32 v12, v14
	s_waitcnt lgkmcnt(0)
	s_barrier
	ds_read2_b32 v[22:23], v9 offset1:16
	ds_read_b128 v[14:17], v11
	ds_read2_b32 v[24:25], v9 offset0:32 offset1:48
	ds_read_b128 v[18:21], v11 offset:16
	v_add_co_u32_e64 v5, s[2:3], s6, v5
	s_waitcnt lgkmcnt(2)
	v_fmac_f32_e32 v13, v22, v14
	v_fmac_f32_e32 v13, v23, v15
	ds_read2_b32 v[22:23], v9 offset0:64 offset1:80
	s_waitcnt lgkmcnt(2)
	v_fmac_f32_e32 v13, v24, v16
	v_fmac_f32_e32 v13, v25, v17
	ds_read2_b32 v[24:25], v9 offset0:96 offset1:112
	ds_read_b128 v[14:17], v11 offset:32
	s_add_i32 s9, s9, 16
	s_waitcnt lgkmcnt(2)
	v_fmac_f32_e32 v13, v22, v18
	v_fmac_f32_e32 v13, v23, v19
	ds_read2_b32 v[22:23], v9 offset0:128 offset1:144
	s_waitcnt lgkmcnt(2)
	v_fmac_f32_e32 v13, v24, v20
	v_fmac_f32_e32 v13, v25, v21
	ds_read2_b32 v[24:25], v9 offset0:160 offset1:176
	ds_read_b128 v[18:21], v11 offset:48
	s_cmp_ge_i32 s9, s13
	s_waitcnt lgkmcnt(2)
	v_fmac_f32_e32 v13, v22, v14
	v_fmac_f32_e32 v13, v23, v15
	ds_read2_b32 v[14:15], v9 offset0:192 offset1:208
	s_waitcnt lgkmcnt(2)
	v_fmac_f32_e32 v13, v24, v16
	v_fmac_f32_e32 v13, v25, v17
	ds_read2_b32 v[16:17], v9 offset0:224 offset1:240
	s_waitcnt lgkmcnt(0)
	v_fmac_f32_e32 v13, v14, v18
	v_mov_b32_e32 v14, s7
	v_fmac_f32_e32 v13, v15, v19
	v_addc_co_u32_e64 v6, s[2:3], v6, v14, s[2:3]
	v_fmac_f32_e32 v13, v16, v20
	v_mov_b32_e32 v14, s11
	v_add_co_u32_e64 v7, s[2:3], s10, v7
	v_fmac_f32_e32 v13, v17, v21
	v_addc_co_u32_e64 v8, s[2:3], v8, v14, s[2:3]
	s_barrier
	s_cbranch_scc1 .LBB55_8
.LBB55_3:                               ; =>This Inner Loop Header: Depth=1
	v_add_u32_e32 v14, s9, v1
	v_cmp_gt_i32_e64 s[2:3], s13, v14
	s_and_b64 s[16:17], s[0:1], s[2:3]
	v_mov_b32_e32 v14, 0
	s_and_saveexec_b64 s[2:3], s[16:17]
	s_cbranch_execz .LBB55_5
; %bb.4:                                ;   in Loop: Header=BB55_3 Depth=1
	global_load_dword v14, v[7:8], off
.LBB55_5:                               ;   in Loop: Header=BB55_3 Depth=1
	s_or_b64 exec, exec, s[2:3]
	s_waitcnt vmcnt(0)
	ds_write_b32 v10, v14
	v_add_u32_e32 v14, s9, v0
	v_cmp_gt_i32_e64 s[2:3], s13, v14
	s_and_b64 s[16:17], vcc, s[2:3]
	v_mov_b32_e32 v14, 0
	s_and_saveexec_b64 s[2:3], s[16:17]
	s_cbranch_execz .LBB55_2
; %bb.6:                                ;   in Loop: Header=BB55_3 Depth=1
	global_load_dword v14, v[5:6], off
	s_branch .LBB55_2
.LBB55_7:
	v_mov_b32_e32 v13, 0
.LBB55_8:
	v_cmp_le_i32_e32 vcc, v2, v4
	v_cmp_gt_i32_e64 s[0:1], s12, v4
	s_and_b64 s[0:1], vcc, s[0:1]
	s_and_saveexec_b64 s[2:3], s[0:1]
	s_cbranch_execz .LBB55_10
; %bb.9:
	s_load_dwordx2 s[0:1], s[4:5], 0x58
	s_load_dwordx2 s[2:3], s[4:5], 0x48
	s_load_dword s6, s[4:5], 0x50
	s_waitcnt lgkmcnt(0)
	s_mul_i32 s1, s1, s8
	s_mul_hi_u32 s4, s0, s8
	s_add_i32 s1, s4, s1
	v_mad_i64_i32 v[0:1], s[4:5], s6, v4, 0
	s_mul_i32 s0, s0, s8
	s_lshl_b64 s[0:1], s[0:1], 2
	s_add_u32 s0, s2, s0
	v_lshlrev_b64 v[0:1], 2, v[0:1]
	s_addc_u32 s1, s3, s1
	v_mov_b32_e32 v5, s1
	v_add_co_u32_e32 v6, vcc, s0, v0
	v_addc_co_u32_e32 v5, vcc, v5, v1, vcc
	v_lshlrev_b64 v[0:1], 2, v[2:3]
	v_mul_f32_e32 v4, s14, v13
	v_add_co_u32_e32 v0, vcc, v6, v0
	v_addc_co_u32_e32 v1, vcc, v5, v1, vcc
	global_store_dword v[0:1], v4, off
.LBB55_10:
	s_endpgm
	.section	.rodata,"a",@progbits
	.p2align	6, 0x0
	.amdhsa_kernel _ZL32rocblas_syrkx_herkx_small_kernelIifLi16ELb1ELb0ELc78ELc85EKffEviT_T0_PT6_S1_lS4_S1_lS2_PT7_S1_li
		.amdhsa_group_segment_fixed_size 2048
		.amdhsa_private_segment_fixed_size 0
		.amdhsa_kernarg_size 100
		.amdhsa_user_sgpr_count 6
		.amdhsa_user_sgpr_private_segment_buffer 1
		.amdhsa_user_sgpr_dispatch_ptr 0
		.amdhsa_user_sgpr_queue_ptr 0
		.amdhsa_user_sgpr_kernarg_segment_ptr 1
		.amdhsa_user_sgpr_dispatch_id 0
		.amdhsa_user_sgpr_flat_scratch_init 0
		.amdhsa_user_sgpr_private_segment_size 0
		.amdhsa_uses_dynamic_stack 0
		.amdhsa_system_sgpr_private_segment_wavefront_offset 0
		.amdhsa_system_sgpr_workgroup_id_x 1
		.amdhsa_system_sgpr_workgroup_id_y 1
		.amdhsa_system_sgpr_workgroup_id_z 1
		.amdhsa_system_sgpr_workgroup_info 0
		.amdhsa_system_vgpr_workitem_id 1
		.amdhsa_next_free_vgpr 26
		.amdhsa_next_free_sgpr 24
		.amdhsa_reserve_vcc 1
		.amdhsa_reserve_flat_scratch 0
		.amdhsa_float_round_mode_32 0
		.amdhsa_float_round_mode_16_64 0
		.amdhsa_float_denorm_mode_32 3
		.amdhsa_float_denorm_mode_16_64 3
		.amdhsa_dx10_clamp 1
		.amdhsa_ieee_mode 1
		.amdhsa_fp16_overflow 0
		.amdhsa_exception_fp_ieee_invalid_op 0
		.amdhsa_exception_fp_denorm_src 0
		.amdhsa_exception_fp_ieee_div_zero 0
		.amdhsa_exception_fp_ieee_overflow 0
		.amdhsa_exception_fp_ieee_underflow 0
		.amdhsa_exception_fp_ieee_inexact 0
		.amdhsa_exception_int_div_zero 0
	.end_amdhsa_kernel
	.section	.text._ZL32rocblas_syrkx_herkx_small_kernelIifLi16ELb1ELb0ELc78ELc85EKffEviT_T0_PT6_S1_lS4_S1_lS2_PT7_S1_li,"axG",@progbits,_ZL32rocblas_syrkx_herkx_small_kernelIifLi16ELb1ELb0ELc78ELc85EKffEviT_T0_PT6_S1_lS4_S1_lS2_PT7_S1_li,comdat
.Lfunc_end55:
	.size	_ZL32rocblas_syrkx_herkx_small_kernelIifLi16ELb1ELb0ELc78ELc85EKffEviT_T0_PT6_S1_lS4_S1_lS2_PT7_S1_li, .Lfunc_end55-_ZL32rocblas_syrkx_herkx_small_kernelIifLi16ELb1ELb0ELc78ELc85EKffEviT_T0_PT6_S1_lS4_S1_lS2_PT7_S1_li
                                        ; -- End function
	.set _ZL32rocblas_syrkx_herkx_small_kernelIifLi16ELb1ELb0ELc78ELc85EKffEviT_T0_PT6_S1_lS4_S1_lS2_PT7_S1_li.num_vgpr, 26
	.set _ZL32rocblas_syrkx_herkx_small_kernelIifLi16ELb1ELb0ELc78ELc85EKffEviT_T0_PT6_S1_lS4_S1_lS2_PT7_S1_li.num_agpr, 0
	.set _ZL32rocblas_syrkx_herkx_small_kernelIifLi16ELb1ELb0ELc78ELc85EKffEviT_T0_PT6_S1_lS4_S1_lS2_PT7_S1_li.numbered_sgpr, 24
	.set _ZL32rocblas_syrkx_herkx_small_kernelIifLi16ELb1ELb0ELc78ELc85EKffEviT_T0_PT6_S1_lS4_S1_lS2_PT7_S1_li.num_named_barrier, 0
	.set _ZL32rocblas_syrkx_herkx_small_kernelIifLi16ELb1ELb0ELc78ELc85EKffEviT_T0_PT6_S1_lS4_S1_lS2_PT7_S1_li.private_seg_size, 0
	.set _ZL32rocblas_syrkx_herkx_small_kernelIifLi16ELb1ELb0ELc78ELc85EKffEviT_T0_PT6_S1_lS4_S1_lS2_PT7_S1_li.uses_vcc, 1
	.set _ZL32rocblas_syrkx_herkx_small_kernelIifLi16ELb1ELb0ELc78ELc85EKffEviT_T0_PT6_S1_lS4_S1_lS2_PT7_S1_li.uses_flat_scratch, 0
	.set _ZL32rocblas_syrkx_herkx_small_kernelIifLi16ELb1ELb0ELc78ELc85EKffEviT_T0_PT6_S1_lS4_S1_lS2_PT7_S1_li.has_dyn_sized_stack, 0
	.set _ZL32rocblas_syrkx_herkx_small_kernelIifLi16ELb1ELb0ELc78ELc85EKffEviT_T0_PT6_S1_lS4_S1_lS2_PT7_S1_li.has_recursion, 0
	.set _ZL32rocblas_syrkx_herkx_small_kernelIifLi16ELb1ELb0ELc78ELc85EKffEviT_T0_PT6_S1_lS4_S1_lS2_PT7_S1_li.has_indirect_call, 0
	.section	.AMDGPU.csdata,"",@progbits
; Kernel info:
; codeLenInByte = 856
; TotalNumSgprs: 28
; NumVgprs: 26
; ScratchSize: 0
; MemoryBound: 0
; FloatMode: 240
; IeeeMode: 1
; LDSByteSize: 2048 bytes/workgroup (compile time only)
; SGPRBlocks: 3
; VGPRBlocks: 6
; NumSGPRsForWavesPerEU: 28
; NumVGPRsForWavesPerEU: 26
; Occupancy: 9
; WaveLimiterHint : 0
; COMPUTE_PGM_RSRC2:SCRATCH_EN: 0
; COMPUTE_PGM_RSRC2:USER_SGPR: 6
; COMPUTE_PGM_RSRC2:TRAP_HANDLER: 0
; COMPUTE_PGM_RSRC2:TGID_X_EN: 1
; COMPUTE_PGM_RSRC2:TGID_Y_EN: 1
; COMPUTE_PGM_RSRC2:TGID_Z_EN: 1
; COMPUTE_PGM_RSRC2:TIDIG_COMP_CNT: 1
	.section	.text._ZL32rocblas_syrkx_herkx_small_kernelIifLi16ELb0ELb0ELc84ELc76EKffEviT_T0_PT6_S1_lS4_S1_lS2_PT7_S1_li,"axG",@progbits,_ZL32rocblas_syrkx_herkx_small_kernelIifLi16ELb0ELb0ELc84ELc76EKffEviT_T0_PT6_S1_lS4_S1_lS2_PT7_S1_li,comdat
	.globl	_ZL32rocblas_syrkx_herkx_small_kernelIifLi16ELb0ELb0ELc84ELc76EKffEviT_T0_PT6_S1_lS4_S1_lS2_PT7_S1_li ; -- Begin function _ZL32rocblas_syrkx_herkx_small_kernelIifLi16ELb0ELb0ELc84ELc76EKffEviT_T0_PT6_S1_lS4_S1_lS2_PT7_S1_li
	.p2align	8
	.type	_ZL32rocblas_syrkx_herkx_small_kernelIifLi16ELb0ELb0ELc84ELc76EKffEviT_T0_PT6_S1_lS4_S1_lS2_PT7_S1_li,@function
_ZL32rocblas_syrkx_herkx_small_kernelIifLi16ELb0ELb0ELc84ELc76EKffEviT_T0_PT6_S1_lS4_S1_lS2_PT7_S1_li: ; @_ZL32rocblas_syrkx_herkx_small_kernelIifLi16ELb0ELb0ELc84ELc76EKffEviT_T0_PT6_S1_lS4_S1_lS2_PT7_S1_li
; %bb.0:
	s_load_dwordx4 s[12:15], s[4:5], 0x0
	v_lshl_add_u32 v2, s6, 4, v0
	s_mov_b32 s9, 0
	v_lshl_add_u32 v7, s7, 4, v1
	s_waitcnt lgkmcnt(0)
	s_cmp_lt_i32 s13, 1
	v_cmp_gt_i32_e32 vcc, s12, v2
	s_cbranch_scc1 .LBB56_7
; %bb.1:
	s_load_dwordx2 s[6:7], s[4:5], 0x10
	s_load_dword s10, s[4:5], 0x18
	s_load_dwordx4 s[16:19], s[4:5], 0x20
	s_load_dword s0, s[4:5], 0x30
	s_load_dwordx2 s[2:3], s[4:5], 0x38
	v_lshlrev_b32_e32 v5, 6, v1
	v_lshlrev_b32_e32 v9, 2, v0
	v_add_u32_e32 v10, v9, v5
	s_waitcnt lgkmcnt(0)
	v_mad_i64_i32 v[3:4], s[0:1], s0, v7, 0
	s_mul_i32 s3, s3, s8
	s_mul_hi_u32 s11, s2, s8
	v_lshlrev_b64 v[3:4], 2, v[3:4]
	s_add_i32 s3, s11, s3
	s_mul_i32 s2, s2, s8
	s_lshl_b64 s[2:3], s[2:3], 2
	v_add_u32_e32 v11, 0x400, v5
	v_mov_b32_e32 v5, s3
	v_add_co_u32_e64 v3, s[2:3], s2, v3
	v_addc_co_u32_e64 v4, s[2:3], v4, v5, s[2:3]
	v_add_co_u32_e64 v3, s[2:3], v3, v9
	v_addc_co_u32_e64 v4, s[2:3], 0, v4, s[2:3]
	v_mad_i64_i32 v[5:6], s[2:3], s10, v2, 0
	v_mov_b32_e32 v13, s19
	v_add_co_u32_e64 v3, s[2:3], s18, v3
	v_addc_co_u32_e64 v4, s[2:3], v13, v4, s[2:3]
	s_mul_i32 s2, s17, s8
	s_mul_hi_u32 s3, s16, s8
	v_lshlrev_b64 v[5:6], 2, v[5:6]
	s_add_i32 s3, s3, s2
	s_mul_i32 s2, s16, s8
	s_lshl_b64 s[2:3], s[2:3], 2
	v_mov_b32_e32 v13, s3
	v_add_co_u32_e64 v5, s[2:3], s2, v5
	v_addc_co_u32_e64 v6, s[2:3], v6, v13, s[2:3]
	v_lshlrev_b32_e32 v13, 2, v1
	v_add_co_u32_e64 v5, s[2:3], v5, v13
	v_addc_co_u32_e64 v6, s[2:3], 0, v6, s[2:3]
	v_mov_b32_e32 v13, s7
	v_add_co_u32_e64 v5, s[2:3], s6, v5
	v_cmp_gt_i32_e64 s[0:1], s12, v7
	v_add_u32_e32 v12, v11, v9
	v_mov_b32_e32 v8, 0
	v_addc_co_u32_e64 v6, s[2:3], v13, v6, s[2:3]
	s_branch .LBB56_3
.LBB56_2:                               ;   in Loop: Header=BB56_3 Depth=1
	s_or_b64 exec, exec, s[2:3]
	s_waitcnt vmcnt(0)
	ds_write_b32 v12, v13
	s_waitcnt lgkmcnt(0)
	s_barrier
	ds_read2_b32 v[21:22], v9 offset1:16
	ds_read_b128 v[13:16], v11
	ds_read2_b32 v[23:24], v9 offset0:32 offset1:48
	ds_read_b128 v[17:20], v11 offset:16
	v_add_co_u32_e64 v3, s[2:3], 64, v3
	s_waitcnt lgkmcnt(2)
	v_fmac_f32_e32 v8, v21, v13
	v_fmac_f32_e32 v8, v22, v14
	ds_read2_b32 v[21:22], v9 offset0:64 offset1:80
	s_waitcnt lgkmcnt(2)
	v_fmac_f32_e32 v8, v23, v15
	v_fmac_f32_e32 v8, v24, v16
	ds_read2_b32 v[23:24], v9 offset0:96 offset1:112
	ds_read_b128 v[13:16], v11 offset:32
	v_addc_co_u32_e64 v4, s[2:3], 0, v4, s[2:3]
	s_waitcnt lgkmcnt(2)
	v_fmac_f32_e32 v8, v21, v17
	v_fmac_f32_e32 v8, v22, v18
	ds_read2_b32 v[21:22], v9 offset0:128 offset1:144
	s_waitcnt lgkmcnt(2)
	v_fmac_f32_e32 v8, v23, v19
	v_fmac_f32_e32 v8, v24, v20
	ds_read2_b32 v[23:24], v9 offset0:160 offset1:176
	ds_read_b128 v[17:20], v11 offset:48
	s_add_i32 s9, s9, 16
	s_waitcnt lgkmcnt(2)
	v_fmac_f32_e32 v8, v21, v13
	v_fmac_f32_e32 v8, v22, v14
	ds_read2_b32 v[13:14], v9 offset0:192 offset1:208
	s_waitcnt lgkmcnt(2)
	v_fmac_f32_e32 v8, v23, v15
	v_fmac_f32_e32 v8, v24, v16
	ds_read2_b32 v[15:16], v9 offset0:224 offset1:240
	v_add_co_u32_e64 v5, s[2:3], 64, v5
	s_waitcnt lgkmcnt(1)
	v_fmac_f32_e32 v8, v13, v17
	v_fmac_f32_e32 v8, v14, v18
	s_waitcnt lgkmcnt(0)
	v_fmac_f32_e32 v8, v15, v19
	v_fmac_f32_e32 v8, v16, v20
	s_cmp_ge_i32 s9, s13
	v_addc_co_u32_e64 v6, s[2:3], 0, v6, s[2:3]
	s_barrier
	s_cbranch_scc1 .LBB56_8
.LBB56_3:                               ; =>This Inner Loop Header: Depth=1
	v_add_u32_e32 v13, s9, v1
	v_cmp_gt_i32_e64 s[2:3], s13, v13
	s_and_b64 s[6:7], vcc, s[2:3]
	v_mov_b32_e32 v13, 0
	s_and_saveexec_b64 s[2:3], s[6:7]
	s_cbranch_execz .LBB56_5
; %bb.4:                                ;   in Loop: Header=BB56_3 Depth=1
	global_load_dword v13, v[5:6], off
.LBB56_5:                               ;   in Loop: Header=BB56_3 Depth=1
	s_or_b64 exec, exec, s[2:3]
	s_waitcnt vmcnt(0)
	ds_write_b32 v10, v13
	v_add_u32_e32 v13, s9, v0
	v_cmp_gt_i32_e64 s[2:3], s13, v13
	s_and_b64 s[6:7], s[0:1], s[2:3]
	v_mov_b32_e32 v13, 0
	s_and_saveexec_b64 s[2:3], s[6:7]
	s_cbranch_execz .LBB56_2
; %bb.6:                                ;   in Loop: Header=BB56_3 Depth=1
	global_load_dword v13, v[3:4], off
	s_branch .LBB56_2
.LBB56_7:
	v_mov_b32_e32 v8, 0
.LBB56_8:
	v_cmp_le_i32_e32 vcc, v7, v2
	v_cmp_gt_i32_e64 s[0:1], s12, v2
	s_and_b64 s[0:1], vcc, s[0:1]
	s_and_saveexec_b64 s[2:3], s[0:1]
	s_cbranch_execz .LBB56_10
; %bb.9:
	s_load_dwordx2 s[0:1], s[4:5], 0x58
	s_load_dwordx2 s[2:3], s[4:5], 0x48
	s_load_dword s6, s[4:5], 0x50
	v_ashrrev_i32_e32 v3, 31, v2
	s_waitcnt lgkmcnt(0)
	s_mul_i32 s1, s1, s8
	s_mul_hi_u32 s7, s0, s8
	s_add_i32 s1, s7, s1
	v_mad_i64_i32 v[0:1], s[6:7], s6, v7, 0
	s_mul_i32 s0, s0, s8
	s_lshl_b64 s[0:1], s[0:1], 2
	s_add_u32 s0, s2, s0
	v_lshlrev_b64 v[0:1], 2, v[0:1]
	s_addc_u32 s1, s3, s1
	v_mov_b32_e32 v4, s1
	v_add_co_u32_e32 v5, vcc, s0, v0
	v_addc_co_u32_e32 v4, vcc, v4, v1, vcc
	v_lshlrev_b64 v[0:1], 2, v[2:3]
	s_load_dword s0, s[4:5], 0x40
	v_add_co_u32_e32 v0, vcc, v5, v0
	v_addc_co_u32_e32 v1, vcc, v4, v1, vcc
	global_load_dword v2, v[0:1], off
	s_waitcnt vmcnt(0) lgkmcnt(0)
	v_mul_f32_e32 v2, s0, v2
	v_fmac_f32_e32 v2, s14, v8
	global_store_dword v[0:1], v2, off
.LBB56_10:
	s_endpgm
	.section	.rodata,"a",@progbits
	.p2align	6, 0x0
	.amdhsa_kernel _ZL32rocblas_syrkx_herkx_small_kernelIifLi16ELb0ELb0ELc84ELc76EKffEviT_T0_PT6_S1_lS4_S1_lS2_PT7_S1_li
		.amdhsa_group_segment_fixed_size 2048
		.amdhsa_private_segment_fixed_size 0
		.amdhsa_kernarg_size 100
		.amdhsa_user_sgpr_count 6
		.amdhsa_user_sgpr_private_segment_buffer 1
		.amdhsa_user_sgpr_dispatch_ptr 0
		.amdhsa_user_sgpr_queue_ptr 0
		.amdhsa_user_sgpr_kernarg_segment_ptr 1
		.amdhsa_user_sgpr_dispatch_id 0
		.amdhsa_user_sgpr_flat_scratch_init 0
		.amdhsa_user_sgpr_private_segment_size 0
		.amdhsa_uses_dynamic_stack 0
		.amdhsa_system_sgpr_private_segment_wavefront_offset 0
		.amdhsa_system_sgpr_workgroup_id_x 1
		.amdhsa_system_sgpr_workgroup_id_y 1
		.amdhsa_system_sgpr_workgroup_id_z 1
		.amdhsa_system_sgpr_workgroup_info 0
		.amdhsa_system_vgpr_workitem_id 1
		.amdhsa_next_free_vgpr 25
		.amdhsa_next_free_sgpr 20
		.amdhsa_reserve_vcc 1
		.amdhsa_reserve_flat_scratch 0
		.amdhsa_float_round_mode_32 0
		.amdhsa_float_round_mode_16_64 0
		.amdhsa_float_denorm_mode_32 3
		.amdhsa_float_denorm_mode_16_64 3
		.amdhsa_dx10_clamp 1
		.amdhsa_ieee_mode 1
		.amdhsa_fp16_overflow 0
		.amdhsa_exception_fp_ieee_invalid_op 0
		.amdhsa_exception_fp_denorm_src 0
		.amdhsa_exception_fp_ieee_div_zero 0
		.amdhsa_exception_fp_ieee_overflow 0
		.amdhsa_exception_fp_ieee_underflow 0
		.amdhsa_exception_fp_ieee_inexact 0
		.amdhsa_exception_int_div_zero 0
	.end_amdhsa_kernel
	.section	.text._ZL32rocblas_syrkx_herkx_small_kernelIifLi16ELb0ELb0ELc84ELc76EKffEviT_T0_PT6_S1_lS4_S1_lS2_PT7_S1_li,"axG",@progbits,_ZL32rocblas_syrkx_herkx_small_kernelIifLi16ELb0ELb0ELc84ELc76EKffEviT_T0_PT6_S1_lS4_S1_lS2_PT7_S1_li,comdat
.Lfunc_end56:
	.size	_ZL32rocblas_syrkx_herkx_small_kernelIifLi16ELb0ELb0ELc84ELc76EKffEviT_T0_PT6_S1_lS4_S1_lS2_PT7_S1_li, .Lfunc_end56-_ZL32rocblas_syrkx_herkx_small_kernelIifLi16ELb0ELb0ELc84ELc76EKffEviT_T0_PT6_S1_lS4_S1_lS2_PT7_S1_li
                                        ; -- End function
	.set _ZL32rocblas_syrkx_herkx_small_kernelIifLi16ELb0ELb0ELc84ELc76EKffEviT_T0_PT6_S1_lS4_S1_lS2_PT7_S1_li.num_vgpr, 25
	.set _ZL32rocblas_syrkx_herkx_small_kernelIifLi16ELb0ELb0ELc84ELc76EKffEviT_T0_PT6_S1_lS4_S1_lS2_PT7_S1_li.num_agpr, 0
	.set _ZL32rocblas_syrkx_herkx_small_kernelIifLi16ELb0ELb0ELc84ELc76EKffEviT_T0_PT6_S1_lS4_S1_lS2_PT7_S1_li.numbered_sgpr, 20
	.set _ZL32rocblas_syrkx_herkx_small_kernelIifLi16ELb0ELb0ELc84ELc76EKffEviT_T0_PT6_S1_lS4_S1_lS2_PT7_S1_li.num_named_barrier, 0
	.set _ZL32rocblas_syrkx_herkx_small_kernelIifLi16ELb0ELb0ELc84ELc76EKffEviT_T0_PT6_S1_lS4_S1_lS2_PT7_S1_li.private_seg_size, 0
	.set _ZL32rocblas_syrkx_herkx_small_kernelIifLi16ELb0ELb0ELc84ELc76EKffEviT_T0_PT6_S1_lS4_S1_lS2_PT7_S1_li.uses_vcc, 1
	.set _ZL32rocblas_syrkx_herkx_small_kernelIifLi16ELb0ELb0ELc84ELc76EKffEviT_T0_PT6_S1_lS4_S1_lS2_PT7_S1_li.uses_flat_scratch, 0
	.set _ZL32rocblas_syrkx_herkx_small_kernelIifLi16ELb0ELb0ELc84ELc76EKffEviT_T0_PT6_S1_lS4_S1_lS2_PT7_S1_li.has_dyn_sized_stack, 0
	.set _ZL32rocblas_syrkx_herkx_small_kernelIifLi16ELb0ELb0ELc84ELc76EKffEviT_T0_PT6_S1_lS4_S1_lS2_PT7_S1_li.has_recursion, 0
	.set _ZL32rocblas_syrkx_herkx_small_kernelIifLi16ELb0ELb0ELc84ELc76EKffEviT_T0_PT6_S1_lS4_S1_lS2_PT7_S1_li.has_indirect_call, 0
	.section	.AMDGPU.csdata,"",@progbits
; Kernel info:
; codeLenInByte = 844
; TotalNumSgprs: 24
; NumVgprs: 25
; ScratchSize: 0
; MemoryBound: 0
; FloatMode: 240
; IeeeMode: 1
; LDSByteSize: 2048 bytes/workgroup (compile time only)
; SGPRBlocks: 2
; VGPRBlocks: 6
; NumSGPRsForWavesPerEU: 24
; NumVGPRsForWavesPerEU: 25
; Occupancy: 9
; WaveLimiterHint : 0
; COMPUTE_PGM_RSRC2:SCRATCH_EN: 0
; COMPUTE_PGM_RSRC2:USER_SGPR: 6
; COMPUTE_PGM_RSRC2:TRAP_HANDLER: 0
; COMPUTE_PGM_RSRC2:TGID_X_EN: 1
; COMPUTE_PGM_RSRC2:TGID_Y_EN: 1
; COMPUTE_PGM_RSRC2:TGID_Z_EN: 1
; COMPUTE_PGM_RSRC2:TIDIG_COMP_CNT: 1
	.section	.text._ZL32rocblas_syrkx_herkx_small_kernelIifLi16ELb0ELb0ELc67ELc76EKffEviT_T0_PT6_S1_lS4_S1_lS2_PT7_S1_li,"axG",@progbits,_ZL32rocblas_syrkx_herkx_small_kernelIifLi16ELb0ELb0ELc67ELc76EKffEviT_T0_PT6_S1_lS4_S1_lS2_PT7_S1_li,comdat
	.globl	_ZL32rocblas_syrkx_herkx_small_kernelIifLi16ELb0ELb0ELc67ELc76EKffEviT_T0_PT6_S1_lS4_S1_lS2_PT7_S1_li ; -- Begin function _ZL32rocblas_syrkx_herkx_small_kernelIifLi16ELb0ELb0ELc67ELc76EKffEviT_T0_PT6_S1_lS4_S1_lS2_PT7_S1_li
	.p2align	8
	.type	_ZL32rocblas_syrkx_herkx_small_kernelIifLi16ELb0ELb0ELc67ELc76EKffEviT_T0_PT6_S1_lS4_S1_lS2_PT7_S1_li,@function
_ZL32rocblas_syrkx_herkx_small_kernelIifLi16ELb0ELb0ELc67ELc76EKffEviT_T0_PT6_S1_lS4_S1_lS2_PT7_S1_li: ; @_ZL32rocblas_syrkx_herkx_small_kernelIifLi16ELb0ELb0ELc67ELc76EKffEviT_T0_PT6_S1_lS4_S1_lS2_PT7_S1_li
; %bb.0:
	s_load_dwordx4 s[12:15], s[4:5], 0x0
	v_lshl_add_u32 v2, s6, 4, v0
	s_mov_b32 s9, 0
	v_lshl_add_u32 v7, s7, 4, v1
	s_waitcnt lgkmcnt(0)
	s_cmp_lt_i32 s13, 1
	v_cmp_gt_i32_e32 vcc, s12, v2
	s_cbranch_scc1 .LBB57_7
; %bb.1:
	s_load_dwordx2 s[6:7], s[4:5], 0x10
	s_load_dword s10, s[4:5], 0x18
	s_load_dwordx4 s[16:19], s[4:5], 0x20
	s_load_dword s0, s[4:5], 0x30
	s_load_dwordx2 s[2:3], s[4:5], 0x38
	v_lshlrev_b32_e32 v5, 6, v1
	v_lshlrev_b32_e32 v9, 2, v0
	v_add_u32_e32 v10, v9, v5
	s_waitcnt lgkmcnt(0)
	v_mad_i64_i32 v[3:4], s[0:1], s0, v7, 0
	s_mul_i32 s3, s3, s8
	s_mul_hi_u32 s11, s2, s8
	v_lshlrev_b64 v[3:4], 2, v[3:4]
	s_add_i32 s3, s11, s3
	s_mul_i32 s2, s2, s8
	s_lshl_b64 s[2:3], s[2:3], 2
	v_add_u32_e32 v11, 0x400, v5
	v_mov_b32_e32 v5, s3
	v_add_co_u32_e64 v3, s[2:3], s2, v3
	v_addc_co_u32_e64 v4, s[2:3], v4, v5, s[2:3]
	v_add_co_u32_e64 v3, s[2:3], v3, v9
	v_addc_co_u32_e64 v4, s[2:3], 0, v4, s[2:3]
	v_mad_i64_i32 v[5:6], s[2:3], s10, v2, 0
	v_mov_b32_e32 v13, s19
	v_add_co_u32_e64 v3, s[2:3], s18, v3
	v_addc_co_u32_e64 v4, s[2:3], v13, v4, s[2:3]
	s_mul_i32 s2, s17, s8
	s_mul_hi_u32 s3, s16, s8
	v_lshlrev_b64 v[5:6], 2, v[5:6]
	s_add_i32 s3, s3, s2
	s_mul_i32 s2, s16, s8
	s_lshl_b64 s[2:3], s[2:3], 2
	v_mov_b32_e32 v13, s3
	v_add_co_u32_e64 v5, s[2:3], s2, v5
	v_addc_co_u32_e64 v6, s[2:3], v6, v13, s[2:3]
	v_lshlrev_b32_e32 v13, 2, v1
	v_add_co_u32_e64 v5, s[2:3], v5, v13
	v_addc_co_u32_e64 v6, s[2:3], 0, v6, s[2:3]
	v_mov_b32_e32 v13, s7
	v_add_co_u32_e64 v5, s[2:3], s6, v5
	v_cmp_gt_i32_e64 s[0:1], s12, v7
	v_add_u32_e32 v12, v11, v9
	v_mov_b32_e32 v8, 0
	v_addc_co_u32_e64 v6, s[2:3], v13, v6, s[2:3]
	s_branch .LBB57_3
.LBB57_2:                               ;   in Loop: Header=BB57_3 Depth=1
	s_or_b64 exec, exec, s[2:3]
	s_waitcnt vmcnt(0)
	ds_write_b32 v12, v13
	s_waitcnt lgkmcnt(0)
	s_barrier
	ds_read2_b32 v[21:22], v9 offset1:16
	ds_read_b128 v[13:16], v11
	ds_read2_b32 v[23:24], v9 offset0:32 offset1:48
	ds_read_b128 v[17:20], v11 offset:16
	v_add_co_u32_e64 v3, s[2:3], 64, v3
	s_waitcnt lgkmcnt(2)
	v_fmac_f32_e32 v8, v21, v13
	v_fmac_f32_e32 v8, v22, v14
	ds_read2_b32 v[21:22], v9 offset0:64 offset1:80
	s_waitcnt lgkmcnt(2)
	v_fmac_f32_e32 v8, v23, v15
	v_fmac_f32_e32 v8, v24, v16
	ds_read2_b32 v[23:24], v9 offset0:96 offset1:112
	ds_read_b128 v[13:16], v11 offset:32
	v_addc_co_u32_e64 v4, s[2:3], 0, v4, s[2:3]
	s_waitcnt lgkmcnt(2)
	v_fmac_f32_e32 v8, v21, v17
	v_fmac_f32_e32 v8, v22, v18
	ds_read2_b32 v[21:22], v9 offset0:128 offset1:144
	s_waitcnt lgkmcnt(2)
	v_fmac_f32_e32 v8, v23, v19
	v_fmac_f32_e32 v8, v24, v20
	ds_read2_b32 v[23:24], v9 offset0:160 offset1:176
	ds_read_b128 v[17:20], v11 offset:48
	s_add_i32 s9, s9, 16
	s_waitcnt lgkmcnt(2)
	v_fmac_f32_e32 v8, v21, v13
	v_fmac_f32_e32 v8, v22, v14
	ds_read2_b32 v[13:14], v9 offset0:192 offset1:208
	s_waitcnt lgkmcnt(2)
	v_fmac_f32_e32 v8, v23, v15
	v_fmac_f32_e32 v8, v24, v16
	ds_read2_b32 v[15:16], v9 offset0:224 offset1:240
	v_add_co_u32_e64 v5, s[2:3], 64, v5
	s_waitcnt lgkmcnt(1)
	v_fmac_f32_e32 v8, v13, v17
	v_fmac_f32_e32 v8, v14, v18
	s_waitcnt lgkmcnt(0)
	v_fmac_f32_e32 v8, v15, v19
	v_fmac_f32_e32 v8, v16, v20
	s_cmp_ge_i32 s9, s13
	v_addc_co_u32_e64 v6, s[2:3], 0, v6, s[2:3]
	s_barrier
	s_cbranch_scc1 .LBB57_8
.LBB57_3:                               ; =>This Inner Loop Header: Depth=1
	v_add_u32_e32 v13, s9, v1
	v_cmp_gt_i32_e64 s[2:3], s13, v13
	s_and_b64 s[6:7], vcc, s[2:3]
	v_mov_b32_e32 v13, 0
	s_and_saveexec_b64 s[2:3], s[6:7]
	s_cbranch_execz .LBB57_5
; %bb.4:                                ;   in Loop: Header=BB57_3 Depth=1
	global_load_dword v13, v[5:6], off
.LBB57_5:                               ;   in Loop: Header=BB57_3 Depth=1
	s_or_b64 exec, exec, s[2:3]
	s_waitcnt vmcnt(0)
	ds_write_b32 v10, v13
	v_add_u32_e32 v13, s9, v0
	v_cmp_gt_i32_e64 s[2:3], s13, v13
	s_and_b64 s[6:7], s[0:1], s[2:3]
	v_mov_b32_e32 v13, 0
	s_and_saveexec_b64 s[2:3], s[6:7]
	s_cbranch_execz .LBB57_2
; %bb.6:                                ;   in Loop: Header=BB57_3 Depth=1
	global_load_dword v13, v[3:4], off
	s_branch .LBB57_2
.LBB57_7:
	v_mov_b32_e32 v8, 0
.LBB57_8:
	v_cmp_le_i32_e32 vcc, v7, v2
	v_cmp_gt_i32_e64 s[0:1], s12, v2
	s_and_b64 s[0:1], vcc, s[0:1]
	s_and_saveexec_b64 s[2:3], s[0:1]
	s_cbranch_execz .LBB57_10
; %bb.9:
	s_load_dwordx2 s[0:1], s[4:5], 0x58
	s_load_dwordx2 s[2:3], s[4:5], 0x48
	s_load_dword s6, s[4:5], 0x50
	v_ashrrev_i32_e32 v3, 31, v2
	s_waitcnt lgkmcnt(0)
	s_mul_i32 s1, s1, s8
	s_mul_hi_u32 s7, s0, s8
	s_add_i32 s1, s7, s1
	v_mad_i64_i32 v[0:1], s[6:7], s6, v7, 0
	s_mul_i32 s0, s0, s8
	s_lshl_b64 s[0:1], s[0:1], 2
	s_add_u32 s0, s2, s0
	v_lshlrev_b64 v[0:1], 2, v[0:1]
	s_addc_u32 s1, s3, s1
	v_mov_b32_e32 v4, s1
	v_add_co_u32_e32 v5, vcc, s0, v0
	v_addc_co_u32_e32 v4, vcc, v4, v1, vcc
	v_lshlrev_b64 v[0:1], 2, v[2:3]
	s_load_dword s0, s[4:5], 0x40
	v_add_co_u32_e32 v0, vcc, v5, v0
	v_addc_co_u32_e32 v1, vcc, v4, v1, vcc
	global_load_dword v2, v[0:1], off
	s_waitcnt vmcnt(0) lgkmcnt(0)
	v_mul_f32_e32 v2, s0, v2
	v_fmac_f32_e32 v2, s14, v8
	global_store_dword v[0:1], v2, off
.LBB57_10:
	s_endpgm
	.section	.rodata,"a",@progbits
	.p2align	6, 0x0
	.amdhsa_kernel _ZL32rocblas_syrkx_herkx_small_kernelIifLi16ELb0ELb0ELc67ELc76EKffEviT_T0_PT6_S1_lS4_S1_lS2_PT7_S1_li
		.amdhsa_group_segment_fixed_size 2048
		.amdhsa_private_segment_fixed_size 0
		.amdhsa_kernarg_size 100
		.amdhsa_user_sgpr_count 6
		.amdhsa_user_sgpr_private_segment_buffer 1
		.amdhsa_user_sgpr_dispatch_ptr 0
		.amdhsa_user_sgpr_queue_ptr 0
		.amdhsa_user_sgpr_kernarg_segment_ptr 1
		.amdhsa_user_sgpr_dispatch_id 0
		.amdhsa_user_sgpr_flat_scratch_init 0
		.amdhsa_user_sgpr_private_segment_size 0
		.amdhsa_uses_dynamic_stack 0
		.amdhsa_system_sgpr_private_segment_wavefront_offset 0
		.amdhsa_system_sgpr_workgroup_id_x 1
		.amdhsa_system_sgpr_workgroup_id_y 1
		.amdhsa_system_sgpr_workgroup_id_z 1
		.amdhsa_system_sgpr_workgroup_info 0
		.amdhsa_system_vgpr_workitem_id 1
		.amdhsa_next_free_vgpr 25
		.amdhsa_next_free_sgpr 20
		.amdhsa_reserve_vcc 1
		.amdhsa_reserve_flat_scratch 0
		.amdhsa_float_round_mode_32 0
		.amdhsa_float_round_mode_16_64 0
		.amdhsa_float_denorm_mode_32 3
		.amdhsa_float_denorm_mode_16_64 3
		.amdhsa_dx10_clamp 1
		.amdhsa_ieee_mode 1
		.amdhsa_fp16_overflow 0
		.amdhsa_exception_fp_ieee_invalid_op 0
		.amdhsa_exception_fp_denorm_src 0
		.amdhsa_exception_fp_ieee_div_zero 0
		.amdhsa_exception_fp_ieee_overflow 0
		.amdhsa_exception_fp_ieee_underflow 0
		.amdhsa_exception_fp_ieee_inexact 0
		.amdhsa_exception_int_div_zero 0
	.end_amdhsa_kernel
	.section	.text._ZL32rocblas_syrkx_herkx_small_kernelIifLi16ELb0ELb0ELc67ELc76EKffEviT_T0_PT6_S1_lS4_S1_lS2_PT7_S1_li,"axG",@progbits,_ZL32rocblas_syrkx_herkx_small_kernelIifLi16ELb0ELb0ELc67ELc76EKffEviT_T0_PT6_S1_lS4_S1_lS2_PT7_S1_li,comdat
.Lfunc_end57:
	.size	_ZL32rocblas_syrkx_herkx_small_kernelIifLi16ELb0ELb0ELc67ELc76EKffEviT_T0_PT6_S1_lS4_S1_lS2_PT7_S1_li, .Lfunc_end57-_ZL32rocblas_syrkx_herkx_small_kernelIifLi16ELb0ELb0ELc67ELc76EKffEviT_T0_PT6_S1_lS4_S1_lS2_PT7_S1_li
                                        ; -- End function
	.set _ZL32rocblas_syrkx_herkx_small_kernelIifLi16ELb0ELb0ELc67ELc76EKffEviT_T0_PT6_S1_lS4_S1_lS2_PT7_S1_li.num_vgpr, 25
	.set _ZL32rocblas_syrkx_herkx_small_kernelIifLi16ELb0ELb0ELc67ELc76EKffEviT_T0_PT6_S1_lS4_S1_lS2_PT7_S1_li.num_agpr, 0
	.set _ZL32rocblas_syrkx_herkx_small_kernelIifLi16ELb0ELb0ELc67ELc76EKffEviT_T0_PT6_S1_lS4_S1_lS2_PT7_S1_li.numbered_sgpr, 20
	.set _ZL32rocblas_syrkx_herkx_small_kernelIifLi16ELb0ELb0ELc67ELc76EKffEviT_T0_PT6_S1_lS4_S1_lS2_PT7_S1_li.num_named_barrier, 0
	.set _ZL32rocblas_syrkx_herkx_small_kernelIifLi16ELb0ELb0ELc67ELc76EKffEviT_T0_PT6_S1_lS4_S1_lS2_PT7_S1_li.private_seg_size, 0
	.set _ZL32rocblas_syrkx_herkx_small_kernelIifLi16ELb0ELb0ELc67ELc76EKffEviT_T0_PT6_S1_lS4_S1_lS2_PT7_S1_li.uses_vcc, 1
	.set _ZL32rocblas_syrkx_herkx_small_kernelIifLi16ELb0ELb0ELc67ELc76EKffEviT_T0_PT6_S1_lS4_S1_lS2_PT7_S1_li.uses_flat_scratch, 0
	.set _ZL32rocblas_syrkx_herkx_small_kernelIifLi16ELb0ELb0ELc67ELc76EKffEviT_T0_PT6_S1_lS4_S1_lS2_PT7_S1_li.has_dyn_sized_stack, 0
	.set _ZL32rocblas_syrkx_herkx_small_kernelIifLi16ELb0ELb0ELc67ELc76EKffEviT_T0_PT6_S1_lS4_S1_lS2_PT7_S1_li.has_recursion, 0
	.set _ZL32rocblas_syrkx_herkx_small_kernelIifLi16ELb0ELb0ELc67ELc76EKffEviT_T0_PT6_S1_lS4_S1_lS2_PT7_S1_li.has_indirect_call, 0
	.section	.AMDGPU.csdata,"",@progbits
; Kernel info:
; codeLenInByte = 844
; TotalNumSgprs: 24
; NumVgprs: 25
; ScratchSize: 0
; MemoryBound: 0
; FloatMode: 240
; IeeeMode: 1
; LDSByteSize: 2048 bytes/workgroup (compile time only)
; SGPRBlocks: 2
; VGPRBlocks: 6
; NumSGPRsForWavesPerEU: 24
; NumVGPRsForWavesPerEU: 25
; Occupancy: 9
; WaveLimiterHint : 0
; COMPUTE_PGM_RSRC2:SCRATCH_EN: 0
; COMPUTE_PGM_RSRC2:USER_SGPR: 6
; COMPUTE_PGM_RSRC2:TRAP_HANDLER: 0
; COMPUTE_PGM_RSRC2:TGID_X_EN: 1
; COMPUTE_PGM_RSRC2:TGID_Y_EN: 1
; COMPUTE_PGM_RSRC2:TGID_Z_EN: 1
; COMPUTE_PGM_RSRC2:TIDIG_COMP_CNT: 1
	.section	.text._ZL32rocblas_syrkx_herkx_small_kernelIifLi16ELb0ELb0ELc78ELc76EKffEviT_T0_PT6_S1_lS4_S1_lS2_PT7_S1_li,"axG",@progbits,_ZL32rocblas_syrkx_herkx_small_kernelIifLi16ELb0ELb0ELc78ELc76EKffEviT_T0_PT6_S1_lS4_S1_lS2_PT7_S1_li,comdat
	.globl	_ZL32rocblas_syrkx_herkx_small_kernelIifLi16ELb0ELb0ELc78ELc76EKffEviT_T0_PT6_S1_lS4_S1_lS2_PT7_S1_li ; -- Begin function _ZL32rocblas_syrkx_herkx_small_kernelIifLi16ELb0ELb0ELc78ELc76EKffEviT_T0_PT6_S1_lS4_S1_lS2_PT7_S1_li
	.p2align	8
	.type	_ZL32rocblas_syrkx_herkx_small_kernelIifLi16ELb0ELb0ELc78ELc76EKffEviT_T0_PT6_S1_lS4_S1_lS2_PT7_S1_li,@function
_ZL32rocblas_syrkx_herkx_small_kernelIifLi16ELb0ELb0ELc78ELc76EKffEviT_T0_PT6_S1_lS4_S1_lS2_PT7_S1_li: ; @_ZL32rocblas_syrkx_herkx_small_kernelIifLi16ELb0ELb0ELc78ELc76EKffEviT_T0_PT6_S1_lS4_S1_lS2_PT7_S1_li
; %bb.0:
	s_load_dwordx4 s[12:15], s[4:5], 0x0
	v_lshl_add_u32 v2, s6, 4, v0
	s_mov_b32 s9, 0
	v_lshl_add_u32 v4, s7, 4, v1
	v_ashrrev_i32_e32 v3, 31, v2
	s_waitcnt lgkmcnt(0)
	s_cmp_lt_i32 s13, 1
	v_cmp_gt_i32_e32 vcc, s12, v2
	s_cbranch_scc1 .LBB58_7
; %bb.1:
	s_load_dword s10, s[4:5], 0x18
	s_load_dword s6, s[4:5], 0x30
	s_load_dwordx2 s[20:21], s[4:5], 0x10
	s_load_dwordx4 s[16:19], s[4:5], 0x20
	s_load_dwordx2 s[2:3], s[4:5], 0x38
	v_lshlrev_b32_e32 v5, 6, v1
	s_waitcnt lgkmcnt(0)
	v_mad_i64_i32 v[6:7], s[22:23], s6, v0, 0
	v_lshlrev_b32_e32 v9, 2, v0
	s_mul_i32 s3, s3, s8
	s_mul_hi_u32 s15, s2, s8
	s_add_i32 s3, s15, s3
	s_mul_i32 s2, s2, s8
	v_lshlrev_b64 v[6:7], 2, v[6:7]
	v_add_u32_e32 v10, v9, v5
	v_add_u32_e32 v11, 0x400, v5
	v_ashrrev_i32_e32 v5, 31, v4
	s_lshl_b64 s[2:3], s[2:3], 2
	v_mov_b32_e32 v8, s3
	v_add_co_u32_e64 v13, s[2:3], s2, v6
	v_lshlrev_b64 v[5:6], 2, v[4:5]
	v_addc_co_u32_e64 v7, s[2:3], v8, v7, s[2:3]
	v_add_co_u32_e64 v5, s[2:3], v13, v5
	v_addc_co_u32_e64 v6, s[2:3], v7, v6, s[2:3]
	v_mov_b32_e32 v7, s19
	v_add_co_u32_e64 v5, s[2:3], s18, v5
	v_addc_co_u32_e64 v6, s[2:3], v7, v6, s[2:3]
	v_mad_i64_i32 v[7:8], s[2:3], s10, v1, 0
	s_mul_i32 s15, s17, s8
	s_mul_hi_u32 s17, s16, s8
	s_add_i32 s3, s17, s15
	s_mul_i32 s2, s16, s8
	v_lshlrev_b64 v[7:8], 2, v[7:8]
	s_lshl_b64 s[2:3], s[2:3], 2
	v_mov_b32_e32 v13, s3
	v_add_co_u32_e64 v14, s[2:3], s2, v7
	v_addc_co_u32_e64 v13, s[2:3], v13, v8, s[2:3]
	v_lshlrev_b64 v[7:8], 2, v[2:3]
	s_ashr_i32 s11, s10, 31
	v_add_co_u32_e64 v7, s[2:3], v14, v7
	v_addc_co_u32_e64 v8, s[2:3], v13, v8, s[2:3]
	s_ashr_i32 s7, s6, 31
	v_mov_b32_e32 v13, s21
	v_add_co_u32_e64 v7, s[2:3], s20, v7
	v_cmp_gt_i32_e64 s[0:1], s12, v4
	v_add_u32_e32 v12, v11, v9
	s_lshl_b64 s[6:7], s[6:7], 6
	v_addc_co_u32_e64 v8, s[2:3], v13, v8, s[2:3]
	s_lshl_b64 s[10:11], s[10:11], 6
	v_mov_b32_e32 v13, 0
	s_branch .LBB58_3
.LBB58_2:                               ;   in Loop: Header=BB58_3 Depth=1
	s_or_b64 exec, exec, s[2:3]
	s_waitcnt vmcnt(0)
	ds_write_b32 v12, v14
	s_waitcnt lgkmcnt(0)
	s_barrier
	ds_read2_b32 v[22:23], v9 offset1:16
	ds_read_b128 v[14:17], v11
	ds_read2_b32 v[24:25], v9 offset0:32 offset1:48
	ds_read_b128 v[18:21], v11 offset:16
	v_add_co_u32_e64 v5, s[2:3], s6, v5
	s_waitcnt lgkmcnt(2)
	v_fmac_f32_e32 v13, v22, v14
	v_fmac_f32_e32 v13, v23, v15
	ds_read2_b32 v[22:23], v9 offset0:64 offset1:80
	s_waitcnt lgkmcnt(2)
	v_fmac_f32_e32 v13, v24, v16
	v_fmac_f32_e32 v13, v25, v17
	ds_read2_b32 v[24:25], v9 offset0:96 offset1:112
	ds_read_b128 v[14:17], v11 offset:32
	s_add_i32 s9, s9, 16
	s_waitcnt lgkmcnt(2)
	v_fmac_f32_e32 v13, v22, v18
	v_fmac_f32_e32 v13, v23, v19
	ds_read2_b32 v[22:23], v9 offset0:128 offset1:144
	s_waitcnt lgkmcnt(2)
	v_fmac_f32_e32 v13, v24, v20
	v_fmac_f32_e32 v13, v25, v21
	ds_read2_b32 v[24:25], v9 offset0:160 offset1:176
	ds_read_b128 v[18:21], v11 offset:48
	s_cmp_ge_i32 s9, s13
	s_waitcnt lgkmcnt(2)
	v_fmac_f32_e32 v13, v22, v14
	v_fmac_f32_e32 v13, v23, v15
	ds_read2_b32 v[14:15], v9 offset0:192 offset1:208
	s_waitcnt lgkmcnt(2)
	v_fmac_f32_e32 v13, v24, v16
	v_fmac_f32_e32 v13, v25, v17
	ds_read2_b32 v[16:17], v9 offset0:224 offset1:240
	s_waitcnt lgkmcnt(0)
	v_fmac_f32_e32 v13, v14, v18
	v_mov_b32_e32 v14, s7
	v_fmac_f32_e32 v13, v15, v19
	v_addc_co_u32_e64 v6, s[2:3], v6, v14, s[2:3]
	v_fmac_f32_e32 v13, v16, v20
	v_mov_b32_e32 v14, s11
	v_add_co_u32_e64 v7, s[2:3], s10, v7
	v_fmac_f32_e32 v13, v17, v21
	v_addc_co_u32_e64 v8, s[2:3], v8, v14, s[2:3]
	s_barrier
	s_cbranch_scc1 .LBB58_8
.LBB58_3:                               ; =>This Inner Loop Header: Depth=1
	v_add_u32_e32 v14, s9, v1
	v_cmp_gt_i32_e64 s[2:3], s13, v14
	s_and_b64 s[16:17], vcc, s[2:3]
	v_mov_b32_e32 v14, 0
	s_and_saveexec_b64 s[2:3], s[16:17]
	s_cbranch_execz .LBB58_5
; %bb.4:                                ;   in Loop: Header=BB58_3 Depth=1
	global_load_dword v14, v[7:8], off
.LBB58_5:                               ;   in Loop: Header=BB58_3 Depth=1
	s_or_b64 exec, exec, s[2:3]
	s_waitcnt vmcnt(0)
	ds_write_b32 v10, v14
	v_add_u32_e32 v14, s9, v0
	v_cmp_gt_i32_e64 s[2:3], s13, v14
	s_and_b64 s[16:17], s[0:1], s[2:3]
	v_mov_b32_e32 v14, 0
	s_and_saveexec_b64 s[2:3], s[16:17]
	s_cbranch_execz .LBB58_2
; %bb.6:                                ;   in Loop: Header=BB58_3 Depth=1
	global_load_dword v14, v[5:6], off
	s_branch .LBB58_2
.LBB58_7:
	v_mov_b32_e32 v13, 0
.LBB58_8:
	v_cmp_le_i32_e32 vcc, v4, v2
	v_cmp_gt_i32_e64 s[0:1], s12, v2
	s_and_b64 s[0:1], vcc, s[0:1]
	s_and_saveexec_b64 s[2:3], s[0:1]
	s_cbranch_execz .LBB58_10
; %bb.9:
	s_load_dwordx2 s[0:1], s[4:5], 0x58
	s_load_dwordx2 s[2:3], s[4:5], 0x48
	s_load_dword s6, s[4:5], 0x50
	s_waitcnt lgkmcnt(0)
	s_mul_i32 s1, s1, s8
	s_mul_hi_u32 s7, s0, s8
	s_add_i32 s1, s7, s1
	v_mad_i64_i32 v[0:1], s[6:7], s6, v4, 0
	s_mul_i32 s0, s0, s8
	s_lshl_b64 s[0:1], s[0:1], 2
	s_add_u32 s0, s2, s0
	v_lshlrev_b64 v[0:1], 2, v[0:1]
	s_addc_u32 s1, s3, s1
	v_mov_b32_e32 v4, s1
	v_add_co_u32_e32 v5, vcc, s0, v0
	v_addc_co_u32_e32 v4, vcc, v4, v1, vcc
	v_lshlrev_b64 v[0:1], 2, v[2:3]
	s_load_dword s0, s[4:5], 0x40
	v_add_co_u32_e32 v0, vcc, v5, v0
	v_addc_co_u32_e32 v1, vcc, v4, v1, vcc
	global_load_dword v2, v[0:1], off
	s_waitcnt vmcnt(0) lgkmcnt(0)
	v_mul_f32_e32 v2, s0, v2
	v_fmac_f32_e32 v2, s14, v13
	global_store_dword v[0:1], v2, off
.LBB58_10:
	s_endpgm
	.section	.rodata,"a",@progbits
	.p2align	6, 0x0
	.amdhsa_kernel _ZL32rocblas_syrkx_herkx_small_kernelIifLi16ELb0ELb0ELc78ELc76EKffEviT_T0_PT6_S1_lS4_S1_lS2_PT7_S1_li
		.amdhsa_group_segment_fixed_size 2048
		.amdhsa_private_segment_fixed_size 0
		.amdhsa_kernarg_size 100
		.amdhsa_user_sgpr_count 6
		.amdhsa_user_sgpr_private_segment_buffer 1
		.amdhsa_user_sgpr_dispatch_ptr 0
		.amdhsa_user_sgpr_queue_ptr 0
		.amdhsa_user_sgpr_kernarg_segment_ptr 1
		.amdhsa_user_sgpr_dispatch_id 0
		.amdhsa_user_sgpr_flat_scratch_init 0
		.amdhsa_user_sgpr_private_segment_size 0
		.amdhsa_uses_dynamic_stack 0
		.amdhsa_system_sgpr_private_segment_wavefront_offset 0
		.amdhsa_system_sgpr_workgroup_id_x 1
		.amdhsa_system_sgpr_workgroup_id_y 1
		.amdhsa_system_sgpr_workgroup_id_z 1
		.amdhsa_system_sgpr_workgroup_info 0
		.amdhsa_system_vgpr_workitem_id 1
		.amdhsa_next_free_vgpr 26
		.amdhsa_next_free_sgpr 24
		.amdhsa_reserve_vcc 1
		.amdhsa_reserve_flat_scratch 0
		.amdhsa_float_round_mode_32 0
		.amdhsa_float_round_mode_16_64 0
		.amdhsa_float_denorm_mode_32 3
		.amdhsa_float_denorm_mode_16_64 3
		.amdhsa_dx10_clamp 1
		.amdhsa_ieee_mode 1
		.amdhsa_fp16_overflow 0
		.amdhsa_exception_fp_ieee_invalid_op 0
		.amdhsa_exception_fp_denorm_src 0
		.amdhsa_exception_fp_ieee_div_zero 0
		.amdhsa_exception_fp_ieee_overflow 0
		.amdhsa_exception_fp_ieee_underflow 0
		.amdhsa_exception_fp_ieee_inexact 0
		.amdhsa_exception_int_div_zero 0
	.end_amdhsa_kernel
	.section	.text._ZL32rocblas_syrkx_herkx_small_kernelIifLi16ELb0ELb0ELc78ELc76EKffEviT_T0_PT6_S1_lS4_S1_lS2_PT7_S1_li,"axG",@progbits,_ZL32rocblas_syrkx_herkx_small_kernelIifLi16ELb0ELb0ELc78ELc76EKffEviT_T0_PT6_S1_lS4_S1_lS2_PT7_S1_li,comdat
.Lfunc_end58:
	.size	_ZL32rocblas_syrkx_herkx_small_kernelIifLi16ELb0ELb0ELc78ELc76EKffEviT_T0_PT6_S1_lS4_S1_lS2_PT7_S1_li, .Lfunc_end58-_ZL32rocblas_syrkx_herkx_small_kernelIifLi16ELb0ELb0ELc78ELc76EKffEviT_T0_PT6_S1_lS4_S1_lS2_PT7_S1_li
                                        ; -- End function
	.set _ZL32rocblas_syrkx_herkx_small_kernelIifLi16ELb0ELb0ELc78ELc76EKffEviT_T0_PT6_S1_lS4_S1_lS2_PT7_S1_li.num_vgpr, 26
	.set _ZL32rocblas_syrkx_herkx_small_kernelIifLi16ELb0ELb0ELc78ELc76EKffEviT_T0_PT6_S1_lS4_S1_lS2_PT7_S1_li.num_agpr, 0
	.set _ZL32rocblas_syrkx_herkx_small_kernelIifLi16ELb0ELb0ELc78ELc76EKffEviT_T0_PT6_S1_lS4_S1_lS2_PT7_S1_li.numbered_sgpr, 24
	.set _ZL32rocblas_syrkx_herkx_small_kernelIifLi16ELb0ELb0ELc78ELc76EKffEviT_T0_PT6_S1_lS4_S1_lS2_PT7_S1_li.num_named_barrier, 0
	.set _ZL32rocblas_syrkx_herkx_small_kernelIifLi16ELb0ELb0ELc78ELc76EKffEviT_T0_PT6_S1_lS4_S1_lS2_PT7_S1_li.private_seg_size, 0
	.set _ZL32rocblas_syrkx_herkx_small_kernelIifLi16ELb0ELb0ELc78ELc76EKffEviT_T0_PT6_S1_lS4_S1_lS2_PT7_S1_li.uses_vcc, 1
	.set _ZL32rocblas_syrkx_herkx_small_kernelIifLi16ELb0ELb0ELc78ELc76EKffEviT_T0_PT6_S1_lS4_S1_lS2_PT7_S1_li.uses_flat_scratch, 0
	.set _ZL32rocblas_syrkx_herkx_small_kernelIifLi16ELb0ELb0ELc78ELc76EKffEviT_T0_PT6_S1_lS4_S1_lS2_PT7_S1_li.has_dyn_sized_stack, 0
	.set _ZL32rocblas_syrkx_herkx_small_kernelIifLi16ELb0ELb0ELc78ELc76EKffEviT_T0_PT6_S1_lS4_S1_lS2_PT7_S1_li.has_recursion, 0
	.set _ZL32rocblas_syrkx_herkx_small_kernelIifLi16ELb0ELb0ELc78ELc76EKffEviT_T0_PT6_S1_lS4_S1_lS2_PT7_S1_li.has_indirect_call, 0
	.section	.AMDGPU.csdata,"",@progbits
; Kernel info:
; codeLenInByte = 880
; TotalNumSgprs: 28
; NumVgprs: 26
; ScratchSize: 0
; MemoryBound: 0
; FloatMode: 240
; IeeeMode: 1
; LDSByteSize: 2048 bytes/workgroup (compile time only)
; SGPRBlocks: 3
; VGPRBlocks: 6
; NumSGPRsForWavesPerEU: 28
; NumVGPRsForWavesPerEU: 26
; Occupancy: 9
; WaveLimiterHint : 0
; COMPUTE_PGM_RSRC2:SCRATCH_EN: 0
; COMPUTE_PGM_RSRC2:USER_SGPR: 6
; COMPUTE_PGM_RSRC2:TRAP_HANDLER: 0
; COMPUTE_PGM_RSRC2:TGID_X_EN: 1
; COMPUTE_PGM_RSRC2:TGID_Y_EN: 1
; COMPUTE_PGM_RSRC2:TGID_Z_EN: 1
; COMPUTE_PGM_RSRC2:TIDIG_COMP_CNT: 1
	.section	.text._ZL32rocblas_syrkx_herkx_small_kernelIifLi16ELb0ELb0ELc84ELc85EKffEviT_T0_PT6_S1_lS4_S1_lS2_PT7_S1_li,"axG",@progbits,_ZL32rocblas_syrkx_herkx_small_kernelIifLi16ELb0ELb0ELc84ELc85EKffEviT_T0_PT6_S1_lS4_S1_lS2_PT7_S1_li,comdat
	.globl	_ZL32rocblas_syrkx_herkx_small_kernelIifLi16ELb0ELb0ELc84ELc85EKffEviT_T0_PT6_S1_lS4_S1_lS2_PT7_S1_li ; -- Begin function _ZL32rocblas_syrkx_herkx_small_kernelIifLi16ELb0ELb0ELc84ELc85EKffEviT_T0_PT6_S1_lS4_S1_lS2_PT7_S1_li
	.p2align	8
	.type	_ZL32rocblas_syrkx_herkx_small_kernelIifLi16ELb0ELb0ELc84ELc85EKffEviT_T0_PT6_S1_lS4_S1_lS2_PT7_S1_li,@function
_ZL32rocblas_syrkx_herkx_small_kernelIifLi16ELb0ELb0ELc84ELc85EKffEviT_T0_PT6_S1_lS4_S1_lS2_PT7_S1_li: ; @_ZL32rocblas_syrkx_herkx_small_kernelIifLi16ELb0ELb0ELc84ELc85EKffEviT_T0_PT6_S1_lS4_S1_lS2_PT7_S1_li
; %bb.0:
	s_load_dwordx4 s[12:15], s[4:5], 0x0
	v_lshl_add_u32 v7, s7, 4, v1
	s_mov_b32 s9, 0
	v_lshl_add_u32 v2, s6, 4, v0
	s_waitcnt lgkmcnt(0)
	s_cmp_lt_i32 s13, 1
	v_cmp_gt_i32_e32 vcc, s12, v7
	s_cbranch_scc1 .LBB59_7
; %bb.1:
	s_load_dwordx2 s[6:7], s[4:5], 0x10
	s_load_dword s15, s[4:5], 0x18
	s_load_dwordx4 s[16:19], s[4:5], 0x20
	s_load_dword s10, s[4:5], 0x30
	s_load_dwordx2 s[2:3], s[4:5], 0x38
	v_lshlrev_b32_e32 v5, 6, v1
	v_lshlrev_b32_e32 v9, 2, v0
	v_add_u32_e32 v10, v9, v5
	s_waitcnt lgkmcnt(0)
	v_mad_i64_i32 v[3:4], s[10:11], s10, v7, 0
	s_mul_i32 s3, s3, s8
	s_mul_hi_u32 s10, s2, s8
	v_lshlrev_b64 v[3:4], 2, v[3:4]
	s_add_i32 s3, s10, s3
	s_mul_i32 s2, s2, s8
	s_lshl_b64 s[2:3], s[2:3], 2
	v_add_u32_e32 v11, 0x400, v5
	v_mov_b32_e32 v5, s3
	v_add_co_u32_e64 v3, s[2:3], s2, v3
	v_addc_co_u32_e64 v4, s[2:3], v4, v5, s[2:3]
	v_add_co_u32_e64 v3, s[2:3], v3, v9
	v_addc_co_u32_e64 v4, s[2:3], 0, v4, s[2:3]
	v_mad_i64_i32 v[5:6], s[2:3], s15, v2, 0
	v_mov_b32_e32 v13, s19
	v_add_co_u32_e64 v3, s[2:3], s18, v3
	v_addc_co_u32_e64 v4, s[2:3], v13, v4, s[2:3]
	s_mul_i32 s2, s17, s8
	s_mul_hi_u32 s3, s16, s8
	v_lshlrev_b64 v[5:6], 2, v[5:6]
	s_add_i32 s3, s3, s2
	s_mul_i32 s2, s16, s8
	s_lshl_b64 s[2:3], s[2:3], 2
	v_mov_b32_e32 v13, s3
	v_add_co_u32_e64 v5, s[2:3], s2, v5
	v_addc_co_u32_e64 v6, s[2:3], v6, v13, s[2:3]
	v_lshlrev_b32_e32 v13, 2, v1
	v_add_co_u32_e64 v5, s[2:3], v5, v13
	v_addc_co_u32_e64 v6, s[2:3], 0, v6, s[2:3]
	v_mov_b32_e32 v13, s7
	v_add_co_u32_e64 v5, s[2:3], s6, v5
	v_cmp_gt_i32_e64 s[0:1], s12, v2
	v_add_u32_e32 v12, v11, v9
	v_mov_b32_e32 v8, 0
	v_addc_co_u32_e64 v6, s[2:3], v13, v6, s[2:3]
	s_branch .LBB59_3
.LBB59_2:                               ;   in Loop: Header=BB59_3 Depth=1
	s_or_b64 exec, exec, s[2:3]
	s_waitcnt vmcnt(0)
	ds_write_b32 v12, v13
	s_waitcnt lgkmcnt(0)
	s_barrier
	ds_read2_b32 v[21:22], v9 offset1:16
	ds_read_b128 v[13:16], v11
	ds_read2_b32 v[23:24], v9 offset0:32 offset1:48
	ds_read_b128 v[17:20], v11 offset:16
	v_add_co_u32_e64 v3, s[2:3], 64, v3
	s_waitcnt lgkmcnt(2)
	v_fmac_f32_e32 v8, v21, v13
	v_fmac_f32_e32 v8, v22, v14
	ds_read2_b32 v[21:22], v9 offset0:64 offset1:80
	s_waitcnt lgkmcnt(2)
	v_fmac_f32_e32 v8, v23, v15
	v_fmac_f32_e32 v8, v24, v16
	ds_read2_b32 v[23:24], v9 offset0:96 offset1:112
	ds_read_b128 v[13:16], v11 offset:32
	v_addc_co_u32_e64 v4, s[2:3], 0, v4, s[2:3]
	s_waitcnt lgkmcnt(2)
	v_fmac_f32_e32 v8, v21, v17
	v_fmac_f32_e32 v8, v22, v18
	ds_read2_b32 v[21:22], v9 offset0:128 offset1:144
	s_waitcnt lgkmcnt(2)
	v_fmac_f32_e32 v8, v23, v19
	v_fmac_f32_e32 v8, v24, v20
	ds_read2_b32 v[23:24], v9 offset0:160 offset1:176
	ds_read_b128 v[17:20], v11 offset:48
	s_add_i32 s9, s9, 16
	s_waitcnt lgkmcnt(2)
	v_fmac_f32_e32 v8, v21, v13
	v_fmac_f32_e32 v8, v22, v14
	ds_read2_b32 v[13:14], v9 offset0:192 offset1:208
	s_waitcnt lgkmcnt(2)
	v_fmac_f32_e32 v8, v23, v15
	v_fmac_f32_e32 v8, v24, v16
	ds_read2_b32 v[15:16], v9 offset0:224 offset1:240
	v_add_co_u32_e64 v5, s[2:3], 64, v5
	s_waitcnt lgkmcnt(1)
	v_fmac_f32_e32 v8, v13, v17
	v_fmac_f32_e32 v8, v14, v18
	s_waitcnt lgkmcnt(0)
	v_fmac_f32_e32 v8, v15, v19
	v_fmac_f32_e32 v8, v16, v20
	s_cmp_ge_i32 s9, s13
	v_addc_co_u32_e64 v6, s[2:3], 0, v6, s[2:3]
	s_barrier
	s_cbranch_scc1 .LBB59_8
.LBB59_3:                               ; =>This Inner Loop Header: Depth=1
	v_add_u32_e32 v13, s9, v1
	v_cmp_gt_i32_e64 s[2:3], s13, v13
	s_and_b64 s[6:7], s[0:1], s[2:3]
	v_mov_b32_e32 v13, 0
	s_and_saveexec_b64 s[2:3], s[6:7]
	s_cbranch_execz .LBB59_5
; %bb.4:                                ;   in Loop: Header=BB59_3 Depth=1
	global_load_dword v13, v[5:6], off
.LBB59_5:                               ;   in Loop: Header=BB59_3 Depth=1
	s_or_b64 exec, exec, s[2:3]
	s_waitcnt vmcnt(0)
	ds_write_b32 v10, v13
	v_add_u32_e32 v13, s9, v0
	v_cmp_gt_i32_e64 s[2:3], s13, v13
	s_and_b64 s[6:7], vcc, s[2:3]
	v_mov_b32_e32 v13, 0
	s_and_saveexec_b64 s[2:3], s[6:7]
	s_cbranch_execz .LBB59_2
; %bb.6:                                ;   in Loop: Header=BB59_3 Depth=1
	global_load_dword v13, v[3:4], off
	s_branch .LBB59_2
.LBB59_7:
	v_mov_b32_e32 v8, 0
.LBB59_8:
	v_cmp_le_i32_e32 vcc, v2, v7
	v_cmp_gt_i32_e64 s[0:1], s12, v7
	s_and_b64 s[0:1], vcc, s[0:1]
	s_and_saveexec_b64 s[2:3], s[0:1]
	s_cbranch_execz .LBB59_10
; %bb.9:
	s_load_dwordx2 s[0:1], s[4:5], 0x58
	s_load_dwordx2 s[2:3], s[4:5], 0x48
	s_load_dword s6, s[4:5], 0x50
	v_ashrrev_i32_e32 v3, 31, v2
	s_waitcnt lgkmcnt(0)
	s_mul_i32 s1, s1, s8
	s_mul_hi_u32 s7, s0, s8
	s_add_i32 s1, s7, s1
	v_mad_i64_i32 v[0:1], s[6:7], s6, v7, 0
	s_mul_i32 s0, s0, s8
	s_lshl_b64 s[0:1], s[0:1], 2
	s_add_u32 s0, s2, s0
	v_lshlrev_b64 v[0:1], 2, v[0:1]
	s_addc_u32 s1, s3, s1
	v_mov_b32_e32 v4, s1
	v_add_co_u32_e32 v5, vcc, s0, v0
	v_addc_co_u32_e32 v4, vcc, v4, v1, vcc
	v_lshlrev_b64 v[0:1], 2, v[2:3]
	s_load_dword s0, s[4:5], 0x40
	v_add_co_u32_e32 v0, vcc, v5, v0
	v_addc_co_u32_e32 v1, vcc, v4, v1, vcc
	global_load_dword v2, v[0:1], off
	s_waitcnt vmcnt(0) lgkmcnt(0)
	v_mul_f32_e32 v2, s0, v2
	v_fmac_f32_e32 v2, s14, v8
	global_store_dword v[0:1], v2, off
.LBB59_10:
	s_endpgm
	.section	.rodata,"a",@progbits
	.p2align	6, 0x0
	.amdhsa_kernel _ZL32rocblas_syrkx_herkx_small_kernelIifLi16ELb0ELb0ELc84ELc85EKffEviT_T0_PT6_S1_lS4_S1_lS2_PT7_S1_li
		.amdhsa_group_segment_fixed_size 2048
		.amdhsa_private_segment_fixed_size 0
		.amdhsa_kernarg_size 100
		.amdhsa_user_sgpr_count 6
		.amdhsa_user_sgpr_private_segment_buffer 1
		.amdhsa_user_sgpr_dispatch_ptr 0
		.amdhsa_user_sgpr_queue_ptr 0
		.amdhsa_user_sgpr_kernarg_segment_ptr 1
		.amdhsa_user_sgpr_dispatch_id 0
		.amdhsa_user_sgpr_flat_scratch_init 0
		.amdhsa_user_sgpr_private_segment_size 0
		.amdhsa_uses_dynamic_stack 0
		.amdhsa_system_sgpr_private_segment_wavefront_offset 0
		.amdhsa_system_sgpr_workgroup_id_x 1
		.amdhsa_system_sgpr_workgroup_id_y 1
		.amdhsa_system_sgpr_workgroup_id_z 1
		.amdhsa_system_sgpr_workgroup_info 0
		.amdhsa_system_vgpr_workitem_id 1
		.amdhsa_next_free_vgpr 25
		.amdhsa_next_free_sgpr 20
		.amdhsa_reserve_vcc 1
		.amdhsa_reserve_flat_scratch 0
		.amdhsa_float_round_mode_32 0
		.amdhsa_float_round_mode_16_64 0
		.amdhsa_float_denorm_mode_32 3
		.amdhsa_float_denorm_mode_16_64 3
		.amdhsa_dx10_clamp 1
		.amdhsa_ieee_mode 1
		.amdhsa_fp16_overflow 0
		.amdhsa_exception_fp_ieee_invalid_op 0
		.amdhsa_exception_fp_denorm_src 0
		.amdhsa_exception_fp_ieee_div_zero 0
		.amdhsa_exception_fp_ieee_overflow 0
		.amdhsa_exception_fp_ieee_underflow 0
		.amdhsa_exception_fp_ieee_inexact 0
		.amdhsa_exception_int_div_zero 0
	.end_amdhsa_kernel
	.section	.text._ZL32rocblas_syrkx_herkx_small_kernelIifLi16ELb0ELb0ELc84ELc85EKffEviT_T0_PT6_S1_lS4_S1_lS2_PT7_S1_li,"axG",@progbits,_ZL32rocblas_syrkx_herkx_small_kernelIifLi16ELb0ELb0ELc84ELc85EKffEviT_T0_PT6_S1_lS4_S1_lS2_PT7_S1_li,comdat
.Lfunc_end59:
	.size	_ZL32rocblas_syrkx_herkx_small_kernelIifLi16ELb0ELb0ELc84ELc85EKffEviT_T0_PT6_S1_lS4_S1_lS2_PT7_S1_li, .Lfunc_end59-_ZL32rocblas_syrkx_herkx_small_kernelIifLi16ELb0ELb0ELc84ELc85EKffEviT_T0_PT6_S1_lS4_S1_lS2_PT7_S1_li
                                        ; -- End function
	.set _ZL32rocblas_syrkx_herkx_small_kernelIifLi16ELb0ELb0ELc84ELc85EKffEviT_T0_PT6_S1_lS4_S1_lS2_PT7_S1_li.num_vgpr, 25
	.set _ZL32rocblas_syrkx_herkx_small_kernelIifLi16ELb0ELb0ELc84ELc85EKffEviT_T0_PT6_S1_lS4_S1_lS2_PT7_S1_li.num_agpr, 0
	.set _ZL32rocblas_syrkx_herkx_small_kernelIifLi16ELb0ELb0ELc84ELc85EKffEviT_T0_PT6_S1_lS4_S1_lS2_PT7_S1_li.numbered_sgpr, 20
	.set _ZL32rocblas_syrkx_herkx_small_kernelIifLi16ELb0ELb0ELc84ELc85EKffEviT_T0_PT6_S1_lS4_S1_lS2_PT7_S1_li.num_named_barrier, 0
	.set _ZL32rocblas_syrkx_herkx_small_kernelIifLi16ELb0ELb0ELc84ELc85EKffEviT_T0_PT6_S1_lS4_S1_lS2_PT7_S1_li.private_seg_size, 0
	.set _ZL32rocblas_syrkx_herkx_small_kernelIifLi16ELb0ELb0ELc84ELc85EKffEviT_T0_PT6_S1_lS4_S1_lS2_PT7_S1_li.uses_vcc, 1
	.set _ZL32rocblas_syrkx_herkx_small_kernelIifLi16ELb0ELb0ELc84ELc85EKffEviT_T0_PT6_S1_lS4_S1_lS2_PT7_S1_li.uses_flat_scratch, 0
	.set _ZL32rocblas_syrkx_herkx_small_kernelIifLi16ELb0ELb0ELc84ELc85EKffEviT_T0_PT6_S1_lS4_S1_lS2_PT7_S1_li.has_dyn_sized_stack, 0
	.set _ZL32rocblas_syrkx_herkx_small_kernelIifLi16ELb0ELb0ELc84ELc85EKffEviT_T0_PT6_S1_lS4_S1_lS2_PT7_S1_li.has_recursion, 0
	.set _ZL32rocblas_syrkx_herkx_small_kernelIifLi16ELb0ELb0ELc84ELc85EKffEviT_T0_PT6_S1_lS4_S1_lS2_PT7_S1_li.has_indirect_call, 0
	.section	.AMDGPU.csdata,"",@progbits
; Kernel info:
; codeLenInByte = 844
; TotalNumSgprs: 24
; NumVgprs: 25
; ScratchSize: 0
; MemoryBound: 0
; FloatMode: 240
; IeeeMode: 1
; LDSByteSize: 2048 bytes/workgroup (compile time only)
; SGPRBlocks: 2
; VGPRBlocks: 6
; NumSGPRsForWavesPerEU: 24
; NumVGPRsForWavesPerEU: 25
; Occupancy: 9
; WaveLimiterHint : 0
; COMPUTE_PGM_RSRC2:SCRATCH_EN: 0
; COMPUTE_PGM_RSRC2:USER_SGPR: 6
; COMPUTE_PGM_RSRC2:TRAP_HANDLER: 0
; COMPUTE_PGM_RSRC2:TGID_X_EN: 1
; COMPUTE_PGM_RSRC2:TGID_Y_EN: 1
; COMPUTE_PGM_RSRC2:TGID_Z_EN: 1
; COMPUTE_PGM_RSRC2:TIDIG_COMP_CNT: 1
	.section	.text._ZL32rocblas_syrkx_herkx_small_kernelIifLi16ELb0ELb0ELc67ELc85EKffEviT_T0_PT6_S1_lS4_S1_lS2_PT7_S1_li,"axG",@progbits,_ZL32rocblas_syrkx_herkx_small_kernelIifLi16ELb0ELb0ELc67ELc85EKffEviT_T0_PT6_S1_lS4_S1_lS2_PT7_S1_li,comdat
	.globl	_ZL32rocblas_syrkx_herkx_small_kernelIifLi16ELb0ELb0ELc67ELc85EKffEviT_T0_PT6_S1_lS4_S1_lS2_PT7_S1_li ; -- Begin function _ZL32rocblas_syrkx_herkx_small_kernelIifLi16ELb0ELb0ELc67ELc85EKffEviT_T0_PT6_S1_lS4_S1_lS2_PT7_S1_li
	.p2align	8
	.type	_ZL32rocblas_syrkx_herkx_small_kernelIifLi16ELb0ELb0ELc67ELc85EKffEviT_T0_PT6_S1_lS4_S1_lS2_PT7_S1_li,@function
_ZL32rocblas_syrkx_herkx_small_kernelIifLi16ELb0ELb0ELc67ELc85EKffEviT_T0_PT6_S1_lS4_S1_lS2_PT7_S1_li: ; @_ZL32rocblas_syrkx_herkx_small_kernelIifLi16ELb0ELb0ELc67ELc85EKffEviT_T0_PT6_S1_lS4_S1_lS2_PT7_S1_li
; %bb.0:
	s_load_dwordx4 s[12:15], s[4:5], 0x0
	v_lshl_add_u32 v7, s7, 4, v1
	s_mov_b32 s9, 0
	v_lshl_add_u32 v2, s6, 4, v0
	s_waitcnt lgkmcnt(0)
	s_cmp_lt_i32 s13, 1
	v_cmp_gt_i32_e32 vcc, s12, v7
	s_cbranch_scc1 .LBB60_7
; %bb.1:
	s_load_dwordx2 s[6:7], s[4:5], 0x10
	s_load_dword s15, s[4:5], 0x18
	s_load_dwordx4 s[16:19], s[4:5], 0x20
	s_load_dword s10, s[4:5], 0x30
	s_load_dwordx2 s[2:3], s[4:5], 0x38
	v_lshlrev_b32_e32 v5, 6, v1
	v_lshlrev_b32_e32 v9, 2, v0
	v_add_u32_e32 v10, v9, v5
	s_waitcnt lgkmcnt(0)
	v_mad_i64_i32 v[3:4], s[10:11], s10, v7, 0
	s_mul_i32 s3, s3, s8
	s_mul_hi_u32 s10, s2, s8
	v_lshlrev_b64 v[3:4], 2, v[3:4]
	s_add_i32 s3, s10, s3
	s_mul_i32 s2, s2, s8
	s_lshl_b64 s[2:3], s[2:3], 2
	v_add_u32_e32 v11, 0x400, v5
	v_mov_b32_e32 v5, s3
	v_add_co_u32_e64 v3, s[2:3], s2, v3
	v_addc_co_u32_e64 v4, s[2:3], v4, v5, s[2:3]
	v_add_co_u32_e64 v3, s[2:3], v3, v9
	v_addc_co_u32_e64 v4, s[2:3], 0, v4, s[2:3]
	v_mad_i64_i32 v[5:6], s[2:3], s15, v2, 0
	v_mov_b32_e32 v13, s19
	v_add_co_u32_e64 v3, s[2:3], s18, v3
	v_addc_co_u32_e64 v4, s[2:3], v13, v4, s[2:3]
	s_mul_i32 s2, s17, s8
	s_mul_hi_u32 s3, s16, s8
	v_lshlrev_b64 v[5:6], 2, v[5:6]
	s_add_i32 s3, s3, s2
	s_mul_i32 s2, s16, s8
	s_lshl_b64 s[2:3], s[2:3], 2
	v_mov_b32_e32 v13, s3
	v_add_co_u32_e64 v5, s[2:3], s2, v5
	v_addc_co_u32_e64 v6, s[2:3], v6, v13, s[2:3]
	v_lshlrev_b32_e32 v13, 2, v1
	v_add_co_u32_e64 v5, s[2:3], v5, v13
	v_addc_co_u32_e64 v6, s[2:3], 0, v6, s[2:3]
	v_mov_b32_e32 v13, s7
	v_add_co_u32_e64 v5, s[2:3], s6, v5
	v_cmp_gt_i32_e64 s[0:1], s12, v2
	v_add_u32_e32 v12, v11, v9
	v_mov_b32_e32 v8, 0
	v_addc_co_u32_e64 v6, s[2:3], v13, v6, s[2:3]
	s_branch .LBB60_3
.LBB60_2:                               ;   in Loop: Header=BB60_3 Depth=1
	s_or_b64 exec, exec, s[2:3]
	s_waitcnt vmcnt(0)
	ds_write_b32 v12, v13
	s_waitcnt lgkmcnt(0)
	s_barrier
	ds_read2_b32 v[21:22], v9 offset1:16
	ds_read_b128 v[13:16], v11
	ds_read2_b32 v[23:24], v9 offset0:32 offset1:48
	ds_read_b128 v[17:20], v11 offset:16
	v_add_co_u32_e64 v3, s[2:3], 64, v3
	s_waitcnt lgkmcnt(2)
	v_fmac_f32_e32 v8, v21, v13
	v_fmac_f32_e32 v8, v22, v14
	ds_read2_b32 v[21:22], v9 offset0:64 offset1:80
	s_waitcnt lgkmcnt(2)
	v_fmac_f32_e32 v8, v23, v15
	v_fmac_f32_e32 v8, v24, v16
	ds_read2_b32 v[23:24], v9 offset0:96 offset1:112
	ds_read_b128 v[13:16], v11 offset:32
	v_addc_co_u32_e64 v4, s[2:3], 0, v4, s[2:3]
	s_waitcnt lgkmcnt(2)
	v_fmac_f32_e32 v8, v21, v17
	v_fmac_f32_e32 v8, v22, v18
	ds_read2_b32 v[21:22], v9 offset0:128 offset1:144
	s_waitcnt lgkmcnt(2)
	v_fmac_f32_e32 v8, v23, v19
	v_fmac_f32_e32 v8, v24, v20
	ds_read2_b32 v[23:24], v9 offset0:160 offset1:176
	ds_read_b128 v[17:20], v11 offset:48
	s_add_i32 s9, s9, 16
	s_waitcnt lgkmcnt(2)
	v_fmac_f32_e32 v8, v21, v13
	v_fmac_f32_e32 v8, v22, v14
	ds_read2_b32 v[13:14], v9 offset0:192 offset1:208
	s_waitcnt lgkmcnt(2)
	v_fmac_f32_e32 v8, v23, v15
	v_fmac_f32_e32 v8, v24, v16
	ds_read2_b32 v[15:16], v9 offset0:224 offset1:240
	v_add_co_u32_e64 v5, s[2:3], 64, v5
	s_waitcnt lgkmcnt(1)
	v_fmac_f32_e32 v8, v13, v17
	v_fmac_f32_e32 v8, v14, v18
	s_waitcnt lgkmcnt(0)
	v_fmac_f32_e32 v8, v15, v19
	v_fmac_f32_e32 v8, v16, v20
	s_cmp_ge_i32 s9, s13
	v_addc_co_u32_e64 v6, s[2:3], 0, v6, s[2:3]
	s_barrier
	s_cbranch_scc1 .LBB60_8
.LBB60_3:                               ; =>This Inner Loop Header: Depth=1
	v_add_u32_e32 v13, s9, v1
	v_cmp_gt_i32_e64 s[2:3], s13, v13
	s_and_b64 s[6:7], s[0:1], s[2:3]
	v_mov_b32_e32 v13, 0
	s_and_saveexec_b64 s[2:3], s[6:7]
	s_cbranch_execz .LBB60_5
; %bb.4:                                ;   in Loop: Header=BB60_3 Depth=1
	global_load_dword v13, v[5:6], off
.LBB60_5:                               ;   in Loop: Header=BB60_3 Depth=1
	s_or_b64 exec, exec, s[2:3]
	s_waitcnt vmcnt(0)
	ds_write_b32 v10, v13
	v_add_u32_e32 v13, s9, v0
	v_cmp_gt_i32_e64 s[2:3], s13, v13
	s_and_b64 s[6:7], vcc, s[2:3]
	v_mov_b32_e32 v13, 0
	s_and_saveexec_b64 s[2:3], s[6:7]
	s_cbranch_execz .LBB60_2
; %bb.6:                                ;   in Loop: Header=BB60_3 Depth=1
	global_load_dword v13, v[3:4], off
	s_branch .LBB60_2
.LBB60_7:
	v_mov_b32_e32 v8, 0
.LBB60_8:
	v_cmp_le_i32_e32 vcc, v2, v7
	v_cmp_gt_i32_e64 s[0:1], s12, v7
	s_and_b64 s[0:1], vcc, s[0:1]
	s_and_saveexec_b64 s[2:3], s[0:1]
	s_cbranch_execz .LBB60_10
; %bb.9:
	s_load_dwordx2 s[0:1], s[4:5], 0x58
	s_load_dwordx2 s[2:3], s[4:5], 0x48
	s_load_dword s6, s[4:5], 0x50
	v_ashrrev_i32_e32 v3, 31, v2
	s_waitcnt lgkmcnt(0)
	s_mul_i32 s1, s1, s8
	s_mul_hi_u32 s7, s0, s8
	s_add_i32 s1, s7, s1
	v_mad_i64_i32 v[0:1], s[6:7], s6, v7, 0
	s_mul_i32 s0, s0, s8
	s_lshl_b64 s[0:1], s[0:1], 2
	s_add_u32 s0, s2, s0
	v_lshlrev_b64 v[0:1], 2, v[0:1]
	s_addc_u32 s1, s3, s1
	v_mov_b32_e32 v4, s1
	v_add_co_u32_e32 v5, vcc, s0, v0
	v_addc_co_u32_e32 v4, vcc, v4, v1, vcc
	v_lshlrev_b64 v[0:1], 2, v[2:3]
	s_load_dword s0, s[4:5], 0x40
	v_add_co_u32_e32 v0, vcc, v5, v0
	v_addc_co_u32_e32 v1, vcc, v4, v1, vcc
	global_load_dword v2, v[0:1], off
	s_waitcnt vmcnt(0) lgkmcnt(0)
	v_mul_f32_e32 v2, s0, v2
	v_fmac_f32_e32 v2, s14, v8
	global_store_dword v[0:1], v2, off
.LBB60_10:
	s_endpgm
	.section	.rodata,"a",@progbits
	.p2align	6, 0x0
	.amdhsa_kernel _ZL32rocblas_syrkx_herkx_small_kernelIifLi16ELb0ELb0ELc67ELc85EKffEviT_T0_PT6_S1_lS4_S1_lS2_PT7_S1_li
		.amdhsa_group_segment_fixed_size 2048
		.amdhsa_private_segment_fixed_size 0
		.amdhsa_kernarg_size 100
		.amdhsa_user_sgpr_count 6
		.amdhsa_user_sgpr_private_segment_buffer 1
		.amdhsa_user_sgpr_dispatch_ptr 0
		.amdhsa_user_sgpr_queue_ptr 0
		.amdhsa_user_sgpr_kernarg_segment_ptr 1
		.amdhsa_user_sgpr_dispatch_id 0
		.amdhsa_user_sgpr_flat_scratch_init 0
		.amdhsa_user_sgpr_private_segment_size 0
		.amdhsa_uses_dynamic_stack 0
		.amdhsa_system_sgpr_private_segment_wavefront_offset 0
		.amdhsa_system_sgpr_workgroup_id_x 1
		.amdhsa_system_sgpr_workgroup_id_y 1
		.amdhsa_system_sgpr_workgroup_id_z 1
		.amdhsa_system_sgpr_workgroup_info 0
		.amdhsa_system_vgpr_workitem_id 1
		.amdhsa_next_free_vgpr 25
		.amdhsa_next_free_sgpr 20
		.amdhsa_reserve_vcc 1
		.amdhsa_reserve_flat_scratch 0
		.amdhsa_float_round_mode_32 0
		.amdhsa_float_round_mode_16_64 0
		.amdhsa_float_denorm_mode_32 3
		.amdhsa_float_denorm_mode_16_64 3
		.amdhsa_dx10_clamp 1
		.amdhsa_ieee_mode 1
		.amdhsa_fp16_overflow 0
		.amdhsa_exception_fp_ieee_invalid_op 0
		.amdhsa_exception_fp_denorm_src 0
		.amdhsa_exception_fp_ieee_div_zero 0
		.amdhsa_exception_fp_ieee_overflow 0
		.amdhsa_exception_fp_ieee_underflow 0
		.amdhsa_exception_fp_ieee_inexact 0
		.amdhsa_exception_int_div_zero 0
	.end_amdhsa_kernel
	.section	.text._ZL32rocblas_syrkx_herkx_small_kernelIifLi16ELb0ELb0ELc67ELc85EKffEviT_T0_PT6_S1_lS4_S1_lS2_PT7_S1_li,"axG",@progbits,_ZL32rocblas_syrkx_herkx_small_kernelIifLi16ELb0ELb0ELc67ELc85EKffEviT_T0_PT6_S1_lS4_S1_lS2_PT7_S1_li,comdat
.Lfunc_end60:
	.size	_ZL32rocblas_syrkx_herkx_small_kernelIifLi16ELb0ELb0ELc67ELc85EKffEviT_T0_PT6_S1_lS4_S1_lS2_PT7_S1_li, .Lfunc_end60-_ZL32rocblas_syrkx_herkx_small_kernelIifLi16ELb0ELb0ELc67ELc85EKffEviT_T0_PT6_S1_lS4_S1_lS2_PT7_S1_li
                                        ; -- End function
	.set _ZL32rocblas_syrkx_herkx_small_kernelIifLi16ELb0ELb0ELc67ELc85EKffEviT_T0_PT6_S1_lS4_S1_lS2_PT7_S1_li.num_vgpr, 25
	.set _ZL32rocblas_syrkx_herkx_small_kernelIifLi16ELb0ELb0ELc67ELc85EKffEviT_T0_PT6_S1_lS4_S1_lS2_PT7_S1_li.num_agpr, 0
	.set _ZL32rocblas_syrkx_herkx_small_kernelIifLi16ELb0ELb0ELc67ELc85EKffEviT_T0_PT6_S1_lS4_S1_lS2_PT7_S1_li.numbered_sgpr, 20
	.set _ZL32rocblas_syrkx_herkx_small_kernelIifLi16ELb0ELb0ELc67ELc85EKffEviT_T0_PT6_S1_lS4_S1_lS2_PT7_S1_li.num_named_barrier, 0
	.set _ZL32rocblas_syrkx_herkx_small_kernelIifLi16ELb0ELb0ELc67ELc85EKffEviT_T0_PT6_S1_lS4_S1_lS2_PT7_S1_li.private_seg_size, 0
	.set _ZL32rocblas_syrkx_herkx_small_kernelIifLi16ELb0ELb0ELc67ELc85EKffEviT_T0_PT6_S1_lS4_S1_lS2_PT7_S1_li.uses_vcc, 1
	.set _ZL32rocblas_syrkx_herkx_small_kernelIifLi16ELb0ELb0ELc67ELc85EKffEviT_T0_PT6_S1_lS4_S1_lS2_PT7_S1_li.uses_flat_scratch, 0
	.set _ZL32rocblas_syrkx_herkx_small_kernelIifLi16ELb0ELb0ELc67ELc85EKffEviT_T0_PT6_S1_lS4_S1_lS2_PT7_S1_li.has_dyn_sized_stack, 0
	.set _ZL32rocblas_syrkx_herkx_small_kernelIifLi16ELb0ELb0ELc67ELc85EKffEviT_T0_PT6_S1_lS4_S1_lS2_PT7_S1_li.has_recursion, 0
	.set _ZL32rocblas_syrkx_herkx_small_kernelIifLi16ELb0ELb0ELc67ELc85EKffEviT_T0_PT6_S1_lS4_S1_lS2_PT7_S1_li.has_indirect_call, 0
	.section	.AMDGPU.csdata,"",@progbits
; Kernel info:
; codeLenInByte = 844
; TotalNumSgprs: 24
; NumVgprs: 25
; ScratchSize: 0
; MemoryBound: 0
; FloatMode: 240
; IeeeMode: 1
; LDSByteSize: 2048 bytes/workgroup (compile time only)
; SGPRBlocks: 2
; VGPRBlocks: 6
; NumSGPRsForWavesPerEU: 24
; NumVGPRsForWavesPerEU: 25
; Occupancy: 9
; WaveLimiterHint : 0
; COMPUTE_PGM_RSRC2:SCRATCH_EN: 0
; COMPUTE_PGM_RSRC2:USER_SGPR: 6
; COMPUTE_PGM_RSRC2:TRAP_HANDLER: 0
; COMPUTE_PGM_RSRC2:TGID_X_EN: 1
; COMPUTE_PGM_RSRC2:TGID_Y_EN: 1
; COMPUTE_PGM_RSRC2:TGID_Z_EN: 1
; COMPUTE_PGM_RSRC2:TIDIG_COMP_CNT: 1
	.section	.text._ZL32rocblas_syrkx_herkx_small_kernelIifLi16ELb0ELb0ELc78ELc85EKffEviT_T0_PT6_S1_lS4_S1_lS2_PT7_S1_li,"axG",@progbits,_ZL32rocblas_syrkx_herkx_small_kernelIifLi16ELb0ELb0ELc78ELc85EKffEviT_T0_PT6_S1_lS4_S1_lS2_PT7_S1_li,comdat
	.globl	_ZL32rocblas_syrkx_herkx_small_kernelIifLi16ELb0ELb0ELc78ELc85EKffEviT_T0_PT6_S1_lS4_S1_lS2_PT7_S1_li ; -- Begin function _ZL32rocblas_syrkx_herkx_small_kernelIifLi16ELb0ELb0ELc78ELc85EKffEviT_T0_PT6_S1_lS4_S1_lS2_PT7_S1_li
	.p2align	8
	.type	_ZL32rocblas_syrkx_herkx_small_kernelIifLi16ELb0ELb0ELc78ELc85EKffEviT_T0_PT6_S1_lS4_S1_lS2_PT7_S1_li,@function
_ZL32rocblas_syrkx_herkx_small_kernelIifLi16ELb0ELb0ELc78ELc85EKffEviT_T0_PT6_S1_lS4_S1_lS2_PT7_S1_li: ; @_ZL32rocblas_syrkx_herkx_small_kernelIifLi16ELb0ELb0ELc78ELc85EKffEviT_T0_PT6_S1_lS4_S1_lS2_PT7_S1_li
; %bb.0:
	s_load_dwordx4 s[12:15], s[4:5], 0x0
	v_lshl_add_u32 v2, s6, 4, v0
	v_lshl_add_u32 v4, s7, 4, v1
	s_mov_b32 s9, 0
	v_ashrrev_i32_e32 v3, 31, v2
	s_waitcnt lgkmcnt(0)
	s_cmp_lt_i32 s13, 1
	v_cmp_gt_i32_e32 vcc, s12, v4
	s_cbranch_scc1 .LBB61_7
; %bb.1:
	s_load_dword s10, s[4:5], 0x18
	s_load_dword s6, s[4:5], 0x30
	s_load_dwordx2 s[20:21], s[4:5], 0x10
	s_load_dwordx4 s[16:19], s[4:5], 0x20
	s_load_dwordx2 s[2:3], s[4:5], 0x38
	v_lshlrev_b32_e32 v5, 6, v1
	s_waitcnt lgkmcnt(0)
	v_mad_i64_i32 v[6:7], s[22:23], s6, v0, 0
	v_lshlrev_b32_e32 v9, 2, v0
	s_mul_i32 s3, s3, s8
	s_mul_hi_u32 s15, s2, s8
	s_add_i32 s3, s15, s3
	s_mul_i32 s2, s2, s8
	v_lshlrev_b64 v[6:7], 2, v[6:7]
	v_add_u32_e32 v10, v9, v5
	v_add_u32_e32 v11, 0x400, v5
	v_ashrrev_i32_e32 v5, 31, v4
	s_lshl_b64 s[2:3], s[2:3], 2
	v_mov_b32_e32 v8, s3
	v_add_co_u32_e64 v13, s[2:3], s2, v6
	v_lshlrev_b64 v[5:6], 2, v[4:5]
	v_addc_co_u32_e64 v7, s[2:3], v8, v7, s[2:3]
	v_add_co_u32_e64 v5, s[2:3], v13, v5
	v_addc_co_u32_e64 v6, s[2:3], v7, v6, s[2:3]
	v_mov_b32_e32 v7, s19
	v_add_co_u32_e64 v5, s[2:3], s18, v5
	v_addc_co_u32_e64 v6, s[2:3], v7, v6, s[2:3]
	v_mad_i64_i32 v[7:8], s[2:3], s10, v1, 0
	s_mul_i32 s15, s17, s8
	s_mul_hi_u32 s17, s16, s8
	s_add_i32 s3, s17, s15
	s_mul_i32 s2, s16, s8
	v_lshlrev_b64 v[7:8], 2, v[7:8]
	s_lshl_b64 s[2:3], s[2:3], 2
	v_mov_b32_e32 v13, s3
	v_add_co_u32_e64 v14, s[2:3], s2, v7
	v_addc_co_u32_e64 v13, s[2:3], v13, v8, s[2:3]
	v_lshlrev_b64 v[7:8], 2, v[2:3]
	s_ashr_i32 s11, s10, 31
	v_add_co_u32_e64 v7, s[2:3], v14, v7
	v_addc_co_u32_e64 v8, s[2:3], v13, v8, s[2:3]
	s_ashr_i32 s7, s6, 31
	v_mov_b32_e32 v13, s21
	v_add_co_u32_e64 v7, s[2:3], s20, v7
	v_cmp_gt_i32_e64 s[0:1], s12, v2
	v_add_u32_e32 v12, v11, v9
	s_lshl_b64 s[6:7], s[6:7], 6
	v_addc_co_u32_e64 v8, s[2:3], v13, v8, s[2:3]
	s_lshl_b64 s[10:11], s[10:11], 6
	v_mov_b32_e32 v13, 0
	s_branch .LBB61_3
.LBB61_2:                               ;   in Loop: Header=BB61_3 Depth=1
	s_or_b64 exec, exec, s[2:3]
	s_waitcnt vmcnt(0)
	ds_write_b32 v12, v14
	s_waitcnt lgkmcnt(0)
	s_barrier
	ds_read2_b32 v[22:23], v9 offset1:16
	ds_read_b128 v[14:17], v11
	ds_read2_b32 v[24:25], v9 offset0:32 offset1:48
	ds_read_b128 v[18:21], v11 offset:16
	v_add_co_u32_e64 v5, s[2:3], s6, v5
	s_waitcnt lgkmcnt(2)
	v_fmac_f32_e32 v13, v22, v14
	v_fmac_f32_e32 v13, v23, v15
	ds_read2_b32 v[22:23], v9 offset0:64 offset1:80
	s_waitcnt lgkmcnt(2)
	v_fmac_f32_e32 v13, v24, v16
	v_fmac_f32_e32 v13, v25, v17
	ds_read2_b32 v[24:25], v9 offset0:96 offset1:112
	ds_read_b128 v[14:17], v11 offset:32
	s_add_i32 s9, s9, 16
	s_waitcnt lgkmcnt(2)
	v_fmac_f32_e32 v13, v22, v18
	v_fmac_f32_e32 v13, v23, v19
	ds_read2_b32 v[22:23], v9 offset0:128 offset1:144
	s_waitcnt lgkmcnt(2)
	v_fmac_f32_e32 v13, v24, v20
	v_fmac_f32_e32 v13, v25, v21
	ds_read2_b32 v[24:25], v9 offset0:160 offset1:176
	ds_read_b128 v[18:21], v11 offset:48
	s_cmp_ge_i32 s9, s13
	s_waitcnt lgkmcnt(2)
	v_fmac_f32_e32 v13, v22, v14
	v_fmac_f32_e32 v13, v23, v15
	ds_read2_b32 v[14:15], v9 offset0:192 offset1:208
	s_waitcnt lgkmcnt(2)
	v_fmac_f32_e32 v13, v24, v16
	v_fmac_f32_e32 v13, v25, v17
	ds_read2_b32 v[16:17], v9 offset0:224 offset1:240
	s_waitcnt lgkmcnt(0)
	v_fmac_f32_e32 v13, v14, v18
	v_mov_b32_e32 v14, s7
	v_fmac_f32_e32 v13, v15, v19
	v_addc_co_u32_e64 v6, s[2:3], v6, v14, s[2:3]
	v_fmac_f32_e32 v13, v16, v20
	v_mov_b32_e32 v14, s11
	v_add_co_u32_e64 v7, s[2:3], s10, v7
	v_fmac_f32_e32 v13, v17, v21
	v_addc_co_u32_e64 v8, s[2:3], v8, v14, s[2:3]
	s_barrier
	s_cbranch_scc1 .LBB61_8
.LBB61_3:                               ; =>This Inner Loop Header: Depth=1
	v_add_u32_e32 v14, s9, v1
	v_cmp_gt_i32_e64 s[2:3], s13, v14
	s_and_b64 s[16:17], s[0:1], s[2:3]
	v_mov_b32_e32 v14, 0
	s_and_saveexec_b64 s[2:3], s[16:17]
	s_cbranch_execz .LBB61_5
; %bb.4:                                ;   in Loop: Header=BB61_3 Depth=1
	global_load_dword v14, v[7:8], off
.LBB61_5:                               ;   in Loop: Header=BB61_3 Depth=1
	s_or_b64 exec, exec, s[2:3]
	s_waitcnt vmcnt(0)
	ds_write_b32 v10, v14
	v_add_u32_e32 v14, s9, v0
	v_cmp_gt_i32_e64 s[2:3], s13, v14
	s_and_b64 s[16:17], vcc, s[2:3]
	v_mov_b32_e32 v14, 0
	s_and_saveexec_b64 s[2:3], s[16:17]
	s_cbranch_execz .LBB61_2
; %bb.6:                                ;   in Loop: Header=BB61_3 Depth=1
	global_load_dword v14, v[5:6], off
	s_branch .LBB61_2
.LBB61_7:
	v_mov_b32_e32 v13, 0
.LBB61_8:
	v_cmp_le_i32_e32 vcc, v2, v4
	v_cmp_gt_i32_e64 s[0:1], s12, v4
	s_and_b64 s[0:1], vcc, s[0:1]
	s_and_saveexec_b64 s[2:3], s[0:1]
	s_cbranch_execz .LBB61_10
; %bb.9:
	s_load_dwordx2 s[0:1], s[4:5], 0x58
	s_load_dwordx2 s[2:3], s[4:5], 0x48
	s_load_dword s6, s[4:5], 0x50
	s_waitcnt lgkmcnt(0)
	s_mul_i32 s1, s1, s8
	s_mul_hi_u32 s7, s0, s8
	s_add_i32 s1, s7, s1
	v_mad_i64_i32 v[0:1], s[6:7], s6, v4, 0
	s_mul_i32 s0, s0, s8
	s_lshl_b64 s[0:1], s[0:1], 2
	s_add_u32 s0, s2, s0
	v_lshlrev_b64 v[0:1], 2, v[0:1]
	s_addc_u32 s1, s3, s1
	v_mov_b32_e32 v4, s1
	v_add_co_u32_e32 v5, vcc, s0, v0
	v_addc_co_u32_e32 v4, vcc, v4, v1, vcc
	v_lshlrev_b64 v[0:1], 2, v[2:3]
	s_load_dword s0, s[4:5], 0x40
	v_add_co_u32_e32 v0, vcc, v5, v0
	v_addc_co_u32_e32 v1, vcc, v4, v1, vcc
	global_load_dword v2, v[0:1], off
	s_waitcnt vmcnt(0) lgkmcnt(0)
	v_mul_f32_e32 v2, s0, v2
	v_fmac_f32_e32 v2, s14, v13
	global_store_dword v[0:1], v2, off
.LBB61_10:
	s_endpgm
	.section	.rodata,"a",@progbits
	.p2align	6, 0x0
	.amdhsa_kernel _ZL32rocblas_syrkx_herkx_small_kernelIifLi16ELb0ELb0ELc78ELc85EKffEviT_T0_PT6_S1_lS4_S1_lS2_PT7_S1_li
		.amdhsa_group_segment_fixed_size 2048
		.amdhsa_private_segment_fixed_size 0
		.amdhsa_kernarg_size 100
		.amdhsa_user_sgpr_count 6
		.amdhsa_user_sgpr_private_segment_buffer 1
		.amdhsa_user_sgpr_dispatch_ptr 0
		.amdhsa_user_sgpr_queue_ptr 0
		.amdhsa_user_sgpr_kernarg_segment_ptr 1
		.amdhsa_user_sgpr_dispatch_id 0
		.amdhsa_user_sgpr_flat_scratch_init 0
		.amdhsa_user_sgpr_private_segment_size 0
		.amdhsa_uses_dynamic_stack 0
		.amdhsa_system_sgpr_private_segment_wavefront_offset 0
		.amdhsa_system_sgpr_workgroup_id_x 1
		.amdhsa_system_sgpr_workgroup_id_y 1
		.amdhsa_system_sgpr_workgroup_id_z 1
		.amdhsa_system_sgpr_workgroup_info 0
		.amdhsa_system_vgpr_workitem_id 1
		.amdhsa_next_free_vgpr 26
		.amdhsa_next_free_sgpr 24
		.amdhsa_reserve_vcc 1
		.amdhsa_reserve_flat_scratch 0
		.amdhsa_float_round_mode_32 0
		.amdhsa_float_round_mode_16_64 0
		.amdhsa_float_denorm_mode_32 3
		.amdhsa_float_denorm_mode_16_64 3
		.amdhsa_dx10_clamp 1
		.amdhsa_ieee_mode 1
		.amdhsa_fp16_overflow 0
		.amdhsa_exception_fp_ieee_invalid_op 0
		.amdhsa_exception_fp_denorm_src 0
		.amdhsa_exception_fp_ieee_div_zero 0
		.amdhsa_exception_fp_ieee_overflow 0
		.amdhsa_exception_fp_ieee_underflow 0
		.amdhsa_exception_fp_ieee_inexact 0
		.amdhsa_exception_int_div_zero 0
	.end_amdhsa_kernel
	.section	.text._ZL32rocblas_syrkx_herkx_small_kernelIifLi16ELb0ELb0ELc78ELc85EKffEviT_T0_PT6_S1_lS4_S1_lS2_PT7_S1_li,"axG",@progbits,_ZL32rocblas_syrkx_herkx_small_kernelIifLi16ELb0ELb0ELc78ELc85EKffEviT_T0_PT6_S1_lS4_S1_lS2_PT7_S1_li,comdat
.Lfunc_end61:
	.size	_ZL32rocblas_syrkx_herkx_small_kernelIifLi16ELb0ELb0ELc78ELc85EKffEviT_T0_PT6_S1_lS4_S1_lS2_PT7_S1_li, .Lfunc_end61-_ZL32rocblas_syrkx_herkx_small_kernelIifLi16ELb0ELb0ELc78ELc85EKffEviT_T0_PT6_S1_lS4_S1_lS2_PT7_S1_li
                                        ; -- End function
	.set _ZL32rocblas_syrkx_herkx_small_kernelIifLi16ELb0ELb0ELc78ELc85EKffEviT_T0_PT6_S1_lS4_S1_lS2_PT7_S1_li.num_vgpr, 26
	.set _ZL32rocblas_syrkx_herkx_small_kernelIifLi16ELb0ELb0ELc78ELc85EKffEviT_T0_PT6_S1_lS4_S1_lS2_PT7_S1_li.num_agpr, 0
	.set _ZL32rocblas_syrkx_herkx_small_kernelIifLi16ELb0ELb0ELc78ELc85EKffEviT_T0_PT6_S1_lS4_S1_lS2_PT7_S1_li.numbered_sgpr, 24
	.set _ZL32rocblas_syrkx_herkx_small_kernelIifLi16ELb0ELb0ELc78ELc85EKffEviT_T0_PT6_S1_lS4_S1_lS2_PT7_S1_li.num_named_barrier, 0
	.set _ZL32rocblas_syrkx_herkx_small_kernelIifLi16ELb0ELb0ELc78ELc85EKffEviT_T0_PT6_S1_lS4_S1_lS2_PT7_S1_li.private_seg_size, 0
	.set _ZL32rocblas_syrkx_herkx_small_kernelIifLi16ELb0ELb0ELc78ELc85EKffEviT_T0_PT6_S1_lS4_S1_lS2_PT7_S1_li.uses_vcc, 1
	.set _ZL32rocblas_syrkx_herkx_small_kernelIifLi16ELb0ELb0ELc78ELc85EKffEviT_T0_PT6_S1_lS4_S1_lS2_PT7_S1_li.uses_flat_scratch, 0
	.set _ZL32rocblas_syrkx_herkx_small_kernelIifLi16ELb0ELb0ELc78ELc85EKffEviT_T0_PT6_S1_lS4_S1_lS2_PT7_S1_li.has_dyn_sized_stack, 0
	.set _ZL32rocblas_syrkx_herkx_small_kernelIifLi16ELb0ELb0ELc78ELc85EKffEviT_T0_PT6_S1_lS4_S1_lS2_PT7_S1_li.has_recursion, 0
	.set _ZL32rocblas_syrkx_herkx_small_kernelIifLi16ELb0ELb0ELc78ELc85EKffEviT_T0_PT6_S1_lS4_S1_lS2_PT7_S1_li.has_indirect_call, 0
	.section	.AMDGPU.csdata,"",@progbits
; Kernel info:
; codeLenInByte = 880
; TotalNumSgprs: 28
; NumVgprs: 26
; ScratchSize: 0
; MemoryBound: 0
; FloatMode: 240
; IeeeMode: 1
; LDSByteSize: 2048 bytes/workgroup (compile time only)
; SGPRBlocks: 3
; VGPRBlocks: 6
; NumSGPRsForWavesPerEU: 28
; NumVGPRsForWavesPerEU: 26
; Occupancy: 9
; WaveLimiterHint : 0
; COMPUTE_PGM_RSRC2:SCRATCH_EN: 0
; COMPUTE_PGM_RSRC2:USER_SGPR: 6
; COMPUTE_PGM_RSRC2:TRAP_HANDLER: 0
; COMPUTE_PGM_RSRC2:TGID_X_EN: 1
; COMPUTE_PGM_RSRC2:TGID_Y_EN: 1
; COMPUTE_PGM_RSRC2:TGID_Z_EN: 1
; COMPUTE_PGM_RSRC2:TIDIG_COMP_CNT: 1
	.section	.text._ZL34rocblas_syrkx_herkx_general_kernelIifLi16ELi32ELi8ELb1ELb0ELc84ELc76EKffEviT_T0_PT8_S1_lS4_S1_lS2_PT9_S1_li,"axG",@progbits,_ZL34rocblas_syrkx_herkx_general_kernelIifLi16ELi32ELi8ELb1ELb0ELc84ELc76EKffEviT_T0_PT8_S1_lS4_S1_lS2_PT9_S1_li,comdat
	.globl	_ZL34rocblas_syrkx_herkx_general_kernelIifLi16ELi32ELi8ELb1ELb0ELc84ELc76EKffEviT_T0_PT8_S1_lS4_S1_lS2_PT9_S1_li ; -- Begin function _ZL34rocblas_syrkx_herkx_general_kernelIifLi16ELi32ELi8ELb1ELb0ELc84ELc76EKffEviT_T0_PT8_S1_lS4_S1_lS2_PT9_S1_li
	.p2align	8
	.type	_ZL34rocblas_syrkx_herkx_general_kernelIifLi16ELi32ELi8ELb1ELb0ELc84ELc76EKffEviT_T0_PT8_S1_lS4_S1_lS2_PT9_S1_li,@function
_ZL34rocblas_syrkx_herkx_general_kernelIifLi16ELi32ELi8ELb1ELb0ELc84ELc76EKffEviT_T0_PT8_S1_lS4_S1_lS2_PT9_S1_li: ; @_ZL34rocblas_syrkx_herkx_general_kernelIifLi16ELi32ELi8ELb1ELb0ELc84ELc76EKffEviT_T0_PT8_S1_lS4_S1_lS2_PT9_S1_li
; %bb.0:
	s_load_dwordx4 s[12:15], s[4:5], 0x0
	s_lshl_b32 s6, s6, 5
	s_lshl_b32 s7, s7, 5
	s_mov_b32 s9, 0
	s_waitcnt lgkmcnt(0)
	s_cmp_lt_i32 s13, 1
	s_cbranch_scc1 .LBB62_7
; %bb.1:
	v_lshl_add_u32 v2, v1, 4, v0
	v_and_b32_e32 v9, 7, v0
	v_lshrrev_b32_e32 v10, 5, v2
	v_lshrrev_b32_e32 v3, 3, v2
	v_and_b32_e32 v2, 31, v2
	s_load_dwordx2 s[10:11], s[4:5], 0x10
	s_load_dword s2, s[4:5], 0x18
	s_load_dwordx4 s[16:19], s[4:5], 0x20
	s_load_dword s15, s[4:5], 0x30
	s_load_dwordx2 s[20:21], s[4:5], 0x38
	v_or_b32_e32 v5, s6, v2
	v_lshlrev_b32_e32 v7, 2, v9
	v_add_u32_e32 v4, s7, v3
	v_cmp_gt_i32_e32 vcc, s12, v5
	v_lshlrev_b32_e32 v5, 2, v2
	v_lshl_or_b32 v3, v3, 5, v7
	v_add_u32_e32 v2, s6, v2
	v_add_u32_e32 v12, 0x400, v3
	s_waitcnt lgkmcnt(0)
	v_mad_i64_i32 v[2:3], s[2:3], s2, v2, 0
	s_mul_i32 s2, s17, s8
	s_mul_hi_u32 s3, s16, s8
	v_lshlrev_b64 v[2:3], 2, v[2:3]
	s_add_i32 s3, s3, s2
	s_mul_i32 s2, s16, s8
	v_lshl_or_b32 v11, v10, 7, v5
	v_mov_b32_e32 v5, 0x400
	s_lshl_b64 s[2:3], s[2:3], 2
	v_lshl_add_u32 v15, v1, 5, v5
	v_mov_b32_e32 v5, s3
	v_add_co_u32_e64 v2, s[2:3], s2, v2
	v_addc_co_u32_e64 v3, s[2:3], v3, v5, s[2:3]
	v_lshlrev_b32_e32 v5, 2, v10
	v_add_co_u32_e64 v2, s[2:3], v2, v5
	v_cmp_gt_i32_e64 s[0:1], s12, v4
	v_addc_co_u32_e64 v3, s[2:3], 0, v3, s[2:3]
	v_mad_i64_i32 v[4:5], s[2:3], s15, v4, 0
	v_mov_b32_e32 v8, s11
	v_add_co_u32_e64 v2, s[2:3], s10, v2
	v_addc_co_u32_e64 v3, s[2:3], v8, v3, s[2:3]
	s_mul_i32 s2, s21, s8
	s_mul_hi_u32 s3, s20, s8
	v_lshlrev_b64 v[4:5], 2, v[4:5]
	s_add_i32 s3, s3, s2
	s_mul_i32 s2, s20, s8
	s_lshl_b64 s[2:3], s[2:3], 2
	v_mov_b32_e32 v8, s3
	v_add_co_u32_e64 v4, s[2:3], s2, v4
	v_addc_co_u32_e64 v5, s[2:3], v5, v8, s[2:3]
	v_add_co_u32_e64 v4, s[2:3], v4, v7
	v_addc_co_u32_e64 v5, s[2:3], 0, v5, s[2:3]
	v_mov_b32_e32 v7, s19
	v_add_co_u32_e64 v4, s[2:3], s18, v4
	v_lshlrev_b32_e32 v14, 2, v0
	v_mov_b32_e32 v6, 0
	v_addc_co_u32_e64 v5, s[2:3], v7, v5, s[2:3]
	v_mov_b32_e32 v7, 0
	v_mov_b32_e32 v8, 0
	;; [unrolled: 1-line block ×3, first 2 shown]
	s_branch .LBB62_3
.LBB62_2:                               ;   in Loop: Header=BB62_3 Depth=1
	s_or_b64 exec, exec, s[2:3]
	s_waitcnt vmcnt(0)
	ds_write_b32 v12, v16
	s_waitcnt lgkmcnt(0)
	s_barrier
	ds_read_b128 v[16:19], v15
	ds_read2_b32 v[20:21], v14 offset1:16
	ds_read2_b32 v[22:23], v14 offset0:32 offset1:48
	ds_read2_b32 v[24:25], v14 offset0:64 offset1:80
	;; [unrolled: 1-line block ×3, first 2 shown]
	v_add_co_u32_e64 v2, s[2:3], 32, v2
	s_waitcnt lgkmcnt(3)
	v_fmac_f32_e32 v13, v20, v16
	v_fmac_f32_e32 v8, v21, v16
	s_waitcnt lgkmcnt(2)
	v_fmac_f32_e32 v13, v22, v17
	v_fmac_f32_e32 v8, v23, v17
	;; [unrolled: 3-line block ×4, first 2 shown]
	ds_read_b128 v[16:19], v15 offset:512
	v_addc_co_u32_e64 v3, s[2:3], 0, v3, s[2:3]
	s_add_i32 s9, s9, 8
	v_add_co_u32_e64 v4, s[2:3], 32, v4
	s_waitcnt lgkmcnt(0)
	v_fmac_f32_e32 v7, v20, v16
	v_fmac_f32_e32 v6, v21, v16
	;; [unrolled: 1-line block ×8, first 2 shown]
	ds_read_b128 v[16:19], v15 offset:16
	ds_read2_b32 v[20:21], v14 offset0:128 offset1:144
	ds_read2_b32 v[22:23], v14 offset0:160 offset1:176
	;; [unrolled: 1-line block ×4, first 2 shown]
	s_cmp_ge_i32 s9, s13
	s_waitcnt lgkmcnt(3)
	v_fmac_f32_e32 v13, v20, v16
	v_fmac_f32_e32 v8, v21, v16
	s_waitcnt lgkmcnt(2)
	v_fmac_f32_e32 v13, v22, v17
	v_fmac_f32_e32 v8, v23, v17
	;; [unrolled: 3-line block ×4, first 2 shown]
	ds_read_b128 v[16:19], v15 offset:528
	v_addc_co_u32_e64 v5, s[2:3], 0, v5, s[2:3]
	s_waitcnt lgkmcnt(0)
	s_barrier
	v_fmac_f32_e32 v7, v20, v16
	v_fmac_f32_e32 v6, v21, v16
	v_fmac_f32_e32 v7, v22, v17
	v_fmac_f32_e32 v6, v23, v17
	v_fmac_f32_e32 v7, v24, v18
	v_fmac_f32_e32 v6, v25, v18
	v_fmac_f32_e32 v7, v26, v19
	v_fmac_f32_e32 v6, v27, v19
	s_cbranch_scc1 .LBB62_8
.LBB62_3:                               ; =>This Inner Loop Header: Depth=1
	v_add_u32_e32 v16, s9, v10
	v_cmp_gt_i32_e64 s[2:3], s13, v16
	s_and_b64 s[10:11], vcc, s[2:3]
	v_mov_b32_e32 v16, 0
	s_and_saveexec_b64 s[2:3], s[10:11]
	s_cbranch_execz .LBB62_5
; %bb.4:                                ;   in Loop: Header=BB62_3 Depth=1
	global_load_dword v16, v[2:3], off
.LBB62_5:                               ;   in Loop: Header=BB62_3 Depth=1
	s_or_b64 exec, exec, s[2:3]
	s_waitcnt vmcnt(0)
	ds_write_b32 v11, v16
	v_add_u32_e32 v16, s9, v9
	v_cmp_gt_i32_e64 s[2:3], s13, v16
	s_and_b64 s[10:11], s[2:3], s[0:1]
	v_mov_b32_e32 v16, 0
	s_and_saveexec_b64 s[2:3], s[10:11]
	s_cbranch_execz .LBB62_2
; %bb.6:                                ;   in Loop: Header=BB62_3 Depth=1
	global_load_dword v16, v[4:5], off
	s_branch .LBB62_2
.LBB62_7:
	v_mov_b32_e32 v13, 0
	v_mov_b32_e32 v8, 0
	;; [unrolled: 1-line block ×4, first 2 shown]
.LBB62_8:
	s_load_dwordx2 s[0:1], s[4:5], 0x58
	s_load_dwordx2 s[2:3], s[4:5], 0x48
	s_load_dword s9, s[4:5], 0x50
	v_add_u32_e32 v4, s7, v1
	v_add_u32_e32 v0, s6, v0
	s_waitcnt lgkmcnt(0)
	s_mul_i32 s1, s1, s8
	s_mul_hi_u32 s4, s0, s8
	s_add_i32 s1, s4, s1
	v_mad_i64_i32 v[1:2], s[4:5], v4, s9, 0
	s_mul_i32 s0, s0, s8
	s_lshl_b64 s[0:1], s[0:1], 2
	s_add_u32 s7, s2, s0
	v_lshlrev_b64 v[1:2], 2, v[1:2]
	s_addc_u32 s8, s3, s1
	v_mov_b32_e32 v3, s8
	v_add_co_u32_e32 v5, vcc, s7, v1
	v_addc_co_u32_e32 v9, vcc, v3, v2, vcc
	v_cmp_le_i32_e64 s[0:1], v4, v0
	v_cmp_gt_i32_e32 vcc, s12, v0
	s_and_b64 s[0:1], s[0:1], vcc
	s_and_saveexec_b64 s[2:3], s[0:1]
	s_cbranch_execz .LBB62_10
; %bb.9:
	v_ashrrev_i32_e32 v1, 31, v0
	v_lshlrev_b64 v[1:2], 2, v[0:1]
	v_mul_f32_e32 v3, s14, v13
	v_add_co_u32_e64 v1, s[0:1], v5, v1
	v_addc_co_u32_e64 v2, s[0:1], v9, v2, s[0:1]
	global_store_dword v[1:2], v3, off
.LBB62_10:
	s_or_b64 exec, exec, s[2:3]
	v_add_u32_e32 v2, 16, v0
	v_cmp_le_i32_e64 s[2:3], v4, v2
	v_cmp_gt_i32_e64 s[0:1], s12, v2
	s_and_b64 s[2:3], s[2:3], s[0:1]
	s_and_saveexec_b64 s[4:5], s[2:3]
	s_cbranch_execz .LBB62_12
; %bb.11:
	v_ashrrev_i32_e32 v3, 31, v2
	v_lshlrev_b64 v[10:11], 2, v[2:3]
	v_mul_f32_e32 v1, s14, v8
	v_add_co_u32_e64 v8, s[2:3], v5, v10
	v_addc_co_u32_e64 v9, s[2:3], v9, v11, s[2:3]
	global_store_dword v[8:9], v1, off
.LBB62_12:
	s_or_b64 exec, exec, s[4:5]
	v_add_u32_e32 v3, 16, v4
	v_mad_i64_i32 v[4:5], s[2:3], v3, s9, 0
	v_mov_b32_e32 v1, s8
	v_lshlrev_b64 v[4:5], 2, v[4:5]
	v_add_co_u32_e64 v4, s[2:3], s7, v4
	v_addc_co_u32_e64 v5, s[2:3], v1, v5, s[2:3]
	v_cmp_le_i32_e64 s[2:3], v3, v0
	s_and_b64 s[4:5], s[2:3], vcc
	s_and_saveexec_b64 s[2:3], s[4:5]
	s_cbranch_execz .LBB62_14
; %bb.13:
	v_ashrrev_i32_e32 v1, 31, v0
	v_lshlrev_b64 v[0:1], 2, v[0:1]
	v_mul_f32_e32 v7, s14, v7
	v_add_co_u32_e32 v0, vcc, v4, v0
	v_addc_co_u32_e32 v1, vcc, v5, v1, vcc
	global_store_dword v[0:1], v7, off
.LBB62_14:
	s_or_b64 exec, exec, s[2:3]
	v_cmp_le_i32_e32 vcc, v3, v2
	s_and_b64 s[0:1], vcc, s[0:1]
	s_and_saveexec_b64 s[2:3], s[0:1]
	s_cbranch_execz .LBB62_16
; %bb.15:
	v_ashrrev_i32_e32 v3, 31, v2
	v_lshlrev_b64 v[0:1], 2, v[2:3]
	v_mul_f32_e32 v6, s14, v6
	v_add_co_u32_e32 v0, vcc, v4, v0
	v_addc_co_u32_e32 v1, vcc, v5, v1, vcc
	global_store_dword v[0:1], v6, off
.LBB62_16:
	s_endpgm
	.section	.rodata,"a",@progbits
	.p2align	6, 0x0
	.amdhsa_kernel _ZL34rocblas_syrkx_herkx_general_kernelIifLi16ELi32ELi8ELb1ELb0ELc84ELc76EKffEviT_T0_PT8_S1_lS4_S1_lS2_PT9_S1_li
		.amdhsa_group_segment_fixed_size 2048
		.amdhsa_private_segment_fixed_size 0
		.amdhsa_kernarg_size 100
		.amdhsa_user_sgpr_count 6
		.amdhsa_user_sgpr_private_segment_buffer 1
		.amdhsa_user_sgpr_dispatch_ptr 0
		.amdhsa_user_sgpr_queue_ptr 0
		.amdhsa_user_sgpr_kernarg_segment_ptr 1
		.amdhsa_user_sgpr_dispatch_id 0
		.amdhsa_user_sgpr_flat_scratch_init 0
		.amdhsa_user_sgpr_private_segment_size 0
		.amdhsa_uses_dynamic_stack 0
		.amdhsa_system_sgpr_private_segment_wavefront_offset 0
		.amdhsa_system_sgpr_workgroup_id_x 1
		.amdhsa_system_sgpr_workgroup_id_y 1
		.amdhsa_system_sgpr_workgroup_id_z 1
		.amdhsa_system_sgpr_workgroup_info 0
		.amdhsa_system_vgpr_workitem_id 1
		.amdhsa_next_free_vgpr 28
		.amdhsa_next_free_sgpr 22
		.amdhsa_reserve_vcc 1
		.amdhsa_reserve_flat_scratch 0
		.amdhsa_float_round_mode_32 0
		.amdhsa_float_round_mode_16_64 0
		.amdhsa_float_denorm_mode_32 3
		.amdhsa_float_denorm_mode_16_64 3
		.amdhsa_dx10_clamp 1
		.amdhsa_ieee_mode 1
		.amdhsa_fp16_overflow 0
		.amdhsa_exception_fp_ieee_invalid_op 0
		.amdhsa_exception_fp_denorm_src 0
		.amdhsa_exception_fp_ieee_div_zero 0
		.amdhsa_exception_fp_ieee_overflow 0
		.amdhsa_exception_fp_ieee_underflow 0
		.amdhsa_exception_fp_ieee_inexact 0
		.amdhsa_exception_int_div_zero 0
	.end_amdhsa_kernel
	.section	.text._ZL34rocblas_syrkx_herkx_general_kernelIifLi16ELi32ELi8ELb1ELb0ELc84ELc76EKffEviT_T0_PT8_S1_lS4_S1_lS2_PT9_S1_li,"axG",@progbits,_ZL34rocblas_syrkx_herkx_general_kernelIifLi16ELi32ELi8ELb1ELb0ELc84ELc76EKffEviT_T0_PT8_S1_lS4_S1_lS2_PT9_S1_li,comdat
.Lfunc_end62:
	.size	_ZL34rocblas_syrkx_herkx_general_kernelIifLi16ELi32ELi8ELb1ELb0ELc84ELc76EKffEviT_T0_PT8_S1_lS4_S1_lS2_PT9_S1_li, .Lfunc_end62-_ZL34rocblas_syrkx_herkx_general_kernelIifLi16ELi32ELi8ELb1ELb0ELc84ELc76EKffEviT_T0_PT8_S1_lS4_S1_lS2_PT9_S1_li
                                        ; -- End function
	.set _ZL34rocblas_syrkx_herkx_general_kernelIifLi16ELi32ELi8ELb1ELb0ELc84ELc76EKffEviT_T0_PT8_S1_lS4_S1_lS2_PT9_S1_li.num_vgpr, 28
	.set _ZL34rocblas_syrkx_herkx_general_kernelIifLi16ELi32ELi8ELb1ELb0ELc84ELc76EKffEviT_T0_PT8_S1_lS4_S1_lS2_PT9_S1_li.num_agpr, 0
	.set _ZL34rocblas_syrkx_herkx_general_kernelIifLi16ELi32ELi8ELb1ELb0ELc84ELc76EKffEviT_T0_PT8_S1_lS4_S1_lS2_PT9_S1_li.numbered_sgpr, 22
	.set _ZL34rocblas_syrkx_herkx_general_kernelIifLi16ELi32ELi8ELb1ELb0ELc84ELc76EKffEviT_T0_PT8_S1_lS4_S1_lS2_PT9_S1_li.num_named_barrier, 0
	.set _ZL34rocblas_syrkx_herkx_general_kernelIifLi16ELi32ELi8ELb1ELb0ELc84ELc76EKffEviT_T0_PT8_S1_lS4_S1_lS2_PT9_S1_li.private_seg_size, 0
	.set _ZL34rocblas_syrkx_herkx_general_kernelIifLi16ELi32ELi8ELb1ELb0ELc84ELc76EKffEviT_T0_PT8_S1_lS4_S1_lS2_PT9_S1_li.uses_vcc, 1
	.set _ZL34rocblas_syrkx_herkx_general_kernelIifLi16ELi32ELi8ELb1ELb0ELc84ELc76EKffEviT_T0_PT8_S1_lS4_S1_lS2_PT9_S1_li.uses_flat_scratch, 0
	.set _ZL34rocblas_syrkx_herkx_general_kernelIifLi16ELi32ELi8ELb1ELb0ELc84ELc76EKffEviT_T0_PT8_S1_lS4_S1_lS2_PT9_S1_li.has_dyn_sized_stack, 0
	.set _ZL34rocblas_syrkx_herkx_general_kernelIifLi16ELi32ELi8ELb1ELb0ELc84ELc76EKffEviT_T0_PT8_S1_lS4_S1_lS2_PT9_S1_li.has_recursion, 0
	.set _ZL34rocblas_syrkx_herkx_general_kernelIifLi16ELi32ELi8ELb1ELb0ELc84ELc76EKffEviT_T0_PT8_S1_lS4_S1_lS2_PT9_S1_li.has_indirect_call, 0
	.section	.AMDGPU.csdata,"",@progbits
; Kernel info:
; codeLenInByte = 1212
; TotalNumSgprs: 26
; NumVgprs: 28
; ScratchSize: 0
; MemoryBound: 0
; FloatMode: 240
; IeeeMode: 1
; LDSByteSize: 2048 bytes/workgroup (compile time only)
; SGPRBlocks: 3
; VGPRBlocks: 6
; NumSGPRsForWavesPerEU: 26
; NumVGPRsForWavesPerEU: 28
; Occupancy: 9
; WaveLimiterHint : 0
; COMPUTE_PGM_RSRC2:SCRATCH_EN: 0
; COMPUTE_PGM_RSRC2:USER_SGPR: 6
; COMPUTE_PGM_RSRC2:TRAP_HANDLER: 0
; COMPUTE_PGM_RSRC2:TGID_X_EN: 1
; COMPUTE_PGM_RSRC2:TGID_Y_EN: 1
; COMPUTE_PGM_RSRC2:TGID_Z_EN: 1
; COMPUTE_PGM_RSRC2:TIDIG_COMP_CNT: 1
	.section	.text._ZL34rocblas_syrkx_herkx_general_kernelIifLi16ELi32ELi8ELb1ELb0ELc67ELc76EKffEviT_T0_PT8_S1_lS4_S1_lS2_PT9_S1_li,"axG",@progbits,_ZL34rocblas_syrkx_herkx_general_kernelIifLi16ELi32ELi8ELb1ELb0ELc67ELc76EKffEviT_T0_PT8_S1_lS4_S1_lS2_PT9_S1_li,comdat
	.globl	_ZL34rocblas_syrkx_herkx_general_kernelIifLi16ELi32ELi8ELb1ELb0ELc67ELc76EKffEviT_T0_PT8_S1_lS4_S1_lS2_PT9_S1_li ; -- Begin function _ZL34rocblas_syrkx_herkx_general_kernelIifLi16ELi32ELi8ELb1ELb0ELc67ELc76EKffEviT_T0_PT8_S1_lS4_S1_lS2_PT9_S1_li
	.p2align	8
	.type	_ZL34rocblas_syrkx_herkx_general_kernelIifLi16ELi32ELi8ELb1ELb0ELc67ELc76EKffEviT_T0_PT8_S1_lS4_S1_lS2_PT9_S1_li,@function
_ZL34rocblas_syrkx_herkx_general_kernelIifLi16ELi32ELi8ELb1ELb0ELc67ELc76EKffEviT_T0_PT8_S1_lS4_S1_lS2_PT9_S1_li: ; @_ZL34rocblas_syrkx_herkx_general_kernelIifLi16ELi32ELi8ELb1ELb0ELc67ELc76EKffEviT_T0_PT8_S1_lS4_S1_lS2_PT9_S1_li
; %bb.0:
	s_load_dwordx4 s[12:15], s[4:5], 0x0
	s_lshl_b32 s6, s6, 5
	s_lshl_b32 s7, s7, 5
	s_mov_b32 s9, 0
	s_waitcnt lgkmcnt(0)
	s_cmp_lt_i32 s13, 1
	s_cbranch_scc1 .LBB63_7
; %bb.1:
	v_lshl_add_u32 v2, v1, 4, v0
	v_and_b32_e32 v9, 7, v0
	v_lshrrev_b32_e32 v10, 5, v2
	v_lshrrev_b32_e32 v3, 3, v2
	v_and_b32_e32 v2, 31, v2
	s_load_dwordx2 s[10:11], s[4:5], 0x10
	s_load_dword s2, s[4:5], 0x18
	s_load_dwordx4 s[16:19], s[4:5], 0x20
	s_load_dword s15, s[4:5], 0x30
	s_load_dwordx2 s[20:21], s[4:5], 0x38
	v_or_b32_e32 v5, s6, v2
	v_lshlrev_b32_e32 v7, 2, v9
	v_add_u32_e32 v4, s7, v3
	v_cmp_gt_i32_e32 vcc, s12, v5
	v_lshlrev_b32_e32 v5, 2, v2
	v_lshl_or_b32 v3, v3, 5, v7
	v_add_u32_e32 v2, s6, v2
	v_add_u32_e32 v12, 0x400, v3
	s_waitcnt lgkmcnt(0)
	v_mad_i64_i32 v[2:3], s[2:3], s2, v2, 0
	s_mul_i32 s2, s17, s8
	s_mul_hi_u32 s3, s16, s8
	v_lshlrev_b64 v[2:3], 2, v[2:3]
	s_add_i32 s3, s3, s2
	s_mul_i32 s2, s16, s8
	v_lshl_or_b32 v11, v10, 7, v5
	v_mov_b32_e32 v5, 0x400
	s_lshl_b64 s[2:3], s[2:3], 2
	v_lshl_add_u32 v15, v1, 5, v5
	v_mov_b32_e32 v5, s3
	v_add_co_u32_e64 v2, s[2:3], s2, v2
	v_addc_co_u32_e64 v3, s[2:3], v3, v5, s[2:3]
	v_lshlrev_b32_e32 v5, 2, v10
	v_add_co_u32_e64 v2, s[2:3], v2, v5
	v_cmp_gt_i32_e64 s[0:1], s12, v4
	v_addc_co_u32_e64 v3, s[2:3], 0, v3, s[2:3]
	v_mad_i64_i32 v[4:5], s[2:3], s15, v4, 0
	v_mov_b32_e32 v8, s11
	v_add_co_u32_e64 v2, s[2:3], s10, v2
	v_addc_co_u32_e64 v3, s[2:3], v8, v3, s[2:3]
	s_mul_i32 s2, s21, s8
	s_mul_hi_u32 s3, s20, s8
	v_lshlrev_b64 v[4:5], 2, v[4:5]
	s_add_i32 s3, s3, s2
	s_mul_i32 s2, s20, s8
	s_lshl_b64 s[2:3], s[2:3], 2
	v_mov_b32_e32 v8, s3
	v_add_co_u32_e64 v4, s[2:3], s2, v4
	v_addc_co_u32_e64 v5, s[2:3], v5, v8, s[2:3]
	v_add_co_u32_e64 v4, s[2:3], v4, v7
	v_addc_co_u32_e64 v5, s[2:3], 0, v5, s[2:3]
	v_mov_b32_e32 v7, s19
	v_add_co_u32_e64 v4, s[2:3], s18, v4
	v_lshlrev_b32_e32 v14, 2, v0
	v_mov_b32_e32 v6, 0
	v_addc_co_u32_e64 v5, s[2:3], v7, v5, s[2:3]
	v_mov_b32_e32 v7, 0
	v_mov_b32_e32 v8, 0
	;; [unrolled: 1-line block ×3, first 2 shown]
	s_branch .LBB63_3
.LBB63_2:                               ;   in Loop: Header=BB63_3 Depth=1
	s_or_b64 exec, exec, s[2:3]
	s_waitcnt vmcnt(0)
	ds_write_b32 v12, v16
	s_waitcnt lgkmcnt(0)
	s_barrier
	ds_read_b128 v[16:19], v15
	ds_read2_b32 v[20:21], v14 offset1:16
	ds_read2_b32 v[22:23], v14 offset0:32 offset1:48
	ds_read2_b32 v[24:25], v14 offset0:64 offset1:80
	;; [unrolled: 1-line block ×3, first 2 shown]
	v_add_co_u32_e64 v2, s[2:3], 32, v2
	s_waitcnt lgkmcnt(3)
	v_fmac_f32_e32 v13, v20, v16
	v_fmac_f32_e32 v8, v21, v16
	s_waitcnt lgkmcnt(2)
	v_fmac_f32_e32 v13, v22, v17
	v_fmac_f32_e32 v8, v23, v17
	;; [unrolled: 3-line block ×4, first 2 shown]
	ds_read_b128 v[16:19], v15 offset:512
	v_addc_co_u32_e64 v3, s[2:3], 0, v3, s[2:3]
	s_add_i32 s9, s9, 8
	v_add_co_u32_e64 v4, s[2:3], 32, v4
	s_waitcnt lgkmcnt(0)
	v_fmac_f32_e32 v7, v20, v16
	v_fmac_f32_e32 v6, v21, v16
	v_fmac_f32_e32 v7, v22, v17
	v_fmac_f32_e32 v6, v23, v17
	v_fmac_f32_e32 v7, v24, v18
	v_fmac_f32_e32 v6, v25, v18
	v_fmac_f32_e32 v7, v26, v19
	v_fmac_f32_e32 v6, v27, v19
	ds_read_b128 v[16:19], v15 offset:16
	ds_read2_b32 v[20:21], v14 offset0:128 offset1:144
	ds_read2_b32 v[22:23], v14 offset0:160 offset1:176
	;; [unrolled: 1-line block ×4, first 2 shown]
	s_cmp_ge_i32 s9, s13
	s_waitcnt lgkmcnt(3)
	v_fmac_f32_e32 v13, v20, v16
	v_fmac_f32_e32 v8, v21, v16
	s_waitcnt lgkmcnt(2)
	v_fmac_f32_e32 v13, v22, v17
	v_fmac_f32_e32 v8, v23, v17
	;; [unrolled: 3-line block ×4, first 2 shown]
	ds_read_b128 v[16:19], v15 offset:528
	v_addc_co_u32_e64 v5, s[2:3], 0, v5, s[2:3]
	s_waitcnt lgkmcnt(0)
	s_barrier
	v_fmac_f32_e32 v7, v20, v16
	v_fmac_f32_e32 v6, v21, v16
	;; [unrolled: 1-line block ×8, first 2 shown]
	s_cbranch_scc1 .LBB63_8
.LBB63_3:                               ; =>This Inner Loop Header: Depth=1
	v_add_u32_e32 v16, s9, v10
	v_cmp_gt_i32_e64 s[2:3], s13, v16
	s_and_b64 s[10:11], vcc, s[2:3]
	v_mov_b32_e32 v16, 0
	s_and_saveexec_b64 s[2:3], s[10:11]
	s_cbranch_execz .LBB63_5
; %bb.4:                                ;   in Loop: Header=BB63_3 Depth=1
	global_load_dword v16, v[2:3], off
.LBB63_5:                               ;   in Loop: Header=BB63_3 Depth=1
	s_or_b64 exec, exec, s[2:3]
	s_waitcnt vmcnt(0)
	ds_write_b32 v11, v16
	v_add_u32_e32 v16, s9, v9
	v_cmp_gt_i32_e64 s[2:3], s13, v16
	s_and_b64 s[10:11], s[2:3], s[0:1]
	v_mov_b32_e32 v16, 0
	s_and_saveexec_b64 s[2:3], s[10:11]
	s_cbranch_execz .LBB63_2
; %bb.6:                                ;   in Loop: Header=BB63_3 Depth=1
	global_load_dword v16, v[4:5], off
	s_branch .LBB63_2
.LBB63_7:
	v_mov_b32_e32 v13, 0
	v_mov_b32_e32 v8, 0
	;; [unrolled: 1-line block ×4, first 2 shown]
.LBB63_8:
	s_load_dwordx2 s[0:1], s[4:5], 0x58
	s_load_dwordx2 s[2:3], s[4:5], 0x48
	s_load_dword s9, s[4:5], 0x50
	v_add_u32_e32 v4, s7, v1
	v_add_u32_e32 v0, s6, v0
	s_waitcnt lgkmcnt(0)
	s_mul_i32 s1, s1, s8
	s_mul_hi_u32 s4, s0, s8
	s_add_i32 s1, s4, s1
	v_mad_i64_i32 v[1:2], s[4:5], v4, s9, 0
	s_mul_i32 s0, s0, s8
	s_lshl_b64 s[0:1], s[0:1], 2
	s_add_u32 s7, s2, s0
	v_lshlrev_b64 v[1:2], 2, v[1:2]
	s_addc_u32 s8, s3, s1
	v_mov_b32_e32 v3, s8
	v_add_co_u32_e32 v5, vcc, s7, v1
	v_addc_co_u32_e32 v9, vcc, v3, v2, vcc
	v_cmp_le_i32_e64 s[0:1], v4, v0
	v_cmp_gt_i32_e32 vcc, s12, v0
	s_and_b64 s[0:1], s[0:1], vcc
	s_and_saveexec_b64 s[2:3], s[0:1]
	s_cbranch_execz .LBB63_10
; %bb.9:
	v_ashrrev_i32_e32 v1, 31, v0
	v_lshlrev_b64 v[1:2], 2, v[0:1]
	v_mul_f32_e32 v3, s14, v13
	v_add_co_u32_e64 v1, s[0:1], v5, v1
	v_addc_co_u32_e64 v2, s[0:1], v9, v2, s[0:1]
	global_store_dword v[1:2], v3, off
.LBB63_10:
	s_or_b64 exec, exec, s[2:3]
	v_add_u32_e32 v2, 16, v0
	v_cmp_le_i32_e64 s[2:3], v4, v2
	v_cmp_gt_i32_e64 s[0:1], s12, v2
	s_and_b64 s[2:3], s[2:3], s[0:1]
	s_and_saveexec_b64 s[4:5], s[2:3]
	s_cbranch_execz .LBB63_12
; %bb.11:
	v_ashrrev_i32_e32 v3, 31, v2
	v_lshlrev_b64 v[10:11], 2, v[2:3]
	v_mul_f32_e32 v1, s14, v8
	v_add_co_u32_e64 v8, s[2:3], v5, v10
	v_addc_co_u32_e64 v9, s[2:3], v9, v11, s[2:3]
	global_store_dword v[8:9], v1, off
.LBB63_12:
	s_or_b64 exec, exec, s[4:5]
	v_add_u32_e32 v3, 16, v4
	v_mad_i64_i32 v[4:5], s[2:3], v3, s9, 0
	v_mov_b32_e32 v1, s8
	v_lshlrev_b64 v[4:5], 2, v[4:5]
	v_add_co_u32_e64 v4, s[2:3], s7, v4
	v_addc_co_u32_e64 v5, s[2:3], v1, v5, s[2:3]
	v_cmp_le_i32_e64 s[2:3], v3, v0
	s_and_b64 s[4:5], s[2:3], vcc
	s_and_saveexec_b64 s[2:3], s[4:5]
	s_cbranch_execz .LBB63_14
; %bb.13:
	v_ashrrev_i32_e32 v1, 31, v0
	v_lshlrev_b64 v[0:1], 2, v[0:1]
	v_mul_f32_e32 v7, s14, v7
	v_add_co_u32_e32 v0, vcc, v4, v0
	v_addc_co_u32_e32 v1, vcc, v5, v1, vcc
	global_store_dword v[0:1], v7, off
.LBB63_14:
	s_or_b64 exec, exec, s[2:3]
	v_cmp_le_i32_e32 vcc, v3, v2
	s_and_b64 s[0:1], vcc, s[0:1]
	s_and_saveexec_b64 s[2:3], s[0:1]
	s_cbranch_execz .LBB63_16
; %bb.15:
	v_ashrrev_i32_e32 v3, 31, v2
	v_lshlrev_b64 v[0:1], 2, v[2:3]
	v_mul_f32_e32 v6, s14, v6
	v_add_co_u32_e32 v0, vcc, v4, v0
	v_addc_co_u32_e32 v1, vcc, v5, v1, vcc
	global_store_dword v[0:1], v6, off
.LBB63_16:
	s_endpgm
	.section	.rodata,"a",@progbits
	.p2align	6, 0x0
	.amdhsa_kernel _ZL34rocblas_syrkx_herkx_general_kernelIifLi16ELi32ELi8ELb1ELb0ELc67ELc76EKffEviT_T0_PT8_S1_lS4_S1_lS2_PT9_S1_li
		.amdhsa_group_segment_fixed_size 2048
		.amdhsa_private_segment_fixed_size 0
		.amdhsa_kernarg_size 100
		.amdhsa_user_sgpr_count 6
		.amdhsa_user_sgpr_private_segment_buffer 1
		.amdhsa_user_sgpr_dispatch_ptr 0
		.amdhsa_user_sgpr_queue_ptr 0
		.amdhsa_user_sgpr_kernarg_segment_ptr 1
		.amdhsa_user_sgpr_dispatch_id 0
		.amdhsa_user_sgpr_flat_scratch_init 0
		.amdhsa_user_sgpr_private_segment_size 0
		.amdhsa_uses_dynamic_stack 0
		.amdhsa_system_sgpr_private_segment_wavefront_offset 0
		.amdhsa_system_sgpr_workgroup_id_x 1
		.amdhsa_system_sgpr_workgroup_id_y 1
		.amdhsa_system_sgpr_workgroup_id_z 1
		.amdhsa_system_sgpr_workgroup_info 0
		.amdhsa_system_vgpr_workitem_id 1
		.amdhsa_next_free_vgpr 28
		.amdhsa_next_free_sgpr 22
		.amdhsa_reserve_vcc 1
		.amdhsa_reserve_flat_scratch 0
		.amdhsa_float_round_mode_32 0
		.amdhsa_float_round_mode_16_64 0
		.amdhsa_float_denorm_mode_32 3
		.amdhsa_float_denorm_mode_16_64 3
		.amdhsa_dx10_clamp 1
		.amdhsa_ieee_mode 1
		.amdhsa_fp16_overflow 0
		.amdhsa_exception_fp_ieee_invalid_op 0
		.amdhsa_exception_fp_denorm_src 0
		.amdhsa_exception_fp_ieee_div_zero 0
		.amdhsa_exception_fp_ieee_overflow 0
		.amdhsa_exception_fp_ieee_underflow 0
		.amdhsa_exception_fp_ieee_inexact 0
		.amdhsa_exception_int_div_zero 0
	.end_amdhsa_kernel
	.section	.text._ZL34rocblas_syrkx_herkx_general_kernelIifLi16ELi32ELi8ELb1ELb0ELc67ELc76EKffEviT_T0_PT8_S1_lS4_S1_lS2_PT9_S1_li,"axG",@progbits,_ZL34rocblas_syrkx_herkx_general_kernelIifLi16ELi32ELi8ELb1ELb0ELc67ELc76EKffEviT_T0_PT8_S1_lS4_S1_lS2_PT9_S1_li,comdat
.Lfunc_end63:
	.size	_ZL34rocblas_syrkx_herkx_general_kernelIifLi16ELi32ELi8ELb1ELb0ELc67ELc76EKffEviT_T0_PT8_S1_lS4_S1_lS2_PT9_S1_li, .Lfunc_end63-_ZL34rocblas_syrkx_herkx_general_kernelIifLi16ELi32ELi8ELb1ELb0ELc67ELc76EKffEviT_T0_PT8_S1_lS4_S1_lS2_PT9_S1_li
                                        ; -- End function
	.set _ZL34rocblas_syrkx_herkx_general_kernelIifLi16ELi32ELi8ELb1ELb0ELc67ELc76EKffEviT_T0_PT8_S1_lS4_S1_lS2_PT9_S1_li.num_vgpr, 28
	.set _ZL34rocblas_syrkx_herkx_general_kernelIifLi16ELi32ELi8ELb1ELb0ELc67ELc76EKffEviT_T0_PT8_S1_lS4_S1_lS2_PT9_S1_li.num_agpr, 0
	.set _ZL34rocblas_syrkx_herkx_general_kernelIifLi16ELi32ELi8ELb1ELb0ELc67ELc76EKffEviT_T0_PT8_S1_lS4_S1_lS2_PT9_S1_li.numbered_sgpr, 22
	.set _ZL34rocblas_syrkx_herkx_general_kernelIifLi16ELi32ELi8ELb1ELb0ELc67ELc76EKffEviT_T0_PT8_S1_lS4_S1_lS2_PT9_S1_li.num_named_barrier, 0
	.set _ZL34rocblas_syrkx_herkx_general_kernelIifLi16ELi32ELi8ELb1ELb0ELc67ELc76EKffEviT_T0_PT8_S1_lS4_S1_lS2_PT9_S1_li.private_seg_size, 0
	.set _ZL34rocblas_syrkx_herkx_general_kernelIifLi16ELi32ELi8ELb1ELb0ELc67ELc76EKffEviT_T0_PT8_S1_lS4_S1_lS2_PT9_S1_li.uses_vcc, 1
	.set _ZL34rocblas_syrkx_herkx_general_kernelIifLi16ELi32ELi8ELb1ELb0ELc67ELc76EKffEviT_T0_PT8_S1_lS4_S1_lS2_PT9_S1_li.uses_flat_scratch, 0
	.set _ZL34rocblas_syrkx_herkx_general_kernelIifLi16ELi32ELi8ELb1ELb0ELc67ELc76EKffEviT_T0_PT8_S1_lS4_S1_lS2_PT9_S1_li.has_dyn_sized_stack, 0
	.set _ZL34rocblas_syrkx_herkx_general_kernelIifLi16ELi32ELi8ELb1ELb0ELc67ELc76EKffEviT_T0_PT8_S1_lS4_S1_lS2_PT9_S1_li.has_recursion, 0
	.set _ZL34rocblas_syrkx_herkx_general_kernelIifLi16ELi32ELi8ELb1ELb0ELc67ELc76EKffEviT_T0_PT8_S1_lS4_S1_lS2_PT9_S1_li.has_indirect_call, 0
	.section	.AMDGPU.csdata,"",@progbits
; Kernel info:
; codeLenInByte = 1212
; TotalNumSgprs: 26
; NumVgprs: 28
; ScratchSize: 0
; MemoryBound: 0
; FloatMode: 240
; IeeeMode: 1
; LDSByteSize: 2048 bytes/workgroup (compile time only)
; SGPRBlocks: 3
; VGPRBlocks: 6
; NumSGPRsForWavesPerEU: 26
; NumVGPRsForWavesPerEU: 28
; Occupancy: 9
; WaveLimiterHint : 0
; COMPUTE_PGM_RSRC2:SCRATCH_EN: 0
; COMPUTE_PGM_RSRC2:USER_SGPR: 6
; COMPUTE_PGM_RSRC2:TRAP_HANDLER: 0
; COMPUTE_PGM_RSRC2:TGID_X_EN: 1
; COMPUTE_PGM_RSRC2:TGID_Y_EN: 1
; COMPUTE_PGM_RSRC2:TGID_Z_EN: 1
; COMPUTE_PGM_RSRC2:TIDIG_COMP_CNT: 1
	.section	.text._ZL34rocblas_syrkx_herkx_general_kernelIifLi16ELi32ELi8ELb1ELb0ELc78ELc76EKffEviT_T0_PT8_S1_lS4_S1_lS2_PT9_S1_li,"axG",@progbits,_ZL34rocblas_syrkx_herkx_general_kernelIifLi16ELi32ELi8ELb1ELb0ELc78ELc76EKffEviT_T0_PT8_S1_lS4_S1_lS2_PT9_S1_li,comdat
	.globl	_ZL34rocblas_syrkx_herkx_general_kernelIifLi16ELi32ELi8ELb1ELb0ELc78ELc76EKffEviT_T0_PT8_S1_lS4_S1_lS2_PT9_S1_li ; -- Begin function _ZL34rocblas_syrkx_herkx_general_kernelIifLi16ELi32ELi8ELb1ELb0ELc78ELc76EKffEviT_T0_PT8_S1_lS4_S1_lS2_PT9_S1_li
	.p2align	8
	.type	_ZL34rocblas_syrkx_herkx_general_kernelIifLi16ELi32ELi8ELb1ELb0ELc78ELc76EKffEviT_T0_PT8_S1_lS4_S1_lS2_PT9_S1_li,@function
_ZL34rocblas_syrkx_herkx_general_kernelIifLi16ELi32ELi8ELb1ELb0ELc78ELc76EKffEviT_T0_PT8_S1_lS4_S1_lS2_PT9_S1_li: ; @_ZL34rocblas_syrkx_herkx_general_kernelIifLi16ELi32ELi8ELb1ELb0ELc78ELc76EKffEviT_T0_PT8_S1_lS4_S1_lS2_PT9_S1_li
; %bb.0:
	s_load_dwordx4 s[12:15], s[4:5], 0x0
	s_lshl_b32 s9, s6, 5
	s_waitcnt lgkmcnt(0)
	s_lshl_b32 s15, s7, 5
	s_mov_b32 s20, 0
	s_cmp_lt_i32 s13, 1
	s_cbranch_scc1 .LBB64_7
; %bb.1:
	v_lshl_add_u32 v2, v1, 4, v0
	v_and_b32_e32 v6, 31, v2
	v_lshrrev_b32_e32 v9, 5, v2
	v_lshrrev_b32_e32 v3, 3, v2
	v_or_b32_e32 v2, s9, v6
	v_and_b32_e32 v8, 7, v0
	v_cmp_gt_i32_e32 vcc, s12, v2
	v_lshlrev_b32_e32 v2, 2, v6
	v_lshl_or_b32 v11, v9, 7, v2
	v_lshlrev_b32_e32 v2, 2, v8
	s_load_dword s6, s[4:5], 0x18
	s_load_dword s10, s[4:5], 0x30
	s_load_dwordx2 s[22:23], s[4:5], 0x10
	s_load_dwordx4 s[16:19], s[4:5], 0x20
	s_load_dwordx2 s[24:25], s[4:5], 0x38
	v_lshl_or_b32 v2, v3, 5, v2
	v_add_u32_e32 v4, s15, v3
	v_add_u32_e32 v12, 0x400, v2
	s_waitcnt lgkmcnt(0)
	v_mad_i64_i32 v[2:3], s[2:3], v9, s6, 0
	s_mul_i32 s2, s17, s8
	s_mul_hi_u32 s3, s16, s8
	v_lshlrev_b64 v[2:3], 2, v[2:3]
	s_add_i32 s3, s3, s2
	s_mul_i32 s2, s16, s8
	v_mov_b32_e32 v7, 0x400
	s_lshl_b64 s[2:3], s[2:3], 2
	v_lshl_add_u32 v14, v1, 5, v7
	v_mov_b32_e32 v7, s3
	v_add_co_u32_e64 v10, s[2:3], s2, v2
	v_add_u32_e32 v2, s9, v6
	v_addc_co_u32_e64 v7, s[2:3], v3, v7, s[2:3]
	v_ashrrev_i32_e32 v3, 31, v2
	v_lshlrev_b64 v[2:3], 2, v[2:3]
	v_mov_b32_e32 v6, s23
	v_add_co_u32_e64 v2, s[2:3], v10, v2
	v_addc_co_u32_e64 v3, s[2:3], v7, v3, s[2:3]
	v_add_co_u32_e64 v2, s[2:3], s22, v2
	v_addc_co_u32_e64 v3, s[2:3], v6, v3, s[2:3]
	v_mad_i64_i32 v[6:7], s[2:3], s10, v8, 0
	s_mul_i32 s16, s25, s8
	s_mul_hi_u32 s17, s24, s8
	s_add_i32 s3, s17, s16
	s_mul_i32 s2, s24, s8
	v_lshlrev_b64 v[6:7], 2, v[6:7]
	v_ashrrev_i32_e32 v5, 31, v4
	s_lshl_b64 s[2:3], s[2:3], 2
	v_cmp_gt_i32_e64 s[0:1], s12, v4
	v_mov_b32_e32 v10, s3
	v_add_co_u32_e64 v6, s[2:3], s2, v6
	v_lshlrev_b64 v[4:5], 2, v[4:5]
	v_addc_co_u32_e64 v7, s[2:3], v10, v7, s[2:3]
	v_add_co_u32_e64 v4, s[2:3], v6, v4
	v_addc_co_u32_e64 v5, s[2:3], v7, v5, s[2:3]
	s_ashr_i32 s7, s6, 31
	s_ashr_i32 s11, s10, 31
	v_mov_b32_e32 v6, s19
	v_add_co_u32_e64 v4, s[2:3], s18, v4
	v_lshlrev_b32_e32 v13, 2, v0
	s_lshl_b64 s[6:7], s[6:7], 5
	v_addc_co_u32_e64 v5, s[2:3], v6, v5, s[2:3]
	s_lshl_b64 s[10:11], s[10:11], 5
	v_mov_b32_e32 v6, 0
	v_mov_b32_e32 v7, 0
	;; [unrolled: 1-line block ×4, first 2 shown]
	s_branch .LBB64_3
.LBB64_2:                               ;   in Loop: Header=BB64_3 Depth=1
	s_or_b64 exec, exec, s[2:3]
	s_waitcnt vmcnt(0)
	ds_write_b32 v12, v16
	s_waitcnt lgkmcnt(0)
	s_barrier
	ds_read_b128 v[16:19], v14
	ds_read2_b32 v[20:21], v13 offset1:16
	ds_read2_b32 v[22:23], v13 offset0:32 offset1:48
	ds_read2_b32 v[24:25], v13 offset0:64 offset1:80
	;; [unrolled: 1-line block ×3, first 2 shown]
	v_add_co_u32_e64 v2, s[2:3], s6, v2
	s_waitcnt lgkmcnt(3)
	v_fmac_f32_e32 v15, v20, v16
	v_fmac_f32_e32 v10, v21, v16
	s_waitcnt lgkmcnt(2)
	v_fmac_f32_e32 v15, v22, v17
	v_fmac_f32_e32 v10, v23, v17
	;; [unrolled: 3-line block ×4, first 2 shown]
	ds_read_b128 v[16:19], v14 offset:512
	s_add_i32 s20, s20, 8
	s_cmp_ge_i32 s20, s13
	s_waitcnt lgkmcnt(0)
	v_fmac_f32_e32 v7, v20, v16
	v_fmac_f32_e32 v6, v21, v16
	;; [unrolled: 1-line block ×8, first 2 shown]
	ds_read_b128 v[16:19], v14 offset:16
	ds_read2_b32 v[20:21], v13 offset0:128 offset1:144
	ds_read2_b32 v[22:23], v13 offset0:160 offset1:176
	;; [unrolled: 1-line block ×4, first 2 shown]
	s_waitcnt lgkmcnt(3)
	v_fmac_f32_e32 v15, v20, v16
	v_fmac_f32_e32 v10, v21, v16
	s_waitcnt lgkmcnt(2)
	v_fmac_f32_e32 v15, v22, v17
	v_fmac_f32_e32 v10, v23, v17
	;; [unrolled: 3-line block ×4, first 2 shown]
	ds_read_b128 v[16:19], v14 offset:528
	s_waitcnt lgkmcnt(0)
	s_barrier
	v_fmac_f32_e32 v7, v20, v16
	v_fmac_f32_e32 v6, v21, v16
	v_mov_b32_e32 v16, s7
	v_fmac_f32_e32 v7, v22, v17
	v_fmac_f32_e32 v6, v23, v17
	v_addc_co_u32_e64 v3, s[2:3], v3, v16, s[2:3]
	v_fmac_f32_e32 v7, v24, v18
	v_fmac_f32_e32 v6, v25, v18
	v_add_co_u32_e64 v4, s[2:3], s10, v4
	v_mov_b32_e32 v16, s11
	v_fmac_f32_e32 v7, v26, v19
	v_fmac_f32_e32 v6, v27, v19
	v_addc_co_u32_e64 v5, s[2:3], v5, v16, s[2:3]
	s_cbranch_scc1 .LBB64_8
.LBB64_3:                               ; =>This Inner Loop Header: Depth=1
	v_add_u32_e32 v16, s20, v9
	v_cmp_gt_i32_e64 s[2:3], s13, v16
	s_and_b64 s[16:17], vcc, s[2:3]
	v_mov_b32_e32 v16, 0
	s_and_saveexec_b64 s[2:3], s[16:17]
	s_cbranch_execz .LBB64_5
; %bb.4:                                ;   in Loop: Header=BB64_3 Depth=1
	global_load_dword v16, v[2:3], off
.LBB64_5:                               ;   in Loop: Header=BB64_3 Depth=1
	s_or_b64 exec, exec, s[2:3]
	s_waitcnt vmcnt(0)
	ds_write_b32 v11, v16
	v_add_u32_e32 v16, s20, v8
	v_cmp_gt_i32_e64 s[2:3], s13, v16
	s_and_b64 s[16:17], s[2:3], s[0:1]
	v_mov_b32_e32 v16, 0
	s_and_saveexec_b64 s[2:3], s[16:17]
	s_cbranch_execz .LBB64_2
; %bb.6:                                ;   in Loop: Header=BB64_3 Depth=1
	global_load_dword v16, v[4:5], off
	s_branch .LBB64_2
.LBB64_7:
	v_mov_b32_e32 v15, 0
	v_mov_b32_e32 v10, 0
	;; [unrolled: 1-line block ×4, first 2 shown]
.LBB64_8:
	s_load_dwordx2 s[0:1], s[4:5], 0x58
	s_load_dwordx2 s[2:3], s[4:5], 0x48
	s_load_dword s6, s[4:5], 0x50
	v_add_u32_e32 v4, s15, v1
	v_add_u32_e32 v0, s9, v0
	s_waitcnt lgkmcnt(0)
	s_mul_i32 s1, s1, s8
	s_mul_hi_u32 s4, s0, s8
	s_add_i32 s1, s4, s1
	v_mad_i64_i32 v[1:2], s[4:5], v4, s6, 0
	s_mul_i32 s0, s0, s8
	s_lshl_b64 s[0:1], s[0:1], 2
	s_add_u32 s7, s2, s0
	v_lshlrev_b64 v[1:2], 2, v[1:2]
	s_addc_u32 s8, s3, s1
	v_mov_b32_e32 v3, s8
	v_add_co_u32_e32 v5, vcc, s7, v1
	v_addc_co_u32_e32 v8, vcc, v3, v2, vcc
	v_cmp_le_i32_e64 s[0:1], v4, v0
	v_cmp_gt_i32_e32 vcc, s12, v0
	s_and_b64 s[0:1], s[0:1], vcc
	s_and_saveexec_b64 s[2:3], s[0:1]
	s_cbranch_execz .LBB64_10
; %bb.9:
	v_ashrrev_i32_e32 v1, 31, v0
	v_lshlrev_b64 v[1:2], 2, v[0:1]
	v_mul_f32_e32 v3, s14, v15
	v_add_co_u32_e64 v1, s[0:1], v5, v1
	v_addc_co_u32_e64 v2, s[0:1], v8, v2, s[0:1]
	global_store_dword v[1:2], v3, off
.LBB64_10:
	s_or_b64 exec, exec, s[2:3]
	v_add_u32_e32 v2, 16, v0
	v_cmp_le_i32_e64 s[2:3], v4, v2
	v_cmp_gt_i32_e64 s[0:1], s12, v2
	s_and_b64 s[2:3], s[2:3], s[0:1]
	s_and_saveexec_b64 s[4:5], s[2:3]
	s_cbranch_execz .LBB64_12
; %bb.11:
	v_ashrrev_i32_e32 v3, 31, v2
	v_mul_f32_e32 v1, s14, v10
	v_lshlrev_b64 v[9:10], 2, v[2:3]
	v_add_co_u32_e64 v9, s[2:3], v5, v9
	v_addc_co_u32_e64 v10, s[2:3], v8, v10, s[2:3]
	global_store_dword v[9:10], v1, off
.LBB64_12:
	s_or_b64 exec, exec, s[4:5]
	v_add_u32_e32 v3, 16, v4
	v_mad_i64_i32 v[4:5], s[2:3], v3, s6, 0
	v_mov_b32_e32 v1, s8
	v_lshlrev_b64 v[4:5], 2, v[4:5]
	v_add_co_u32_e64 v4, s[2:3], s7, v4
	v_addc_co_u32_e64 v5, s[2:3], v1, v5, s[2:3]
	v_cmp_le_i32_e64 s[2:3], v3, v0
	s_and_b64 s[4:5], s[2:3], vcc
	s_and_saveexec_b64 s[2:3], s[4:5]
	s_cbranch_execz .LBB64_14
; %bb.13:
	v_ashrrev_i32_e32 v1, 31, v0
	v_lshlrev_b64 v[0:1], 2, v[0:1]
	v_mul_f32_e32 v7, s14, v7
	v_add_co_u32_e32 v0, vcc, v4, v0
	v_addc_co_u32_e32 v1, vcc, v5, v1, vcc
	global_store_dword v[0:1], v7, off
.LBB64_14:
	s_or_b64 exec, exec, s[2:3]
	v_cmp_le_i32_e32 vcc, v3, v2
	s_and_b64 s[0:1], vcc, s[0:1]
	s_and_saveexec_b64 s[2:3], s[0:1]
	s_cbranch_execz .LBB64_16
; %bb.15:
	v_ashrrev_i32_e32 v3, 31, v2
	v_lshlrev_b64 v[0:1], 2, v[2:3]
	v_mul_f32_e32 v6, s14, v6
	v_add_co_u32_e32 v0, vcc, v4, v0
	v_addc_co_u32_e32 v1, vcc, v5, v1, vcc
	global_store_dword v[0:1], v6, off
.LBB64_16:
	s_endpgm
	.section	.rodata,"a",@progbits
	.p2align	6, 0x0
	.amdhsa_kernel _ZL34rocblas_syrkx_herkx_general_kernelIifLi16ELi32ELi8ELb1ELb0ELc78ELc76EKffEviT_T0_PT8_S1_lS4_S1_lS2_PT9_S1_li
		.amdhsa_group_segment_fixed_size 2048
		.amdhsa_private_segment_fixed_size 0
		.amdhsa_kernarg_size 100
		.amdhsa_user_sgpr_count 6
		.amdhsa_user_sgpr_private_segment_buffer 1
		.amdhsa_user_sgpr_dispatch_ptr 0
		.amdhsa_user_sgpr_queue_ptr 0
		.amdhsa_user_sgpr_kernarg_segment_ptr 1
		.amdhsa_user_sgpr_dispatch_id 0
		.amdhsa_user_sgpr_flat_scratch_init 0
		.amdhsa_user_sgpr_private_segment_size 0
		.amdhsa_uses_dynamic_stack 0
		.amdhsa_system_sgpr_private_segment_wavefront_offset 0
		.amdhsa_system_sgpr_workgroup_id_x 1
		.amdhsa_system_sgpr_workgroup_id_y 1
		.amdhsa_system_sgpr_workgroup_id_z 1
		.amdhsa_system_sgpr_workgroup_info 0
		.amdhsa_system_vgpr_workitem_id 1
		.amdhsa_next_free_vgpr 28
		.amdhsa_next_free_sgpr 26
		.amdhsa_reserve_vcc 1
		.amdhsa_reserve_flat_scratch 0
		.amdhsa_float_round_mode_32 0
		.amdhsa_float_round_mode_16_64 0
		.amdhsa_float_denorm_mode_32 3
		.amdhsa_float_denorm_mode_16_64 3
		.amdhsa_dx10_clamp 1
		.amdhsa_ieee_mode 1
		.amdhsa_fp16_overflow 0
		.amdhsa_exception_fp_ieee_invalid_op 0
		.amdhsa_exception_fp_denorm_src 0
		.amdhsa_exception_fp_ieee_div_zero 0
		.amdhsa_exception_fp_ieee_overflow 0
		.amdhsa_exception_fp_ieee_underflow 0
		.amdhsa_exception_fp_ieee_inexact 0
		.amdhsa_exception_int_div_zero 0
	.end_amdhsa_kernel
	.section	.text._ZL34rocblas_syrkx_herkx_general_kernelIifLi16ELi32ELi8ELb1ELb0ELc78ELc76EKffEviT_T0_PT8_S1_lS4_S1_lS2_PT9_S1_li,"axG",@progbits,_ZL34rocblas_syrkx_herkx_general_kernelIifLi16ELi32ELi8ELb1ELb0ELc78ELc76EKffEviT_T0_PT8_S1_lS4_S1_lS2_PT9_S1_li,comdat
.Lfunc_end64:
	.size	_ZL34rocblas_syrkx_herkx_general_kernelIifLi16ELi32ELi8ELb1ELb0ELc78ELc76EKffEviT_T0_PT8_S1_lS4_S1_lS2_PT9_S1_li, .Lfunc_end64-_ZL34rocblas_syrkx_herkx_general_kernelIifLi16ELi32ELi8ELb1ELb0ELc78ELc76EKffEviT_T0_PT8_S1_lS4_S1_lS2_PT9_S1_li
                                        ; -- End function
	.set _ZL34rocblas_syrkx_herkx_general_kernelIifLi16ELi32ELi8ELb1ELb0ELc78ELc76EKffEviT_T0_PT8_S1_lS4_S1_lS2_PT9_S1_li.num_vgpr, 28
	.set _ZL34rocblas_syrkx_herkx_general_kernelIifLi16ELi32ELi8ELb1ELb0ELc78ELc76EKffEviT_T0_PT8_S1_lS4_S1_lS2_PT9_S1_li.num_agpr, 0
	.set _ZL34rocblas_syrkx_herkx_general_kernelIifLi16ELi32ELi8ELb1ELb0ELc78ELc76EKffEviT_T0_PT8_S1_lS4_S1_lS2_PT9_S1_li.numbered_sgpr, 26
	.set _ZL34rocblas_syrkx_herkx_general_kernelIifLi16ELi32ELi8ELb1ELb0ELc78ELc76EKffEviT_T0_PT8_S1_lS4_S1_lS2_PT9_S1_li.num_named_barrier, 0
	.set _ZL34rocblas_syrkx_herkx_general_kernelIifLi16ELi32ELi8ELb1ELb0ELc78ELc76EKffEviT_T0_PT8_S1_lS4_S1_lS2_PT9_S1_li.private_seg_size, 0
	.set _ZL34rocblas_syrkx_herkx_general_kernelIifLi16ELi32ELi8ELb1ELb0ELc78ELc76EKffEviT_T0_PT8_S1_lS4_S1_lS2_PT9_S1_li.uses_vcc, 1
	.set _ZL34rocblas_syrkx_herkx_general_kernelIifLi16ELi32ELi8ELb1ELb0ELc78ELc76EKffEviT_T0_PT8_S1_lS4_S1_lS2_PT9_S1_li.uses_flat_scratch, 0
	.set _ZL34rocblas_syrkx_herkx_general_kernelIifLi16ELi32ELi8ELb1ELb0ELc78ELc76EKffEviT_T0_PT8_S1_lS4_S1_lS2_PT9_S1_li.has_dyn_sized_stack, 0
	.set _ZL34rocblas_syrkx_herkx_general_kernelIifLi16ELi32ELi8ELb1ELb0ELc78ELc76EKffEviT_T0_PT8_S1_lS4_S1_lS2_PT9_S1_li.has_recursion, 0
	.set _ZL34rocblas_syrkx_herkx_general_kernelIifLi16ELi32ELi8ELb1ELb0ELc78ELc76EKffEviT_T0_PT8_S1_lS4_S1_lS2_PT9_S1_li.has_indirect_call, 0
	.section	.AMDGPU.csdata,"",@progbits
; Kernel info:
; codeLenInByte = 1256
; TotalNumSgprs: 30
; NumVgprs: 28
; ScratchSize: 0
; MemoryBound: 0
; FloatMode: 240
; IeeeMode: 1
; LDSByteSize: 2048 bytes/workgroup (compile time only)
; SGPRBlocks: 3
; VGPRBlocks: 6
; NumSGPRsForWavesPerEU: 30
; NumVGPRsForWavesPerEU: 28
; Occupancy: 9
; WaveLimiterHint : 0
; COMPUTE_PGM_RSRC2:SCRATCH_EN: 0
; COMPUTE_PGM_RSRC2:USER_SGPR: 6
; COMPUTE_PGM_RSRC2:TRAP_HANDLER: 0
; COMPUTE_PGM_RSRC2:TGID_X_EN: 1
; COMPUTE_PGM_RSRC2:TGID_Y_EN: 1
; COMPUTE_PGM_RSRC2:TGID_Z_EN: 1
; COMPUTE_PGM_RSRC2:TIDIG_COMP_CNT: 1
	.section	.text._ZL34rocblas_syrkx_herkx_general_kernelIifLi16ELi32ELi8ELb1ELb0ELc84ELc85EKffEviT_T0_PT8_S1_lS4_S1_lS2_PT9_S1_li,"axG",@progbits,_ZL34rocblas_syrkx_herkx_general_kernelIifLi16ELi32ELi8ELb1ELb0ELc84ELc85EKffEviT_T0_PT8_S1_lS4_S1_lS2_PT9_S1_li,comdat
	.globl	_ZL34rocblas_syrkx_herkx_general_kernelIifLi16ELi32ELi8ELb1ELb0ELc84ELc85EKffEviT_T0_PT8_S1_lS4_S1_lS2_PT9_S1_li ; -- Begin function _ZL34rocblas_syrkx_herkx_general_kernelIifLi16ELi32ELi8ELb1ELb0ELc84ELc85EKffEviT_T0_PT8_S1_lS4_S1_lS2_PT9_S1_li
	.p2align	8
	.type	_ZL34rocblas_syrkx_herkx_general_kernelIifLi16ELi32ELi8ELb1ELb0ELc84ELc85EKffEviT_T0_PT8_S1_lS4_S1_lS2_PT9_S1_li,@function
_ZL34rocblas_syrkx_herkx_general_kernelIifLi16ELi32ELi8ELb1ELb0ELc84ELc85EKffEviT_T0_PT8_S1_lS4_S1_lS2_PT9_S1_li: ; @_ZL34rocblas_syrkx_herkx_general_kernelIifLi16ELi32ELi8ELb1ELb0ELc84ELc85EKffEviT_T0_PT8_S1_lS4_S1_lS2_PT9_S1_li
; %bb.0:
	s_load_dwordx4 s[12:15], s[4:5], 0x0
	s_lshl_b32 s6, s6, 5
	s_lshl_b32 s7, s7, 5
	s_mov_b32 s9, 0
	s_waitcnt lgkmcnt(0)
	s_cmp_lt_i32 s13, 1
	s_cbranch_scc1 .LBB65_7
; %bb.1:
	v_lshl_add_u32 v2, v1, 4, v0
	v_and_b32_e32 v9, 7, v0
	v_lshrrev_b32_e32 v10, 5, v2
	v_lshrrev_b32_e32 v3, 3, v2
	v_and_b32_e32 v2, 31, v2
	s_load_dwordx2 s[10:11], s[4:5], 0x10
	s_load_dword s2, s[4:5], 0x18
	s_load_dwordx4 s[16:19], s[4:5], 0x20
	s_load_dword s15, s[4:5], 0x30
	s_load_dwordx2 s[20:21], s[4:5], 0x38
	v_or_b32_e32 v5, s6, v2
	v_lshlrev_b32_e32 v7, 2, v9
	v_add_u32_e32 v4, s7, v3
	v_cmp_gt_i32_e32 vcc, s12, v5
	v_lshlrev_b32_e32 v5, 2, v2
	v_lshl_or_b32 v3, v3, 5, v7
	v_add_u32_e32 v2, s6, v2
	v_add_u32_e32 v12, 0x400, v3
	s_waitcnt lgkmcnt(0)
	v_mad_i64_i32 v[2:3], s[2:3], s2, v2, 0
	s_mul_i32 s2, s17, s8
	s_mul_hi_u32 s3, s16, s8
	v_lshlrev_b64 v[2:3], 2, v[2:3]
	s_add_i32 s3, s3, s2
	s_mul_i32 s2, s16, s8
	v_lshl_or_b32 v11, v10, 7, v5
	v_mov_b32_e32 v5, 0x400
	s_lshl_b64 s[2:3], s[2:3], 2
	v_lshl_add_u32 v15, v1, 5, v5
	v_mov_b32_e32 v5, s3
	v_add_co_u32_e64 v2, s[2:3], s2, v2
	v_addc_co_u32_e64 v3, s[2:3], v3, v5, s[2:3]
	v_lshlrev_b32_e32 v5, 2, v10
	v_add_co_u32_e64 v2, s[2:3], v2, v5
	v_cmp_gt_i32_e64 s[0:1], s12, v4
	v_addc_co_u32_e64 v3, s[2:3], 0, v3, s[2:3]
	v_mad_i64_i32 v[4:5], s[2:3], s15, v4, 0
	v_mov_b32_e32 v8, s11
	v_add_co_u32_e64 v2, s[2:3], s10, v2
	v_addc_co_u32_e64 v3, s[2:3], v8, v3, s[2:3]
	s_mul_i32 s2, s21, s8
	s_mul_hi_u32 s3, s20, s8
	v_lshlrev_b64 v[4:5], 2, v[4:5]
	s_add_i32 s3, s3, s2
	s_mul_i32 s2, s20, s8
	s_lshl_b64 s[2:3], s[2:3], 2
	v_mov_b32_e32 v8, s3
	v_add_co_u32_e64 v4, s[2:3], s2, v4
	v_addc_co_u32_e64 v5, s[2:3], v5, v8, s[2:3]
	v_add_co_u32_e64 v4, s[2:3], v4, v7
	v_addc_co_u32_e64 v5, s[2:3], 0, v5, s[2:3]
	v_mov_b32_e32 v7, s19
	v_add_co_u32_e64 v4, s[2:3], s18, v4
	v_lshlrev_b32_e32 v14, 2, v0
	v_mov_b32_e32 v6, 0
	v_addc_co_u32_e64 v5, s[2:3], v7, v5, s[2:3]
	v_mov_b32_e32 v7, 0
	v_mov_b32_e32 v8, 0
	;; [unrolled: 1-line block ×3, first 2 shown]
	s_branch .LBB65_3
.LBB65_2:                               ;   in Loop: Header=BB65_3 Depth=1
	s_or_b64 exec, exec, s[2:3]
	s_waitcnt vmcnt(0)
	ds_write_b32 v12, v16
	s_waitcnt lgkmcnt(0)
	s_barrier
	ds_read_b128 v[16:19], v15
	ds_read2_b32 v[20:21], v14 offset1:16
	ds_read2_b32 v[22:23], v14 offset0:32 offset1:48
	ds_read2_b32 v[24:25], v14 offset0:64 offset1:80
	;; [unrolled: 1-line block ×3, first 2 shown]
	v_add_co_u32_e64 v2, s[2:3], 32, v2
	s_waitcnt lgkmcnt(3)
	v_fmac_f32_e32 v13, v20, v16
	v_fmac_f32_e32 v8, v21, v16
	s_waitcnt lgkmcnt(2)
	v_fmac_f32_e32 v13, v22, v17
	v_fmac_f32_e32 v8, v23, v17
	;; [unrolled: 3-line block ×4, first 2 shown]
	ds_read_b128 v[16:19], v15 offset:512
	v_addc_co_u32_e64 v3, s[2:3], 0, v3, s[2:3]
	s_add_i32 s9, s9, 8
	v_add_co_u32_e64 v4, s[2:3], 32, v4
	s_waitcnt lgkmcnt(0)
	v_fmac_f32_e32 v7, v20, v16
	v_fmac_f32_e32 v6, v21, v16
	;; [unrolled: 1-line block ×8, first 2 shown]
	ds_read_b128 v[16:19], v15 offset:16
	ds_read2_b32 v[20:21], v14 offset0:128 offset1:144
	ds_read2_b32 v[22:23], v14 offset0:160 offset1:176
	;; [unrolled: 1-line block ×4, first 2 shown]
	s_cmp_ge_i32 s9, s13
	s_waitcnt lgkmcnt(3)
	v_fmac_f32_e32 v13, v20, v16
	v_fmac_f32_e32 v8, v21, v16
	s_waitcnt lgkmcnt(2)
	v_fmac_f32_e32 v13, v22, v17
	v_fmac_f32_e32 v8, v23, v17
	;; [unrolled: 3-line block ×4, first 2 shown]
	ds_read_b128 v[16:19], v15 offset:528
	v_addc_co_u32_e64 v5, s[2:3], 0, v5, s[2:3]
	s_waitcnt lgkmcnt(0)
	s_barrier
	v_fmac_f32_e32 v7, v20, v16
	v_fmac_f32_e32 v6, v21, v16
	;; [unrolled: 1-line block ×8, first 2 shown]
	s_cbranch_scc1 .LBB65_8
.LBB65_3:                               ; =>This Inner Loop Header: Depth=1
	v_add_u32_e32 v16, s9, v10
	v_cmp_gt_i32_e64 s[2:3], s13, v16
	s_and_b64 s[10:11], vcc, s[2:3]
	v_mov_b32_e32 v16, 0
	s_and_saveexec_b64 s[2:3], s[10:11]
	s_cbranch_execz .LBB65_5
; %bb.4:                                ;   in Loop: Header=BB65_3 Depth=1
	global_load_dword v16, v[2:3], off
.LBB65_5:                               ;   in Loop: Header=BB65_3 Depth=1
	s_or_b64 exec, exec, s[2:3]
	s_waitcnt vmcnt(0)
	ds_write_b32 v11, v16
	v_add_u32_e32 v16, s9, v9
	v_cmp_gt_i32_e64 s[2:3], s13, v16
	s_and_b64 s[10:11], s[2:3], s[0:1]
	v_mov_b32_e32 v16, 0
	s_and_saveexec_b64 s[2:3], s[10:11]
	s_cbranch_execz .LBB65_2
; %bb.6:                                ;   in Loop: Header=BB65_3 Depth=1
	global_load_dword v16, v[4:5], off
	s_branch .LBB65_2
.LBB65_7:
	v_mov_b32_e32 v13, 0
	v_mov_b32_e32 v8, 0
	;; [unrolled: 1-line block ×4, first 2 shown]
.LBB65_8:
	s_load_dwordx2 s[0:1], s[4:5], 0x58
	s_load_dwordx2 s[2:3], s[4:5], 0x48
	s_load_dword s9, s[4:5], 0x50
	v_add_u32_e32 v4, s7, v1
	v_add_u32_e32 v0, s6, v0
	s_waitcnt lgkmcnt(0)
	s_mul_i32 s1, s1, s8
	s_mul_hi_u32 s4, s0, s8
	v_mad_i64_i32 v[1:2], s[10:11], v4, s9, 0
	s_mul_i32 s0, s0, s8
	s_add_i32 s1, s4, s1
	s_lshl_b64 s[0:1], s[0:1], 2
	s_add_u32 s4, s2, s0
	v_lshlrev_b64 v[1:2], 2, v[1:2]
	s_addc_u32 s5, s3, s1
	v_mov_b32_e32 v3, s5
	v_add_co_u32_e64 v5, s[0:1], s4, v1
	v_addc_co_u32_e64 v9, s[0:1], v3, v2, s[0:1]
	v_cmp_gt_i32_e32 vcc, s12, v4
	v_cmp_le_i32_e64 s[0:1], v0, v4
	s_and_b64 s[0:1], vcc, s[0:1]
	s_and_saveexec_b64 s[2:3], s[0:1]
	s_cbranch_execz .LBB65_10
; %bb.9:
	v_ashrrev_i32_e32 v1, 31, v0
	v_lshlrev_b64 v[1:2], 2, v[0:1]
	v_mul_f32_e32 v3, s14, v13
	v_add_co_u32_e64 v1, s[0:1], v5, v1
	v_addc_co_u32_e64 v2, s[0:1], v9, v2, s[0:1]
	global_store_dword v[1:2], v3, off
.LBB65_10:
	s_or_b64 exec, exec, s[2:3]
	v_add_u32_e32 v2, 16, v0
	v_cmp_le_i32_e64 s[0:1], v2, v4
	s_and_b64 s[2:3], vcc, s[0:1]
	s_and_saveexec_b64 s[0:1], s[2:3]
	s_cbranch_execz .LBB65_12
; %bb.11:
	v_ashrrev_i32_e32 v3, 31, v2
	v_lshlrev_b64 v[10:11], 2, v[2:3]
	v_mul_f32_e32 v1, s14, v8
	v_add_co_u32_e32 v8, vcc, v5, v10
	v_addc_co_u32_e32 v9, vcc, v9, v11, vcc
	global_store_dword v[8:9], v1, off
.LBB65_12:
	s_or_b64 exec, exec, s[0:1]
	v_add_u32_e32 v3, 16, v4
	v_mad_i64_i32 v[4:5], s[0:1], v3, s9, 0
	v_mov_b32_e32 v1, s5
	v_cmp_gt_i32_e32 vcc, s12, v3
	v_lshlrev_b64 v[4:5], 2, v[4:5]
	v_add_co_u32_e64 v4, s[0:1], s4, v4
	v_addc_co_u32_e64 v5, s[0:1], v1, v5, s[0:1]
	v_cmp_le_i32_e64 s[0:1], v0, v3
	s_and_b64 s[0:1], vcc, s[0:1]
	s_and_saveexec_b64 s[2:3], s[0:1]
	s_cbranch_execz .LBB65_14
; %bb.13:
	v_ashrrev_i32_e32 v1, 31, v0
	v_lshlrev_b64 v[0:1], 2, v[0:1]
	v_mul_f32_e32 v7, s14, v7
	v_add_co_u32_e64 v0, s[0:1], v4, v0
	v_addc_co_u32_e64 v1, s[0:1], v5, v1, s[0:1]
	global_store_dword v[0:1], v7, off
.LBB65_14:
	s_or_b64 exec, exec, s[2:3]
	v_cmp_le_i32_e64 s[0:1], v2, v3
	s_and_b64 s[0:1], vcc, s[0:1]
	s_and_saveexec_b64 s[2:3], s[0:1]
	s_cbranch_execz .LBB65_16
; %bb.15:
	v_ashrrev_i32_e32 v3, 31, v2
	v_lshlrev_b64 v[0:1], 2, v[2:3]
	v_mul_f32_e32 v6, s14, v6
	v_add_co_u32_e32 v0, vcc, v4, v0
	v_addc_co_u32_e32 v1, vcc, v5, v1, vcc
	global_store_dword v[0:1], v6, off
.LBB65_16:
	s_endpgm
	.section	.rodata,"a",@progbits
	.p2align	6, 0x0
	.amdhsa_kernel _ZL34rocblas_syrkx_herkx_general_kernelIifLi16ELi32ELi8ELb1ELb0ELc84ELc85EKffEviT_T0_PT8_S1_lS4_S1_lS2_PT9_S1_li
		.amdhsa_group_segment_fixed_size 2048
		.amdhsa_private_segment_fixed_size 0
		.amdhsa_kernarg_size 100
		.amdhsa_user_sgpr_count 6
		.amdhsa_user_sgpr_private_segment_buffer 1
		.amdhsa_user_sgpr_dispatch_ptr 0
		.amdhsa_user_sgpr_queue_ptr 0
		.amdhsa_user_sgpr_kernarg_segment_ptr 1
		.amdhsa_user_sgpr_dispatch_id 0
		.amdhsa_user_sgpr_flat_scratch_init 0
		.amdhsa_user_sgpr_private_segment_size 0
		.amdhsa_uses_dynamic_stack 0
		.amdhsa_system_sgpr_private_segment_wavefront_offset 0
		.amdhsa_system_sgpr_workgroup_id_x 1
		.amdhsa_system_sgpr_workgroup_id_y 1
		.amdhsa_system_sgpr_workgroup_id_z 1
		.amdhsa_system_sgpr_workgroup_info 0
		.amdhsa_system_vgpr_workitem_id 1
		.amdhsa_next_free_vgpr 28
		.amdhsa_next_free_sgpr 22
		.amdhsa_reserve_vcc 1
		.amdhsa_reserve_flat_scratch 0
		.amdhsa_float_round_mode_32 0
		.amdhsa_float_round_mode_16_64 0
		.amdhsa_float_denorm_mode_32 3
		.amdhsa_float_denorm_mode_16_64 3
		.amdhsa_dx10_clamp 1
		.amdhsa_ieee_mode 1
		.amdhsa_fp16_overflow 0
		.amdhsa_exception_fp_ieee_invalid_op 0
		.amdhsa_exception_fp_denorm_src 0
		.amdhsa_exception_fp_ieee_div_zero 0
		.amdhsa_exception_fp_ieee_overflow 0
		.amdhsa_exception_fp_ieee_underflow 0
		.amdhsa_exception_fp_ieee_inexact 0
		.amdhsa_exception_int_div_zero 0
	.end_amdhsa_kernel
	.section	.text._ZL34rocblas_syrkx_herkx_general_kernelIifLi16ELi32ELi8ELb1ELb0ELc84ELc85EKffEviT_T0_PT8_S1_lS4_S1_lS2_PT9_S1_li,"axG",@progbits,_ZL34rocblas_syrkx_herkx_general_kernelIifLi16ELi32ELi8ELb1ELb0ELc84ELc85EKffEviT_T0_PT8_S1_lS4_S1_lS2_PT9_S1_li,comdat
.Lfunc_end65:
	.size	_ZL34rocblas_syrkx_herkx_general_kernelIifLi16ELi32ELi8ELb1ELb0ELc84ELc85EKffEviT_T0_PT8_S1_lS4_S1_lS2_PT9_S1_li, .Lfunc_end65-_ZL34rocblas_syrkx_herkx_general_kernelIifLi16ELi32ELi8ELb1ELb0ELc84ELc85EKffEviT_T0_PT8_S1_lS4_S1_lS2_PT9_S1_li
                                        ; -- End function
	.set _ZL34rocblas_syrkx_herkx_general_kernelIifLi16ELi32ELi8ELb1ELb0ELc84ELc85EKffEviT_T0_PT8_S1_lS4_S1_lS2_PT9_S1_li.num_vgpr, 28
	.set _ZL34rocblas_syrkx_herkx_general_kernelIifLi16ELi32ELi8ELb1ELb0ELc84ELc85EKffEviT_T0_PT8_S1_lS4_S1_lS2_PT9_S1_li.num_agpr, 0
	.set _ZL34rocblas_syrkx_herkx_general_kernelIifLi16ELi32ELi8ELb1ELb0ELc84ELc85EKffEviT_T0_PT8_S1_lS4_S1_lS2_PT9_S1_li.numbered_sgpr, 22
	.set _ZL34rocblas_syrkx_herkx_general_kernelIifLi16ELi32ELi8ELb1ELb0ELc84ELc85EKffEviT_T0_PT8_S1_lS4_S1_lS2_PT9_S1_li.num_named_barrier, 0
	.set _ZL34rocblas_syrkx_herkx_general_kernelIifLi16ELi32ELi8ELb1ELb0ELc84ELc85EKffEviT_T0_PT8_S1_lS4_S1_lS2_PT9_S1_li.private_seg_size, 0
	.set _ZL34rocblas_syrkx_herkx_general_kernelIifLi16ELi32ELi8ELb1ELb0ELc84ELc85EKffEviT_T0_PT8_S1_lS4_S1_lS2_PT9_S1_li.uses_vcc, 1
	.set _ZL34rocblas_syrkx_herkx_general_kernelIifLi16ELi32ELi8ELb1ELb0ELc84ELc85EKffEviT_T0_PT8_S1_lS4_S1_lS2_PT9_S1_li.uses_flat_scratch, 0
	.set _ZL34rocblas_syrkx_herkx_general_kernelIifLi16ELi32ELi8ELb1ELb0ELc84ELc85EKffEviT_T0_PT8_S1_lS4_S1_lS2_PT9_S1_li.has_dyn_sized_stack, 0
	.set _ZL34rocblas_syrkx_herkx_general_kernelIifLi16ELi32ELi8ELb1ELb0ELc84ELc85EKffEviT_T0_PT8_S1_lS4_S1_lS2_PT9_S1_li.has_recursion, 0
	.set _ZL34rocblas_syrkx_herkx_general_kernelIifLi16ELi32ELi8ELb1ELb0ELc84ELc85EKffEviT_T0_PT8_S1_lS4_S1_lS2_PT9_S1_li.has_indirect_call, 0
	.section	.AMDGPU.csdata,"",@progbits
; Kernel info:
; codeLenInByte = 1220
; TotalNumSgprs: 26
; NumVgprs: 28
; ScratchSize: 0
; MemoryBound: 0
; FloatMode: 240
; IeeeMode: 1
; LDSByteSize: 2048 bytes/workgroup (compile time only)
; SGPRBlocks: 3
; VGPRBlocks: 6
; NumSGPRsForWavesPerEU: 26
; NumVGPRsForWavesPerEU: 28
; Occupancy: 9
; WaveLimiterHint : 0
; COMPUTE_PGM_RSRC2:SCRATCH_EN: 0
; COMPUTE_PGM_RSRC2:USER_SGPR: 6
; COMPUTE_PGM_RSRC2:TRAP_HANDLER: 0
; COMPUTE_PGM_RSRC2:TGID_X_EN: 1
; COMPUTE_PGM_RSRC2:TGID_Y_EN: 1
; COMPUTE_PGM_RSRC2:TGID_Z_EN: 1
; COMPUTE_PGM_RSRC2:TIDIG_COMP_CNT: 1
	.section	.text._ZL34rocblas_syrkx_herkx_general_kernelIifLi16ELi32ELi8ELb1ELb0ELc67ELc85EKffEviT_T0_PT8_S1_lS4_S1_lS2_PT9_S1_li,"axG",@progbits,_ZL34rocblas_syrkx_herkx_general_kernelIifLi16ELi32ELi8ELb1ELb0ELc67ELc85EKffEviT_T0_PT8_S1_lS4_S1_lS2_PT9_S1_li,comdat
	.globl	_ZL34rocblas_syrkx_herkx_general_kernelIifLi16ELi32ELi8ELb1ELb0ELc67ELc85EKffEviT_T0_PT8_S1_lS4_S1_lS2_PT9_S1_li ; -- Begin function _ZL34rocblas_syrkx_herkx_general_kernelIifLi16ELi32ELi8ELb1ELb0ELc67ELc85EKffEviT_T0_PT8_S1_lS4_S1_lS2_PT9_S1_li
	.p2align	8
	.type	_ZL34rocblas_syrkx_herkx_general_kernelIifLi16ELi32ELi8ELb1ELb0ELc67ELc85EKffEviT_T0_PT8_S1_lS4_S1_lS2_PT9_S1_li,@function
_ZL34rocblas_syrkx_herkx_general_kernelIifLi16ELi32ELi8ELb1ELb0ELc67ELc85EKffEviT_T0_PT8_S1_lS4_S1_lS2_PT9_S1_li: ; @_ZL34rocblas_syrkx_herkx_general_kernelIifLi16ELi32ELi8ELb1ELb0ELc67ELc85EKffEviT_T0_PT8_S1_lS4_S1_lS2_PT9_S1_li
; %bb.0:
	s_load_dwordx4 s[12:15], s[4:5], 0x0
	s_lshl_b32 s6, s6, 5
	s_lshl_b32 s7, s7, 5
	s_mov_b32 s9, 0
	s_waitcnt lgkmcnt(0)
	s_cmp_lt_i32 s13, 1
	s_cbranch_scc1 .LBB66_7
; %bb.1:
	v_lshl_add_u32 v2, v1, 4, v0
	v_and_b32_e32 v9, 7, v0
	v_lshrrev_b32_e32 v10, 5, v2
	v_lshrrev_b32_e32 v3, 3, v2
	v_and_b32_e32 v2, 31, v2
	s_load_dwordx2 s[10:11], s[4:5], 0x10
	s_load_dword s2, s[4:5], 0x18
	s_load_dwordx4 s[16:19], s[4:5], 0x20
	s_load_dword s15, s[4:5], 0x30
	s_load_dwordx2 s[20:21], s[4:5], 0x38
	v_or_b32_e32 v5, s6, v2
	v_lshlrev_b32_e32 v7, 2, v9
	v_add_u32_e32 v4, s7, v3
	v_cmp_gt_i32_e32 vcc, s12, v5
	v_lshlrev_b32_e32 v5, 2, v2
	v_lshl_or_b32 v3, v3, 5, v7
	v_add_u32_e32 v2, s6, v2
	v_add_u32_e32 v12, 0x400, v3
	s_waitcnt lgkmcnt(0)
	v_mad_i64_i32 v[2:3], s[2:3], s2, v2, 0
	s_mul_i32 s2, s17, s8
	s_mul_hi_u32 s3, s16, s8
	v_lshlrev_b64 v[2:3], 2, v[2:3]
	s_add_i32 s3, s3, s2
	s_mul_i32 s2, s16, s8
	v_lshl_or_b32 v11, v10, 7, v5
	v_mov_b32_e32 v5, 0x400
	s_lshl_b64 s[2:3], s[2:3], 2
	v_lshl_add_u32 v15, v1, 5, v5
	v_mov_b32_e32 v5, s3
	v_add_co_u32_e64 v2, s[2:3], s2, v2
	v_addc_co_u32_e64 v3, s[2:3], v3, v5, s[2:3]
	v_lshlrev_b32_e32 v5, 2, v10
	v_add_co_u32_e64 v2, s[2:3], v2, v5
	v_cmp_gt_i32_e64 s[0:1], s12, v4
	v_addc_co_u32_e64 v3, s[2:3], 0, v3, s[2:3]
	v_mad_i64_i32 v[4:5], s[2:3], s15, v4, 0
	v_mov_b32_e32 v8, s11
	v_add_co_u32_e64 v2, s[2:3], s10, v2
	v_addc_co_u32_e64 v3, s[2:3], v8, v3, s[2:3]
	s_mul_i32 s2, s21, s8
	s_mul_hi_u32 s3, s20, s8
	v_lshlrev_b64 v[4:5], 2, v[4:5]
	s_add_i32 s3, s3, s2
	s_mul_i32 s2, s20, s8
	s_lshl_b64 s[2:3], s[2:3], 2
	v_mov_b32_e32 v8, s3
	v_add_co_u32_e64 v4, s[2:3], s2, v4
	v_addc_co_u32_e64 v5, s[2:3], v5, v8, s[2:3]
	v_add_co_u32_e64 v4, s[2:3], v4, v7
	v_addc_co_u32_e64 v5, s[2:3], 0, v5, s[2:3]
	v_mov_b32_e32 v7, s19
	v_add_co_u32_e64 v4, s[2:3], s18, v4
	v_lshlrev_b32_e32 v14, 2, v0
	v_mov_b32_e32 v6, 0
	v_addc_co_u32_e64 v5, s[2:3], v7, v5, s[2:3]
	v_mov_b32_e32 v7, 0
	v_mov_b32_e32 v8, 0
	;; [unrolled: 1-line block ×3, first 2 shown]
	s_branch .LBB66_3
.LBB66_2:                               ;   in Loop: Header=BB66_3 Depth=1
	s_or_b64 exec, exec, s[2:3]
	s_waitcnt vmcnt(0)
	ds_write_b32 v12, v16
	s_waitcnt lgkmcnt(0)
	s_barrier
	ds_read_b128 v[16:19], v15
	ds_read2_b32 v[20:21], v14 offset1:16
	ds_read2_b32 v[22:23], v14 offset0:32 offset1:48
	ds_read2_b32 v[24:25], v14 offset0:64 offset1:80
	;; [unrolled: 1-line block ×3, first 2 shown]
	v_add_co_u32_e64 v2, s[2:3], 32, v2
	s_waitcnt lgkmcnt(3)
	v_fmac_f32_e32 v13, v20, v16
	v_fmac_f32_e32 v8, v21, v16
	s_waitcnt lgkmcnt(2)
	v_fmac_f32_e32 v13, v22, v17
	v_fmac_f32_e32 v8, v23, v17
	;; [unrolled: 3-line block ×4, first 2 shown]
	ds_read_b128 v[16:19], v15 offset:512
	v_addc_co_u32_e64 v3, s[2:3], 0, v3, s[2:3]
	s_add_i32 s9, s9, 8
	v_add_co_u32_e64 v4, s[2:3], 32, v4
	s_waitcnt lgkmcnt(0)
	v_fmac_f32_e32 v7, v20, v16
	v_fmac_f32_e32 v6, v21, v16
	;; [unrolled: 1-line block ×8, first 2 shown]
	ds_read_b128 v[16:19], v15 offset:16
	ds_read2_b32 v[20:21], v14 offset0:128 offset1:144
	ds_read2_b32 v[22:23], v14 offset0:160 offset1:176
	;; [unrolled: 1-line block ×4, first 2 shown]
	s_cmp_ge_i32 s9, s13
	s_waitcnt lgkmcnt(3)
	v_fmac_f32_e32 v13, v20, v16
	v_fmac_f32_e32 v8, v21, v16
	s_waitcnt lgkmcnt(2)
	v_fmac_f32_e32 v13, v22, v17
	v_fmac_f32_e32 v8, v23, v17
	;; [unrolled: 3-line block ×4, first 2 shown]
	ds_read_b128 v[16:19], v15 offset:528
	v_addc_co_u32_e64 v5, s[2:3], 0, v5, s[2:3]
	s_waitcnt lgkmcnt(0)
	s_barrier
	v_fmac_f32_e32 v7, v20, v16
	v_fmac_f32_e32 v6, v21, v16
	;; [unrolled: 1-line block ×8, first 2 shown]
	s_cbranch_scc1 .LBB66_8
.LBB66_3:                               ; =>This Inner Loop Header: Depth=1
	v_add_u32_e32 v16, s9, v10
	v_cmp_gt_i32_e64 s[2:3], s13, v16
	s_and_b64 s[10:11], vcc, s[2:3]
	v_mov_b32_e32 v16, 0
	s_and_saveexec_b64 s[2:3], s[10:11]
	s_cbranch_execz .LBB66_5
; %bb.4:                                ;   in Loop: Header=BB66_3 Depth=1
	global_load_dword v16, v[2:3], off
.LBB66_5:                               ;   in Loop: Header=BB66_3 Depth=1
	s_or_b64 exec, exec, s[2:3]
	s_waitcnt vmcnt(0)
	ds_write_b32 v11, v16
	v_add_u32_e32 v16, s9, v9
	v_cmp_gt_i32_e64 s[2:3], s13, v16
	s_and_b64 s[10:11], s[2:3], s[0:1]
	v_mov_b32_e32 v16, 0
	s_and_saveexec_b64 s[2:3], s[10:11]
	s_cbranch_execz .LBB66_2
; %bb.6:                                ;   in Loop: Header=BB66_3 Depth=1
	global_load_dword v16, v[4:5], off
	s_branch .LBB66_2
.LBB66_7:
	v_mov_b32_e32 v13, 0
	v_mov_b32_e32 v8, 0
	;; [unrolled: 1-line block ×4, first 2 shown]
.LBB66_8:
	s_load_dwordx2 s[0:1], s[4:5], 0x58
	s_load_dwordx2 s[2:3], s[4:5], 0x48
	s_load_dword s9, s[4:5], 0x50
	v_add_u32_e32 v4, s7, v1
	v_add_u32_e32 v0, s6, v0
	s_waitcnt lgkmcnt(0)
	s_mul_i32 s1, s1, s8
	s_mul_hi_u32 s4, s0, s8
	v_mad_i64_i32 v[1:2], s[10:11], v4, s9, 0
	s_mul_i32 s0, s0, s8
	s_add_i32 s1, s4, s1
	s_lshl_b64 s[0:1], s[0:1], 2
	s_add_u32 s4, s2, s0
	v_lshlrev_b64 v[1:2], 2, v[1:2]
	s_addc_u32 s5, s3, s1
	v_mov_b32_e32 v3, s5
	v_add_co_u32_e64 v5, s[0:1], s4, v1
	v_addc_co_u32_e64 v9, s[0:1], v3, v2, s[0:1]
	v_cmp_gt_i32_e32 vcc, s12, v4
	v_cmp_le_i32_e64 s[0:1], v0, v4
	s_and_b64 s[0:1], vcc, s[0:1]
	s_and_saveexec_b64 s[2:3], s[0:1]
	s_cbranch_execz .LBB66_10
; %bb.9:
	v_ashrrev_i32_e32 v1, 31, v0
	v_lshlrev_b64 v[1:2], 2, v[0:1]
	v_mul_f32_e32 v3, s14, v13
	v_add_co_u32_e64 v1, s[0:1], v5, v1
	v_addc_co_u32_e64 v2, s[0:1], v9, v2, s[0:1]
	global_store_dword v[1:2], v3, off
.LBB66_10:
	s_or_b64 exec, exec, s[2:3]
	v_add_u32_e32 v2, 16, v0
	v_cmp_le_i32_e64 s[0:1], v2, v4
	s_and_b64 s[2:3], vcc, s[0:1]
	s_and_saveexec_b64 s[0:1], s[2:3]
	s_cbranch_execz .LBB66_12
; %bb.11:
	v_ashrrev_i32_e32 v3, 31, v2
	v_lshlrev_b64 v[10:11], 2, v[2:3]
	v_mul_f32_e32 v1, s14, v8
	v_add_co_u32_e32 v8, vcc, v5, v10
	v_addc_co_u32_e32 v9, vcc, v9, v11, vcc
	global_store_dword v[8:9], v1, off
.LBB66_12:
	s_or_b64 exec, exec, s[0:1]
	v_add_u32_e32 v3, 16, v4
	v_mad_i64_i32 v[4:5], s[0:1], v3, s9, 0
	v_mov_b32_e32 v1, s5
	v_cmp_gt_i32_e32 vcc, s12, v3
	v_lshlrev_b64 v[4:5], 2, v[4:5]
	v_add_co_u32_e64 v4, s[0:1], s4, v4
	v_addc_co_u32_e64 v5, s[0:1], v1, v5, s[0:1]
	v_cmp_le_i32_e64 s[0:1], v0, v3
	s_and_b64 s[0:1], vcc, s[0:1]
	s_and_saveexec_b64 s[2:3], s[0:1]
	s_cbranch_execz .LBB66_14
; %bb.13:
	v_ashrrev_i32_e32 v1, 31, v0
	v_lshlrev_b64 v[0:1], 2, v[0:1]
	v_mul_f32_e32 v7, s14, v7
	v_add_co_u32_e64 v0, s[0:1], v4, v0
	v_addc_co_u32_e64 v1, s[0:1], v5, v1, s[0:1]
	global_store_dword v[0:1], v7, off
.LBB66_14:
	s_or_b64 exec, exec, s[2:3]
	v_cmp_le_i32_e64 s[0:1], v2, v3
	s_and_b64 s[0:1], vcc, s[0:1]
	s_and_saveexec_b64 s[2:3], s[0:1]
	s_cbranch_execz .LBB66_16
; %bb.15:
	v_ashrrev_i32_e32 v3, 31, v2
	v_lshlrev_b64 v[0:1], 2, v[2:3]
	v_mul_f32_e32 v6, s14, v6
	v_add_co_u32_e32 v0, vcc, v4, v0
	v_addc_co_u32_e32 v1, vcc, v5, v1, vcc
	global_store_dword v[0:1], v6, off
.LBB66_16:
	s_endpgm
	.section	.rodata,"a",@progbits
	.p2align	6, 0x0
	.amdhsa_kernel _ZL34rocblas_syrkx_herkx_general_kernelIifLi16ELi32ELi8ELb1ELb0ELc67ELc85EKffEviT_T0_PT8_S1_lS4_S1_lS2_PT9_S1_li
		.amdhsa_group_segment_fixed_size 2048
		.amdhsa_private_segment_fixed_size 0
		.amdhsa_kernarg_size 100
		.amdhsa_user_sgpr_count 6
		.amdhsa_user_sgpr_private_segment_buffer 1
		.amdhsa_user_sgpr_dispatch_ptr 0
		.amdhsa_user_sgpr_queue_ptr 0
		.amdhsa_user_sgpr_kernarg_segment_ptr 1
		.amdhsa_user_sgpr_dispatch_id 0
		.amdhsa_user_sgpr_flat_scratch_init 0
		.amdhsa_user_sgpr_private_segment_size 0
		.amdhsa_uses_dynamic_stack 0
		.amdhsa_system_sgpr_private_segment_wavefront_offset 0
		.amdhsa_system_sgpr_workgroup_id_x 1
		.amdhsa_system_sgpr_workgroup_id_y 1
		.amdhsa_system_sgpr_workgroup_id_z 1
		.amdhsa_system_sgpr_workgroup_info 0
		.amdhsa_system_vgpr_workitem_id 1
		.amdhsa_next_free_vgpr 28
		.amdhsa_next_free_sgpr 22
		.amdhsa_reserve_vcc 1
		.amdhsa_reserve_flat_scratch 0
		.amdhsa_float_round_mode_32 0
		.amdhsa_float_round_mode_16_64 0
		.amdhsa_float_denorm_mode_32 3
		.amdhsa_float_denorm_mode_16_64 3
		.amdhsa_dx10_clamp 1
		.amdhsa_ieee_mode 1
		.amdhsa_fp16_overflow 0
		.amdhsa_exception_fp_ieee_invalid_op 0
		.amdhsa_exception_fp_denorm_src 0
		.amdhsa_exception_fp_ieee_div_zero 0
		.amdhsa_exception_fp_ieee_overflow 0
		.amdhsa_exception_fp_ieee_underflow 0
		.amdhsa_exception_fp_ieee_inexact 0
		.amdhsa_exception_int_div_zero 0
	.end_amdhsa_kernel
	.section	.text._ZL34rocblas_syrkx_herkx_general_kernelIifLi16ELi32ELi8ELb1ELb0ELc67ELc85EKffEviT_T0_PT8_S1_lS4_S1_lS2_PT9_S1_li,"axG",@progbits,_ZL34rocblas_syrkx_herkx_general_kernelIifLi16ELi32ELi8ELb1ELb0ELc67ELc85EKffEviT_T0_PT8_S1_lS4_S1_lS2_PT9_S1_li,comdat
.Lfunc_end66:
	.size	_ZL34rocblas_syrkx_herkx_general_kernelIifLi16ELi32ELi8ELb1ELb0ELc67ELc85EKffEviT_T0_PT8_S1_lS4_S1_lS2_PT9_S1_li, .Lfunc_end66-_ZL34rocblas_syrkx_herkx_general_kernelIifLi16ELi32ELi8ELb1ELb0ELc67ELc85EKffEviT_T0_PT8_S1_lS4_S1_lS2_PT9_S1_li
                                        ; -- End function
	.set _ZL34rocblas_syrkx_herkx_general_kernelIifLi16ELi32ELi8ELb1ELb0ELc67ELc85EKffEviT_T0_PT8_S1_lS4_S1_lS2_PT9_S1_li.num_vgpr, 28
	.set _ZL34rocblas_syrkx_herkx_general_kernelIifLi16ELi32ELi8ELb1ELb0ELc67ELc85EKffEviT_T0_PT8_S1_lS4_S1_lS2_PT9_S1_li.num_agpr, 0
	.set _ZL34rocblas_syrkx_herkx_general_kernelIifLi16ELi32ELi8ELb1ELb0ELc67ELc85EKffEviT_T0_PT8_S1_lS4_S1_lS2_PT9_S1_li.numbered_sgpr, 22
	.set _ZL34rocblas_syrkx_herkx_general_kernelIifLi16ELi32ELi8ELb1ELb0ELc67ELc85EKffEviT_T0_PT8_S1_lS4_S1_lS2_PT9_S1_li.num_named_barrier, 0
	.set _ZL34rocblas_syrkx_herkx_general_kernelIifLi16ELi32ELi8ELb1ELb0ELc67ELc85EKffEviT_T0_PT8_S1_lS4_S1_lS2_PT9_S1_li.private_seg_size, 0
	.set _ZL34rocblas_syrkx_herkx_general_kernelIifLi16ELi32ELi8ELb1ELb0ELc67ELc85EKffEviT_T0_PT8_S1_lS4_S1_lS2_PT9_S1_li.uses_vcc, 1
	.set _ZL34rocblas_syrkx_herkx_general_kernelIifLi16ELi32ELi8ELb1ELb0ELc67ELc85EKffEviT_T0_PT8_S1_lS4_S1_lS2_PT9_S1_li.uses_flat_scratch, 0
	.set _ZL34rocblas_syrkx_herkx_general_kernelIifLi16ELi32ELi8ELb1ELb0ELc67ELc85EKffEviT_T0_PT8_S1_lS4_S1_lS2_PT9_S1_li.has_dyn_sized_stack, 0
	.set _ZL34rocblas_syrkx_herkx_general_kernelIifLi16ELi32ELi8ELb1ELb0ELc67ELc85EKffEviT_T0_PT8_S1_lS4_S1_lS2_PT9_S1_li.has_recursion, 0
	.set _ZL34rocblas_syrkx_herkx_general_kernelIifLi16ELi32ELi8ELb1ELb0ELc67ELc85EKffEviT_T0_PT8_S1_lS4_S1_lS2_PT9_S1_li.has_indirect_call, 0
	.section	.AMDGPU.csdata,"",@progbits
; Kernel info:
; codeLenInByte = 1220
; TotalNumSgprs: 26
; NumVgprs: 28
; ScratchSize: 0
; MemoryBound: 0
; FloatMode: 240
; IeeeMode: 1
; LDSByteSize: 2048 bytes/workgroup (compile time only)
; SGPRBlocks: 3
; VGPRBlocks: 6
; NumSGPRsForWavesPerEU: 26
; NumVGPRsForWavesPerEU: 28
; Occupancy: 9
; WaveLimiterHint : 0
; COMPUTE_PGM_RSRC2:SCRATCH_EN: 0
; COMPUTE_PGM_RSRC2:USER_SGPR: 6
; COMPUTE_PGM_RSRC2:TRAP_HANDLER: 0
; COMPUTE_PGM_RSRC2:TGID_X_EN: 1
; COMPUTE_PGM_RSRC2:TGID_Y_EN: 1
; COMPUTE_PGM_RSRC2:TGID_Z_EN: 1
; COMPUTE_PGM_RSRC2:TIDIG_COMP_CNT: 1
	.section	.text._ZL34rocblas_syrkx_herkx_general_kernelIifLi16ELi32ELi8ELb1ELb0ELc78ELc85EKffEviT_T0_PT8_S1_lS4_S1_lS2_PT9_S1_li,"axG",@progbits,_ZL34rocblas_syrkx_herkx_general_kernelIifLi16ELi32ELi8ELb1ELb0ELc78ELc85EKffEviT_T0_PT8_S1_lS4_S1_lS2_PT9_S1_li,comdat
	.globl	_ZL34rocblas_syrkx_herkx_general_kernelIifLi16ELi32ELi8ELb1ELb0ELc78ELc85EKffEviT_T0_PT8_S1_lS4_S1_lS2_PT9_S1_li ; -- Begin function _ZL34rocblas_syrkx_herkx_general_kernelIifLi16ELi32ELi8ELb1ELb0ELc78ELc85EKffEviT_T0_PT8_S1_lS4_S1_lS2_PT9_S1_li
	.p2align	8
	.type	_ZL34rocblas_syrkx_herkx_general_kernelIifLi16ELi32ELi8ELb1ELb0ELc78ELc85EKffEviT_T0_PT8_S1_lS4_S1_lS2_PT9_S1_li,@function
_ZL34rocblas_syrkx_herkx_general_kernelIifLi16ELi32ELi8ELb1ELb0ELc78ELc85EKffEviT_T0_PT8_S1_lS4_S1_lS2_PT9_S1_li: ; @_ZL34rocblas_syrkx_herkx_general_kernelIifLi16ELi32ELi8ELb1ELb0ELc78ELc85EKffEviT_T0_PT8_S1_lS4_S1_lS2_PT9_S1_li
; %bb.0:
	s_load_dwordx4 s[12:15], s[4:5], 0x0
	s_lshl_b32 s9, s6, 5
	s_waitcnt lgkmcnt(0)
	s_lshl_b32 s15, s7, 5
	s_mov_b32 s20, 0
	s_cmp_lt_i32 s13, 1
	s_cbranch_scc1 .LBB67_7
; %bb.1:
	v_lshl_add_u32 v2, v1, 4, v0
	v_and_b32_e32 v6, 31, v2
	v_lshrrev_b32_e32 v9, 5, v2
	v_lshrrev_b32_e32 v3, 3, v2
	v_or_b32_e32 v2, s9, v6
	v_and_b32_e32 v8, 7, v0
	v_cmp_gt_i32_e32 vcc, s12, v2
	v_lshlrev_b32_e32 v2, 2, v6
	v_lshl_or_b32 v11, v9, 7, v2
	v_lshlrev_b32_e32 v2, 2, v8
	s_load_dword s6, s[4:5], 0x18
	s_load_dword s10, s[4:5], 0x30
	s_load_dwordx2 s[22:23], s[4:5], 0x10
	s_load_dwordx4 s[16:19], s[4:5], 0x20
	s_load_dwordx2 s[24:25], s[4:5], 0x38
	v_lshl_or_b32 v2, v3, 5, v2
	v_add_u32_e32 v4, s15, v3
	v_add_u32_e32 v12, 0x400, v2
	s_waitcnt lgkmcnt(0)
	v_mad_i64_i32 v[2:3], s[2:3], v9, s6, 0
	s_mul_i32 s2, s17, s8
	s_mul_hi_u32 s3, s16, s8
	v_lshlrev_b64 v[2:3], 2, v[2:3]
	s_add_i32 s3, s3, s2
	s_mul_i32 s2, s16, s8
	v_mov_b32_e32 v7, 0x400
	s_lshl_b64 s[2:3], s[2:3], 2
	v_lshl_add_u32 v14, v1, 5, v7
	v_mov_b32_e32 v7, s3
	v_add_co_u32_e64 v10, s[2:3], s2, v2
	v_add_u32_e32 v2, s9, v6
	v_addc_co_u32_e64 v7, s[2:3], v3, v7, s[2:3]
	v_ashrrev_i32_e32 v3, 31, v2
	v_lshlrev_b64 v[2:3], 2, v[2:3]
	v_mov_b32_e32 v6, s23
	v_add_co_u32_e64 v2, s[2:3], v10, v2
	v_addc_co_u32_e64 v3, s[2:3], v7, v3, s[2:3]
	v_add_co_u32_e64 v2, s[2:3], s22, v2
	v_addc_co_u32_e64 v3, s[2:3], v6, v3, s[2:3]
	v_mad_i64_i32 v[6:7], s[2:3], s10, v8, 0
	s_mul_i32 s16, s25, s8
	s_mul_hi_u32 s17, s24, s8
	s_add_i32 s3, s17, s16
	s_mul_i32 s2, s24, s8
	v_lshlrev_b64 v[6:7], 2, v[6:7]
	v_ashrrev_i32_e32 v5, 31, v4
	s_lshl_b64 s[2:3], s[2:3], 2
	v_cmp_gt_i32_e64 s[0:1], s12, v4
	v_mov_b32_e32 v10, s3
	v_add_co_u32_e64 v6, s[2:3], s2, v6
	v_lshlrev_b64 v[4:5], 2, v[4:5]
	v_addc_co_u32_e64 v7, s[2:3], v10, v7, s[2:3]
	v_add_co_u32_e64 v4, s[2:3], v6, v4
	v_addc_co_u32_e64 v5, s[2:3], v7, v5, s[2:3]
	s_ashr_i32 s7, s6, 31
	s_ashr_i32 s11, s10, 31
	v_mov_b32_e32 v6, s19
	v_add_co_u32_e64 v4, s[2:3], s18, v4
	v_lshlrev_b32_e32 v13, 2, v0
	s_lshl_b64 s[6:7], s[6:7], 5
	v_addc_co_u32_e64 v5, s[2:3], v6, v5, s[2:3]
	s_lshl_b64 s[10:11], s[10:11], 5
	v_mov_b32_e32 v6, 0
	v_mov_b32_e32 v7, 0
	;; [unrolled: 1-line block ×4, first 2 shown]
	s_branch .LBB67_3
.LBB67_2:                               ;   in Loop: Header=BB67_3 Depth=1
	s_or_b64 exec, exec, s[2:3]
	s_waitcnt vmcnt(0)
	ds_write_b32 v12, v16
	s_waitcnt lgkmcnt(0)
	s_barrier
	ds_read_b128 v[16:19], v14
	ds_read2_b32 v[20:21], v13 offset1:16
	ds_read2_b32 v[22:23], v13 offset0:32 offset1:48
	ds_read2_b32 v[24:25], v13 offset0:64 offset1:80
	;; [unrolled: 1-line block ×3, first 2 shown]
	v_add_co_u32_e64 v2, s[2:3], s6, v2
	s_waitcnt lgkmcnt(3)
	v_fmac_f32_e32 v15, v20, v16
	v_fmac_f32_e32 v10, v21, v16
	s_waitcnt lgkmcnt(2)
	v_fmac_f32_e32 v15, v22, v17
	v_fmac_f32_e32 v10, v23, v17
	;; [unrolled: 3-line block ×4, first 2 shown]
	ds_read_b128 v[16:19], v14 offset:512
	s_add_i32 s20, s20, 8
	s_cmp_ge_i32 s20, s13
	s_waitcnt lgkmcnt(0)
	v_fmac_f32_e32 v7, v20, v16
	v_fmac_f32_e32 v6, v21, v16
	v_fmac_f32_e32 v7, v22, v17
	v_fmac_f32_e32 v6, v23, v17
	v_fmac_f32_e32 v7, v24, v18
	v_fmac_f32_e32 v6, v25, v18
	v_fmac_f32_e32 v7, v26, v19
	v_fmac_f32_e32 v6, v27, v19
	ds_read_b128 v[16:19], v14 offset:16
	ds_read2_b32 v[20:21], v13 offset0:128 offset1:144
	ds_read2_b32 v[22:23], v13 offset0:160 offset1:176
	;; [unrolled: 1-line block ×4, first 2 shown]
	s_waitcnt lgkmcnt(3)
	v_fmac_f32_e32 v15, v20, v16
	v_fmac_f32_e32 v10, v21, v16
	s_waitcnt lgkmcnt(2)
	v_fmac_f32_e32 v15, v22, v17
	v_fmac_f32_e32 v10, v23, v17
	;; [unrolled: 3-line block ×4, first 2 shown]
	ds_read_b128 v[16:19], v14 offset:528
	s_waitcnt lgkmcnt(0)
	s_barrier
	v_fmac_f32_e32 v7, v20, v16
	v_fmac_f32_e32 v6, v21, v16
	v_mov_b32_e32 v16, s7
	v_fmac_f32_e32 v7, v22, v17
	v_fmac_f32_e32 v6, v23, v17
	v_addc_co_u32_e64 v3, s[2:3], v3, v16, s[2:3]
	v_fmac_f32_e32 v7, v24, v18
	v_fmac_f32_e32 v6, v25, v18
	v_add_co_u32_e64 v4, s[2:3], s10, v4
	v_mov_b32_e32 v16, s11
	v_fmac_f32_e32 v7, v26, v19
	v_fmac_f32_e32 v6, v27, v19
	v_addc_co_u32_e64 v5, s[2:3], v5, v16, s[2:3]
	s_cbranch_scc1 .LBB67_8
.LBB67_3:                               ; =>This Inner Loop Header: Depth=1
	v_add_u32_e32 v16, s20, v9
	v_cmp_gt_i32_e64 s[2:3], s13, v16
	s_and_b64 s[16:17], vcc, s[2:3]
	v_mov_b32_e32 v16, 0
	s_and_saveexec_b64 s[2:3], s[16:17]
	s_cbranch_execz .LBB67_5
; %bb.4:                                ;   in Loop: Header=BB67_3 Depth=1
	global_load_dword v16, v[2:3], off
.LBB67_5:                               ;   in Loop: Header=BB67_3 Depth=1
	s_or_b64 exec, exec, s[2:3]
	s_waitcnt vmcnt(0)
	ds_write_b32 v11, v16
	v_add_u32_e32 v16, s20, v8
	v_cmp_gt_i32_e64 s[2:3], s13, v16
	s_and_b64 s[16:17], s[2:3], s[0:1]
	v_mov_b32_e32 v16, 0
	s_and_saveexec_b64 s[2:3], s[16:17]
	s_cbranch_execz .LBB67_2
; %bb.6:                                ;   in Loop: Header=BB67_3 Depth=1
	global_load_dword v16, v[4:5], off
	s_branch .LBB67_2
.LBB67_7:
	v_mov_b32_e32 v15, 0
	v_mov_b32_e32 v10, 0
	;; [unrolled: 1-line block ×4, first 2 shown]
.LBB67_8:
	s_load_dwordx2 s[0:1], s[4:5], 0x58
	s_load_dwordx2 s[2:3], s[4:5], 0x48
	s_load_dword s6, s[4:5], 0x50
	v_add_u32_e32 v4, s15, v1
	v_add_u32_e32 v0, s9, v0
	s_waitcnt lgkmcnt(0)
	s_mul_i32 s1, s1, s8
	s_mul_hi_u32 s4, s0, s8
	v_mad_i64_i32 v[1:2], s[10:11], v4, s6, 0
	s_mul_i32 s0, s0, s8
	s_add_i32 s1, s4, s1
	s_lshl_b64 s[0:1], s[0:1], 2
	s_add_u32 s4, s2, s0
	v_lshlrev_b64 v[1:2], 2, v[1:2]
	s_addc_u32 s5, s3, s1
	v_mov_b32_e32 v3, s5
	v_add_co_u32_e64 v5, s[0:1], s4, v1
	v_addc_co_u32_e64 v8, s[0:1], v3, v2, s[0:1]
	v_cmp_gt_i32_e32 vcc, s12, v4
	v_cmp_le_i32_e64 s[0:1], v0, v4
	s_and_b64 s[0:1], vcc, s[0:1]
	s_and_saveexec_b64 s[2:3], s[0:1]
	s_cbranch_execz .LBB67_10
; %bb.9:
	v_ashrrev_i32_e32 v1, 31, v0
	v_lshlrev_b64 v[1:2], 2, v[0:1]
	v_mul_f32_e32 v3, s14, v15
	v_add_co_u32_e64 v1, s[0:1], v5, v1
	v_addc_co_u32_e64 v2, s[0:1], v8, v2, s[0:1]
	global_store_dword v[1:2], v3, off
.LBB67_10:
	s_or_b64 exec, exec, s[2:3]
	v_add_u32_e32 v2, 16, v0
	v_cmp_le_i32_e64 s[0:1], v2, v4
	s_and_b64 s[2:3], vcc, s[0:1]
	s_and_saveexec_b64 s[0:1], s[2:3]
	s_cbranch_execz .LBB67_12
; %bb.11:
	v_ashrrev_i32_e32 v3, 31, v2
	v_mul_f32_e32 v1, s14, v10
	v_lshlrev_b64 v[9:10], 2, v[2:3]
	v_add_co_u32_e32 v9, vcc, v5, v9
	v_addc_co_u32_e32 v10, vcc, v8, v10, vcc
	global_store_dword v[9:10], v1, off
.LBB67_12:
	s_or_b64 exec, exec, s[0:1]
	v_add_u32_e32 v3, 16, v4
	v_mad_i64_i32 v[4:5], s[0:1], v3, s6, 0
	v_mov_b32_e32 v1, s5
	v_cmp_gt_i32_e32 vcc, s12, v3
	v_lshlrev_b64 v[4:5], 2, v[4:5]
	v_add_co_u32_e64 v4, s[0:1], s4, v4
	v_addc_co_u32_e64 v5, s[0:1], v1, v5, s[0:1]
	v_cmp_le_i32_e64 s[0:1], v0, v3
	s_and_b64 s[0:1], vcc, s[0:1]
	s_and_saveexec_b64 s[2:3], s[0:1]
	s_cbranch_execz .LBB67_14
; %bb.13:
	v_ashrrev_i32_e32 v1, 31, v0
	v_lshlrev_b64 v[0:1], 2, v[0:1]
	v_mul_f32_e32 v7, s14, v7
	v_add_co_u32_e64 v0, s[0:1], v4, v0
	v_addc_co_u32_e64 v1, s[0:1], v5, v1, s[0:1]
	global_store_dword v[0:1], v7, off
.LBB67_14:
	s_or_b64 exec, exec, s[2:3]
	v_cmp_le_i32_e64 s[0:1], v2, v3
	s_and_b64 s[0:1], vcc, s[0:1]
	s_and_saveexec_b64 s[2:3], s[0:1]
	s_cbranch_execz .LBB67_16
; %bb.15:
	v_ashrrev_i32_e32 v3, 31, v2
	v_lshlrev_b64 v[0:1], 2, v[2:3]
	v_mul_f32_e32 v6, s14, v6
	v_add_co_u32_e32 v0, vcc, v4, v0
	v_addc_co_u32_e32 v1, vcc, v5, v1, vcc
	global_store_dword v[0:1], v6, off
.LBB67_16:
	s_endpgm
	.section	.rodata,"a",@progbits
	.p2align	6, 0x0
	.amdhsa_kernel _ZL34rocblas_syrkx_herkx_general_kernelIifLi16ELi32ELi8ELb1ELb0ELc78ELc85EKffEviT_T0_PT8_S1_lS4_S1_lS2_PT9_S1_li
		.amdhsa_group_segment_fixed_size 2048
		.amdhsa_private_segment_fixed_size 0
		.amdhsa_kernarg_size 100
		.amdhsa_user_sgpr_count 6
		.amdhsa_user_sgpr_private_segment_buffer 1
		.amdhsa_user_sgpr_dispatch_ptr 0
		.amdhsa_user_sgpr_queue_ptr 0
		.amdhsa_user_sgpr_kernarg_segment_ptr 1
		.amdhsa_user_sgpr_dispatch_id 0
		.amdhsa_user_sgpr_flat_scratch_init 0
		.amdhsa_user_sgpr_private_segment_size 0
		.amdhsa_uses_dynamic_stack 0
		.amdhsa_system_sgpr_private_segment_wavefront_offset 0
		.amdhsa_system_sgpr_workgroup_id_x 1
		.amdhsa_system_sgpr_workgroup_id_y 1
		.amdhsa_system_sgpr_workgroup_id_z 1
		.amdhsa_system_sgpr_workgroup_info 0
		.amdhsa_system_vgpr_workitem_id 1
		.amdhsa_next_free_vgpr 28
		.amdhsa_next_free_sgpr 26
		.amdhsa_reserve_vcc 1
		.amdhsa_reserve_flat_scratch 0
		.amdhsa_float_round_mode_32 0
		.amdhsa_float_round_mode_16_64 0
		.amdhsa_float_denorm_mode_32 3
		.amdhsa_float_denorm_mode_16_64 3
		.amdhsa_dx10_clamp 1
		.amdhsa_ieee_mode 1
		.amdhsa_fp16_overflow 0
		.amdhsa_exception_fp_ieee_invalid_op 0
		.amdhsa_exception_fp_denorm_src 0
		.amdhsa_exception_fp_ieee_div_zero 0
		.amdhsa_exception_fp_ieee_overflow 0
		.amdhsa_exception_fp_ieee_underflow 0
		.amdhsa_exception_fp_ieee_inexact 0
		.amdhsa_exception_int_div_zero 0
	.end_amdhsa_kernel
	.section	.text._ZL34rocblas_syrkx_herkx_general_kernelIifLi16ELi32ELi8ELb1ELb0ELc78ELc85EKffEviT_T0_PT8_S1_lS4_S1_lS2_PT9_S1_li,"axG",@progbits,_ZL34rocblas_syrkx_herkx_general_kernelIifLi16ELi32ELi8ELb1ELb0ELc78ELc85EKffEviT_T0_PT8_S1_lS4_S1_lS2_PT9_S1_li,comdat
.Lfunc_end67:
	.size	_ZL34rocblas_syrkx_herkx_general_kernelIifLi16ELi32ELi8ELb1ELb0ELc78ELc85EKffEviT_T0_PT8_S1_lS4_S1_lS2_PT9_S1_li, .Lfunc_end67-_ZL34rocblas_syrkx_herkx_general_kernelIifLi16ELi32ELi8ELb1ELb0ELc78ELc85EKffEviT_T0_PT8_S1_lS4_S1_lS2_PT9_S1_li
                                        ; -- End function
	.set _ZL34rocblas_syrkx_herkx_general_kernelIifLi16ELi32ELi8ELb1ELb0ELc78ELc85EKffEviT_T0_PT8_S1_lS4_S1_lS2_PT9_S1_li.num_vgpr, 28
	.set _ZL34rocblas_syrkx_herkx_general_kernelIifLi16ELi32ELi8ELb1ELb0ELc78ELc85EKffEviT_T0_PT8_S1_lS4_S1_lS2_PT9_S1_li.num_agpr, 0
	.set _ZL34rocblas_syrkx_herkx_general_kernelIifLi16ELi32ELi8ELb1ELb0ELc78ELc85EKffEviT_T0_PT8_S1_lS4_S1_lS2_PT9_S1_li.numbered_sgpr, 26
	.set _ZL34rocblas_syrkx_herkx_general_kernelIifLi16ELi32ELi8ELb1ELb0ELc78ELc85EKffEviT_T0_PT8_S1_lS4_S1_lS2_PT9_S1_li.num_named_barrier, 0
	.set _ZL34rocblas_syrkx_herkx_general_kernelIifLi16ELi32ELi8ELb1ELb0ELc78ELc85EKffEviT_T0_PT8_S1_lS4_S1_lS2_PT9_S1_li.private_seg_size, 0
	.set _ZL34rocblas_syrkx_herkx_general_kernelIifLi16ELi32ELi8ELb1ELb0ELc78ELc85EKffEviT_T0_PT8_S1_lS4_S1_lS2_PT9_S1_li.uses_vcc, 1
	.set _ZL34rocblas_syrkx_herkx_general_kernelIifLi16ELi32ELi8ELb1ELb0ELc78ELc85EKffEviT_T0_PT8_S1_lS4_S1_lS2_PT9_S1_li.uses_flat_scratch, 0
	.set _ZL34rocblas_syrkx_herkx_general_kernelIifLi16ELi32ELi8ELb1ELb0ELc78ELc85EKffEviT_T0_PT8_S1_lS4_S1_lS2_PT9_S1_li.has_dyn_sized_stack, 0
	.set _ZL34rocblas_syrkx_herkx_general_kernelIifLi16ELi32ELi8ELb1ELb0ELc78ELc85EKffEviT_T0_PT8_S1_lS4_S1_lS2_PT9_S1_li.has_recursion, 0
	.set _ZL34rocblas_syrkx_herkx_general_kernelIifLi16ELi32ELi8ELb1ELb0ELc78ELc85EKffEviT_T0_PT8_S1_lS4_S1_lS2_PT9_S1_li.has_indirect_call, 0
	.section	.AMDGPU.csdata,"",@progbits
; Kernel info:
; codeLenInByte = 1264
; TotalNumSgprs: 30
; NumVgprs: 28
; ScratchSize: 0
; MemoryBound: 0
; FloatMode: 240
; IeeeMode: 1
; LDSByteSize: 2048 bytes/workgroup (compile time only)
; SGPRBlocks: 3
; VGPRBlocks: 6
; NumSGPRsForWavesPerEU: 30
; NumVGPRsForWavesPerEU: 28
; Occupancy: 9
; WaveLimiterHint : 0
; COMPUTE_PGM_RSRC2:SCRATCH_EN: 0
; COMPUTE_PGM_RSRC2:USER_SGPR: 6
; COMPUTE_PGM_RSRC2:TRAP_HANDLER: 0
; COMPUTE_PGM_RSRC2:TGID_X_EN: 1
; COMPUTE_PGM_RSRC2:TGID_Y_EN: 1
; COMPUTE_PGM_RSRC2:TGID_Z_EN: 1
; COMPUTE_PGM_RSRC2:TIDIG_COMP_CNT: 1
	.section	.text._ZL34rocblas_syrkx_herkx_general_kernelIifLi16ELi32ELi8ELb0ELb0ELc84ELc76EKffEviT_T0_PT8_S1_lS4_S1_lS2_PT9_S1_li,"axG",@progbits,_ZL34rocblas_syrkx_herkx_general_kernelIifLi16ELi32ELi8ELb0ELb0ELc84ELc76EKffEviT_T0_PT8_S1_lS4_S1_lS2_PT9_S1_li,comdat
	.globl	_ZL34rocblas_syrkx_herkx_general_kernelIifLi16ELi32ELi8ELb0ELb0ELc84ELc76EKffEviT_T0_PT8_S1_lS4_S1_lS2_PT9_S1_li ; -- Begin function _ZL34rocblas_syrkx_herkx_general_kernelIifLi16ELi32ELi8ELb0ELb0ELc84ELc76EKffEviT_T0_PT8_S1_lS4_S1_lS2_PT9_S1_li
	.p2align	8
	.type	_ZL34rocblas_syrkx_herkx_general_kernelIifLi16ELi32ELi8ELb0ELb0ELc84ELc76EKffEviT_T0_PT8_S1_lS4_S1_lS2_PT9_S1_li,@function
_ZL34rocblas_syrkx_herkx_general_kernelIifLi16ELi32ELi8ELb0ELb0ELc84ELc76EKffEviT_T0_PT8_S1_lS4_S1_lS2_PT9_S1_li: ; @_ZL34rocblas_syrkx_herkx_general_kernelIifLi16ELi32ELi8ELb0ELb0ELc84ELc76EKffEviT_T0_PT8_S1_lS4_S1_lS2_PT9_S1_li
; %bb.0:
	s_load_dwordx4 s[12:15], s[4:5], 0x0
	s_lshl_b32 s6, s6, 5
	s_lshl_b32 s7, s7, 5
	s_mov_b32 s9, 0
	s_waitcnt lgkmcnt(0)
	s_cmp_lt_i32 s13, 1
	s_cbranch_scc1 .LBB68_7
; %bb.1:
	v_lshl_add_u32 v2, v1, 4, v0
	v_and_b32_e32 v9, 7, v0
	v_lshrrev_b32_e32 v10, 5, v2
	v_lshrrev_b32_e32 v3, 3, v2
	v_and_b32_e32 v2, 31, v2
	s_load_dwordx2 s[10:11], s[4:5], 0x10
	s_load_dword s2, s[4:5], 0x18
	s_load_dwordx4 s[16:19], s[4:5], 0x20
	s_load_dword s15, s[4:5], 0x30
	s_load_dwordx2 s[20:21], s[4:5], 0x38
	v_or_b32_e32 v5, s6, v2
	v_lshlrev_b32_e32 v7, 2, v9
	v_add_u32_e32 v4, s7, v3
	v_cmp_gt_i32_e32 vcc, s12, v5
	v_lshlrev_b32_e32 v5, 2, v2
	v_lshl_or_b32 v3, v3, 5, v7
	v_add_u32_e32 v2, s6, v2
	v_add_u32_e32 v13, 0x400, v3
	s_waitcnt lgkmcnt(0)
	v_mad_i64_i32 v[2:3], s[2:3], s2, v2, 0
	s_mul_i32 s2, s17, s8
	s_mul_hi_u32 s3, s16, s8
	v_lshlrev_b64 v[2:3], 2, v[2:3]
	s_add_i32 s3, s3, s2
	s_mul_i32 s2, s16, s8
	v_lshl_or_b32 v12, v10, 7, v5
	v_mov_b32_e32 v5, 0x400
	s_lshl_b64 s[2:3], s[2:3], 2
	v_lshl_add_u32 v15, v1, 5, v5
	v_mov_b32_e32 v5, s3
	v_add_co_u32_e64 v2, s[2:3], s2, v2
	v_addc_co_u32_e64 v3, s[2:3], v3, v5, s[2:3]
	v_lshlrev_b32_e32 v5, 2, v10
	v_add_co_u32_e64 v2, s[2:3], v2, v5
	v_cmp_gt_i32_e64 s[0:1], s12, v4
	v_addc_co_u32_e64 v3, s[2:3], 0, v3, s[2:3]
	v_mad_i64_i32 v[4:5], s[2:3], s15, v4, 0
	v_mov_b32_e32 v8, s11
	v_add_co_u32_e64 v2, s[2:3], s10, v2
	v_addc_co_u32_e64 v3, s[2:3], v8, v3, s[2:3]
	s_mul_i32 s2, s21, s8
	s_mul_hi_u32 s3, s20, s8
	v_lshlrev_b64 v[4:5], 2, v[4:5]
	s_add_i32 s3, s3, s2
	s_mul_i32 s2, s20, s8
	s_lshl_b64 s[2:3], s[2:3], 2
	v_mov_b32_e32 v8, s3
	v_add_co_u32_e64 v4, s[2:3], s2, v4
	v_addc_co_u32_e64 v5, s[2:3], v5, v8, s[2:3]
	v_add_co_u32_e64 v4, s[2:3], v4, v7
	v_addc_co_u32_e64 v5, s[2:3], 0, v5, s[2:3]
	v_mov_b32_e32 v7, s19
	v_add_co_u32_e64 v4, s[2:3], s18, v4
	v_lshlrev_b32_e32 v14, 2, v0
	v_mov_b32_e32 v6, 0
	v_addc_co_u32_e64 v5, s[2:3], v7, v5, s[2:3]
	v_mov_b32_e32 v7, 0
	v_mov_b32_e32 v8, 0
	v_mov_b32_e32 v11, 0
	s_branch .LBB68_3
.LBB68_2:                               ;   in Loop: Header=BB68_3 Depth=1
	s_or_b64 exec, exec, s[2:3]
	s_waitcnt vmcnt(0)
	ds_write_b32 v13, v16
	s_waitcnt lgkmcnt(0)
	s_barrier
	ds_read_b128 v[16:19], v15
	ds_read2_b32 v[20:21], v14 offset1:16
	ds_read2_b32 v[22:23], v14 offset0:32 offset1:48
	ds_read2_b32 v[24:25], v14 offset0:64 offset1:80
	ds_read2_b32 v[26:27], v14 offset0:96 offset1:112
	v_add_co_u32_e64 v2, s[2:3], 32, v2
	s_waitcnt lgkmcnt(3)
	v_fmac_f32_e32 v11, v20, v16
	v_fmac_f32_e32 v8, v21, v16
	s_waitcnt lgkmcnt(2)
	v_fmac_f32_e32 v11, v22, v17
	v_fmac_f32_e32 v8, v23, v17
	;; [unrolled: 3-line block ×4, first 2 shown]
	ds_read_b128 v[16:19], v15 offset:512
	v_addc_co_u32_e64 v3, s[2:3], 0, v3, s[2:3]
	s_add_i32 s9, s9, 8
	v_add_co_u32_e64 v4, s[2:3], 32, v4
	s_waitcnt lgkmcnt(0)
	v_fmac_f32_e32 v7, v20, v16
	v_fmac_f32_e32 v6, v21, v16
	;; [unrolled: 1-line block ×8, first 2 shown]
	ds_read_b128 v[16:19], v15 offset:16
	ds_read2_b32 v[20:21], v14 offset0:128 offset1:144
	ds_read2_b32 v[22:23], v14 offset0:160 offset1:176
	ds_read2_b32 v[24:25], v14 offset0:192 offset1:208
	ds_read2_b32 v[26:27], v14 offset0:224 offset1:240
	s_cmp_ge_i32 s9, s13
	s_waitcnt lgkmcnt(3)
	v_fmac_f32_e32 v11, v20, v16
	v_fmac_f32_e32 v8, v21, v16
	s_waitcnt lgkmcnt(2)
	v_fmac_f32_e32 v11, v22, v17
	v_fmac_f32_e32 v8, v23, v17
	;; [unrolled: 3-line block ×4, first 2 shown]
	ds_read_b128 v[16:19], v15 offset:528
	v_addc_co_u32_e64 v5, s[2:3], 0, v5, s[2:3]
	s_waitcnt lgkmcnt(0)
	s_barrier
	v_fmac_f32_e32 v7, v20, v16
	v_fmac_f32_e32 v6, v21, v16
	;; [unrolled: 1-line block ×8, first 2 shown]
	s_cbranch_scc1 .LBB68_8
.LBB68_3:                               ; =>This Inner Loop Header: Depth=1
	v_add_u32_e32 v16, s9, v10
	v_cmp_gt_i32_e64 s[2:3], s13, v16
	s_and_b64 s[10:11], vcc, s[2:3]
	v_mov_b32_e32 v16, 0
	s_and_saveexec_b64 s[2:3], s[10:11]
	s_cbranch_execz .LBB68_5
; %bb.4:                                ;   in Loop: Header=BB68_3 Depth=1
	global_load_dword v16, v[2:3], off
.LBB68_5:                               ;   in Loop: Header=BB68_3 Depth=1
	s_or_b64 exec, exec, s[2:3]
	s_waitcnt vmcnt(0)
	ds_write_b32 v12, v16
	v_add_u32_e32 v16, s9, v9
	v_cmp_gt_i32_e64 s[2:3], s13, v16
	s_and_b64 s[10:11], s[2:3], s[0:1]
	v_mov_b32_e32 v16, 0
	s_and_saveexec_b64 s[2:3], s[10:11]
	s_cbranch_execz .LBB68_2
; %bb.6:                                ;   in Loop: Header=BB68_3 Depth=1
	global_load_dword v16, v[4:5], off
	s_branch .LBB68_2
.LBB68_7:
	v_mov_b32_e32 v11, 0
	v_mov_b32_e32 v8, 0
	;; [unrolled: 1-line block ×4, first 2 shown]
.LBB68_8:
	s_load_dwordx2 s[0:1], s[4:5], 0x58
	s_load_dword s9, s[4:5], 0x40
	s_load_dwordx2 s[2:3], s[4:5], 0x48
	s_load_dword s10, s[4:5], 0x50
	v_add_u32_e32 v4, s7, v1
	s_waitcnt lgkmcnt(0)
	s_mul_i32 s1, s1, s8
	s_mul_hi_u32 s4, s0, s8
	s_add_i32 s1, s4, s1
	v_mad_i64_i32 v[1:2], s[4:5], v4, s10, 0
	s_mul_i32 s0, s0, s8
	s_lshl_b64 s[0:1], s[0:1], 2
	s_add_u32 s7, s2, s0
	v_lshlrev_b64 v[1:2], 2, v[1:2]
	s_addc_u32 s8, s3, s1
	v_mov_b32_e32 v3, s8
	v_add_co_u32_e32 v5, vcc, s7, v1
	v_add_u32_e32 v0, s6, v0
	v_addc_co_u32_e32 v9, vcc, v3, v2, vcc
	v_cmp_le_i32_e64 s[0:1], v4, v0
	v_cmp_gt_i32_e32 vcc, s12, v0
	s_and_b64 s[0:1], s[0:1], vcc
	s_and_saveexec_b64 s[2:3], s[0:1]
	s_cbranch_execz .LBB68_10
; %bb.9:
	v_ashrrev_i32_e32 v1, 31, v0
	v_lshlrev_b64 v[1:2], 2, v[0:1]
	v_add_co_u32_e64 v1, s[0:1], v5, v1
	v_addc_co_u32_e64 v2, s[0:1], v9, v2, s[0:1]
	global_load_dword v3, v[1:2], off
	s_waitcnt vmcnt(0)
	v_mul_f32_e32 v3, s9, v3
	v_fmac_f32_e32 v3, s14, v11
	global_store_dword v[1:2], v3, off
.LBB68_10:
	s_or_b64 exec, exec, s[2:3]
	v_add_u32_e32 v2, 16, v0
	v_cmp_le_i32_e64 s[2:3], v4, v2
	v_cmp_gt_i32_e64 s[0:1], s12, v2
	s_and_b64 s[2:3], s[2:3], s[0:1]
	s_and_saveexec_b64 s[4:5], s[2:3]
	s_cbranch_execz .LBB68_12
; %bb.11:
	v_ashrrev_i32_e32 v3, 31, v2
	v_lshlrev_b64 v[10:11], 2, v[2:3]
	v_add_co_u32_e64 v10, s[2:3], v5, v10
	v_addc_co_u32_e64 v11, s[2:3], v9, v11, s[2:3]
	global_load_dword v1, v[10:11], off
	s_waitcnt vmcnt(0)
	v_mul_f32_e32 v1, s9, v1
	v_fmac_f32_e32 v1, s14, v8
	global_store_dword v[10:11], v1, off
.LBB68_12:
	s_or_b64 exec, exec, s[4:5]
	v_add_u32_e32 v3, 16, v4
	v_mad_i64_i32 v[4:5], s[2:3], v3, s10, 0
	v_mov_b32_e32 v1, s8
	v_lshlrev_b64 v[4:5], 2, v[4:5]
	v_add_co_u32_e64 v4, s[2:3], s7, v4
	v_addc_co_u32_e64 v5, s[2:3], v1, v5, s[2:3]
	v_cmp_le_i32_e64 s[2:3], v3, v0
	s_and_b64 s[4:5], s[2:3], vcc
	s_and_saveexec_b64 s[2:3], s[4:5]
	s_cbranch_execz .LBB68_14
; %bb.13:
	v_ashrrev_i32_e32 v1, 31, v0
	v_lshlrev_b64 v[0:1], 2, v[0:1]
	v_add_co_u32_e32 v0, vcc, v4, v0
	v_addc_co_u32_e32 v1, vcc, v5, v1, vcc
	global_load_dword v8, v[0:1], off
	s_waitcnt vmcnt(0)
	v_mul_f32_e32 v8, s9, v8
	v_fmac_f32_e32 v8, s14, v7
	global_store_dword v[0:1], v8, off
.LBB68_14:
	s_or_b64 exec, exec, s[2:3]
	v_cmp_le_i32_e32 vcc, v3, v2
	s_and_b64 s[0:1], vcc, s[0:1]
	s_and_saveexec_b64 s[2:3], s[0:1]
	s_cbranch_execz .LBB68_16
; %bb.15:
	v_ashrrev_i32_e32 v3, 31, v2
	v_lshlrev_b64 v[0:1], 2, v[2:3]
	v_add_co_u32_e32 v0, vcc, v4, v0
	v_addc_co_u32_e32 v1, vcc, v5, v1, vcc
	global_load_dword v2, v[0:1], off
	s_waitcnt vmcnt(0)
	v_mul_f32_e32 v2, s9, v2
	v_fmac_f32_e32 v2, s14, v6
	global_store_dword v[0:1], v2, off
.LBB68_16:
	s_endpgm
	.section	.rodata,"a",@progbits
	.p2align	6, 0x0
	.amdhsa_kernel _ZL34rocblas_syrkx_herkx_general_kernelIifLi16ELi32ELi8ELb0ELb0ELc84ELc76EKffEviT_T0_PT8_S1_lS4_S1_lS2_PT9_S1_li
		.amdhsa_group_segment_fixed_size 2048
		.amdhsa_private_segment_fixed_size 0
		.amdhsa_kernarg_size 100
		.amdhsa_user_sgpr_count 6
		.amdhsa_user_sgpr_private_segment_buffer 1
		.amdhsa_user_sgpr_dispatch_ptr 0
		.amdhsa_user_sgpr_queue_ptr 0
		.amdhsa_user_sgpr_kernarg_segment_ptr 1
		.amdhsa_user_sgpr_dispatch_id 0
		.amdhsa_user_sgpr_flat_scratch_init 0
		.amdhsa_user_sgpr_private_segment_size 0
		.amdhsa_uses_dynamic_stack 0
		.amdhsa_system_sgpr_private_segment_wavefront_offset 0
		.amdhsa_system_sgpr_workgroup_id_x 1
		.amdhsa_system_sgpr_workgroup_id_y 1
		.amdhsa_system_sgpr_workgroup_id_z 1
		.amdhsa_system_sgpr_workgroup_info 0
		.amdhsa_system_vgpr_workitem_id 1
		.amdhsa_next_free_vgpr 28
		.amdhsa_next_free_sgpr 22
		.amdhsa_reserve_vcc 1
		.amdhsa_reserve_flat_scratch 0
		.amdhsa_float_round_mode_32 0
		.amdhsa_float_round_mode_16_64 0
		.amdhsa_float_denorm_mode_32 3
		.amdhsa_float_denorm_mode_16_64 3
		.amdhsa_dx10_clamp 1
		.amdhsa_ieee_mode 1
		.amdhsa_fp16_overflow 0
		.amdhsa_exception_fp_ieee_invalid_op 0
		.amdhsa_exception_fp_denorm_src 0
		.amdhsa_exception_fp_ieee_div_zero 0
		.amdhsa_exception_fp_ieee_overflow 0
		.amdhsa_exception_fp_ieee_underflow 0
		.amdhsa_exception_fp_ieee_inexact 0
		.amdhsa_exception_int_div_zero 0
	.end_amdhsa_kernel
	.section	.text._ZL34rocblas_syrkx_herkx_general_kernelIifLi16ELi32ELi8ELb0ELb0ELc84ELc76EKffEviT_T0_PT8_S1_lS4_S1_lS2_PT9_S1_li,"axG",@progbits,_ZL34rocblas_syrkx_herkx_general_kernelIifLi16ELi32ELi8ELb0ELb0ELc84ELc76EKffEviT_T0_PT8_S1_lS4_S1_lS2_PT9_S1_li,comdat
.Lfunc_end68:
	.size	_ZL34rocblas_syrkx_herkx_general_kernelIifLi16ELi32ELi8ELb0ELb0ELc84ELc76EKffEviT_T0_PT8_S1_lS4_S1_lS2_PT9_S1_li, .Lfunc_end68-_ZL34rocblas_syrkx_herkx_general_kernelIifLi16ELi32ELi8ELb0ELb0ELc84ELc76EKffEviT_T0_PT8_S1_lS4_S1_lS2_PT9_S1_li
                                        ; -- End function
	.set _ZL34rocblas_syrkx_herkx_general_kernelIifLi16ELi32ELi8ELb0ELb0ELc84ELc76EKffEviT_T0_PT8_S1_lS4_S1_lS2_PT9_S1_li.num_vgpr, 28
	.set _ZL34rocblas_syrkx_herkx_general_kernelIifLi16ELi32ELi8ELb0ELb0ELc84ELc76EKffEviT_T0_PT8_S1_lS4_S1_lS2_PT9_S1_li.num_agpr, 0
	.set _ZL34rocblas_syrkx_herkx_general_kernelIifLi16ELi32ELi8ELb0ELb0ELc84ELc76EKffEviT_T0_PT8_S1_lS4_S1_lS2_PT9_S1_li.numbered_sgpr, 22
	.set _ZL34rocblas_syrkx_herkx_general_kernelIifLi16ELi32ELi8ELb0ELb0ELc84ELc76EKffEviT_T0_PT8_S1_lS4_S1_lS2_PT9_S1_li.num_named_barrier, 0
	.set _ZL34rocblas_syrkx_herkx_general_kernelIifLi16ELi32ELi8ELb0ELb0ELc84ELc76EKffEviT_T0_PT8_S1_lS4_S1_lS2_PT9_S1_li.private_seg_size, 0
	.set _ZL34rocblas_syrkx_herkx_general_kernelIifLi16ELi32ELi8ELb0ELb0ELc84ELc76EKffEviT_T0_PT8_S1_lS4_S1_lS2_PT9_S1_li.uses_vcc, 1
	.set _ZL34rocblas_syrkx_herkx_general_kernelIifLi16ELi32ELi8ELb0ELb0ELc84ELc76EKffEviT_T0_PT8_S1_lS4_S1_lS2_PT9_S1_li.uses_flat_scratch, 0
	.set _ZL34rocblas_syrkx_herkx_general_kernelIifLi16ELi32ELi8ELb0ELb0ELc84ELc76EKffEviT_T0_PT8_S1_lS4_S1_lS2_PT9_S1_li.has_dyn_sized_stack, 0
	.set _ZL34rocblas_syrkx_herkx_general_kernelIifLi16ELi32ELi8ELb0ELb0ELc84ELc76EKffEviT_T0_PT8_S1_lS4_S1_lS2_PT9_S1_li.has_recursion, 0
	.set _ZL34rocblas_syrkx_herkx_general_kernelIifLi16ELi32ELi8ELb0ELb0ELc84ELc76EKffEviT_T0_PT8_S1_lS4_S1_lS2_PT9_S1_li.has_indirect_call, 0
	.section	.AMDGPU.csdata,"",@progbits
; Kernel info:
; codeLenInByte = 1284
; TotalNumSgprs: 26
; NumVgprs: 28
; ScratchSize: 0
; MemoryBound: 0
; FloatMode: 240
; IeeeMode: 1
; LDSByteSize: 2048 bytes/workgroup (compile time only)
; SGPRBlocks: 3
; VGPRBlocks: 6
; NumSGPRsForWavesPerEU: 26
; NumVGPRsForWavesPerEU: 28
; Occupancy: 9
; WaveLimiterHint : 0
; COMPUTE_PGM_RSRC2:SCRATCH_EN: 0
; COMPUTE_PGM_RSRC2:USER_SGPR: 6
; COMPUTE_PGM_RSRC2:TRAP_HANDLER: 0
; COMPUTE_PGM_RSRC2:TGID_X_EN: 1
; COMPUTE_PGM_RSRC2:TGID_Y_EN: 1
; COMPUTE_PGM_RSRC2:TGID_Z_EN: 1
; COMPUTE_PGM_RSRC2:TIDIG_COMP_CNT: 1
	.section	.text._ZL34rocblas_syrkx_herkx_general_kernelIifLi16ELi32ELi8ELb0ELb0ELc67ELc76EKffEviT_T0_PT8_S1_lS4_S1_lS2_PT9_S1_li,"axG",@progbits,_ZL34rocblas_syrkx_herkx_general_kernelIifLi16ELi32ELi8ELb0ELb0ELc67ELc76EKffEviT_T0_PT8_S1_lS4_S1_lS2_PT9_S1_li,comdat
	.globl	_ZL34rocblas_syrkx_herkx_general_kernelIifLi16ELi32ELi8ELb0ELb0ELc67ELc76EKffEviT_T0_PT8_S1_lS4_S1_lS2_PT9_S1_li ; -- Begin function _ZL34rocblas_syrkx_herkx_general_kernelIifLi16ELi32ELi8ELb0ELb0ELc67ELc76EKffEviT_T0_PT8_S1_lS4_S1_lS2_PT9_S1_li
	.p2align	8
	.type	_ZL34rocblas_syrkx_herkx_general_kernelIifLi16ELi32ELi8ELb0ELb0ELc67ELc76EKffEviT_T0_PT8_S1_lS4_S1_lS2_PT9_S1_li,@function
_ZL34rocblas_syrkx_herkx_general_kernelIifLi16ELi32ELi8ELb0ELb0ELc67ELc76EKffEviT_T0_PT8_S1_lS4_S1_lS2_PT9_S1_li: ; @_ZL34rocblas_syrkx_herkx_general_kernelIifLi16ELi32ELi8ELb0ELb0ELc67ELc76EKffEviT_T0_PT8_S1_lS4_S1_lS2_PT9_S1_li
; %bb.0:
	s_load_dwordx4 s[12:15], s[4:5], 0x0
	s_lshl_b32 s6, s6, 5
	s_lshl_b32 s7, s7, 5
	s_mov_b32 s9, 0
	s_waitcnt lgkmcnt(0)
	s_cmp_lt_i32 s13, 1
	s_cbranch_scc1 .LBB69_7
; %bb.1:
	v_lshl_add_u32 v2, v1, 4, v0
	v_and_b32_e32 v9, 7, v0
	v_lshrrev_b32_e32 v10, 5, v2
	v_lshrrev_b32_e32 v3, 3, v2
	v_and_b32_e32 v2, 31, v2
	s_load_dwordx2 s[10:11], s[4:5], 0x10
	s_load_dword s2, s[4:5], 0x18
	s_load_dwordx4 s[16:19], s[4:5], 0x20
	s_load_dword s15, s[4:5], 0x30
	s_load_dwordx2 s[20:21], s[4:5], 0x38
	v_or_b32_e32 v5, s6, v2
	v_lshlrev_b32_e32 v7, 2, v9
	v_add_u32_e32 v4, s7, v3
	v_cmp_gt_i32_e32 vcc, s12, v5
	v_lshlrev_b32_e32 v5, 2, v2
	v_lshl_or_b32 v3, v3, 5, v7
	v_add_u32_e32 v2, s6, v2
	v_add_u32_e32 v13, 0x400, v3
	s_waitcnt lgkmcnt(0)
	v_mad_i64_i32 v[2:3], s[2:3], s2, v2, 0
	s_mul_i32 s2, s17, s8
	s_mul_hi_u32 s3, s16, s8
	v_lshlrev_b64 v[2:3], 2, v[2:3]
	s_add_i32 s3, s3, s2
	s_mul_i32 s2, s16, s8
	v_lshl_or_b32 v12, v10, 7, v5
	v_mov_b32_e32 v5, 0x400
	s_lshl_b64 s[2:3], s[2:3], 2
	v_lshl_add_u32 v15, v1, 5, v5
	v_mov_b32_e32 v5, s3
	v_add_co_u32_e64 v2, s[2:3], s2, v2
	v_addc_co_u32_e64 v3, s[2:3], v3, v5, s[2:3]
	v_lshlrev_b32_e32 v5, 2, v10
	v_add_co_u32_e64 v2, s[2:3], v2, v5
	v_cmp_gt_i32_e64 s[0:1], s12, v4
	v_addc_co_u32_e64 v3, s[2:3], 0, v3, s[2:3]
	v_mad_i64_i32 v[4:5], s[2:3], s15, v4, 0
	v_mov_b32_e32 v8, s11
	v_add_co_u32_e64 v2, s[2:3], s10, v2
	v_addc_co_u32_e64 v3, s[2:3], v8, v3, s[2:3]
	s_mul_i32 s2, s21, s8
	s_mul_hi_u32 s3, s20, s8
	v_lshlrev_b64 v[4:5], 2, v[4:5]
	s_add_i32 s3, s3, s2
	s_mul_i32 s2, s20, s8
	s_lshl_b64 s[2:3], s[2:3], 2
	v_mov_b32_e32 v8, s3
	v_add_co_u32_e64 v4, s[2:3], s2, v4
	v_addc_co_u32_e64 v5, s[2:3], v5, v8, s[2:3]
	v_add_co_u32_e64 v4, s[2:3], v4, v7
	v_addc_co_u32_e64 v5, s[2:3], 0, v5, s[2:3]
	v_mov_b32_e32 v7, s19
	v_add_co_u32_e64 v4, s[2:3], s18, v4
	v_lshlrev_b32_e32 v14, 2, v0
	v_mov_b32_e32 v6, 0
	v_addc_co_u32_e64 v5, s[2:3], v7, v5, s[2:3]
	v_mov_b32_e32 v7, 0
	v_mov_b32_e32 v8, 0
	v_mov_b32_e32 v11, 0
	s_branch .LBB69_3
.LBB69_2:                               ;   in Loop: Header=BB69_3 Depth=1
	s_or_b64 exec, exec, s[2:3]
	s_waitcnt vmcnt(0)
	ds_write_b32 v13, v16
	s_waitcnt lgkmcnt(0)
	s_barrier
	ds_read_b128 v[16:19], v15
	ds_read2_b32 v[20:21], v14 offset1:16
	ds_read2_b32 v[22:23], v14 offset0:32 offset1:48
	ds_read2_b32 v[24:25], v14 offset0:64 offset1:80
	ds_read2_b32 v[26:27], v14 offset0:96 offset1:112
	v_add_co_u32_e64 v2, s[2:3], 32, v2
	s_waitcnt lgkmcnt(3)
	v_fmac_f32_e32 v11, v20, v16
	v_fmac_f32_e32 v8, v21, v16
	s_waitcnt lgkmcnt(2)
	v_fmac_f32_e32 v11, v22, v17
	v_fmac_f32_e32 v8, v23, v17
	;; [unrolled: 3-line block ×4, first 2 shown]
	ds_read_b128 v[16:19], v15 offset:512
	v_addc_co_u32_e64 v3, s[2:3], 0, v3, s[2:3]
	s_add_i32 s9, s9, 8
	v_add_co_u32_e64 v4, s[2:3], 32, v4
	s_waitcnt lgkmcnt(0)
	v_fmac_f32_e32 v7, v20, v16
	v_fmac_f32_e32 v6, v21, v16
	;; [unrolled: 1-line block ×8, first 2 shown]
	ds_read_b128 v[16:19], v15 offset:16
	ds_read2_b32 v[20:21], v14 offset0:128 offset1:144
	ds_read2_b32 v[22:23], v14 offset0:160 offset1:176
	;; [unrolled: 1-line block ×4, first 2 shown]
	s_cmp_ge_i32 s9, s13
	s_waitcnt lgkmcnt(3)
	v_fmac_f32_e32 v11, v20, v16
	v_fmac_f32_e32 v8, v21, v16
	s_waitcnt lgkmcnt(2)
	v_fmac_f32_e32 v11, v22, v17
	v_fmac_f32_e32 v8, v23, v17
	;; [unrolled: 3-line block ×4, first 2 shown]
	ds_read_b128 v[16:19], v15 offset:528
	v_addc_co_u32_e64 v5, s[2:3], 0, v5, s[2:3]
	s_waitcnt lgkmcnt(0)
	s_barrier
	v_fmac_f32_e32 v7, v20, v16
	v_fmac_f32_e32 v6, v21, v16
	;; [unrolled: 1-line block ×8, first 2 shown]
	s_cbranch_scc1 .LBB69_8
.LBB69_3:                               ; =>This Inner Loop Header: Depth=1
	v_add_u32_e32 v16, s9, v10
	v_cmp_gt_i32_e64 s[2:3], s13, v16
	s_and_b64 s[10:11], vcc, s[2:3]
	v_mov_b32_e32 v16, 0
	s_and_saveexec_b64 s[2:3], s[10:11]
	s_cbranch_execz .LBB69_5
; %bb.4:                                ;   in Loop: Header=BB69_3 Depth=1
	global_load_dword v16, v[2:3], off
.LBB69_5:                               ;   in Loop: Header=BB69_3 Depth=1
	s_or_b64 exec, exec, s[2:3]
	s_waitcnt vmcnt(0)
	ds_write_b32 v12, v16
	v_add_u32_e32 v16, s9, v9
	v_cmp_gt_i32_e64 s[2:3], s13, v16
	s_and_b64 s[10:11], s[2:3], s[0:1]
	v_mov_b32_e32 v16, 0
	s_and_saveexec_b64 s[2:3], s[10:11]
	s_cbranch_execz .LBB69_2
; %bb.6:                                ;   in Loop: Header=BB69_3 Depth=1
	global_load_dword v16, v[4:5], off
	s_branch .LBB69_2
.LBB69_7:
	v_mov_b32_e32 v11, 0
	v_mov_b32_e32 v8, 0
	;; [unrolled: 1-line block ×4, first 2 shown]
.LBB69_8:
	s_load_dwordx2 s[0:1], s[4:5], 0x58
	s_load_dword s9, s[4:5], 0x40
	s_load_dwordx2 s[2:3], s[4:5], 0x48
	s_load_dword s10, s[4:5], 0x50
	v_add_u32_e32 v4, s7, v1
	s_waitcnt lgkmcnt(0)
	s_mul_i32 s1, s1, s8
	s_mul_hi_u32 s4, s0, s8
	s_add_i32 s1, s4, s1
	v_mad_i64_i32 v[1:2], s[4:5], v4, s10, 0
	s_mul_i32 s0, s0, s8
	s_lshl_b64 s[0:1], s[0:1], 2
	s_add_u32 s7, s2, s0
	v_lshlrev_b64 v[1:2], 2, v[1:2]
	s_addc_u32 s8, s3, s1
	v_mov_b32_e32 v3, s8
	v_add_co_u32_e32 v5, vcc, s7, v1
	v_add_u32_e32 v0, s6, v0
	v_addc_co_u32_e32 v9, vcc, v3, v2, vcc
	v_cmp_le_i32_e64 s[0:1], v4, v0
	v_cmp_gt_i32_e32 vcc, s12, v0
	s_and_b64 s[0:1], s[0:1], vcc
	s_and_saveexec_b64 s[2:3], s[0:1]
	s_cbranch_execz .LBB69_10
; %bb.9:
	v_ashrrev_i32_e32 v1, 31, v0
	v_lshlrev_b64 v[1:2], 2, v[0:1]
	v_add_co_u32_e64 v1, s[0:1], v5, v1
	v_addc_co_u32_e64 v2, s[0:1], v9, v2, s[0:1]
	global_load_dword v3, v[1:2], off
	s_waitcnt vmcnt(0)
	v_mul_f32_e32 v3, s9, v3
	v_fmac_f32_e32 v3, s14, v11
	global_store_dword v[1:2], v3, off
.LBB69_10:
	s_or_b64 exec, exec, s[2:3]
	v_add_u32_e32 v2, 16, v0
	v_cmp_le_i32_e64 s[2:3], v4, v2
	v_cmp_gt_i32_e64 s[0:1], s12, v2
	s_and_b64 s[2:3], s[2:3], s[0:1]
	s_and_saveexec_b64 s[4:5], s[2:3]
	s_cbranch_execz .LBB69_12
; %bb.11:
	v_ashrrev_i32_e32 v3, 31, v2
	v_lshlrev_b64 v[10:11], 2, v[2:3]
	v_add_co_u32_e64 v10, s[2:3], v5, v10
	v_addc_co_u32_e64 v11, s[2:3], v9, v11, s[2:3]
	global_load_dword v1, v[10:11], off
	s_waitcnt vmcnt(0)
	v_mul_f32_e32 v1, s9, v1
	v_fmac_f32_e32 v1, s14, v8
	global_store_dword v[10:11], v1, off
.LBB69_12:
	s_or_b64 exec, exec, s[4:5]
	v_add_u32_e32 v3, 16, v4
	v_mad_i64_i32 v[4:5], s[2:3], v3, s10, 0
	v_mov_b32_e32 v1, s8
	v_lshlrev_b64 v[4:5], 2, v[4:5]
	v_add_co_u32_e64 v4, s[2:3], s7, v4
	v_addc_co_u32_e64 v5, s[2:3], v1, v5, s[2:3]
	v_cmp_le_i32_e64 s[2:3], v3, v0
	s_and_b64 s[4:5], s[2:3], vcc
	s_and_saveexec_b64 s[2:3], s[4:5]
	s_cbranch_execz .LBB69_14
; %bb.13:
	v_ashrrev_i32_e32 v1, 31, v0
	v_lshlrev_b64 v[0:1], 2, v[0:1]
	v_add_co_u32_e32 v0, vcc, v4, v0
	v_addc_co_u32_e32 v1, vcc, v5, v1, vcc
	global_load_dword v8, v[0:1], off
	s_waitcnt vmcnt(0)
	v_mul_f32_e32 v8, s9, v8
	v_fmac_f32_e32 v8, s14, v7
	global_store_dword v[0:1], v8, off
.LBB69_14:
	s_or_b64 exec, exec, s[2:3]
	v_cmp_le_i32_e32 vcc, v3, v2
	s_and_b64 s[0:1], vcc, s[0:1]
	s_and_saveexec_b64 s[2:3], s[0:1]
	s_cbranch_execz .LBB69_16
; %bb.15:
	v_ashrrev_i32_e32 v3, 31, v2
	v_lshlrev_b64 v[0:1], 2, v[2:3]
	v_add_co_u32_e32 v0, vcc, v4, v0
	v_addc_co_u32_e32 v1, vcc, v5, v1, vcc
	global_load_dword v2, v[0:1], off
	s_waitcnt vmcnt(0)
	v_mul_f32_e32 v2, s9, v2
	v_fmac_f32_e32 v2, s14, v6
	global_store_dword v[0:1], v2, off
.LBB69_16:
	s_endpgm
	.section	.rodata,"a",@progbits
	.p2align	6, 0x0
	.amdhsa_kernel _ZL34rocblas_syrkx_herkx_general_kernelIifLi16ELi32ELi8ELb0ELb0ELc67ELc76EKffEviT_T0_PT8_S1_lS4_S1_lS2_PT9_S1_li
		.amdhsa_group_segment_fixed_size 2048
		.amdhsa_private_segment_fixed_size 0
		.amdhsa_kernarg_size 100
		.amdhsa_user_sgpr_count 6
		.amdhsa_user_sgpr_private_segment_buffer 1
		.amdhsa_user_sgpr_dispatch_ptr 0
		.amdhsa_user_sgpr_queue_ptr 0
		.amdhsa_user_sgpr_kernarg_segment_ptr 1
		.amdhsa_user_sgpr_dispatch_id 0
		.amdhsa_user_sgpr_flat_scratch_init 0
		.amdhsa_user_sgpr_private_segment_size 0
		.amdhsa_uses_dynamic_stack 0
		.amdhsa_system_sgpr_private_segment_wavefront_offset 0
		.amdhsa_system_sgpr_workgroup_id_x 1
		.amdhsa_system_sgpr_workgroup_id_y 1
		.amdhsa_system_sgpr_workgroup_id_z 1
		.amdhsa_system_sgpr_workgroup_info 0
		.amdhsa_system_vgpr_workitem_id 1
		.amdhsa_next_free_vgpr 28
		.amdhsa_next_free_sgpr 22
		.amdhsa_reserve_vcc 1
		.amdhsa_reserve_flat_scratch 0
		.amdhsa_float_round_mode_32 0
		.amdhsa_float_round_mode_16_64 0
		.amdhsa_float_denorm_mode_32 3
		.amdhsa_float_denorm_mode_16_64 3
		.amdhsa_dx10_clamp 1
		.amdhsa_ieee_mode 1
		.amdhsa_fp16_overflow 0
		.amdhsa_exception_fp_ieee_invalid_op 0
		.amdhsa_exception_fp_denorm_src 0
		.amdhsa_exception_fp_ieee_div_zero 0
		.amdhsa_exception_fp_ieee_overflow 0
		.amdhsa_exception_fp_ieee_underflow 0
		.amdhsa_exception_fp_ieee_inexact 0
		.amdhsa_exception_int_div_zero 0
	.end_amdhsa_kernel
	.section	.text._ZL34rocblas_syrkx_herkx_general_kernelIifLi16ELi32ELi8ELb0ELb0ELc67ELc76EKffEviT_T0_PT8_S1_lS4_S1_lS2_PT9_S1_li,"axG",@progbits,_ZL34rocblas_syrkx_herkx_general_kernelIifLi16ELi32ELi8ELb0ELb0ELc67ELc76EKffEviT_T0_PT8_S1_lS4_S1_lS2_PT9_S1_li,comdat
.Lfunc_end69:
	.size	_ZL34rocblas_syrkx_herkx_general_kernelIifLi16ELi32ELi8ELb0ELb0ELc67ELc76EKffEviT_T0_PT8_S1_lS4_S1_lS2_PT9_S1_li, .Lfunc_end69-_ZL34rocblas_syrkx_herkx_general_kernelIifLi16ELi32ELi8ELb0ELb0ELc67ELc76EKffEviT_T0_PT8_S1_lS4_S1_lS2_PT9_S1_li
                                        ; -- End function
	.set _ZL34rocblas_syrkx_herkx_general_kernelIifLi16ELi32ELi8ELb0ELb0ELc67ELc76EKffEviT_T0_PT8_S1_lS4_S1_lS2_PT9_S1_li.num_vgpr, 28
	.set _ZL34rocblas_syrkx_herkx_general_kernelIifLi16ELi32ELi8ELb0ELb0ELc67ELc76EKffEviT_T0_PT8_S1_lS4_S1_lS2_PT9_S1_li.num_agpr, 0
	.set _ZL34rocblas_syrkx_herkx_general_kernelIifLi16ELi32ELi8ELb0ELb0ELc67ELc76EKffEviT_T0_PT8_S1_lS4_S1_lS2_PT9_S1_li.numbered_sgpr, 22
	.set _ZL34rocblas_syrkx_herkx_general_kernelIifLi16ELi32ELi8ELb0ELb0ELc67ELc76EKffEviT_T0_PT8_S1_lS4_S1_lS2_PT9_S1_li.num_named_barrier, 0
	.set _ZL34rocblas_syrkx_herkx_general_kernelIifLi16ELi32ELi8ELb0ELb0ELc67ELc76EKffEviT_T0_PT8_S1_lS4_S1_lS2_PT9_S1_li.private_seg_size, 0
	.set _ZL34rocblas_syrkx_herkx_general_kernelIifLi16ELi32ELi8ELb0ELb0ELc67ELc76EKffEviT_T0_PT8_S1_lS4_S1_lS2_PT9_S1_li.uses_vcc, 1
	.set _ZL34rocblas_syrkx_herkx_general_kernelIifLi16ELi32ELi8ELb0ELb0ELc67ELc76EKffEviT_T0_PT8_S1_lS4_S1_lS2_PT9_S1_li.uses_flat_scratch, 0
	.set _ZL34rocblas_syrkx_herkx_general_kernelIifLi16ELi32ELi8ELb0ELb0ELc67ELc76EKffEviT_T0_PT8_S1_lS4_S1_lS2_PT9_S1_li.has_dyn_sized_stack, 0
	.set _ZL34rocblas_syrkx_herkx_general_kernelIifLi16ELi32ELi8ELb0ELb0ELc67ELc76EKffEviT_T0_PT8_S1_lS4_S1_lS2_PT9_S1_li.has_recursion, 0
	.set _ZL34rocblas_syrkx_herkx_general_kernelIifLi16ELi32ELi8ELb0ELb0ELc67ELc76EKffEviT_T0_PT8_S1_lS4_S1_lS2_PT9_S1_li.has_indirect_call, 0
	.section	.AMDGPU.csdata,"",@progbits
; Kernel info:
; codeLenInByte = 1284
; TotalNumSgprs: 26
; NumVgprs: 28
; ScratchSize: 0
; MemoryBound: 0
; FloatMode: 240
; IeeeMode: 1
; LDSByteSize: 2048 bytes/workgroup (compile time only)
; SGPRBlocks: 3
; VGPRBlocks: 6
; NumSGPRsForWavesPerEU: 26
; NumVGPRsForWavesPerEU: 28
; Occupancy: 9
; WaveLimiterHint : 0
; COMPUTE_PGM_RSRC2:SCRATCH_EN: 0
; COMPUTE_PGM_RSRC2:USER_SGPR: 6
; COMPUTE_PGM_RSRC2:TRAP_HANDLER: 0
; COMPUTE_PGM_RSRC2:TGID_X_EN: 1
; COMPUTE_PGM_RSRC2:TGID_Y_EN: 1
; COMPUTE_PGM_RSRC2:TGID_Z_EN: 1
; COMPUTE_PGM_RSRC2:TIDIG_COMP_CNT: 1
	.section	.text._ZL34rocblas_syrkx_herkx_general_kernelIifLi16ELi32ELi8ELb0ELb0ELc78ELc76EKffEviT_T0_PT8_S1_lS4_S1_lS2_PT9_S1_li,"axG",@progbits,_ZL34rocblas_syrkx_herkx_general_kernelIifLi16ELi32ELi8ELb0ELb0ELc78ELc76EKffEviT_T0_PT8_S1_lS4_S1_lS2_PT9_S1_li,comdat
	.globl	_ZL34rocblas_syrkx_herkx_general_kernelIifLi16ELi32ELi8ELb0ELb0ELc78ELc76EKffEviT_T0_PT8_S1_lS4_S1_lS2_PT9_S1_li ; -- Begin function _ZL34rocblas_syrkx_herkx_general_kernelIifLi16ELi32ELi8ELb0ELb0ELc78ELc76EKffEviT_T0_PT8_S1_lS4_S1_lS2_PT9_S1_li
	.p2align	8
	.type	_ZL34rocblas_syrkx_herkx_general_kernelIifLi16ELi32ELi8ELb0ELb0ELc78ELc76EKffEviT_T0_PT8_S1_lS4_S1_lS2_PT9_S1_li,@function
_ZL34rocblas_syrkx_herkx_general_kernelIifLi16ELi32ELi8ELb0ELb0ELc78ELc76EKffEviT_T0_PT8_S1_lS4_S1_lS2_PT9_S1_li: ; @_ZL34rocblas_syrkx_herkx_general_kernelIifLi16ELi32ELi8ELb0ELb0ELc78ELc76EKffEviT_T0_PT8_S1_lS4_S1_lS2_PT9_S1_li
; %bb.0:
	s_load_dwordx4 s[12:15], s[4:5], 0x0
	s_lshl_b32 s9, s6, 5
	s_waitcnt lgkmcnt(0)
	s_lshl_b32 s15, s7, 5
	s_mov_b32 s20, 0
	s_cmp_lt_i32 s13, 1
	s_cbranch_scc1 .LBB70_7
; %bb.1:
	v_lshl_add_u32 v2, v1, 4, v0
	v_and_b32_e32 v6, 31, v2
	v_lshrrev_b32_e32 v10, 5, v2
	v_lshrrev_b32_e32 v3, 3, v2
	v_or_b32_e32 v2, s9, v6
	v_and_b32_e32 v9, 7, v0
	v_cmp_gt_i32_e32 vcc, s12, v2
	v_lshlrev_b32_e32 v2, 2, v6
	v_lshl_or_b32 v11, v10, 7, v2
	v_lshlrev_b32_e32 v2, 2, v9
	s_load_dword s6, s[4:5], 0x18
	s_load_dword s10, s[4:5], 0x30
	s_load_dwordx2 s[22:23], s[4:5], 0x10
	s_load_dwordx4 s[16:19], s[4:5], 0x20
	s_load_dwordx2 s[24:25], s[4:5], 0x38
	v_lshl_or_b32 v2, v3, 5, v2
	v_add_u32_e32 v4, s15, v3
	v_add_u32_e32 v12, 0x400, v2
	s_waitcnt lgkmcnt(0)
	v_mad_i64_i32 v[2:3], s[2:3], v10, s6, 0
	s_mul_i32 s2, s17, s8
	s_mul_hi_u32 s3, s16, s8
	v_lshlrev_b64 v[2:3], 2, v[2:3]
	s_add_i32 s3, s3, s2
	s_mul_i32 s2, s16, s8
	v_mov_b32_e32 v7, 0x400
	s_lshl_b64 s[2:3], s[2:3], 2
	v_lshl_add_u32 v15, v1, 5, v7
	v_mov_b32_e32 v7, s3
	v_add_co_u32_e64 v8, s[2:3], s2, v2
	v_add_u32_e32 v2, s9, v6
	v_addc_co_u32_e64 v7, s[2:3], v3, v7, s[2:3]
	v_ashrrev_i32_e32 v3, 31, v2
	v_lshlrev_b64 v[2:3], 2, v[2:3]
	v_mov_b32_e32 v6, s23
	v_add_co_u32_e64 v2, s[2:3], v8, v2
	v_addc_co_u32_e64 v3, s[2:3], v7, v3, s[2:3]
	v_add_co_u32_e64 v2, s[2:3], s22, v2
	v_addc_co_u32_e64 v3, s[2:3], v6, v3, s[2:3]
	v_mad_i64_i32 v[6:7], s[2:3], s10, v9, 0
	s_mul_i32 s16, s25, s8
	s_mul_hi_u32 s17, s24, s8
	s_add_i32 s3, s17, s16
	s_mul_i32 s2, s24, s8
	v_lshlrev_b64 v[6:7], 2, v[6:7]
	v_ashrrev_i32_e32 v5, 31, v4
	s_lshl_b64 s[2:3], s[2:3], 2
	v_cmp_gt_i32_e64 s[0:1], s12, v4
	v_mov_b32_e32 v8, s3
	v_add_co_u32_e64 v6, s[2:3], s2, v6
	v_lshlrev_b64 v[4:5], 2, v[4:5]
	v_addc_co_u32_e64 v7, s[2:3], v8, v7, s[2:3]
	v_add_co_u32_e64 v4, s[2:3], v6, v4
	v_addc_co_u32_e64 v5, s[2:3], v7, v5, s[2:3]
	s_ashr_i32 s7, s6, 31
	s_ashr_i32 s11, s10, 31
	v_mov_b32_e32 v6, s19
	v_add_co_u32_e64 v4, s[2:3], s18, v4
	v_lshlrev_b32_e32 v14, 2, v0
	s_lshl_b64 s[6:7], s[6:7], 5
	v_addc_co_u32_e64 v5, s[2:3], v6, v5, s[2:3]
	s_lshl_b64 s[10:11], s[10:11], 5
	v_mov_b32_e32 v6, 0
	v_mov_b32_e32 v7, 0
	;; [unrolled: 1-line block ×4, first 2 shown]
	s_branch .LBB70_3
.LBB70_2:                               ;   in Loop: Header=BB70_3 Depth=1
	s_or_b64 exec, exec, s[2:3]
	s_waitcnt vmcnt(0)
	ds_write_b32 v12, v16
	s_waitcnt lgkmcnt(0)
	s_barrier
	ds_read_b128 v[16:19], v15
	ds_read2_b32 v[20:21], v14 offset1:16
	ds_read2_b32 v[22:23], v14 offset0:32 offset1:48
	ds_read2_b32 v[24:25], v14 offset0:64 offset1:80
	;; [unrolled: 1-line block ×3, first 2 shown]
	v_add_co_u32_e64 v2, s[2:3], s6, v2
	s_waitcnt lgkmcnt(3)
	v_fmac_f32_e32 v13, v20, v16
	v_fmac_f32_e32 v8, v21, v16
	s_waitcnt lgkmcnt(2)
	v_fmac_f32_e32 v13, v22, v17
	v_fmac_f32_e32 v8, v23, v17
	;; [unrolled: 3-line block ×4, first 2 shown]
	ds_read_b128 v[16:19], v15 offset:512
	s_add_i32 s20, s20, 8
	s_cmp_ge_i32 s20, s13
	s_waitcnt lgkmcnt(0)
	v_fmac_f32_e32 v7, v20, v16
	v_fmac_f32_e32 v6, v21, v16
	;; [unrolled: 1-line block ×8, first 2 shown]
	ds_read_b128 v[16:19], v15 offset:16
	ds_read2_b32 v[20:21], v14 offset0:128 offset1:144
	ds_read2_b32 v[22:23], v14 offset0:160 offset1:176
	;; [unrolled: 1-line block ×4, first 2 shown]
	s_waitcnt lgkmcnt(3)
	v_fmac_f32_e32 v13, v20, v16
	v_fmac_f32_e32 v8, v21, v16
	s_waitcnt lgkmcnt(2)
	v_fmac_f32_e32 v13, v22, v17
	v_fmac_f32_e32 v8, v23, v17
	;; [unrolled: 3-line block ×4, first 2 shown]
	ds_read_b128 v[16:19], v15 offset:528
	s_waitcnt lgkmcnt(0)
	s_barrier
	v_fmac_f32_e32 v7, v20, v16
	v_fmac_f32_e32 v6, v21, v16
	v_mov_b32_e32 v16, s7
	v_fmac_f32_e32 v7, v22, v17
	v_fmac_f32_e32 v6, v23, v17
	v_addc_co_u32_e64 v3, s[2:3], v3, v16, s[2:3]
	v_fmac_f32_e32 v7, v24, v18
	v_fmac_f32_e32 v6, v25, v18
	v_add_co_u32_e64 v4, s[2:3], s10, v4
	v_mov_b32_e32 v16, s11
	v_fmac_f32_e32 v7, v26, v19
	v_fmac_f32_e32 v6, v27, v19
	v_addc_co_u32_e64 v5, s[2:3], v5, v16, s[2:3]
	s_cbranch_scc1 .LBB70_8
.LBB70_3:                               ; =>This Inner Loop Header: Depth=1
	v_add_u32_e32 v16, s20, v10
	v_cmp_gt_i32_e64 s[2:3], s13, v16
	s_and_b64 s[16:17], vcc, s[2:3]
	v_mov_b32_e32 v16, 0
	s_and_saveexec_b64 s[2:3], s[16:17]
	s_cbranch_execz .LBB70_5
; %bb.4:                                ;   in Loop: Header=BB70_3 Depth=1
	global_load_dword v16, v[2:3], off
.LBB70_5:                               ;   in Loop: Header=BB70_3 Depth=1
	s_or_b64 exec, exec, s[2:3]
	s_waitcnt vmcnt(0)
	ds_write_b32 v11, v16
	v_add_u32_e32 v16, s20, v9
	v_cmp_gt_i32_e64 s[2:3], s13, v16
	s_and_b64 s[16:17], s[2:3], s[0:1]
	v_mov_b32_e32 v16, 0
	s_and_saveexec_b64 s[2:3], s[16:17]
	s_cbranch_execz .LBB70_2
; %bb.6:                                ;   in Loop: Header=BB70_3 Depth=1
	global_load_dword v16, v[4:5], off
	s_branch .LBB70_2
.LBB70_7:
	v_mov_b32_e32 v13, 0
	v_mov_b32_e32 v8, 0
	;; [unrolled: 1-line block ×4, first 2 shown]
.LBB70_8:
	s_load_dwordx2 s[0:1], s[4:5], 0x58
	s_load_dword s6, s[4:5], 0x40
	s_load_dwordx2 s[2:3], s[4:5], 0x48
	s_load_dword s7, s[4:5], 0x50
	v_add_u32_e32 v4, s15, v1
	s_waitcnt lgkmcnt(0)
	s_mul_i32 s1, s1, s8
	s_mul_hi_u32 s4, s0, s8
	s_add_i32 s1, s4, s1
	v_mad_i64_i32 v[1:2], s[4:5], v4, s7, 0
	s_mul_i32 s0, s0, s8
	s_lshl_b64 s[0:1], s[0:1], 2
	s_add_u32 s8, s2, s0
	v_lshlrev_b64 v[1:2], 2, v[1:2]
	s_addc_u32 s10, s3, s1
	v_mov_b32_e32 v3, s10
	v_add_co_u32_e32 v5, vcc, s8, v1
	v_add_u32_e32 v0, s9, v0
	v_addc_co_u32_e32 v9, vcc, v3, v2, vcc
	v_cmp_le_i32_e64 s[0:1], v4, v0
	v_cmp_gt_i32_e32 vcc, s12, v0
	s_and_b64 s[0:1], s[0:1], vcc
	s_and_saveexec_b64 s[2:3], s[0:1]
	s_cbranch_execz .LBB70_10
; %bb.9:
	v_ashrrev_i32_e32 v1, 31, v0
	v_lshlrev_b64 v[1:2], 2, v[0:1]
	v_add_co_u32_e64 v1, s[0:1], v5, v1
	v_addc_co_u32_e64 v2, s[0:1], v9, v2, s[0:1]
	global_load_dword v3, v[1:2], off
	s_waitcnt vmcnt(0)
	v_mul_f32_e32 v3, s6, v3
	v_fmac_f32_e32 v3, s14, v13
	global_store_dword v[1:2], v3, off
.LBB70_10:
	s_or_b64 exec, exec, s[2:3]
	v_add_u32_e32 v2, 16, v0
	v_cmp_le_i32_e64 s[2:3], v4, v2
	v_cmp_gt_i32_e64 s[0:1], s12, v2
	s_and_b64 s[2:3], s[2:3], s[0:1]
	s_and_saveexec_b64 s[4:5], s[2:3]
	s_cbranch_execz .LBB70_12
; %bb.11:
	v_ashrrev_i32_e32 v3, 31, v2
	v_lshlrev_b64 v[10:11], 2, v[2:3]
	v_add_co_u32_e64 v10, s[2:3], v5, v10
	v_addc_co_u32_e64 v11, s[2:3], v9, v11, s[2:3]
	global_load_dword v1, v[10:11], off
	s_waitcnt vmcnt(0)
	v_mul_f32_e32 v1, s6, v1
	v_fmac_f32_e32 v1, s14, v8
	global_store_dword v[10:11], v1, off
.LBB70_12:
	s_or_b64 exec, exec, s[4:5]
	v_add_u32_e32 v3, 16, v4
	v_mad_i64_i32 v[4:5], s[2:3], v3, s7, 0
	v_mov_b32_e32 v1, s10
	v_lshlrev_b64 v[4:5], 2, v[4:5]
	v_add_co_u32_e64 v4, s[2:3], s8, v4
	v_addc_co_u32_e64 v5, s[2:3], v1, v5, s[2:3]
	v_cmp_le_i32_e64 s[2:3], v3, v0
	s_and_b64 s[4:5], s[2:3], vcc
	s_and_saveexec_b64 s[2:3], s[4:5]
	s_cbranch_execz .LBB70_14
; %bb.13:
	v_ashrrev_i32_e32 v1, 31, v0
	v_lshlrev_b64 v[0:1], 2, v[0:1]
	v_add_co_u32_e32 v0, vcc, v4, v0
	v_addc_co_u32_e32 v1, vcc, v5, v1, vcc
	global_load_dword v8, v[0:1], off
	s_waitcnt vmcnt(0)
	v_mul_f32_e32 v8, s6, v8
	v_fmac_f32_e32 v8, s14, v7
	global_store_dword v[0:1], v8, off
.LBB70_14:
	s_or_b64 exec, exec, s[2:3]
	v_cmp_le_i32_e32 vcc, v3, v2
	s_and_b64 s[0:1], vcc, s[0:1]
	s_and_saveexec_b64 s[2:3], s[0:1]
	s_cbranch_execz .LBB70_16
; %bb.15:
	v_ashrrev_i32_e32 v3, 31, v2
	v_lshlrev_b64 v[0:1], 2, v[2:3]
	v_add_co_u32_e32 v0, vcc, v4, v0
	v_addc_co_u32_e32 v1, vcc, v5, v1, vcc
	global_load_dword v2, v[0:1], off
	s_waitcnt vmcnt(0)
	v_mul_f32_e32 v2, s6, v2
	v_fmac_f32_e32 v2, s14, v6
	global_store_dword v[0:1], v2, off
.LBB70_16:
	s_endpgm
	.section	.rodata,"a",@progbits
	.p2align	6, 0x0
	.amdhsa_kernel _ZL34rocblas_syrkx_herkx_general_kernelIifLi16ELi32ELi8ELb0ELb0ELc78ELc76EKffEviT_T0_PT8_S1_lS4_S1_lS2_PT9_S1_li
		.amdhsa_group_segment_fixed_size 2048
		.amdhsa_private_segment_fixed_size 0
		.amdhsa_kernarg_size 100
		.amdhsa_user_sgpr_count 6
		.amdhsa_user_sgpr_private_segment_buffer 1
		.amdhsa_user_sgpr_dispatch_ptr 0
		.amdhsa_user_sgpr_queue_ptr 0
		.amdhsa_user_sgpr_kernarg_segment_ptr 1
		.amdhsa_user_sgpr_dispatch_id 0
		.amdhsa_user_sgpr_flat_scratch_init 0
		.amdhsa_user_sgpr_private_segment_size 0
		.amdhsa_uses_dynamic_stack 0
		.amdhsa_system_sgpr_private_segment_wavefront_offset 0
		.amdhsa_system_sgpr_workgroup_id_x 1
		.amdhsa_system_sgpr_workgroup_id_y 1
		.amdhsa_system_sgpr_workgroup_id_z 1
		.amdhsa_system_sgpr_workgroup_info 0
		.amdhsa_system_vgpr_workitem_id 1
		.amdhsa_next_free_vgpr 28
		.amdhsa_next_free_sgpr 26
		.amdhsa_reserve_vcc 1
		.amdhsa_reserve_flat_scratch 0
		.amdhsa_float_round_mode_32 0
		.amdhsa_float_round_mode_16_64 0
		.amdhsa_float_denorm_mode_32 3
		.amdhsa_float_denorm_mode_16_64 3
		.amdhsa_dx10_clamp 1
		.amdhsa_ieee_mode 1
		.amdhsa_fp16_overflow 0
		.amdhsa_exception_fp_ieee_invalid_op 0
		.amdhsa_exception_fp_denorm_src 0
		.amdhsa_exception_fp_ieee_div_zero 0
		.amdhsa_exception_fp_ieee_overflow 0
		.amdhsa_exception_fp_ieee_underflow 0
		.amdhsa_exception_fp_ieee_inexact 0
		.amdhsa_exception_int_div_zero 0
	.end_amdhsa_kernel
	.section	.text._ZL34rocblas_syrkx_herkx_general_kernelIifLi16ELi32ELi8ELb0ELb0ELc78ELc76EKffEviT_T0_PT8_S1_lS4_S1_lS2_PT9_S1_li,"axG",@progbits,_ZL34rocblas_syrkx_herkx_general_kernelIifLi16ELi32ELi8ELb0ELb0ELc78ELc76EKffEviT_T0_PT8_S1_lS4_S1_lS2_PT9_S1_li,comdat
.Lfunc_end70:
	.size	_ZL34rocblas_syrkx_herkx_general_kernelIifLi16ELi32ELi8ELb0ELb0ELc78ELc76EKffEviT_T0_PT8_S1_lS4_S1_lS2_PT9_S1_li, .Lfunc_end70-_ZL34rocblas_syrkx_herkx_general_kernelIifLi16ELi32ELi8ELb0ELb0ELc78ELc76EKffEviT_T0_PT8_S1_lS4_S1_lS2_PT9_S1_li
                                        ; -- End function
	.set _ZL34rocblas_syrkx_herkx_general_kernelIifLi16ELi32ELi8ELb0ELb0ELc78ELc76EKffEviT_T0_PT8_S1_lS4_S1_lS2_PT9_S1_li.num_vgpr, 28
	.set _ZL34rocblas_syrkx_herkx_general_kernelIifLi16ELi32ELi8ELb0ELb0ELc78ELc76EKffEviT_T0_PT8_S1_lS4_S1_lS2_PT9_S1_li.num_agpr, 0
	.set _ZL34rocblas_syrkx_herkx_general_kernelIifLi16ELi32ELi8ELb0ELb0ELc78ELc76EKffEviT_T0_PT8_S1_lS4_S1_lS2_PT9_S1_li.numbered_sgpr, 26
	.set _ZL34rocblas_syrkx_herkx_general_kernelIifLi16ELi32ELi8ELb0ELb0ELc78ELc76EKffEviT_T0_PT8_S1_lS4_S1_lS2_PT9_S1_li.num_named_barrier, 0
	.set _ZL34rocblas_syrkx_herkx_general_kernelIifLi16ELi32ELi8ELb0ELb0ELc78ELc76EKffEviT_T0_PT8_S1_lS4_S1_lS2_PT9_S1_li.private_seg_size, 0
	.set _ZL34rocblas_syrkx_herkx_general_kernelIifLi16ELi32ELi8ELb0ELb0ELc78ELc76EKffEviT_T0_PT8_S1_lS4_S1_lS2_PT9_S1_li.uses_vcc, 1
	.set _ZL34rocblas_syrkx_herkx_general_kernelIifLi16ELi32ELi8ELb0ELb0ELc78ELc76EKffEviT_T0_PT8_S1_lS4_S1_lS2_PT9_S1_li.uses_flat_scratch, 0
	.set _ZL34rocblas_syrkx_herkx_general_kernelIifLi16ELi32ELi8ELb0ELb0ELc78ELc76EKffEviT_T0_PT8_S1_lS4_S1_lS2_PT9_S1_li.has_dyn_sized_stack, 0
	.set _ZL34rocblas_syrkx_herkx_general_kernelIifLi16ELi32ELi8ELb0ELb0ELc78ELc76EKffEviT_T0_PT8_S1_lS4_S1_lS2_PT9_S1_li.has_recursion, 0
	.set _ZL34rocblas_syrkx_herkx_general_kernelIifLi16ELi32ELi8ELb0ELb0ELc78ELc76EKffEviT_T0_PT8_S1_lS4_S1_lS2_PT9_S1_li.has_indirect_call, 0
	.section	.AMDGPU.csdata,"",@progbits
; Kernel info:
; codeLenInByte = 1328
; TotalNumSgprs: 30
; NumVgprs: 28
; ScratchSize: 0
; MemoryBound: 0
; FloatMode: 240
; IeeeMode: 1
; LDSByteSize: 2048 bytes/workgroup (compile time only)
; SGPRBlocks: 3
; VGPRBlocks: 6
; NumSGPRsForWavesPerEU: 30
; NumVGPRsForWavesPerEU: 28
; Occupancy: 9
; WaveLimiterHint : 0
; COMPUTE_PGM_RSRC2:SCRATCH_EN: 0
; COMPUTE_PGM_RSRC2:USER_SGPR: 6
; COMPUTE_PGM_RSRC2:TRAP_HANDLER: 0
; COMPUTE_PGM_RSRC2:TGID_X_EN: 1
; COMPUTE_PGM_RSRC2:TGID_Y_EN: 1
; COMPUTE_PGM_RSRC2:TGID_Z_EN: 1
; COMPUTE_PGM_RSRC2:TIDIG_COMP_CNT: 1
	.section	.text._ZL34rocblas_syrkx_herkx_general_kernelIifLi16ELi32ELi8ELb0ELb0ELc84ELc85EKffEviT_T0_PT8_S1_lS4_S1_lS2_PT9_S1_li,"axG",@progbits,_ZL34rocblas_syrkx_herkx_general_kernelIifLi16ELi32ELi8ELb0ELb0ELc84ELc85EKffEviT_T0_PT8_S1_lS4_S1_lS2_PT9_S1_li,comdat
	.globl	_ZL34rocblas_syrkx_herkx_general_kernelIifLi16ELi32ELi8ELb0ELb0ELc84ELc85EKffEviT_T0_PT8_S1_lS4_S1_lS2_PT9_S1_li ; -- Begin function _ZL34rocblas_syrkx_herkx_general_kernelIifLi16ELi32ELi8ELb0ELb0ELc84ELc85EKffEviT_T0_PT8_S1_lS4_S1_lS2_PT9_S1_li
	.p2align	8
	.type	_ZL34rocblas_syrkx_herkx_general_kernelIifLi16ELi32ELi8ELb0ELb0ELc84ELc85EKffEviT_T0_PT8_S1_lS4_S1_lS2_PT9_S1_li,@function
_ZL34rocblas_syrkx_herkx_general_kernelIifLi16ELi32ELi8ELb0ELb0ELc84ELc85EKffEviT_T0_PT8_S1_lS4_S1_lS2_PT9_S1_li: ; @_ZL34rocblas_syrkx_herkx_general_kernelIifLi16ELi32ELi8ELb0ELb0ELc84ELc85EKffEviT_T0_PT8_S1_lS4_S1_lS2_PT9_S1_li
; %bb.0:
	s_load_dwordx4 s[12:15], s[4:5], 0x0
	s_lshl_b32 s6, s6, 5
	s_lshl_b32 s7, s7, 5
	s_mov_b32 s9, 0
	s_waitcnt lgkmcnt(0)
	s_cmp_lt_i32 s13, 1
	s_cbranch_scc1 .LBB71_7
; %bb.1:
	v_lshl_add_u32 v2, v1, 4, v0
	v_and_b32_e32 v9, 7, v0
	v_lshrrev_b32_e32 v10, 5, v2
	v_lshrrev_b32_e32 v3, 3, v2
	v_and_b32_e32 v2, 31, v2
	s_load_dwordx2 s[10:11], s[4:5], 0x10
	s_load_dword s2, s[4:5], 0x18
	s_load_dwordx4 s[16:19], s[4:5], 0x20
	s_load_dword s15, s[4:5], 0x30
	s_load_dwordx2 s[20:21], s[4:5], 0x38
	v_or_b32_e32 v5, s6, v2
	v_lshlrev_b32_e32 v7, 2, v9
	v_add_u32_e32 v4, s7, v3
	v_cmp_gt_i32_e32 vcc, s12, v5
	v_lshlrev_b32_e32 v5, 2, v2
	v_lshl_or_b32 v3, v3, 5, v7
	v_add_u32_e32 v2, s6, v2
	v_add_u32_e32 v13, 0x400, v3
	s_waitcnt lgkmcnt(0)
	v_mad_i64_i32 v[2:3], s[2:3], s2, v2, 0
	s_mul_i32 s2, s17, s8
	s_mul_hi_u32 s3, s16, s8
	v_lshlrev_b64 v[2:3], 2, v[2:3]
	s_add_i32 s3, s3, s2
	s_mul_i32 s2, s16, s8
	v_lshl_or_b32 v12, v10, 7, v5
	v_mov_b32_e32 v5, 0x400
	s_lshl_b64 s[2:3], s[2:3], 2
	v_lshl_add_u32 v15, v1, 5, v5
	v_mov_b32_e32 v5, s3
	v_add_co_u32_e64 v2, s[2:3], s2, v2
	v_addc_co_u32_e64 v3, s[2:3], v3, v5, s[2:3]
	v_lshlrev_b32_e32 v5, 2, v10
	v_add_co_u32_e64 v2, s[2:3], v2, v5
	v_cmp_gt_i32_e64 s[0:1], s12, v4
	v_addc_co_u32_e64 v3, s[2:3], 0, v3, s[2:3]
	v_mad_i64_i32 v[4:5], s[2:3], s15, v4, 0
	v_mov_b32_e32 v8, s11
	v_add_co_u32_e64 v2, s[2:3], s10, v2
	v_addc_co_u32_e64 v3, s[2:3], v8, v3, s[2:3]
	s_mul_i32 s2, s21, s8
	s_mul_hi_u32 s3, s20, s8
	v_lshlrev_b64 v[4:5], 2, v[4:5]
	s_add_i32 s3, s3, s2
	s_mul_i32 s2, s20, s8
	s_lshl_b64 s[2:3], s[2:3], 2
	v_mov_b32_e32 v8, s3
	v_add_co_u32_e64 v4, s[2:3], s2, v4
	v_addc_co_u32_e64 v5, s[2:3], v5, v8, s[2:3]
	v_add_co_u32_e64 v4, s[2:3], v4, v7
	v_addc_co_u32_e64 v5, s[2:3], 0, v5, s[2:3]
	v_mov_b32_e32 v7, s19
	v_add_co_u32_e64 v4, s[2:3], s18, v4
	v_lshlrev_b32_e32 v14, 2, v0
	v_mov_b32_e32 v6, 0
	v_addc_co_u32_e64 v5, s[2:3], v7, v5, s[2:3]
	v_mov_b32_e32 v7, 0
	v_mov_b32_e32 v8, 0
	;; [unrolled: 1-line block ×3, first 2 shown]
	s_branch .LBB71_3
.LBB71_2:                               ;   in Loop: Header=BB71_3 Depth=1
	s_or_b64 exec, exec, s[2:3]
	s_waitcnt vmcnt(0)
	ds_write_b32 v13, v16
	s_waitcnt lgkmcnt(0)
	s_barrier
	ds_read_b128 v[16:19], v15
	ds_read2_b32 v[20:21], v14 offset1:16
	ds_read2_b32 v[22:23], v14 offset0:32 offset1:48
	ds_read2_b32 v[24:25], v14 offset0:64 offset1:80
	;; [unrolled: 1-line block ×3, first 2 shown]
	v_add_co_u32_e64 v2, s[2:3], 32, v2
	s_waitcnt lgkmcnt(3)
	v_fmac_f32_e32 v11, v20, v16
	v_fmac_f32_e32 v8, v21, v16
	s_waitcnt lgkmcnt(2)
	v_fmac_f32_e32 v11, v22, v17
	v_fmac_f32_e32 v8, v23, v17
	;; [unrolled: 3-line block ×4, first 2 shown]
	ds_read_b128 v[16:19], v15 offset:512
	v_addc_co_u32_e64 v3, s[2:3], 0, v3, s[2:3]
	s_add_i32 s9, s9, 8
	v_add_co_u32_e64 v4, s[2:3], 32, v4
	s_waitcnt lgkmcnt(0)
	v_fmac_f32_e32 v7, v20, v16
	v_fmac_f32_e32 v6, v21, v16
	;; [unrolled: 1-line block ×8, first 2 shown]
	ds_read_b128 v[16:19], v15 offset:16
	ds_read2_b32 v[20:21], v14 offset0:128 offset1:144
	ds_read2_b32 v[22:23], v14 offset0:160 offset1:176
	;; [unrolled: 1-line block ×4, first 2 shown]
	s_cmp_ge_i32 s9, s13
	s_waitcnt lgkmcnt(3)
	v_fmac_f32_e32 v11, v20, v16
	v_fmac_f32_e32 v8, v21, v16
	s_waitcnt lgkmcnt(2)
	v_fmac_f32_e32 v11, v22, v17
	v_fmac_f32_e32 v8, v23, v17
	;; [unrolled: 3-line block ×4, first 2 shown]
	ds_read_b128 v[16:19], v15 offset:528
	v_addc_co_u32_e64 v5, s[2:3], 0, v5, s[2:3]
	s_waitcnt lgkmcnt(0)
	s_barrier
	v_fmac_f32_e32 v7, v20, v16
	v_fmac_f32_e32 v6, v21, v16
	;; [unrolled: 1-line block ×8, first 2 shown]
	s_cbranch_scc1 .LBB71_8
.LBB71_3:                               ; =>This Inner Loop Header: Depth=1
	v_add_u32_e32 v16, s9, v10
	v_cmp_gt_i32_e64 s[2:3], s13, v16
	s_and_b64 s[10:11], vcc, s[2:3]
	v_mov_b32_e32 v16, 0
	s_and_saveexec_b64 s[2:3], s[10:11]
	s_cbranch_execz .LBB71_5
; %bb.4:                                ;   in Loop: Header=BB71_3 Depth=1
	global_load_dword v16, v[2:3], off
.LBB71_5:                               ;   in Loop: Header=BB71_3 Depth=1
	s_or_b64 exec, exec, s[2:3]
	s_waitcnt vmcnt(0)
	ds_write_b32 v12, v16
	v_add_u32_e32 v16, s9, v9
	v_cmp_gt_i32_e64 s[2:3], s13, v16
	s_and_b64 s[10:11], s[2:3], s[0:1]
	v_mov_b32_e32 v16, 0
	s_and_saveexec_b64 s[2:3], s[10:11]
	s_cbranch_execz .LBB71_2
; %bb.6:                                ;   in Loop: Header=BB71_3 Depth=1
	global_load_dword v16, v[4:5], off
	s_branch .LBB71_2
.LBB71_7:
	v_mov_b32_e32 v11, 0
	v_mov_b32_e32 v8, 0
	;; [unrolled: 1-line block ×4, first 2 shown]
.LBB71_8:
	s_load_dwordx2 s[0:1], s[4:5], 0x58
	s_load_dword s9, s[4:5], 0x40
	s_load_dwordx2 s[2:3], s[4:5], 0x48
	s_load_dword s10, s[4:5], 0x50
	v_add_u32_e32 v4, s7, v1
	s_waitcnt lgkmcnt(0)
	s_mul_i32 s1, s1, s8
	s_mul_hi_u32 s4, s0, s8
	s_add_i32 s1, s4, s1
	v_mad_i64_i32 v[1:2], s[16:17], v4, s10, 0
	s_mul_i32 s0, s0, s8
	s_lshl_b64 s[0:1], s[0:1], 2
	s_add_u32 s4, s2, s0
	v_lshlrev_b64 v[1:2], 2, v[1:2]
	s_addc_u32 s5, s3, s1
	v_mov_b32_e32 v3, s5
	v_add_co_u32_e64 v5, s[0:1], s4, v1
	v_add_u32_e32 v0, s6, v0
	v_addc_co_u32_e64 v9, s[0:1], v3, v2, s[0:1]
	v_cmp_gt_i32_e32 vcc, s12, v4
	v_cmp_le_i32_e64 s[0:1], v0, v4
	s_and_b64 s[0:1], vcc, s[0:1]
	s_and_saveexec_b64 s[2:3], s[0:1]
	s_cbranch_execz .LBB71_10
; %bb.9:
	v_ashrrev_i32_e32 v1, 31, v0
	v_lshlrev_b64 v[1:2], 2, v[0:1]
	v_add_co_u32_e64 v1, s[0:1], v5, v1
	v_addc_co_u32_e64 v2, s[0:1], v9, v2, s[0:1]
	global_load_dword v3, v[1:2], off
	s_waitcnt vmcnt(0)
	v_mul_f32_e32 v3, s9, v3
	v_fmac_f32_e32 v3, s14, v11
	global_store_dword v[1:2], v3, off
.LBB71_10:
	s_or_b64 exec, exec, s[2:3]
	v_add_u32_e32 v2, 16, v0
	v_cmp_le_i32_e64 s[0:1], v2, v4
	s_and_b64 s[2:3], vcc, s[0:1]
	s_and_saveexec_b64 s[0:1], s[2:3]
	s_cbranch_execz .LBB71_12
; %bb.11:
	v_ashrrev_i32_e32 v3, 31, v2
	v_lshlrev_b64 v[10:11], 2, v[2:3]
	v_add_co_u32_e32 v10, vcc, v5, v10
	v_addc_co_u32_e32 v11, vcc, v9, v11, vcc
	global_load_dword v1, v[10:11], off
	s_waitcnt vmcnt(0)
	v_mul_f32_e32 v1, s9, v1
	v_fmac_f32_e32 v1, s14, v8
	global_store_dword v[10:11], v1, off
.LBB71_12:
	s_or_b64 exec, exec, s[0:1]
	v_add_u32_e32 v3, 16, v4
	v_mad_i64_i32 v[4:5], s[0:1], v3, s10, 0
	v_mov_b32_e32 v1, s5
	v_cmp_gt_i32_e32 vcc, s12, v3
	v_lshlrev_b64 v[4:5], 2, v[4:5]
	v_add_co_u32_e64 v4, s[0:1], s4, v4
	v_addc_co_u32_e64 v5, s[0:1], v1, v5, s[0:1]
	v_cmp_le_i32_e64 s[0:1], v0, v3
	s_and_b64 s[0:1], vcc, s[0:1]
	s_and_saveexec_b64 s[2:3], s[0:1]
	s_cbranch_execz .LBB71_14
; %bb.13:
	v_ashrrev_i32_e32 v1, 31, v0
	v_lshlrev_b64 v[0:1], 2, v[0:1]
	v_add_co_u32_e64 v0, s[0:1], v4, v0
	v_addc_co_u32_e64 v1, s[0:1], v5, v1, s[0:1]
	global_load_dword v8, v[0:1], off
	s_waitcnt vmcnt(0)
	v_mul_f32_e32 v8, s9, v8
	v_fmac_f32_e32 v8, s14, v7
	global_store_dword v[0:1], v8, off
.LBB71_14:
	s_or_b64 exec, exec, s[2:3]
	v_cmp_le_i32_e64 s[0:1], v2, v3
	s_and_b64 s[0:1], vcc, s[0:1]
	s_and_saveexec_b64 s[2:3], s[0:1]
	s_cbranch_execz .LBB71_16
; %bb.15:
	v_ashrrev_i32_e32 v3, 31, v2
	v_lshlrev_b64 v[0:1], 2, v[2:3]
	v_add_co_u32_e32 v0, vcc, v4, v0
	v_addc_co_u32_e32 v1, vcc, v5, v1, vcc
	global_load_dword v2, v[0:1], off
	s_waitcnt vmcnt(0)
	v_mul_f32_e32 v2, s9, v2
	v_fmac_f32_e32 v2, s14, v6
	global_store_dword v[0:1], v2, off
.LBB71_16:
	s_endpgm
	.section	.rodata,"a",@progbits
	.p2align	6, 0x0
	.amdhsa_kernel _ZL34rocblas_syrkx_herkx_general_kernelIifLi16ELi32ELi8ELb0ELb0ELc84ELc85EKffEviT_T0_PT8_S1_lS4_S1_lS2_PT9_S1_li
		.amdhsa_group_segment_fixed_size 2048
		.amdhsa_private_segment_fixed_size 0
		.amdhsa_kernarg_size 100
		.amdhsa_user_sgpr_count 6
		.amdhsa_user_sgpr_private_segment_buffer 1
		.amdhsa_user_sgpr_dispatch_ptr 0
		.amdhsa_user_sgpr_queue_ptr 0
		.amdhsa_user_sgpr_kernarg_segment_ptr 1
		.amdhsa_user_sgpr_dispatch_id 0
		.amdhsa_user_sgpr_flat_scratch_init 0
		.amdhsa_user_sgpr_private_segment_size 0
		.amdhsa_uses_dynamic_stack 0
		.amdhsa_system_sgpr_private_segment_wavefront_offset 0
		.amdhsa_system_sgpr_workgroup_id_x 1
		.amdhsa_system_sgpr_workgroup_id_y 1
		.amdhsa_system_sgpr_workgroup_id_z 1
		.amdhsa_system_sgpr_workgroup_info 0
		.amdhsa_system_vgpr_workitem_id 1
		.amdhsa_next_free_vgpr 28
		.amdhsa_next_free_sgpr 22
		.amdhsa_reserve_vcc 1
		.amdhsa_reserve_flat_scratch 0
		.amdhsa_float_round_mode_32 0
		.amdhsa_float_round_mode_16_64 0
		.amdhsa_float_denorm_mode_32 3
		.amdhsa_float_denorm_mode_16_64 3
		.amdhsa_dx10_clamp 1
		.amdhsa_ieee_mode 1
		.amdhsa_fp16_overflow 0
		.amdhsa_exception_fp_ieee_invalid_op 0
		.amdhsa_exception_fp_denorm_src 0
		.amdhsa_exception_fp_ieee_div_zero 0
		.amdhsa_exception_fp_ieee_overflow 0
		.amdhsa_exception_fp_ieee_underflow 0
		.amdhsa_exception_fp_ieee_inexact 0
		.amdhsa_exception_int_div_zero 0
	.end_amdhsa_kernel
	.section	.text._ZL34rocblas_syrkx_herkx_general_kernelIifLi16ELi32ELi8ELb0ELb0ELc84ELc85EKffEviT_T0_PT8_S1_lS4_S1_lS2_PT9_S1_li,"axG",@progbits,_ZL34rocblas_syrkx_herkx_general_kernelIifLi16ELi32ELi8ELb0ELb0ELc84ELc85EKffEviT_T0_PT8_S1_lS4_S1_lS2_PT9_S1_li,comdat
.Lfunc_end71:
	.size	_ZL34rocblas_syrkx_herkx_general_kernelIifLi16ELi32ELi8ELb0ELb0ELc84ELc85EKffEviT_T0_PT8_S1_lS4_S1_lS2_PT9_S1_li, .Lfunc_end71-_ZL34rocblas_syrkx_herkx_general_kernelIifLi16ELi32ELi8ELb0ELb0ELc84ELc85EKffEviT_T0_PT8_S1_lS4_S1_lS2_PT9_S1_li
                                        ; -- End function
	.set _ZL34rocblas_syrkx_herkx_general_kernelIifLi16ELi32ELi8ELb0ELb0ELc84ELc85EKffEviT_T0_PT8_S1_lS4_S1_lS2_PT9_S1_li.num_vgpr, 28
	.set _ZL34rocblas_syrkx_herkx_general_kernelIifLi16ELi32ELi8ELb0ELb0ELc84ELc85EKffEviT_T0_PT8_S1_lS4_S1_lS2_PT9_S1_li.num_agpr, 0
	.set _ZL34rocblas_syrkx_herkx_general_kernelIifLi16ELi32ELi8ELb0ELb0ELc84ELc85EKffEviT_T0_PT8_S1_lS4_S1_lS2_PT9_S1_li.numbered_sgpr, 22
	.set _ZL34rocblas_syrkx_herkx_general_kernelIifLi16ELi32ELi8ELb0ELb0ELc84ELc85EKffEviT_T0_PT8_S1_lS4_S1_lS2_PT9_S1_li.num_named_barrier, 0
	.set _ZL34rocblas_syrkx_herkx_general_kernelIifLi16ELi32ELi8ELb0ELb0ELc84ELc85EKffEviT_T0_PT8_S1_lS4_S1_lS2_PT9_S1_li.private_seg_size, 0
	.set _ZL34rocblas_syrkx_herkx_general_kernelIifLi16ELi32ELi8ELb0ELb0ELc84ELc85EKffEviT_T0_PT8_S1_lS4_S1_lS2_PT9_S1_li.uses_vcc, 1
	.set _ZL34rocblas_syrkx_herkx_general_kernelIifLi16ELi32ELi8ELb0ELb0ELc84ELc85EKffEviT_T0_PT8_S1_lS4_S1_lS2_PT9_S1_li.uses_flat_scratch, 0
	.set _ZL34rocblas_syrkx_herkx_general_kernelIifLi16ELi32ELi8ELb0ELb0ELc84ELc85EKffEviT_T0_PT8_S1_lS4_S1_lS2_PT9_S1_li.has_dyn_sized_stack, 0
	.set _ZL34rocblas_syrkx_herkx_general_kernelIifLi16ELi32ELi8ELb0ELb0ELc84ELc85EKffEviT_T0_PT8_S1_lS4_S1_lS2_PT9_S1_li.has_recursion, 0
	.set _ZL34rocblas_syrkx_herkx_general_kernelIifLi16ELi32ELi8ELb0ELb0ELc84ELc85EKffEviT_T0_PT8_S1_lS4_S1_lS2_PT9_S1_li.has_indirect_call, 0
	.section	.AMDGPU.csdata,"",@progbits
; Kernel info:
; codeLenInByte = 1292
; TotalNumSgprs: 26
; NumVgprs: 28
; ScratchSize: 0
; MemoryBound: 0
; FloatMode: 240
; IeeeMode: 1
; LDSByteSize: 2048 bytes/workgroup (compile time only)
; SGPRBlocks: 3
; VGPRBlocks: 6
; NumSGPRsForWavesPerEU: 26
; NumVGPRsForWavesPerEU: 28
; Occupancy: 9
; WaveLimiterHint : 0
; COMPUTE_PGM_RSRC2:SCRATCH_EN: 0
; COMPUTE_PGM_RSRC2:USER_SGPR: 6
; COMPUTE_PGM_RSRC2:TRAP_HANDLER: 0
; COMPUTE_PGM_RSRC2:TGID_X_EN: 1
; COMPUTE_PGM_RSRC2:TGID_Y_EN: 1
; COMPUTE_PGM_RSRC2:TGID_Z_EN: 1
; COMPUTE_PGM_RSRC2:TIDIG_COMP_CNT: 1
	.section	.text._ZL34rocblas_syrkx_herkx_general_kernelIifLi16ELi32ELi8ELb0ELb0ELc67ELc85EKffEviT_T0_PT8_S1_lS4_S1_lS2_PT9_S1_li,"axG",@progbits,_ZL34rocblas_syrkx_herkx_general_kernelIifLi16ELi32ELi8ELb0ELb0ELc67ELc85EKffEviT_T0_PT8_S1_lS4_S1_lS2_PT9_S1_li,comdat
	.globl	_ZL34rocblas_syrkx_herkx_general_kernelIifLi16ELi32ELi8ELb0ELb0ELc67ELc85EKffEviT_T0_PT8_S1_lS4_S1_lS2_PT9_S1_li ; -- Begin function _ZL34rocblas_syrkx_herkx_general_kernelIifLi16ELi32ELi8ELb0ELb0ELc67ELc85EKffEviT_T0_PT8_S1_lS4_S1_lS2_PT9_S1_li
	.p2align	8
	.type	_ZL34rocblas_syrkx_herkx_general_kernelIifLi16ELi32ELi8ELb0ELb0ELc67ELc85EKffEviT_T0_PT8_S1_lS4_S1_lS2_PT9_S1_li,@function
_ZL34rocblas_syrkx_herkx_general_kernelIifLi16ELi32ELi8ELb0ELb0ELc67ELc85EKffEviT_T0_PT8_S1_lS4_S1_lS2_PT9_S1_li: ; @_ZL34rocblas_syrkx_herkx_general_kernelIifLi16ELi32ELi8ELb0ELb0ELc67ELc85EKffEviT_T0_PT8_S1_lS4_S1_lS2_PT9_S1_li
; %bb.0:
	s_load_dwordx4 s[12:15], s[4:5], 0x0
	s_lshl_b32 s6, s6, 5
	s_lshl_b32 s7, s7, 5
	s_mov_b32 s9, 0
	s_waitcnt lgkmcnt(0)
	s_cmp_lt_i32 s13, 1
	s_cbranch_scc1 .LBB72_7
; %bb.1:
	v_lshl_add_u32 v2, v1, 4, v0
	v_and_b32_e32 v9, 7, v0
	v_lshrrev_b32_e32 v10, 5, v2
	v_lshrrev_b32_e32 v3, 3, v2
	v_and_b32_e32 v2, 31, v2
	s_load_dwordx2 s[10:11], s[4:5], 0x10
	s_load_dword s2, s[4:5], 0x18
	s_load_dwordx4 s[16:19], s[4:5], 0x20
	s_load_dword s15, s[4:5], 0x30
	s_load_dwordx2 s[20:21], s[4:5], 0x38
	v_or_b32_e32 v5, s6, v2
	v_lshlrev_b32_e32 v7, 2, v9
	v_add_u32_e32 v4, s7, v3
	v_cmp_gt_i32_e32 vcc, s12, v5
	v_lshlrev_b32_e32 v5, 2, v2
	v_lshl_or_b32 v3, v3, 5, v7
	v_add_u32_e32 v2, s6, v2
	v_add_u32_e32 v13, 0x400, v3
	s_waitcnt lgkmcnt(0)
	v_mad_i64_i32 v[2:3], s[2:3], s2, v2, 0
	s_mul_i32 s2, s17, s8
	s_mul_hi_u32 s3, s16, s8
	v_lshlrev_b64 v[2:3], 2, v[2:3]
	s_add_i32 s3, s3, s2
	s_mul_i32 s2, s16, s8
	v_lshl_or_b32 v12, v10, 7, v5
	v_mov_b32_e32 v5, 0x400
	s_lshl_b64 s[2:3], s[2:3], 2
	v_lshl_add_u32 v15, v1, 5, v5
	v_mov_b32_e32 v5, s3
	v_add_co_u32_e64 v2, s[2:3], s2, v2
	v_addc_co_u32_e64 v3, s[2:3], v3, v5, s[2:3]
	v_lshlrev_b32_e32 v5, 2, v10
	v_add_co_u32_e64 v2, s[2:3], v2, v5
	v_cmp_gt_i32_e64 s[0:1], s12, v4
	v_addc_co_u32_e64 v3, s[2:3], 0, v3, s[2:3]
	v_mad_i64_i32 v[4:5], s[2:3], s15, v4, 0
	v_mov_b32_e32 v8, s11
	v_add_co_u32_e64 v2, s[2:3], s10, v2
	v_addc_co_u32_e64 v3, s[2:3], v8, v3, s[2:3]
	s_mul_i32 s2, s21, s8
	s_mul_hi_u32 s3, s20, s8
	v_lshlrev_b64 v[4:5], 2, v[4:5]
	s_add_i32 s3, s3, s2
	s_mul_i32 s2, s20, s8
	s_lshl_b64 s[2:3], s[2:3], 2
	v_mov_b32_e32 v8, s3
	v_add_co_u32_e64 v4, s[2:3], s2, v4
	v_addc_co_u32_e64 v5, s[2:3], v5, v8, s[2:3]
	v_add_co_u32_e64 v4, s[2:3], v4, v7
	v_addc_co_u32_e64 v5, s[2:3], 0, v5, s[2:3]
	v_mov_b32_e32 v7, s19
	v_add_co_u32_e64 v4, s[2:3], s18, v4
	v_lshlrev_b32_e32 v14, 2, v0
	v_mov_b32_e32 v6, 0
	v_addc_co_u32_e64 v5, s[2:3], v7, v5, s[2:3]
	v_mov_b32_e32 v7, 0
	v_mov_b32_e32 v8, 0
	;; [unrolled: 1-line block ×3, first 2 shown]
	s_branch .LBB72_3
.LBB72_2:                               ;   in Loop: Header=BB72_3 Depth=1
	s_or_b64 exec, exec, s[2:3]
	s_waitcnt vmcnt(0)
	ds_write_b32 v13, v16
	s_waitcnt lgkmcnt(0)
	s_barrier
	ds_read_b128 v[16:19], v15
	ds_read2_b32 v[20:21], v14 offset1:16
	ds_read2_b32 v[22:23], v14 offset0:32 offset1:48
	ds_read2_b32 v[24:25], v14 offset0:64 offset1:80
	;; [unrolled: 1-line block ×3, first 2 shown]
	v_add_co_u32_e64 v2, s[2:3], 32, v2
	s_waitcnt lgkmcnt(3)
	v_fmac_f32_e32 v11, v20, v16
	v_fmac_f32_e32 v8, v21, v16
	s_waitcnt lgkmcnt(2)
	v_fmac_f32_e32 v11, v22, v17
	v_fmac_f32_e32 v8, v23, v17
	;; [unrolled: 3-line block ×4, first 2 shown]
	ds_read_b128 v[16:19], v15 offset:512
	v_addc_co_u32_e64 v3, s[2:3], 0, v3, s[2:3]
	s_add_i32 s9, s9, 8
	v_add_co_u32_e64 v4, s[2:3], 32, v4
	s_waitcnt lgkmcnt(0)
	v_fmac_f32_e32 v7, v20, v16
	v_fmac_f32_e32 v6, v21, v16
	;; [unrolled: 1-line block ×8, first 2 shown]
	ds_read_b128 v[16:19], v15 offset:16
	ds_read2_b32 v[20:21], v14 offset0:128 offset1:144
	ds_read2_b32 v[22:23], v14 offset0:160 offset1:176
	;; [unrolled: 1-line block ×4, first 2 shown]
	s_cmp_ge_i32 s9, s13
	s_waitcnt lgkmcnt(3)
	v_fmac_f32_e32 v11, v20, v16
	v_fmac_f32_e32 v8, v21, v16
	s_waitcnt lgkmcnt(2)
	v_fmac_f32_e32 v11, v22, v17
	v_fmac_f32_e32 v8, v23, v17
	;; [unrolled: 3-line block ×4, first 2 shown]
	ds_read_b128 v[16:19], v15 offset:528
	v_addc_co_u32_e64 v5, s[2:3], 0, v5, s[2:3]
	s_waitcnt lgkmcnt(0)
	s_barrier
	v_fmac_f32_e32 v7, v20, v16
	v_fmac_f32_e32 v6, v21, v16
	;; [unrolled: 1-line block ×8, first 2 shown]
	s_cbranch_scc1 .LBB72_8
.LBB72_3:                               ; =>This Inner Loop Header: Depth=1
	v_add_u32_e32 v16, s9, v10
	v_cmp_gt_i32_e64 s[2:3], s13, v16
	s_and_b64 s[10:11], vcc, s[2:3]
	v_mov_b32_e32 v16, 0
	s_and_saveexec_b64 s[2:3], s[10:11]
	s_cbranch_execz .LBB72_5
; %bb.4:                                ;   in Loop: Header=BB72_3 Depth=1
	global_load_dword v16, v[2:3], off
.LBB72_5:                               ;   in Loop: Header=BB72_3 Depth=1
	s_or_b64 exec, exec, s[2:3]
	s_waitcnt vmcnt(0)
	ds_write_b32 v12, v16
	v_add_u32_e32 v16, s9, v9
	v_cmp_gt_i32_e64 s[2:3], s13, v16
	s_and_b64 s[10:11], s[2:3], s[0:1]
	v_mov_b32_e32 v16, 0
	s_and_saveexec_b64 s[2:3], s[10:11]
	s_cbranch_execz .LBB72_2
; %bb.6:                                ;   in Loop: Header=BB72_3 Depth=1
	global_load_dword v16, v[4:5], off
	s_branch .LBB72_2
.LBB72_7:
	v_mov_b32_e32 v11, 0
	v_mov_b32_e32 v8, 0
	;; [unrolled: 1-line block ×4, first 2 shown]
.LBB72_8:
	s_load_dwordx2 s[0:1], s[4:5], 0x58
	s_load_dword s9, s[4:5], 0x40
	s_load_dwordx2 s[2:3], s[4:5], 0x48
	s_load_dword s10, s[4:5], 0x50
	v_add_u32_e32 v4, s7, v1
	s_waitcnt lgkmcnt(0)
	s_mul_i32 s1, s1, s8
	s_mul_hi_u32 s4, s0, s8
	s_add_i32 s1, s4, s1
	v_mad_i64_i32 v[1:2], s[16:17], v4, s10, 0
	s_mul_i32 s0, s0, s8
	s_lshl_b64 s[0:1], s[0:1], 2
	s_add_u32 s4, s2, s0
	v_lshlrev_b64 v[1:2], 2, v[1:2]
	s_addc_u32 s5, s3, s1
	v_mov_b32_e32 v3, s5
	v_add_co_u32_e64 v5, s[0:1], s4, v1
	v_add_u32_e32 v0, s6, v0
	v_addc_co_u32_e64 v9, s[0:1], v3, v2, s[0:1]
	v_cmp_gt_i32_e32 vcc, s12, v4
	v_cmp_le_i32_e64 s[0:1], v0, v4
	s_and_b64 s[0:1], vcc, s[0:1]
	s_and_saveexec_b64 s[2:3], s[0:1]
	s_cbranch_execz .LBB72_10
; %bb.9:
	v_ashrrev_i32_e32 v1, 31, v0
	v_lshlrev_b64 v[1:2], 2, v[0:1]
	v_add_co_u32_e64 v1, s[0:1], v5, v1
	v_addc_co_u32_e64 v2, s[0:1], v9, v2, s[0:1]
	global_load_dword v3, v[1:2], off
	s_waitcnt vmcnt(0)
	v_mul_f32_e32 v3, s9, v3
	v_fmac_f32_e32 v3, s14, v11
	global_store_dword v[1:2], v3, off
.LBB72_10:
	s_or_b64 exec, exec, s[2:3]
	v_add_u32_e32 v2, 16, v0
	v_cmp_le_i32_e64 s[0:1], v2, v4
	s_and_b64 s[2:3], vcc, s[0:1]
	s_and_saveexec_b64 s[0:1], s[2:3]
	s_cbranch_execz .LBB72_12
; %bb.11:
	v_ashrrev_i32_e32 v3, 31, v2
	v_lshlrev_b64 v[10:11], 2, v[2:3]
	v_add_co_u32_e32 v10, vcc, v5, v10
	v_addc_co_u32_e32 v11, vcc, v9, v11, vcc
	global_load_dword v1, v[10:11], off
	s_waitcnt vmcnt(0)
	v_mul_f32_e32 v1, s9, v1
	v_fmac_f32_e32 v1, s14, v8
	global_store_dword v[10:11], v1, off
.LBB72_12:
	s_or_b64 exec, exec, s[0:1]
	v_add_u32_e32 v3, 16, v4
	v_mad_i64_i32 v[4:5], s[0:1], v3, s10, 0
	v_mov_b32_e32 v1, s5
	v_cmp_gt_i32_e32 vcc, s12, v3
	v_lshlrev_b64 v[4:5], 2, v[4:5]
	v_add_co_u32_e64 v4, s[0:1], s4, v4
	v_addc_co_u32_e64 v5, s[0:1], v1, v5, s[0:1]
	v_cmp_le_i32_e64 s[0:1], v0, v3
	s_and_b64 s[0:1], vcc, s[0:1]
	s_and_saveexec_b64 s[2:3], s[0:1]
	s_cbranch_execz .LBB72_14
; %bb.13:
	v_ashrrev_i32_e32 v1, 31, v0
	v_lshlrev_b64 v[0:1], 2, v[0:1]
	v_add_co_u32_e64 v0, s[0:1], v4, v0
	v_addc_co_u32_e64 v1, s[0:1], v5, v1, s[0:1]
	global_load_dword v8, v[0:1], off
	s_waitcnt vmcnt(0)
	v_mul_f32_e32 v8, s9, v8
	v_fmac_f32_e32 v8, s14, v7
	global_store_dword v[0:1], v8, off
.LBB72_14:
	s_or_b64 exec, exec, s[2:3]
	v_cmp_le_i32_e64 s[0:1], v2, v3
	s_and_b64 s[0:1], vcc, s[0:1]
	s_and_saveexec_b64 s[2:3], s[0:1]
	s_cbranch_execz .LBB72_16
; %bb.15:
	v_ashrrev_i32_e32 v3, 31, v2
	v_lshlrev_b64 v[0:1], 2, v[2:3]
	v_add_co_u32_e32 v0, vcc, v4, v0
	v_addc_co_u32_e32 v1, vcc, v5, v1, vcc
	global_load_dword v2, v[0:1], off
	s_waitcnt vmcnt(0)
	v_mul_f32_e32 v2, s9, v2
	v_fmac_f32_e32 v2, s14, v6
	global_store_dword v[0:1], v2, off
.LBB72_16:
	s_endpgm
	.section	.rodata,"a",@progbits
	.p2align	6, 0x0
	.amdhsa_kernel _ZL34rocblas_syrkx_herkx_general_kernelIifLi16ELi32ELi8ELb0ELb0ELc67ELc85EKffEviT_T0_PT8_S1_lS4_S1_lS2_PT9_S1_li
		.amdhsa_group_segment_fixed_size 2048
		.amdhsa_private_segment_fixed_size 0
		.amdhsa_kernarg_size 100
		.amdhsa_user_sgpr_count 6
		.amdhsa_user_sgpr_private_segment_buffer 1
		.amdhsa_user_sgpr_dispatch_ptr 0
		.amdhsa_user_sgpr_queue_ptr 0
		.amdhsa_user_sgpr_kernarg_segment_ptr 1
		.amdhsa_user_sgpr_dispatch_id 0
		.amdhsa_user_sgpr_flat_scratch_init 0
		.amdhsa_user_sgpr_private_segment_size 0
		.amdhsa_uses_dynamic_stack 0
		.amdhsa_system_sgpr_private_segment_wavefront_offset 0
		.amdhsa_system_sgpr_workgroup_id_x 1
		.amdhsa_system_sgpr_workgroup_id_y 1
		.amdhsa_system_sgpr_workgroup_id_z 1
		.amdhsa_system_sgpr_workgroup_info 0
		.amdhsa_system_vgpr_workitem_id 1
		.amdhsa_next_free_vgpr 28
		.amdhsa_next_free_sgpr 22
		.amdhsa_reserve_vcc 1
		.amdhsa_reserve_flat_scratch 0
		.amdhsa_float_round_mode_32 0
		.amdhsa_float_round_mode_16_64 0
		.amdhsa_float_denorm_mode_32 3
		.amdhsa_float_denorm_mode_16_64 3
		.amdhsa_dx10_clamp 1
		.amdhsa_ieee_mode 1
		.amdhsa_fp16_overflow 0
		.amdhsa_exception_fp_ieee_invalid_op 0
		.amdhsa_exception_fp_denorm_src 0
		.amdhsa_exception_fp_ieee_div_zero 0
		.amdhsa_exception_fp_ieee_overflow 0
		.amdhsa_exception_fp_ieee_underflow 0
		.amdhsa_exception_fp_ieee_inexact 0
		.amdhsa_exception_int_div_zero 0
	.end_amdhsa_kernel
	.section	.text._ZL34rocblas_syrkx_herkx_general_kernelIifLi16ELi32ELi8ELb0ELb0ELc67ELc85EKffEviT_T0_PT8_S1_lS4_S1_lS2_PT9_S1_li,"axG",@progbits,_ZL34rocblas_syrkx_herkx_general_kernelIifLi16ELi32ELi8ELb0ELb0ELc67ELc85EKffEviT_T0_PT8_S1_lS4_S1_lS2_PT9_S1_li,comdat
.Lfunc_end72:
	.size	_ZL34rocblas_syrkx_herkx_general_kernelIifLi16ELi32ELi8ELb0ELb0ELc67ELc85EKffEviT_T0_PT8_S1_lS4_S1_lS2_PT9_S1_li, .Lfunc_end72-_ZL34rocblas_syrkx_herkx_general_kernelIifLi16ELi32ELi8ELb0ELb0ELc67ELc85EKffEviT_T0_PT8_S1_lS4_S1_lS2_PT9_S1_li
                                        ; -- End function
	.set _ZL34rocblas_syrkx_herkx_general_kernelIifLi16ELi32ELi8ELb0ELb0ELc67ELc85EKffEviT_T0_PT8_S1_lS4_S1_lS2_PT9_S1_li.num_vgpr, 28
	.set _ZL34rocblas_syrkx_herkx_general_kernelIifLi16ELi32ELi8ELb0ELb0ELc67ELc85EKffEviT_T0_PT8_S1_lS4_S1_lS2_PT9_S1_li.num_agpr, 0
	.set _ZL34rocblas_syrkx_herkx_general_kernelIifLi16ELi32ELi8ELb0ELb0ELc67ELc85EKffEviT_T0_PT8_S1_lS4_S1_lS2_PT9_S1_li.numbered_sgpr, 22
	.set _ZL34rocblas_syrkx_herkx_general_kernelIifLi16ELi32ELi8ELb0ELb0ELc67ELc85EKffEviT_T0_PT8_S1_lS4_S1_lS2_PT9_S1_li.num_named_barrier, 0
	.set _ZL34rocblas_syrkx_herkx_general_kernelIifLi16ELi32ELi8ELb0ELb0ELc67ELc85EKffEviT_T0_PT8_S1_lS4_S1_lS2_PT9_S1_li.private_seg_size, 0
	.set _ZL34rocblas_syrkx_herkx_general_kernelIifLi16ELi32ELi8ELb0ELb0ELc67ELc85EKffEviT_T0_PT8_S1_lS4_S1_lS2_PT9_S1_li.uses_vcc, 1
	.set _ZL34rocblas_syrkx_herkx_general_kernelIifLi16ELi32ELi8ELb0ELb0ELc67ELc85EKffEviT_T0_PT8_S1_lS4_S1_lS2_PT9_S1_li.uses_flat_scratch, 0
	.set _ZL34rocblas_syrkx_herkx_general_kernelIifLi16ELi32ELi8ELb0ELb0ELc67ELc85EKffEviT_T0_PT8_S1_lS4_S1_lS2_PT9_S1_li.has_dyn_sized_stack, 0
	.set _ZL34rocblas_syrkx_herkx_general_kernelIifLi16ELi32ELi8ELb0ELb0ELc67ELc85EKffEviT_T0_PT8_S1_lS4_S1_lS2_PT9_S1_li.has_recursion, 0
	.set _ZL34rocblas_syrkx_herkx_general_kernelIifLi16ELi32ELi8ELb0ELb0ELc67ELc85EKffEviT_T0_PT8_S1_lS4_S1_lS2_PT9_S1_li.has_indirect_call, 0
	.section	.AMDGPU.csdata,"",@progbits
; Kernel info:
; codeLenInByte = 1292
; TotalNumSgprs: 26
; NumVgprs: 28
; ScratchSize: 0
; MemoryBound: 0
; FloatMode: 240
; IeeeMode: 1
; LDSByteSize: 2048 bytes/workgroup (compile time only)
; SGPRBlocks: 3
; VGPRBlocks: 6
; NumSGPRsForWavesPerEU: 26
; NumVGPRsForWavesPerEU: 28
; Occupancy: 9
; WaveLimiterHint : 0
; COMPUTE_PGM_RSRC2:SCRATCH_EN: 0
; COMPUTE_PGM_RSRC2:USER_SGPR: 6
; COMPUTE_PGM_RSRC2:TRAP_HANDLER: 0
; COMPUTE_PGM_RSRC2:TGID_X_EN: 1
; COMPUTE_PGM_RSRC2:TGID_Y_EN: 1
; COMPUTE_PGM_RSRC2:TGID_Z_EN: 1
; COMPUTE_PGM_RSRC2:TIDIG_COMP_CNT: 1
	.section	.text._ZL34rocblas_syrkx_herkx_general_kernelIifLi16ELi32ELi8ELb0ELb0ELc78ELc85EKffEviT_T0_PT8_S1_lS4_S1_lS2_PT9_S1_li,"axG",@progbits,_ZL34rocblas_syrkx_herkx_general_kernelIifLi16ELi32ELi8ELb0ELb0ELc78ELc85EKffEviT_T0_PT8_S1_lS4_S1_lS2_PT9_S1_li,comdat
	.globl	_ZL34rocblas_syrkx_herkx_general_kernelIifLi16ELi32ELi8ELb0ELb0ELc78ELc85EKffEviT_T0_PT8_S1_lS4_S1_lS2_PT9_S1_li ; -- Begin function _ZL34rocblas_syrkx_herkx_general_kernelIifLi16ELi32ELi8ELb0ELb0ELc78ELc85EKffEviT_T0_PT8_S1_lS4_S1_lS2_PT9_S1_li
	.p2align	8
	.type	_ZL34rocblas_syrkx_herkx_general_kernelIifLi16ELi32ELi8ELb0ELb0ELc78ELc85EKffEviT_T0_PT8_S1_lS4_S1_lS2_PT9_S1_li,@function
_ZL34rocblas_syrkx_herkx_general_kernelIifLi16ELi32ELi8ELb0ELb0ELc78ELc85EKffEviT_T0_PT8_S1_lS4_S1_lS2_PT9_S1_li: ; @_ZL34rocblas_syrkx_herkx_general_kernelIifLi16ELi32ELi8ELb0ELb0ELc78ELc85EKffEviT_T0_PT8_S1_lS4_S1_lS2_PT9_S1_li
; %bb.0:
	s_load_dwordx4 s[12:15], s[4:5], 0x0
	s_lshl_b32 s9, s6, 5
	s_waitcnt lgkmcnt(0)
	s_lshl_b32 s15, s7, 5
	s_mov_b32 s20, 0
	s_cmp_lt_i32 s13, 1
	s_cbranch_scc1 .LBB73_7
; %bb.1:
	v_lshl_add_u32 v2, v1, 4, v0
	v_and_b32_e32 v6, 31, v2
	v_lshrrev_b32_e32 v10, 5, v2
	v_lshrrev_b32_e32 v3, 3, v2
	v_or_b32_e32 v2, s9, v6
	v_and_b32_e32 v9, 7, v0
	v_cmp_gt_i32_e32 vcc, s12, v2
	v_lshlrev_b32_e32 v2, 2, v6
	v_lshl_or_b32 v11, v10, 7, v2
	v_lshlrev_b32_e32 v2, 2, v9
	s_load_dword s6, s[4:5], 0x18
	s_load_dword s10, s[4:5], 0x30
	s_load_dwordx2 s[22:23], s[4:5], 0x10
	s_load_dwordx4 s[16:19], s[4:5], 0x20
	s_load_dwordx2 s[24:25], s[4:5], 0x38
	v_lshl_or_b32 v2, v3, 5, v2
	v_add_u32_e32 v4, s15, v3
	v_add_u32_e32 v12, 0x400, v2
	s_waitcnt lgkmcnt(0)
	v_mad_i64_i32 v[2:3], s[2:3], v10, s6, 0
	s_mul_i32 s2, s17, s8
	s_mul_hi_u32 s3, s16, s8
	v_lshlrev_b64 v[2:3], 2, v[2:3]
	s_add_i32 s3, s3, s2
	s_mul_i32 s2, s16, s8
	v_mov_b32_e32 v7, 0x400
	s_lshl_b64 s[2:3], s[2:3], 2
	v_lshl_add_u32 v15, v1, 5, v7
	v_mov_b32_e32 v7, s3
	v_add_co_u32_e64 v8, s[2:3], s2, v2
	v_add_u32_e32 v2, s9, v6
	v_addc_co_u32_e64 v7, s[2:3], v3, v7, s[2:3]
	v_ashrrev_i32_e32 v3, 31, v2
	v_lshlrev_b64 v[2:3], 2, v[2:3]
	v_mov_b32_e32 v6, s23
	v_add_co_u32_e64 v2, s[2:3], v8, v2
	v_addc_co_u32_e64 v3, s[2:3], v7, v3, s[2:3]
	v_add_co_u32_e64 v2, s[2:3], s22, v2
	v_addc_co_u32_e64 v3, s[2:3], v6, v3, s[2:3]
	v_mad_i64_i32 v[6:7], s[2:3], s10, v9, 0
	s_mul_i32 s16, s25, s8
	s_mul_hi_u32 s17, s24, s8
	s_add_i32 s3, s17, s16
	s_mul_i32 s2, s24, s8
	v_lshlrev_b64 v[6:7], 2, v[6:7]
	v_ashrrev_i32_e32 v5, 31, v4
	s_lshl_b64 s[2:3], s[2:3], 2
	v_cmp_gt_i32_e64 s[0:1], s12, v4
	v_mov_b32_e32 v8, s3
	v_add_co_u32_e64 v6, s[2:3], s2, v6
	v_lshlrev_b64 v[4:5], 2, v[4:5]
	v_addc_co_u32_e64 v7, s[2:3], v8, v7, s[2:3]
	v_add_co_u32_e64 v4, s[2:3], v6, v4
	v_addc_co_u32_e64 v5, s[2:3], v7, v5, s[2:3]
	s_ashr_i32 s7, s6, 31
	s_ashr_i32 s11, s10, 31
	v_mov_b32_e32 v6, s19
	v_add_co_u32_e64 v4, s[2:3], s18, v4
	v_lshlrev_b32_e32 v14, 2, v0
	s_lshl_b64 s[6:7], s[6:7], 5
	v_addc_co_u32_e64 v5, s[2:3], v6, v5, s[2:3]
	s_lshl_b64 s[10:11], s[10:11], 5
	v_mov_b32_e32 v6, 0
	v_mov_b32_e32 v7, 0
	;; [unrolled: 1-line block ×4, first 2 shown]
	s_branch .LBB73_3
.LBB73_2:                               ;   in Loop: Header=BB73_3 Depth=1
	s_or_b64 exec, exec, s[2:3]
	s_waitcnt vmcnt(0)
	ds_write_b32 v12, v16
	s_waitcnt lgkmcnt(0)
	s_barrier
	ds_read_b128 v[16:19], v15
	ds_read2_b32 v[20:21], v14 offset1:16
	ds_read2_b32 v[22:23], v14 offset0:32 offset1:48
	ds_read2_b32 v[24:25], v14 offset0:64 offset1:80
	;; [unrolled: 1-line block ×3, first 2 shown]
	v_add_co_u32_e64 v2, s[2:3], s6, v2
	s_waitcnt lgkmcnt(3)
	v_fmac_f32_e32 v13, v20, v16
	v_fmac_f32_e32 v8, v21, v16
	s_waitcnt lgkmcnt(2)
	v_fmac_f32_e32 v13, v22, v17
	v_fmac_f32_e32 v8, v23, v17
	;; [unrolled: 3-line block ×4, first 2 shown]
	ds_read_b128 v[16:19], v15 offset:512
	s_add_i32 s20, s20, 8
	s_cmp_ge_i32 s20, s13
	s_waitcnt lgkmcnt(0)
	v_fmac_f32_e32 v7, v20, v16
	v_fmac_f32_e32 v6, v21, v16
	;; [unrolled: 1-line block ×8, first 2 shown]
	ds_read_b128 v[16:19], v15 offset:16
	ds_read2_b32 v[20:21], v14 offset0:128 offset1:144
	ds_read2_b32 v[22:23], v14 offset0:160 offset1:176
	;; [unrolled: 1-line block ×4, first 2 shown]
	s_waitcnt lgkmcnt(3)
	v_fmac_f32_e32 v13, v20, v16
	v_fmac_f32_e32 v8, v21, v16
	s_waitcnt lgkmcnt(2)
	v_fmac_f32_e32 v13, v22, v17
	v_fmac_f32_e32 v8, v23, v17
	;; [unrolled: 3-line block ×4, first 2 shown]
	ds_read_b128 v[16:19], v15 offset:528
	s_waitcnt lgkmcnt(0)
	s_barrier
	v_fmac_f32_e32 v7, v20, v16
	v_fmac_f32_e32 v6, v21, v16
	v_mov_b32_e32 v16, s7
	v_fmac_f32_e32 v7, v22, v17
	v_fmac_f32_e32 v6, v23, v17
	v_addc_co_u32_e64 v3, s[2:3], v3, v16, s[2:3]
	v_fmac_f32_e32 v7, v24, v18
	v_fmac_f32_e32 v6, v25, v18
	v_add_co_u32_e64 v4, s[2:3], s10, v4
	v_mov_b32_e32 v16, s11
	v_fmac_f32_e32 v7, v26, v19
	v_fmac_f32_e32 v6, v27, v19
	v_addc_co_u32_e64 v5, s[2:3], v5, v16, s[2:3]
	s_cbranch_scc1 .LBB73_8
.LBB73_3:                               ; =>This Inner Loop Header: Depth=1
	v_add_u32_e32 v16, s20, v10
	v_cmp_gt_i32_e64 s[2:3], s13, v16
	s_and_b64 s[16:17], vcc, s[2:3]
	v_mov_b32_e32 v16, 0
	s_and_saveexec_b64 s[2:3], s[16:17]
	s_cbranch_execz .LBB73_5
; %bb.4:                                ;   in Loop: Header=BB73_3 Depth=1
	global_load_dword v16, v[2:3], off
.LBB73_5:                               ;   in Loop: Header=BB73_3 Depth=1
	s_or_b64 exec, exec, s[2:3]
	s_waitcnt vmcnt(0)
	ds_write_b32 v11, v16
	v_add_u32_e32 v16, s20, v9
	v_cmp_gt_i32_e64 s[2:3], s13, v16
	s_and_b64 s[16:17], s[2:3], s[0:1]
	v_mov_b32_e32 v16, 0
	s_and_saveexec_b64 s[2:3], s[16:17]
	s_cbranch_execz .LBB73_2
; %bb.6:                                ;   in Loop: Header=BB73_3 Depth=1
	global_load_dword v16, v[4:5], off
	s_branch .LBB73_2
.LBB73_7:
	v_mov_b32_e32 v13, 0
	v_mov_b32_e32 v8, 0
	v_mov_b32_e32 v7, 0
	v_mov_b32_e32 v6, 0
.LBB73_8:
	s_load_dwordx2 s[0:1], s[4:5], 0x58
	s_load_dword s6, s[4:5], 0x40
	s_load_dwordx2 s[2:3], s[4:5], 0x48
	s_load_dword s7, s[4:5], 0x50
	v_add_u32_e32 v4, s15, v1
	s_waitcnt lgkmcnt(0)
	s_mul_i32 s1, s1, s8
	s_mul_hi_u32 s4, s0, s8
	s_add_i32 s1, s4, s1
	v_mad_i64_i32 v[1:2], s[10:11], v4, s7, 0
	s_mul_i32 s0, s0, s8
	s_lshl_b64 s[0:1], s[0:1], 2
	s_add_u32 s4, s2, s0
	v_lshlrev_b64 v[1:2], 2, v[1:2]
	s_addc_u32 s5, s3, s1
	v_mov_b32_e32 v3, s5
	v_add_co_u32_e64 v5, s[0:1], s4, v1
	v_add_u32_e32 v0, s9, v0
	v_addc_co_u32_e64 v9, s[0:1], v3, v2, s[0:1]
	v_cmp_gt_i32_e32 vcc, s12, v4
	v_cmp_le_i32_e64 s[0:1], v0, v4
	s_and_b64 s[0:1], vcc, s[0:1]
	s_and_saveexec_b64 s[2:3], s[0:1]
	s_cbranch_execz .LBB73_10
; %bb.9:
	v_ashrrev_i32_e32 v1, 31, v0
	v_lshlrev_b64 v[1:2], 2, v[0:1]
	v_add_co_u32_e64 v1, s[0:1], v5, v1
	v_addc_co_u32_e64 v2, s[0:1], v9, v2, s[0:1]
	global_load_dword v3, v[1:2], off
	s_waitcnt vmcnt(0)
	v_mul_f32_e32 v3, s6, v3
	v_fmac_f32_e32 v3, s14, v13
	global_store_dword v[1:2], v3, off
.LBB73_10:
	s_or_b64 exec, exec, s[2:3]
	v_add_u32_e32 v2, 16, v0
	v_cmp_le_i32_e64 s[0:1], v2, v4
	s_and_b64 s[2:3], vcc, s[0:1]
	s_and_saveexec_b64 s[0:1], s[2:3]
	s_cbranch_execz .LBB73_12
; %bb.11:
	v_ashrrev_i32_e32 v3, 31, v2
	v_lshlrev_b64 v[10:11], 2, v[2:3]
	v_add_co_u32_e32 v10, vcc, v5, v10
	v_addc_co_u32_e32 v11, vcc, v9, v11, vcc
	global_load_dword v1, v[10:11], off
	s_waitcnt vmcnt(0)
	v_mul_f32_e32 v1, s6, v1
	v_fmac_f32_e32 v1, s14, v8
	global_store_dword v[10:11], v1, off
.LBB73_12:
	s_or_b64 exec, exec, s[0:1]
	v_add_u32_e32 v3, 16, v4
	v_mad_i64_i32 v[4:5], s[0:1], v3, s7, 0
	v_mov_b32_e32 v1, s5
	v_cmp_gt_i32_e32 vcc, s12, v3
	v_lshlrev_b64 v[4:5], 2, v[4:5]
	v_add_co_u32_e64 v4, s[0:1], s4, v4
	v_addc_co_u32_e64 v5, s[0:1], v1, v5, s[0:1]
	v_cmp_le_i32_e64 s[0:1], v0, v3
	s_and_b64 s[0:1], vcc, s[0:1]
	s_and_saveexec_b64 s[2:3], s[0:1]
	s_cbranch_execz .LBB73_14
; %bb.13:
	v_ashrrev_i32_e32 v1, 31, v0
	v_lshlrev_b64 v[0:1], 2, v[0:1]
	v_add_co_u32_e64 v0, s[0:1], v4, v0
	v_addc_co_u32_e64 v1, s[0:1], v5, v1, s[0:1]
	global_load_dword v8, v[0:1], off
	s_waitcnt vmcnt(0)
	v_mul_f32_e32 v8, s6, v8
	v_fmac_f32_e32 v8, s14, v7
	global_store_dword v[0:1], v8, off
.LBB73_14:
	s_or_b64 exec, exec, s[2:3]
	v_cmp_le_i32_e64 s[0:1], v2, v3
	s_and_b64 s[0:1], vcc, s[0:1]
	s_and_saveexec_b64 s[2:3], s[0:1]
	s_cbranch_execz .LBB73_16
; %bb.15:
	v_ashrrev_i32_e32 v3, 31, v2
	v_lshlrev_b64 v[0:1], 2, v[2:3]
	v_add_co_u32_e32 v0, vcc, v4, v0
	v_addc_co_u32_e32 v1, vcc, v5, v1, vcc
	global_load_dword v2, v[0:1], off
	s_waitcnt vmcnt(0)
	v_mul_f32_e32 v2, s6, v2
	v_fmac_f32_e32 v2, s14, v6
	global_store_dword v[0:1], v2, off
.LBB73_16:
	s_endpgm
	.section	.rodata,"a",@progbits
	.p2align	6, 0x0
	.amdhsa_kernel _ZL34rocblas_syrkx_herkx_general_kernelIifLi16ELi32ELi8ELb0ELb0ELc78ELc85EKffEviT_T0_PT8_S1_lS4_S1_lS2_PT9_S1_li
		.amdhsa_group_segment_fixed_size 2048
		.amdhsa_private_segment_fixed_size 0
		.amdhsa_kernarg_size 100
		.amdhsa_user_sgpr_count 6
		.amdhsa_user_sgpr_private_segment_buffer 1
		.amdhsa_user_sgpr_dispatch_ptr 0
		.amdhsa_user_sgpr_queue_ptr 0
		.amdhsa_user_sgpr_kernarg_segment_ptr 1
		.amdhsa_user_sgpr_dispatch_id 0
		.amdhsa_user_sgpr_flat_scratch_init 0
		.amdhsa_user_sgpr_private_segment_size 0
		.amdhsa_uses_dynamic_stack 0
		.amdhsa_system_sgpr_private_segment_wavefront_offset 0
		.amdhsa_system_sgpr_workgroup_id_x 1
		.amdhsa_system_sgpr_workgroup_id_y 1
		.amdhsa_system_sgpr_workgroup_id_z 1
		.amdhsa_system_sgpr_workgroup_info 0
		.amdhsa_system_vgpr_workitem_id 1
		.amdhsa_next_free_vgpr 28
		.amdhsa_next_free_sgpr 26
		.amdhsa_reserve_vcc 1
		.amdhsa_reserve_flat_scratch 0
		.amdhsa_float_round_mode_32 0
		.amdhsa_float_round_mode_16_64 0
		.amdhsa_float_denorm_mode_32 3
		.amdhsa_float_denorm_mode_16_64 3
		.amdhsa_dx10_clamp 1
		.amdhsa_ieee_mode 1
		.amdhsa_fp16_overflow 0
		.amdhsa_exception_fp_ieee_invalid_op 0
		.amdhsa_exception_fp_denorm_src 0
		.amdhsa_exception_fp_ieee_div_zero 0
		.amdhsa_exception_fp_ieee_overflow 0
		.amdhsa_exception_fp_ieee_underflow 0
		.amdhsa_exception_fp_ieee_inexact 0
		.amdhsa_exception_int_div_zero 0
	.end_amdhsa_kernel
	.section	.text._ZL34rocblas_syrkx_herkx_general_kernelIifLi16ELi32ELi8ELb0ELb0ELc78ELc85EKffEviT_T0_PT8_S1_lS4_S1_lS2_PT9_S1_li,"axG",@progbits,_ZL34rocblas_syrkx_herkx_general_kernelIifLi16ELi32ELi8ELb0ELb0ELc78ELc85EKffEviT_T0_PT8_S1_lS4_S1_lS2_PT9_S1_li,comdat
.Lfunc_end73:
	.size	_ZL34rocblas_syrkx_herkx_general_kernelIifLi16ELi32ELi8ELb0ELb0ELc78ELc85EKffEviT_T0_PT8_S1_lS4_S1_lS2_PT9_S1_li, .Lfunc_end73-_ZL34rocblas_syrkx_herkx_general_kernelIifLi16ELi32ELi8ELb0ELb0ELc78ELc85EKffEviT_T0_PT8_S1_lS4_S1_lS2_PT9_S1_li
                                        ; -- End function
	.set _ZL34rocblas_syrkx_herkx_general_kernelIifLi16ELi32ELi8ELb0ELb0ELc78ELc85EKffEviT_T0_PT8_S1_lS4_S1_lS2_PT9_S1_li.num_vgpr, 28
	.set _ZL34rocblas_syrkx_herkx_general_kernelIifLi16ELi32ELi8ELb0ELb0ELc78ELc85EKffEviT_T0_PT8_S1_lS4_S1_lS2_PT9_S1_li.num_agpr, 0
	.set _ZL34rocblas_syrkx_herkx_general_kernelIifLi16ELi32ELi8ELb0ELb0ELc78ELc85EKffEviT_T0_PT8_S1_lS4_S1_lS2_PT9_S1_li.numbered_sgpr, 26
	.set _ZL34rocblas_syrkx_herkx_general_kernelIifLi16ELi32ELi8ELb0ELb0ELc78ELc85EKffEviT_T0_PT8_S1_lS4_S1_lS2_PT9_S1_li.num_named_barrier, 0
	.set _ZL34rocblas_syrkx_herkx_general_kernelIifLi16ELi32ELi8ELb0ELb0ELc78ELc85EKffEviT_T0_PT8_S1_lS4_S1_lS2_PT9_S1_li.private_seg_size, 0
	.set _ZL34rocblas_syrkx_herkx_general_kernelIifLi16ELi32ELi8ELb0ELb0ELc78ELc85EKffEviT_T0_PT8_S1_lS4_S1_lS2_PT9_S1_li.uses_vcc, 1
	.set _ZL34rocblas_syrkx_herkx_general_kernelIifLi16ELi32ELi8ELb0ELb0ELc78ELc85EKffEviT_T0_PT8_S1_lS4_S1_lS2_PT9_S1_li.uses_flat_scratch, 0
	.set _ZL34rocblas_syrkx_herkx_general_kernelIifLi16ELi32ELi8ELb0ELb0ELc78ELc85EKffEviT_T0_PT8_S1_lS4_S1_lS2_PT9_S1_li.has_dyn_sized_stack, 0
	.set _ZL34rocblas_syrkx_herkx_general_kernelIifLi16ELi32ELi8ELb0ELb0ELc78ELc85EKffEviT_T0_PT8_S1_lS4_S1_lS2_PT9_S1_li.has_recursion, 0
	.set _ZL34rocblas_syrkx_herkx_general_kernelIifLi16ELi32ELi8ELb0ELb0ELc78ELc85EKffEviT_T0_PT8_S1_lS4_S1_lS2_PT9_S1_li.has_indirect_call, 0
	.section	.AMDGPU.csdata,"",@progbits
; Kernel info:
; codeLenInByte = 1336
; TotalNumSgprs: 30
; NumVgprs: 28
; ScratchSize: 0
; MemoryBound: 0
; FloatMode: 240
; IeeeMode: 1
; LDSByteSize: 2048 bytes/workgroup (compile time only)
; SGPRBlocks: 3
; VGPRBlocks: 6
; NumSGPRsForWavesPerEU: 30
; NumVGPRsForWavesPerEU: 28
; Occupancy: 9
; WaveLimiterHint : 0
; COMPUTE_PGM_RSRC2:SCRATCH_EN: 0
; COMPUTE_PGM_RSRC2:USER_SGPR: 6
; COMPUTE_PGM_RSRC2:TRAP_HANDLER: 0
; COMPUTE_PGM_RSRC2:TGID_X_EN: 1
; COMPUTE_PGM_RSRC2:TGID_Y_EN: 1
; COMPUTE_PGM_RSRC2:TGID_Z_EN: 1
; COMPUTE_PGM_RSRC2:TIDIG_COMP_CNT: 1
	.section	.text._ZL26rocblas_syr2k_scale_kernelIiLi128ELi8ELb0EffPfEvbiT_T3_T4_T5_S1_li,"axG",@progbits,_ZL26rocblas_syr2k_scale_kernelIiLi128ELi8ELb0EffPfEvbiT_T3_T4_T5_S1_li,comdat
	.globl	_ZL26rocblas_syr2k_scale_kernelIiLi128ELi8ELb0EffPfEvbiT_T3_T4_T5_S1_li ; -- Begin function _ZL26rocblas_syr2k_scale_kernelIiLi128ELi8ELb0EffPfEvbiT_T3_T4_T5_S1_li
	.p2align	8
	.type	_ZL26rocblas_syr2k_scale_kernelIiLi128ELi8ELb0EffPfEvbiT_T3_T4_T5_S1_li,@function
_ZL26rocblas_syr2k_scale_kernelIiLi128ELi8ELb0EffPfEvbiT_T3_T4_T5_S1_li: ; @_ZL26rocblas_syr2k_scale_kernelIiLi128ELi8ELb0EffPfEvbiT_T3_T4_T5_S1_li
; %bb.0:
	s_load_dword s2, s[4:5], 0x10
	s_waitcnt lgkmcnt(0)
	v_cmp_eq_f32_e64 s[0:1], s2, 1.0
	s_and_b64 vcc, exec, s[0:1]
	s_cbranch_vccnz .LBB74_5
; %bb.1:
	s_load_dwordx2 s[0:1], s[4:5], 0x0
	s_load_dword s3, s[4:5], 0x44
	s_waitcnt lgkmcnt(0)
	s_bitcmp1_b32 s0, 0
	s_cselect_b64 vcc, -1, 0
	s_lshr_b32 s0, s3, 16
	s_and_b32 s3, s3, 0xffff
	s_mul_i32 s6, s6, s3
	s_mul_i32 s7, s7, s0
	v_add_u32_e32 v0, s6, v0
	v_add_u32_e32 v1, s7, v1
	v_cndmask_b32_e32 v2, v1, v0, vcc
	v_cndmask_b32_e32 v3, v0, v1, vcc
	v_max_u32_e32 v4, v0, v1
	v_cmp_gt_u32_e32 vcc, s1, v4
	v_cmp_le_i32_e64 s[0:1], v2, v3
	s_and_b64 s[0:1], vcc, s[0:1]
	s_and_saveexec_b64 s[6:7], s[0:1]
	s_cbranch_execz .LBB74_5
; %bb.2:
	s_load_dword s3, s[4:5], 0x20
	s_load_dwordx2 s[0:1], s[4:5], 0x28
	s_load_dwordx2 s[6:7], s[4:5], 0x18
	s_waitcnt lgkmcnt(0)
	v_mad_u64_u32 v[2:3], s[4:5], v1, s3, 0
	s_ashr_i32 s9, s3, 31
	s_mul_i32 s1, s1, s8
	v_mad_u64_u32 v[3:4], s[4:5], v1, s9, v[3:4]
	s_mul_hi_u32 s3, s0, s8
	s_add_i32 s1, s3, s1
	s_mul_i32 s0, s0, s8
	s_lshl_b64 s[0:1], s[0:1], 2
	s_add_u32 s0, s6, s0
	v_lshlrev_b64 v[2:3], 2, v[2:3]
	s_addc_u32 s1, s7, s1
	v_mov_b32_e32 v1, 0
	v_mov_b32_e32 v4, s1
	v_add_co_u32_e32 v5, vcc, s0, v2
	v_addc_co_u32_e32 v4, vcc, v4, v3, vcc
	v_lshlrev_b64 v[2:3], 2, v[0:1]
	v_cmp_eq_f32_e64 s[0:1], s2, 0
	v_add_co_u32_e32 v2, vcc, v5, v2
	v_addc_co_u32_e32 v3, vcc, v4, v3, vcc
	s_and_b64 vcc, exec, s[0:1]
	s_cbranch_vccnz .LBB74_4
; %bb.3:
	global_load_dword v0, v[2:3], off
	s_waitcnt vmcnt(0)
	v_mul_f32_e32 v1, s2, v0
.LBB74_4:
	global_store_dword v[2:3], v1, off
.LBB74_5:
	s_endpgm
	.section	.rodata,"a",@progbits
	.p2align	6, 0x0
	.amdhsa_kernel _ZL26rocblas_syr2k_scale_kernelIiLi128ELi8ELb0EffPfEvbiT_T3_T4_T5_S1_li
		.amdhsa_group_segment_fixed_size 0
		.amdhsa_private_segment_fixed_size 0
		.amdhsa_kernarg_size 312
		.amdhsa_user_sgpr_count 6
		.amdhsa_user_sgpr_private_segment_buffer 1
		.amdhsa_user_sgpr_dispatch_ptr 0
		.amdhsa_user_sgpr_queue_ptr 0
		.amdhsa_user_sgpr_kernarg_segment_ptr 1
		.amdhsa_user_sgpr_dispatch_id 0
		.amdhsa_user_sgpr_flat_scratch_init 0
		.amdhsa_user_sgpr_private_segment_size 0
		.amdhsa_uses_dynamic_stack 0
		.amdhsa_system_sgpr_private_segment_wavefront_offset 0
		.amdhsa_system_sgpr_workgroup_id_x 1
		.amdhsa_system_sgpr_workgroup_id_y 1
		.amdhsa_system_sgpr_workgroup_id_z 1
		.amdhsa_system_sgpr_workgroup_info 0
		.amdhsa_system_vgpr_workitem_id 1
		.amdhsa_next_free_vgpr 6
		.amdhsa_next_free_sgpr 10
		.amdhsa_reserve_vcc 1
		.amdhsa_reserve_flat_scratch 0
		.amdhsa_float_round_mode_32 0
		.amdhsa_float_round_mode_16_64 0
		.amdhsa_float_denorm_mode_32 3
		.amdhsa_float_denorm_mode_16_64 3
		.amdhsa_dx10_clamp 1
		.amdhsa_ieee_mode 1
		.amdhsa_fp16_overflow 0
		.amdhsa_exception_fp_ieee_invalid_op 0
		.amdhsa_exception_fp_denorm_src 0
		.amdhsa_exception_fp_ieee_div_zero 0
		.amdhsa_exception_fp_ieee_overflow 0
		.amdhsa_exception_fp_ieee_underflow 0
		.amdhsa_exception_fp_ieee_inexact 0
		.amdhsa_exception_int_div_zero 0
	.end_amdhsa_kernel
	.section	.text._ZL26rocblas_syr2k_scale_kernelIiLi128ELi8ELb0EffPfEvbiT_T3_T4_T5_S1_li,"axG",@progbits,_ZL26rocblas_syr2k_scale_kernelIiLi128ELi8ELb0EffPfEvbiT_T3_T4_T5_S1_li,comdat
.Lfunc_end74:
	.size	_ZL26rocblas_syr2k_scale_kernelIiLi128ELi8ELb0EffPfEvbiT_T3_T4_T5_S1_li, .Lfunc_end74-_ZL26rocblas_syr2k_scale_kernelIiLi128ELi8ELb0EffPfEvbiT_T3_T4_T5_S1_li
                                        ; -- End function
	.set _ZL26rocblas_syr2k_scale_kernelIiLi128ELi8ELb0EffPfEvbiT_T3_T4_T5_S1_li.num_vgpr, 6
	.set _ZL26rocblas_syr2k_scale_kernelIiLi128ELi8ELb0EffPfEvbiT_T3_T4_T5_S1_li.num_agpr, 0
	.set _ZL26rocblas_syr2k_scale_kernelIiLi128ELi8ELb0EffPfEvbiT_T3_T4_T5_S1_li.numbered_sgpr, 10
	.set _ZL26rocblas_syr2k_scale_kernelIiLi128ELi8ELb0EffPfEvbiT_T3_T4_T5_S1_li.num_named_barrier, 0
	.set _ZL26rocblas_syr2k_scale_kernelIiLi128ELi8ELb0EffPfEvbiT_T3_T4_T5_S1_li.private_seg_size, 0
	.set _ZL26rocblas_syr2k_scale_kernelIiLi128ELi8ELb0EffPfEvbiT_T3_T4_T5_S1_li.uses_vcc, 1
	.set _ZL26rocblas_syr2k_scale_kernelIiLi128ELi8ELb0EffPfEvbiT_T3_T4_T5_S1_li.uses_flat_scratch, 0
	.set _ZL26rocblas_syr2k_scale_kernelIiLi128ELi8ELb0EffPfEvbiT_T3_T4_T5_S1_li.has_dyn_sized_stack, 0
	.set _ZL26rocblas_syr2k_scale_kernelIiLi128ELi8ELb0EffPfEvbiT_T3_T4_T5_S1_li.has_recursion, 0
	.set _ZL26rocblas_syr2k_scale_kernelIiLi128ELi8ELb0EffPfEvbiT_T3_T4_T5_S1_li.has_indirect_call, 0
	.section	.AMDGPU.csdata,"",@progbits
; Kernel info:
; codeLenInByte = 280
; TotalNumSgprs: 14
; NumVgprs: 6
; ScratchSize: 0
; MemoryBound: 0
; FloatMode: 240
; IeeeMode: 1
; LDSByteSize: 0 bytes/workgroup (compile time only)
; SGPRBlocks: 1
; VGPRBlocks: 1
; NumSGPRsForWavesPerEU: 14
; NumVGPRsForWavesPerEU: 6
; Occupancy: 10
; WaveLimiterHint : 0
; COMPUTE_PGM_RSRC2:SCRATCH_EN: 0
; COMPUTE_PGM_RSRC2:USER_SGPR: 6
; COMPUTE_PGM_RSRC2:TRAP_HANDLER: 0
; COMPUTE_PGM_RSRC2:TGID_X_EN: 1
; COMPUTE_PGM_RSRC2:TGID_Y_EN: 1
; COMPUTE_PGM_RSRC2:TGID_Z_EN: 1
; COMPUTE_PGM_RSRC2:TIDIG_COMP_CNT: 1
	.section	.text._ZL26rocblas_syr2k_her2k_kernelIiLb0ELb0ELb0ELi32EPKfS1_PfEvbiT_T4_T5_S3_lS5_S3_lT6_S3_li,"axG",@progbits,_ZL26rocblas_syr2k_her2k_kernelIiLb0ELb0ELb0ELi32EPKfS1_PfEvbiT_T4_T5_S3_lS5_S3_lT6_S3_li,comdat
	.globl	_ZL26rocblas_syr2k_her2k_kernelIiLb0ELb0ELb0ELi32EPKfS1_PfEvbiT_T4_T5_S3_lS5_S3_lT6_S3_li ; -- Begin function _ZL26rocblas_syr2k_her2k_kernelIiLb0ELb0ELb0ELi32EPKfS1_PfEvbiT_T4_T5_S3_lS5_S3_lT6_S3_li
	.p2align	8
	.type	_ZL26rocblas_syr2k_her2k_kernelIiLb0ELb0ELb0ELi32EPKfS1_PfEvbiT_T4_T5_S3_lS5_S3_lT6_S3_li,@function
_ZL26rocblas_syr2k_her2k_kernelIiLb0ELb0ELb0ELi32EPKfS1_PfEvbiT_T4_T5_S3_lS5_S3_lT6_S3_li: ; @_ZL26rocblas_syr2k_her2k_kernelIiLb0ELb0ELb0ELi32EPKfS1_PfEvbiT_T4_T5_S3_lS5_S3_lT6_S3_li
; %bb.0:
	s_load_dwordx4 s[0:3], s[4:5], 0x10
	s_waitcnt lgkmcnt(0)
	s_load_dword s9, s[0:1], 0x0
	s_waitcnt lgkmcnt(0)
	v_cmp_eq_f32_e64 s[0:1], s9, 0
	s_and_b64 vcc, exec, s[0:1]
	s_cbranch_vccnz .LBB75_11
; %bb.1:
	s_load_dwordx4 s[12:15], s[4:5], 0x0
	s_lshl_b32 s0, s7, 5
	s_lshl_b32 s1, s6, 5
	s_waitcnt lgkmcnt(0)
	s_and_b32 s6, 1, s12
	s_cmp_eq_u32 s6, 1
	s_cselect_b64 vcc, -1, 0
	s_and_b64 s[6:7], vcc, exec
	s_cselect_b32 s6, s1, s0
	s_cselect_b32 s7, s0, s1
	s_cmp_gt_i32 s6, s7
	s_cbranch_scc1 .LBB75_11
; %bb.2:
	s_cmp_lt_i32 s14, 1
	s_cbranch_scc1 .LBB75_11
; %bb.3:
	s_load_dword s10, s[4:5], 0x20
	s_load_dwordx4 s[16:19], s[4:5], 0x28
	s_load_dword s11, s[4:5], 0x38
	s_load_dwordx4 s[20:23], s[4:5], 0x40
	s_load_dword s12, s[4:5], 0x50
	s_load_dwordx2 s[6:7], s[4:5], 0x58
	s_waitcnt lgkmcnt(0)
	s_mul_i32 s4, s17, s8
	s_mul_hi_u32 s5, s16, s8
	s_add_i32 s5, s5, s4
	s_mul_i32 s4, s16, s8
	s_lshl_b64 s[4:5], s[4:5], 2
	s_add_u32 s4, s2, s4
	s_addc_u32 s5, s3, s5
	s_mul_i32 s2, s21, s8
	s_mul_hi_u32 s3, s20, s8
	v_add_u32_e32 v3, s1, v0
	s_add_i32 s3, s3, s2
	s_mul_i32 s2, s20, s8
	v_ashrrev_i32_e32 v4, 31, v3
	s_lshl_b64 s[2:3], s[2:3], 2
	v_lshlrev_b64 v[12:13], 2, v[3:4]
	s_add_u32 s15, s18, s2
	v_add_u32_e32 v2, s0, v1
	s_addc_u32 s16, s19, s3
	s_mul_i32 s2, s7, s8
	s_mul_hi_u32 s3, s6, s8
	v_cndmask_b32_e32 v14, v3, v2, vcc
	v_cndmask_b32_e32 v15, v2, v3, vcc
	v_cmp_gt_i32_e32 vcc, s13, v3
	v_mov_b32_e32 v3, s5
	v_add_co_u32_e64 v4, s[0:1], s4, v12
	s_add_i32 s3, s3, s2
	s_mul_i32 s2, s6, s8
	v_addc_co_u32_e64 v5, s[0:1], v3, v13, s[0:1]
	v_ashrrev_i32_e32 v3, 31, v2
	s_lshl_b64 s[2:3], s[2:3], 2
	v_lshlrev_b64 v[8:9], 2, v[2:3]
	s_add_u32 s6, s22, s2
	s_addc_u32 s7, s23, s3
	v_mov_b32_e32 v3, s16
	v_add_co_u32_e64 v8, s[2:3], s15, v8
	v_cmp_gt_i32_e64 s[0:1], s13, v2
	v_addc_co_u32_e64 v9, s[2:3], v3, v9, s[2:3]
	v_mad_i64_i32 v[2:3], s[2:3], s12, v2, 0
	v_cmp_le_i32_e64 s[2:3], v15, v14
	s_and_b64 s[4:5], s[0:1], vcc
	v_lshlrev_b64 v[2:3], 2, v[2:3]
	s_and_b64 s[4:5], s[4:5], s[2:3]
	v_mov_b32_e32 v14, s7
	v_add_co_u32_e64 v2, s[2:3], s6, v2
	v_lshlrev_b32_e32 v6, 7, v0
	v_lshlrev_b32_e32 v10, 2, v1
	v_addc_co_u32_e64 v3, s[2:3], v14, v3, s[2:3]
	v_add_u32_e32 v7, v6, v10
	v_or_b32_e32 v10, 0x1000, v10
	v_add_co_u32_e64 v2, s[2:3], v2, v12
	v_add_u32_e32 v11, v10, v6
	v_addc_co_u32_e64 v3, s[2:3], v3, v13, s[2:3]
	s_mov_b32 s8, 0
	v_add_u32_e32 v12, 0x400, v10
	v_add_u32_e32 v13, 0x800, v10
	v_add_u32_e32 v14, 0xc00, v10
	s_branch .LBB75_5
.LBB75_4:                               ;   in Loop: Header=BB75_5 Depth=1
	s_or_b64 exec, exec, s[2:3]
	s_add_i32 s8, s8, 32
	s_cmp_lt_i32 s8, s14
	s_waitcnt vmcnt(0)
	s_barrier
	s_cbranch_scc0 .LBB75_11
.LBB75_5:                               ; =>This Inner Loop Header: Depth=1
	v_add_u32_e32 v16, s8, v1
	v_cmp_gt_i32_e64 s[2:3], s14, v16
	s_and_b64 s[2:3], vcc, s[2:3]
	v_mov_b32_e32 v15, 0
	s_and_saveexec_b64 s[6:7], s[2:3]
	s_cbranch_execz .LBB75_7
; %bb.6:                                ;   in Loop: Header=BB75_5 Depth=1
	v_mad_i64_i32 v[15:16], s[2:3], v16, s10, 0
	v_lshlrev_b64 v[15:16], 2, v[15:16]
	v_add_co_u32_e64 v15, s[2:3], v4, v15
	v_addc_co_u32_e64 v16, s[2:3], v5, v16, s[2:3]
	global_load_dword v15, v[15:16], off
.LBB75_7:                               ;   in Loop: Header=BB75_5 Depth=1
	s_or_b64 exec, exec, s[6:7]
	v_add_u32_e32 v16, s8, v0
	v_cmp_gt_i32_e64 s[2:3], s14, v16
	s_waitcnt vmcnt(0)
	ds_write_b32 v7, v15
	s_and_b64 s[2:3], s[0:1], s[2:3]
	v_mov_b32_e32 v15, 0
	s_and_saveexec_b64 s[6:7], s[2:3]
	s_cbranch_execz .LBB75_9
; %bb.8:                                ;   in Loop: Header=BB75_5 Depth=1
	v_mad_i64_i32 v[15:16], s[2:3], v16, s11, 0
	v_lshlrev_b64 v[15:16], 2, v[15:16]
	v_add_co_u32_e64 v15, s[2:3], v8, v15
	v_addc_co_u32_e64 v16, s[2:3], v9, v16, s[2:3]
	global_load_dword v15, v[15:16], off
.LBB75_9:                               ;   in Loop: Header=BB75_5 Depth=1
	s_or_b64 exec, exec, s[6:7]
	s_waitcnt vmcnt(0)
	ds_write_b32 v11, v15
	s_waitcnt lgkmcnt(0)
	s_barrier
	s_and_saveexec_b64 s[2:3], s[4:5]
	s_cbranch_execz .LBB75_4
; %bb.10:                               ;   in Loop: Header=BB75_5 Depth=1
	global_load_dword v27, v[2:3], off
	ds_read_b128 v[15:18], v6
	ds_read2_b32 v[23:24], v10 offset1:32
	ds_read2_b32 v[25:26], v10 offset0:64 offset1:96
	ds_read_b128 v[19:22], v6 offset:16
	s_waitcnt lgkmcnt(2)
	v_fma_f32 v28, v15, v23, 0
	v_fmac_f32_e32 v28, v16, v24
	ds_read2_b32 v[23:24], v10 offset0:128 offset1:160
	s_waitcnt lgkmcnt(2)
	v_fmac_f32_e32 v28, v17, v25
	v_fmac_f32_e32 v28, v18, v26
	ds_read2_b32 v[25:26], v10 offset0:192 offset1:224
	ds_read_b128 v[15:18], v6 offset:32
	s_waitcnt lgkmcnt(2)
	v_fmac_f32_e32 v28, v19, v23
	v_fmac_f32_e32 v28, v20, v24
	ds_read2_b32 v[23:24], v12 offset1:32
	s_waitcnt lgkmcnt(2)
	v_fmac_f32_e32 v28, v21, v25
	v_fmac_f32_e32 v28, v22, v26
	ds_read_b128 v[19:22], v6 offset:48
	ds_read2_b32 v[25:26], v12 offset0:64 offset1:96
	s_waitcnt lgkmcnt(2)
	v_fmac_f32_e32 v28, v15, v23
	v_fmac_f32_e32 v28, v16, v24
	ds_read2_b32 v[15:16], v12 offset0:128 offset1:160
	s_waitcnt lgkmcnt(1)
	v_fmac_f32_e32 v28, v17, v25
	v_fmac_f32_e32 v28, v18, v26
	;; [unrolled: 4-line block ×3, first 2 shown]
	ds_read_b128 v[15:18], v6 offset:64
	ds_read2_b32 v[25:26], v13 offset1:32
	s_waitcnt lgkmcnt(2)
	v_fmac_f32_e32 v28, v21, v23
	v_fmac_f32_e32 v28, v22, v24
	ds_read2_b32 v[23:24], v13 offset0:64 offset1:96
	ds_read_b128 v[19:22], v6 offset:80
	s_waitcnt lgkmcnt(2)
	v_fmac_f32_e32 v28, v15, v25
	v_fmac_f32_e32 v28, v16, v26
	ds_read2_b32 v[15:16], v13 offset0:128 offset1:160
	s_waitcnt lgkmcnt(2)
	v_fmac_f32_e32 v28, v17, v23
	v_fmac_f32_e32 v28, v18, v24
	ds_read2_b32 v[23:24], v13 offset0:192 offset1:224
	s_waitcnt lgkmcnt(1)
	v_fmac_f32_e32 v28, v19, v15
	v_fmac_f32_e32 v28, v20, v16
	ds_read_b128 v[15:18], v6 offset:96
	ds_read2_b32 v[25:26], v14 offset1:32
	s_waitcnt lgkmcnt(2)
	v_fmac_f32_e32 v28, v21, v23
	v_fmac_f32_e32 v28, v22, v24
	ds_read2_b32 v[23:24], v14 offset0:64 offset1:96
	ds_read_b128 v[19:22], v6 offset:112
	s_waitcnt lgkmcnt(2)
	v_fmac_f32_e32 v28, v15, v25
	v_fmac_f32_e32 v28, v16, v26
	ds_read2_b32 v[15:16], v14 offset0:128 offset1:160
	s_waitcnt lgkmcnt(2)
	v_fmac_f32_e32 v28, v17, v23
	v_fmac_f32_e32 v28, v18, v24
	ds_read2_b32 v[17:18], v14 offset0:192 offset1:224
	s_waitcnt lgkmcnt(1)
	v_fmac_f32_e32 v28, v19, v15
	v_fmac_f32_e32 v28, v20, v16
	s_waitcnt lgkmcnt(0)
	v_fmac_f32_e32 v28, v21, v17
	v_fmac_f32_e32 v28, v22, v18
	s_waitcnt vmcnt(0)
	v_fmac_f32_e32 v27, s9, v28
	global_store_dword v[2:3], v27, off
	s_branch .LBB75_4
.LBB75_11:
	s_endpgm
	.section	.rodata,"a",@progbits
	.p2align	6, 0x0
	.amdhsa_kernel _ZL26rocblas_syr2k_her2k_kernelIiLb0ELb0ELb0ELi32EPKfS1_PfEvbiT_T4_T5_S3_lS5_S3_lT6_S3_li
		.amdhsa_group_segment_fixed_size 8192
		.amdhsa_private_segment_fixed_size 0
		.amdhsa_kernarg_size 100
		.amdhsa_user_sgpr_count 6
		.amdhsa_user_sgpr_private_segment_buffer 1
		.amdhsa_user_sgpr_dispatch_ptr 0
		.amdhsa_user_sgpr_queue_ptr 0
		.amdhsa_user_sgpr_kernarg_segment_ptr 1
		.amdhsa_user_sgpr_dispatch_id 0
		.amdhsa_user_sgpr_flat_scratch_init 0
		.amdhsa_user_sgpr_private_segment_size 0
		.amdhsa_uses_dynamic_stack 0
		.amdhsa_system_sgpr_private_segment_wavefront_offset 0
		.amdhsa_system_sgpr_workgroup_id_x 1
		.amdhsa_system_sgpr_workgroup_id_y 1
		.amdhsa_system_sgpr_workgroup_id_z 1
		.amdhsa_system_sgpr_workgroup_info 0
		.amdhsa_system_vgpr_workitem_id 1
		.amdhsa_next_free_vgpr 29
		.amdhsa_next_free_sgpr 61
		.amdhsa_reserve_vcc 1
		.amdhsa_reserve_flat_scratch 0
		.amdhsa_float_round_mode_32 0
		.amdhsa_float_round_mode_16_64 0
		.amdhsa_float_denorm_mode_32 3
		.amdhsa_float_denorm_mode_16_64 3
		.amdhsa_dx10_clamp 1
		.amdhsa_ieee_mode 1
		.amdhsa_fp16_overflow 0
		.amdhsa_exception_fp_ieee_invalid_op 0
		.amdhsa_exception_fp_denorm_src 0
		.amdhsa_exception_fp_ieee_div_zero 0
		.amdhsa_exception_fp_ieee_overflow 0
		.amdhsa_exception_fp_ieee_underflow 0
		.amdhsa_exception_fp_ieee_inexact 0
		.amdhsa_exception_int_div_zero 0
	.end_amdhsa_kernel
	.section	.text._ZL26rocblas_syr2k_her2k_kernelIiLb0ELb0ELb0ELi32EPKfS1_PfEvbiT_T4_T5_S3_lS5_S3_lT6_S3_li,"axG",@progbits,_ZL26rocblas_syr2k_her2k_kernelIiLb0ELb0ELb0ELi32EPKfS1_PfEvbiT_T4_T5_S3_lS5_S3_lT6_S3_li,comdat
.Lfunc_end75:
	.size	_ZL26rocblas_syr2k_her2k_kernelIiLb0ELb0ELb0ELi32EPKfS1_PfEvbiT_T4_T5_S3_lS5_S3_lT6_S3_li, .Lfunc_end75-_ZL26rocblas_syr2k_her2k_kernelIiLb0ELb0ELb0ELi32EPKfS1_PfEvbiT_T4_T5_S3_lS5_S3_lT6_S3_li
                                        ; -- End function
	.set _ZL26rocblas_syr2k_her2k_kernelIiLb0ELb0ELb0ELi32EPKfS1_PfEvbiT_T4_T5_S3_lS5_S3_lT6_S3_li.num_vgpr, 29
	.set _ZL26rocblas_syr2k_her2k_kernelIiLb0ELb0ELb0ELi32EPKfS1_PfEvbiT_T4_T5_S3_lS5_S3_lT6_S3_li.num_agpr, 0
	.set _ZL26rocblas_syr2k_her2k_kernelIiLb0ELb0ELb0ELi32EPKfS1_PfEvbiT_T4_T5_S3_lS5_S3_lT6_S3_li.numbered_sgpr, 24
	.set _ZL26rocblas_syr2k_her2k_kernelIiLb0ELb0ELb0ELi32EPKfS1_PfEvbiT_T4_T5_S3_lS5_S3_lT6_S3_li.num_named_barrier, 0
	.set _ZL26rocblas_syr2k_her2k_kernelIiLb0ELb0ELb0ELi32EPKfS1_PfEvbiT_T4_T5_S3_lS5_S3_lT6_S3_li.private_seg_size, 0
	.set _ZL26rocblas_syr2k_her2k_kernelIiLb0ELb0ELb0ELi32EPKfS1_PfEvbiT_T4_T5_S3_lS5_S3_lT6_S3_li.uses_vcc, 1
	.set _ZL26rocblas_syr2k_her2k_kernelIiLb0ELb0ELb0ELi32EPKfS1_PfEvbiT_T4_T5_S3_lS5_S3_lT6_S3_li.uses_flat_scratch, 0
	.set _ZL26rocblas_syr2k_her2k_kernelIiLb0ELb0ELb0ELi32EPKfS1_PfEvbiT_T4_T5_S3_lS5_S3_lT6_S3_li.has_dyn_sized_stack, 0
	.set _ZL26rocblas_syr2k_her2k_kernelIiLb0ELb0ELb0ELi32EPKfS1_PfEvbiT_T4_T5_S3_lS5_S3_lT6_S3_li.has_recursion, 0
	.set _ZL26rocblas_syr2k_her2k_kernelIiLb0ELb0ELb0ELi32EPKfS1_PfEvbiT_T4_T5_S3_lS5_S3_lT6_S3_li.has_indirect_call, 0
	.section	.AMDGPU.csdata,"",@progbits
; Kernel info:
; codeLenInByte = 1080
; TotalNumSgprs: 28
; NumVgprs: 29
; ScratchSize: 0
; MemoryBound: 0
; FloatMode: 240
; IeeeMode: 1
; LDSByteSize: 8192 bytes/workgroup (compile time only)
; SGPRBlocks: 8
; VGPRBlocks: 7
; NumSGPRsForWavesPerEU: 65
; NumVGPRsForWavesPerEU: 29
; Occupancy: 8
; WaveLimiterHint : 0
; COMPUTE_PGM_RSRC2:SCRATCH_EN: 0
; COMPUTE_PGM_RSRC2:USER_SGPR: 6
; COMPUTE_PGM_RSRC2:TRAP_HANDLER: 0
; COMPUTE_PGM_RSRC2:TGID_X_EN: 1
; COMPUTE_PGM_RSRC2:TGID_Y_EN: 1
; COMPUTE_PGM_RSRC2:TGID_Z_EN: 1
; COMPUTE_PGM_RSRC2:TIDIG_COMP_CNT: 1
	.section	.text._ZL26rocblas_syr2k_her2k_kernelIiLb0ELb0ELb1ELi32EPKfS1_PfEvbiT_T4_T5_S3_lS5_S3_lT6_S3_li,"axG",@progbits,_ZL26rocblas_syr2k_her2k_kernelIiLb0ELb0ELb1ELi32EPKfS1_PfEvbiT_T4_T5_S3_lS5_S3_lT6_S3_li,comdat
	.globl	_ZL26rocblas_syr2k_her2k_kernelIiLb0ELb0ELb1ELi32EPKfS1_PfEvbiT_T4_T5_S3_lS5_S3_lT6_S3_li ; -- Begin function _ZL26rocblas_syr2k_her2k_kernelIiLb0ELb0ELb1ELi32EPKfS1_PfEvbiT_T4_T5_S3_lS5_S3_lT6_S3_li
	.p2align	8
	.type	_ZL26rocblas_syr2k_her2k_kernelIiLb0ELb0ELb1ELi32EPKfS1_PfEvbiT_T4_T5_S3_lS5_S3_lT6_S3_li,@function
_ZL26rocblas_syr2k_her2k_kernelIiLb0ELb0ELb1ELi32EPKfS1_PfEvbiT_T4_T5_S3_lS5_S3_lT6_S3_li: ; @_ZL26rocblas_syr2k_her2k_kernelIiLb0ELb0ELb1ELi32EPKfS1_PfEvbiT_T4_T5_S3_lS5_S3_lT6_S3_li
; %bb.0:
	s_load_dwordx4 s[0:3], s[4:5], 0x10
	s_waitcnt lgkmcnt(0)
	s_load_dword s9, s[0:1], 0x0
	s_waitcnt lgkmcnt(0)
	v_cmp_eq_f32_e64 s[0:1], s9, 0
	s_and_b64 vcc, exec, s[0:1]
	s_cbranch_vccnz .LBB76_11
; %bb.1:
	s_load_dwordx4 s[12:15], s[4:5], 0x0
	s_lshl_b32 s0, s7, 5
	s_lshl_b32 s1, s6, 5
	s_waitcnt lgkmcnt(0)
	s_and_b32 s6, 1, s12
	s_cmp_eq_u32 s6, 1
	s_cselect_b64 vcc, -1, 0
	s_and_b64 s[6:7], vcc, exec
	s_cselect_b32 s6, s1, s0
	s_cselect_b32 s7, s0, s1
	s_cmp_gt_i32 s6, s7
	s_cbranch_scc1 .LBB76_11
; %bb.2:
	s_cmp_lt_i32 s14, 1
	s_cbranch_scc1 .LBB76_11
; %bb.3:
	v_add_u32_e32 v2, s1, v0
	s_load_dword s10, s[4:5], 0x20
	s_load_dwordx4 s[16:19], s[4:5], 0x28
	s_load_dword s11, s[4:5], 0x38
	s_load_dwordx4 s[20:23], s[4:5], 0x40
	s_load_dword s12, s[4:5], 0x50
	s_load_dwordx2 s[6:7], s[4:5], 0x58
	v_add_u32_e32 v14, s0, v1
	s_waitcnt lgkmcnt(0)
	v_mad_i64_i32 v[4:5], s[0:1], s10, v2, 0
	s_mul_i32 s4, s17, s8
	s_mul_hi_u32 s5, s16, s8
	s_add_i32 s5, s5, s4
	s_mul_i32 s4, s16, s8
	s_lshl_b64 s[4:5], s[4:5], 2
	s_add_u32 s4, s2, s4
	v_lshlrev_b64 v[4:5], 2, v[4:5]
	s_addc_u32 s5, s3, s5
	s_mul_i32 s2, s21, s8
	s_mul_hi_u32 s3, s20, s8
	s_add_i32 s3, s3, s2
	s_mul_i32 s2, s20, s8
	v_mov_b32_e32 v7, s5
	v_add_co_u32_e64 v6, s[0:1], s4, v4
	s_lshl_b64 s[2:3], s[2:3], 2
	v_addc_co_u32_e64 v7, s[0:1], v7, v5, s[0:1]
	v_mad_i64_i32 v[4:5], s[0:1], s11, v14, 0
	s_add_u32 s15, s18, s2
	s_addc_u32 s16, s19, s3
	s_mul_i32 s2, s7, s8
	s_mul_hi_u32 s3, s6, s8
	s_add_i32 s3, s3, s2
	s_mul_i32 s2, s6, s8
	s_lshl_b64 s[2:3], s[2:3], 2
	v_lshlrev_b64 v[4:5], 2, v[4:5]
	s_add_u32 s6, s22, s2
	s_addc_u32 s7, s23, s3
	v_mov_b32_e32 v11, s16
	v_add_co_u32_e64 v10, s[2:3], s15, v4
	v_addc_co_u32_e64 v11, s[2:3], v11, v5, s[2:3]
	v_mad_i64_i32 v[4:5], s[2:3], s12, v14, 0
	v_cndmask_b32_e32 v15, v2, v14, vcc
	v_cndmask_b32_e32 v16, v14, v2, vcc
	v_cmp_gt_i32_e32 vcc, s13, v2
	v_cmp_gt_i32_e64 s[0:1], s13, v14
	v_lshlrev_b64 v[4:5], 2, v[4:5]
	v_ashrrev_i32_e32 v3, 31, v2
	v_cmp_le_i32_e64 s[2:3], v16, v15
	s_and_b64 s[4:5], s[0:1], vcc
	s_and_b64 s[4:5], s[4:5], s[2:3]
	v_mov_b32_e32 v14, s7
	v_add_co_u32_e64 v4, s[2:3], s6, v4
	v_lshlrev_b64 v[2:3], 2, v[2:3]
	v_lshlrev_b32_e32 v8, 7, v0
	v_lshlrev_b32_e32 v12, 2, v1
	v_addc_co_u32_e64 v5, s[2:3], v14, v5, s[2:3]
	v_add_u32_e32 v9, v8, v12
	v_or_b32_e32 v12, 0x1000, v12
	v_add_co_u32_e64 v2, s[2:3], v4, v2
	v_add_u32_e32 v13, v12, v8
	v_addc_co_u32_e64 v3, s[2:3], v5, v3, s[2:3]
	s_mov_b32 s8, 0
	v_add_u32_e32 v14, 0x400, v12
	v_add_u32_e32 v15, 0x800, v12
	v_add_u32_e32 v16, 0xc00, v12
	s_branch .LBB76_5
.LBB76_4:                               ;   in Loop: Header=BB76_5 Depth=1
	s_or_b64 exec, exec, s[2:3]
	s_add_i32 s8, s8, 32
	s_cmp_lt_i32 s8, s14
	s_waitcnt vmcnt(0)
	s_barrier
	s_cbranch_scc0 .LBB76_11
.LBB76_5:                               ; =>This Inner Loop Header: Depth=1
	v_add_u32_e32 v4, s8, v1
	v_cmp_gt_i32_e64 s[2:3], s14, v4
	s_and_b64 s[2:3], vcc, s[2:3]
	v_mov_b32_e32 v5, 0
	s_and_saveexec_b64 s[6:7], s[2:3]
	s_cbranch_execz .LBB76_7
; %bb.6:                                ;   in Loop: Header=BB76_5 Depth=1
	v_ashrrev_i32_e32 v5, 31, v4
	v_lshlrev_b64 v[4:5], 2, v[4:5]
	v_add_co_u32_e64 v4, s[2:3], v6, v4
	v_addc_co_u32_e64 v5, s[2:3], v7, v5, s[2:3]
	global_load_dword v5, v[4:5], off
.LBB76_7:                               ;   in Loop: Header=BB76_5 Depth=1
	s_or_b64 exec, exec, s[6:7]
	v_add_u32_e32 v4, s8, v0
	v_cmp_gt_i32_e64 s[2:3], s14, v4
	s_waitcnt vmcnt(0)
	ds_write_b32 v9, v5
	s_and_b64 s[2:3], s[0:1], s[2:3]
	v_mov_b32_e32 v5, 0
	s_and_saveexec_b64 s[6:7], s[2:3]
	s_cbranch_execz .LBB76_9
; %bb.8:                                ;   in Loop: Header=BB76_5 Depth=1
	v_ashrrev_i32_e32 v5, 31, v4
	v_lshlrev_b64 v[4:5], 2, v[4:5]
	v_add_co_u32_e64 v4, s[2:3], v10, v4
	v_addc_co_u32_e64 v5, s[2:3], v11, v5, s[2:3]
	global_load_dword v5, v[4:5], off
.LBB76_9:                               ;   in Loop: Header=BB76_5 Depth=1
	s_or_b64 exec, exec, s[6:7]
	s_waitcnt vmcnt(0)
	ds_write_b32 v13, v5
	s_waitcnt lgkmcnt(0)
	s_barrier
	s_and_saveexec_b64 s[2:3], s[4:5]
	s_cbranch_execz .LBB76_4
; %bb.10:                               ;   in Loop: Header=BB76_5 Depth=1
	global_load_dword v27, v[2:3], off
	ds_read_b128 v[17:20], v8
	ds_read2_b32 v[4:5], v12 offset1:32
	ds_read2_b32 v[25:26], v12 offset0:64 offset1:96
	ds_read_b128 v[21:24], v8 offset:16
	s_waitcnt lgkmcnt(2)
	v_fma_f32 v28, v17, v4, 0
	v_fmac_f32_e32 v28, v18, v5
	ds_read2_b32 v[4:5], v12 offset0:128 offset1:160
	s_waitcnt lgkmcnt(2)
	v_fmac_f32_e32 v28, v19, v25
	v_fmac_f32_e32 v28, v20, v26
	ds_read2_b32 v[25:26], v12 offset0:192 offset1:224
	ds_read_b128 v[17:20], v8 offset:32
	s_waitcnt lgkmcnt(2)
	v_fmac_f32_e32 v28, v21, v4
	v_fmac_f32_e32 v28, v22, v5
	ds_read2_b32 v[4:5], v14 offset1:32
	s_waitcnt lgkmcnt(2)
	v_fmac_f32_e32 v28, v23, v25
	v_fmac_f32_e32 v28, v24, v26
	ds_read_b128 v[21:24], v8 offset:48
	ds_read2_b32 v[25:26], v14 offset0:64 offset1:96
	s_waitcnt lgkmcnt(2)
	v_fmac_f32_e32 v28, v17, v4
	v_fmac_f32_e32 v28, v18, v5
	ds_read2_b32 v[4:5], v14 offset0:128 offset1:160
	s_waitcnt lgkmcnt(1)
	v_fmac_f32_e32 v28, v19, v25
	v_fmac_f32_e32 v28, v20, v26
	;; [unrolled: 4-line block ×3, first 2 shown]
	ds_read_b128 v[17:20], v8 offset:64
	ds_read2_b32 v[4:5], v15 offset1:32
	s_waitcnt lgkmcnt(2)
	v_fmac_f32_e32 v28, v23, v25
	v_fmac_f32_e32 v28, v24, v26
	ds_read2_b32 v[25:26], v15 offset0:64 offset1:96
	ds_read_b128 v[21:24], v8 offset:80
	s_waitcnt lgkmcnt(2)
	v_fmac_f32_e32 v28, v17, v4
	v_fmac_f32_e32 v28, v18, v5
	ds_read2_b32 v[4:5], v15 offset0:128 offset1:160
	s_waitcnt lgkmcnt(2)
	v_fmac_f32_e32 v28, v19, v25
	v_fmac_f32_e32 v28, v20, v26
	ds_read2_b32 v[25:26], v15 offset0:192 offset1:224
	s_waitcnt lgkmcnt(1)
	v_fmac_f32_e32 v28, v21, v4
	v_fmac_f32_e32 v28, v22, v5
	ds_read_b128 v[17:20], v8 offset:96
	ds_read2_b32 v[4:5], v16 offset1:32
	s_waitcnt lgkmcnt(2)
	v_fmac_f32_e32 v28, v23, v25
	v_fmac_f32_e32 v28, v24, v26
	ds_read2_b32 v[25:26], v16 offset0:64 offset1:96
	ds_read_b128 v[21:24], v8 offset:112
	s_waitcnt lgkmcnt(2)
	v_fmac_f32_e32 v28, v17, v4
	v_fmac_f32_e32 v28, v18, v5
	ds_read2_b32 v[4:5], v16 offset0:128 offset1:160
	ds_read2_b32 v[17:18], v16 offset0:192 offset1:224
	s_waitcnt lgkmcnt(3)
	v_fmac_f32_e32 v28, v19, v25
	v_fmac_f32_e32 v28, v20, v26
	s_waitcnt lgkmcnt(1)
	v_fmac_f32_e32 v28, v21, v4
	v_fmac_f32_e32 v28, v22, v5
	;; [unrolled: 3-line block ×3, first 2 shown]
	s_waitcnt vmcnt(0)
	v_fmac_f32_e32 v27, s9, v28
	global_store_dword v[2:3], v27, off
	s_branch .LBB76_4
.LBB76_11:
	s_endpgm
	.section	.rodata,"a",@progbits
	.p2align	6, 0x0
	.amdhsa_kernel _ZL26rocblas_syr2k_her2k_kernelIiLb0ELb0ELb1ELi32EPKfS1_PfEvbiT_T4_T5_S3_lS5_S3_lT6_S3_li
		.amdhsa_group_segment_fixed_size 8192
		.amdhsa_private_segment_fixed_size 0
		.amdhsa_kernarg_size 100
		.amdhsa_user_sgpr_count 6
		.amdhsa_user_sgpr_private_segment_buffer 1
		.amdhsa_user_sgpr_dispatch_ptr 0
		.amdhsa_user_sgpr_queue_ptr 0
		.amdhsa_user_sgpr_kernarg_segment_ptr 1
		.amdhsa_user_sgpr_dispatch_id 0
		.amdhsa_user_sgpr_flat_scratch_init 0
		.amdhsa_user_sgpr_private_segment_size 0
		.amdhsa_uses_dynamic_stack 0
		.amdhsa_system_sgpr_private_segment_wavefront_offset 0
		.amdhsa_system_sgpr_workgroup_id_x 1
		.amdhsa_system_sgpr_workgroup_id_y 1
		.amdhsa_system_sgpr_workgroup_id_z 1
		.amdhsa_system_sgpr_workgroup_info 0
		.amdhsa_system_vgpr_workitem_id 1
		.amdhsa_next_free_vgpr 29
		.amdhsa_next_free_sgpr 61
		.amdhsa_reserve_vcc 1
		.amdhsa_reserve_flat_scratch 0
		.amdhsa_float_round_mode_32 0
		.amdhsa_float_round_mode_16_64 0
		.amdhsa_float_denorm_mode_32 3
		.amdhsa_float_denorm_mode_16_64 3
		.amdhsa_dx10_clamp 1
		.amdhsa_ieee_mode 1
		.amdhsa_fp16_overflow 0
		.amdhsa_exception_fp_ieee_invalid_op 0
		.amdhsa_exception_fp_denorm_src 0
		.amdhsa_exception_fp_ieee_div_zero 0
		.amdhsa_exception_fp_ieee_overflow 0
		.amdhsa_exception_fp_ieee_underflow 0
		.amdhsa_exception_fp_ieee_inexact 0
		.amdhsa_exception_int_div_zero 0
	.end_amdhsa_kernel
	.section	.text._ZL26rocblas_syr2k_her2k_kernelIiLb0ELb0ELb1ELi32EPKfS1_PfEvbiT_T4_T5_S3_lS5_S3_lT6_S3_li,"axG",@progbits,_ZL26rocblas_syr2k_her2k_kernelIiLb0ELb0ELb1ELi32EPKfS1_PfEvbiT_T4_T5_S3_lS5_S3_lT6_S3_li,comdat
.Lfunc_end76:
	.size	_ZL26rocblas_syr2k_her2k_kernelIiLb0ELb0ELb1ELi32EPKfS1_PfEvbiT_T4_T5_S3_lS5_S3_lT6_S3_li, .Lfunc_end76-_ZL26rocblas_syr2k_her2k_kernelIiLb0ELb0ELb1ELi32EPKfS1_PfEvbiT_T4_T5_S3_lS5_S3_lT6_S3_li
                                        ; -- End function
	.set _ZL26rocblas_syr2k_her2k_kernelIiLb0ELb0ELb1ELi32EPKfS1_PfEvbiT_T4_T5_S3_lS5_S3_lT6_S3_li.num_vgpr, 29
	.set _ZL26rocblas_syr2k_her2k_kernelIiLb0ELb0ELb1ELi32EPKfS1_PfEvbiT_T4_T5_S3_lS5_S3_lT6_S3_li.num_agpr, 0
	.set _ZL26rocblas_syr2k_her2k_kernelIiLb0ELb0ELb1ELi32EPKfS1_PfEvbiT_T4_T5_S3_lS5_S3_lT6_S3_li.numbered_sgpr, 24
	.set _ZL26rocblas_syr2k_her2k_kernelIiLb0ELb0ELb1ELi32EPKfS1_PfEvbiT_T4_T5_S3_lS5_S3_lT6_S3_li.num_named_barrier, 0
	.set _ZL26rocblas_syr2k_her2k_kernelIiLb0ELb0ELb1ELi32EPKfS1_PfEvbiT_T4_T5_S3_lS5_S3_lT6_S3_li.private_seg_size, 0
	.set _ZL26rocblas_syr2k_her2k_kernelIiLb0ELb0ELb1ELi32EPKfS1_PfEvbiT_T4_T5_S3_lS5_S3_lT6_S3_li.uses_vcc, 1
	.set _ZL26rocblas_syr2k_her2k_kernelIiLb0ELb0ELb1ELi32EPKfS1_PfEvbiT_T4_T5_S3_lS5_S3_lT6_S3_li.uses_flat_scratch, 0
	.set _ZL26rocblas_syr2k_her2k_kernelIiLb0ELb0ELb1ELi32EPKfS1_PfEvbiT_T4_T5_S3_lS5_S3_lT6_S3_li.has_dyn_sized_stack, 0
	.set _ZL26rocblas_syr2k_her2k_kernelIiLb0ELb0ELb1ELi32EPKfS1_PfEvbiT_T4_T5_S3_lS5_S3_lT6_S3_li.has_recursion, 0
	.set _ZL26rocblas_syr2k_her2k_kernelIiLb0ELb0ELb1ELi32EPKfS1_PfEvbiT_T4_T5_S3_lS5_S3_lT6_S3_li.has_indirect_call, 0
	.section	.AMDGPU.csdata,"",@progbits
; Kernel info:
; codeLenInByte = 1092
; TotalNumSgprs: 28
; NumVgprs: 29
; ScratchSize: 0
; MemoryBound: 0
; FloatMode: 240
; IeeeMode: 1
; LDSByteSize: 8192 bytes/workgroup (compile time only)
; SGPRBlocks: 8
; VGPRBlocks: 7
; NumSGPRsForWavesPerEU: 65
; NumVGPRsForWavesPerEU: 29
; Occupancy: 8
; WaveLimiterHint : 0
; COMPUTE_PGM_RSRC2:SCRATCH_EN: 0
; COMPUTE_PGM_RSRC2:USER_SGPR: 6
; COMPUTE_PGM_RSRC2:TRAP_HANDLER: 0
; COMPUTE_PGM_RSRC2:TGID_X_EN: 1
; COMPUTE_PGM_RSRC2:TGID_Y_EN: 1
; COMPUTE_PGM_RSRC2:TGID_Z_EN: 1
; COMPUTE_PGM_RSRC2:TIDIG_COMP_CNT: 1
	.section	.text._ZL26rocblas_syr2k_her2k_kernelIiLb0ELb0ELb0ELi32EdPKdPdEvbiT_T4_T5_S3_lS5_S3_lT6_S3_li,"axG",@progbits,_ZL26rocblas_syr2k_her2k_kernelIiLb0ELb0ELb0ELi32EdPKdPdEvbiT_T4_T5_S3_lS5_S3_lT6_S3_li,comdat
	.globl	_ZL26rocblas_syr2k_her2k_kernelIiLb0ELb0ELb0ELi32EdPKdPdEvbiT_T4_T5_S3_lS5_S3_lT6_S3_li ; -- Begin function _ZL26rocblas_syr2k_her2k_kernelIiLb0ELb0ELb0ELi32EdPKdPdEvbiT_T4_T5_S3_lS5_S3_lT6_S3_li
	.p2align	8
	.type	_ZL26rocblas_syr2k_her2k_kernelIiLb0ELb0ELb0ELi32EdPKdPdEvbiT_T4_T5_S3_lS5_S3_lT6_S3_li,@function
_ZL26rocblas_syr2k_her2k_kernelIiLb0ELb0ELb0ELi32EdPKdPdEvbiT_T4_T5_S3_lS5_S3_lT6_S3_li: ; @_ZL26rocblas_syr2k_her2k_kernelIiLb0ELb0ELb0ELi32EdPKdPdEvbiT_T4_T5_S3_lS5_S3_lT6_S3_li
; %bb.0:
	s_load_dwordx4 s[12:15], s[4:5], 0x10
	s_waitcnt lgkmcnt(0)
	v_cmp_eq_f64_e64 s[0:1], s[12:13], 0
	s_and_b64 vcc, exec, s[0:1]
	s_cbranch_vccnz .LBB77_11
; %bb.1:
	s_load_dwordx4 s[16:19], s[4:5], 0x0
	s_lshl_b32 s0, s7, 5
	s_lshl_b32 s1, s6, 5
	s_waitcnt lgkmcnt(0)
	s_and_b32 s2, 1, s16
	s_cmp_eq_u32 s2, 1
	s_cselect_b64 vcc, -1, 0
	s_and_b64 s[2:3], vcc, exec
	s_cselect_b32 s2, s1, s0
	s_cselect_b32 s3, s0, s1
	s_cmp_gt_i32 s2, s3
	s_cbranch_scc1 .LBB77_11
; %bb.2:
	s_cmp_lt_i32 s18, 1
	s_cbranch_scc1 .LBB77_11
; %bb.3:
	s_load_dword s9, s[4:5], 0x20
	s_load_dwordx4 s[20:23], s[4:5], 0x28
	s_load_dword s10, s[4:5], 0x38
	s_load_dwordx4 s[24:27], s[4:5], 0x40
	s_load_dword s6, s[4:5], 0x50
	s_load_dwordx2 s[2:3], s[4:5], 0x58
	s_waitcnt lgkmcnt(0)
	s_mul_i32 s4, s21, s8
	s_mul_hi_u32 s5, s20, s8
	s_add_i32 s5, s5, s4
	s_mul_i32 s4, s20, s8
	s_lshl_b64 s[4:5], s[4:5], 3
	s_add_u32 s7, s14, s4
	v_add_u32_e32 v3, s1, v0
	s_addc_u32 s11, s15, s5
	s_mul_i32 s4, s25, s8
	s_mul_hi_u32 s5, s24, s8
	v_ashrrev_i32_e32 v4, 31, v3
	s_add_i32 s5, s5, s4
	s_mul_i32 s4, s24, s8
	v_lshlrev_b64 v[4:5], 3, v[3:4]
	s_lshl_b64 s[4:5], s[4:5], 3
	v_add_u32_e32 v2, s0, v1
	s_add_u32 s4, s22, s4
	s_mul_i32 s3, s3, s8
	s_mul_hi_u32 s14, s2, s8
	v_cndmask_b32_e32 v16, v3, v2, vcc
	v_cndmask_b32_e32 v17, v2, v3, vcc
	v_cmp_gt_i32_e32 vcc, s17, v3
	v_mov_b32_e32 v3, s11
	v_add_co_u32_e64 v8, s[0:1], s7, v4
	s_addc_u32 s5, s23, s5
	s_add_i32 s3, s14, s3
	s_mul_i32 s2, s2, s8
	v_addc_co_u32_e64 v9, s[0:1], v3, v5, s[0:1]
	v_ashrrev_i32_e32 v3, 31, v2
	s_lshl_b64 s[2:3], s[2:3], 3
	v_lshlrev_b64 v[6:7], 3, v[2:3]
	s_add_u32 s8, s26, s2
	s_addc_u32 s14, s27, s3
	v_mov_b32_e32 v3, s5
	v_add_co_u32_e64 v12, s[2:3], s4, v6
	v_cmp_gt_i32_e64 s[0:1], s17, v2
	v_addc_co_u32_e64 v13, s[2:3], v3, v7, s[2:3]
	v_mad_i64_i32 v[2:3], s[2:3], s6, v2, 0
	v_cmp_le_i32_e64 s[2:3], v17, v16
	s_and_b64 s[4:5], s[0:1], vcc
	v_lshlrev_b64 v[2:3], 3, v[2:3]
	s_and_b64 s[4:5], s[4:5], s[2:3]
	v_mov_b32_e32 v6, s14
	v_add_co_u32_e64 v2, s[2:3], s8, v2
	v_lshlrev_b32_e32 v10, 8, v0
	v_lshlrev_b32_e32 v14, 3, v1
	v_addc_co_u32_e64 v3, s[2:3], v6, v3, s[2:3]
	v_add_u32_e32 v11, v10, v14
	v_or_b32_e32 v14, 0x2000, v14
	v_add_co_u32_e64 v2, s[2:3], v2, v4
	v_add_u32_e32 v15, v14, v10
	v_addc_co_u32_e64 v3, s[2:3], v3, v5, s[2:3]
	s_mov_b32 s8, 0
	v_add_u32_e32 v16, 0x800, v14
	v_add_u32_e32 v17, 0x1000, v14
	v_add_u32_e32 v18, 0x1800, v14
	s_branch .LBB77_5
.LBB77_4:                               ;   in Loop: Header=BB77_5 Depth=1
	s_or_b64 exec, exec, s[2:3]
	s_add_i32 s8, s8, 32
	s_cmp_lt_i32 s8, s18
	s_waitcnt vmcnt(0)
	s_barrier
	s_cbranch_scc0 .LBB77_11
.LBB77_5:                               ; =>This Inner Loop Header: Depth=1
	v_add_u32_e32 v19, s8, v1
	v_cmp_gt_i32_e64 s[2:3], s18, v19
	v_mov_b32_e32 v4, 0
	v_mov_b32_e32 v6, 0
	;; [unrolled: 1-line block ×4, first 2 shown]
	s_and_b64 s[2:3], vcc, s[2:3]
	s_and_saveexec_b64 s[6:7], s[2:3]
	s_cbranch_execz .LBB77_7
; %bb.6:                                ;   in Loop: Header=BB77_5 Depth=1
	v_mad_i64_i32 v[6:7], s[2:3], v19, s9, 0
	v_lshlrev_b64 v[6:7], 3, v[6:7]
	v_add_co_u32_e64 v6, s[2:3], v8, v6
	v_addc_co_u32_e64 v7, s[2:3], v9, v7, s[2:3]
	global_load_dwordx2 v[6:7], v[6:7], off
.LBB77_7:                               ;   in Loop: Header=BB77_5 Depth=1
	s_or_b64 exec, exec, s[6:7]
	s_waitcnt vmcnt(0)
	ds_write_b64 v11, v[6:7]
	v_add_u32_e32 v6, s8, v0
	v_cmp_gt_i32_e64 s[2:3], s18, v6
	s_and_b64 s[2:3], s[0:1], s[2:3]
	s_and_saveexec_b64 s[6:7], s[2:3]
	s_cbranch_execz .LBB77_9
; %bb.8:                                ;   in Loop: Header=BB77_5 Depth=1
	v_mad_i64_i32 v[4:5], s[2:3], v6, s10, 0
	v_lshlrev_b64 v[4:5], 3, v[4:5]
	v_add_co_u32_e64 v4, s[2:3], v12, v4
	v_addc_co_u32_e64 v5, s[2:3], v13, v5, s[2:3]
	global_load_dwordx2 v[4:5], v[4:5], off
.LBB77_9:                               ;   in Loop: Header=BB77_5 Depth=1
	s_or_b64 exec, exec, s[6:7]
	s_waitcnt vmcnt(0)
	ds_write_b64 v15, v[4:5]
	s_waitcnt lgkmcnt(0)
	s_barrier
	s_and_saveexec_b64 s[2:3], s[4:5]
	s_cbranch_execz .LBB77_4
; %bb.10:                               ;   in Loop: Header=BB77_5 Depth=1
	ds_read2_b64 v[4:7], v14 offset1:32
	ds_read_b128 v[19:22], v10
	s_waitcnt lgkmcnt(0)
	v_fma_f64 v[4:5], v[19:20], v[4:5], 0
	v_fma_f64 v[23:24], v[21:22], v[6:7], v[4:5]
	ds_read_b128 v[4:7], v10 offset:16
	ds_read2_b64 v[19:22], v14 offset0:64 offset1:96
	s_waitcnt lgkmcnt(0)
	v_fma_f64 v[4:5], v[4:5], v[19:20], v[23:24]
	v_fma_f64 v[23:24], v[6:7], v[21:22], v[4:5]
	ds_read2_b64 v[4:7], v14 offset0:128 offset1:160
	ds_read_b128 v[19:22], v10 offset:32
	s_waitcnt lgkmcnt(0)
	v_fma_f64 v[4:5], v[19:20], v[4:5], v[23:24]
	v_fma_f64 v[23:24], v[21:22], v[6:7], v[4:5]
	ds_read_b128 v[4:7], v10 offset:48
	ds_read2_b64 v[19:22], v14 offset0:192 offset1:224
	s_waitcnt lgkmcnt(0)
	v_fma_f64 v[4:5], v[4:5], v[19:20], v[23:24]
	v_fma_f64 v[23:24], v[6:7], v[21:22], v[4:5]
	ds_read2_b64 v[4:7], v16 offset1:32
	ds_read_b128 v[19:22], v10 offset:64
	s_waitcnt lgkmcnt(0)
	v_fma_f64 v[4:5], v[19:20], v[4:5], v[23:24]
	v_fma_f64 v[23:24], v[21:22], v[6:7], v[4:5]
	ds_read_b128 v[4:7], v10 offset:80
	ds_read2_b64 v[19:22], v16 offset0:64 offset1:96
	s_waitcnt lgkmcnt(0)
	v_fma_f64 v[4:5], v[4:5], v[19:20], v[23:24]
	v_fma_f64 v[23:24], v[6:7], v[21:22], v[4:5]
	ds_read2_b64 v[4:7], v16 offset0:128 offset1:160
	ds_read_b128 v[19:22], v10 offset:96
	s_waitcnt lgkmcnt(0)
	v_fma_f64 v[4:5], v[19:20], v[4:5], v[23:24]
	v_fma_f64 v[23:24], v[21:22], v[6:7], v[4:5]
	ds_read_b128 v[4:7], v10 offset:112
	ds_read2_b64 v[19:22], v16 offset0:192 offset1:224
	s_waitcnt lgkmcnt(0)
	v_fma_f64 v[4:5], v[4:5], v[19:20], v[23:24]
	v_fma_f64 v[23:24], v[6:7], v[21:22], v[4:5]
	ds_read2_b64 v[4:7], v17 offset1:32
	ds_read_b128 v[19:22], v10 offset:128
	s_waitcnt lgkmcnt(0)
	v_fma_f64 v[4:5], v[19:20], v[4:5], v[23:24]
	v_fma_f64 v[23:24], v[21:22], v[6:7], v[4:5]
	ds_read_b128 v[4:7], v10 offset:144
	ds_read2_b64 v[19:22], v17 offset0:64 offset1:96
	s_waitcnt lgkmcnt(0)
	v_fma_f64 v[4:5], v[4:5], v[19:20], v[23:24]
	v_fma_f64 v[23:24], v[6:7], v[21:22], v[4:5]
	ds_read2_b64 v[4:7], v17 offset0:128 offset1:160
	ds_read_b128 v[19:22], v10 offset:160
	s_waitcnt lgkmcnt(0)
	v_fma_f64 v[4:5], v[19:20], v[4:5], v[23:24]
	v_fma_f64 v[23:24], v[21:22], v[6:7], v[4:5]
	ds_read_b128 v[4:7], v10 offset:176
	ds_read2_b64 v[19:22], v17 offset0:192 offset1:224
	s_waitcnt lgkmcnt(0)
	v_fma_f64 v[4:5], v[4:5], v[19:20], v[23:24]
	global_load_dwordx2 v[23:24], v[2:3], off
	v_fma_f64 v[25:26], v[6:7], v[21:22], v[4:5]
	ds_read2_b64 v[4:7], v18 offset1:32
	ds_read_b128 v[19:22], v10 offset:192
	s_waitcnt lgkmcnt(0)
	v_fma_f64 v[4:5], v[19:20], v[4:5], v[25:26]
	v_fma_f64 v[25:26], v[21:22], v[6:7], v[4:5]
	ds_read_b128 v[4:7], v10 offset:208
	ds_read2_b64 v[19:22], v18 offset0:64 offset1:96
	s_waitcnt lgkmcnt(0)
	v_fma_f64 v[4:5], v[4:5], v[19:20], v[25:26]
	v_fma_f64 v[25:26], v[6:7], v[21:22], v[4:5]
	ds_read2_b64 v[4:7], v18 offset0:128 offset1:160
	ds_read_b128 v[19:22], v10 offset:224
	s_waitcnt lgkmcnt(0)
	v_fma_f64 v[4:5], v[19:20], v[4:5], v[25:26]
	v_fma_f64 v[25:26], v[21:22], v[6:7], v[4:5]
	ds_read_b128 v[4:7], v10 offset:240
	ds_read2_b64 v[19:22], v18 offset0:192 offset1:224
	s_waitcnt lgkmcnt(0)
	v_fma_f64 v[4:5], v[4:5], v[19:20], v[25:26]
	v_fma_f64 v[4:5], v[6:7], v[21:22], v[4:5]
	s_waitcnt vmcnt(0)
	v_fma_f64 v[4:5], s[12:13], v[4:5], v[23:24]
	global_store_dwordx2 v[2:3], v[4:5], off
	s_branch .LBB77_4
.LBB77_11:
	s_endpgm
	.section	.rodata,"a",@progbits
	.p2align	6, 0x0
	.amdhsa_kernel _ZL26rocblas_syr2k_her2k_kernelIiLb0ELb0ELb0ELi32EdPKdPdEvbiT_T4_T5_S3_lS5_S3_lT6_S3_li
		.amdhsa_group_segment_fixed_size 16384
		.amdhsa_private_segment_fixed_size 0
		.amdhsa_kernarg_size 100
		.amdhsa_user_sgpr_count 6
		.amdhsa_user_sgpr_private_segment_buffer 1
		.amdhsa_user_sgpr_dispatch_ptr 0
		.amdhsa_user_sgpr_queue_ptr 0
		.amdhsa_user_sgpr_kernarg_segment_ptr 1
		.amdhsa_user_sgpr_dispatch_id 0
		.amdhsa_user_sgpr_flat_scratch_init 0
		.amdhsa_user_sgpr_private_segment_size 0
		.amdhsa_uses_dynamic_stack 0
		.amdhsa_system_sgpr_private_segment_wavefront_offset 0
		.amdhsa_system_sgpr_workgroup_id_x 1
		.amdhsa_system_sgpr_workgroup_id_y 1
		.amdhsa_system_sgpr_workgroup_id_z 1
		.amdhsa_system_sgpr_workgroup_info 0
		.amdhsa_system_vgpr_workitem_id 1
		.amdhsa_next_free_vgpr 29
		.amdhsa_next_free_sgpr 61
		.amdhsa_reserve_vcc 1
		.amdhsa_reserve_flat_scratch 0
		.amdhsa_float_round_mode_32 0
		.amdhsa_float_round_mode_16_64 0
		.amdhsa_float_denorm_mode_32 3
		.amdhsa_float_denorm_mode_16_64 3
		.amdhsa_dx10_clamp 1
		.amdhsa_ieee_mode 1
		.amdhsa_fp16_overflow 0
		.amdhsa_exception_fp_ieee_invalid_op 0
		.amdhsa_exception_fp_denorm_src 0
		.amdhsa_exception_fp_ieee_div_zero 0
		.amdhsa_exception_fp_ieee_overflow 0
		.amdhsa_exception_fp_ieee_underflow 0
		.amdhsa_exception_fp_ieee_inexact 0
		.amdhsa_exception_int_div_zero 0
	.end_amdhsa_kernel
	.section	.text._ZL26rocblas_syr2k_her2k_kernelIiLb0ELb0ELb0ELi32EdPKdPdEvbiT_T4_T5_S3_lS5_S3_lT6_S3_li,"axG",@progbits,_ZL26rocblas_syr2k_her2k_kernelIiLb0ELb0ELb0ELi32EdPKdPdEvbiT_T4_T5_S3_lS5_S3_lT6_S3_li,comdat
.Lfunc_end77:
	.size	_ZL26rocblas_syr2k_her2k_kernelIiLb0ELb0ELb0ELi32EdPKdPdEvbiT_T4_T5_S3_lS5_S3_lT6_S3_li, .Lfunc_end77-_ZL26rocblas_syr2k_her2k_kernelIiLb0ELb0ELb0ELi32EdPKdPdEvbiT_T4_T5_S3_lS5_S3_lT6_S3_li
                                        ; -- End function
	.set _ZL26rocblas_syr2k_her2k_kernelIiLb0ELb0ELb0ELi32EdPKdPdEvbiT_T4_T5_S3_lS5_S3_lT6_S3_li.num_vgpr, 27
	.set _ZL26rocblas_syr2k_her2k_kernelIiLb0ELb0ELb0ELi32EdPKdPdEvbiT_T4_T5_S3_lS5_S3_lT6_S3_li.num_agpr, 0
	.set _ZL26rocblas_syr2k_her2k_kernelIiLb0ELb0ELb0ELi32EdPKdPdEvbiT_T4_T5_S3_lS5_S3_lT6_S3_li.numbered_sgpr, 28
	.set _ZL26rocblas_syr2k_her2k_kernelIiLb0ELb0ELb0ELi32EdPKdPdEvbiT_T4_T5_S3_lS5_S3_lT6_S3_li.num_named_barrier, 0
	.set _ZL26rocblas_syr2k_her2k_kernelIiLb0ELb0ELb0ELi32EdPKdPdEvbiT_T4_T5_S3_lS5_S3_lT6_S3_li.private_seg_size, 0
	.set _ZL26rocblas_syr2k_her2k_kernelIiLb0ELb0ELb0ELi32EdPKdPdEvbiT_T4_T5_S3_lS5_S3_lT6_S3_li.uses_vcc, 1
	.set _ZL26rocblas_syr2k_her2k_kernelIiLb0ELb0ELb0ELi32EdPKdPdEvbiT_T4_T5_S3_lS5_S3_lT6_S3_li.uses_flat_scratch, 0
	.set _ZL26rocblas_syr2k_her2k_kernelIiLb0ELb0ELb0ELi32EdPKdPdEvbiT_T4_T5_S3_lS5_S3_lT6_S3_li.has_dyn_sized_stack, 0
	.set _ZL26rocblas_syr2k_her2k_kernelIiLb0ELb0ELb0ELi32EdPKdPdEvbiT_T4_T5_S3_lS5_S3_lT6_S3_li.has_recursion, 0
	.set _ZL26rocblas_syr2k_her2k_kernelIiLb0ELb0ELb0ELi32EdPKdPdEvbiT_T4_T5_S3_lS5_S3_lT6_S3_li.has_indirect_call, 0
	.section	.AMDGPU.csdata,"",@progbits
; Kernel info:
; codeLenInByte = 1268
; TotalNumSgprs: 32
; NumVgprs: 27
; ScratchSize: 0
; MemoryBound: 0
; FloatMode: 240
; IeeeMode: 1
; LDSByteSize: 16384 bytes/workgroup (compile time only)
; SGPRBlocks: 8
; VGPRBlocks: 7
; NumSGPRsForWavesPerEU: 65
; NumVGPRsForWavesPerEU: 29
; Occupancy: 8
; WaveLimiterHint : 0
; COMPUTE_PGM_RSRC2:SCRATCH_EN: 0
; COMPUTE_PGM_RSRC2:USER_SGPR: 6
; COMPUTE_PGM_RSRC2:TRAP_HANDLER: 0
; COMPUTE_PGM_RSRC2:TGID_X_EN: 1
; COMPUTE_PGM_RSRC2:TGID_Y_EN: 1
; COMPUTE_PGM_RSRC2:TGID_Z_EN: 1
; COMPUTE_PGM_RSRC2:TIDIG_COMP_CNT: 1
	.section	.text._ZL26rocblas_syr2k_her2k_kernelIiLb0ELb0ELb1ELi32EdPKdPdEvbiT_T4_T5_S3_lS5_S3_lT6_S3_li,"axG",@progbits,_ZL26rocblas_syr2k_her2k_kernelIiLb0ELb0ELb1ELi32EdPKdPdEvbiT_T4_T5_S3_lS5_S3_lT6_S3_li,comdat
	.globl	_ZL26rocblas_syr2k_her2k_kernelIiLb0ELb0ELb1ELi32EdPKdPdEvbiT_T4_T5_S3_lS5_S3_lT6_S3_li ; -- Begin function _ZL26rocblas_syr2k_her2k_kernelIiLb0ELb0ELb1ELi32EdPKdPdEvbiT_T4_T5_S3_lS5_S3_lT6_S3_li
	.p2align	8
	.type	_ZL26rocblas_syr2k_her2k_kernelIiLb0ELb0ELb1ELi32EdPKdPdEvbiT_T4_T5_S3_lS5_S3_lT6_S3_li,@function
_ZL26rocblas_syr2k_her2k_kernelIiLb0ELb0ELb1ELi32EdPKdPdEvbiT_T4_T5_S3_lS5_S3_lT6_S3_li: ; @_ZL26rocblas_syr2k_her2k_kernelIiLb0ELb0ELb1ELi32EdPKdPdEvbiT_T4_T5_S3_lS5_S3_lT6_S3_li
; %bb.0:
	s_load_dwordx4 s[12:15], s[4:5], 0x10
	s_waitcnt lgkmcnt(0)
	v_cmp_eq_f64_e64 s[0:1], s[12:13], 0
	s_and_b64 vcc, exec, s[0:1]
	s_cbranch_vccnz .LBB78_11
; %bb.1:
	s_load_dwordx4 s[16:19], s[4:5], 0x0
	s_lshl_b32 s0, s7, 5
	s_lshl_b32 s1, s6, 5
	s_waitcnt lgkmcnt(0)
	s_and_b32 s2, 1, s16
	s_cmp_eq_u32 s2, 1
	s_cselect_b64 vcc, -1, 0
	s_and_b64 s[2:3], vcc, exec
	s_cselect_b32 s2, s1, s0
	s_cselect_b32 s3, s0, s1
	s_cmp_gt_i32 s2, s3
	s_cbranch_scc1 .LBB78_11
; %bb.2:
	s_cmp_lt_i32 s18, 1
	s_cbranch_scc1 .LBB78_11
; %bb.3:
	v_add_u32_e32 v2, s1, v0
	s_load_dword s6, s[4:5], 0x20
	s_load_dwordx4 s[20:23], s[4:5], 0x28
	s_load_dword s7, s[4:5], 0x38
	s_load_dwordx4 s[24:27], s[4:5], 0x40
	s_load_dword s9, s[4:5], 0x50
	s_load_dwordx2 s[2:3], s[4:5], 0x58
	v_add_u32_e32 v6, s0, v1
	s_waitcnt lgkmcnt(0)
	v_mad_i64_i32 v[4:5], s[0:1], s6, v2, 0
	s_mul_i32 s4, s21, s8
	s_mul_hi_u32 s5, s20, s8
	s_add_i32 s5, s5, s4
	s_mul_i32 s4, s20, s8
	s_lshl_b64 s[4:5], s[4:5], 3
	s_add_u32 s10, s14, s4
	v_lshlrev_b64 v[4:5], 3, v[4:5]
	s_addc_u32 s11, s15, s5
	s_mul_i32 s4, s25, s8
	s_mul_hi_u32 s5, s24, s8
	v_mov_b32_e32 v10, s11
	v_add_co_u32_e64 v9, s[0:1], s10, v4
	s_add_i32 s5, s5, s4
	s_mul_i32 s4, s24, s8
	v_addc_co_u32_e64 v10, s[0:1], v10, v5, s[0:1]
	v_mad_i64_i32 v[4:5], s[0:1], s7, v6, 0
	s_lshl_b64 s[4:5], s[4:5], 3
	s_add_u32 s4, s22, s4
	s_mul_i32 s3, s3, s8
	s_mul_hi_u32 s14, s2, s8
	s_addc_u32 s5, s23, s5
	s_add_i32 s3, s14, s3
	s_mul_i32 s2, s2, s8
	s_lshl_b64 s[2:3], s[2:3], 3
	v_lshlrev_b64 v[4:5], 3, v[4:5]
	s_add_u32 s8, s26, s2
	s_addc_u32 s14, s27, s3
	v_mov_b32_e32 v14, s5
	v_add_co_u32_e64 v13, s[2:3], s4, v4
	v_addc_co_u32_e64 v14, s[2:3], v14, v5, s[2:3]
	v_mad_i64_i32 v[4:5], s[2:3], s9, v6, 0
	v_cndmask_b32_e32 v7, v2, v6, vcc
	v_cndmask_b32_e32 v8, v6, v2, vcc
	v_cmp_gt_i32_e32 vcc, s17, v2
	v_cmp_gt_i32_e64 s[0:1], s17, v6
	v_lshlrev_b64 v[4:5], 3, v[4:5]
	v_ashrrev_i32_e32 v3, 31, v2
	v_cmp_le_i32_e64 s[2:3], v8, v7
	s_and_b64 s[4:5], s[0:1], vcc
	s_and_b64 s[4:5], s[4:5], s[2:3]
	v_mov_b32_e32 v6, s14
	v_add_co_u32_e64 v4, s[2:3], s8, v4
	v_lshlrev_b64 v[2:3], 3, v[2:3]
	v_lshlrev_b32_e32 v11, 8, v0
	v_lshlrev_b32_e32 v15, 3, v1
	v_addc_co_u32_e64 v5, s[2:3], v6, v5, s[2:3]
	v_add_u32_e32 v12, v11, v15
	v_or_b32_e32 v15, 0x2000, v15
	v_add_co_u32_e64 v2, s[2:3], v4, v2
	v_add_u32_e32 v16, v15, v11
	v_addc_co_u32_e64 v3, s[2:3], v5, v3, s[2:3]
	s_mov_b32 s8, 0
	v_add_u32_e32 v17, 0x800, v15
	v_add_u32_e32 v18, 0x1000, v15
	;; [unrolled: 1-line block ×3, first 2 shown]
	s_branch .LBB78_5
.LBB78_4:                               ;   in Loop: Header=BB78_5 Depth=1
	s_or_b64 exec, exec, s[2:3]
	s_add_i32 s8, s8, 32
	s_cmp_lt_i32 s8, s18
	s_waitcnt vmcnt(0)
	s_barrier
	s_cbranch_scc0 .LBB78_11
.LBB78_5:                               ; =>This Inner Loop Header: Depth=1
	v_add_u32_e32 v6, s8, v1
	v_cmp_gt_i32_e64 s[2:3], s18, v6
	v_mov_b32_e32 v4, 0
	v_mov_b32_e32 v7, 0
	;; [unrolled: 1-line block ×4, first 2 shown]
	s_and_b64 s[2:3], vcc, s[2:3]
	s_and_saveexec_b64 s[6:7], s[2:3]
	s_cbranch_execz .LBB78_7
; %bb.6:                                ;   in Loop: Header=BB78_5 Depth=1
	v_ashrrev_i32_e32 v7, 31, v6
	v_lshlrev_b64 v[6:7], 3, v[6:7]
	v_add_co_u32_e64 v6, s[2:3], v9, v6
	v_addc_co_u32_e64 v7, s[2:3], v10, v7, s[2:3]
	global_load_dwordx2 v[7:8], v[6:7], off
.LBB78_7:                               ;   in Loop: Header=BB78_5 Depth=1
	s_or_b64 exec, exec, s[6:7]
	v_add_u32_e32 v6, s8, v0
	v_cmp_gt_i32_e64 s[2:3], s18, v6
	s_and_b64 s[2:3], s[0:1], s[2:3]
	s_waitcnt vmcnt(0)
	ds_write_b64 v12, v[7:8]
	s_and_saveexec_b64 s[6:7], s[2:3]
	s_cbranch_execz .LBB78_9
; %bb.8:                                ;   in Loop: Header=BB78_5 Depth=1
	v_ashrrev_i32_e32 v7, 31, v6
	v_lshlrev_b64 v[4:5], 3, v[6:7]
	v_add_co_u32_e64 v4, s[2:3], v13, v4
	v_addc_co_u32_e64 v5, s[2:3], v14, v5, s[2:3]
	global_load_dwordx2 v[4:5], v[4:5], off
.LBB78_9:                               ;   in Loop: Header=BB78_5 Depth=1
	s_or_b64 exec, exec, s[6:7]
	s_waitcnt vmcnt(0)
	ds_write_b64 v16, v[4:5]
	s_waitcnt lgkmcnt(0)
	s_barrier
	s_and_saveexec_b64 s[2:3], s[4:5]
	s_cbranch_execz .LBB78_4
; %bb.10:                               ;   in Loop: Header=BB78_5 Depth=1
	ds_read2_b64 v[4:7], v15 offset1:32
	ds_read_b128 v[20:23], v11
	s_waitcnt lgkmcnt(0)
	v_fma_f64 v[4:5], v[20:21], v[4:5], 0
	v_fma_f64 v[24:25], v[22:23], v[6:7], v[4:5]
	ds_read_b128 v[4:7], v11 offset:16
	ds_read2_b64 v[20:23], v15 offset0:64 offset1:96
	s_waitcnt lgkmcnt(0)
	v_fma_f64 v[4:5], v[4:5], v[20:21], v[24:25]
	v_fma_f64 v[24:25], v[6:7], v[22:23], v[4:5]
	ds_read2_b64 v[4:7], v15 offset0:128 offset1:160
	ds_read_b128 v[20:23], v11 offset:32
	s_waitcnt lgkmcnt(0)
	v_fma_f64 v[4:5], v[20:21], v[4:5], v[24:25]
	v_fma_f64 v[24:25], v[22:23], v[6:7], v[4:5]
	ds_read_b128 v[4:7], v11 offset:48
	ds_read2_b64 v[20:23], v15 offset0:192 offset1:224
	s_waitcnt lgkmcnt(0)
	v_fma_f64 v[4:5], v[4:5], v[20:21], v[24:25]
	v_fma_f64 v[24:25], v[6:7], v[22:23], v[4:5]
	ds_read2_b64 v[4:7], v17 offset1:32
	ds_read_b128 v[20:23], v11 offset:64
	s_waitcnt lgkmcnt(0)
	v_fma_f64 v[4:5], v[20:21], v[4:5], v[24:25]
	v_fma_f64 v[24:25], v[22:23], v[6:7], v[4:5]
	ds_read_b128 v[4:7], v11 offset:80
	ds_read2_b64 v[20:23], v17 offset0:64 offset1:96
	s_waitcnt lgkmcnt(0)
	v_fma_f64 v[4:5], v[4:5], v[20:21], v[24:25]
	v_fma_f64 v[24:25], v[6:7], v[22:23], v[4:5]
	ds_read2_b64 v[4:7], v17 offset0:128 offset1:160
	ds_read_b128 v[20:23], v11 offset:96
	s_waitcnt lgkmcnt(0)
	v_fma_f64 v[4:5], v[20:21], v[4:5], v[24:25]
	v_fma_f64 v[24:25], v[22:23], v[6:7], v[4:5]
	ds_read_b128 v[4:7], v11 offset:112
	ds_read2_b64 v[20:23], v17 offset0:192 offset1:224
	s_waitcnt lgkmcnt(0)
	v_fma_f64 v[4:5], v[4:5], v[20:21], v[24:25]
	v_fma_f64 v[24:25], v[6:7], v[22:23], v[4:5]
	ds_read2_b64 v[4:7], v18 offset1:32
	ds_read_b128 v[20:23], v11 offset:128
	s_waitcnt lgkmcnt(0)
	v_fma_f64 v[4:5], v[20:21], v[4:5], v[24:25]
	v_fma_f64 v[24:25], v[22:23], v[6:7], v[4:5]
	ds_read_b128 v[4:7], v11 offset:144
	ds_read2_b64 v[20:23], v18 offset0:64 offset1:96
	s_waitcnt lgkmcnt(0)
	v_fma_f64 v[4:5], v[4:5], v[20:21], v[24:25]
	v_fma_f64 v[24:25], v[6:7], v[22:23], v[4:5]
	ds_read2_b64 v[4:7], v18 offset0:128 offset1:160
	ds_read_b128 v[20:23], v11 offset:160
	s_waitcnt lgkmcnt(0)
	v_fma_f64 v[4:5], v[20:21], v[4:5], v[24:25]
	v_fma_f64 v[24:25], v[22:23], v[6:7], v[4:5]
	ds_read_b128 v[4:7], v11 offset:176
	ds_read2_b64 v[20:23], v18 offset0:192 offset1:224
	s_waitcnt lgkmcnt(0)
	v_fma_f64 v[4:5], v[4:5], v[20:21], v[24:25]
	global_load_dwordx2 v[24:25], v[2:3], off
	v_fma_f64 v[26:27], v[6:7], v[22:23], v[4:5]
	ds_read2_b64 v[4:7], v19 offset1:32
	ds_read_b128 v[20:23], v11 offset:192
	s_waitcnt lgkmcnt(0)
	v_fma_f64 v[4:5], v[20:21], v[4:5], v[26:27]
	v_fma_f64 v[26:27], v[22:23], v[6:7], v[4:5]
	ds_read_b128 v[4:7], v11 offset:208
	ds_read2_b64 v[20:23], v19 offset0:64 offset1:96
	s_waitcnt lgkmcnt(0)
	v_fma_f64 v[4:5], v[4:5], v[20:21], v[26:27]
	v_fma_f64 v[26:27], v[6:7], v[22:23], v[4:5]
	ds_read2_b64 v[4:7], v19 offset0:128 offset1:160
	ds_read_b128 v[20:23], v11 offset:224
	s_waitcnt lgkmcnt(0)
	v_fma_f64 v[4:5], v[20:21], v[4:5], v[26:27]
	v_fma_f64 v[26:27], v[22:23], v[6:7], v[4:5]
	ds_read_b128 v[4:7], v11 offset:240
	ds_read2_b64 v[20:23], v19 offset0:192 offset1:224
	s_waitcnt lgkmcnt(0)
	v_fma_f64 v[4:5], v[4:5], v[20:21], v[26:27]
	v_fma_f64 v[4:5], v[6:7], v[22:23], v[4:5]
	s_waitcnt vmcnt(0)
	v_fma_f64 v[4:5], s[12:13], v[4:5], v[24:25]
	global_store_dwordx2 v[2:3], v[4:5], off
	s_branch .LBB78_4
.LBB78_11:
	s_endpgm
	.section	.rodata,"a",@progbits
	.p2align	6, 0x0
	.amdhsa_kernel _ZL26rocblas_syr2k_her2k_kernelIiLb0ELb0ELb1ELi32EdPKdPdEvbiT_T4_T5_S3_lS5_S3_lT6_S3_li
		.amdhsa_group_segment_fixed_size 16384
		.amdhsa_private_segment_fixed_size 0
		.amdhsa_kernarg_size 100
		.amdhsa_user_sgpr_count 6
		.amdhsa_user_sgpr_private_segment_buffer 1
		.amdhsa_user_sgpr_dispatch_ptr 0
		.amdhsa_user_sgpr_queue_ptr 0
		.amdhsa_user_sgpr_kernarg_segment_ptr 1
		.amdhsa_user_sgpr_dispatch_id 0
		.amdhsa_user_sgpr_flat_scratch_init 0
		.amdhsa_user_sgpr_private_segment_size 0
		.amdhsa_uses_dynamic_stack 0
		.amdhsa_system_sgpr_private_segment_wavefront_offset 0
		.amdhsa_system_sgpr_workgroup_id_x 1
		.amdhsa_system_sgpr_workgroup_id_y 1
		.amdhsa_system_sgpr_workgroup_id_z 1
		.amdhsa_system_sgpr_workgroup_info 0
		.amdhsa_system_vgpr_workitem_id 1
		.amdhsa_next_free_vgpr 29
		.amdhsa_next_free_sgpr 61
		.amdhsa_reserve_vcc 1
		.amdhsa_reserve_flat_scratch 0
		.amdhsa_float_round_mode_32 0
		.amdhsa_float_round_mode_16_64 0
		.amdhsa_float_denorm_mode_32 3
		.amdhsa_float_denorm_mode_16_64 3
		.amdhsa_dx10_clamp 1
		.amdhsa_ieee_mode 1
		.amdhsa_fp16_overflow 0
		.amdhsa_exception_fp_ieee_invalid_op 0
		.amdhsa_exception_fp_denorm_src 0
		.amdhsa_exception_fp_ieee_div_zero 0
		.amdhsa_exception_fp_ieee_overflow 0
		.amdhsa_exception_fp_ieee_underflow 0
		.amdhsa_exception_fp_ieee_inexact 0
		.amdhsa_exception_int_div_zero 0
	.end_amdhsa_kernel
	.section	.text._ZL26rocblas_syr2k_her2k_kernelIiLb0ELb0ELb1ELi32EdPKdPdEvbiT_T4_T5_S3_lS5_S3_lT6_S3_li,"axG",@progbits,_ZL26rocblas_syr2k_her2k_kernelIiLb0ELb0ELb1ELi32EdPKdPdEvbiT_T4_T5_S3_lS5_S3_lT6_S3_li,comdat
.Lfunc_end78:
	.size	_ZL26rocblas_syr2k_her2k_kernelIiLb0ELb0ELb1ELi32EdPKdPdEvbiT_T4_T5_S3_lS5_S3_lT6_S3_li, .Lfunc_end78-_ZL26rocblas_syr2k_her2k_kernelIiLb0ELb0ELb1ELi32EdPKdPdEvbiT_T4_T5_S3_lS5_S3_lT6_S3_li
                                        ; -- End function
	.set _ZL26rocblas_syr2k_her2k_kernelIiLb0ELb0ELb1ELi32EdPKdPdEvbiT_T4_T5_S3_lS5_S3_lT6_S3_li.num_vgpr, 28
	.set _ZL26rocblas_syr2k_her2k_kernelIiLb0ELb0ELb1ELi32EdPKdPdEvbiT_T4_T5_S3_lS5_S3_lT6_S3_li.num_agpr, 0
	.set _ZL26rocblas_syr2k_her2k_kernelIiLb0ELb0ELb1ELi32EdPKdPdEvbiT_T4_T5_S3_lS5_S3_lT6_S3_li.numbered_sgpr, 28
	.set _ZL26rocblas_syr2k_her2k_kernelIiLb0ELb0ELb1ELi32EdPKdPdEvbiT_T4_T5_S3_lS5_S3_lT6_S3_li.num_named_barrier, 0
	.set _ZL26rocblas_syr2k_her2k_kernelIiLb0ELb0ELb1ELi32EdPKdPdEvbiT_T4_T5_S3_lS5_S3_lT6_S3_li.private_seg_size, 0
	.set _ZL26rocblas_syr2k_her2k_kernelIiLb0ELb0ELb1ELi32EdPKdPdEvbiT_T4_T5_S3_lS5_S3_lT6_S3_li.uses_vcc, 1
	.set _ZL26rocblas_syr2k_her2k_kernelIiLb0ELb0ELb1ELi32EdPKdPdEvbiT_T4_T5_S3_lS5_S3_lT6_S3_li.uses_flat_scratch, 0
	.set _ZL26rocblas_syr2k_her2k_kernelIiLb0ELb0ELb1ELi32EdPKdPdEvbiT_T4_T5_S3_lS5_S3_lT6_S3_li.has_dyn_sized_stack, 0
	.set _ZL26rocblas_syr2k_her2k_kernelIiLb0ELb0ELb1ELi32EdPKdPdEvbiT_T4_T5_S3_lS5_S3_lT6_S3_li.has_recursion, 0
	.set _ZL26rocblas_syr2k_her2k_kernelIiLb0ELb0ELb1ELi32EdPKdPdEvbiT_T4_T5_S3_lS5_S3_lT6_S3_li.has_indirect_call, 0
	.section	.AMDGPU.csdata,"",@progbits
; Kernel info:
; codeLenInByte = 1280
; TotalNumSgprs: 32
; NumVgprs: 28
; ScratchSize: 0
; MemoryBound: 0
; FloatMode: 240
; IeeeMode: 1
; LDSByteSize: 16384 bytes/workgroup (compile time only)
; SGPRBlocks: 8
; VGPRBlocks: 7
; NumSGPRsForWavesPerEU: 65
; NumVGPRsForWavesPerEU: 29
; Occupancy: 8
; WaveLimiterHint : 0
; COMPUTE_PGM_RSRC2:SCRATCH_EN: 0
; COMPUTE_PGM_RSRC2:USER_SGPR: 6
; COMPUTE_PGM_RSRC2:TRAP_HANDLER: 0
; COMPUTE_PGM_RSRC2:TGID_X_EN: 1
; COMPUTE_PGM_RSRC2:TGID_Y_EN: 1
; COMPUTE_PGM_RSRC2:TGID_Z_EN: 1
; COMPUTE_PGM_RSRC2:TIDIG_COMP_CNT: 1
	.section	.text._ZL37rocblas_syrkx_herkx_restricted_kernelIidLi16ELi32ELi8ELi1ELi1ELb0ELc84ELc76EKddEviT_PT9_S1_lS3_S1_lPT10_S1_li,"axG",@progbits,_ZL37rocblas_syrkx_herkx_restricted_kernelIidLi16ELi32ELi8ELi1ELi1ELb0ELc84ELc76EKddEviT_PT9_S1_lS3_S1_lPT10_S1_li,comdat
	.globl	_ZL37rocblas_syrkx_herkx_restricted_kernelIidLi16ELi32ELi8ELi1ELi1ELb0ELc84ELc76EKddEviT_PT9_S1_lS3_S1_lPT10_S1_li ; -- Begin function _ZL37rocblas_syrkx_herkx_restricted_kernelIidLi16ELi32ELi8ELi1ELi1ELb0ELc84ELc76EKddEviT_PT9_S1_lS3_S1_lPT10_S1_li
	.p2align	8
	.type	_ZL37rocblas_syrkx_herkx_restricted_kernelIidLi16ELi32ELi8ELi1ELi1ELb0ELc84ELc76EKddEviT_PT9_S1_lS3_S1_lPT10_S1_li,@function
_ZL37rocblas_syrkx_herkx_restricted_kernelIidLi16ELi32ELi8ELi1ELi1ELb0ELc84ELc76EKddEviT_PT9_S1_lS3_S1_lPT10_S1_li: ; @_ZL37rocblas_syrkx_herkx_restricted_kernelIidLi16ELi32ELi8ELi1ELi1ELb0ELc84ELc76EKddEviT_PT9_S1_lS3_S1_lPT10_S1_li
; %bb.0:
	s_load_dwordx2 s[10:11], s[4:5], 0x0
	s_load_dwordx4 s[0:3], s[4:5], 0x30
	s_lshl_b32 s6, s6, 5
	s_lshl_b32 s7, s7, 5
	s_mov_b32 s9, 0
	s_waitcnt lgkmcnt(0)
	s_cmp_lt_i32 s11, 1
	s_cbranch_scc1 .LBB79_3
; %bb.1:
	s_load_dwordx2 s[16:17], s[4:5], 0x8
	s_load_dword s20, s[4:5], 0x10
	s_load_dwordx4 s[12:15], s[4:5], 0x18
	s_load_dword s18, s[4:5], 0x28
	v_lshl_add_u32 v6, v1, 4, v0
	v_lshrrev_b32_e32 v8, 3, v6
	v_add_u32_e32 v4, s7, v8
	v_and_b32_e32 v2, 7, v0
	v_mov_b32_e32 v3, 0
	s_waitcnt lgkmcnt(0)
	v_mad_i64_i32 v[4:5], s[18:19], s18, v4, v[2:3]
	v_lshlrev_b32_e32 v2, 3, v2
	v_and_b32_e32 v9, 31, v6
	v_lshl_or_b32 v2, v8, 6, v2
	v_lshrrev_b32_e32 v6, 5, v6
	v_mov_b32_e32 v7, v3
	v_lshlrev_b32_e32 v3, 3, v9
	v_add_u32_e32 v15, 0x800, v2
	v_add_u32_e32 v2, s6, v9
	v_lshl_or_b32 v14, v6, 8, v3
	v_mad_i64_i32 v[2:3], s[18:19], s20, v2, v[6:7]
	s_mul_i32 s13, s13, s8
	s_mul_hi_u32 s21, s12, s8
	s_add_i32 s13, s21, s13
	s_mul_i32 s12, s12, s8
	s_lshl_b64 s[12:13], s[12:13], 3
	v_lshlrev_b64 v[2:3], 3, v[2:3]
	s_add_u32 s12, s16, s12
	v_add_co_u32_e32 v2, vcc, s12, v2
	s_mul_i32 s1, s1, s8
	s_mul_hi_u32 s12, s0, s8
	s_addc_u32 s13, s17, s13
	s_add_i32 s1, s12, s1
	s_mul_i32 s0, s0, s8
	s_lshl_b64 s[0:1], s[0:1], 3
	v_mov_b32_e32 v6, s13
	v_lshlrev_b64 v[4:5], 3, v[4:5]
	s_add_u32 s0, s14, s0
	v_addc_co_u32_e32 v3, vcc, v6, v3, vcc
	s_addc_u32 s1, s15, s1
	v_mov_b32_e32 v6, s1
	v_add_co_u32_e32 v4, vcc, s0, v4
	v_mov_b32_e32 v17, 0x800
	v_addc_co_u32_e32 v5, vcc, v6, v5, vcc
	v_mov_b32_e32 v6, 0
	v_mov_b32_e32 v8, 0
	;; [unrolled: 1-line block ×4, first 2 shown]
	v_lshlrev_b32_e32 v16, 3, v0
	v_mov_b32_e32 v7, 0
	v_mov_b32_e32 v9, 0
	;; [unrolled: 1-line block ×4, first 2 shown]
	v_lshl_add_u32 v17, v1, 6, v17
.LBB79_2:                               ; =>This Inner Loop Header: Depth=1
	global_load_dwordx2 v[18:19], v[2:3], off
	global_load_dwordx2 v[20:21], v[4:5], off
	s_add_i32 s9, s9, 8
	v_add_co_u32_e32 v2, vcc, 64, v2
	v_add_co_u32_e64 v4, s[0:1], 64, v4
	v_addc_co_u32_e32 v3, vcc, 0, v3, vcc
	v_addc_co_u32_e64 v5, vcc, 0, v5, s[0:1]
	s_cmp_ge_i32 s9, s11
	s_waitcnt vmcnt(1)
	ds_write_b64 v14, v[18:19]
	s_waitcnt vmcnt(0)
	ds_write_b64 v15, v[20:21]
	s_waitcnt lgkmcnt(0)
	s_barrier
	ds_read2_b64 v[18:21], v16 offset1:16
	ds_read_b128 v[22:25], v17
	s_waitcnt lgkmcnt(0)
	v_fma_f64 v[26:27], v[18:19], v[22:23], v[12:13]
	v_fma_f64 v[22:23], v[20:21], v[22:23], v[10:11]
	ds_read_b128 v[10:13], v17 offset:1024
	s_waitcnt lgkmcnt(0)
	v_fma_f64 v[18:19], v[18:19], v[10:11], v[8:9]
	v_fma_f64 v[10:11], v[20:21], v[10:11], v[6:7]
	ds_read2_b64 v[6:9], v16 offset0:32 offset1:48
	s_waitcnt lgkmcnt(0)
	v_fma_f64 v[20:21], v[6:7], v[24:25], v[26:27]
	v_fma_f64 v[22:23], v[8:9], v[24:25], v[22:23]
	v_fma_f64 v[24:25], v[6:7], v[12:13], v[18:19]
	v_fma_f64 v[26:27], v[8:9], v[12:13], v[10:11]
	ds_read_b128 v[6:9], v17 offset:16
	ds_read2_b64 v[10:13], v16 offset0:64 offset1:80
	s_waitcnt lgkmcnt(0)
	v_fma_f64 v[28:29], v[10:11], v[6:7], v[20:21]
	ds_read_b128 v[18:21], v17 offset:1040
	v_fma_f64 v[6:7], v[12:13], v[6:7], v[22:23]
	s_waitcnt lgkmcnt(0)
	v_fma_f64 v[22:23], v[10:11], v[18:19], v[24:25]
	v_fma_f64 v[18:19], v[12:13], v[18:19], v[26:27]
	ds_read2_b64 v[10:13], v16 offset0:96 offset1:112
	s_waitcnt lgkmcnt(0)
	v_fma_f64 v[24:25], v[10:11], v[8:9], v[28:29]
	v_fma_f64 v[26:27], v[12:13], v[8:9], v[6:7]
	;; [unrolled: 1-line block ×4, first 2 shown]
	ds_read2_b64 v[6:9], v16 offset0:128 offset1:144
	ds_read_b128 v[10:13], v17 offset:32
	ds_read_b128 v[18:21], v17 offset:1056
	s_waitcnt lgkmcnt(1)
	v_fma_f64 v[24:25], v[6:7], v[10:11], v[24:25]
	v_fma_f64 v[10:11], v[8:9], v[10:11], v[26:27]
	s_waitcnt lgkmcnt(0)
	v_fma_f64 v[22:23], v[6:7], v[18:19], v[22:23]
	v_fma_f64 v[18:19], v[8:9], v[18:19], v[28:29]
	ds_read2_b64 v[6:9], v16 offset0:160 offset1:176
	s_waitcnt lgkmcnt(0)
	v_fma_f64 v[24:25], v[6:7], v[12:13], v[24:25]
	v_fma_f64 v[26:27], v[8:9], v[12:13], v[10:11]
	;; [unrolled: 1-line block ×4, first 2 shown]
	ds_read_b128 v[6:9], v17 offset:48
	ds_read2_b64 v[10:13], v16 offset0:192 offset1:208
	ds_read_b128 v[18:21], v17 offset:1072
	s_waitcnt lgkmcnt(1)
	v_fma_f64 v[30:31], v[10:11], v[6:7], v[24:25]
	v_fma_f64 v[6:7], v[12:13], v[6:7], v[26:27]
	s_waitcnt lgkmcnt(0)
	v_fma_f64 v[26:27], v[10:11], v[18:19], v[22:23]
	v_fma_f64 v[18:19], v[12:13], v[18:19], v[28:29]
	ds_read2_b64 v[22:25], v16 offset0:224 offset1:240
	s_waitcnt lgkmcnt(0)
	s_barrier
	v_fma_f64 v[12:13], v[22:23], v[8:9], v[30:31]
	v_fma_f64 v[10:11], v[24:25], v[8:9], v[6:7]
	v_fma_f64 v[8:9], v[22:23], v[20:21], v[26:27]
	v_fma_f64 v[6:7], v[24:25], v[20:21], v[18:19]
	s_cbranch_scc0 .LBB79_2
	s_branch .LBB79_4
.LBB79_3:
	v_mov_b32_e32 v12, 0
	v_mov_b32_e32 v10, 0
	;; [unrolled: 1-line block ×8, first 2 shown]
.LBB79_4:
	s_load_dwordx2 s[0:1], s[4:5], 0x48
	s_load_dword s9, s[4:5], 0x40
	v_add_u32_e32 v4, s7, v1
	v_add_u32_e32 v0, s6, v0
	s_waitcnt lgkmcnt(0)
	s_mul_i32 s1, s1, s8
	s_mul_hi_u32 s4, s0, s8
	s_add_i32 s1, s4, s1
	v_mad_i64_i32 v[1:2], s[4:5], v4, s9, 0
	s_mul_i32 s0, s0, s8
	s_lshl_b64 s[0:1], s[0:1], 3
	s_add_u32 s7, s2, s0
	v_lshlrev_b64 v[1:2], 3, v[1:2]
	s_addc_u32 s8, s3, s1
	v_mov_b32_e32 v3, s8
	v_add_co_u32_e32 v5, vcc, s7, v1
	v_addc_co_u32_e32 v14, vcc, v3, v2, vcc
	v_cmp_le_i32_e64 s[0:1], v4, v0
	v_cmp_gt_i32_e32 vcc, s10, v0
	s_and_b64 s[0:1], s[0:1], vcc
	s_and_saveexec_b64 s[2:3], s[0:1]
	s_cbranch_execz .LBB79_6
; %bb.5:
	v_ashrrev_i32_e32 v1, 31, v0
	v_lshlrev_b64 v[1:2], 3, v[0:1]
	v_add_co_u32_e64 v1, s[0:1], v5, v1
	v_addc_co_u32_e64 v2, s[0:1], v14, v2, s[0:1]
	global_load_dwordx2 v[15:16], v[1:2], off
	s_waitcnt vmcnt(0)
	v_add_f64 v[12:13], v[12:13], v[15:16]
	global_store_dwordx2 v[1:2], v[12:13], off
.LBB79_6:
	s_or_b64 exec, exec, s[2:3]
	v_add_u32_e32 v2, 16, v0
	v_cmp_le_i32_e64 s[2:3], v4, v2
	v_cmp_gt_i32_e64 s[0:1], s10, v2
	s_and_b64 s[2:3], s[2:3], s[0:1]
	s_and_saveexec_b64 s[4:5], s[2:3]
	s_cbranch_execz .LBB79_8
; %bb.7:
	v_ashrrev_i32_e32 v3, 31, v2
	v_lshlrev_b64 v[12:13], 3, v[2:3]
	v_add_co_u32_e64 v12, s[2:3], v5, v12
	v_addc_co_u32_e64 v13, s[2:3], v14, v13, s[2:3]
	global_load_dwordx2 v[14:15], v[12:13], off
	s_waitcnt vmcnt(0)
	v_add_f64 v[10:11], v[10:11], v[14:15]
	global_store_dwordx2 v[12:13], v[10:11], off
.LBB79_8:
	s_or_b64 exec, exec, s[4:5]
	v_add_u32_e32 v3, 16, v4
	v_mad_i64_i32 v[4:5], s[2:3], v3, s9, 0
	v_mov_b32_e32 v1, s8
	v_lshlrev_b64 v[4:5], 3, v[4:5]
	v_add_co_u32_e64 v4, s[2:3], s7, v4
	v_addc_co_u32_e64 v5, s[2:3], v1, v5, s[2:3]
	v_cmp_le_i32_e64 s[2:3], v3, v0
	s_and_b64 s[4:5], s[2:3], vcc
	s_and_saveexec_b64 s[2:3], s[4:5]
	s_cbranch_execz .LBB79_10
; %bb.9:
	v_ashrrev_i32_e32 v1, 31, v0
	v_lshlrev_b64 v[0:1], 3, v[0:1]
	v_add_co_u32_e32 v0, vcc, v4, v0
	v_addc_co_u32_e32 v1, vcc, v5, v1, vcc
	global_load_dwordx2 v[10:11], v[0:1], off
	s_waitcnt vmcnt(0)
	v_add_f64 v[8:9], v[8:9], v[10:11]
	global_store_dwordx2 v[0:1], v[8:9], off
.LBB79_10:
	s_or_b64 exec, exec, s[2:3]
	v_cmp_le_i32_e32 vcc, v3, v2
	s_and_b64 s[0:1], vcc, s[0:1]
	s_and_saveexec_b64 s[2:3], s[0:1]
	s_cbranch_execz .LBB79_12
; %bb.11:
	v_ashrrev_i32_e32 v3, 31, v2
	v_lshlrev_b64 v[0:1], 3, v[2:3]
	v_add_co_u32_e32 v0, vcc, v4, v0
	v_addc_co_u32_e32 v1, vcc, v5, v1, vcc
	global_load_dwordx2 v[2:3], v[0:1], off
	s_waitcnt vmcnt(0)
	v_add_f64 v[2:3], v[6:7], v[2:3]
	global_store_dwordx2 v[0:1], v[2:3], off
.LBB79_12:
	s_endpgm
	.section	.rodata,"a",@progbits
	.p2align	6, 0x0
	.amdhsa_kernel _ZL37rocblas_syrkx_herkx_restricted_kernelIidLi16ELi32ELi8ELi1ELi1ELb0ELc84ELc76EKddEviT_PT9_S1_lS3_S1_lPT10_S1_li
		.amdhsa_group_segment_fixed_size 4096
		.amdhsa_private_segment_fixed_size 0
		.amdhsa_kernarg_size 84
		.amdhsa_user_sgpr_count 6
		.amdhsa_user_sgpr_private_segment_buffer 1
		.amdhsa_user_sgpr_dispatch_ptr 0
		.amdhsa_user_sgpr_queue_ptr 0
		.amdhsa_user_sgpr_kernarg_segment_ptr 1
		.amdhsa_user_sgpr_dispatch_id 0
		.amdhsa_user_sgpr_flat_scratch_init 0
		.amdhsa_user_sgpr_private_segment_size 0
		.amdhsa_uses_dynamic_stack 0
		.amdhsa_system_sgpr_private_segment_wavefront_offset 0
		.amdhsa_system_sgpr_workgroup_id_x 1
		.amdhsa_system_sgpr_workgroup_id_y 1
		.amdhsa_system_sgpr_workgroup_id_z 1
		.amdhsa_system_sgpr_workgroup_info 0
		.amdhsa_system_vgpr_workitem_id 1
		.amdhsa_next_free_vgpr 32
		.amdhsa_next_free_sgpr 22
		.amdhsa_reserve_vcc 1
		.amdhsa_reserve_flat_scratch 0
		.amdhsa_float_round_mode_32 0
		.amdhsa_float_round_mode_16_64 0
		.amdhsa_float_denorm_mode_32 3
		.amdhsa_float_denorm_mode_16_64 3
		.amdhsa_dx10_clamp 1
		.amdhsa_ieee_mode 1
		.amdhsa_fp16_overflow 0
		.amdhsa_exception_fp_ieee_invalid_op 0
		.amdhsa_exception_fp_denorm_src 0
		.amdhsa_exception_fp_ieee_div_zero 0
		.amdhsa_exception_fp_ieee_overflow 0
		.amdhsa_exception_fp_ieee_underflow 0
		.amdhsa_exception_fp_ieee_inexact 0
		.amdhsa_exception_int_div_zero 0
	.end_amdhsa_kernel
	.section	.text._ZL37rocblas_syrkx_herkx_restricted_kernelIidLi16ELi32ELi8ELi1ELi1ELb0ELc84ELc76EKddEviT_PT9_S1_lS3_S1_lPT10_S1_li,"axG",@progbits,_ZL37rocblas_syrkx_herkx_restricted_kernelIidLi16ELi32ELi8ELi1ELi1ELb0ELc84ELc76EKddEviT_PT9_S1_lS3_S1_lPT10_S1_li,comdat
.Lfunc_end79:
	.size	_ZL37rocblas_syrkx_herkx_restricted_kernelIidLi16ELi32ELi8ELi1ELi1ELb0ELc84ELc76EKddEviT_PT9_S1_lS3_S1_lPT10_S1_li, .Lfunc_end79-_ZL37rocblas_syrkx_herkx_restricted_kernelIidLi16ELi32ELi8ELi1ELi1ELb0ELc84ELc76EKddEviT_PT9_S1_lS3_S1_lPT10_S1_li
                                        ; -- End function
	.set _ZL37rocblas_syrkx_herkx_restricted_kernelIidLi16ELi32ELi8ELi1ELi1ELb0ELc84ELc76EKddEviT_PT9_S1_lS3_S1_lPT10_S1_li.num_vgpr, 32
	.set _ZL37rocblas_syrkx_herkx_restricted_kernelIidLi16ELi32ELi8ELi1ELi1ELb0ELc84ELc76EKddEviT_PT9_S1_lS3_S1_lPT10_S1_li.num_agpr, 0
	.set _ZL37rocblas_syrkx_herkx_restricted_kernelIidLi16ELi32ELi8ELi1ELi1ELb0ELc84ELc76EKddEviT_PT9_S1_lS3_S1_lPT10_S1_li.numbered_sgpr, 22
	.set _ZL37rocblas_syrkx_herkx_restricted_kernelIidLi16ELi32ELi8ELi1ELi1ELb0ELc84ELc76EKddEviT_PT9_S1_lS3_S1_lPT10_S1_li.num_named_barrier, 0
	.set _ZL37rocblas_syrkx_herkx_restricted_kernelIidLi16ELi32ELi8ELi1ELi1ELb0ELc84ELc76EKddEviT_PT9_S1_lS3_S1_lPT10_S1_li.private_seg_size, 0
	.set _ZL37rocblas_syrkx_herkx_restricted_kernelIidLi16ELi32ELi8ELi1ELi1ELb0ELc84ELc76EKddEviT_PT9_S1_lS3_S1_lPT10_S1_li.uses_vcc, 1
	.set _ZL37rocblas_syrkx_herkx_restricted_kernelIidLi16ELi32ELi8ELi1ELi1ELb0ELc84ELc76EKddEviT_PT9_S1_lS3_S1_lPT10_S1_li.uses_flat_scratch, 0
	.set _ZL37rocblas_syrkx_herkx_restricted_kernelIidLi16ELi32ELi8ELi1ELi1ELb0ELc84ELc76EKddEviT_PT9_S1_lS3_S1_lPT10_S1_li.has_dyn_sized_stack, 0
	.set _ZL37rocblas_syrkx_herkx_restricted_kernelIidLi16ELi32ELi8ELi1ELi1ELb0ELc84ELc76EKddEviT_PT9_S1_lS3_S1_lPT10_S1_li.has_recursion, 0
	.set _ZL37rocblas_syrkx_herkx_restricted_kernelIidLi16ELi32ELi8ELi1ELi1ELb0ELc84ELc76EKddEviT_PT9_S1_lS3_S1_lPT10_S1_li.has_indirect_call, 0
	.section	.AMDGPU.csdata,"",@progbits
; Kernel info:
; codeLenInByte = 1308
; TotalNumSgprs: 26
; NumVgprs: 32
; ScratchSize: 0
; MemoryBound: 0
; FloatMode: 240
; IeeeMode: 1
; LDSByteSize: 4096 bytes/workgroup (compile time only)
; SGPRBlocks: 3
; VGPRBlocks: 7
; NumSGPRsForWavesPerEU: 26
; NumVGPRsForWavesPerEU: 32
; Occupancy: 8
; WaveLimiterHint : 0
; COMPUTE_PGM_RSRC2:SCRATCH_EN: 0
; COMPUTE_PGM_RSRC2:USER_SGPR: 6
; COMPUTE_PGM_RSRC2:TRAP_HANDLER: 0
; COMPUTE_PGM_RSRC2:TGID_X_EN: 1
; COMPUTE_PGM_RSRC2:TGID_Y_EN: 1
; COMPUTE_PGM_RSRC2:TGID_Z_EN: 1
; COMPUTE_PGM_RSRC2:TIDIG_COMP_CNT: 1
	.section	.text._ZL37rocblas_syrkx_herkx_restricted_kernelIidLi16ELi32ELi8ELi1ELi1ELb0ELc67ELc76EKddEviT_PT9_S1_lS3_S1_lPT10_S1_li,"axG",@progbits,_ZL37rocblas_syrkx_herkx_restricted_kernelIidLi16ELi32ELi8ELi1ELi1ELb0ELc67ELc76EKddEviT_PT9_S1_lS3_S1_lPT10_S1_li,comdat
	.globl	_ZL37rocblas_syrkx_herkx_restricted_kernelIidLi16ELi32ELi8ELi1ELi1ELb0ELc67ELc76EKddEviT_PT9_S1_lS3_S1_lPT10_S1_li ; -- Begin function _ZL37rocblas_syrkx_herkx_restricted_kernelIidLi16ELi32ELi8ELi1ELi1ELb0ELc67ELc76EKddEviT_PT9_S1_lS3_S1_lPT10_S1_li
	.p2align	8
	.type	_ZL37rocblas_syrkx_herkx_restricted_kernelIidLi16ELi32ELi8ELi1ELi1ELb0ELc67ELc76EKddEviT_PT9_S1_lS3_S1_lPT10_S1_li,@function
_ZL37rocblas_syrkx_herkx_restricted_kernelIidLi16ELi32ELi8ELi1ELi1ELb0ELc67ELc76EKddEviT_PT9_S1_lS3_S1_lPT10_S1_li: ; @_ZL37rocblas_syrkx_herkx_restricted_kernelIidLi16ELi32ELi8ELi1ELi1ELb0ELc67ELc76EKddEviT_PT9_S1_lS3_S1_lPT10_S1_li
; %bb.0:
	s_load_dwordx2 s[10:11], s[4:5], 0x0
	s_load_dwordx4 s[0:3], s[4:5], 0x30
	s_lshl_b32 s6, s6, 5
	s_lshl_b32 s7, s7, 5
	s_mov_b32 s9, 0
	s_waitcnt lgkmcnt(0)
	s_cmp_lt_i32 s11, 1
	s_cbranch_scc1 .LBB80_3
; %bb.1:
	s_load_dwordx2 s[16:17], s[4:5], 0x8
	s_load_dword s20, s[4:5], 0x10
	s_load_dwordx4 s[12:15], s[4:5], 0x18
	s_load_dword s18, s[4:5], 0x28
	v_lshl_add_u32 v6, v1, 4, v0
	v_lshrrev_b32_e32 v8, 3, v6
	v_add_u32_e32 v4, s7, v8
	v_and_b32_e32 v2, 7, v0
	v_mov_b32_e32 v3, 0
	s_waitcnt lgkmcnt(0)
	v_mad_i64_i32 v[4:5], s[18:19], s18, v4, v[2:3]
	v_lshlrev_b32_e32 v2, 3, v2
	v_and_b32_e32 v9, 31, v6
	v_lshl_or_b32 v2, v8, 6, v2
	v_lshrrev_b32_e32 v6, 5, v6
	v_mov_b32_e32 v7, v3
	v_lshlrev_b32_e32 v3, 3, v9
	v_add_u32_e32 v15, 0x800, v2
	v_add_u32_e32 v2, s6, v9
	v_lshl_or_b32 v14, v6, 8, v3
	v_mad_i64_i32 v[2:3], s[18:19], s20, v2, v[6:7]
	s_mul_i32 s13, s13, s8
	s_mul_hi_u32 s21, s12, s8
	s_add_i32 s13, s21, s13
	s_mul_i32 s12, s12, s8
	s_lshl_b64 s[12:13], s[12:13], 3
	v_lshlrev_b64 v[2:3], 3, v[2:3]
	s_add_u32 s12, s16, s12
	v_add_co_u32_e32 v2, vcc, s12, v2
	s_mul_i32 s1, s1, s8
	s_mul_hi_u32 s12, s0, s8
	s_addc_u32 s13, s17, s13
	s_add_i32 s1, s12, s1
	s_mul_i32 s0, s0, s8
	s_lshl_b64 s[0:1], s[0:1], 3
	v_mov_b32_e32 v6, s13
	v_lshlrev_b64 v[4:5], 3, v[4:5]
	s_add_u32 s0, s14, s0
	v_addc_co_u32_e32 v3, vcc, v6, v3, vcc
	s_addc_u32 s1, s15, s1
	v_mov_b32_e32 v6, s1
	v_add_co_u32_e32 v4, vcc, s0, v4
	v_mov_b32_e32 v17, 0x800
	v_addc_co_u32_e32 v5, vcc, v6, v5, vcc
	v_mov_b32_e32 v6, 0
	v_mov_b32_e32 v8, 0
	;; [unrolled: 1-line block ×4, first 2 shown]
	v_lshlrev_b32_e32 v16, 3, v0
	v_mov_b32_e32 v7, 0
	v_mov_b32_e32 v9, 0
	;; [unrolled: 1-line block ×4, first 2 shown]
	v_lshl_add_u32 v17, v1, 6, v17
.LBB80_2:                               ; =>This Inner Loop Header: Depth=1
	global_load_dwordx2 v[18:19], v[2:3], off
	global_load_dwordx2 v[20:21], v[4:5], off
	s_add_i32 s9, s9, 8
	v_add_co_u32_e32 v2, vcc, 64, v2
	v_add_co_u32_e64 v4, s[0:1], 64, v4
	v_addc_co_u32_e32 v3, vcc, 0, v3, vcc
	v_addc_co_u32_e64 v5, vcc, 0, v5, s[0:1]
	s_cmp_ge_i32 s9, s11
	s_waitcnt vmcnt(1)
	ds_write_b64 v14, v[18:19]
	s_waitcnt vmcnt(0)
	ds_write_b64 v15, v[20:21]
	s_waitcnt lgkmcnt(0)
	s_barrier
	ds_read2_b64 v[18:21], v16 offset1:16
	ds_read_b128 v[22:25], v17
	s_waitcnt lgkmcnt(0)
	v_fma_f64 v[26:27], v[18:19], v[22:23], v[12:13]
	v_fma_f64 v[22:23], v[20:21], v[22:23], v[10:11]
	ds_read_b128 v[10:13], v17 offset:1024
	s_waitcnt lgkmcnt(0)
	v_fma_f64 v[18:19], v[18:19], v[10:11], v[8:9]
	v_fma_f64 v[10:11], v[20:21], v[10:11], v[6:7]
	ds_read2_b64 v[6:9], v16 offset0:32 offset1:48
	s_waitcnt lgkmcnt(0)
	v_fma_f64 v[20:21], v[6:7], v[24:25], v[26:27]
	v_fma_f64 v[22:23], v[8:9], v[24:25], v[22:23]
	;; [unrolled: 1-line block ×4, first 2 shown]
	ds_read_b128 v[6:9], v17 offset:16
	ds_read2_b64 v[10:13], v16 offset0:64 offset1:80
	s_waitcnt lgkmcnt(0)
	v_fma_f64 v[28:29], v[10:11], v[6:7], v[20:21]
	ds_read_b128 v[18:21], v17 offset:1040
	v_fma_f64 v[6:7], v[12:13], v[6:7], v[22:23]
	s_waitcnt lgkmcnt(0)
	v_fma_f64 v[22:23], v[10:11], v[18:19], v[24:25]
	v_fma_f64 v[18:19], v[12:13], v[18:19], v[26:27]
	ds_read2_b64 v[10:13], v16 offset0:96 offset1:112
	s_waitcnt lgkmcnt(0)
	v_fma_f64 v[24:25], v[10:11], v[8:9], v[28:29]
	v_fma_f64 v[26:27], v[12:13], v[8:9], v[6:7]
	;; [unrolled: 1-line block ×4, first 2 shown]
	ds_read2_b64 v[6:9], v16 offset0:128 offset1:144
	ds_read_b128 v[10:13], v17 offset:32
	ds_read_b128 v[18:21], v17 offset:1056
	s_waitcnt lgkmcnt(1)
	v_fma_f64 v[24:25], v[6:7], v[10:11], v[24:25]
	v_fma_f64 v[10:11], v[8:9], v[10:11], v[26:27]
	s_waitcnt lgkmcnt(0)
	v_fma_f64 v[22:23], v[6:7], v[18:19], v[22:23]
	v_fma_f64 v[18:19], v[8:9], v[18:19], v[28:29]
	ds_read2_b64 v[6:9], v16 offset0:160 offset1:176
	s_waitcnt lgkmcnt(0)
	v_fma_f64 v[24:25], v[6:7], v[12:13], v[24:25]
	v_fma_f64 v[26:27], v[8:9], v[12:13], v[10:11]
	;; [unrolled: 1-line block ×4, first 2 shown]
	ds_read_b128 v[6:9], v17 offset:48
	ds_read2_b64 v[10:13], v16 offset0:192 offset1:208
	ds_read_b128 v[18:21], v17 offset:1072
	s_waitcnt lgkmcnt(1)
	v_fma_f64 v[30:31], v[10:11], v[6:7], v[24:25]
	v_fma_f64 v[6:7], v[12:13], v[6:7], v[26:27]
	s_waitcnt lgkmcnt(0)
	v_fma_f64 v[26:27], v[10:11], v[18:19], v[22:23]
	v_fma_f64 v[18:19], v[12:13], v[18:19], v[28:29]
	ds_read2_b64 v[22:25], v16 offset0:224 offset1:240
	s_waitcnt lgkmcnt(0)
	s_barrier
	v_fma_f64 v[12:13], v[22:23], v[8:9], v[30:31]
	v_fma_f64 v[10:11], v[24:25], v[8:9], v[6:7]
	;; [unrolled: 1-line block ×4, first 2 shown]
	s_cbranch_scc0 .LBB80_2
	s_branch .LBB80_4
.LBB80_3:
	v_mov_b32_e32 v12, 0
	v_mov_b32_e32 v10, 0
	;; [unrolled: 1-line block ×8, first 2 shown]
.LBB80_4:
	s_load_dwordx2 s[0:1], s[4:5], 0x48
	s_load_dword s9, s[4:5], 0x40
	v_add_u32_e32 v4, s7, v1
	v_add_u32_e32 v0, s6, v0
	s_waitcnt lgkmcnt(0)
	s_mul_i32 s1, s1, s8
	s_mul_hi_u32 s4, s0, s8
	s_add_i32 s1, s4, s1
	v_mad_i64_i32 v[1:2], s[4:5], v4, s9, 0
	s_mul_i32 s0, s0, s8
	s_lshl_b64 s[0:1], s[0:1], 3
	s_add_u32 s7, s2, s0
	v_lshlrev_b64 v[1:2], 3, v[1:2]
	s_addc_u32 s8, s3, s1
	v_mov_b32_e32 v3, s8
	v_add_co_u32_e32 v5, vcc, s7, v1
	v_addc_co_u32_e32 v14, vcc, v3, v2, vcc
	v_cmp_le_i32_e64 s[0:1], v4, v0
	v_cmp_gt_i32_e32 vcc, s10, v0
	s_and_b64 s[0:1], s[0:1], vcc
	s_and_saveexec_b64 s[2:3], s[0:1]
	s_cbranch_execz .LBB80_6
; %bb.5:
	v_ashrrev_i32_e32 v1, 31, v0
	v_lshlrev_b64 v[1:2], 3, v[0:1]
	v_add_co_u32_e64 v1, s[0:1], v5, v1
	v_addc_co_u32_e64 v2, s[0:1], v14, v2, s[0:1]
	global_load_dwordx2 v[15:16], v[1:2], off
	s_waitcnt vmcnt(0)
	v_add_f64 v[12:13], v[12:13], v[15:16]
	global_store_dwordx2 v[1:2], v[12:13], off
.LBB80_6:
	s_or_b64 exec, exec, s[2:3]
	v_add_u32_e32 v2, 16, v0
	v_cmp_le_i32_e64 s[2:3], v4, v2
	v_cmp_gt_i32_e64 s[0:1], s10, v2
	s_and_b64 s[2:3], s[2:3], s[0:1]
	s_and_saveexec_b64 s[4:5], s[2:3]
	s_cbranch_execz .LBB80_8
; %bb.7:
	v_ashrrev_i32_e32 v3, 31, v2
	v_lshlrev_b64 v[12:13], 3, v[2:3]
	v_add_co_u32_e64 v12, s[2:3], v5, v12
	v_addc_co_u32_e64 v13, s[2:3], v14, v13, s[2:3]
	global_load_dwordx2 v[14:15], v[12:13], off
	s_waitcnt vmcnt(0)
	v_add_f64 v[10:11], v[10:11], v[14:15]
	global_store_dwordx2 v[12:13], v[10:11], off
.LBB80_8:
	s_or_b64 exec, exec, s[4:5]
	v_add_u32_e32 v3, 16, v4
	v_mad_i64_i32 v[4:5], s[2:3], v3, s9, 0
	v_mov_b32_e32 v1, s8
	v_lshlrev_b64 v[4:5], 3, v[4:5]
	v_add_co_u32_e64 v4, s[2:3], s7, v4
	v_addc_co_u32_e64 v5, s[2:3], v1, v5, s[2:3]
	v_cmp_le_i32_e64 s[2:3], v3, v0
	s_and_b64 s[4:5], s[2:3], vcc
	s_and_saveexec_b64 s[2:3], s[4:5]
	s_cbranch_execz .LBB80_10
; %bb.9:
	v_ashrrev_i32_e32 v1, 31, v0
	v_lshlrev_b64 v[0:1], 3, v[0:1]
	v_add_co_u32_e32 v0, vcc, v4, v0
	v_addc_co_u32_e32 v1, vcc, v5, v1, vcc
	global_load_dwordx2 v[10:11], v[0:1], off
	s_waitcnt vmcnt(0)
	v_add_f64 v[8:9], v[8:9], v[10:11]
	global_store_dwordx2 v[0:1], v[8:9], off
.LBB80_10:
	s_or_b64 exec, exec, s[2:3]
	v_cmp_le_i32_e32 vcc, v3, v2
	s_and_b64 s[0:1], vcc, s[0:1]
	s_and_saveexec_b64 s[2:3], s[0:1]
	s_cbranch_execz .LBB80_12
; %bb.11:
	v_ashrrev_i32_e32 v3, 31, v2
	v_lshlrev_b64 v[0:1], 3, v[2:3]
	v_add_co_u32_e32 v0, vcc, v4, v0
	v_addc_co_u32_e32 v1, vcc, v5, v1, vcc
	global_load_dwordx2 v[2:3], v[0:1], off
	s_waitcnt vmcnt(0)
	v_add_f64 v[2:3], v[6:7], v[2:3]
	global_store_dwordx2 v[0:1], v[2:3], off
.LBB80_12:
	s_endpgm
	.section	.rodata,"a",@progbits
	.p2align	6, 0x0
	.amdhsa_kernel _ZL37rocblas_syrkx_herkx_restricted_kernelIidLi16ELi32ELi8ELi1ELi1ELb0ELc67ELc76EKddEviT_PT9_S1_lS3_S1_lPT10_S1_li
		.amdhsa_group_segment_fixed_size 4096
		.amdhsa_private_segment_fixed_size 0
		.amdhsa_kernarg_size 84
		.amdhsa_user_sgpr_count 6
		.amdhsa_user_sgpr_private_segment_buffer 1
		.amdhsa_user_sgpr_dispatch_ptr 0
		.amdhsa_user_sgpr_queue_ptr 0
		.amdhsa_user_sgpr_kernarg_segment_ptr 1
		.amdhsa_user_sgpr_dispatch_id 0
		.amdhsa_user_sgpr_flat_scratch_init 0
		.amdhsa_user_sgpr_private_segment_size 0
		.amdhsa_uses_dynamic_stack 0
		.amdhsa_system_sgpr_private_segment_wavefront_offset 0
		.amdhsa_system_sgpr_workgroup_id_x 1
		.amdhsa_system_sgpr_workgroup_id_y 1
		.amdhsa_system_sgpr_workgroup_id_z 1
		.amdhsa_system_sgpr_workgroup_info 0
		.amdhsa_system_vgpr_workitem_id 1
		.amdhsa_next_free_vgpr 32
		.amdhsa_next_free_sgpr 22
		.amdhsa_reserve_vcc 1
		.amdhsa_reserve_flat_scratch 0
		.amdhsa_float_round_mode_32 0
		.amdhsa_float_round_mode_16_64 0
		.amdhsa_float_denorm_mode_32 3
		.amdhsa_float_denorm_mode_16_64 3
		.amdhsa_dx10_clamp 1
		.amdhsa_ieee_mode 1
		.amdhsa_fp16_overflow 0
		.amdhsa_exception_fp_ieee_invalid_op 0
		.amdhsa_exception_fp_denorm_src 0
		.amdhsa_exception_fp_ieee_div_zero 0
		.amdhsa_exception_fp_ieee_overflow 0
		.amdhsa_exception_fp_ieee_underflow 0
		.amdhsa_exception_fp_ieee_inexact 0
		.amdhsa_exception_int_div_zero 0
	.end_amdhsa_kernel
	.section	.text._ZL37rocblas_syrkx_herkx_restricted_kernelIidLi16ELi32ELi8ELi1ELi1ELb0ELc67ELc76EKddEviT_PT9_S1_lS3_S1_lPT10_S1_li,"axG",@progbits,_ZL37rocblas_syrkx_herkx_restricted_kernelIidLi16ELi32ELi8ELi1ELi1ELb0ELc67ELc76EKddEviT_PT9_S1_lS3_S1_lPT10_S1_li,comdat
.Lfunc_end80:
	.size	_ZL37rocblas_syrkx_herkx_restricted_kernelIidLi16ELi32ELi8ELi1ELi1ELb0ELc67ELc76EKddEviT_PT9_S1_lS3_S1_lPT10_S1_li, .Lfunc_end80-_ZL37rocblas_syrkx_herkx_restricted_kernelIidLi16ELi32ELi8ELi1ELi1ELb0ELc67ELc76EKddEviT_PT9_S1_lS3_S1_lPT10_S1_li
                                        ; -- End function
	.set _ZL37rocblas_syrkx_herkx_restricted_kernelIidLi16ELi32ELi8ELi1ELi1ELb0ELc67ELc76EKddEviT_PT9_S1_lS3_S1_lPT10_S1_li.num_vgpr, 32
	.set _ZL37rocblas_syrkx_herkx_restricted_kernelIidLi16ELi32ELi8ELi1ELi1ELb0ELc67ELc76EKddEviT_PT9_S1_lS3_S1_lPT10_S1_li.num_agpr, 0
	.set _ZL37rocblas_syrkx_herkx_restricted_kernelIidLi16ELi32ELi8ELi1ELi1ELb0ELc67ELc76EKddEviT_PT9_S1_lS3_S1_lPT10_S1_li.numbered_sgpr, 22
	.set _ZL37rocblas_syrkx_herkx_restricted_kernelIidLi16ELi32ELi8ELi1ELi1ELb0ELc67ELc76EKddEviT_PT9_S1_lS3_S1_lPT10_S1_li.num_named_barrier, 0
	.set _ZL37rocblas_syrkx_herkx_restricted_kernelIidLi16ELi32ELi8ELi1ELi1ELb0ELc67ELc76EKddEviT_PT9_S1_lS3_S1_lPT10_S1_li.private_seg_size, 0
	.set _ZL37rocblas_syrkx_herkx_restricted_kernelIidLi16ELi32ELi8ELi1ELi1ELb0ELc67ELc76EKddEviT_PT9_S1_lS3_S1_lPT10_S1_li.uses_vcc, 1
	.set _ZL37rocblas_syrkx_herkx_restricted_kernelIidLi16ELi32ELi8ELi1ELi1ELb0ELc67ELc76EKddEviT_PT9_S1_lS3_S1_lPT10_S1_li.uses_flat_scratch, 0
	.set _ZL37rocblas_syrkx_herkx_restricted_kernelIidLi16ELi32ELi8ELi1ELi1ELb0ELc67ELc76EKddEviT_PT9_S1_lS3_S1_lPT10_S1_li.has_dyn_sized_stack, 0
	.set _ZL37rocblas_syrkx_herkx_restricted_kernelIidLi16ELi32ELi8ELi1ELi1ELb0ELc67ELc76EKddEviT_PT9_S1_lS3_S1_lPT10_S1_li.has_recursion, 0
	.set _ZL37rocblas_syrkx_herkx_restricted_kernelIidLi16ELi32ELi8ELi1ELi1ELb0ELc67ELc76EKddEviT_PT9_S1_lS3_S1_lPT10_S1_li.has_indirect_call, 0
	.section	.AMDGPU.csdata,"",@progbits
; Kernel info:
; codeLenInByte = 1308
; TotalNumSgprs: 26
; NumVgprs: 32
; ScratchSize: 0
; MemoryBound: 0
; FloatMode: 240
; IeeeMode: 1
; LDSByteSize: 4096 bytes/workgroup (compile time only)
; SGPRBlocks: 3
; VGPRBlocks: 7
; NumSGPRsForWavesPerEU: 26
; NumVGPRsForWavesPerEU: 32
; Occupancy: 8
; WaveLimiterHint : 0
; COMPUTE_PGM_RSRC2:SCRATCH_EN: 0
; COMPUTE_PGM_RSRC2:USER_SGPR: 6
; COMPUTE_PGM_RSRC2:TRAP_HANDLER: 0
; COMPUTE_PGM_RSRC2:TGID_X_EN: 1
; COMPUTE_PGM_RSRC2:TGID_Y_EN: 1
; COMPUTE_PGM_RSRC2:TGID_Z_EN: 1
; COMPUTE_PGM_RSRC2:TIDIG_COMP_CNT: 1
	.section	.text._ZL37rocblas_syrkx_herkx_restricted_kernelIidLi16ELi32ELi8ELi1ELi1ELb0ELc78ELc76EKddEviT_PT9_S1_lS3_S1_lPT10_S1_li,"axG",@progbits,_ZL37rocblas_syrkx_herkx_restricted_kernelIidLi16ELi32ELi8ELi1ELi1ELb0ELc78ELc76EKddEviT_PT9_S1_lS3_S1_lPT10_S1_li,comdat
	.globl	_ZL37rocblas_syrkx_herkx_restricted_kernelIidLi16ELi32ELi8ELi1ELi1ELb0ELc78ELc76EKddEviT_PT9_S1_lS3_S1_lPT10_S1_li ; -- Begin function _ZL37rocblas_syrkx_herkx_restricted_kernelIidLi16ELi32ELi8ELi1ELi1ELb0ELc78ELc76EKddEviT_PT9_S1_lS3_S1_lPT10_S1_li
	.p2align	8
	.type	_ZL37rocblas_syrkx_herkx_restricted_kernelIidLi16ELi32ELi8ELi1ELi1ELb0ELc78ELc76EKddEviT_PT9_S1_lS3_S1_lPT10_S1_li,@function
_ZL37rocblas_syrkx_herkx_restricted_kernelIidLi16ELi32ELi8ELi1ELi1ELb0ELc78ELc76EKddEviT_PT9_S1_lS3_S1_lPT10_S1_li: ; @_ZL37rocblas_syrkx_herkx_restricted_kernelIidLi16ELi32ELi8ELi1ELi1ELb0ELc78ELc76EKddEviT_PT9_S1_lS3_S1_lPT10_S1_li
; %bb.0:
	s_load_dwordx2 s[10:11], s[4:5], 0x0
	s_load_dwordx4 s[0:3], s[4:5], 0x30
	s_lshl_b32 s9, s6, 5
	s_lshl_b32 s16, s7, 5
	s_mov_b32 s17, 0
	s_waitcnt lgkmcnt(0)
	s_cmp_lt_i32 s11, 1
	s_cbranch_scc1 .LBB81_3
; %bb.1:
	v_lshl_add_u32 v7, v1, 4, v0
	s_load_dword s6, s[4:5], 0x10
	s_load_dword s18, s[4:5], 0x28
	s_load_dwordx2 s[20:21], s[4:5], 0x8
	s_load_dwordx4 s[12:15], s[4:5], 0x18
	v_lshrrev_b32_e32 v8, 3, v7
	v_add_u32_e32 v2, s16, v8
	v_and_b32_e32 v6, 7, v0
	v_ashrrev_i32_e32 v3, 31, v2
	s_waitcnt lgkmcnt(0)
	v_mad_i64_i32 v[4:5], s[22:23], s18, v6, v[2:3]
	v_and_b32_e32 v2, 31, v7
	v_lshrrev_b32_e32 v9, 5, v7
	v_lshlrev_b32_e32 v3, 3, v2
	v_lshl_or_b32 v14, v9, 8, v3
	v_lshlrev_b32_e32 v3, 3, v6
	v_lshl_or_b32 v3, v8, 6, v3
	v_add_u32_e32 v15, 0x800, v3
	v_mov_b32_e32 v3, 0x800
	v_add_u32_e32 v2, s9, v2
	v_lshl_add_u32 v17, v1, 6, v3
	v_ashrrev_i32_e32 v3, 31, v2
	v_mad_i64_i32 v[2:3], s[22:23], s6, v9, v[2:3]
	s_mul_i32 s13, s13, s8
	s_mul_hi_u32 s24, s12, s8
	s_add_i32 s13, s24, s13
	s_mul_i32 s12, s12, s8
	s_ashr_i32 s7, s6, 31
	s_ashr_i32 s19, s18, 31
	s_lshl_b64 s[12:13], s[12:13], 3
	v_lshlrev_b64 v[2:3], 3, v[2:3]
	s_add_u32 s12, s20, s12
	v_add_co_u32_e32 v2, vcc, s12, v2
	s_mul_i32 s1, s1, s8
	s_mul_hi_u32 s12, s0, s8
	s_addc_u32 s13, s21, s13
	s_add_i32 s1, s12, s1
	s_mul_i32 s0, s0, s8
	s_lshl_b64 s[6:7], s[6:7], 6
	s_lshl_b64 s[0:1], s[0:1], 3
	v_mov_b32_e32 v6, s13
	v_lshlrev_b64 v[4:5], 3, v[4:5]
	s_add_u32 s0, s14, s0
	v_addc_co_u32_e32 v3, vcc, v6, v3, vcc
	s_addc_u32 s1, s15, s1
	v_mov_b32_e32 v7, s1
	v_add_co_u32_e32 v6, vcc, s0, v4
	v_addc_co_u32_e32 v7, vcc, v7, v5, vcc
	s_lshl_b64 s[12:13], s[18:19], 6
	v_mov_b32_e32 v4, 0
	v_mov_b32_e32 v8, 0
	v_mov_b32_e32 v10, 0
	v_mov_b32_e32 v12, 0
	v_lshlrev_b32_e32 v16, 3, v0
	v_mov_b32_e32 v5, 0
	v_mov_b32_e32 v18, s7
	;; [unrolled: 1-line block ×6, first 2 shown]
.LBB81_2:                               ; =>This Inner Loop Header: Depth=1
	global_load_dwordx2 v[20:21], v[2:3], off
	global_load_dwordx2 v[22:23], v[6:7], off
	s_add_i32 s17, s17, 8
	v_add_co_u32_e32 v2, vcc, s6, v2
	v_add_co_u32_e64 v6, s[0:1], s12, v6
	v_addc_co_u32_e32 v3, vcc, v3, v18, vcc
	v_addc_co_u32_e64 v7, vcc, v7, v19, s[0:1]
	s_cmp_ge_i32 s17, s11
	s_waitcnt vmcnt(1)
	ds_write_b64 v14, v[20:21]
	s_waitcnt vmcnt(0)
	ds_write_b64 v15, v[22:23]
	s_waitcnt lgkmcnt(0)
	s_barrier
	ds_read2_b64 v[20:23], v16 offset1:16
	ds_read_b128 v[24:27], v17
	s_waitcnt lgkmcnt(0)
	v_fma_f64 v[28:29], v[20:21], v[24:25], v[12:13]
	v_fma_f64 v[24:25], v[22:23], v[24:25], v[10:11]
	ds_read_b128 v[10:13], v17 offset:1024
	s_waitcnt lgkmcnt(0)
	v_fma_f64 v[20:21], v[20:21], v[10:11], v[8:9]
	v_fma_f64 v[4:5], v[22:23], v[10:11], v[4:5]
	ds_read2_b64 v[8:11], v16 offset0:32 offset1:48
	s_waitcnt lgkmcnt(0)
	v_fma_f64 v[28:29], v[8:9], v[26:27], v[28:29]
	v_fma_f64 v[24:25], v[10:11], v[26:27], v[24:25]
	;; [unrolled: 1-line block ×4, first 2 shown]
	ds_read_b128 v[8:11], v17 offset:16
	ds_read2_b64 v[20:23], v16 offset0:64 offset1:80
	s_waitcnt lgkmcnt(0)
	v_fma_f64 v[12:13], v[20:21], v[8:9], v[28:29]
	v_fma_f64 v[8:9], v[22:23], v[8:9], v[24:25]
	ds_read_b128 v[24:27], v17 offset:1040
	s_waitcnt lgkmcnt(0)
	v_fma_f64 v[28:29], v[20:21], v[24:25], v[30:31]
	v_fma_f64 v[4:5], v[22:23], v[24:25], v[4:5]
	ds_read2_b64 v[20:23], v16 offset0:96 offset1:112
	s_waitcnt lgkmcnt(0)
	v_fma_f64 v[12:13], v[20:21], v[10:11], v[12:13]
	v_fma_f64 v[24:25], v[22:23], v[10:11], v[8:9]
	;; [unrolled: 1-line block ×4, first 2 shown]
	ds_read2_b64 v[8:11], v16 offset0:128 offset1:144
	ds_read_b128 v[20:23], v17 offset:32
	s_waitcnt lgkmcnt(0)
	v_fma_f64 v[12:13], v[8:9], v[20:21], v[12:13]
	v_fma_f64 v[20:21], v[10:11], v[20:21], v[24:25]
	ds_read_b128 v[24:27], v17 offset:1056
	s_waitcnt lgkmcnt(0)
	v_fma_f64 v[28:29], v[8:9], v[24:25], v[28:29]
	v_fma_f64 v[4:5], v[10:11], v[24:25], v[4:5]
	ds_read2_b64 v[8:11], v16 offset0:160 offset1:176
	s_waitcnt lgkmcnt(0)
	v_fma_f64 v[12:13], v[8:9], v[22:23], v[12:13]
	v_fma_f64 v[24:25], v[10:11], v[22:23], v[20:21]
	;; [unrolled: 1-line block ×4, first 2 shown]
	ds_read_b128 v[8:11], v17 offset:48
	ds_read2_b64 v[20:23], v16 offset0:192 offset1:208
	s_waitcnt lgkmcnt(0)
	v_fma_f64 v[12:13], v[20:21], v[8:9], v[12:13]
	v_fma_f64 v[8:9], v[22:23], v[8:9], v[24:25]
	ds_read_b128 v[24:27], v17 offset:1072
	s_waitcnt lgkmcnt(0)
	v_fma_f64 v[28:29], v[20:21], v[24:25], v[28:29]
	v_fma_f64 v[4:5], v[22:23], v[24:25], v[4:5]
	ds_read2_b64 v[20:23], v16 offset0:224 offset1:240
	s_waitcnt lgkmcnt(0)
	s_barrier
	v_fma_f64 v[12:13], v[20:21], v[10:11], v[12:13]
	v_fma_f64 v[10:11], v[22:23], v[10:11], v[8:9]
	;; [unrolled: 1-line block ×4, first 2 shown]
	s_cbranch_scc0 .LBB81_2
	s_branch .LBB81_4
.LBB81_3:
	v_mov_b32_e32 v12, 0
	v_mov_b32_e32 v10, 0
	;; [unrolled: 1-line block ×8, first 2 shown]
.LBB81_4:
	s_load_dwordx2 s[0:1], s[4:5], 0x48
	s_load_dword s6, s[4:5], 0x40
	v_add_u32_e32 v6, s16, v1
	v_add_u32_e32 v0, s9, v0
	s_waitcnt lgkmcnt(0)
	s_mul_i32 s1, s1, s8
	s_mul_hi_u32 s4, s0, s8
	s_add_i32 s1, s4, s1
	v_mad_i64_i32 v[1:2], s[4:5], v6, s6, 0
	s_mul_i32 s0, s0, s8
	s_lshl_b64 s[0:1], s[0:1], 3
	s_add_u32 s7, s2, s0
	v_lshlrev_b64 v[1:2], 3, v[1:2]
	s_addc_u32 s8, s3, s1
	v_mov_b32_e32 v3, s8
	v_add_co_u32_e32 v7, vcc, s7, v1
	v_addc_co_u32_e32 v14, vcc, v3, v2, vcc
	v_cmp_le_i32_e64 s[0:1], v6, v0
	v_cmp_gt_i32_e32 vcc, s10, v0
	s_and_b64 s[0:1], s[0:1], vcc
	s_and_saveexec_b64 s[2:3], s[0:1]
	s_cbranch_execz .LBB81_6
; %bb.5:
	v_ashrrev_i32_e32 v1, 31, v0
	v_lshlrev_b64 v[1:2], 3, v[0:1]
	v_add_co_u32_e64 v1, s[0:1], v7, v1
	v_addc_co_u32_e64 v2, s[0:1], v14, v2, s[0:1]
	global_load_dwordx2 v[15:16], v[1:2], off
	s_waitcnt vmcnt(0)
	v_add_f64 v[12:13], v[12:13], v[15:16]
	global_store_dwordx2 v[1:2], v[12:13], off
.LBB81_6:
	s_or_b64 exec, exec, s[2:3]
	v_add_u32_e32 v2, 16, v0
	v_cmp_le_i32_e64 s[2:3], v6, v2
	v_cmp_gt_i32_e64 s[0:1], s10, v2
	s_and_b64 s[2:3], s[2:3], s[0:1]
	s_and_saveexec_b64 s[4:5], s[2:3]
	s_cbranch_execz .LBB81_8
; %bb.7:
	v_ashrrev_i32_e32 v3, 31, v2
	v_lshlrev_b64 v[12:13], 3, v[2:3]
	v_add_co_u32_e64 v12, s[2:3], v7, v12
	v_addc_co_u32_e64 v13, s[2:3], v14, v13, s[2:3]
	global_load_dwordx2 v[14:15], v[12:13], off
	s_waitcnt vmcnt(0)
	v_add_f64 v[10:11], v[10:11], v[14:15]
	global_store_dwordx2 v[12:13], v[10:11], off
.LBB81_8:
	s_or_b64 exec, exec, s[4:5]
	v_add_u32_e32 v3, 16, v6
	v_mad_i64_i32 v[6:7], s[2:3], v3, s6, 0
	v_mov_b32_e32 v1, s8
	v_lshlrev_b64 v[6:7], 3, v[6:7]
	v_add_co_u32_e64 v6, s[2:3], s7, v6
	v_addc_co_u32_e64 v7, s[2:3], v1, v7, s[2:3]
	v_cmp_le_i32_e64 s[2:3], v3, v0
	s_and_b64 s[4:5], s[2:3], vcc
	s_and_saveexec_b64 s[2:3], s[4:5]
	s_cbranch_execz .LBB81_10
; %bb.9:
	v_ashrrev_i32_e32 v1, 31, v0
	v_lshlrev_b64 v[0:1], 3, v[0:1]
	v_add_co_u32_e32 v0, vcc, v6, v0
	v_addc_co_u32_e32 v1, vcc, v7, v1, vcc
	global_load_dwordx2 v[10:11], v[0:1], off
	s_waitcnt vmcnt(0)
	v_add_f64 v[8:9], v[8:9], v[10:11]
	global_store_dwordx2 v[0:1], v[8:9], off
.LBB81_10:
	s_or_b64 exec, exec, s[2:3]
	v_cmp_le_i32_e32 vcc, v3, v2
	s_and_b64 s[0:1], vcc, s[0:1]
	s_and_saveexec_b64 s[2:3], s[0:1]
	s_cbranch_execz .LBB81_12
; %bb.11:
	v_ashrrev_i32_e32 v3, 31, v2
	v_lshlrev_b64 v[0:1], 3, v[2:3]
	v_add_co_u32_e32 v0, vcc, v6, v0
	v_addc_co_u32_e32 v1, vcc, v7, v1, vcc
	global_load_dwordx2 v[2:3], v[0:1], off
	s_waitcnt vmcnt(0)
	v_add_f64 v[2:3], v[4:5], v[2:3]
	global_store_dwordx2 v[0:1], v[2:3], off
.LBB81_12:
	s_endpgm
	.section	.rodata,"a",@progbits
	.p2align	6, 0x0
	.amdhsa_kernel _ZL37rocblas_syrkx_herkx_restricted_kernelIidLi16ELi32ELi8ELi1ELi1ELb0ELc78ELc76EKddEviT_PT9_S1_lS3_S1_lPT10_S1_li
		.amdhsa_group_segment_fixed_size 4096
		.amdhsa_private_segment_fixed_size 0
		.amdhsa_kernarg_size 84
		.amdhsa_user_sgpr_count 6
		.amdhsa_user_sgpr_private_segment_buffer 1
		.amdhsa_user_sgpr_dispatch_ptr 0
		.amdhsa_user_sgpr_queue_ptr 0
		.amdhsa_user_sgpr_kernarg_segment_ptr 1
		.amdhsa_user_sgpr_dispatch_id 0
		.amdhsa_user_sgpr_flat_scratch_init 0
		.amdhsa_user_sgpr_private_segment_size 0
		.amdhsa_uses_dynamic_stack 0
		.amdhsa_system_sgpr_private_segment_wavefront_offset 0
		.amdhsa_system_sgpr_workgroup_id_x 1
		.amdhsa_system_sgpr_workgroup_id_y 1
		.amdhsa_system_sgpr_workgroup_id_z 1
		.amdhsa_system_sgpr_workgroup_info 0
		.amdhsa_system_vgpr_workitem_id 1
		.amdhsa_next_free_vgpr 32
		.amdhsa_next_free_sgpr 25
		.amdhsa_reserve_vcc 1
		.amdhsa_reserve_flat_scratch 0
		.amdhsa_float_round_mode_32 0
		.amdhsa_float_round_mode_16_64 0
		.amdhsa_float_denorm_mode_32 3
		.amdhsa_float_denorm_mode_16_64 3
		.amdhsa_dx10_clamp 1
		.amdhsa_ieee_mode 1
		.amdhsa_fp16_overflow 0
		.amdhsa_exception_fp_ieee_invalid_op 0
		.amdhsa_exception_fp_denorm_src 0
		.amdhsa_exception_fp_ieee_div_zero 0
		.amdhsa_exception_fp_ieee_overflow 0
		.amdhsa_exception_fp_ieee_underflow 0
		.amdhsa_exception_fp_ieee_inexact 0
		.amdhsa_exception_int_div_zero 0
	.end_amdhsa_kernel
	.section	.text._ZL37rocblas_syrkx_herkx_restricted_kernelIidLi16ELi32ELi8ELi1ELi1ELb0ELc78ELc76EKddEviT_PT9_S1_lS3_S1_lPT10_S1_li,"axG",@progbits,_ZL37rocblas_syrkx_herkx_restricted_kernelIidLi16ELi32ELi8ELi1ELi1ELb0ELc78ELc76EKddEviT_PT9_S1_lS3_S1_lPT10_S1_li,comdat
.Lfunc_end81:
	.size	_ZL37rocblas_syrkx_herkx_restricted_kernelIidLi16ELi32ELi8ELi1ELi1ELb0ELc78ELc76EKddEviT_PT9_S1_lS3_S1_lPT10_S1_li, .Lfunc_end81-_ZL37rocblas_syrkx_herkx_restricted_kernelIidLi16ELi32ELi8ELi1ELi1ELb0ELc78ELc76EKddEviT_PT9_S1_lS3_S1_lPT10_S1_li
                                        ; -- End function
	.set _ZL37rocblas_syrkx_herkx_restricted_kernelIidLi16ELi32ELi8ELi1ELi1ELb0ELc78ELc76EKddEviT_PT9_S1_lS3_S1_lPT10_S1_li.num_vgpr, 32
	.set _ZL37rocblas_syrkx_herkx_restricted_kernelIidLi16ELi32ELi8ELi1ELi1ELb0ELc78ELc76EKddEviT_PT9_S1_lS3_S1_lPT10_S1_li.num_agpr, 0
	.set _ZL37rocblas_syrkx_herkx_restricted_kernelIidLi16ELi32ELi8ELi1ELi1ELb0ELc78ELc76EKddEviT_PT9_S1_lS3_S1_lPT10_S1_li.numbered_sgpr, 25
	.set _ZL37rocblas_syrkx_herkx_restricted_kernelIidLi16ELi32ELi8ELi1ELi1ELb0ELc78ELc76EKddEviT_PT9_S1_lS3_S1_lPT10_S1_li.num_named_barrier, 0
	.set _ZL37rocblas_syrkx_herkx_restricted_kernelIidLi16ELi32ELi8ELi1ELi1ELb0ELc78ELc76EKddEviT_PT9_S1_lS3_S1_lPT10_S1_li.private_seg_size, 0
	.set _ZL37rocblas_syrkx_herkx_restricted_kernelIidLi16ELi32ELi8ELi1ELi1ELb0ELc78ELc76EKddEviT_PT9_S1_lS3_S1_lPT10_S1_li.uses_vcc, 1
	.set _ZL37rocblas_syrkx_herkx_restricted_kernelIidLi16ELi32ELi8ELi1ELi1ELb0ELc78ELc76EKddEviT_PT9_S1_lS3_S1_lPT10_S1_li.uses_flat_scratch, 0
	.set _ZL37rocblas_syrkx_herkx_restricted_kernelIidLi16ELi32ELi8ELi1ELi1ELb0ELc78ELc76EKddEviT_PT9_S1_lS3_S1_lPT10_S1_li.has_dyn_sized_stack, 0
	.set _ZL37rocblas_syrkx_herkx_restricted_kernelIidLi16ELi32ELi8ELi1ELi1ELb0ELc78ELc76EKddEviT_PT9_S1_lS3_S1_lPT10_S1_li.has_recursion, 0
	.set _ZL37rocblas_syrkx_herkx_restricted_kernelIidLi16ELi32ELi8ELi1ELi1ELb0ELc78ELc76EKddEviT_PT9_S1_lS3_S1_lPT10_S1_li.has_indirect_call, 0
	.section	.AMDGPU.csdata,"",@progbits
; Kernel info:
; codeLenInByte = 1332
; TotalNumSgprs: 29
; NumVgprs: 32
; ScratchSize: 0
; MemoryBound: 0
; FloatMode: 240
; IeeeMode: 1
; LDSByteSize: 4096 bytes/workgroup (compile time only)
; SGPRBlocks: 3
; VGPRBlocks: 7
; NumSGPRsForWavesPerEU: 29
; NumVGPRsForWavesPerEU: 32
; Occupancy: 8
; WaveLimiterHint : 0
; COMPUTE_PGM_RSRC2:SCRATCH_EN: 0
; COMPUTE_PGM_RSRC2:USER_SGPR: 6
; COMPUTE_PGM_RSRC2:TRAP_HANDLER: 0
; COMPUTE_PGM_RSRC2:TGID_X_EN: 1
; COMPUTE_PGM_RSRC2:TGID_Y_EN: 1
; COMPUTE_PGM_RSRC2:TGID_Z_EN: 1
; COMPUTE_PGM_RSRC2:TIDIG_COMP_CNT: 1
	.section	.text._ZL37rocblas_syrkx_herkx_restricted_kernelIidLi16ELi32ELi8ELi1ELi1ELb0ELc84ELc85EKddEviT_PT9_S1_lS3_S1_lPT10_S1_li,"axG",@progbits,_ZL37rocblas_syrkx_herkx_restricted_kernelIidLi16ELi32ELi8ELi1ELi1ELb0ELc84ELc85EKddEviT_PT9_S1_lS3_S1_lPT10_S1_li,comdat
	.globl	_ZL37rocblas_syrkx_herkx_restricted_kernelIidLi16ELi32ELi8ELi1ELi1ELb0ELc84ELc85EKddEviT_PT9_S1_lS3_S1_lPT10_S1_li ; -- Begin function _ZL37rocblas_syrkx_herkx_restricted_kernelIidLi16ELi32ELi8ELi1ELi1ELb0ELc84ELc85EKddEviT_PT9_S1_lS3_S1_lPT10_S1_li
	.p2align	8
	.type	_ZL37rocblas_syrkx_herkx_restricted_kernelIidLi16ELi32ELi8ELi1ELi1ELb0ELc84ELc85EKddEviT_PT9_S1_lS3_S1_lPT10_S1_li,@function
_ZL37rocblas_syrkx_herkx_restricted_kernelIidLi16ELi32ELi8ELi1ELi1ELb0ELc84ELc85EKddEviT_PT9_S1_lS3_S1_lPT10_S1_li: ; @_ZL37rocblas_syrkx_herkx_restricted_kernelIidLi16ELi32ELi8ELi1ELi1ELb0ELc84ELc85EKddEviT_PT9_S1_lS3_S1_lPT10_S1_li
; %bb.0:
	s_load_dwordx2 s[10:11], s[4:5], 0x0
	s_load_dwordx4 s[0:3], s[4:5], 0x30
	s_lshl_b32 s6, s6, 5
	s_lshl_b32 s7, s7, 5
	s_mov_b32 s9, 0
	s_waitcnt lgkmcnt(0)
	s_cmp_lt_i32 s11, 1
	s_cbranch_scc1 .LBB82_3
; %bb.1:
	s_load_dwordx2 s[16:17], s[4:5], 0x8
	s_load_dword s20, s[4:5], 0x10
	s_load_dwordx4 s[12:15], s[4:5], 0x18
	s_load_dword s18, s[4:5], 0x28
	v_lshl_add_u32 v6, v1, 4, v0
	v_lshrrev_b32_e32 v8, 3, v6
	v_add_u32_e32 v4, s7, v8
	v_and_b32_e32 v2, 7, v0
	v_mov_b32_e32 v3, 0
	s_waitcnt lgkmcnt(0)
	v_mad_i64_i32 v[4:5], s[18:19], s18, v4, v[2:3]
	v_lshlrev_b32_e32 v2, 3, v2
	v_and_b32_e32 v9, 31, v6
	v_lshl_or_b32 v2, v8, 6, v2
	v_lshrrev_b32_e32 v6, 5, v6
	v_mov_b32_e32 v7, v3
	v_lshlrev_b32_e32 v3, 3, v9
	v_add_u32_e32 v15, 0x800, v2
	v_add_u32_e32 v2, s6, v9
	v_lshl_or_b32 v14, v6, 8, v3
	v_mad_i64_i32 v[2:3], s[18:19], s20, v2, v[6:7]
	s_mul_i32 s13, s13, s8
	s_mul_hi_u32 s21, s12, s8
	s_add_i32 s13, s21, s13
	s_mul_i32 s12, s12, s8
	s_lshl_b64 s[12:13], s[12:13], 3
	v_lshlrev_b64 v[2:3], 3, v[2:3]
	s_add_u32 s12, s16, s12
	v_add_co_u32_e32 v2, vcc, s12, v2
	s_mul_i32 s1, s1, s8
	s_mul_hi_u32 s12, s0, s8
	s_addc_u32 s13, s17, s13
	s_add_i32 s1, s12, s1
	s_mul_i32 s0, s0, s8
	s_lshl_b64 s[0:1], s[0:1], 3
	v_mov_b32_e32 v6, s13
	v_lshlrev_b64 v[4:5], 3, v[4:5]
	s_add_u32 s0, s14, s0
	v_addc_co_u32_e32 v3, vcc, v6, v3, vcc
	s_addc_u32 s1, s15, s1
	v_mov_b32_e32 v6, s1
	v_add_co_u32_e32 v4, vcc, s0, v4
	v_mov_b32_e32 v17, 0x800
	v_addc_co_u32_e32 v5, vcc, v6, v5, vcc
	v_mov_b32_e32 v6, 0
	v_mov_b32_e32 v8, 0
	;; [unrolled: 1-line block ×4, first 2 shown]
	v_lshlrev_b32_e32 v16, 3, v0
	v_mov_b32_e32 v7, 0
	v_mov_b32_e32 v9, 0
	;; [unrolled: 1-line block ×4, first 2 shown]
	v_lshl_add_u32 v17, v1, 6, v17
.LBB82_2:                               ; =>This Inner Loop Header: Depth=1
	global_load_dwordx2 v[18:19], v[2:3], off
	global_load_dwordx2 v[20:21], v[4:5], off
	s_add_i32 s9, s9, 8
	v_add_co_u32_e32 v2, vcc, 64, v2
	v_add_co_u32_e64 v4, s[0:1], 64, v4
	v_addc_co_u32_e32 v3, vcc, 0, v3, vcc
	v_addc_co_u32_e64 v5, vcc, 0, v5, s[0:1]
	s_cmp_ge_i32 s9, s11
	s_waitcnt vmcnt(1)
	ds_write_b64 v14, v[18:19]
	s_waitcnt vmcnt(0)
	ds_write_b64 v15, v[20:21]
	s_waitcnt lgkmcnt(0)
	s_barrier
	ds_read2_b64 v[18:21], v16 offset1:16
	ds_read_b128 v[22:25], v17
	s_waitcnt lgkmcnt(0)
	v_fma_f64 v[26:27], v[18:19], v[22:23], v[12:13]
	v_fma_f64 v[22:23], v[20:21], v[22:23], v[10:11]
	ds_read_b128 v[10:13], v17 offset:1024
	s_waitcnt lgkmcnt(0)
	v_fma_f64 v[18:19], v[18:19], v[10:11], v[8:9]
	v_fma_f64 v[10:11], v[20:21], v[10:11], v[6:7]
	ds_read2_b64 v[6:9], v16 offset0:32 offset1:48
	s_waitcnt lgkmcnt(0)
	v_fma_f64 v[20:21], v[6:7], v[24:25], v[26:27]
	v_fma_f64 v[22:23], v[8:9], v[24:25], v[22:23]
	;; [unrolled: 1-line block ×4, first 2 shown]
	ds_read_b128 v[6:9], v17 offset:16
	ds_read2_b64 v[10:13], v16 offset0:64 offset1:80
	s_waitcnt lgkmcnt(0)
	v_fma_f64 v[28:29], v[10:11], v[6:7], v[20:21]
	ds_read_b128 v[18:21], v17 offset:1040
	v_fma_f64 v[6:7], v[12:13], v[6:7], v[22:23]
	s_waitcnt lgkmcnt(0)
	v_fma_f64 v[22:23], v[10:11], v[18:19], v[24:25]
	v_fma_f64 v[18:19], v[12:13], v[18:19], v[26:27]
	ds_read2_b64 v[10:13], v16 offset0:96 offset1:112
	s_waitcnt lgkmcnt(0)
	v_fma_f64 v[24:25], v[10:11], v[8:9], v[28:29]
	v_fma_f64 v[26:27], v[12:13], v[8:9], v[6:7]
	;; [unrolled: 1-line block ×4, first 2 shown]
	ds_read2_b64 v[6:9], v16 offset0:128 offset1:144
	ds_read_b128 v[10:13], v17 offset:32
	ds_read_b128 v[18:21], v17 offset:1056
	s_waitcnt lgkmcnt(1)
	v_fma_f64 v[24:25], v[6:7], v[10:11], v[24:25]
	v_fma_f64 v[10:11], v[8:9], v[10:11], v[26:27]
	s_waitcnt lgkmcnt(0)
	v_fma_f64 v[22:23], v[6:7], v[18:19], v[22:23]
	v_fma_f64 v[18:19], v[8:9], v[18:19], v[28:29]
	ds_read2_b64 v[6:9], v16 offset0:160 offset1:176
	s_waitcnt lgkmcnt(0)
	v_fma_f64 v[24:25], v[6:7], v[12:13], v[24:25]
	v_fma_f64 v[26:27], v[8:9], v[12:13], v[10:11]
	;; [unrolled: 1-line block ×4, first 2 shown]
	ds_read_b128 v[6:9], v17 offset:48
	ds_read2_b64 v[10:13], v16 offset0:192 offset1:208
	ds_read_b128 v[18:21], v17 offset:1072
	s_waitcnt lgkmcnt(1)
	v_fma_f64 v[30:31], v[10:11], v[6:7], v[24:25]
	v_fma_f64 v[6:7], v[12:13], v[6:7], v[26:27]
	s_waitcnt lgkmcnt(0)
	v_fma_f64 v[26:27], v[10:11], v[18:19], v[22:23]
	v_fma_f64 v[18:19], v[12:13], v[18:19], v[28:29]
	ds_read2_b64 v[22:25], v16 offset0:224 offset1:240
	s_waitcnt lgkmcnt(0)
	s_barrier
	v_fma_f64 v[12:13], v[22:23], v[8:9], v[30:31]
	v_fma_f64 v[10:11], v[24:25], v[8:9], v[6:7]
	;; [unrolled: 1-line block ×4, first 2 shown]
	s_cbranch_scc0 .LBB82_2
	s_branch .LBB82_4
.LBB82_3:
	v_mov_b32_e32 v12, 0
	v_mov_b32_e32 v10, 0
	;; [unrolled: 1-line block ×8, first 2 shown]
.LBB82_4:
	s_load_dwordx2 s[0:1], s[4:5], 0x48
	s_load_dword s9, s[4:5], 0x40
	v_add_u32_e32 v4, s7, v1
	v_add_u32_e32 v0, s6, v0
	v_cmp_gt_i32_e32 vcc, s10, v4
	s_waitcnt lgkmcnt(0)
	s_mul_i32 s1, s1, s8
	v_mad_i64_i32 v[1:2], s[12:13], v4, s9, 0
	s_mul_hi_u32 s4, s0, s8
	s_mul_i32 s0, s0, s8
	s_add_i32 s1, s4, s1
	s_lshl_b64 s[0:1], s[0:1], 3
	s_add_u32 s4, s2, s0
	v_lshlrev_b64 v[1:2], 3, v[1:2]
	s_addc_u32 s5, s3, s1
	v_mov_b32_e32 v3, s5
	v_add_co_u32_e64 v5, s[0:1], s4, v1
	v_addc_co_u32_e64 v14, s[0:1], v3, v2, s[0:1]
	v_cmp_le_i32_e64 s[0:1], v0, v4
	s_and_b64 s[0:1], vcc, s[0:1]
	s_and_saveexec_b64 s[2:3], s[0:1]
	s_cbranch_execz .LBB82_6
; %bb.5:
	v_ashrrev_i32_e32 v1, 31, v0
	v_lshlrev_b64 v[1:2], 3, v[0:1]
	v_add_co_u32_e64 v1, s[0:1], v5, v1
	v_addc_co_u32_e64 v2, s[0:1], v14, v2, s[0:1]
	global_load_dwordx2 v[15:16], v[1:2], off
	s_waitcnt vmcnt(0)
	v_add_f64 v[12:13], v[12:13], v[15:16]
	global_store_dwordx2 v[1:2], v[12:13], off
.LBB82_6:
	s_or_b64 exec, exec, s[2:3]
	v_add_u32_e32 v2, 16, v0
	v_cmp_le_i32_e64 s[0:1], v2, v4
	s_and_b64 s[2:3], vcc, s[0:1]
	s_and_saveexec_b64 s[0:1], s[2:3]
	s_cbranch_execz .LBB82_8
; %bb.7:
	v_ashrrev_i32_e32 v3, 31, v2
	v_lshlrev_b64 v[12:13], 3, v[2:3]
	v_add_co_u32_e32 v12, vcc, v5, v12
	v_addc_co_u32_e32 v13, vcc, v14, v13, vcc
	global_load_dwordx2 v[14:15], v[12:13], off
	s_waitcnt vmcnt(0)
	v_add_f64 v[10:11], v[10:11], v[14:15]
	global_store_dwordx2 v[12:13], v[10:11], off
.LBB82_8:
	s_or_b64 exec, exec, s[0:1]
	v_add_u32_e32 v3, 16, v4
	v_mad_i64_i32 v[4:5], s[0:1], v3, s9, 0
	v_mov_b32_e32 v1, s5
	v_cmp_gt_i32_e32 vcc, s10, v3
	v_lshlrev_b64 v[4:5], 3, v[4:5]
	v_add_co_u32_e64 v4, s[0:1], s4, v4
	v_addc_co_u32_e64 v5, s[0:1], v1, v5, s[0:1]
	v_cmp_le_i32_e64 s[0:1], v0, v3
	s_and_b64 s[0:1], vcc, s[0:1]
	s_and_saveexec_b64 s[2:3], s[0:1]
	s_cbranch_execz .LBB82_10
; %bb.9:
	v_ashrrev_i32_e32 v1, 31, v0
	v_lshlrev_b64 v[0:1], 3, v[0:1]
	v_add_co_u32_e64 v0, s[0:1], v4, v0
	v_addc_co_u32_e64 v1, s[0:1], v5, v1, s[0:1]
	global_load_dwordx2 v[10:11], v[0:1], off
	s_waitcnt vmcnt(0)
	v_add_f64 v[8:9], v[8:9], v[10:11]
	global_store_dwordx2 v[0:1], v[8:9], off
.LBB82_10:
	s_or_b64 exec, exec, s[2:3]
	v_cmp_le_i32_e64 s[0:1], v2, v3
	s_and_b64 s[0:1], vcc, s[0:1]
	s_and_saveexec_b64 s[2:3], s[0:1]
	s_cbranch_execz .LBB82_12
; %bb.11:
	v_ashrrev_i32_e32 v3, 31, v2
	v_lshlrev_b64 v[0:1], 3, v[2:3]
	v_add_co_u32_e32 v0, vcc, v4, v0
	v_addc_co_u32_e32 v1, vcc, v5, v1, vcc
	global_load_dwordx2 v[2:3], v[0:1], off
	s_waitcnt vmcnt(0)
	v_add_f64 v[2:3], v[6:7], v[2:3]
	global_store_dwordx2 v[0:1], v[2:3], off
.LBB82_12:
	s_endpgm
	.section	.rodata,"a",@progbits
	.p2align	6, 0x0
	.amdhsa_kernel _ZL37rocblas_syrkx_herkx_restricted_kernelIidLi16ELi32ELi8ELi1ELi1ELb0ELc84ELc85EKddEviT_PT9_S1_lS3_S1_lPT10_S1_li
		.amdhsa_group_segment_fixed_size 4096
		.amdhsa_private_segment_fixed_size 0
		.amdhsa_kernarg_size 84
		.amdhsa_user_sgpr_count 6
		.amdhsa_user_sgpr_private_segment_buffer 1
		.amdhsa_user_sgpr_dispatch_ptr 0
		.amdhsa_user_sgpr_queue_ptr 0
		.amdhsa_user_sgpr_kernarg_segment_ptr 1
		.amdhsa_user_sgpr_dispatch_id 0
		.amdhsa_user_sgpr_flat_scratch_init 0
		.amdhsa_user_sgpr_private_segment_size 0
		.amdhsa_uses_dynamic_stack 0
		.amdhsa_system_sgpr_private_segment_wavefront_offset 0
		.amdhsa_system_sgpr_workgroup_id_x 1
		.amdhsa_system_sgpr_workgroup_id_y 1
		.amdhsa_system_sgpr_workgroup_id_z 1
		.amdhsa_system_sgpr_workgroup_info 0
		.amdhsa_system_vgpr_workitem_id 1
		.amdhsa_next_free_vgpr 32
		.amdhsa_next_free_sgpr 22
		.amdhsa_reserve_vcc 1
		.amdhsa_reserve_flat_scratch 0
		.amdhsa_float_round_mode_32 0
		.amdhsa_float_round_mode_16_64 0
		.amdhsa_float_denorm_mode_32 3
		.amdhsa_float_denorm_mode_16_64 3
		.amdhsa_dx10_clamp 1
		.amdhsa_ieee_mode 1
		.amdhsa_fp16_overflow 0
		.amdhsa_exception_fp_ieee_invalid_op 0
		.amdhsa_exception_fp_denorm_src 0
		.amdhsa_exception_fp_ieee_div_zero 0
		.amdhsa_exception_fp_ieee_overflow 0
		.amdhsa_exception_fp_ieee_underflow 0
		.amdhsa_exception_fp_ieee_inexact 0
		.amdhsa_exception_int_div_zero 0
	.end_amdhsa_kernel
	.section	.text._ZL37rocblas_syrkx_herkx_restricted_kernelIidLi16ELi32ELi8ELi1ELi1ELb0ELc84ELc85EKddEviT_PT9_S1_lS3_S1_lPT10_S1_li,"axG",@progbits,_ZL37rocblas_syrkx_herkx_restricted_kernelIidLi16ELi32ELi8ELi1ELi1ELb0ELc84ELc85EKddEviT_PT9_S1_lS3_S1_lPT10_S1_li,comdat
.Lfunc_end82:
	.size	_ZL37rocblas_syrkx_herkx_restricted_kernelIidLi16ELi32ELi8ELi1ELi1ELb0ELc84ELc85EKddEviT_PT9_S1_lS3_S1_lPT10_S1_li, .Lfunc_end82-_ZL37rocblas_syrkx_herkx_restricted_kernelIidLi16ELi32ELi8ELi1ELi1ELb0ELc84ELc85EKddEviT_PT9_S1_lS3_S1_lPT10_S1_li
                                        ; -- End function
	.set _ZL37rocblas_syrkx_herkx_restricted_kernelIidLi16ELi32ELi8ELi1ELi1ELb0ELc84ELc85EKddEviT_PT9_S1_lS3_S1_lPT10_S1_li.num_vgpr, 32
	.set _ZL37rocblas_syrkx_herkx_restricted_kernelIidLi16ELi32ELi8ELi1ELi1ELb0ELc84ELc85EKddEviT_PT9_S1_lS3_S1_lPT10_S1_li.num_agpr, 0
	.set _ZL37rocblas_syrkx_herkx_restricted_kernelIidLi16ELi32ELi8ELi1ELi1ELb0ELc84ELc85EKddEviT_PT9_S1_lS3_S1_lPT10_S1_li.numbered_sgpr, 22
	.set _ZL37rocblas_syrkx_herkx_restricted_kernelIidLi16ELi32ELi8ELi1ELi1ELb0ELc84ELc85EKddEviT_PT9_S1_lS3_S1_lPT10_S1_li.num_named_barrier, 0
	.set _ZL37rocblas_syrkx_herkx_restricted_kernelIidLi16ELi32ELi8ELi1ELi1ELb0ELc84ELc85EKddEviT_PT9_S1_lS3_S1_lPT10_S1_li.private_seg_size, 0
	.set _ZL37rocblas_syrkx_herkx_restricted_kernelIidLi16ELi32ELi8ELi1ELi1ELb0ELc84ELc85EKddEviT_PT9_S1_lS3_S1_lPT10_S1_li.uses_vcc, 1
	.set _ZL37rocblas_syrkx_herkx_restricted_kernelIidLi16ELi32ELi8ELi1ELi1ELb0ELc84ELc85EKddEviT_PT9_S1_lS3_S1_lPT10_S1_li.uses_flat_scratch, 0
	.set _ZL37rocblas_syrkx_herkx_restricted_kernelIidLi16ELi32ELi8ELi1ELi1ELb0ELc84ELc85EKddEviT_PT9_S1_lS3_S1_lPT10_S1_li.has_dyn_sized_stack, 0
	.set _ZL37rocblas_syrkx_herkx_restricted_kernelIidLi16ELi32ELi8ELi1ELi1ELb0ELc84ELc85EKddEviT_PT9_S1_lS3_S1_lPT10_S1_li.has_recursion, 0
	.set _ZL37rocblas_syrkx_herkx_restricted_kernelIidLi16ELi32ELi8ELi1ELi1ELb0ELc84ELc85EKddEviT_PT9_S1_lS3_S1_lPT10_S1_li.has_indirect_call, 0
	.section	.AMDGPU.csdata,"",@progbits
; Kernel info:
; codeLenInByte = 1316
; TotalNumSgprs: 26
; NumVgprs: 32
; ScratchSize: 0
; MemoryBound: 0
; FloatMode: 240
; IeeeMode: 1
; LDSByteSize: 4096 bytes/workgroup (compile time only)
; SGPRBlocks: 3
; VGPRBlocks: 7
; NumSGPRsForWavesPerEU: 26
; NumVGPRsForWavesPerEU: 32
; Occupancy: 8
; WaveLimiterHint : 0
; COMPUTE_PGM_RSRC2:SCRATCH_EN: 0
; COMPUTE_PGM_RSRC2:USER_SGPR: 6
; COMPUTE_PGM_RSRC2:TRAP_HANDLER: 0
; COMPUTE_PGM_RSRC2:TGID_X_EN: 1
; COMPUTE_PGM_RSRC2:TGID_Y_EN: 1
; COMPUTE_PGM_RSRC2:TGID_Z_EN: 1
; COMPUTE_PGM_RSRC2:TIDIG_COMP_CNT: 1
	.section	.text._ZL37rocblas_syrkx_herkx_restricted_kernelIidLi16ELi32ELi8ELi1ELi1ELb0ELc67ELc85EKddEviT_PT9_S1_lS3_S1_lPT10_S1_li,"axG",@progbits,_ZL37rocblas_syrkx_herkx_restricted_kernelIidLi16ELi32ELi8ELi1ELi1ELb0ELc67ELc85EKddEviT_PT9_S1_lS3_S1_lPT10_S1_li,comdat
	.globl	_ZL37rocblas_syrkx_herkx_restricted_kernelIidLi16ELi32ELi8ELi1ELi1ELb0ELc67ELc85EKddEviT_PT9_S1_lS3_S1_lPT10_S1_li ; -- Begin function _ZL37rocblas_syrkx_herkx_restricted_kernelIidLi16ELi32ELi8ELi1ELi1ELb0ELc67ELc85EKddEviT_PT9_S1_lS3_S1_lPT10_S1_li
	.p2align	8
	.type	_ZL37rocblas_syrkx_herkx_restricted_kernelIidLi16ELi32ELi8ELi1ELi1ELb0ELc67ELc85EKddEviT_PT9_S1_lS3_S1_lPT10_S1_li,@function
_ZL37rocblas_syrkx_herkx_restricted_kernelIidLi16ELi32ELi8ELi1ELi1ELb0ELc67ELc85EKddEviT_PT9_S1_lS3_S1_lPT10_S1_li: ; @_ZL37rocblas_syrkx_herkx_restricted_kernelIidLi16ELi32ELi8ELi1ELi1ELb0ELc67ELc85EKddEviT_PT9_S1_lS3_S1_lPT10_S1_li
; %bb.0:
	s_load_dwordx2 s[10:11], s[4:5], 0x0
	s_load_dwordx4 s[0:3], s[4:5], 0x30
	s_lshl_b32 s6, s6, 5
	s_lshl_b32 s7, s7, 5
	s_mov_b32 s9, 0
	s_waitcnt lgkmcnt(0)
	s_cmp_lt_i32 s11, 1
	s_cbranch_scc1 .LBB83_3
; %bb.1:
	s_load_dwordx2 s[16:17], s[4:5], 0x8
	s_load_dword s20, s[4:5], 0x10
	s_load_dwordx4 s[12:15], s[4:5], 0x18
	s_load_dword s18, s[4:5], 0x28
	v_lshl_add_u32 v6, v1, 4, v0
	v_lshrrev_b32_e32 v8, 3, v6
	v_add_u32_e32 v4, s7, v8
	v_and_b32_e32 v2, 7, v0
	v_mov_b32_e32 v3, 0
	s_waitcnt lgkmcnt(0)
	v_mad_i64_i32 v[4:5], s[18:19], s18, v4, v[2:3]
	v_lshlrev_b32_e32 v2, 3, v2
	v_and_b32_e32 v9, 31, v6
	v_lshl_or_b32 v2, v8, 6, v2
	v_lshrrev_b32_e32 v6, 5, v6
	v_mov_b32_e32 v7, v3
	v_lshlrev_b32_e32 v3, 3, v9
	v_add_u32_e32 v15, 0x800, v2
	v_add_u32_e32 v2, s6, v9
	v_lshl_or_b32 v14, v6, 8, v3
	v_mad_i64_i32 v[2:3], s[18:19], s20, v2, v[6:7]
	s_mul_i32 s13, s13, s8
	s_mul_hi_u32 s21, s12, s8
	s_add_i32 s13, s21, s13
	s_mul_i32 s12, s12, s8
	s_lshl_b64 s[12:13], s[12:13], 3
	v_lshlrev_b64 v[2:3], 3, v[2:3]
	s_add_u32 s12, s16, s12
	v_add_co_u32_e32 v2, vcc, s12, v2
	s_mul_i32 s1, s1, s8
	s_mul_hi_u32 s12, s0, s8
	s_addc_u32 s13, s17, s13
	s_add_i32 s1, s12, s1
	s_mul_i32 s0, s0, s8
	s_lshl_b64 s[0:1], s[0:1], 3
	v_mov_b32_e32 v6, s13
	v_lshlrev_b64 v[4:5], 3, v[4:5]
	s_add_u32 s0, s14, s0
	v_addc_co_u32_e32 v3, vcc, v6, v3, vcc
	s_addc_u32 s1, s15, s1
	v_mov_b32_e32 v6, s1
	v_add_co_u32_e32 v4, vcc, s0, v4
	v_mov_b32_e32 v17, 0x800
	v_addc_co_u32_e32 v5, vcc, v6, v5, vcc
	v_mov_b32_e32 v6, 0
	v_mov_b32_e32 v8, 0
	;; [unrolled: 1-line block ×4, first 2 shown]
	v_lshlrev_b32_e32 v16, 3, v0
	v_mov_b32_e32 v7, 0
	v_mov_b32_e32 v9, 0
	;; [unrolled: 1-line block ×4, first 2 shown]
	v_lshl_add_u32 v17, v1, 6, v17
.LBB83_2:                               ; =>This Inner Loop Header: Depth=1
	global_load_dwordx2 v[18:19], v[2:3], off
	global_load_dwordx2 v[20:21], v[4:5], off
	s_add_i32 s9, s9, 8
	v_add_co_u32_e32 v2, vcc, 64, v2
	v_add_co_u32_e64 v4, s[0:1], 64, v4
	v_addc_co_u32_e32 v3, vcc, 0, v3, vcc
	v_addc_co_u32_e64 v5, vcc, 0, v5, s[0:1]
	s_cmp_ge_i32 s9, s11
	s_waitcnt vmcnt(1)
	ds_write_b64 v14, v[18:19]
	s_waitcnt vmcnt(0)
	ds_write_b64 v15, v[20:21]
	s_waitcnt lgkmcnt(0)
	s_barrier
	ds_read2_b64 v[18:21], v16 offset1:16
	ds_read_b128 v[22:25], v17
	s_waitcnt lgkmcnt(0)
	v_fma_f64 v[26:27], v[18:19], v[22:23], v[12:13]
	v_fma_f64 v[22:23], v[20:21], v[22:23], v[10:11]
	ds_read_b128 v[10:13], v17 offset:1024
	s_waitcnt lgkmcnt(0)
	v_fma_f64 v[18:19], v[18:19], v[10:11], v[8:9]
	v_fma_f64 v[10:11], v[20:21], v[10:11], v[6:7]
	ds_read2_b64 v[6:9], v16 offset0:32 offset1:48
	s_waitcnt lgkmcnt(0)
	v_fma_f64 v[20:21], v[6:7], v[24:25], v[26:27]
	v_fma_f64 v[22:23], v[8:9], v[24:25], v[22:23]
	;; [unrolled: 1-line block ×4, first 2 shown]
	ds_read_b128 v[6:9], v17 offset:16
	ds_read2_b64 v[10:13], v16 offset0:64 offset1:80
	s_waitcnt lgkmcnt(0)
	v_fma_f64 v[28:29], v[10:11], v[6:7], v[20:21]
	ds_read_b128 v[18:21], v17 offset:1040
	v_fma_f64 v[6:7], v[12:13], v[6:7], v[22:23]
	s_waitcnt lgkmcnt(0)
	v_fma_f64 v[22:23], v[10:11], v[18:19], v[24:25]
	v_fma_f64 v[18:19], v[12:13], v[18:19], v[26:27]
	ds_read2_b64 v[10:13], v16 offset0:96 offset1:112
	s_waitcnt lgkmcnt(0)
	v_fma_f64 v[24:25], v[10:11], v[8:9], v[28:29]
	v_fma_f64 v[26:27], v[12:13], v[8:9], v[6:7]
	;; [unrolled: 1-line block ×4, first 2 shown]
	ds_read2_b64 v[6:9], v16 offset0:128 offset1:144
	ds_read_b128 v[10:13], v17 offset:32
	ds_read_b128 v[18:21], v17 offset:1056
	s_waitcnt lgkmcnt(1)
	v_fma_f64 v[24:25], v[6:7], v[10:11], v[24:25]
	v_fma_f64 v[10:11], v[8:9], v[10:11], v[26:27]
	s_waitcnt lgkmcnt(0)
	v_fma_f64 v[22:23], v[6:7], v[18:19], v[22:23]
	v_fma_f64 v[18:19], v[8:9], v[18:19], v[28:29]
	ds_read2_b64 v[6:9], v16 offset0:160 offset1:176
	s_waitcnt lgkmcnt(0)
	v_fma_f64 v[24:25], v[6:7], v[12:13], v[24:25]
	v_fma_f64 v[26:27], v[8:9], v[12:13], v[10:11]
	v_fma_f64 v[22:23], v[6:7], v[20:21], v[22:23]
	v_fma_f64 v[28:29], v[8:9], v[20:21], v[18:19]
	ds_read_b128 v[6:9], v17 offset:48
	ds_read2_b64 v[10:13], v16 offset0:192 offset1:208
	ds_read_b128 v[18:21], v17 offset:1072
	s_waitcnt lgkmcnt(1)
	v_fma_f64 v[30:31], v[10:11], v[6:7], v[24:25]
	v_fma_f64 v[6:7], v[12:13], v[6:7], v[26:27]
	s_waitcnt lgkmcnt(0)
	v_fma_f64 v[26:27], v[10:11], v[18:19], v[22:23]
	v_fma_f64 v[18:19], v[12:13], v[18:19], v[28:29]
	ds_read2_b64 v[22:25], v16 offset0:224 offset1:240
	s_waitcnt lgkmcnt(0)
	s_barrier
	v_fma_f64 v[12:13], v[22:23], v[8:9], v[30:31]
	v_fma_f64 v[10:11], v[24:25], v[8:9], v[6:7]
	;; [unrolled: 1-line block ×4, first 2 shown]
	s_cbranch_scc0 .LBB83_2
	s_branch .LBB83_4
.LBB83_3:
	v_mov_b32_e32 v12, 0
	v_mov_b32_e32 v10, 0
	;; [unrolled: 1-line block ×8, first 2 shown]
.LBB83_4:
	s_load_dwordx2 s[0:1], s[4:5], 0x48
	s_load_dword s9, s[4:5], 0x40
	v_add_u32_e32 v4, s7, v1
	v_add_u32_e32 v0, s6, v0
	v_cmp_gt_i32_e32 vcc, s10, v4
	s_waitcnt lgkmcnt(0)
	s_mul_i32 s1, s1, s8
	v_mad_i64_i32 v[1:2], s[12:13], v4, s9, 0
	s_mul_hi_u32 s4, s0, s8
	s_mul_i32 s0, s0, s8
	s_add_i32 s1, s4, s1
	s_lshl_b64 s[0:1], s[0:1], 3
	s_add_u32 s4, s2, s0
	v_lshlrev_b64 v[1:2], 3, v[1:2]
	s_addc_u32 s5, s3, s1
	v_mov_b32_e32 v3, s5
	v_add_co_u32_e64 v5, s[0:1], s4, v1
	v_addc_co_u32_e64 v14, s[0:1], v3, v2, s[0:1]
	v_cmp_le_i32_e64 s[0:1], v0, v4
	s_and_b64 s[0:1], vcc, s[0:1]
	s_and_saveexec_b64 s[2:3], s[0:1]
	s_cbranch_execz .LBB83_6
; %bb.5:
	v_ashrrev_i32_e32 v1, 31, v0
	v_lshlrev_b64 v[1:2], 3, v[0:1]
	v_add_co_u32_e64 v1, s[0:1], v5, v1
	v_addc_co_u32_e64 v2, s[0:1], v14, v2, s[0:1]
	global_load_dwordx2 v[15:16], v[1:2], off
	s_waitcnt vmcnt(0)
	v_add_f64 v[12:13], v[12:13], v[15:16]
	global_store_dwordx2 v[1:2], v[12:13], off
.LBB83_6:
	s_or_b64 exec, exec, s[2:3]
	v_add_u32_e32 v2, 16, v0
	v_cmp_le_i32_e64 s[0:1], v2, v4
	s_and_b64 s[2:3], vcc, s[0:1]
	s_and_saveexec_b64 s[0:1], s[2:3]
	s_cbranch_execz .LBB83_8
; %bb.7:
	v_ashrrev_i32_e32 v3, 31, v2
	v_lshlrev_b64 v[12:13], 3, v[2:3]
	v_add_co_u32_e32 v12, vcc, v5, v12
	v_addc_co_u32_e32 v13, vcc, v14, v13, vcc
	global_load_dwordx2 v[14:15], v[12:13], off
	s_waitcnt vmcnt(0)
	v_add_f64 v[10:11], v[10:11], v[14:15]
	global_store_dwordx2 v[12:13], v[10:11], off
.LBB83_8:
	s_or_b64 exec, exec, s[0:1]
	v_add_u32_e32 v3, 16, v4
	v_mad_i64_i32 v[4:5], s[0:1], v3, s9, 0
	v_mov_b32_e32 v1, s5
	v_cmp_gt_i32_e32 vcc, s10, v3
	v_lshlrev_b64 v[4:5], 3, v[4:5]
	v_add_co_u32_e64 v4, s[0:1], s4, v4
	v_addc_co_u32_e64 v5, s[0:1], v1, v5, s[0:1]
	v_cmp_le_i32_e64 s[0:1], v0, v3
	s_and_b64 s[0:1], vcc, s[0:1]
	s_and_saveexec_b64 s[2:3], s[0:1]
	s_cbranch_execz .LBB83_10
; %bb.9:
	v_ashrrev_i32_e32 v1, 31, v0
	v_lshlrev_b64 v[0:1], 3, v[0:1]
	v_add_co_u32_e64 v0, s[0:1], v4, v0
	v_addc_co_u32_e64 v1, s[0:1], v5, v1, s[0:1]
	global_load_dwordx2 v[10:11], v[0:1], off
	s_waitcnt vmcnt(0)
	v_add_f64 v[8:9], v[8:9], v[10:11]
	global_store_dwordx2 v[0:1], v[8:9], off
.LBB83_10:
	s_or_b64 exec, exec, s[2:3]
	v_cmp_le_i32_e64 s[0:1], v2, v3
	s_and_b64 s[0:1], vcc, s[0:1]
	s_and_saveexec_b64 s[2:3], s[0:1]
	s_cbranch_execz .LBB83_12
; %bb.11:
	v_ashrrev_i32_e32 v3, 31, v2
	v_lshlrev_b64 v[0:1], 3, v[2:3]
	v_add_co_u32_e32 v0, vcc, v4, v0
	v_addc_co_u32_e32 v1, vcc, v5, v1, vcc
	global_load_dwordx2 v[2:3], v[0:1], off
	s_waitcnt vmcnt(0)
	v_add_f64 v[2:3], v[6:7], v[2:3]
	global_store_dwordx2 v[0:1], v[2:3], off
.LBB83_12:
	s_endpgm
	.section	.rodata,"a",@progbits
	.p2align	6, 0x0
	.amdhsa_kernel _ZL37rocblas_syrkx_herkx_restricted_kernelIidLi16ELi32ELi8ELi1ELi1ELb0ELc67ELc85EKddEviT_PT9_S1_lS3_S1_lPT10_S1_li
		.amdhsa_group_segment_fixed_size 4096
		.amdhsa_private_segment_fixed_size 0
		.amdhsa_kernarg_size 84
		.amdhsa_user_sgpr_count 6
		.amdhsa_user_sgpr_private_segment_buffer 1
		.amdhsa_user_sgpr_dispatch_ptr 0
		.amdhsa_user_sgpr_queue_ptr 0
		.amdhsa_user_sgpr_kernarg_segment_ptr 1
		.amdhsa_user_sgpr_dispatch_id 0
		.amdhsa_user_sgpr_flat_scratch_init 0
		.amdhsa_user_sgpr_private_segment_size 0
		.amdhsa_uses_dynamic_stack 0
		.amdhsa_system_sgpr_private_segment_wavefront_offset 0
		.amdhsa_system_sgpr_workgroup_id_x 1
		.amdhsa_system_sgpr_workgroup_id_y 1
		.amdhsa_system_sgpr_workgroup_id_z 1
		.amdhsa_system_sgpr_workgroup_info 0
		.amdhsa_system_vgpr_workitem_id 1
		.amdhsa_next_free_vgpr 32
		.amdhsa_next_free_sgpr 22
		.amdhsa_reserve_vcc 1
		.amdhsa_reserve_flat_scratch 0
		.amdhsa_float_round_mode_32 0
		.amdhsa_float_round_mode_16_64 0
		.amdhsa_float_denorm_mode_32 3
		.amdhsa_float_denorm_mode_16_64 3
		.amdhsa_dx10_clamp 1
		.amdhsa_ieee_mode 1
		.amdhsa_fp16_overflow 0
		.amdhsa_exception_fp_ieee_invalid_op 0
		.amdhsa_exception_fp_denorm_src 0
		.amdhsa_exception_fp_ieee_div_zero 0
		.amdhsa_exception_fp_ieee_overflow 0
		.amdhsa_exception_fp_ieee_underflow 0
		.amdhsa_exception_fp_ieee_inexact 0
		.amdhsa_exception_int_div_zero 0
	.end_amdhsa_kernel
	.section	.text._ZL37rocblas_syrkx_herkx_restricted_kernelIidLi16ELi32ELi8ELi1ELi1ELb0ELc67ELc85EKddEviT_PT9_S1_lS3_S1_lPT10_S1_li,"axG",@progbits,_ZL37rocblas_syrkx_herkx_restricted_kernelIidLi16ELi32ELi8ELi1ELi1ELb0ELc67ELc85EKddEviT_PT9_S1_lS3_S1_lPT10_S1_li,comdat
.Lfunc_end83:
	.size	_ZL37rocblas_syrkx_herkx_restricted_kernelIidLi16ELi32ELi8ELi1ELi1ELb0ELc67ELc85EKddEviT_PT9_S1_lS3_S1_lPT10_S1_li, .Lfunc_end83-_ZL37rocblas_syrkx_herkx_restricted_kernelIidLi16ELi32ELi8ELi1ELi1ELb0ELc67ELc85EKddEviT_PT9_S1_lS3_S1_lPT10_S1_li
                                        ; -- End function
	.set _ZL37rocblas_syrkx_herkx_restricted_kernelIidLi16ELi32ELi8ELi1ELi1ELb0ELc67ELc85EKddEviT_PT9_S1_lS3_S1_lPT10_S1_li.num_vgpr, 32
	.set _ZL37rocblas_syrkx_herkx_restricted_kernelIidLi16ELi32ELi8ELi1ELi1ELb0ELc67ELc85EKddEviT_PT9_S1_lS3_S1_lPT10_S1_li.num_agpr, 0
	.set _ZL37rocblas_syrkx_herkx_restricted_kernelIidLi16ELi32ELi8ELi1ELi1ELb0ELc67ELc85EKddEviT_PT9_S1_lS3_S1_lPT10_S1_li.numbered_sgpr, 22
	.set _ZL37rocblas_syrkx_herkx_restricted_kernelIidLi16ELi32ELi8ELi1ELi1ELb0ELc67ELc85EKddEviT_PT9_S1_lS3_S1_lPT10_S1_li.num_named_barrier, 0
	.set _ZL37rocblas_syrkx_herkx_restricted_kernelIidLi16ELi32ELi8ELi1ELi1ELb0ELc67ELc85EKddEviT_PT9_S1_lS3_S1_lPT10_S1_li.private_seg_size, 0
	.set _ZL37rocblas_syrkx_herkx_restricted_kernelIidLi16ELi32ELi8ELi1ELi1ELb0ELc67ELc85EKddEviT_PT9_S1_lS3_S1_lPT10_S1_li.uses_vcc, 1
	.set _ZL37rocblas_syrkx_herkx_restricted_kernelIidLi16ELi32ELi8ELi1ELi1ELb0ELc67ELc85EKddEviT_PT9_S1_lS3_S1_lPT10_S1_li.uses_flat_scratch, 0
	.set _ZL37rocblas_syrkx_herkx_restricted_kernelIidLi16ELi32ELi8ELi1ELi1ELb0ELc67ELc85EKddEviT_PT9_S1_lS3_S1_lPT10_S1_li.has_dyn_sized_stack, 0
	.set _ZL37rocblas_syrkx_herkx_restricted_kernelIidLi16ELi32ELi8ELi1ELi1ELb0ELc67ELc85EKddEviT_PT9_S1_lS3_S1_lPT10_S1_li.has_recursion, 0
	.set _ZL37rocblas_syrkx_herkx_restricted_kernelIidLi16ELi32ELi8ELi1ELi1ELb0ELc67ELc85EKddEviT_PT9_S1_lS3_S1_lPT10_S1_li.has_indirect_call, 0
	.section	.AMDGPU.csdata,"",@progbits
; Kernel info:
; codeLenInByte = 1316
; TotalNumSgprs: 26
; NumVgprs: 32
; ScratchSize: 0
; MemoryBound: 0
; FloatMode: 240
; IeeeMode: 1
; LDSByteSize: 4096 bytes/workgroup (compile time only)
; SGPRBlocks: 3
; VGPRBlocks: 7
; NumSGPRsForWavesPerEU: 26
; NumVGPRsForWavesPerEU: 32
; Occupancy: 8
; WaveLimiterHint : 0
; COMPUTE_PGM_RSRC2:SCRATCH_EN: 0
; COMPUTE_PGM_RSRC2:USER_SGPR: 6
; COMPUTE_PGM_RSRC2:TRAP_HANDLER: 0
; COMPUTE_PGM_RSRC2:TGID_X_EN: 1
; COMPUTE_PGM_RSRC2:TGID_Y_EN: 1
; COMPUTE_PGM_RSRC2:TGID_Z_EN: 1
; COMPUTE_PGM_RSRC2:TIDIG_COMP_CNT: 1
	.section	.text._ZL37rocblas_syrkx_herkx_restricted_kernelIidLi16ELi32ELi8ELi1ELi1ELb0ELc78ELc85EKddEviT_PT9_S1_lS3_S1_lPT10_S1_li,"axG",@progbits,_ZL37rocblas_syrkx_herkx_restricted_kernelIidLi16ELi32ELi8ELi1ELi1ELb0ELc78ELc85EKddEviT_PT9_S1_lS3_S1_lPT10_S1_li,comdat
	.globl	_ZL37rocblas_syrkx_herkx_restricted_kernelIidLi16ELi32ELi8ELi1ELi1ELb0ELc78ELc85EKddEviT_PT9_S1_lS3_S1_lPT10_S1_li ; -- Begin function _ZL37rocblas_syrkx_herkx_restricted_kernelIidLi16ELi32ELi8ELi1ELi1ELb0ELc78ELc85EKddEviT_PT9_S1_lS3_S1_lPT10_S1_li
	.p2align	8
	.type	_ZL37rocblas_syrkx_herkx_restricted_kernelIidLi16ELi32ELi8ELi1ELi1ELb0ELc78ELc85EKddEviT_PT9_S1_lS3_S1_lPT10_S1_li,@function
_ZL37rocblas_syrkx_herkx_restricted_kernelIidLi16ELi32ELi8ELi1ELi1ELb0ELc78ELc85EKddEviT_PT9_S1_lS3_S1_lPT10_S1_li: ; @_ZL37rocblas_syrkx_herkx_restricted_kernelIidLi16ELi32ELi8ELi1ELi1ELb0ELc78ELc85EKddEviT_PT9_S1_lS3_S1_lPT10_S1_li
; %bb.0:
	s_load_dwordx2 s[10:11], s[4:5], 0x0
	s_load_dwordx4 s[0:3], s[4:5], 0x30
	s_lshl_b32 s9, s6, 5
	s_lshl_b32 s16, s7, 5
	s_mov_b32 s17, 0
	s_waitcnt lgkmcnt(0)
	s_cmp_lt_i32 s11, 1
	s_cbranch_scc1 .LBB84_3
; %bb.1:
	v_lshl_add_u32 v7, v1, 4, v0
	s_load_dword s6, s[4:5], 0x10
	s_load_dword s18, s[4:5], 0x28
	s_load_dwordx2 s[20:21], s[4:5], 0x8
	s_load_dwordx4 s[12:15], s[4:5], 0x18
	v_lshrrev_b32_e32 v8, 3, v7
	v_add_u32_e32 v2, s16, v8
	v_and_b32_e32 v6, 7, v0
	v_ashrrev_i32_e32 v3, 31, v2
	s_waitcnt lgkmcnt(0)
	v_mad_i64_i32 v[4:5], s[22:23], s18, v6, v[2:3]
	v_and_b32_e32 v2, 31, v7
	v_lshrrev_b32_e32 v9, 5, v7
	v_lshlrev_b32_e32 v3, 3, v2
	v_lshl_or_b32 v14, v9, 8, v3
	v_lshlrev_b32_e32 v3, 3, v6
	v_lshl_or_b32 v3, v8, 6, v3
	v_add_u32_e32 v15, 0x800, v3
	v_mov_b32_e32 v3, 0x800
	v_add_u32_e32 v2, s9, v2
	v_lshl_add_u32 v17, v1, 6, v3
	v_ashrrev_i32_e32 v3, 31, v2
	v_mad_i64_i32 v[2:3], s[22:23], s6, v9, v[2:3]
	s_mul_i32 s13, s13, s8
	s_mul_hi_u32 s24, s12, s8
	s_add_i32 s13, s24, s13
	s_mul_i32 s12, s12, s8
	s_ashr_i32 s7, s6, 31
	s_ashr_i32 s19, s18, 31
	s_lshl_b64 s[12:13], s[12:13], 3
	v_lshlrev_b64 v[2:3], 3, v[2:3]
	s_add_u32 s12, s20, s12
	v_add_co_u32_e32 v2, vcc, s12, v2
	s_mul_i32 s1, s1, s8
	s_mul_hi_u32 s12, s0, s8
	s_addc_u32 s13, s21, s13
	s_add_i32 s1, s12, s1
	s_mul_i32 s0, s0, s8
	s_lshl_b64 s[6:7], s[6:7], 6
	s_lshl_b64 s[0:1], s[0:1], 3
	v_mov_b32_e32 v6, s13
	v_lshlrev_b64 v[4:5], 3, v[4:5]
	s_add_u32 s0, s14, s0
	v_addc_co_u32_e32 v3, vcc, v6, v3, vcc
	s_addc_u32 s1, s15, s1
	v_mov_b32_e32 v7, s1
	v_add_co_u32_e32 v6, vcc, s0, v4
	v_addc_co_u32_e32 v7, vcc, v7, v5, vcc
	s_lshl_b64 s[12:13], s[18:19], 6
	v_mov_b32_e32 v4, 0
	v_mov_b32_e32 v8, 0
	;; [unrolled: 1-line block ×4, first 2 shown]
	v_lshlrev_b32_e32 v16, 3, v0
	v_mov_b32_e32 v5, 0
	v_mov_b32_e32 v18, s7
	;; [unrolled: 1-line block ×6, first 2 shown]
.LBB84_2:                               ; =>This Inner Loop Header: Depth=1
	global_load_dwordx2 v[20:21], v[2:3], off
	global_load_dwordx2 v[22:23], v[6:7], off
	s_add_i32 s17, s17, 8
	v_add_co_u32_e32 v2, vcc, s6, v2
	v_add_co_u32_e64 v6, s[0:1], s12, v6
	v_addc_co_u32_e32 v3, vcc, v3, v18, vcc
	v_addc_co_u32_e64 v7, vcc, v7, v19, s[0:1]
	s_cmp_ge_i32 s17, s11
	s_waitcnt vmcnt(1)
	ds_write_b64 v14, v[20:21]
	s_waitcnt vmcnt(0)
	ds_write_b64 v15, v[22:23]
	s_waitcnt lgkmcnt(0)
	s_barrier
	ds_read2_b64 v[20:23], v16 offset1:16
	ds_read_b128 v[24:27], v17
	s_waitcnt lgkmcnt(0)
	v_fma_f64 v[28:29], v[20:21], v[24:25], v[12:13]
	v_fma_f64 v[24:25], v[22:23], v[24:25], v[10:11]
	ds_read_b128 v[10:13], v17 offset:1024
	s_waitcnt lgkmcnt(0)
	v_fma_f64 v[20:21], v[20:21], v[10:11], v[8:9]
	v_fma_f64 v[4:5], v[22:23], v[10:11], v[4:5]
	ds_read2_b64 v[8:11], v16 offset0:32 offset1:48
	s_waitcnt lgkmcnt(0)
	v_fma_f64 v[28:29], v[8:9], v[26:27], v[28:29]
	v_fma_f64 v[24:25], v[10:11], v[26:27], v[24:25]
	;; [unrolled: 1-line block ×4, first 2 shown]
	ds_read_b128 v[8:11], v17 offset:16
	ds_read2_b64 v[20:23], v16 offset0:64 offset1:80
	s_waitcnt lgkmcnt(0)
	v_fma_f64 v[12:13], v[20:21], v[8:9], v[28:29]
	v_fma_f64 v[8:9], v[22:23], v[8:9], v[24:25]
	ds_read_b128 v[24:27], v17 offset:1040
	s_waitcnt lgkmcnt(0)
	v_fma_f64 v[28:29], v[20:21], v[24:25], v[30:31]
	v_fma_f64 v[4:5], v[22:23], v[24:25], v[4:5]
	ds_read2_b64 v[20:23], v16 offset0:96 offset1:112
	s_waitcnt lgkmcnt(0)
	v_fma_f64 v[12:13], v[20:21], v[10:11], v[12:13]
	v_fma_f64 v[24:25], v[22:23], v[10:11], v[8:9]
	;; [unrolled: 1-line block ×4, first 2 shown]
	ds_read2_b64 v[8:11], v16 offset0:128 offset1:144
	ds_read_b128 v[20:23], v17 offset:32
	s_waitcnt lgkmcnt(0)
	v_fma_f64 v[12:13], v[8:9], v[20:21], v[12:13]
	v_fma_f64 v[20:21], v[10:11], v[20:21], v[24:25]
	ds_read_b128 v[24:27], v17 offset:1056
	s_waitcnt lgkmcnt(0)
	v_fma_f64 v[28:29], v[8:9], v[24:25], v[28:29]
	v_fma_f64 v[4:5], v[10:11], v[24:25], v[4:5]
	ds_read2_b64 v[8:11], v16 offset0:160 offset1:176
	s_waitcnt lgkmcnt(0)
	v_fma_f64 v[12:13], v[8:9], v[22:23], v[12:13]
	v_fma_f64 v[24:25], v[10:11], v[22:23], v[20:21]
	;; [unrolled: 1-line block ×4, first 2 shown]
	ds_read_b128 v[8:11], v17 offset:48
	ds_read2_b64 v[20:23], v16 offset0:192 offset1:208
	s_waitcnt lgkmcnt(0)
	v_fma_f64 v[12:13], v[20:21], v[8:9], v[12:13]
	v_fma_f64 v[8:9], v[22:23], v[8:9], v[24:25]
	ds_read_b128 v[24:27], v17 offset:1072
	s_waitcnt lgkmcnt(0)
	v_fma_f64 v[28:29], v[20:21], v[24:25], v[28:29]
	v_fma_f64 v[4:5], v[22:23], v[24:25], v[4:5]
	ds_read2_b64 v[20:23], v16 offset0:224 offset1:240
	s_waitcnt lgkmcnt(0)
	s_barrier
	v_fma_f64 v[12:13], v[20:21], v[10:11], v[12:13]
	v_fma_f64 v[10:11], v[22:23], v[10:11], v[8:9]
	;; [unrolled: 1-line block ×4, first 2 shown]
	s_cbranch_scc0 .LBB84_2
	s_branch .LBB84_4
.LBB84_3:
	v_mov_b32_e32 v12, 0
	v_mov_b32_e32 v10, 0
	v_mov_b32_e32 v8, 0
	v_mov_b32_e32 v4, 0
	v_mov_b32_e32 v13, 0
	v_mov_b32_e32 v11, 0
	v_mov_b32_e32 v9, 0
	v_mov_b32_e32 v5, 0
.LBB84_4:
	s_load_dwordx2 s[0:1], s[4:5], 0x48
	s_load_dword s6, s[4:5], 0x40
	v_add_u32_e32 v6, s16, v1
	v_add_u32_e32 v0, s9, v0
	v_cmp_gt_i32_e32 vcc, s10, v6
	s_waitcnt lgkmcnt(0)
	s_mul_i32 s1, s1, s8
	v_mad_i64_i32 v[1:2], s[12:13], v6, s6, 0
	s_mul_hi_u32 s4, s0, s8
	s_mul_i32 s0, s0, s8
	s_add_i32 s1, s4, s1
	s_lshl_b64 s[0:1], s[0:1], 3
	s_add_u32 s4, s2, s0
	v_lshlrev_b64 v[1:2], 3, v[1:2]
	s_addc_u32 s5, s3, s1
	v_mov_b32_e32 v3, s5
	v_add_co_u32_e64 v7, s[0:1], s4, v1
	v_addc_co_u32_e64 v14, s[0:1], v3, v2, s[0:1]
	v_cmp_le_i32_e64 s[0:1], v0, v6
	s_and_b64 s[0:1], vcc, s[0:1]
	s_and_saveexec_b64 s[2:3], s[0:1]
	s_cbranch_execz .LBB84_6
; %bb.5:
	v_ashrrev_i32_e32 v1, 31, v0
	v_lshlrev_b64 v[1:2], 3, v[0:1]
	v_add_co_u32_e64 v1, s[0:1], v7, v1
	v_addc_co_u32_e64 v2, s[0:1], v14, v2, s[0:1]
	global_load_dwordx2 v[15:16], v[1:2], off
	s_waitcnt vmcnt(0)
	v_add_f64 v[12:13], v[12:13], v[15:16]
	global_store_dwordx2 v[1:2], v[12:13], off
.LBB84_6:
	s_or_b64 exec, exec, s[2:3]
	v_add_u32_e32 v2, 16, v0
	v_cmp_le_i32_e64 s[0:1], v2, v6
	s_and_b64 s[2:3], vcc, s[0:1]
	s_and_saveexec_b64 s[0:1], s[2:3]
	s_cbranch_execz .LBB84_8
; %bb.7:
	v_ashrrev_i32_e32 v3, 31, v2
	v_lshlrev_b64 v[12:13], 3, v[2:3]
	v_add_co_u32_e32 v12, vcc, v7, v12
	v_addc_co_u32_e32 v13, vcc, v14, v13, vcc
	global_load_dwordx2 v[14:15], v[12:13], off
	s_waitcnt vmcnt(0)
	v_add_f64 v[10:11], v[10:11], v[14:15]
	global_store_dwordx2 v[12:13], v[10:11], off
.LBB84_8:
	s_or_b64 exec, exec, s[0:1]
	v_add_u32_e32 v3, 16, v6
	v_mad_i64_i32 v[6:7], s[0:1], v3, s6, 0
	v_mov_b32_e32 v1, s5
	v_cmp_gt_i32_e32 vcc, s10, v3
	v_lshlrev_b64 v[6:7], 3, v[6:7]
	v_add_co_u32_e64 v6, s[0:1], s4, v6
	v_addc_co_u32_e64 v7, s[0:1], v1, v7, s[0:1]
	v_cmp_le_i32_e64 s[0:1], v0, v3
	s_and_b64 s[0:1], vcc, s[0:1]
	s_and_saveexec_b64 s[2:3], s[0:1]
	s_cbranch_execz .LBB84_10
; %bb.9:
	v_ashrrev_i32_e32 v1, 31, v0
	v_lshlrev_b64 v[0:1], 3, v[0:1]
	v_add_co_u32_e64 v0, s[0:1], v6, v0
	v_addc_co_u32_e64 v1, s[0:1], v7, v1, s[0:1]
	global_load_dwordx2 v[10:11], v[0:1], off
	s_waitcnt vmcnt(0)
	v_add_f64 v[8:9], v[8:9], v[10:11]
	global_store_dwordx2 v[0:1], v[8:9], off
.LBB84_10:
	s_or_b64 exec, exec, s[2:3]
	v_cmp_le_i32_e64 s[0:1], v2, v3
	s_and_b64 s[0:1], vcc, s[0:1]
	s_and_saveexec_b64 s[2:3], s[0:1]
	s_cbranch_execz .LBB84_12
; %bb.11:
	v_ashrrev_i32_e32 v3, 31, v2
	v_lshlrev_b64 v[0:1], 3, v[2:3]
	v_add_co_u32_e32 v0, vcc, v6, v0
	v_addc_co_u32_e32 v1, vcc, v7, v1, vcc
	global_load_dwordx2 v[2:3], v[0:1], off
	s_waitcnt vmcnt(0)
	v_add_f64 v[2:3], v[4:5], v[2:3]
	global_store_dwordx2 v[0:1], v[2:3], off
.LBB84_12:
	s_endpgm
	.section	.rodata,"a",@progbits
	.p2align	6, 0x0
	.amdhsa_kernel _ZL37rocblas_syrkx_herkx_restricted_kernelIidLi16ELi32ELi8ELi1ELi1ELb0ELc78ELc85EKddEviT_PT9_S1_lS3_S1_lPT10_S1_li
		.amdhsa_group_segment_fixed_size 4096
		.amdhsa_private_segment_fixed_size 0
		.amdhsa_kernarg_size 84
		.amdhsa_user_sgpr_count 6
		.amdhsa_user_sgpr_private_segment_buffer 1
		.amdhsa_user_sgpr_dispatch_ptr 0
		.amdhsa_user_sgpr_queue_ptr 0
		.amdhsa_user_sgpr_kernarg_segment_ptr 1
		.amdhsa_user_sgpr_dispatch_id 0
		.amdhsa_user_sgpr_flat_scratch_init 0
		.amdhsa_user_sgpr_private_segment_size 0
		.amdhsa_uses_dynamic_stack 0
		.amdhsa_system_sgpr_private_segment_wavefront_offset 0
		.amdhsa_system_sgpr_workgroup_id_x 1
		.amdhsa_system_sgpr_workgroup_id_y 1
		.amdhsa_system_sgpr_workgroup_id_z 1
		.amdhsa_system_sgpr_workgroup_info 0
		.amdhsa_system_vgpr_workitem_id 1
		.amdhsa_next_free_vgpr 32
		.amdhsa_next_free_sgpr 25
		.amdhsa_reserve_vcc 1
		.amdhsa_reserve_flat_scratch 0
		.amdhsa_float_round_mode_32 0
		.amdhsa_float_round_mode_16_64 0
		.amdhsa_float_denorm_mode_32 3
		.amdhsa_float_denorm_mode_16_64 3
		.amdhsa_dx10_clamp 1
		.amdhsa_ieee_mode 1
		.amdhsa_fp16_overflow 0
		.amdhsa_exception_fp_ieee_invalid_op 0
		.amdhsa_exception_fp_denorm_src 0
		.amdhsa_exception_fp_ieee_div_zero 0
		.amdhsa_exception_fp_ieee_overflow 0
		.amdhsa_exception_fp_ieee_underflow 0
		.amdhsa_exception_fp_ieee_inexact 0
		.amdhsa_exception_int_div_zero 0
	.end_amdhsa_kernel
	.section	.text._ZL37rocblas_syrkx_herkx_restricted_kernelIidLi16ELi32ELi8ELi1ELi1ELb0ELc78ELc85EKddEviT_PT9_S1_lS3_S1_lPT10_S1_li,"axG",@progbits,_ZL37rocblas_syrkx_herkx_restricted_kernelIidLi16ELi32ELi8ELi1ELi1ELb0ELc78ELc85EKddEviT_PT9_S1_lS3_S1_lPT10_S1_li,comdat
.Lfunc_end84:
	.size	_ZL37rocblas_syrkx_herkx_restricted_kernelIidLi16ELi32ELi8ELi1ELi1ELb0ELc78ELc85EKddEviT_PT9_S1_lS3_S1_lPT10_S1_li, .Lfunc_end84-_ZL37rocblas_syrkx_herkx_restricted_kernelIidLi16ELi32ELi8ELi1ELi1ELb0ELc78ELc85EKddEviT_PT9_S1_lS3_S1_lPT10_S1_li
                                        ; -- End function
	.set _ZL37rocblas_syrkx_herkx_restricted_kernelIidLi16ELi32ELi8ELi1ELi1ELb0ELc78ELc85EKddEviT_PT9_S1_lS3_S1_lPT10_S1_li.num_vgpr, 32
	.set _ZL37rocblas_syrkx_herkx_restricted_kernelIidLi16ELi32ELi8ELi1ELi1ELb0ELc78ELc85EKddEviT_PT9_S1_lS3_S1_lPT10_S1_li.num_agpr, 0
	.set _ZL37rocblas_syrkx_herkx_restricted_kernelIidLi16ELi32ELi8ELi1ELi1ELb0ELc78ELc85EKddEviT_PT9_S1_lS3_S1_lPT10_S1_li.numbered_sgpr, 25
	.set _ZL37rocblas_syrkx_herkx_restricted_kernelIidLi16ELi32ELi8ELi1ELi1ELb0ELc78ELc85EKddEviT_PT9_S1_lS3_S1_lPT10_S1_li.num_named_barrier, 0
	.set _ZL37rocblas_syrkx_herkx_restricted_kernelIidLi16ELi32ELi8ELi1ELi1ELb0ELc78ELc85EKddEviT_PT9_S1_lS3_S1_lPT10_S1_li.private_seg_size, 0
	.set _ZL37rocblas_syrkx_herkx_restricted_kernelIidLi16ELi32ELi8ELi1ELi1ELb0ELc78ELc85EKddEviT_PT9_S1_lS3_S1_lPT10_S1_li.uses_vcc, 1
	.set _ZL37rocblas_syrkx_herkx_restricted_kernelIidLi16ELi32ELi8ELi1ELi1ELb0ELc78ELc85EKddEviT_PT9_S1_lS3_S1_lPT10_S1_li.uses_flat_scratch, 0
	.set _ZL37rocblas_syrkx_herkx_restricted_kernelIidLi16ELi32ELi8ELi1ELi1ELb0ELc78ELc85EKddEviT_PT9_S1_lS3_S1_lPT10_S1_li.has_dyn_sized_stack, 0
	.set _ZL37rocblas_syrkx_herkx_restricted_kernelIidLi16ELi32ELi8ELi1ELi1ELb0ELc78ELc85EKddEviT_PT9_S1_lS3_S1_lPT10_S1_li.has_recursion, 0
	.set _ZL37rocblas_syrkx_herkx_restricted_kernelIidLi16ELi32ELi8ELi1ELi1ELb0ELc78ELc85EKddEviT_PT9_S1_lS3_S1_lPT10_S1_li.has_indirect_call, 0
	.section	.AMDGPU.csdata,"",@progbits
; Kernel info:
; codeLenInByte = 1340
; TotalNumSgprs: 29
; NumVgprs: 32
; ScratchSize: 0
; MemoryBound: 0
; FloatMode: 240
; IeeeMode: 1
; LDSByteSize: 4096 bytes/workgroup (compile time only)
; SGPRBlocks: 3
; VGPRBlocks: 7
; NumSGPRsForWavesPerEU: 29
; NumVGPRsForWavesPerEU: 32
; Occupancy: 8
; WaveLimiterHint : 0
; COMPUTE_PGM_RSRC2:SCRATCH_EN: 0
; COMPUTE_PGM_RSRC2:USER_SGPR: 6
; COMPUTE_PGM_RSRC2:TRAP_HANDLER: 0
; COMPUTE_PGM_RSRC2:TGID_X_EN: 1
; COMPUTE_PGM_RSRC2:TGID_Y_EN: 1
; COMPUTE_PGM_RSRC2:TGID_Z_EN: 1
; COMPUTE_PGM_RSRC2:TIDIG_COMP_CNT: 1
	.section	.text._ZL37rocblas_syrkx_herkx_restricted_kernelIidLi16ELi32ELi8ELi1ELin1ELb0ELc84ELc76EKddEviT_PT9_S1_lS3_S1_lPT10_S1_li,"axG",@progbits,_ZL37rocblas_syrkx_herkx_restricted_kernelIidLi16ELi32ELi8ELi1ELin1ELb0ELc84ELc76EKddEviT_PT9_S1_lS3_S1_lPT10_S1_li,comdat
	.globl	_ZL37rocblas_syrkx_herkx_restricted_kernelIidLi16ELi32ELi8ELi1ELin1ELb0ELc84ELc76EKddEviT_PT9_S1_lS3_S1_lPT10_S1_li ; -- Begin function _ZL37rocblas_syrkx_herkx_restricted_kernelIidLi16ELi32ELi8ELi1ELin1ELb0ELc84ELc76EKddEviT_PT9_S1_lS3_S1_lPT10_S1_li
	.p2align	8
	.type	_ZL37rocblas_syrkx_herkx_restricted_kernelIidLi16ELi32ELi8ELi1ELin1ELb0ELc84ELc76EKddEviT_PT9_S1_lS3_S1_lPT10_S1_li,@function
_ZL37rocblas_syrkx_herkx_restricted_kernelIidLi16ELi32ELi8ELi1ELin1ELb0ELc84ELc76EKddEviT_PT9_S1_lS3_S1_lPT10_S1_li: ; @_ZL37rocblas_syrkx_herkx_restricted_kernelIidLi16ELi32ELi8ELi1ELin1ELb0ELc84ELc76EKddEviT_PT9_S1_lS3_S1_lPT10_S1_li
; %bb.0:
	s_load_dwordx2 s[10:11], s[4:5], 0x0
	s_load_dwordx4 s[0:3], s[4:5], 0x30
	s_lshl_b32 s6, s6, 5
	s_lshl_b32 s7, s7, 5
	s_mov_b32 s9, 0
	s_waitcnt lgkmcnt(0)
	s_cmp_lt_i32 s11, 1
	s_cbranch_scc1 .LBB85_3
; %bb.1:
	s_load_dwordx2 s[16:17], s[4:5], 0x8
	s_load_dword s20, s[4:5], 0x10
	s_load_dwordx4 s[12:15], s[4:5], 0x18
	s_load_dword s18, s[4:5], 0x28
	v_lshl_add_u32 v6, v1, 4, v0
	v_lshrrev_b32_e32 v8, 3, v6
	v_add_u32_e32 v4, s7, v8
	v_and_b32_e32 v2, 7, v0
	v_mov_b32_e32 v3, 0
	s_waitcnt lgkmcnt(0)
	v_mad_i64_i32 v[4:5], s[18:19], s18, v4, v[2:3]
	v_lshlrev_b32_e32 v2, 3, v2
	v_and_b32_e32 v9, 31, v6
	v_lshl_or_b32 v2, v8, 6, v2
	v_lshrrev_b32_e32 v6, 5, v6
	v_mov_b32_e32 v7, v3
	v_lshlrev_b32_e32 v3, 3, v9
	v_add_u32_e32 v15, 0x800, v2
	v_add_u32_e32 v2, s6, v9
	v_lshl_or_b32 v14, v6, 8, v3
	v_mad_i64_i32 v[2:3], s[18:19], s20, v2, v[6:7]
	s_mul_i32 s13, s13, s8
	s_mul_hi_u32 s21, s12, s8
	s_add_i32 s13, s21, s13
	s_mul_i32 s12, s12, s8
	s_lshl_b64 s[12:13], s[12:13], 3
	v_lshlrev_b64 v[2:3], 3, v[2:3]
	s_add_u32 s12, s16, s12
	v_add_co_u32_e32 v2, vcc, s12, v2
	s_mul_i32 s1, s1, s8
	s_mul_hi_u32 s12, s0, s8
	s_addc_u32 s13, s17, s13
	s_add_i32 s1, s12, s1
	s_mul_i32 s0, s0, s8
	s_lshl_b64 s[0:1], s[0:1], 3
	v_mov_b32_e32 v6, s13
	v_lshlrev_b64 v[4:5], 3, v[4:5]
	s_add_u32 s0, s14, s0
	v_addc_co_u32_e32 v3, vcc, v6, v3, vcc
	s_addc_u32 s1, s15, s1
	v_mov_b32_e32 v6, s1
	v_add_co_u32_e32 v4, vcc, s0, v4
	v_mov_b32_e32 v17, 0x800
	v_addc_co_u32_e32 v5, vcc, v6, v5, vcc
	v_mov_b32_e32 v6, 0
	v_mov_b32_e32 v8, 0
	;; [unrolled: 1-line block ×4, first 2 shown]
	v_lshlrev_b32_e32 v16, 3, v0
	v_mov_b32_e32 v7, 0
	v_mov_b32_e32 v9, 0
	;; [unrolled: 1-line block ×4, first 2 shown]
	v_lshl_add_u32 v17, v1, 6, v17
.LBB85_2:                               ; =>This Inner Loop Header: Depth=1
	global_load_dwordx2 v[18:19], v[2:3], off
	global_load_dwordx2 v[20:21], v[4:5], off
	s_add_i32 s9, s9, 8
	v_add_co_u32_e32 v2, vcc, 64, v2
	v_add_co_u32_e64 v4, s[0:1], 64, v4
	v_addc_co_u32_e32 v3, vcc, 0, v3, vcc
	v_addc_co_u32_e64 v5, vcc, 0, v5, s[0:1]
	s_cmp_ge_i32 s9, s11
	s_waitcnt vmcnt(1)
	ds_write_b64 v14, v[18:19]
	s_waitcnt vmcnt(0)
	ds_write_b64 v15, v[20:21]
	s_waitcnt lgkmcnt(0)
	s_barrier
	ds_read2_b64 v[18:21], v16 offset1:16
	ds_read_b128 v[22:25], v17
	s_waitcnt lgkmcnt(0)
	v_fma_f64 v[26:27], v[18:19], v[22:23], v[12:13]
	v_fma_f64 v[22:23], v[20:21], v[22:23], v[10:11]
	ds_read_b128 v[10:13], v17 offset:1024
	s_waitcnt lgkmcnt(0)
	v_fma_f64 v[18:19], v[18:19], v[10:11], v[8:9]
	v_fma_f64 v[10:11], v[20:21], v[10:11], v[6:7]
	ds_read2_b64 v[6:9], v16 offset0:32 offset1:48
	s_waitcnt lgkmcnt(0)
	v_fma_f64 v[20:21], v[6:7], v[24:25], v[26:27]
	v_fma_f64 v[22:23], v[8:9], v[24:25], v[22:23]
	;; [unrolled: 1-line block ×4, first 2 shown]
	ds_read_b128 v[6:9], v17 offset:16
	ds_read2_b64 v[10:13], v16 offset0:64 offset1:80
	s_waitcnt lgkmcnt(0)
	v_fma_f64 v[28:29], v[10:11], v[6:7], v[20:21]
	ds_read_b128 v[18:21], v17 offset:1040
	v_fma_f64 v[6:7], v[12:13], v[6:7], v[22:23]
	s_waitcnt lgkmcnt(0)
	v_fma_f64 v[22:23], v[10:11], v[18:19], v[24:25]
	v_fma_f64 v[18:19], v[12:13], v[18:19], v[26:27]
	ds_read2_b64 v[10:13], v16 offset0:96 offset1:112
	s_waitcnt lgkmcnt(0)
	v_fma_f64 v[24:25], v[10:11], v[8:9], v[28:29]
	v_fma_f64 v[26:27], v[12:13], v[8:9], v[6:7]
	;; [unrolled: 1-line block ×4, first 2 shown]
	ds_read2_b64 v[6:9], v16 offset0:128 offset1:144
	ds_read_b128 v[10:13], v17 offset:32
	ds_read_b128 v[18:21], v17 offset:1056
	s_waitcnt lgkmcnt(1)
	v_fma_f64 v[24:25], v[6:7], v[10:11], v[24:25]
	v_fma_f64 v[10:11], v[8:9], v[10:11], v[26:27]
	s_waitcnt lgkmcnt(0)
	v_fma_f64 v[22:23], v[6:7], v[18:19], v[22:23]
	v_fma_f64 v[18:19], v[8:9], v[18:19], v[28:29]
	ds_read2_b64 v[6:9], v16 offset0:160 offset1:176
	s_waitcnt lgkmcnt(0)
	v_fma_f64 v[24:25], v[6:7], v[12:13], v[24:25]
	v_fma_f64 v[26:27], v[8:9], v[12:13], v[10:11]
	v_fma_f64 v[22:23], v[6:7], v[20:21], v[22:23]
	v_fma_f64 v[28:29], v[8:9], v[20:21], v[18:19]
	ds_read_b128 v[6:9], v17 offset:48
	ds_read2_b64 v[10:13], v16 offset0:192 offset1:208
	ds_read_b128 v[18:21], v17 offset:1072
	s_waitcnt lgkmcnt(1)
	v_fma_f64 v[30:31], v[10:11], v[6:7], v[24:25]
	v_fma_f64 v[6:7], v[12:13], v[6:7], v[26:27]
	s_waitcnt lgkmcnt(0)
	v_fma_f64 v[26:27], v[10:11], v[18:19], v[22:23]
	v_fma_f64 v[18:19], v[12:13], v[18:19], v[28:29]
	ds_read2_b64 v[22:25], v16 offset0:224 offset1:240
	s_waitcnt lgkmcnt(0)
	s_barrier
	v_fma_f64 v[12:13], v[22:23], v[8:9], v[30:31]
	v_fma_f64 v[10:11], v[24:25], v[8:9], v[6:7]
	;; [unrolled: 1-line block ×4, first 2 shown]
	s_cbranch_scc0 .LBB85_2
	s_branch .LBB85_4
.LBB85_3:
	v_mov_b32_e32 v12, 0
	v_mov_b32_e32 v10, 0
	;; [unrolled: 1-line block ×8, first 2 shown]
.LBB85_4:
	s_load_dwordx2 s[0:1], s[4:5], 0x48
	s_load_dword s9, s[4:5], 0x40
	v_add_u32_e32 v4, s7, v1
	v_add_u32_e32 v0, s6, v0
	s_waitcnt lgkmcnt(0)
	s_mul_i32 s1, s1, s8
	s_mul_hi_u32 s4, s0, s8
	s_add_i32 s1, s4, s1
	v_mad_i64_i32 v[1:2], s[4:5], v4, s9, 0
	s_mul_i32 s0, s0, s8
	s_lshl_b64 s[0:1], s[0:1], 3
	s_add_u32 s7, s2, s0
	v_lshlrev_b64 v[1:2], 3, v[1:2]
	s_addc_u32 s8, s3, s1
	v_mov_b32_e32 v3, s8
	v_add_co_u32_e32 v5, vcc, s7, v1
	v_addc_co_u32_e32 v14, vcc, v3, v2, vcc
	v_cmp_le_i32_e64 s[0:1], v4, v0
	v_cmp_gt_i32_e32 vcc, s10, v0
	s_and_b64 s[0:1], s[0:1], vcc
	s_and_saveexec_b64 s[2:3], s[0:1]
	s_cbranch_execz .LBB85_6
; %bb.5:
	v_ashrrev_i32_e32 v1, 31, v0
	v_lshlrev_b64 v[1:2], 3, v[0:1]
	v_add_co_u32_e64 v1, s[0:1], v5, v1
	v_addc_co_u32_e64 v2, s[0:1], v14, v2, s[0:1]
	global_load_dwordx2 v[15:16], v[1:2], off
	s_waitcnt vmcnt(0)
	v_add_f64 v[12:13], v[12:13], -v[15:16]
	global_store_dwordx2 v[1:2], v[12:13], off
.LBB85_6:
	s_or_b64 exec, exec, s[2:3]
	v_add_u32_e32 v2, 16, v0
	v_cmp_le_i32_e64 s[2:3], v4, v2
	v_cmp_gt_i32_e64 s[0:1], s10, v2
	s_and_b64 s[2:3], s[2:3], s[0:1]
	s_and_saveexec_b64 s[4:5], s[2:3]
	s_cbranch_execz .LBB85_8
; %bb.7:
	v_ashrrev_i32_e32 v3, 31, v2
	v_lshlrev_b64 v[12:13], 3, v[2:3]
	v_add_co_u32_e64 v12, s[2:3], v5, v12
	v_addc_co_u32_e64 v13, s[2:3], v14, v13, s[2:3]
	global_load_dwordx2 v[14:15], v[12:13], off
	s_waitcnt vmcnt(0)
	v_add_f64 v[10:11], v[10:11], -v[14:15]
	global_store_dwordx2 v[12:13], v[10:11], off
.LBB85_8:
	s_or_b64 exec, exec, s[4:5]
	v_add_u32_e32 v3, 16, v4
	v_mad_i64_i32 v[4:5], s[2:3], v3, s9, 0
	v_mov_b32_e32 v1, s8
	v_lshlrev_b64 v[4:5], 3, v[4:5]
	v_add_co_u32_e64 v4, s[2:3], s7, v4
	v_addc_co_u32_e64 v5, s[2:3], v1, v5, s[2:3]
	v_cmp_le_i32_e64 s[2:3], v3, v0
	s_and_b64 s[4:5], s[2:3], vcc
	s_and_saveexec_b64 s[2:3], s[4:5]
	s_cbranch_execz .LBB85_10
; %bb.9:
	v_ashrrev_i32_e32 v1, 31, v0
	v_lshlrev_b64 v[0:1], 3, v[0:1]
	v_add_co_u32_e32 v0, vcc, v4, v0
	v_addc_co_u32_e32 v1, vcc, v5, v1, vcc
	global_load_dwordx2 v[10:11], v[0:1], off
	s_waitcnt vmcnt(0)
	v_add_f64 v[8:9], v[8:9], -v[10:11]
	global_store_dwordx2 v[0:1], v[8:9], off
.LBB85_10:
	s_or_b64 exec, exec, s[2:3]
	v_cmp_le_i32_e32 vcc, v3, v2
	s_and_b64 s[0:1], vcc, s[0:1]
	s_and_saveexec_b64 s[2:3], s[0:1]
	s_cbranch_execz .LBB85_12
; %bb.11:
	v_ashrrev_i32_e32 v3, 31, v2
	v_lshlrev_b64 v[0:1], 3, v[2:3]
	v_add_co_u32_e32 v0, vcc, v4, v0
	v_addc_co_u32_e32 v1, vcc, v5, v1, vcc
	global_load_dwordx2 v[2:3], v[0:1], off
	s_waitcnt vmcnt(0)
	v_add_f64 v[2:3], v[6:7], -v[2:3]
	global_store_dwordx2 v[0:1], v[2:3], off
.LBB85_12:
	s_endpgm
	.section	.rodata,"a",@progbits
	.p2align	6, 0x0
	.amdhsa_kernel _ZL37rocblas_syrkx_herkx_restricted_kernelIidLi16ELi32ELi8ELi1ELin1ELb0ELc84ELc76EKddEviT_PT9_S1_lS3_S1_lPT10_S1_li
		.amdhsa_group_segment_fixed_size 4096
		.amdhsa_private_segment_fixed_size 0
		.amdhsa_kernarg_size 84
		.amdhsa_user_sgpr_count 6
		.amdhsa_user_sgpr_private_segment_buffer 1
		.amdhsa_user_sgpr_dispatch_ptr 0
		.amdhsa_user_sgpr_queue_ptr 0
		.amdhsa_user_sgpr_kernarg_segment_ptr 1
		.amdhsa_user_sgpr_dispatch_id 0
		.amdhsa_user_sgpr_flat_scratch_init 0
		.amdhsa_user_sgpr_private_segment_size 0
		.amdhsa_uses_dynamic_stack 0
		.amdhsa_system_sgpr_private_segment_wavefront_offset 0
		.amdhsa_system_sgpr_workgroup_id_x 1
		.amdhsa_system_sgpr_workgroup_id_y 1
		.amdhsa_system_sgpr_workgroup_id_z 1
		.amdhsa_system_sgpr_workgroup_info 0
		.amdhsa_system_vgpr_workitem_id 1
		.amdhsa_next_free_vgpr 32
		.amdhsa_next_free_sgpr 22
		.amdhsa_reserve_vcc 1
		.amdhsa_reserve_flat_scratch 0
		.amdhsa_float_round_mode_32 0
		.amdhsa_float_round_mode_16_64 0
		.amdhsa_float_denorm_mode_32 3
		.amdhsa_float_denorm_mode_16_64 3
		.amdhsa_dx10_clamp 1
		.amdhsa_ieee_mode 1
		.amdhsa_fp16_overflow 0
		.amdhsa_exception_fp_ieee_invalid_op 0
		.amdhsa_exception_fp_denorm_src 0
		.amdhsa_exception_fp_ieee_div_zero 0
		.amdhsa_exception_fp_ieee_overflow 0
		.amdhsa_exception_fp_ieee_underflow 0
		.amdhsa_exception_fp_ieee_inexact 0
		.amdhsa_exception_int_div_zero 0
	.end_amdhsa_kernel
	.section	.text._ZL37rocblas_syrkx_herkx_restricted_kernelIidLi16ELi32ELi8ELi1ELin1ELb0ELc84ELc76EKddEviT_PT9_S1_lS3_S1_lPT10_S1_li,"axG",@progbits,_ZL37rocblas_syrkx_herkx_restricted_kernelIidLi16ELi32ELi8ELi1ELin1ELb0ELc84ELc76EKddEviT_PT9_S1_lS3_S1_lPT10_S1_li,comdat
.Lfunc_end85:
	.size	_ZL37rocblas_syrkx_herkx_restricted_kernelIidLi16ELi32ELi8ELi1ELin1ELb0ELc84ELc76EKddEviT_PT9_S1_lS3_S1_lPT10_S1_li, .Lfunc_end85-_ZL37rocblas_syrkx_herkx_restricted_kernelIidLi16ELi32ELi8ELi1ELin1ELb0ELc84ELc76EKddEviT_PT9_S1_lS3_S1_lPT10_S1_li
                                        ; -- End function
	.set _ZL37rocblas_syrkx_herkx_restricted_kernelIidLi16ELi32ELi8ELi1ELin1ELb0ELc84ELc76EKddEviT_PT9_S1_lS3_S1_lPT10_S1_li.num_vgpr, 32
	.set _ZL37rocblas_syrkx_herkx_restricted_kernelIidLi16ELi32ELi8ELi1ELin1ELb0ELc84ELc76EKddEviT_PT9_S1_lS3_S1_lPT10_S1_li.num_agpr, 0
	.set _ZL37rocblas_syrkx_herkx_restricted_kernelIidLi16ELi32ELi8ELi1ELin1ELb0ELc84ELc76EKddEviT_PT9_S1_lS3_S1_lPT10_S1_li.numbered_sgpr, 22
	.set _ZL37rocblas_syrkx_herkx_restricted_kernelIidLi16ELi32ELi8ELi1ELin1ELb0ELc84ELc76EKddEviT_PT9_S1_lS3_S1_lPT10_S1_li.num_named_barrier, 0
	.set _ZL37rocblas_syrkx_herkx_restricted_kernelIidLi16ELi32ELi8ELi1ELin1ELb0ELc84ELc76EKddEviT_PT9_S1_lS3_S1_lPT10_S1_li.private_seg_size, 0
	.set _ZL37rocblas_syrkx_herkx_restricted_kernelIidLi16ELi32ELi8ELi1ELin1ELb0ELc84ELc76EKddEviT_PT9_S1_lS3_S1_lPT10_S1_li.uses_vcc, 1
	.set _ZL37rocblas_syrkx_herkx_restricted_kernelIidLi16ELi32ELi8ELi1ELin1ELb0ELc84ELc76EKddEviT_PT9_S1_lS3_S1_lPT10_S1_li.uses_flat_scratch, 0
	.set _ZL37rocblas_syrkx_herkx_restricted_kernelIidLi16ELi32ELi8ELi1ELin1ELb0ELc84ELc76EKddEviT_PT9_S1_lS3_S1_lPT10_S1_li.has_dyn_sized_stack, 0
	.set _ZL37rocblas_syrkx_herkx_restricted_kernelIidLi16ELi32ELi8ELi1ELin1ELb0ELc84ELc76EKddEviT_PT9_S1_lS3_S1_lPT10_S1_li.has_recursion, 0
	.set _ZL37rocblas_syrkx_herkx_restricted_kernelIidLi16ELi32ELi8ELi1ELin1ELb0ELc84ELc76EKddEviT_PT9_S1_lS3_S1_lPT10_S1_li.has_indirect_call, 0
	.section	.AMDGPU.csdata,"",@progbits
; Kernel info:
; codeLenInByte = 1308
; TotalNumSgprs: 26
; NumVgprs: 32
; ScratchSize: 0
; MemoryBound: 0
; FloatMode: 240
; IeeeMode: 1
; LDSByteSize: 4096 bytes/workgroup (compile time only)
; SGPRBlocks: 3
; VGPRBlocks: 7
; NumSGPRsForWavesPerEU: 26
; NumVGPRsForWavesPerEU: 32
; Occupancy: 8
; WaveLimiterHint : 0
; COMPUTE_PGM_RSRC2:SCRATCH_EN: 0
; COMPUTE_PGM_RSRC2:USER_SGPR: 6
; COMPUTE_PGM_RSRC2:TRAP_HANDLER: 0
; COMPUTE_PGM_RSRC2:TGID_X_EN: 1
; COMPUTE_PGM_RSRC2:TGID_Y_EN: 1
; COMPUTE_PGM_RSRC2:TGID_Z_EN: 1
; COMPUTE_PGM_RSRC2:TIDIG_COMP_CNT: 1
	.section	.text._ZL37rocblas_syrkx_herkx_restricted_kernelIidLi16ELi32ELi8ELi1ELin1ELb0ELc67ELc76EKddEviT_PT9_S1_lS3_S1_lPT10_S1_li,"axG",@progbits,_ZL37rocblas_syrkx_herkx_restricted_kernelIidLi16ELi32ELi8ELi1ELin1ELb0ELc67ELc76EKddEviT_PT9_S1_lS3_S1_lPT10_S1_li,comdat
	.globl	_ZL37rocblas_syrkx_herkx_restricted_kernelIidLi16ELi32ELi8ELi1ELin1ELb0ELc67ELc76EKddEviT_PT9_S1_lS3_S1_lPT10_S1_li ; -- Begin function _ZL37rocblas_syrkx_herkx_restricted_kernelIidLi16ELi32ELi8ELi1ELin1ELb0ELc67ELc76EKddEviT_PT9_S1_lS3_S1_lPT10_S1_li
	.p2align	8
	.type	_ZL37rocblas_syrkx_herkx_restricted_kernelIidLi16ELi32ELi8ELi1ELin1ELb0ELc67ELc76EKddEviT_PT9_S1_lS3_S1_lPT10_S1_li,@function
_ZL37rocblas_syrkx_herkx_restricted_kernelIidLi16ELi32ELi8ELi1ELin1ELb0ELc67ELc76EKddEviT_PT9_S1_lS3_S1_lPT10_S1_li: ; @_ZL37rocblas_syrkx_herkx_restricted_kernelIidLi16ELi32ELi8ELi1ELin1ELb0ELc67ELc76EKddEviT_PT9_S1_lS3_S1_lPT10_S1_li
; %bb.0:
	s_load_dwordx2 s[10:11], s[4:5], 0x0
	s_load_dwordx4 s[0:3], s[4:5], 0x30
	s_lshl_b32 s6, s6, 5
	s_lshl_b32 s7, s7, 5
	s_mov_b32 s9, 0
	s_waitcnt lgkmcnt(0)
	s_cmp_lt_i32 s11, 1
	s_cbranch_scc1 .LBB86_3
; %bb.1:
	s_load_dwordx2 s[16:17], s[4:5], 0x8
	s_load_dword s20, s[4:5], 0x10
	s_load_dwordx4 s[12:15], s[4:5], 0x18
	s_load_dword s18, s[4:5], 0x28
	v_lshl_add_u32 v6, v1, 4, v0
	v_lshrrev_b32_e32 v8, 3, v6
	v_add_u32_e32 v4, s7, v8
	v_and_b32_e32 v2, 7, v0
	v_mov_b32_e32 v3, 0
	s_waitcnt lgkmcnt(0)
	v_mad_i64_i32 v[4:5], s[18:19], s18, v4, v[2:3]
	v_lshlrev_b32_e32 v2, 3, v2
	v_and_b32_e32 v9, 31, v6
	v_lshl_or_b32 v2, v8, 6, v2
	v_lshrrev_b32_e32 v6, 5, v6
	v_mov_b32_e32 v7, v3
	v_lshlrev_b32_e32 v3, 3, v9
	v_add_u32_e32 v15, 0x800, v2
	v_add_u32_e32 v2, s6, v9
	v_lshl_or_b32 v14, v6, 8, v3
	v_mad_i64_i32 v[2:3], s[18:19], s20, v2, v[6:7]
	s_mul_i32 s13, s13, s8
	s_mul_hi_u32 s21, s12, s8
	s_add_i32 s13, s21, s13
	s_mul_i32 s12, s12, s8
	s_lshl_b64 s[12:13], s[12:13], 3
	v_lshlrev_b64 v[2:3], 3, v[2:3]
	s_add_u32 s12, s16, s12
	v_add_co_u32_e32 v2, vcc, s12, v2
	s_mul_i32 s1, s1, s8
	s_mul_hi_u32 s12, s0, s8
	s_addc_u32 s13, s17, s13
	s_add_i32 s1, s12, s1
	s_mul_i32 s0, s0, s8
	s_lshl_b64 s[0:1], s[0:1], 3
	v_mov_b32_e32 v6, s13
	v_lshlrev_b64 v[4:5], 3, v[4:5]
	s_add_u32 s0, s14, s0
	v_addc_co_u32_e32 v3, vcc, v6, v3, vcc
	s_addc_u32 s1, s15, s1
	v_mov_b32_e32 v6, s1
	v_add_co_u32_e32 v4, vcc, s0, v4
	v_mov_b32_e32 v17, 0x800
	v_addc_co_u32_e32 v5, vcc, v6, v5, vcc
	v_mov_b32_e32 v6, 0
	v_mov_b32_e32 v8, 0
	;; [unrolled: 1-line block ×4, first 2 shown]
	v_lshlrev_b32_e32 v16, 3, v0
	v_mov_b32_e32 v7, 0
	v_mov_b32_e32 v9, 0
	v_mov_b32_e32 v11, 0
	v_mov_b32_e32 v13, 0
	v_lshl_add_u32 v17, v1, 6, v17
.LBB86_2:                               ; =>This Inner Loop Header: Depth=1
	global_load_dwordx2 v[18:19], v[2:3], off
	global_load_dwordx2 v[20:21], v[4:5], off
	s_add_i32 s9, s9, 8
	v_add_co_u32_e32 v2, vcc, 64, v2
	v_add_co_u32_e64 v4, s[0:1], 64, v4
	v_addc_co_u32_e32 v3, vcc, 0, v3, vcc
	v_addc_co_u32_e64 v5, vcc, 0, v5, s[0:1]
	s_cmp_ge_i32 s9, s11
	s_waitcnt vmcnt(1)
	ds_write_b64 v14, v[18:19]
	s_waitcnt vmcnt(0)
	ds_write_b64 v15, v[20:21]
	s_waitcnt lgkmcnt(0)
	s_barrier
	ds_read2_b64 v[18:21], v16 offset1:16
	ds_read_b128 v[22:25], v17
	s_waitcnt lgkmcnt(0)
	v_fma_f64 v[26:27], v[18:19], v[22:23], v[12:13]
	v_fma_f64 v[22:23], v[20:21], v[22:23], v[10:11]
	ds_read_b128 v[10:13], v17 offset:1024
	s_waitcnt lgkmcnt(0)
	v_fma_f64 v[18:19], v[18:19], v[10:11], v[8:9]
	v_fma_f64 v[10:11], v[20:21], v[10:11], v[6:7]
	ds_read2_b64 v[6:9], v16 offset0:32 offset1:48
	s_waitcnt lgkmcnt(0)
	v_fma_f64 v[20:21], v[6:7], v[24:25], v[26:27]
	v_fma_f64 v[22:23], v[8:9], v[24:25], v[22:23]
	;; [unrolled: 1-line block ×4, first 2 shown]
	ds_read_b128 v[6:9], v17 offset:16
	ds_read2_b64 v[10:13], v16 offset0:64 offset1:80
	s_waitcnt lgkmcnt(0)
	v_fma_f64 v[28:29], v[10:11], v[6:7], v[20:21]
	ds_read_b128 v[18:21], v17 offset:1040
	v_fma_f64 v[6:7], v[12:13], v[6:7], v[22:23]
	s_waitcnt lgkmcnt(0)
	v_fma_f64 v[22:23], v[10:11], v[18:19], v[24:25]
	v_fma_f64 v[18:19], v[12:13], v[18:19], v[26:27]
	ds_read2_b64 v[10:13], v16 offset0:96 offset1:112
	s_waitcnt lgkmcnt(0)
	v_fma_f64 v[24:25], v[10:11], v[8:9], v[28:29]
	v_fma_f64 v[26:27], v[12:13], v[8:9], v[6:7]
	;; [unrolled: 1-line block ×4, first 2 shown]
	ds_read2_b64 v[6:9], v16 offset0:128 offset1:144
	ds_read_b128 v[10:13], v17 offset:32
	ds_read_b128 v[18:21], v17 offset:1056
	s_waitcnt lgkmcnt(1)
	v_fma_f64 v[24:25], v[6:7], v[10:11], v[24:25]
	v_fma_f64 v[10:11], v[8:9], v[10:11], v[26:27]
	s_waitcnt lgkmcnt(0)
	v_fma_f64 v[22:23], v[6:7], v[18:19], v[22:23]
	v_fma_f64 v[18:19], v[8:9], v[18:19], v[28:29]
	ds_read2_b64 v[6:9], v16 offset0:160 offset1:176
	s_waitcnt lgkmcnt(0)
	v_fma_f64 v[24:25], v[6:7], v[12:13], v[24:25]
	v_fma_f64 v[26:27], v[8:9], v[12:13], v[10:11]
	;; [unrolled: 1-line block ×4, first 2 shown]
	ds_read_b128 v[6:9], v17 offset:48
	ds_read2_b64 v[10:13], v16 offset0:192 offset1:208
	ds_read_b128 v[18:21], v17 offset:1072
	s_waitcnt lgkmcnt(1)
	v_fma_f64 v[30:31], v[10:11], v[6:7], v[24:25]
	v_fma_f64 v[6:7], v[12:13], v[6:7], v[26:27]
	s_waitcnt lgkmcnt(0)
	v_fma_f64 v[26:27], v[10:11], v[18:19], v[22:23]
	v_fma_f64 v[18:19], v[12:13], v[18:19], v[28:29]
	ds_read2_b64 v[22:25], v16 offset0:224 offset1:240
	s_waitcnt lgkmcnt(0)
	s_barrier
	v_fma_f64 v[12:13], v[22:23], v[8:9], v[30:31]
	v_fma_f64 v[10:11], v[24:25], v[8:9], v[6:7]
	;; [unrolled: 1-line block ×4, first 2 shown]
	s_cbranch_scc0 .LBB86_2
	s_branch .LBB86_4
.LBB86_3:
	v_mov_b32_e32 v12, 0
	v_mov_b32_e32 v10, 0
	;; [unrolled: 1-line block ×8, first 2 shown]
.LBB86_4:
	s_load_dwordx2 s[0:1], s[4:5], 0x48
	s_load_dword s9, s[4:5], 0x40
	v_add_u32_e32 v4, s7, v1
	v_add_u32_e32 v0, s6, v0
	s_waitcnt lgkmcnt(0)
	s_mul_i32 s1, s1, s8
	s_mul_hi_u32 s4, s0, s8
	s_add_i32 s1, s4, s1
	v_mad_i64_i32 v[1:2], s[4:5], v4, s9, 0
	s_mul_i32 s0, s0, s8
	s_lshl_b64 s[0:1], s[0:1], 3
	s_add_u32 s7, s2, s0
	v_lshlrev_b64 v[1:2], 3, v[1:2]
	s_addc_u32 s8, s3, s1
	v_mov_b32_e32 v3, s8
	v_add_co_u32_e32 v5, vcc, s7, v1
	v_addc_co_u32_e32 v14, vcc, v3, v2, vcc
	v_cmp_le_i32_e64 s[0:1], v4, v0
	v_cmp_gt_i32_e32 vcc, s10, v0
	s_and_b64 s[0:1], s[0:1], vcc
	s_and_saveexec_b64 s[2:3], s[0:1]
	s_cbranch_execz .LBB86_6
; %bb.5:
	v_ashrrev_i32_e32 v1, 31, v0
	v_lshlrev_b64 v[1:2], 3, v[0:1]
	v_add_co_u32_e64 v1, s[0:1], v5, v1
	v_addc_co_u32_e64 v2, s[0:1], v14, v2, s[0:1]
	global_load_dwordx2 v[15:16], v[1:2], off
	s_waitcnt vmcnt(0)
	v_add_f64 v[12:13], v[12:13], -v[15:16]
	global_store_dwordx2 v[1:2], v[12:13], off
.LBB86_6:
	s_or_b64 exec, exec, s[2:3]
	v_add_u32_e32 v2, 16, v0
	v_cmp_le_i32_e64 s[2:3], v4, v2
	v_cmp_gt_i32_e64 s[0:1], s10, v2
	s_and_b64 s[2:3], s[2:3], s[0:1]
	s_and_saveexec_b64 s[4:5], s[2:3]
	s_cbranch_execz .LBB86_8
; %bb.7:
	v_ashrrev_i32_e32 v3, 31, v2
	v_lshlrev_b64 v[12:13], 3, v[2:3]
	v_add_co_u32_e64 v12, s[2:3], v5, v12
	v_addc_co_u32_e64 v13, s[2:3], v14, v13, s[2:3]
	global_load_dwordx2 v[14:15], v[12:13], off
	s_waitcnt vmcnt(0)
	v_add_f64 v[10:11], v[10:11], -v[14:15]
	global_store_dwordx2 v[12:13], v[10:11], off
.LBB86_8:
	s_or_b64 exec, exec, s[4:5]
	v_add_u32_e32 v3, 16, v4
	v_mad_i64_i32 v[4:5], s[2:3], v3, s9, 0
	v_mov_b32_e32 v1, s8
	v_lshlrev_b64 v[4:5], 3, v[4:5]
	v_add_co_u32_e64 v4, s[2:3], s7, v4
	v_addc_co_u32_e64 v5, s[2:3], v1, v5, s[2:3]
	v_cmp_le_i32_e64 s[2:3], v3, v0
	s_and_b64 s[4:5], s[2:3], vcc
	s_and_saveexec_b64 s[2:3], s[4:5]
	s_cbranch_execz .LBB86_10
; %bb.9:
	v_ashrrev_i32_e32 v1, 31, v0
	v_lshlrev_b64 v[0:1], 3, v[0:1]
	v_add_co_u32_e32 v0, vcc, v4, v0
	v_addc_co_u32_e32 v1, vcc, v5, v1, vcc
	global_load_dwordx2 v[10:11], v[0:1], off
	s_waitcnt vmcnt(0)
	v_add_f64 v[8:9], v[8:9], -v[10:11]
	global_store_dwordx2 v[0:1], v[8:9], off
.LBB86_10:
	s_or_b64 exec, exec, s[2:3]
	v_cmp_le_i32_e32 vcc, v3, v2
	s_and_b64 s[0:1], vcc, s[0:1]
	s_and_saveexec_b64 s[2:3], s[0:1]
	s_cbranch_execz .LBB86_12
; %bb.11:
	v_ashrrev_i32_e32 v3, 31, v2
	v_lshlrev_b64 v[0:1], 3, v[2:3]
	v_add_co_u32_e32 v0, vcc, v4, v0
	v_addc_co_u32_e32 v1, vcc, v5, v1, vcc
	global_load_dwordx2 v[2:3], v[0:1], off
	s_waitcnt vmcnt(0)
	v_add_f64 v[2:3], v[6:7], -v[2:3]
	global_store_dwordx2 v[0:1], v[2:3], off
.LBB86_12:
	s_endpgm
	.section	.rodata,"a",@progbits
	.p2align	6, 0x0
	.amdhsa_kernel _ZL37rocblas_syrkx_herkx_restricted_kernelIidLi16ELi32ELi8ELi1ELin1ELb0ELc67ELc76EKddEviT_PT9_S1_lS3_S1_lPT10_S1_li
		.amdhsa_group_segment_fixed_size 4096
		.amdhsa_private_segment_fixed_size 0
		.amdhsa_kernarg_size 84
		.amdhsa_user_sgpr_count 6
		.amdhsa_user_sgpr_private_segment_buffer 1
		.amdhsa_user_sgpr_dispatch_ptr 0
		.amdhsa_user_sgpr_queue_ptr 0
		.amdhsa_user_sgpr_kernarg_segment_ptr 1
		.amdhsa_user_sgpr_dispatch_id 0
		.amdhsa_user_sgpr_flat_scratch_init 0
		.amdhsa_user_sgpr_private_segment_size 0
		.amdhsa_uses_dynamic_stack 0
		.amdhsa_system_sgpr_private_segment_wavefront_offset 0
		.amdhsa_system_sgpr_workgroup_id_x 1
		.amdhsa_system_sgpr_workgroup_id_y 1
		.amdhsa_system_sgpr_workgroup_id_z 1
		.amdhsa_system_sgpr_workgroup_info 0
		.amdhsa_system_vgpr_workitem_id 1
		.amdhsa_next_free_vgpr 32
		.amdhsa_next_free_sgpr 22
		.amdhsa_reserve_vcc 1
		.amdhsa_reserve_flat_scratch 0
		.amdhsa_float_round_mode_32 0
		.amdhsa_float_round_mode_16_64 0
		.amdhsa_float_denorm_mode_32 3
		.amdhsa_float_denorm_mode_16_64 3
		.amdhsa_dx10_clamp 1
		.amdhsa_ieee_mode 1
		.amdhsa_fp16_overflow 0
		.amdhsa_exception_fp_ieee_invalid_op 0
		.amdhsa_exception_fp_denorm_src 0
		.amdhsa_exception_fp_ieee_div_zero 0
		.amdhsa_exception_fp_ieee_overflow 0
		.amdhsa_exception_fp_ieee_underflow 0
		.amdhsa_exception_fp_ieee_inexact 0
		.amdhsa_exception_int_div_zero 0
	.end_amdhsa_kernel
	.section	.text._ZL37rocblas_syrkx_herkx_restricted_kernelIidLi16ELi32ELi8ELi1ELin1ELb0ELc67ELc76EKddEviT_PT9_S1_lS3_S1_lPT10_S1_li,"axG",@progbits,_ZL37rocblas_syrkx_herkx_restricted_kernelIidLi16ELi32ELi8ELi1ELin1ELb0ELc67ELc76EKddEviT_PT9_S1_lS3_S1_lPT10_S1_li,comdat
.Lfunc_end86:
	.size	_ZL37rocblas_syrkx_herkx_restricted_kernelIidLi16ELi32ELi8ELi1ELin1ELb0ELc67ELc76EKddEviT_PT9_S1_lS3_S1_lPT10_S1_li, .Lfunc_end86-_ZL37rocblas_syrkx_herkx_restricted_kernelIidLi16ELi32ELi8ELi1ELin1ELb0ELc67ELc76EKddEviT_PT9_S1_lS3_S1_lPT10_S1_li
                                        ; -- End function
	.set _ZL37rocblas_syrkx_herkx_restricted_kernelIidLi16ELi32ELi8ELi1ELin1ELb0ELc67ELc76EKddEviT_PT9_S1_lS3_S1_lPT10_S1_li.num_vgpr, 32
	.set _ZL37rocblas_syrkx_herkx_restricted_kernelIidLi16ELi32ELi8ELi1ELin1ELb0ELc67ELc76EKddEviT_PT9_S1_lS3_S1_lPT10_S1_li.num_agpr, 0
	.set _ZL37rocblas_syrkx_herkx_restricted_kernelIidLi16ELi32ELi8ELi1ELin1ELb0ELc67ELc76EKddEviT_PT9_S1_lS3_S1_lPT10_S1_li.numbered_sgpr, 22
	.set _ZL37rocblas_syrkx_herkx_restricted_kernelIidLi16ELi32ELi8ELi1ELin1ELb0ELc67ELc76EKddEviT_PT9_S1_lS3_S1_lPT10_S1_li.num_named_barrier, 0
	.set _ZL37rocblas_syrkx_herkx_restricted_kernelIidLi16ELi32ELi8ELi1ELin1ELb0ELc67ELc76EKddEviT_PT9_S1_lS3_S1_lPT10_S1_li.private_seg_size, 0
	.set _ZL37rocblas_syrkx_herkx_restricted_kernelIidLi16ELi32ELi8ELi1ELin1ELb0ELc67ELc76EKddEviT_PT9_S1_lS3_S1_lPT10_S1_li.uses_vcc, 1
	.set _ZL37rocblas_syrkx_herkx_restricted_kernelIidLi16ELi32ELi8ELi1ELin1ELb0ELc67ELc76EKddEviT_PT9_S1_lS3_S1_lPT10_S1_li.uses_flat_scratch, 0
	.set _ZL37rocblas_syrkx_herkx_restricted_kernelIidLi16ELi32ELi8ELi1ELin1ELb0ELc67ELc76EKddEviT_PT9_S1_lS3_S1_lPT10_S1_li.has_dyn_sized_stack, 0
	.set _ZL37rocblas_syrkx_herkx_restricted_kernelIidLi16ELi32ELi8ELi1ELin1ELb0ELc67ELc76EKddEviT_PT9_S1_lS3_S1_lPT10_S1_li.has_recursion, 0
	.set _ZL37rocblas_syrkx_herkx_restricted_kernelIidLi16ELi32ELi8ELi1ELin1ELb0ELc67ELc76EKddEviT_PT9_S1_lS3_S1_lPT10_S1_li.has_indirect_call, 0
	.section	.AMDGPU.csdata,"",@progbits
; Kernel info:
; codeLenInByte = 1308
; TotalNumSgprs: 26
; NumVgprs: 32
; ScratchSize: 0
; MemoryBound: 0
; FloatMode: 240
; IeeeMode: 1
; LDSByteSize: 4096 bytes/workgroup (compile time only)
; SGPRBlocks: 3
; VGPRBlocks: 7
; NumSGPRsForWavesPerEU: 26
; NumVGPRsForWavesPerEU: 32
; Occupancy: 8
; WaveLimiterHint : 0
; COMPUTE_PGM_RSRC2:SCRATCH_EN: 0
; COMPUTE_PGM_RSRC2:USER_SGPR: 6
; COMPUTE_PGM_RSRC2:TRAP_HANDLER: 0
; COMPUTE_PGM_RSRC2:TGID_X_EN: 1
; COMPUTE_PGM_RSRC2:TGID_Y_EN: 1
; COMPUTE_PGM_RSRC2:TGID_Z_EN: 1
; COMPUTE_PGM_RSRC2:TIDIG_COMP_CNT: 1
	.section	.text._ZL37rocblas_syrkx_herkx_restricted_kernelIidLi16ELi32ELi8ELi1ELin1ELb0ELc78ELc76EKddEviT_PT9_S1_lS3_S1_lPT10_S1_li,"axG",@progbits,_ZL37rocblas_syrkx_herkx_restricted_kernelIidLi16ELi32ELi8ELi1ELin1ELb0ELc78ELc76EKddEviT_PT9_S1_lS3_S1_lPT10_S1_li,comdat
	.globl	_ZL37rocblas_syrkx_herkx_restricted_kernelIidLi16ELi32ELi8ELi1ELin1ELb0ELc78ELc76EKddEviT_PT9_S1_lS3_S1_lPT10_S1_li ; -- Begin function _ZL37rocblas_syrkx_herkx_restricted_kernelIidLi16ELi32ELi8ELi1ELin1ELb0ELc78ELc76EKddEviT_PT9_S1_lS3_S1_lPT10_S1_li
	.p2align	8
	.type	_ZL37rocblas_syrkx_herkx_restricted_kernelIidLi16ELi32ELi8ELi1ELin1ELb0ELc78ELc76EKddEviT_PT9_S1_lS3_S1_lPT10_S1_li,@function
_ZL37rocblas_syrkx_herkx_restricted_kernelIidLi16ELi32ELi8ELi1ELin1ELb0ELc78ELc76EKddEviT_PT9_S1_lS3_S1_lPT10_S1_li: ; @_ZL37rocblas_syrkx_herkx_restricted_kernelIidLi16ELi32ELi8ELi1ELin1ELb0ELc78ELc76EKddEviT_PT9_S1_lS3_S1_lPT10_S1_li
; %bb.0:
	s_load_dwordx2 s[10:11], s[4:5], 0x0
	s_load_dwordx4 s[0:3], s[4:5], 0x30
	s_lshl_b32 s9, s6, 5
	s_lshl_b32 s16, s7, 5
	s_mov_b32 s17, 0
	s_waitcnt lgkmcnt(0)
	s_cmp_lt_i32 s11, 1
	s_cbranch_scc1 .LBB87_3
; %bb.1:
	v_lshl_add_u32 v7, v1, 4, v0
	s_load_dword s6, s[4:5], 0x10
	s_load_dword s18, s[4:5], 0x28
	s_load_dwordx2 s[20:21], s[4:5], 0x8
	s_load_dwordx4 s[12:15], s[4:5], 0x18
	v_lshrrev_b32_e32 v8, 3, v7
	v_add_u32_e32 v2, s16, v8
	v_and_b32_e32 v6, 7, v0
	v_ashrrev_i32_e32 v3, 31, v2
	s_waitcnt lgkmcnt(0)
	v_mad_i64_i32 v[4:5], s[22:23], s18, v6, v[2:3]
	v_and_b32_e32 v2, 31, v7
	v_lshrrev_b32_e32 v9, 5, v7
	v_lshlrev_b32_e32 v3, 3, v2
	v_lshl_or_b32 v14, v9, 8, v3
	v_lshlrev_b32_e32 v3, 3, v6
	v_lshl_or_b32 v3, v8, 6, v3
	v_add_u32_e32 v15, 0x800, v3
	v_mov_b32_e32 v3, 0x800
	v_add_u32_e32 v2, s9, v2
	v_lshl_add_u32 v17, v1, 6, v3
	v_ashrrev_i32_e32 v3, 31, v2
	v_mad_i64_i32 v[2:3], s[22:23], s6, v9, v[2:3]
	s_mul_i32 s13, s13, s8
	s_mul_hi_u32 s24, s12, s8
	s_add_i32 s13, s24, s13
	s_mul_i32 s12, s12, s8
	s_ashr_i32 s7, s6, 31
	s_ashr_i32 s19, s18, 31
	s_lshl_b64 s[12:13], s[12:13], 3
	v_lshlrev_b64 v[2:3], 3, v[2:3]
	s_add_u32 s12, s20, s12
	v_add_co_u32_e32 v2, vcc, s12, v2
	s_mul_i32 s1, s1, s8
	s_mul_hi_u32 s12, s0, s8
	s_addc_u32 s13, s21, s13
	s_add_i32 s1, s12, s1
	s_mul_i32 s0, s0, s8
	s_lshl_b64 s[6:7], s[6:7], 6
	s_lshl_b64 s[0:1], s[0:1], 3
	v_mov_b32_e32 v6, s13
	v_lshlrev_b64 v[4:5], 3, v[4:5]
	s_add_u32 s0, s14, s0
	v_addc_co_u32_e32 v3, vcc, v6, v3, vcc
	s_addc_u32 s1, s15, s1
	v_mov_b32_e32 v7, s1
	v_add_co_u32_e32 v6, vcc, s0, v4
	v_addc_co_u32_e32 v7, vcc, v7, v5, vcc
	s_lshl_b64 s[12:13], s[18:19], 6
	v_mov_b32_e32 v4, 0
	v_mov_b32_e32 v8, 0
	;; [unrolled: 1-line block ×4, first 2 shown]
	v_lshlrev_b32_e32 v16, 3, v0
	v_mov_b32_e32 v5, 0
	v_mov_b32_e32 v18, s7
	;; [unrolled: 1-line block ×6, first 2 shown]
.LBB87_2:                               ; =>This Inner Loop Header: Depth=1
	global_load_dwordx2 v[20:21], v[2:3], off
	global_load_dwordx2 v[22:23], v[6:7], off
	s_add_i32 s17, s17, 8
	v_add_co_u32_e32 v2, vcc, s6, v2
	v_add_co_u32_e64 v6, s[0:1], s12, v6
	v_addc_co_u32_e32 v3, vcc, v3, v18, vcc
	v_addc_co_u32_e64 v7, vcc, v7, v19, s[0:1]
	s_cmp_ge_i32 s17, s11
	s_waitcnt vmcnt(1)
	ds_write_b64 v14, v[20:21]
	s_waitcnt vmcnt(0)
	ds_write_b64 v15, v[22:23]
	s_waitcnt lgkmcnt(0)
	s_barrier
	ds_read2_b64 v[20:23], v16 offset1:16
	ds_read_b128 v[24:27], v17
	s_waitcnt lgkmcnt(0)
	v_fma_f64 v[28:29], v[20:21], v[24:25], v[12:13]
	v_fma_f64 v[24:25], v[22:23], v[24:25], v[10:11]
	ds_read_b128 v[10:13], v17 offset:1024
	s_waitcnt lgkmcnt(0)
	v_fma_f64 v[20:21], v[20:21], v[10:11], v[8:9]
	v_fma_f64 v[4:5], v[22:23], v[10:11], v[4:5]
	ds_read2_b64 v[8:11], v16 offset0:32 offset1:48
	s_waitcnt lgkmcnt(0)
	v_fma_f64 v[28:29], v[8:9], v[26:27], v[28:29]
	v_fma_f64 v[24:25], v[10:11], v[26:27], v[24:25]
	;; [unrolled: 1-line block ×4, first 2 shown]
	ds_read_b128 v[8:11], v17 offset:16
	ds_read2_b64 v[20:23], v16 offset0:64 offset1:80
	s_waitcnt lgkmcnt(0)
	v_fma_f64 v[12:13], v[20:21], v[8:9], v[28:29]
	v_fma_f64 v[8:9], v[22:23], v[8:9], v[24:25]
	ds_read_b128 v[24:27], v17 offset:1040
	s_waitcnt lgkmcnt(0)
	v_fma_f64 v[28:29], v[20:21], v[24:25], v[30:31]
	v_fma_f64 v[4:5], v[22:23], v[24:25], v[4:5]
	ds_read2_b64 v[20:23], v16 offset0:96 offset1:112
	s_waitcnt lgkmcnt(0)
	v_fma_f64 v[12:13], v[20:21], v[10:11], v[12:13]
	v_fma_f64 v[24:25], v[22:23], v[10:11], v[8:9]
	;; [unrolled: 1-line block ×4, first 2 shown]
	ds_read2_b64 v[8:11], v16 offset0:128 offset1:144
	ds_read_b128 v[20:23], v17 offset:32
	s_waitcnt lgkmcnt(0)
	v_fma_f64 v[12:13], v[8:9], v[20:21], v[12:13]
	v_fma_f64 v[20:21], v[10:11], v[20:21], v[24:25]
	ds_read_b128 v[24:27], v17 offset:1056
	s_waitcnt lgkmcnt(0)
	v_fma_f64 v[28:29], v[8:9], v[24:25], v[28:29]
	v_fma_f64 v[4:5], v[10:11], v[24:25], v[4:5]
	ds_read2_b64 v[8:11], v16 offset0:160 offset1:176
	s_waitcnt lgkmcnt(0)
	v_fma_f64 v[12:13], v[8:9], v[22:23], v[12:13]
	v_fma_f64 v[24:25], v[10:11], v[22:23], v[20:21]
	;; [unrolled: 1-line block ×4, first 2 shown]
	ds_read_b128 v[8:11], v17 offset:48
	ds_read2_b64 v[20:23], v16 offset0:192 offset1:208
	s_waitcnt lgkmcnt(0)
	v_fma_f64 v[12:13], v[20:21], v[8:9], v[12:13]
	v_fma_f64 v[8:9], v[22:23], v[8:9], v[24:25]
	ds_read_b128 v[24:27], v17 offset:1072
	s_waitcnt lgkmcnt(0)
	v_fma_f64 v[28:29], v[20:21], v[24:25], v[28:29]
	v_fma_f64 v[4:5], v[22:23], v[24:25], v[4:5]
	ds_read2_b64 v[20:23], v16 offset0:224 offset1:240
	s_waitcnt lgkmcnt(0)
	s_barrier
	v_fma_f64 v[12:13], v[20:21], v[10:11], v[12:13]
	v_fma_f64 v[10:11], v[22:23], v[10:11], v[8:9]
	;; [unrolled: 1-line block ×4, first 2 shown]
	s_cbranch_scc0 .LBB87_2
	s_branch .LBB87_4
.LBB87_3:
	v_mov_b32_e32 v12, 0
	v_mov_b32_e32 v10, 0
	;; [unrolled: 1-line block ×8, first 2 shown]
.LBB87_4:
	s_load_dwordx2 s[0:1], s[4:5], 0x48
	s_load_dword s6, s[4:5], 0x40
	v_add_u32_e32 v6, s16, v1
	v_add_u32_e32 v0, s9, v0
	s_waitcnt lgkmcnt(0)
	s_mul_i32 s1, s1, s8
	s_mul_hi_u32 s4, s0, s8
	s_add_i32 s1, s4, s1
	v_mad_i64_i32 v[1:2], s[4:5], v6, s6, 0
	s_mul_i32 s0, s0, s8
	s_lshl_b64 s[0:1], s[0:1], 3
	s_add_u32 s7, s2, s0
	v_lshlrev_b64 v[1:2], 3, v[1:2]
	s_addc_u32 s8, s3, s1
	v_mov_b32_e32 v3, s8
	v_add_co_u32_e32 v7, vcc, s7, v1
	v_addc_co_u32_e32 v14, vcc, v3, v2, vcc
	v_cmp_le_i32_e64 s[0:1], v6, v0
	v_cmp_gt_i32_e32 vcc, s10, v0
	s_and_b64 s[0:1], s[0:1], vcc
	s_and_saveexec_b64 s[2:3], s[0:1]
	s_cbranch_execz .LBB87_6
; %bb.5:
	v_ashrrev_i32_e32 v1, 31, v0
	v_lshlrev_b64 v[1:2], 3, v[0:1]
	v_add_co_u32_e64 v1, s[0:1], v7, v1
	v_addc_co_u32_e64 v2, s[0:1], v14, v2, s[0:1]
	global_load_dwordx2 v[15:16], v[1:2], off
	s_waitcnt vmcnt(0)
	v_add_f64 v[12:13], v[12:13], -v[15:16]
	global_store_dwordx2 v[1:2], v[12:13], off
.LBB87_6:
	s_or_b64 exec, exec, s[2:3]
	v_add_u32_e32 v2, 16, v0
	v_cmp_le_i32_e64 s[2:3], v6, v2
	v_cmp_gt_i32_e64 s[0:1], s10, v2
	s_and_b64 s[2:3], s[2:3], s[0:1]
	s_and_saveexec_b64 s[4:5], s[2:3]
	s_cbranch_execz .LBB87_8
; %bb.7:
	v_ashrrev_i32_e32 v3, 31, v2
	v_lshlrev_b64 v[12:13], 3, v[2:3]
	v_add_co_u32_e64 v12, s[2:3], v7, v12
	v_addc_co_u32_e64 v13, s[2:3], v14, v13, s[2:3]
	global_load_dwordx2 v[14:15], v[12:13], off
	s_waitcnt vmcnt(0)
	v_add_f64 v[10:11], v[10:11], -v[14:15]
	global_store_dwordx2 v[12:13], v[10:11], off
.LBB87_8:
	s_or_b64 exec, exec, s[4:5]
	v_add_u32_e32 v3, 16, v6
	v_mad_i64_i32 v[6:7], s[2:3], v3, s6, 0
	v_mov_b32_e32 v1, s8
	v_lshlrev_b64 v[6:7], 3, v[6:7]
	v_add_co_u32_e64 v6, s[2:3], s7, v6
	v_addc_co_u32_e64 v7, s[2:3], v1, v7, s[2:3]
	v_cmp_le_i32_e64 s[2:3], v3, v0
	s_and_b64 s[4:5], s[2:3], vcc
	s_and_saveexec_b64 s[2:3], s[4:5]
	s_cbranch_execz .LBB87_10
; %bb.9:
	v_ashrrev_i32_e32 v1, 31, v0
	v_lshlrev_b64 v[0:1], 3, v[0:1]
	v_add_co_u32_e32 v0, vcc, v6, v0
	v_addc_co_u32_e32 v1, vcc, v7, v1, vcc
	global_load_dwordx2 v[10:11], v[0:1], off
	s_waitcnt vmcnt(0)
	v_add_f64 v[8:9], v[8:9], -v[10:11]
	global_store_dwordx2 v[0:1], v[8:9], off
.LBB87_10:
	s_or_b64 exec, exec, s[2:3]
	v_cmp_le_i32_e32 vcc, v3, v2
	s_and_b64 s[0:1], vcc, s[0:1]
	s_and_saveexec_b64 s[2:3], s[0:1]
	s_cbranch_execz .LBB87_12
; %bb.11:
	v_ashrrev_i32_e32 v3, 31, v2
	v_lshlrev_b64 v[0:1], 3, v[2:3]
	v_add_co_u32_e32 v0, vcc, v6, v0
	v_addc_co_u32_e32 v1, vcc, v7, v1, vcc
	global_load_dwordx2 v[2:3], v[0:1], off
	s_waitcnt vmcnt(0)
	v_add_f64 v[2:3], v[4:5], -v[2:3]
	global_store_dwordx2 v[0:1], v[2:3], off
.LBB87_12:
	s_endpgm
	.section	.rodata,"a",@progbits
	.p2align	6, 0x0
	.amdhsa_kernel _ZL37rocblas_syrkx_herkx_restricted_kernelIidLi16ELi32ELi8ELi1ELin1ELb0ELc78ELc76EKddEviT_PT9_S1_lS3_S1_lPT10_S1_li
		.amdhsa_group_segment_fixed_size 4096
		.amdhsa_private_segment_fixed_size 0
		.amdhsa_kernarg_size 84
		.amdhsa_user_sgpr_count 6
		.amdhsa_user_sgpr_private_segment_buffer 1
		.amdhsa_user_sgpr_dispatch_ptr 0
		.amdhsa_user_sgpr_queue_ptr 0
		.amdhsa_user_sgpr_kernarg_segment_ptr 1
		.amdhsa_user_sgpr_dispatch_id 0
		.amdhsa_user_sgpr_flat_scratch_init 0
		.amdhsa_user_sgpr_private_segment_size 0
		.amdhsa_uses_dynamic_stack 0
		.amdhsa_system_sgpr_private_segment_wavefront_offset 0
		.amdhsa_system_sgpr_workgroup_id_x 1
		.amdhsa_system_sgpr_workgroup_id_y 1
		.amdhsa_system_sgpr_workgroup_id_z 1
		.amdhsa_system_sgpr_workgroup_info 0
		.amdhsa_system_vgpr_workitem_id 1
		.amdhsa_next_free_vgpr 32
		.amdhsa_next_free_sgpr 25
		.amdhsa_reserve_vcc 1
		.amdhsa_reserve_flat_scratch 0
		.amdhsa_float_round_mode_32 0
		.amdhsa_float_round_mode_16_64 0
		.amdhsa_float_denorm_mode_32 3
		.amdhsa_float_denorm_mode_16_64 3
		.amdhsa_dx10_clamp 1
		.amdhsa_ieee_mode 1
		.amdhsa_fp16_overflow 0
		.amdhsa_exception_fp_ieee_invalid_op 0
		.amdhsa_exception_fp_denorm_src 0
		.amdhsa_exception_fp_ieee_div_zero 0
		.amdhsa_exception_fp_ieee_overflow 0
		.amdhsa_exception_fp_ieee_underflow 0
		.amdhsa_exception_fp_ieee_inexact 0
		.amdhsa_exception_int_div_zero 0
	.end_amdhsa_kernel
	.section	.text._ZL37rocblas_syrkx_herkx_restricted_kernelIidLi16ELi32ELi8ELi1ELin1ELb0ELc78ELc76EKddEviT_PT9_S1_lS3_S1_lPT10_S1_li,"axG",@progbits,_ZL37rocblas_syrkx_herkx_restricted_kernelIidLi16ELi32ELi8ELi1ELin1ELb0ELc78ELc76EKddEviT_PT9_S1_lS3_S1_lPT10_S1_li,comdat
.Lfunc_end87:
	.size	_ZL37rocblas_syrkx_herkx_restricted_kernelIidLi16ELi32ELi8ELi1ELin1ELb0ELc78ELc76EKddEviT_PT9_S1_lS3_S1_lPT10_S1_li, .Lfunc_end87-_ZL37rocblas_syrkx_herkx_restricted_kernelIidLi16ELi32ELi8ELi1ELin1ELb0ELc78ELc76EKddEviT_PT9_S1_lS3_S1_lPT10_S1_li
                                        ; -- End function
	.set _ZL37rocblas_syrkx_herkx_restricted_kernelIidLi16ELi32ELi8ELi1ELin1ELb0ELc78ELc76EKddEviT_PT9_S1_lS3_S1_lPT10_S1_li.num_vgpr, 32
	.set _ZL37rocblas_syrkx_herkx_restricted_kernelIidLi16ELi32ELi8ELi1ELin1ELb0ELc78ELc76EKddEviT_PT9_S1_lS3_S1_lPT10_S1_li.num_agpr, 0
	.set _ZL37rocblas_syrkx_herkx_restricted_kernelIidLi16ELi32ELi8ELi1ELin1ELb0ELc78ELc76EKddEviT_PT9_S1_lS3_S1_lPT10_S1_li.numbered_sgpr, 25
	.set _ZL37rocblas_syrkx_herkx_restricted_kernelIidLi16ELi32ELi8ELi1ELin1ELb0ELc78ELc76EKddEviT_PT9_S1_lS3_S1_lPT10_S1_li.num_named_barrier, 0
	.set _ZL37rocblas_syrkx_herkx_restricted_kernelIidLi16ELi32ELi8ELi1ELin1ELb0ELc78ELc76EKddEviT_PT9_S1_lS3_S1_lPT10_S1_li.private_seg_size, 0
	.set _ZL37rocblas_syrkx_herkx_restricted_kernelIidLi16ELi32ELi8ELi1ELin1ELb0ELc78ELc76EKddEviT_PT9_S1_lS3_S1_lPT10_S1_li.uses_vcc, 1
	.set _ZL37rocblas_syrkx_herkx_restricted_kernelIidLi16ELi32ELi8ELi1ELin1ELb0ELc78ELc76EKddEviT_PT9_S1_lS3_S1_lPT10_S1_li.uses_flat_scratch, 0
	.set _ZL37rocblas_syrkx_herkx_restricted_kernelIidLi16ELi32ELi8ELi1ELin1ELb0ELc78ELc76EKddEviT_PT9_S1_lS3_S1_lPT10_S1_li.has_dyn_sized_stack, 0
	.set _ZL37rocblas_syrkx_herkx_restricted_kernelIidLi16ELi32ELi8ELi1ELin1ELb0ELc78ELc76EKddEviT_PT9_S1_lS3_S1_lPT10_S1_li.has_recursion, 0
	.set _ZL37rocblas_syrkx_herkx_restricted_kernelIidLi16ELi32ELi8ELi1ELin1ELb0ELc78ELc76EKddEviT_PT9_S1_lS3_S1_lPT10_S1_li.has_indirect_call, 0
	.section	.AMDGPU.csdata,"",@progbits
; Kernel info:
; codeLenInByte = 1332
; TotalNumSgprs: 29
; NumVgprs: 32
; ScratchSize: 0
; MemoryBound: 0
; FloatMode: 240
; IeeeMode: 1
; LDSByteSize: 4096 bytes/workgroup (compile time only)
; SGPRBlocks: 3
; VGPRBlocks: 7
; NumSGPRsForWavesPerEU: 29
; NumVGPRsForWavesPerEU: 32
; Occupancy: 8
; WaveLimiterHint : 0
; COMPUTE_PGM_RSRC2:SCRATCH_EN: 0
; COMPUTE_PGM_RSRC2:USER_SGPR: 6
; COMPUTE_PGM_RSRC2:TRAP_HANDLER: 0
; COMPUTE_PGM_RSRC2:TGID_X_EN: 1
; COMPUTE_PGM_RSRC2:TGID_Y_EN: 1
; COMPUTE_PGM_RSRC2:TGID_Z_EN: 1
; COMPUTE_PGM_RSRC2:TIDIG_COMP_CNT: 1
	.section	.text._ZL37rocblas_syrkx_herkx_restricted_kernelIidLi16ELi32ELi8ELi1ELin1ELb0ELc84ELc85EKddEviT_PT9_S1_lS3_S1_lPT10_S1_li,"axG",@progbits,_ZL37rocblas_syrkx_herkx_restricted_kernelIidLi16ELi32ELi8ELi1ELin1ELb0ELc84ELc85EKddEviT_PT9_S1_lS3_S1_lPT10_S1_li,comdat
	.globl	_ZL37rocblas_syrkx_herkx_restricted_kernelIidLi16ELi32ELi8ELi1ELin1ELb0ELc84ELc85EKddEviT_PT9_S1_lS3_S1_lPT10_S1_li ; -- Begin function _ZL37rocblas_syrkx_herkx_restricted_kernelIidLi16ELi32ELi8ELi1ELin1ELb0ELc84ELc85EKddEviT_PT9_S1_lS3_S1_lPT10_S1_li
	.p2align	8
	.type	_ZL37rocblas_syrkx_herkx_restricted_kernelIidLi16ELi32ELi8ELi1ELin1ELb0ELc84ELc85EKddEviT_PT9_S1_lS3_S1_lPT10_S1_li,@function
_ZL37rocblas_syrkx_herkx_restricted_kernelIidLi16ELi32ELi8ELi1ELin1ELb0ELc84ELc85EKddEviT_PT9_S1_lS3_S1_lPT10_S1_li: ; @_ZL37rocblas_syrkx_herkx_restricted_kernelIidLi16ELi32ELi8ELi1ELin1ELb0ELc84ELc85EKddEviT_PT9_S1_lS3_S1_lPT10_S1_li
; %bb.0:
	s_load_dwordx2 s[10:11], s[4:5], 0x0
	s_load_dwordx4 s[0:3], s[4:5], 0x30
	s_lshl_b32 s6, s6, 5
	s_lshl_b32 s7, s7, 5
	s_mov_b32 s9, 0
	s_waitcnt lgkmcnt(0)
	s_cmp_lt_i32 s11, 1
	s_cbranch_scc1 .LBB88_3
; %bb.1:
	s_load_dwordx2 s[16:17], s[4:5], 0x8
	s_load_dword s20, s[4:5], 0x10
	s_load_dwordx4 s[12:15], s[4:5], 0x18
	s_load_dword s18, s[4:5], 0x28
	v_lshl_add_u32 v6, v1, 4, v0
	v_lshrrev_b32_e32 v8, 3, v6
	v_add_u32_e32 v4, s7, v8
	v_and_b32_e32 v2, 7, v0
	v_mov_b32_e32 v3, 0
	s_waitcnt lgkmcnt(0)
	v_mad_i64_i32 v[4:5], s[18:19], s18, v4, v[2:3]
	v_lshlrev_b32_e32 v2, 3, v2
	v_and_b32_e32 v9, 31, v6
	v_lshl_or_b32 v2, v8, 6, v2
	v_lshrrev_b32_e32 v6, 5, v6
	v_mov_b32_e32 v7, v3
	v_lshlrev_b32_e32 v3, 3, v9
	v_add_u32_e32 v15, 0x800, v2
	v_add_u32_e32 v2, s6, v9
	v_lshl_or_b32 v14, v6, 8, v3
	v_mad_i64_i32 v[2:3], s[18:19], s20, v2, v[6:7]
	s_mul_i32 s13, s13, s8
	s_mul_hi_u32 s21, s12, s8
	s_add_i32 s13, s21, s13
	s_mul_i32 s12, s12, s8
	s_lshl_b64 s[12:13], s[12:13], 3
	v_lshlrev_b64 v[2:3], 3, v[2:3]
	s_add_u32 s12, s16, s12
	v_add_co_u32_e32 v2, vcc, s12, v2
	s_mul_i32 s1, s1, s8
	s_mul_hi_u32 s12, s0, s8
	s_addc_u32 s13, s17, s13
	s_add_i32 s1, s12, s1
	s_mul_i32 s0, s0, s8
	s_lshl_b64 s[0:1], s[0:1], 3
	v_mov_b32_e32 v6, s13
	v_lshlrev_b64 v[4:5], 3, v[4:5]
	s_add_u32 s0, s14, s0
	v_addc_co_u32_e32 v3, vcc, v6, v3, vcc
	s_addc_u32 s1, s15, s1
	v_mov_b32_e32 v6, s1
	v_add_co_u32_e32 v4, vcc, s0, v4
	v_mov_b32_e32 v17, 0x800
	v_addc_co_u32_e32 v5, vcc, v6, v5, vcc
	v_mov_b32_e32 v6, 0
	v_mov_b32_e32 v8, 0
	;; [unrolled: 1-line block ×4, first 2 shown]
	v_lshlrev_b32_e32 v16, 3, v0
	v_mov_b32_e32 v7, 0
	v_mov_b32_e32 v9, 0
	;; [unrolled: 1-line block ×4, first 2 shown]
	v_lshl_add_u32 v17, v1, 6, v17
.LBB88_2:                               ; =>This Inner Loop Header: Depth=1
	global_load_dwordx2 v[18:19], v[2:3], off
	global_load_dwordx2 v[20:21], v[4:5], off
	s_add_i32 s9, s9, 8
	v_add_co_u32_e32 v2, vcc, 64, v2
	v_add_co_u32_e64 v4, s[0:1], 64, v4
	v_addc_co_u32_e32 v3, vcc, 0, v3, vcc
	v_addc_co_u32_e64 v5, vcc, 0, v5, s[0:1]
	s_cmp_ge_i32 s9, s11
	s_waitcnt vmcnt(1)
	ds_write_b64 v14, v[18:19]
	s_waitcnt vmcnt(0)
	ds_write_b64 v15, v[20:21]
	s_waitcnt lgkmcnt(0)
	s_barrier
	ds_read2_b64 v[18:21], v16 offset1:16
	ds_read_b128 v[22:25], v17
	s_waitcnt lgkmcnt(0)
	v_fma_f64 v[26:27], v[18:19], v[22:23], v[12:13]
	v_fma_f64 v[22:23], v[20:21], v[22:23], v[10:11]
	ds_read_b128 v[10:13], v17 offset:1024
	s_waitcnt lgkmcnt(0)
	v_fma_f64 v[18:19], v[18:19], v[10:11], v[8:9]
	v_fma_f64 v[10:11], v[20:21], v[10:11], v[6:7]
	ds_read2_b64 v[6:9], v16 offset0:32 offset1:48
	s_waitcnt lgkmcnt(0)
	v_fma_f64 v[20:21], v[6:7], v[24:25], v[26:27]
	v_fma_f64 v[22:23], v[8:9], v[24:25], v[22:23]
	;; [unrolled: 1-line block ×4, first 2 shown]
	ds_read_b128 v[6:9], v17 offset:16
	ds_read2_b64 v[10:13], v16 offset0:64 offset1:80
	s_waitcnt lgkmcnt(0)
	v_fma_f64 v[28:29], v[10:11], v[6:7], v[20:21]
	ds_read_b128 v[18:21], v17 offset:1040
	v_fma_f64 v[6:7], v[12:13], v[6:7], v[22:23]
	s_waitcnt lgkmcnt(0)
	v_fma_f64 v[22:23], v[10:11], v[18:19], v[24:25]
	v_fma_f64 v[18:19], v[12:13], v[18:19], v[26:27]
	ds_read2_b64 v[10:13], v16 offset0:96 offset1:112
	s_waitcnt lgkmcnt(0)
	v_fma_f64 v[24:25], v[10:11], v[8:9], v[28:29]
	v_fma_f64 v[26:27], v[12:13], v[8:9], v[6:7]
	;; [unrolled: 1-line block ×4, first 2 shown]
	ds_read2_b64 v[6:9], v16 offset0:128 offset1:144
	ds_read_b128 v[10:13], v17 offset:32
	ds_read_b128 v[18:21], v17 offset:1056
	s_waitcnt lgkmcnt(1)
	v_fma_f64 v[24:25], v[6:7], v[10:11], v[24:25]
	v_fma_f64 v[10:11], v[8:9], v[10:11], v[26:27]
	s_waitcnt lgkmcnt(0)
	v_fma_f64 v[22:23], v[6:7], v[18:19], v[22:23]
	v_fma_f64 v[18:19], v[8:9], v[18:19], v[28:29]
	ds_read2_b64 v[6:9], v16 offset0:160 offset1:176
	s_waitcnt lgkmcnt(0)
	v_fma_f64 v[24:25], v[6:7], v[12:13], v[24:25]
	v_fma_f64 v[26:27], v[8:9], v[12:13], v[10:11]
	;; [unrolled: 1-line block ×4, first 2 shown]
	ds_read_b128 v[6:9], v17 offset:48
	ds_read2_b64 v[10:13], v16 offset0:192 offset1:208
	ds_read_b128 v[18:21], v17 offset:1072
	s_waitcnt lgkmcnt(1)
	v_fma_f64 v[30:31], v[10:11], v[6:7], v[24:25]
	v_fma_f64 v[6:7], v[12:13], v[6:7], v[26:27]
	s_waitcnt lgkmcnt(0)
	v_fma_f64 v[26:27], v[10:11], v[18:19], v[22:23]
	v_fma_f64 v[18:19], v[12:13], v[18:19], v[28:29]
	ds_read2_b64 v[22:25], v16 offset0:224 offset1:240
	s_waitcnt lgkmcnt(0)
	s_barrier
	v_fma_f64 v[12:13], v[22:23], v[8:9], v[30:31]
	v_fma_f64 v[10:11], v[24:25], v[8:9], v[6:7]
	v_fma_f64 v[8:9], v[22:23], v[20:21], v[26:27]
	v_fma_f64 v[6:7], v[24:25], v[20:21], v[18:19]
	s_cbranch_scc0 .LBB88_2
	s_branch .LBB88_4
.LBB88_3:
	v_mov_b32_e32 v12, 0
	v_mov_b32_e32 v10, 0
	;; [unrolled: 1-line block ×8, first 2 shown]
.LBB88_4:
	s_load_dwordx2 s[0:1], s[4:5], 0x48
	s_load_dword s9, s[4:5], 0x40
	v_add_u32_e32 v4, s7, v1
	v_add_u32_e32 v0, s6, v0
	v_cmp_gt_i32_e32 vcc, s10, v4
	s_waitcnt lgkmcnt(0)
	s_mul_i32 s1, s1, s8
	v_mad_i64_i32 v[1:2], s[12:13], v4, s9, 0
	s_mul_hi_u32 s4, s0, s8
	s_mul_i32 s0, s0, s8
	s_add_i32 s1, s4, s1
	s_lshl_b64 s[0:1], s[0:1], 3
	s_add_u32 s4, s2, s0
	v_lshlrev_b64 v[1:2], 3, v[1:2]
	s_addc_u32 s5, s3, s1
	v_mov_b32_e32 v3, s5
	v_add_co_u32_e64 v5, s[0:1], s4, v1
	v_addc_co_u32_e64 v14, s[0:1], v3, v2, s[0:1]
	v_cmp_le_i32_e64 s[0:1], v0, v4
	s_and_b64 s[0:1], vcc, s[0:1]
	s_and_saveexec_b64 s[2:3], s[0:1]
	s_cbranch_execz .LBB88_6
; %bb.5:
	v_ashrrev_i32_e32 v1, 31, v0
	v_lshlrev_b64 v[1:2], 3, v[0:1]
	v_add_co_u32_e64 v1, s[0:1], v5, v1
	v_addc_co_u32_e64 v2, s[0:1], v14, v2, s[0:1]
	global_load_dwordx2 v[15:16], v[1:2], off
	s_waitcnt vmcnt(0)
	v_add_f64 v[12:13], v[12:13], -v[15:16]
	global_store_dwordx2 v[1:2], v[12:13], off
.LBB88_6:
	s_or_b64 exec, exec, s[2:3]
	v_add_u32_e32 v2, 16, v0
	v_cmp_le_i32_e64 s[0:1], v2, v4
	s_and_b64 s[2:3], vcc, s[0:1]
	s_and_saveexec_b64 s[0:1], s[2:3]
	s_cbranch_execz .LBB88_8
; %bb.7:
	v_ashrrev_i32_e32 v3, 31, v2
	v_lshlrev_b64 v[12:13], 3, v[2:3]
	v_add_co_u32_e32 v12, vcc, v5, v12
	v_addc_co_u32_e32 v13, vcc, v14, v13, vcc
	global_load_dwordx2 v[14:15], v[12:13], off
	s_waitcnt vmcnt(0)
	v_add_f64 v[10:11], v[10:11], -v[14:15]
	global_store_dwordx2 v[12:13], v[10:11], off
.LBB88_8:
	s_or_b64 exec, exec, s[0:1]
	v_add_u32_e32 v3, 16, v4
	v_mad_i64_i32 v[4:5], s[0:1], v3, s9, 0
	v_mov_b32_e32 v1, s5
	v_cmp_gt_i32_e32 vcc, s10, v3
	v_lshlrev_b64 v[4:5], 3, v[4:5]
	v_add_co_u32_e64 v4, s[0:1], s4, v4
	v_addc_co_u32_e64 v5, s[0:1], v1, v5, s[0:1]
	v_cmp_le_i32_e64 s[0:1], v0, v3
	s_and_b64 s[0:1], vcc, s[0:1]
	s_and_saveexec_b64 s[2:3], s[0:1]
	s_cbranch_execz .LBB88_10
; %bb.9:
	v_ashrrev_i32_e32 v1, 31, v0
	v_lshlrev_b64 v[0:1], 3, v[0:1]
	v_add_co_u32_e64 v0, s[0:1], v4, v0
	v_addc_co_u32_e64 v1, s[0:1], v5, v1, s[0:1]
	global_load_dwordx2 v[10:11], v[0:1], off
	s_waitcnt vmcnt(0)
	v_add_f64 v[8:9], v[8:9], -v[10:11]
	global_store_dwordx2 v[0:1], v[8:9], off
.LBB88_10:
	s_or_b64 exec, exec, s[2:3]
	v_cmp_le_i32_e64 s[0:1], v2, v3
	s_and_b64 s[0:1], vcc, s[0:1]
	s_and_saveexec_b64 s[2:3], s[0:1]
	s_cbranch_execz .LBB88_12
; %bb.11:
	v_ashrrev_i32_e32 v3, 31, v2
	v_lshlrev_b64 v[0:1], 3, v[2:3]
	v_add_co_u32_e32 v0, vcc, v4, v0
	v_addc_co_u32_e32 v1, vcc, v5, v1, vcc
	global_load_dwordx2 v[2:3], v[0:1], off
	s_waitcnt vmcnt(0)
	v_add_f64 v[2:3], v[6:7], -v[2:3]
	global_store_dwordx2 v[0:1], v[2:3], off
.LBB88_12:
	s_endpgm
	.section	.rodata,"a",@progbits
	.p2align	6, 0x0
	.amdhsa_kernel _ZL37rocblas_syrkx_herkx_restricted_kernelIidLi16ELi32ELi8ELi1ELin1ELb0ELc84ELc85EKddEviT_PT9_S1_lS3_S1_lPT10_S1_li
		.amdhsa_group_segment_fixed_size 4096
		.amdhsa_private_segment_fixed_size 0
		.amdhsa_kernarg_size 84
		.amdhsa_user_sgpr_count 6
		.amdhsa_user_sgpr_private_segment_buffer 1
		.amdhsa_user_sgpr_dispatch_ptr 0
		.amdhsa_user_sgpr_queue_ptr 0
		.amdhsa_user_sgpr_kernarg_segment_ptr 1
		.amdhsa_user_sgpr_dispatch_id 0
		.amdhsa_user_sgpr_flat_scratch_init 0
		.amdhsa_user_sgpr_private_segment_size 0
		.amdhsa_uses_dynamic_stack 0
		.amdhsa_system_sgpr_private_segment_wavefront_offset 0
		.amdhsa_system_sgpr_workgroup_id_x 1
		.amdhsa_system_sgpr_workgroup_id_y 1
		.amdhsa_system_sgpr_workgroup_id_z 1
		.amdhsa_system_sgpr_workgroup_info 0
		.amdhsa_system_vgpr_workitem_id 1
		.amdhsa_next_free_vgpr 32
		.amdhsa_next_free_sgpr 22
		.amdhsa_reserve_vcc 1
		.amdhsa_reserve_flat_scratch 0
		.amdhsa_float_round_mode_32 0
		.amdhsa_float_round_mode_16_64 0
		.amdhsa_float_denorm_mode_32 3
		.amdhsa_float_denorm_mode_16_64 3
		.amdhsa_dx10_clamp 1
		.amdhsa_ieee_mode 1
		.amdhsa_fp16_overflow 0
		.amdhsa_exception_fp_ieee_invalid_op 0
		.amdhsa_exception_fp_denorm_src 0
		.amdhsa_exception_fp_ieee_div_zero 0
		.amdhsa_exception_fp_ieee_overflow 0
		.amdhsa_exception_fp_ieee_underflow 0
		.amdhsa_exception_fp_ieee_inexact 0
		.amdhsa_exception_int_div_zero 0
	.end_amdhsa_kernel
	.section	.text._ZL37rocblas_syrkx_herkx_restricted_kernelIidLi16ELi32ELi8ELi1ELin1ELb0ELc84ELc85EKddEviT_PT9_S1_lS3_S1_lPT10_S1_li,"axG",@progbits,_ZL37rocblas_syrkx_herkx_restricted_kernelIidLi16ELi32ELi8ELi1ELin1ELb0ELc84ELc85EKddEviT_PT9_S1_lS3_S1_lPT10_S1_li,comdat
.Lfunc_end88:
	.size	_ZL37rocblas_syrkx_herkx_restricted_kernelIidLi16ELi32ELi8ELi1ELin1ELb0ELc84ELc85EKddEviT_PT9_S1_lS3_S1_lPT10_S1_li, .Lfunc_end88-_ZL37rocblas_syrkx_herkx_restricted_kernelIidLi16ELi32ELi8ELi1ELin1ELb0ELc84ELc85EKddEviT_PT9_S1_lS3_S1_lPT10_S1_li
                                        ; -- End function
	.set _ZL37rocblas_syrkx_herkx_restricted_kernelIidLi16ELi32ELi8ELi1ELin1ELb0ELc84ELc85EKddEviT_PT9_S1_lS3_S1_lPT10_S1_li.num_vgpr, 32
	.set _ZL37rocblas_syrkx_herkx_restricted_kernelIidLi16ELi32ELi8ELi1ELin1ELb0ELc84ELc85EKddEviT_PT9_S1_lS3_S1_lPT10_S1_li.num_agpr, 0
	.set _ZL37rocblas_syrkx_herkx_restricted_kernelIidLi16ELi32ELi8ELi1ELin1ELb0ELc84ELc85EKddEviT_PT9_S1_lS3_S1_lPT10_S1_li.numbered_sgpr, 22
	.set _ZL37rocblas_syrkx_herkx_restricted_kernelIidLi16ELi32ELi8ELi1ELin1ELb0ELc84ELc85EKddEviT_PT9_S1_lS3_S1_lPT10_S1_li.num_named_barrier, 0
	.set _ZL37rocblas_syrkx_herkx_restricted_kernelIidLi16ELi32ELi8ELi1ELin1ELb0ELc84ELc85EKddEviT_PT9_S1_lS3_S1_lPT10_S1_li.private_seg_size, 0
	.set _ZL37rocblas_syrkx_herkx_restricted_kernelIidLi16ELi32ELi8ELi1ELin1ELb0ELc84ELc85EKddEviT_PT9_S1_lS3_S1_lPT10_S1_li.uses_vcc, 1
	.set _ZL37rocblas_syrkx_herkx_restricted_kernelIidLi16ELi32ELi8ELi1ELin1ELb0ELc84ELc85EKddEviT_PT9_S1_lS3_S1_lPT10_S1_li.uses_flat_scratch, 0
	.set _ZL37rocblas_syrkx_herkx_restricted_kernelIidLi16ELi32ELi8ELi1ELin1ELb0ELc84ELc85EKddEviT_PT9_S1_lS3_S1_lPT10_S1_li.has_dyn_sized_stack, 0
	.set _ZL37rocblas_syrkx_herkx_restricted_kernelIidLi16ELi32ELi8ELi1ELin1ELb0ELc84ELc85EKddEviT_PT9_S1_lS3_S1_lPT10_S1_li.has_recursion, 0
	.set _ZL37rocblas_syrkx_herkx_restricted_kernelIidLi16ELi32ELi8ELi1ELin1ELb0ELc84ELc85EKddEviT_PT9_S1_lS3_S1_lPT10_S1_li.has_indirect_call, 0
	.section	.AMDGPU.csdata,"",@progbits
; Kernel info:
; codeLenInByte = 1316
; TotalNumSgprs: 26
; NumVgprs: 32
; ScratchSize: 0
; MemoryBound: 0
; FloatMode: 240
; IeeeMode: 1
; LDSByteSize: 4096 bytes/workgroup (compile time only)
; SGPRBlocks: 3
; VGPRBlocks: 7
; NumSGPRsForWavesPerEU: 26
; NumVGPRsForWavesPerEU: 32
; Occupancy: 8
; WaveLimiterHint : 0
; COMPUTE_PGM_RSRC2:SCRATCH_EN: 0
; COMPUTE_PGM_RSRC2:USER_SGPR: 6
; COMPUTE_PGM_RSRC2:TRAP_HANDLER: 0
; COMPUTE_PGM_RSRC2:TGID_X_EN: 1
; COMPUTE_PGM_RSRC2:TGID_Y_EN: 1
; COMPUTE_PGM_RSRC2:TGID_Z_EN: 1
; COMPUTE_PGM_RSRC2:TIDIG_COMP_CNT: 1
	.section	.text._ZL37rocblas_syrkx_herkx_restricted_kernelIidLi16ELi32ELi8ELi1ELin1ELb0ELc67ELc85EKddEviT_PT9_S1_lS3_S1_lPT10_S1_li,"axG",@progbits,_ZL37rocblas_syrkx_herkx_restricted_kernelIidLi16ELi32ELi8ELi1ELin1ELb0ELc67ELc85EKddEviT_PT9_S1_lS3_S1_lPT10_S1_li,comdat
	.globl	_ZL37rocblas_syrkx_herkx_restricted_kernelIidLi16ELi32ELi8ELi1ELin1ELb0ELc67ELc85EKddEviT_PT9_S1_lS3_S1_lPT10_S1_li ; -- Begin function _ZL37rocblas_syrkx_herkx_restricted_kernelIidLi16ELi32ELi8ELi1ELin1ELb0ELc67ELc85EKddEviT_PT9_S1_lS3_S1_lPT10_S1_li
	.p2align	8
	.type	_ZL37rocblas_syrkx_herkx_restricted_kernelIidLi16ELi32ELi8ELi1ELin1ELb0ELc67ELc85EKddEviT_PT9_S1_lS3_S1_lPT10_S1_li,@function
_ZL37rocblas_syrkx_herkx_restricted_kernelIidLi16ELi32ELi8ELi1ELin1ELb0ELc67ELc85EKddEviT_PT9_S1_lS3_S1_lPT10_S1_li: ; @_ZL37rocblas_syrkx_herkx_restricted_kernelIidLi16ELi32ELi8ELi1ELin1ELb0ELc67ELc85EKddEviT_PT9_S1_lS3_S1_lPT10_S1_li
; %bb.0:
	s_load_dwordx2 s[10:11], s[4:5], 0x0
	s_load_dwordx4 s[0:3], s[4:5], 0x30
	s_lshl_b32 s6, s6, 5
	s_lshl_b32 s7, s7, 5
	s_mov_b32 s9, 0
	s_waitcnt lgkmcnt(0)
	s_cmp_lt_i32 s11, 1
	s_cbranch_scc1 .LBB89_3
; %bb.1:
	s_load_dwordx2 s[16:17], s[4:5], 0x8
	s_load_dword s20, s[4:5], 0x10
	s_load_dwordx4 s[12:15], s[4:5], 0x18
	s_load_dword s18, s[4:5], 0x28
	v_lshl_add_u32 v6, v1, 4, v0
	v_lshrrev_b32_e32 v8, 3, v6
	v_add_u32_e32 v4, s7, v8
	v_and_b32_e32 v2, 7, v0
	v_mov_b32_e32 v3, 0
	s_waitcnt lgkmcnt(0)
	v_mad_i64_i32 v[4:5], s[18:19], s18, v4, v[2:3]
	v_lshlrev_b32_e32 v2, 3, v2
	v_and_b32_e32 v9, 31, v6
	v_lshl_or_b32 v2, v8, 6, v2
	v_lshrrev_b32_e32 v6, 5, v6
	v_mov_b32_e32 v7, v3
	v_lshlrev_b32_e32 v3, 3, v9
	v_add_u32_e32 v15, 0x800, v2
	v_add_u32_e32 v2, s6, v9
	v_lshl_or_b32 v14, v6, 8, v3
	v_mad_i64_i32 v[2:3], s[18:19], s20, v2, v[6:7]
	s_mul_i32 s13, s13, s8
	s_mul_hi_u32 s21, s12, s8
	s_add_i32 s13, s21, s13
	s_mul_i32 s12, s12, s8
	s_lshl_b64 s[12:13], s[12:13], 3
	v_lshlrev_b64 v[2:3], 3, v[2:3]
	s_add_u32 s12, s16, s12
	v_add_co_u32_e32 v2, vcc, s12, v2
	s_mul_i32 s1, s1, s8
	s_mul_hi_u32 s12, s0, s8
	s_addc_u32 s13, s17, s13
	s_add_i32 s1, s12, s1
	s_mul_i32 s0, s0, s8
	s_lshl_b64 s[0:1], s[0:1], 3
	v_mov_b32_e32 v6, s13
	v_lshlrev_b64 v[4:5], 3, v[4:5]
	s_add_u32 s0, s14, s0
	v_addc_co_u32_e32 v3, vcc, v6, v3, vcc
	s_addc_u32 s1, s15, s1
	v_mov_b32_e32 v6, s1
	v_add_co_u32_e32 v4, vcc, s0, v4
	v_mov_b32_e32 v17, 0x800
	v_addc_co_u32_e32 v5, vcc, v6, v5, vcc
	v_mov_b32_e32 v6, 0
	v_mov_b32_e32 v8, 0
	;; [unrolled: 1-line block ×4, first 2 shown]
	v_lshlrev_b32_e32 v16, 3, v0
	v_mov_b32_e32 v7, 0
	v_mov_b32_e32 v9, 0
	;; [unrolled: 1-line block ×4, first 2 shown]
	v_lshl_add_u32 v17, v1, 6, v17
.LBB89_2:                               ; =>This Inner Loop Header: Depth=1
	global_load_dwordx2 v[18:19], v[2:3], off
	global_load_dwordx2 v[20:21], v[4:5], off
	s_add_i32 s9, s9, 8
	v_add_co_u32_e32 v2, vcc, 64, v2
	v_add_co_u32_e64 v4, s[0:1], 64, v4
	v_addc_co_u32_e32 v3, vcc, 0, v3, vcc
	v_addc_co_u32_e64 v5, vcc, 0, v5, s[0:1]
	s_cmp_ge_i32 s9, s11
	s_waitcnt vmcnt(1)
	ds_write_b64 v14, v[18:19]
	s_waitcnt vmcnt(0)
	ds_write_b64 v15, v[20:21]
	s_waitcnt lgkmcnt(0)
	s_barrier
	ds_read2_b64 v[18:21], v16 offset1:16
	ds_read_b128 v[22:25], v17
	s_waitcnt lgkmcnt(0)
	v_fma_f64 v[26:27], v[18:19], v[22:23], v[12:13]
	v_fma_f64 v[22:23], v[20:21], v[22:23], v[10:11]
	ds_read_b128 v[10:13], v17 offset:1024
	s_waitcnt lgkmcnt(0)
	v_fma_f64 v[18:19], v[18:19], v[10:11], v[8:9]
	v_fma_f64 v[10:11], v[20:21], v[10:11], v[6:7]
	ds_read2_b64 v[6:9], v16 offset0:32 offset1:48
	s_waitcnt lgkmcnt(0)
	v_fma_f64 v[20:21], v[6:7], v[24:25], v[26:27]
	v_fma_f64 v[22:23], v[8:9], v[24:25], v[22:23]
	;; [unrolled: 1-line block ×4, first 2 shown]
	ds_read_b128 v[6:9], v17 offset:16
	ds_read2_b64 v[10:13], v16 offset0:64 offset1:80
	s_waitcnt lgkmcnt(0)
	v_fma_f64 v[28:29], v[10:11], v[6:7], v[20:21]
	ds_read_b128 v[18:21], v17 offset:1040
	v_fma_f64 v[6:7], v[12:13], v[6:7], v[22:23]
	s_waitcnt lgkmcnt(0)
	v_fma_f64 v[22:23], v[10:11], v[18:19], v[24:25]
	v_fma_f64 v[18:19], v[12:13], v[18:19], v[26:27]
	ds_read2_b64 v[10:13], v16 offset0:96 offset1:112
	s_waitcnt lgkmcnt(0)
	v_fma_f64 v[24:25], v[10:11], v[8:9], v[28:29]
	v_fma_f64 v[26:27], v[12:13], v[8:9], v[6:7]
	;; [unrolled: 1-line block ×4, first 2 shown]
	ds_read2_b64 v[6:9], v16 offset0:128 offset1:144
	ds_read_b128 v[10:13], v17 offset:32
	ds_read_b128 v[18:21], v17 offset:1056
	s_waitcnt lgkmcnt(1)
	v_fma_f64 v[24:25], v[6:7], v[10:11], v[24:25]
	v_fma_f64 v[10:11], v[8:9], v[10:11], v[26:27]
	s_waitcnt lgkmcnt(0)
	v_fma_f64 v[22:23], v[6:7], v[18:19], v[22:23]
	v_fma_f64 v[18:19], v[8:9], v[18:19], v[28:29]
	ds_read2_b64 v[6:9], v16 offset0:160 offset1:176
	s_waitcnt lgkmcnt(0)
	v_fma_f64 v[24:25], v[6:7], v[12:13], v[24:25]
	v_fma_f64 v[26:27], v[8:9], v[12:13], v[10:11]
	v_fma_f64 v[22:23], v[6:7], v[20:21], v[22:23]
	v_fma_f64 v[28:29], v[8:9], v[20:21], v[18:19]
	ds_read_b128 v[6:9], v17 offset:48
	ds_read2_b64 v[10:13], v16 offset0:192 offset1:208
	ds_read_b128 v[18:21], v17 offset:1072
	s_waitcnt lgkmcnt(1)
	v_fma_f64 v[30:31], v[10:11], v[6:7], v[24:25]
	v_fma_f64 v[6:7], v[12:13], v[6:7], v[26:27]
	s_waitcnt lgkmcnt(0)
	v_fma_f64 v[26:27], v[10:11], v[18:19], v[22:23]
	v_fma_f64 v[18:19], v[12:13], v[18:19], v[28:29]
	ds_read2_b64 v[22:25], v16 offset0:224 offset1:240
	s_waitcnt lgkmcnt(0)
	s_barrier
	v_fma_f64 v[12:13], v[22:23], v[8:9], v[30:31]
	v_fma_f64 v[10:11], v[24:25], v[8:9], v[6:7]
	;; [unrolled: 1-line block ×4, first 2 shown]
	s_cbranch_scc0 .LBB89_2
	s_branch .LBB89_4
.LBB89_3:
	v_mov_b32_e32 v12, 0
	v_mov_b32_e32 v10, 0
	;; [unrolled: 1-line block ×8, first 2 shown]
.LBB89_4:
	s_load_dwordx2 s[0:1], s[4:5], 0x48
	s_load_dword s9, s[4:5], 0x40
	v_add_u32_e32 v4, s7, v1
	v_add_u32_e32 v0, s6, v0
	v_cmp_gt_i32_e32 vcc, s10, v4
	s_waitcnt lgkmcnt(0)
	s_mul_i32 s1, s1, s8
	v_mad_i64_i32 v[1:2], s[12:13], v4, s9, 0
	s_mul_hi_u32 s4, s0, s8
	s_mul_i32 s0, s0, s8
	s_add_i32 s1, s4, s1
	s_lshl_b64 s[0:1], s[0:1], 3
	s_add_u32 s4, s2, s0
	v_lshlrev_b64 v[1:2], 3, v[1:2]
	s_addc_u32 s5, s3, s1
	v_mov_b32_e32 v3, s5
	v_add_co_u32_e64 v5, s[0:1], s4, v1
	v_addc_co_u32_e64 v14, s[0:1], v3, v2, s[0:1]
	v_cmp_le_i32_e64 s[0:1], v0, v4
	s_and_b64 s[0:1], vcc, s[0:1]
	s_and_saveexec_b64 s[2:3], s[0:1]
	s_cbranch_execz .LBB89_6
; %bb.5:
	v_ashrrev_i32_e32 v1, 31, v0
	v_lshlrev_b64 v[1:2], 3, v[0:1]
	v_add_co_u32_e64 v1, s[0:1], v5, v1
	v_addc_co_u32_e64 v2, s[0:1], v14, v2, s[0:1]
	global_load_dwordx2 v[15:16], v[1:2], off
	s_waitcnt vmcnt(0)
	v_add_f64 v[12:13], v[12:13], -v[15:16]
	global_store_dwordx2 v[1:2], v[12:13], off
.LBB89_6:
	s_or_b64 exec, exec, s[2:3]
	v_add_u32_e32 v2, 16, v0
	v_cmp_le_i32_e64 s[0:1], v2, v4
	s_and_b64 s[2:3], vcc, s[0:1]
	s_and_saveexec_b64 s[0:1], s[2:3]
	s_cbranch_execz .LBB89_8
; %bb.7:
	v_ashrrev_i32_e32 v3, 31, v2
	v_lshlrev_b64 v[12:13], 3, v[2:3]
	v_add_co_u32_e32 v12, vcc, v5, v12
	v_addc_co_u32_e32 v13, vcc, v14, v13, vcc
	global_load_dwordx2 v[14:15], v[12:13], off
	s_waitcnt vmcnt(0)
	v_add_f64 v[10:11], v[10:11], -v[14:15]
	global_store_dwordx2 v[12:13], v[10:11], off
.LBB89_8:
	s_or_b64 exec, exec, s[0:1]
	v_add_u32_e32 v3, 16, v4
	v_mad_i64_i32 v[4:5], s[0:1], v3, s9, 0
	v_mov_b32_e32 v1, s5
	v_cmp_gt_i32_e32 vcc, s10, v3
	v_lshlrev_b64 v[4:5], 3, v[4:5]
	v_add_co_u32_e64 v4, s[0:1], s4, v4
	v_addc_co_u32_e64 v5, s[0:1], v1, v5, s[0:1]
	v_cmp_le_i32_e64 s[0:1], v0, v3
	s_and_b64 s[0:1], vcc, s[0:1]
	s_and_saveexec_b64 s[2:3], s[0:1]
	s_cbranch_execz .LBB89_10
; %bb.9:
	v_ashrrev_i32_e32 v1, 31, v0
	v_lshlrev_b64 v[0:1], 3, v[0:1]
	v_add_co_u32_e64 v0, s[0:1], v4, v0
	v_addc_co_u32_e64 v1, s[0:1], v5, v1, s[0:1]
	global_load_dwordx2 v[10:11], v[0:1], off
	s_waitcnt vmcnt(0)
	v_add_f64 v[8:9], v[8:9], -v[10:11]
	global_store_dwordx2 v[0:1], v[8:9], off
.LBB89_10:
	s_or_b64 exec, exec, s[2:3]
	v_cmp_le_i32_e64 s[0:1], v2, v3
	s_and_b64 s[0:1], vcc, s[0:1]
	s_and_saveexec_b64 s[2:3], s[0:1]
	s_cbranch_execz .LBB89_12
; %bb.11:
	v_ashrrev_i32_e32 v3, 31, v2
	v_lshlrev_b64 v[0:1], 3, v[2:3]
	v_add_co_u32_e32 v0, vcc, v4, v0
	v_addc_co_u32_e32 v1, vcc, v5, v1, vcc
	global_load_dwordx2 v[2:3], v[0:1], off
	s_waitcnt vmcnt(0)
	v_add_f64 v[2:3], v[6:7], -v[2:3]
	global_store_dwordx2 v[0:1], v[2:3], off
.LBB89_12:
	s_endpgm
	.section	.rodata,"a",@progbits
	.p2align	6, 0x0
	.amdhsa_kernel _ZL37rocblas_syrkx_herkx_restricted_kernelIidLi16ELi32ELi8ELi1ELin1ELb0ELc67ELc85EKddEviT_PT9_S1_lS3_S1_lPT10_S1_li
		.amdhsa_group_segment_fixed_size 4096
		.amdhsa_private_segment_fixed_size 0
		.amdhsa_kernarg_size 84
		.amdhsa_user_sgpr_count 6
		.amdhsa_user_sgpr_private_segment_buffer 1
		.amdhsa_user_sgpr_dispatch_ptr 0
		.amdhsa_user_sgpr_queue_ptr 0
		.amdhsa_user_sgpr_kernarg_segment_ptr 1
		.amdhsa_user_sgpr_dispatch_id 0
		.amdhsa_user_sgpr_flat_scratch_init 0
		.amdhsa_user_sgpr_private_segment_size 0
		.amdhsa_uses_dynamic_stack 0
		.amdhsa_system_sgpr_private_segment_wavefront_offset 0
		.amdhsa_system_sgpr_workgroup_id_x 1
		.amdhsa_system_sgpr_workgroup_id_y 1
		.amdhsa_system_sgpr_workgroup_id_z 1
		.amdhsa_system_sgpr_workgroup_info 0
		.amdhsa_system_vgpr_workitem_id 1
		.amdhsa_next_free_vgpr 32
		.amdhsa_next_free_sgpr 22
		.amdhsa_reserve_vcc 1
		.amdhsa_reserve_flat_scratch 0
		.amdhsa_float_round_mode_32 0
		.amdhsa_float_round_mode_16_64 0
		.amdhsa_float_denorm_mode_32 3
		.amdhsa_float_denorm_mode_16_64 3
		.amdhsa_dx10_clamp 1
		.amdhsa_ieee_mode 1
		.amdhsa_fp16_overflow 0
		.amdhsa_exception_fp_ieee_invalid_op 0
		.amdhsa_exception_fp_denorm_src 0
		.amdhsa_exception_fp_ieee_div_zero 0
		.amdhsa_exception_fp_ieee_overflow 0
		.amdhsa_exception_fp_ieee_underflow 0
		.amdhsa_exception_fp_ieee_inexact 0
		.amdhsa_exception_int_div_zero 0
	.end_amdhsa_kernel
	.section	.text._ZL37rocblas_syrkx_herkx_restricted_kernelIidLi16ELi32ELi8ELi1ELin1ELb0ELc67ELc85EKddEviT_PT9_S1_lS3_S1_lPT10_S1_li,"axG",@progbits,_ZL37rocblas_syrkx_herkx_restricted_kernelIidLi16ELi32ELi8ELi1ELin1ELb0ELc67ELc85EKddEviT_PT9_S1_lS3_S1_lPT10_S1_li,comdat
.Lfunc_end89:
	.size	_ZL37rocblas_syrkx_herkx_restricted_kernelIidLi16ELi32ELi8ELi1ELin1ELb0ELc67ELc85EKddEviT_PT9_S1_lS3_S1_lPT10_S1_li, .Lfunc_end89-_ZL37rocblas_syrkx_herkx_restricted_kernelIidLi16ELi32ELi8ELi1ELin1ELb0ELc67ELc85EKddEviT_PT9_S1_lS3_S1_lPT10_S1_li
                                        ; -- End function
	.set _ZL37rocblas_syrkx_herkx_restricted_kernelIidLi16ELi32ELi8ELi1ELin1ELb0ELc67ELc85EKddEviT_PT9_S1_lS3_S1_lPT10_S1_li.num_vgpr, 32
	.set _ZL37rocblas_syrkx_herkx_restricted_kernelIidLi16ELi32ELi8ELi1ELin1ELb0ELc67ELc85EKddEviT_PT9_S1_lS3_S1_lPT10_S1_li.num_agpr, 0
	.set _ZL37rocblas_syrkx_herkx_restricted_kernelIidLi16ELi32ELi8ELi1ELin1ELb0ELc67ELc85EKddEviT_PT9_S1_lS3_S1_lPT10_S1_li.numbered_sgpr, 22
	.set _ZL37rocblas_syrkx_herkx_restricted_kernelIidLi16ELi32ELi8ELi1ELin1ELb0ELc67ELc85EKddEviT_PT9_S1_lS3_S1_lPT10_S1_li.num_named_barrier, 0
	.set _ZL37rocblas_syrkx_herkx_restricted_kernelIidLi16ELi32ELi8ELi1ELin1ELb0ELc67ELc85EKddEviT_PT9_S1_lS3_S1_lPT10_S1_li.private_seg_size, 0
	.set _ZL37rocblas_syrkx_herkx_restricted_kernelIidLi16ELi32ELi8ELi1ELin1ELb0ELc67ELc85EKddEviT_PT9_S1_lS3_S1_lPT10_S1_li.uses_vcc, 1
	.set _ZL37rocblas_syrkx_herkx_restricted_kernelIidLi16ELi32ELi8ELi1ELin1ELb0ELc67ELc85EKddEviT_PT9_S1_lS3_S1_lPT10_S1_li.uses_flat_scratch, 0
	.set _ZL37rocblas_syrkx_herkx_restricted_kernelIidLi16ELi32ELi8ELi1ELin1ELb0ELc67ELc85EKddEviT_PT9_S1_lS3_S1_lPT10_S1_li.has_dyn_sized_stack, 0
	.set _ZL37rocblas_syrkx_herkx_restricted_kernelIidLi16ELi32ELi8ELi1ELin1ELb0ELc67ELc85EKddEviT_PT9_S1_lS3_S1_lPT10_S1_li.has_recursion, 0
	.set _ZL37rocblas_syrkx_herkx_restricted_kernelIidLi16ELi32ELi8ELi1ELin1ELb0ELc67ELc85EKddEviT_PT9_S1_lS3_S1_lPT10_S1_li.has_indirect_call, 0
	.section	.AMDGPU.csdata,"",@progbits
; Kernel info:
; codeLenInByte = 1316
; TotalNumSgprs: 26
; NumVgprs: 32
; ScratchSize: 0
; MemoryBound: 0
; FloatMode: 240
; IeeeMode: 1
; LDSByteSize: 4096 bytes/workgroup (compile time only)
; SGPRBlocks: 3
; VGPRBlocks: 7
; NumSGPRsForWavesPerEU: 26
; NumVGPRsForWavesPerEU: 32
; Occupancy: 8
; WaveLimiterHint : 0
; COMPUTE_PGM_RSRC2:SCRATCH_EN: 0
; COMPUTE_PGM_RSRC2:USER_SGPR: 6
; COMPUTE_PGM_RSRC2:TRAP_HANDLER: 0
; COMPUTE_PGM_RSRC2:TGID_X_EN: 1
; COMPUTE_PGM_RSRC2:TGID_Y_EN: 1
; COMPUTE_PGM_RSRC2:TGID_Z_EN: 1
; COMPUTE_PGM_RSRC2:TIDIG_COMP_CNT: 1
	.section	.text._ZL37rocblas_syrkx_herkx_restricted_kernelIidLi16ELi32ELi8ELi1ELin1ELb0ELc78ELc85EKddEviT_PT9_S1_lS3_S1_lPT10_S1_li,"axG",@progbits,_ZL37rocblas_syrkx_herkx_restricted_kernelIidLi16ELi32ELi8ELi1ELin1ELb0ELc78ELc85EKddEviT_PT9_S1_lS3_S1_lPT10_S1_li,comdat
	.globl	_ZL37rocblas_syrkx_herkx_restricted_kernelIidLi16ELi32ELi8ELi1ELin1ELb0ELc78ELc85EKddEviT_PT9_S1_lS3_S1_lPT10_S1_li ; -- Begin function _ZL37rocblas_syrkx_herkx_restricted_kernelIidLi16ELi32ELi8ELi1ELin1ELb0ELc78ELc85EKddEviT_PT9_S1_lS3_S1_lPT10_S1_li
	.p2align	8
	.type	_ZL37rocblas_syrkx_herkx_restricted_kernelIidLi16ELi32ELi8ELi1ELin1ELb0ELc78ELc85EKddEviT_PT9_S1_lS3_S1_lPT10_S1_li,@function
_ZL37rocblas_syrkx_herkx_restricted_kernelIidLi16ELi32ELi8ELi1ELin1ELb0ELc78ELc85EKddEviT_PT9_S1_lS3_S1_lPT10_S1_li: ; @_ZL37rocblas_syrkx_herkx_restricted_kernelIidLi16ELi32ELi8ELi1ELin1ELb0ELc78ELc85EKddEviT_PT9_S1_lS3_S1_lPT10_S1_li
; %bb.0:
	s_load_dwordx2 s[10:11], s[4:5], 0x0
	s_load_dwordx4 s[0:3], s[4:5], 0x30
	s_lshl_b32 s9, s6, 5
	s_lshl_b32 s16, s7, 5
	s_mov_b32 s17, 0
	s_waitcnt lgkmcnt(0)
	s_cmp_lt_i32 s11, 1
	s_cbranch_scc1 .LBB90_3
; %bb.1:
	v_lshl_add_u32 v7, v1, 4, v0
	s_load_dword s6, s[4:5], 0x10
	s_load_dword s18, s[4:5], 0x28
	s_load_dwordx2 s[20:21], s[4:5], 0x8
	s_load_dwordx4 s[12:15], s[4:5], 0x18
	v_lshrrev_b32_e32 v8, 3, v7
	v_add_u32_e32 v2, s16, v8
	v_and_b32_e32 v6, 7, v0
	v_ashrrev_i32_e32 v3, 31, v2
	s_waitcnt lgkmcnt(0)
	v_mad_i64_i32 v[4:5], s[22:23], s18, v6, v[2:3]
	v_and_b32_e32 v2, 31, v7
	v_lshrrev_b32_e32 v9, 5, v7
	v_lshlrev_b32_e32 v3, 3, v2
	v_lshl_or_b32 v14, v9, 8, v3
	v_lshlrev_b32_e32 v3, 3, v6
	v_lshl_or_b32 v3, v8, 6, v3
	v_add_u32_e32 v15, 0x800, v3
	v_mov_b32_e32 v3, 0x800
	v_add_u32_e32 v2, s9, v2
	v_lshl_add_u32 v17, v1, 6, v3
	v_ashrrev_i32_e32 v3, 31, v2
	v_mad_i64_i32 v[2:3], s[22:23], s6, v9, v[2:3]
	s_mul_i32 s13, s13, s8
	s_mul_hi_u32 s24, s12, s8
	s_add_i32 s13, s24, s13
	s_mul_i32 s12, s12, s8
	s_ashr_i32 s7, s6, 31
	s_ashr_i32 s19, s18, 31
	s_lshl_b64 s[12:13], s[12:13], 3
	v_lshlrev_b64 v[2:3], 3, v[2:3]
	s_add_u32 s12, s20, s12
	v_add_co_u32_e32 v2, vcc, s12, v2
	s_mul_i32 s1, s1, s8
	s_mul_hi_u32 s12, s0, s8
	s_addc_u32 s13, s21, s13
	s_add_i32 s1, s12, s1
	s_mul_i32 s0, s0, s8
	s_lshl_b64 s[6:7], s[6:7], 6
	s_lshl_b64 s[0:1], s[0:1], 3
	v_mov_b32_e32 v6, s13
	v_lshlrev_b64 v[4:5], 3, v[4:5]
	s_add_u32 s0, s14, s0
	v_addc_co_u32_e32 v3, vcc, v6, v3, vcc
	s_addc_u32 s1, s15, s1
	v_mov_b32_e32 v7, s1
	v_add_co_u32_e32 v6, vcc, s0, v4
	v_addc_co_u32_e32 v7, vcc, v7, v5, vcc
	s_lshl_b64 s[12:13], s[18:19], 6
	v_mov_b32_e32 v4, 0
	v_mov_b32_e32 v8, 0
	;; [unrolled: 1-line block ×4, first 2 shown]
	v_lshlrev_b32_e32 v16, 3, v0
	v_mov_b32_e32 v5, 0
	v_mov_b32_e32 v18, s7
	;; [unrolled: 1-line block ×6, first 2 shown]
.LBB90_2:                               ; =>This Inner Loop Header: Depth=1
	global_load_dwordx2 v[20:21], v[2:3], off
	global_load_dwordx2 v[22:23], v[6:7], off
	s_add_i32 s17, s17, 8
	v_add_co_u32_e32 v2, vcc, s6, v2
	v_add_co_u32_e64 v6, s[0:1], s12, v6
	v_addc_co_u32_e32 v3, vcc, v3, v18, vcc
	v_addc_co_u32_e64 v7, vcc, v7, v19, s[0:1]
	s_cmp_ge_i32 s17, s11
	s_waitcnt vmcnt(1)
	ds_write_b64 v14, v[20:21]
	s_waitcnt vmcnt(0)
	ds_write_b64 v15, v[22:23]
	s_waitcnt lgkmcnt(0)
	s_barrier
	ds_read2_b64 v[20:23], v16 offset1:16
	ds_read_b128 v[24:27], v17
	s_waitcnt lgkmcnt(0)
	v_fma_f64 v[28:29], v[20:21], v[24:25], v[12:13]
	v_fma_f64 v[24:25], v[22:23], v[24:25], v[10:11]
	ds_read_b128 v[10:13], v17 offset:1024
	s_waitcnt lgkmcnt(0)
	v_fma_f64 v[20:21], v[20:21], v[10:11], v[8:9]
	v_fma_f64 v[4:5], v[22:23], v[10:11], v[4:5]
	ds_read2_b64 v[8:11], v16 offset0:32 offset1:48
	s_waitcnt lgkmcnt(0)
	v_fma_f64 v[28:29], v[8:9], v[26:27], v[28:29]
	v_fma_f64 v[24:25], v[10:11], v[26:27], v[24:25]
	;; [unrolled: 1-line block ×4, first 2 shown]
	ds_read_b128 v[8:11], v17 offset:16
	ds_read2_b64 v[20:23], v16 offset0:64 offset1:80
	s_waitcnt lgkmcnt(0)
	v_fma_f64 v[12:13], v[20:21], v[8:9], v[28:29]
	v_fma_f64 v[8:9], v[22:23], v[8:9], v[24:25]
	ds_read_b128 v[24:27], v17 offset:1040
	s_waitcnt lgkmcnt(0)
	v_fma_f64 v[28:29], v[20:21], v[24:25], v[30:31]
	v_fma_f64 v[4:5], v[22:23], v[24:25], v[4:5]
	ds_read2_b64 v[20:23], v16 offset0:96 offset1:112
	s_waitcnt lgkmcnt(0)
	v_fma_f64 v[12:13], v[20:21], v[10:11], v[12:13]
	v_fma_f64 v[24:25], v[22:23], v[10:11], v[8:9]
	;; [unrolled: 1-line block ×4, first 2 shown]
	ds_read2_b64 v[8:11], v16 offset0:128 offset1:144
	ds_read_b128 v[20:23], v17 offset:32
	s_waitcnt lgkmcnt(0)
	v_fma_f64 v[12:13], v[8:9], v[20:21], v[12:13]
	v_fma_f64 v[20:21], v[10:11], v[20:21], v[24:25]
	ds_read_b128 v[24:27], v17 offset:1056
	s_waitcnt lgkmcnt(0)
	v_fma_f64 v[28:29], v[8:9], v[24:25], v[28:29]
	v_fma_f64 v[4:5], v[10:11], v[24:25], v[4:5]
	ds_read2_b64 v[8:11], v16 offset0:160 offset1:176
	s_waitcnt lgkmcnt(0)
	v_fma_f64 v[12:13], v[8:9], v[22:23], v[12:13]
	v_fma_f64 v[24:25], v[10:11], v[22:23], v[20:21]
	;; [unrolled: 1-line block ×4, first 2 shown]
	ds_read_b128 v[8:11], v17 offset:48
	ds_read2_b64 v[20:23], v16 offset0:192 offset1:208
	s_waitcnt lgkmcnt(0)
	v_fma_f64 v[12:13], v[20:21], v[8:9], v[12:13]
	v_fma_f64 v[8:9], v[22:23], v[8:9], v[24:25]
	ds_read_b128 v[24:27], v17 offset:1072
	s_waitcnt lgkmcnt(0)
	v_fma_f64 v[28:29], v[20:21], v[24:25], v[28:29]
	v_fma_f64 v[4:5], v[22:23], v[24:25], v[4:5]
	ds_read2_b64 v[20:23], v16 offset0:224 offset1:240
	s_waitcnt lgkmcnt(0)
	s_barrier
	v_fma_f64 v[12:13], v[20:21], v[10:11], v[12:13]
	v_fma_f64 v[10:11], v[22:23], v[10:11], v[8:9]
	;; [unrolled: 1-line block ×4, first 2 shown]
	s_cbranch_scc0 .LBB90_2
	s_branch .LBB90_4
.LBB90_3:
	v_mov_b32_e32 v12, 0
	v_mov_b32_e32 v10, 0
	;; [unrolled: 1-line block ×8, first 2 shown]
.LBB90_4:
	s_load_dwordx2 s[0:1], s[4:5], 0x48
	s_load_dword s6, s[4:5], 0x40
	v_add_u32_e32 v6, s16, v1
	v_add_u32_e32 v0, s9, v0
	v_cmp_gt_i32_e32 vcc, s10, v6
	s_waitcnt lgkmcnt(0)
	s_mul_i32 s1, s1, s8
	v_mad_i64_i32 v[1:2], s[12:13], v6, s6, 0
	s_mul_hi_u32 s4, s0, s8
	s_mul_i32 s0, s0, s8
	s_add_i32 s1, s4, s1
	s_lshl_b64 s[0:1], s[0:1], 3
	s_add_u32 s4, s2, s0
	v_lshlrev_b64 v[1:2], 3, v[1:2]
	s_addc_u32 s5, s3, s1
	v_mov_b32_e32 v3, s5
	v_add_co_u32_e64 v7, s[0:1], s4, v1
	v_addc_co_u32_e64 v14, s[0:1], v3, v2, s[0:1]
	v_cmp_le_i32_e64 s[0:1], v0, v6
	s_and_b64 s[0:1], vcc, s[0:1]
	s_and_saveexec_b64 s[2:3], s[0:1]
	s_cbranch_execz .LBB90_6
; %bb.5:
	v_ashrrev_i32_e32 v1, 31, v0
	v_lshlrev_b64 v[1:2], 3, v[0:1]
	v_add_co_u32_e64 v1, s[0:1], v7, v1
	v_addc_co_u32_e64 v2, s[0:1], v14, v2, s[0:1]
	global_load_dwordx2 v[15:16], v[1:2], off
	s_waitcnt vmcnt(0)
	v_add_f64 v[12:13], v[12:13], -v[15:16]
	global_store_dwordx2 v[1:2], v[12:13], off
.LBB90_6:
	s_or_b64 exec, exec, s[2:3]
	v_add_u32_e32 v2, 16, v0
	v_cmp_le_i32_e64 s[0:1], v2, v6
	s_and_b64 s[2:3], vcc, s[0:1]
	s_and_saveexec_b64 s[0:1], s[2:3]
	s_cbranch_execz .LBB90_8
; %bb.7:
	v_ashrrev_i32_e32 v3, 31, v2
	v_lshlrev_b64 v[12:13], 3, v[2:3]
	v_add_co_u32_e32 v12, vcc, v7, v12
	v_addc_co_u32_e32 v13, vcc, v14, v13, vcc
	global_load_dwordx2 v[14:15], v[12:13], off
	s_waitcnt vmcnt(0)
	v_add_f64 v[10:11], v[10:11], -v[14:15]
	global_store_dwordx2 v[12:13], v[10:11], off
.LBB90_8:
	s_or_b64 exec, exec, s[0:1]
	v_add_u32_e32 v3, 16, v6
	v_mad_i64_i32 v[6:7], s[0:1], v3, s6, 0
	v_mov_b32_e32 v1, s5
	v_cmp_gt_i32_e32 vcc, s10, v3
	v_lshlrev_b64 v[6:7], 3, v[6:7]
	v_add_co_u32_e64 v6, s[0:1], s4, v6
	v_addc_co_u32_e64 v7, s[0:1], v1, v7, s[0:1]
	v_cmp_le_i32_e64 s[0:1], v0, v3
	s_and_b64 s[0:1], vcc, s[0:1]
	s_and_saveexec_b64 s[2:3], s[0:1]
	s_cbranch_execz .LBB90_10
; %bb.9:
	v_ashrrev_i32_e32 v1, 31, v0
	v_lshlrev_b64 v[0:1], 3, v[0:1]
	v_add_co_u32_e64 v0, s[0:1], v6, v0
	v_addc_co_u32_e64 v1, s[0:1], v7, v1, s[0:1]
	global_load_dwordx2 v[10:11], v[0:1], off
	s_waitcnt vmcnt(0)
	v_add_f64 v[8:9], v[8:9], -v[10:11]
	global_store_dwordx2 v[0:1], v[8:9], off
.LBB90_10:
	s_or_b64 exec, exec, s[2:3]
	v_cmp_le_i32_e64 s[0:1], v2, v3
	s_and_b64 s[0:1], vcc, s[0:1]
	s_and_saveexec_b64 s[2:3], s[0:1]
	s_cbranch_execz .LBB90_12
; %bb.11:
	v_ashrrev_i32_e32 v3, 31, v2
	v_lshlrev_b64 v[0:1], 3, v[2:3]
	v_add_co_u32_e32 v0, vcc, v6, v0
	v_addc_co_u32_e32 v1, vcc, v7, v1, vcc
	global_load_dwordx2 v[2:3], v[0:1], off
	s_waitcnt vmcnt(0)
	v_add_f64 v[2:3], v[4:5], -v[2:3]
	global_store_dwordx2 v[0:1], v[2:3], off
.LBB90_12:
	s_endpgm
	.section	.rodata,"a",@progbits
	.p2align	6, 0x0
	.amdhsa_kernel _ZL37rocblas_syrkx_herkx_restricted_kernelIidLi16ELi32ELi8ELi1ELin1ELb0ELc78ELc85EKddEviT_PT9_S1_lS3_S1_lPT10_S1_li
		.amdhsa_group_segment_fixed_size 4096
		.amdhsa_private_segment_fixed_size 0
		.amdhsa_kernarg_size 84
		.amdhsa_user_sgpr_count 6
		.amdhsa_user_sgpr_private_segment_buffer 1
		.amdhsa_user_sgpr_dispatch_ptr 0
		.amdhsa_user_sgpr_queue_ptr 0
		.amdhsa_user_sgpr_kernarg_segment_ptr 1
		.amdhsa_user_sgpr_dispatch_id 0
		.amdhsa_user_sgpr_flat_scratch_init 0
		.amdhsa_user_sgpr_private_segment_size 0
		.amdhsa_uses_dynamic_stack 0
		.amdhsa_system_sgpr_private_segment_wavefront_offset 0
		.amdhsa_system_sgpr_workgroup_id_x 1
		.amdhsa_system_sgpr_workgroup_id_y 1
		.amdhsa_system_sgpr_workgroup_id_z 1
		.amdhsa_system_sgpr_workgroup_info 0
		.amdhsa_system_vgpr_workitem_id 1
		.amdhsa_next_free_vgpr 32
		.amdhsa_next_free_sgpr 25
		.amdhsa_reserve_vcc 1
		.amdhsa_reserve_flat_scratch 0
		.amdhsa_float_round_mode_32 0
		.amdhsa_float_round_mode_16_64 0
		.amdhsa_float_denorm_mode_32 3
		.amdhsa_float_denorm_mode_16_64 3
		.amdhsa_dx10_clamp 1
		.amdhsa_ieee_mode 1
		.amdhsa_fp16_overflow 0
		.amdhsa_exception_fp_ieee_invalid_op 0
		.amdhsa_exception_fp_denorm_src 0
		.amdhsa_exception_fp_ieee_div_zero 0
		.amdhsa_exception_fp_ieee_overflow 0
		.amdhsa_exception_fp_ieee_underflow 0
		.amdhsa_exception_fp_ieee_inexact 0
		.amdhsa_exception_int_div_zero 0
	.end_amdhsa_kernel
	.section	.text._ZL37rocblas_syrkx_herkx_restricted_kernelIidLi16ELi32ELi8ELi1ELin1ELb0ELc78ELc85EKddEviT_PT9_S1_lS3_S1_lPT10_S1_li,"axG",@progbits,_ZL37rocblas_syrkx_herkx_restricted_kernelIidLi16ELi32ELi8ELi1ELin1ELb0ELc78ELc85EKddEviT_PT9_S1_lS3_S1_lPT10_S1_li,comdat
.Lfunc_end90:
	.size	_ZL37rocblas_syrkx_herkx_restricted_kernelIidLi16ELi32ELi8ELi1ELin1ELb0ELc78ELc85EKddEviT_PT9_S1_lS3_S1_lPT10_S1_li, .Lfunc_end90-_ZL37rocblas_syrkx_herkx_restricted_kernelIidLi16ELi32ELi8ELi1ELin1ELb0ELc78ELc85EKddEviT_PT9_S1_lS3_S1_lPT10_S1_li
                                        ; -- End function
	.set _ZL37rocblas_syrkx_herkx_restricted_kernelIidLi16ELi32ELi8ELi1ELin1ELb0ELc78ELc85EKddEviT_PT9_S1_lS3_S1_lPT10_S1_li.num_vgpr, 32
	.set _ZL37rocblas_syrkx_herkx_restricted_kernelIidLi16ELi32ELi8ELi1ELin1ELb0ELc78ELc85EKddEviT_PT9_S1_lS3_S1_lPT10_S1_li.num_agpr, 0
	.set _ZL37rocblas_syrkx_herkx_restricted_kernelIidLi16ELi32ELi8ELi1ELin1ELb0ELc78ELc85EKddEviT_PT9_S1_lS3_S1_lPT10_S1_li.numbered_sgpr, 25
	.set _ZL37rocblas_syrkx_herkx_restricted_kernelIidLi16ELi32ELi8ELi1ELin1ELb0ELc78ELc85EKddEviT_PT9_S1_lS3_S1_lPT10_S1_li.num_named_barrier, 0
	.set _ZL37rocblas_syrkx_herkx_restricted_kernelIidLi16ELi32ELi8ELi1ELin1ELb0ELc78ELc85EKddEviT_PT9_S1_lS3_S1_lPT10_S1_li.private_seg_size, 0
	.set _ZL37rocblas_syrkx_herkx_restricted_kernelIidLi16ELi32ELi8ELi1ELin1ELb0ELc78ELc85EKddEviT_PT9_S1_lS3_S1_lPT10_S1_li.uses_vcc, 1
	.set _ZL37rocblas_syrkx_herkx_restricted_kernelIidLi16ELi32ELi8ELi1ELin1ELb0ELc78ELc85EKddEviT_PT9_S1_lS3_S1_lPT10_S1_li.uses_flat_scratch, 0
	.set _ZL37rocblas_syrkx_herkx_restricted_kernelIidLi16ELi32ELi8ELi1ELin1ELb0ELc78ELc85EKddEviT_PT9_S1_lS3_S1_lPT10_S1_li.has_dyn_sized_stack, 0
	.set _ZL37rocblas_syrkx_herkx_restricted_kernelIidLi16ELi32ELi8ELi1ELin1ELb0ELc78ELc85EKddEviT_PT9_S1_lS3_S1_lPT10_S1_li.has_recursion, 0
	.set _ZL37rocblas_syrkx_herkx_restricted_kernelIidLi16ELi32ELi8ELi1ELin1ELb0ELc78ELc85EKddEviT_PT9_S1_lS3_S1_lPT10_S1_li.has_indirect_call, 0
	.section	.AMDGPU.csdata,"",@progbits
; Kernel info:
; codeLenInByte = 1340
; TotalNumSgprs: 29
; NumVgprs: 32
; ScratchSize: 0
; MemoryBound: 0
; FloatMode: 240
; IeeeMode: 1
; LDSByteSize: 4096 bytes/workgroup (compile time only)
; SGPRBlocks: 3
; VGPRBlocks: 7
; NumSGPRsForWavesPerEU: 29
; NumVGPRsForWavesPerEU: 32
; Occupancy: 8
; WaveLimiterHint : 0
; COMPUTE_PGM_RSRC2:SCRATCH_EN: 0
; COMPUTE_PGM_RSRC2:USER_SGPR: 6
; COMPUTE_PGM_RSRC2:TRAP_HANDLER: 0
; COMPUTE_PGM_RSRC2:TGID_X_EN: 1
; COMPUTE_PGM_RSRC2:TGID_Y_EN: 1
; COMPUTE_PGM_RSRC2:TGID_Z_EN: 1
; COMPUTE_PGM_RSRC2:TIDIG_COMP_CNT: 1
	.section	.text._ZL37rocblas_syrkx_herkx_restricted_kernelIidLi16ELi32ELi8ELi1ELi0ELb0ELc84ELc76EKddEviT_PT9_S1_lS3_S1_lPT10_S1_li,"axG",@progbits,_ZL37rocblas_syrkx_herkx_restricted_kernelIidLi16ELi32ELi8ELi1ELi0ELb0ELc84ELc76EKddEviT_PT9_S1_lS3_S1_lPT10_S1_li,comdat
	.globl	_ZL37rocblas_syrkx_herkx_restricted_kernelIidLi16ELi32ELi8ELi1ELi0ELb0ELc84ELc76EKddEviT_PT9_S1_lS3_S1_lPT10_S1_li ; -- Begin function _ZL37rocblas_syrkx_herkx_restricted_kernelIidLi16ELi32ELi8ELi1ELi0ELb0ELc84ELc76EKddEviT_PT9_S1_lS3_S1_lPT10_S1_li
	.p2align	8
	.type	_ZL37rocblas_syrkx_herkx_restricted_kernelIidLi16ELi32ELi8ELi1ELi0ELb0ELc84ELc76EKddEviT_PT9_S1_lS3_S1_lPT10_S1_li,@function
_ZL37rocblas_syrkx_herkx_restricted_kernelIidLi16ELi32ELi8ELi1ELi0ELb0ELc84ELc76EKddEviT_PT9_S1_lS3_S1_lPT10_S1_li: ; @_ZL37rocblas_syrkx_herkx_restricted_kernelIidLi16ELi32ELi8ELi1ELi0ELb0ELc84ELc76EKddEviT_PT9_S1_lS3_S1_lPT10_S1_li
; %bb.0:
	s_load_dwordx2 s[10:11], s[4:5], 0x0
	s_load_dwordx4 s[0:3], s[4:5], 0x30
	s_lshl_b32 s6, s6, 5
	s_lshl_b32 s7, s7, 5
	s_mov_b32 s9, 0
	s_waitcnt lgkmcnt(0)
	s_cmp_lt_i32 s11, 1
	s_cbranch_scc1 .LBB91_3
; %bb.1:
	s_load_dwordx2 s[16:17], s[4:5], 0x8
	s_load_dword s20, s[4:5], 0x10
	s_load_dwordx4 s[12:15], s[4:5], 0x18
	s_load_dword s18, s[4:5], 0x28
	v_lshl_add_u32 v6, v1, 4, v0
	v_lshrrev_b32_e32 v8, 3, v6
	v_add_u32_e32 v4, s7, v8
	v_and_b32_e32 v2, 7, v0
	v_mov_b32_e32 v3, 0
	s_waitcnt lgkmcnt(0)
	v_mad_i64_i32 v[4:5], s[18:19], s18, v4, v[2:3]
	v_lshlrev_b32_e32 v2, 3, v2
	v_and_b32_e32 v9, 31, v6
	v_lshl_or_b32 v2, v8, 6, v2
	v_lshrrev_b32_e32 v6, 5, v6
	v_mov_b32_e32 v7, v3
	v_lshlrev_b32_e32 v3, 3, v9
	v_add_u32_e32 v15, 0x800, v2
	v_add_u32_e32 v2, s6, v9
	v_lshl_or_b32 v14, v6, 8, v3
	v_mad_i64_i32 v[2:3], s[18:19], s20, v2, v[6:7]
	s_mul_i32 s13, s13, s8
	s_mul_hi_u32 s21, s12, s8
	s_add_i32 s13, s21, s13
	s_mul_i32 s12, s12, s8
	s_lshl_b64 s[12:13], s[12:13], 3
	v_lshlrev_b64 v[2:3], 3, v[2:3]
	s_add_u32 s12, s16, s12
	v_add_co_u32_e32 v2, vcc, s12, v2
	s_mul_i32 s1, s1, s8
	s_mul_hi_u32 s12, s0, s8
	s_addc_u32 s13, s17, s13
	s_add_i32 s1, s12, s1
	s_mul_i32 s0, s0, s8
	s_lshl_b64 s[0:1], s[0:1], 3
	v_mov_b32_e32 v6, s13
	v_lshlrev_b64 v[4:5], 3, v[4:5]
	s_add_u32 s0, s14, s0
	v_addc_co_u32_e32 v3, vcc, v6, v3, vcc
	s_addc_u32 s1, s15, s1
	v_mov_b32_e32 v6, s1
	v_add_co_u32_e32 v4, vcc, s0, v4
	v_mov_b32_e32 v17, 0x800
	v_addc_co_u32_e32 v5, vcc, v6, v5, vcc
	v_mov_b32_e32 v6, 0
	v_mov_b32_e32 v8, 0
	;; [unrolled: 1-line block ×4, first 2 shown]
	v_lshlrev_b32_e32 v16, 3, v0
	v_mov_b32_e32 v7, 0
	v_mov_b32_e32 v9, 0
	;; [unrolled: 1-line block ×4, first 2 shown]
	v_lshl_add_u32 v17, v1, 6, v17
.LBB91_2:                               ; =>This Inner Loop Header: Depth=1
	global_load_dwordx2 v[18:19], v[2:3], off
	global_load_dwordx2 v[20:21], v[4:5], off
	s_add_i32 s9, s9, 8
	v_add_co_u32_e32 v2, vcc, 64, v2
	v_add_co_u32_e64 v4, s[0:1], 64, v4
	v_addc_co_u32_e32 v3, vcc, 0, v3, vcc
	v_addc_co_u32_e64 v5, vcc, 0, v5, s[0:1]
	s_cmp_ge_i32 s9, s11
	s_waitcnt vmcnt(1)
	ds_write_b64 v14, v[18:19]
	s_waitcnt vmcnt(0)
	ds_write_b64 v15, v[20:21]
	s_waitcnt lgkmcnt(0)
	s_barrier
	ds_read2_b64 v[18:21], v16 offset1:16
	ds_read_b128 v[22:25], v17
	s_waitcnt lgkmcnt(0)
	v_fma_f64 v[26:27], v[18:19], v[22:23], v[12:13]
	v_fma_f64 v[22:23], v[20:21], v[22:23], v[10:11]
	ds_read_b128 v[10:13], v17 offset:1024
	s_waitcnt lgkmcnt(0)
	v_fma_f64 v[18:19], v[18:19], v[10:11], v[8:9]
	v_fma_f64 v[10:11], v[20:21], v[10:11], v[6:7]
	ds_read2_b64 v[6:9], v16 offset0:32 offset1:48
	s_waitcnt lgkmcnt(0)
	v_fma_f64 v[20:21], v[6:7], v[24:25], v[26:27]
	v_fma_f64 v[22:23], v[8:9], v[24:25], v[22:23]
	;; [unrolled: 1-line block ×4, first 2 shown]
	ds_read_b128 v[6:9], v17 offset:16
	ds_read2_b64 v[10:13], v16 offset0:64 offset1:80
	s_waitcnt lgkmcnt(0)
	v_fma_f64 v[28:29], v[10:11], v[6:7], v[20:21]
	ds_read_b128 v[18:21], v17 offset:1040
	v_fma_f64 v[6:7], v[12:13], v[6:7], v[22:23]
	s_waitcnt lgkmcnt(0)
	v_fma_f64 v[22:23], v[10:11], v[18:19], v[24:25]
	v_fma_f64 v[18:19], v[12:13], v[18:19], v[26:27]
	ds_read2_b64 v[10:13], v16 offset0:96 offset1:112
	s_waitcnt lgkmcnt(0)
	v_fma_f64 v[24:25], v[10:11], v[8:9], v[28:29]
	v_fma_f64 v[26:27], v[12:13], v[8:9], v[6:7]
	;; [unrolled: 1-line block ×4, first 2 shown]
	ds_read2_b64 v[6:9], v16 offset0:128 offset1:144
	ds_read_b128 v[10:13], v17 offset:32
	ds_read_b128 v[18:21], v17 offset:1056
	s_waitcnt lgkmcnt(1)
	v_fma_f64 v[24:25], v[6:7], v[10:11], v[24:25]
	v_fma_f64 v[10:11], v[8:9], v[10:11], v[26:27]
	s_waitcnt lgkmcnt(0)
	v_fma_f64 v[22:23], v[6:7], v[18:19], v[22:23]
	v_fma_f64 v[18:19], v[8:9], v[18:19], v[28:29]
	ds_read2_b64 v[6:9], v16 offset0:160 offset1:176
	s_waitcnt lgkmcnt(0)
	v_fma_f64 v[24:25], v[6:7], v[12:13], v[24:25]
	v_fma_f64 v[26:27], v[8:9], v[12:13], v[10:11]
	;; [unrolled: 1-line block ×4, first 2 shown]
	ds_read_b128 v[6:9], v17 offset:48
	ds_read2_b64 v[10:13], v16 offset0:192 offset1:208
	ds_read_b128 v[18:21], v17 offset:1072
	s_waitcnt lgkmcnt(1)
	v_fma_f64 v[30:31], v[10:11], v[6:7], v[24:25]
	v_fma_f64 v[6:7], v[12:13], v[6:7], v[26:27]
	s_waitcnt lgkmcnt(0)
	v_fma_f64 v[26:27], v[10:11], v[18:19], v[22:23]
	v_fma_f64 v[18:19], v[12:13], v[18:19], v[28:29]
	ds_read2_b64 v[22:25], v16 offset0:224 offset1:240
	s_waitcnt lgkmcnt(0)
	s_barrier
	v_fma_f64 v[12:13], v[22:23], v[8:9], v[30:31]
	v_fma_f64 v[10:11], v[24:25], v[8:9], v[6:7]
	;; [unrolled: 1-line block ×4, first 2 shown]
	s_cbranch_scc0 .LBB91_2
	s_branch .LBB91_4
.LBB91_3:
	v_mov_b32_e32 v12, 0
	v_mov_b32_e32 v10, 0
	;; [unrolled: 1-line block ×8, first 2 shown]
.LBB91_4:
	s_load_dwordx2 s[0:1], s[4:5], 0x48
	s_load_dword s9, s[4:5], 0x40
	v_add_u32_e32 v4, s7, v1
	v_add_u32_e32 v0, s6, v0
	s_waitcnt lgkmcnt(0)
	s_mul_i32 s1, s1, s8
	s_mul_hi_u32 s4, s0, s8
	s_add_i32 s1, s4, s1
	v_mad_i64_i32 v[1:2], s[4:5], v4, s9, 0
	s_mul_i32 s0, s0, s8
	s_lshl_b64 s[0:1], s[0:1], 3
	s_add_u32 s7, s2, s0
	v_lshlrev_b64 v[1:2], 3, v[1:2]
	s_addc_u32 s8, s3, s1
	v_mov_b32_e32 v3, s8
	v_add_co_u32_e32 v5, vcc, s7, v1
	v_addc_co_u32_e32 v14, vcc, v3, v2, vcc
	v_cmp_le_i32_e64 s[0:1], v4, v0
	v_cmp_gt_i32_e32 vcc, s10, v0
	s_and_b64 s[0:1], s[0:1], vcc
	s_and_saveexec_b64 s[2:3], s[0:1]
	s_cbranch_execz .LBB91_6
; %bb.5:
	v_ashrrev_i32_e32 v1, 31, v0
	v_lshlrev_b64 v[1:2], 3, v[0:1]
	v_add_co_u32_e64 v1, s[0:1], v5, v1
	v_addc_co_u32_e64 v2, s[0:1], v14, v2, s[0:1]
	global_store_dwordx2 v[1:2], v[12:13], off
.LBB91_6:
	s_or_b64 exec, exec, s[2:3]
	v_add_u32_e32 v2, 16, v0
	v_cmp_le_i32_e64 s[2:3], v4, v2
	v_cmp_gt_i32_e64 s[0:1], s10, v2
	s_and_b64 s[2:3], s[2:3], s[0:1]
	s_and_saveexec_b64 s[4:5], s[2:3]
	s_cbranch_execz .LBB91_8
; %bb.7:
	v_ashrrev_i32_e32 v3, 31, v2
	v_lshlrev_b64 v[12:13], 3, v[2:3]
	v_add_co_u32_e64 v12, s[2:3], v5, v12
	v_addc_co_u32_e64 v13, s[2:3], v14, v13, s[2:3]
	global_store_dwordx2 v[12:13], v[10:11], off
.LBB91_8:
	s_or_b64 exec, exec, s[4:5]
	v_add_u32_e32 v3, 16, v4
	v_mad_i64_i32 v[4:5], s[2:3], v3, s9, 0
	v_mov_b32_e32 v1, s8
	v_lshlrev_b64 v[4:5], 3, v[4:5]
	v_add_co_u32_e64 v4, s[2:3], s7, v4
	v_addc_co_u32_e64 v5, s[2:3], v1, v5, s[2:3]
	v_cmp_le_i32_e64 s[2:3], v3, v0
	s_and_b64 s[4:5], s[2:3], vcc
	s_and_saveexec_b64 s[2:3], s[4:5]
	s_cbranch_execz .LBB91_10
; %bb.9:
	v_ashrrev_i32_e32 v1, 31, v0
	v_lshlrev_b64 v[0:1], 3, v[0:1]
	v_add_co_u32_e32 v0, vcc, v4, v0
	v_addc_co_u32_e32 v1, vcc, v5, v1, vcc
	global_store_dwordx2 v[0:1], v[8:9], off
.LBB91_10:
	s_or_b64 exec, exec, s[2:3]
	v_cmp_le_i32_e32 vcc, v3, v2
	s_and_b64 s[0:1], vcc, s[0:1]
	s_and_saveexec_b64 s[2:3], s[0:1]
	s_cbranch_execz .LBB91_12
; %bb.11:
	v_ashrrev_i32_e32 v3, 31, v2
	v_lshlrev_b64 v[0:1], 3, v[2:3]
	v_add_co_u32_e32 v0, vcc, v4, v0
	v_addc_co_u32_e32 v1, vcc, v5, v1, vcc
	global_store_dwordx2 v[0:1], v[6:7], off
.LBB91_12:
	s_endpgm
	.section	.rodata,"a",@progbits
	.p2align	6, 0x0
	.amdhsa_kernel _ZL37rocblas_syrkx_herkx_restricted_kernelIidLi16ELi32ELi8ELi1ELi0ELb0ELc84ELc76EKddEviT_PT9_S1_lS3_S1_lPT10_S1_li
		.amdhsa_group_segment_fixed_size 4096
		.amdhsa_private_segment_fixed_size 0
		.amdhsa_kernarg_size 84
		.amdhsa_user_sgpr_count 6
		.amdhsa_user_sgpr_private_segment_buffer 1
		.amdhsa_user_sgpr_dispatch_ptr 0
		.amdhsa_user_sgpr_queue_ptr 0
		.amdhsa_user_sgpr_kernarg_segment_ptr 1
		.amdhsa_user_sgpr_dispatch_id 0
		.amdhsa_user_sgpr_flat_scratch_init 0
		.amdhsa_user_sgpr_private_segment_size 0
		.amdhsa_uses_dynamic_stack 0
		.amdhsa_system_sgpr_private_segment_wavefront_offset 0
		.amdhsa_system_sgpr_workgroup_id_x 1
		.amdhsa_system_sgpr_workgroup_id_y 1
		.amdhsa_system_sgpr_workgroup_id_z 1
		.amdhsa_system_sgpr_workgroup_info 0
		.amdhsa_system_vgpr_workitem_id 1
		.amdhsa_next_free_vgpr 32
		.amdhsa_next_free_sgpr 22
		.amdhsa_reserve_vcc 1
		.amdhsa_reserve_flat_scratch 0
		.amdhsa_float_round_mode_32 0
		.amdhsa_float_round_mode_16_64 0
		.amdhsa_float_denorm_mode_32 3
		.amdhsa_float_denorm_mode_16_64 3
		.amdhsa_dx10_clamp 1
		.amdhsa_ieee_mode 1
		.amdhsa_fp16_overflow 0
		.amdhsa_exception_fp_ieee_invalid_op 0
		.amdhsa_exception_fp_denorm_src 0
		.amdhsa_exception_fp_ieee_div_zero 0
		.amdhsa_exception_fp_ieee_overflow 0
		.amdhsa_exception_fp_ieee_underflow 0
		.amdhsa_exception_fp_ieee_inexact 0
		.amdhsa_exception_int_div_zero 0
	.end_amdhsa_kernel
	.section	.text._ZL37rocblas_syrkx_herkx_restricted_kernelIidLi16ELi32ELi8ELi1ELi0ELb0ELc84ELc76EKddEviT_PT9_S1_lS3_S1_lPT10_S1_li,"axG",@progbits,_ZL37rocblas_syrkx_herkx_restricted_kernelIidLi16ELi32ELi8ELi1ELi0ELb0ELc84ELc76EKddEviT_PT9_S1_lS3_S1_lPT10_S1_li,comdat
.Lfunc_end91:
	.size	_ZL37rocblas_syrkx_herkx_restricted_kernelIidLi16ELi32ELi8ELi1ELi0ELb0ELc84ELc76EKddEviT_PT9_S1_lS3_S1_lPT10_S1_li, .Lfunc_end91-_ZL37rocblas_syrkx_herkx_restricted_kernelIidLi16ELi32ELi8ELi1ELi0ELb0ELc84ELc76EKddEviT_PT9_S1_lS3_S1_lPT10_S1_li
                                        ; -- End function
	.set _ZL37rocblas_syrkx_herkx_restricted_kernelIidLi16ELi32ELi8ELi1ELi0ELb0ELc84ELc76EKddEviT_PT9_S1_lS3_S1_lPT10_S1_li.num_vgpr, 32
	.set _ZL37rocblas_syrkx_herkx_restricted_kernelIidLi16ELi32ELi8ELi1ELi0ELb0ELc84ELc76EKddEviT_PT9_S1_lS3_S1_lPT10_S1_li.num_agpr, 0
	.set _ZL37rocblas_syrkx_herkx_restricted_kernelIidLi16ELi32ELi8ELi1ELi0ELb0ELc84ELc76EKddEviT_PT9_S1_lS3_S1_lPT10_S1_li.numbered_sgpr, 22
	.set _ZL37rocblas_syrkx_herkx_restricted_kernelIidLi16ELi32ELi8ELi1ELi0ELb0ELc84ELc76EKddEviT_PT9_S1_lS3_S1_lPT10_S1_li.num_named_barrier, 0
	.set _ZL37rocblas_syrkx_herkx_restricted_kernelIidLi16ELi32ELi8ELi1ELi0ELb0ELc84ELc76EKddEviT_PT9_S1_lS3_S1_lPT10_S1_li.private_seg_size, 0
	.set _ZL37rocblas_syrkx_herkx_restricted_kernelIidLi16ELi32ELi8ELi1ELi0ELb0ELc84ELc76EKddEviT_PT9_S1_lS3_S1_lPT10_S1_li.uses_vcc, 1
	.set _ZL37rocblas_syrkx_herkx_restricted_kernelIidLi16ELi32ELi8ELi1ELi0ELb0ELc84ELc76EKddEviT_PT9_S1_lS3_S1_lPT10_S1_li.uses_flat_scratch, 0
	.set _ZL37rocblas_syrkx_herkx_restricted_kernelIidLi16ELi32ELi8ELi1ELi0ELb0ELc84ELc76EKddEviT_PT9_S1_lS3_S1_lPT10_S1_li.has_dyn_sized_stack, 0
	.set _ZL37rocblas_syrkx_herkx_restricted_kernelIidLi16ELi32ELi8ELi1ELi0ELb0ELc84ELc76EKddEviT_PT9_S1_lS3_S1_lPT10_S1_li.has_recursion, 0
	.set _ZL37rocblas_syrkx_herkx_restricted_kernelIidLi16ELi32ELi8ELi1ELi0ELb0ELc84ELc76EKddEviT_PT9_S1_lS3_S1_lPT10_S1_li.has_indirect_call, 0
	.section	.AMDGPU.csdata,"",@progbits
; Kernel info:
; codeLenInByte = 1228
; TotalNumSgprs: 26
; NumVgprs: 32
; ScratchSize: 0
; MemoryBound: 0
; FloatMode: 240
; IeeeMode: 1
; LDSByteSize: 4096 bytes/workgroup (compile time only)
; SGPRBlocks: 3
; VGPRBlocks: 7
; NumSGPRsForWavesPerEU: 26
; NumVGPRsForWavesPerEU: 32
; Occupancy: 8
; WaveLimiterHint : 0
; COMPUTE_PGM_RSRC2:SCRATCH_EN: 0
; COMPUTE_PGM_RSRC2:USER_SGPR: 6
; COMPUTE_PGM_RSRC2:TRAP_HANDLER: 0
; COMPUTE_PGM_RSRC2:TGID_X_EN: 1
; COMPUTE_PGM_RSRC2:TGID_Y_EN: 1
; COMPUTE_PGM_RSRC2:TGID_Z_EN: 1
; COMPUTE_PGM_RSRC2:TIDIG_COMP_CNT: 1
	.section	.text._ZL37rocblas_syrkx_herkx_restricted_kernelIidLi16ELi32ELi8ELi1ELi0ELb0ELc67ELc76EKddEviT_PT9_S1_lS3_S1_lPT10_S1_li,"axG",@progbits,_ZL37rocblas_syrkx_herkx_restricted_kernelIidLi16ELi32ELi8ELi1ELi0ELb0ELc67ELc76EKddEviT_PT9_S1_lS3_S1_lPT10_S1_li,comdat
	.globl	_ZL37rocblas_syrkx_herkx_restricted_kernelIidLi16ELi32ELi8ELi1ELi0ELb0ELc67ELc76EKddEviT_PT9_S1_lS3_S1_lPT10_S1_li ; -- Begin function _ZL37rocblas_syrkx_herkx_restricted_kernelIidLi16ELi32ELi8ELi1ELi0ELb0ELc67ELc76EKddEviT_PT9_S1_lS3_S1_lPT10_S1_li
	.p2align	8
	.type	_ZL37rocblas_syrkx_herkx_restricted_kernelIidLi16ELi32ELi8ELi1ELi0ELb0ELc67ELc76EKddEviT_PT9_S1_lS3_S1_lPT10_S1_li,@function
_ZL37rocblas_syrkx_herkx_restricted_kernelIidLi16ELi32ELi8ELi1ELi0ELb0ELc67ELc76EKddEviT_PT9_S1_lS3_S1_lPT10_S1_li: ; @_ZL37rocblas_syrkx_herkx_restricted_kernelIidLi16ELi32ELi8ELi1ELi0ELb0ELc67ELc76EKddEviT_PT9_S1_lS3_S1_lPT10_S1_li
; %bb.0:
	s_load_dwordx2 s[10:11], s[4:5], 0x0
	s_load_dwordx4 s[0:3], s[4:5], 0x30
	s_lshl_b32 s6, s6, 5
	s_lshl_b32 s7, s7, 5
	s_mov_b32 s9, 0
	s_waitcnt lgkmcnt(0)
	s_cmp_lt_i32 s11, 1
	s_cbranch_scc1 .LBB92_3
; %bb.1:
	s_load_dwordx2 s[16:17], s[4:5], 0x8
	s_load_dword s20, s[4:5], 0x10
	s_load_dwordx4 s[12:15], s[4:5], 0x18
	s_load_dword s18, s[4:5], 0x28
	v_lshl_add_u32 v6, v1, 4, v0
	v_lshrrev_b32_e32 v8, 3, v6
	v_add_u32_e32 v4, s7, v8
	v_and_b32_e32 v2, 7, v0
	v_mov_b32_e32 v3, 0
	s_waitcnt lgkmcnt(0)
	v_mad_i64_i32 v[4:5], s[18:19], s18, v4, v[2:3]
	v_lshlrev_b32_e32 v2, 3, v2
	v_and_b32_e32 v9, 31, v6
	v_lshl_or_b32 v2, v8, 6, v2
	v_lshrrev_b32_e32 v6, 5, v6
	v_mov_b32_e32 v7, v3
	v_lshlrev_b32_e32 v3, 3, v9
	v_add_u32_e32 v15, 0x800, v2
	v_add_u32_e32 v2, s6, v9
	v_lshl_or_b32 v14, v6, 8, v3
	v_mad_i64_i32 v[2:3], s[18:19], s20, v2, v[6:7]
	s_mul_i32 s13, s13, s8
	s_mul_hi_u32 s21, s12, s8
	s_add_i32 s13, s21, s13
	s_mul_i32 s12, s12, s8
	s_lshl_b64 s[12:13], s[12:13], 3
	v_lshlrev_b64 v[2:3], 3, v[2:3]
	s_add_u32 s12, s16, s12
	v_add_co_u32_e32 v2, vcc, s12, v2
	s_mul_i32 s1, s1, s8
	s_mul_hi_u32 s12, s0, s8
	s_addc_u32 s13, s17, s13
	s_add_i32 s1, s12, s1
	s_mul_i32 s0, s0, s8
	s_lshl_b64 s[0:1], s[0:1], 3
	v_mov_b32_e32 v6, s13
	v_lshlrev_b64 v[4:5], 3, v[4:5]
	s_add_u32 s0, s14, s0
	v_addc_co_u32_e32 v3, vcc, v6, v3, vcc
	s_addc_u32 s1, s15, s1
	v_mov_b32_e32 v6, s1
	v_add_co_u32_e32 v4, vcc, s0, v4
	v_mov_b32_e32 v17, 0x800
	v_addc_co_u32_e32 v5, vcc, v6, v5, vcc
	v_mov_b32_e32 v6, 0
	v_mov_b32_e32 v8, 0
	;; [unrolled: 1-line block ×4, first 2 shown]
	v_lshlrev_b32_e32 v16, 3, v0
	v_mov_b32_e32 v7, 0
	v_mov_b32_e32 v9, 0
	;; [unrolled: 1-line block ×4, first 2 shown]
	v_lshl_add_u32 v17, v1, 6, v17
.LBB92_2:                               ; =>This Inner Loop Header: Depth=1
	global_load_dwordx2 v[18:19], v[2:3], off
	global_load_dwordx2 v[20:21], v[4:5], off
	s_add_i32 s9, s9, 8
	v_add_co_u32_e32 v2, vcc, 64, v2
	v_add_co_u32_e64 v4, s[0:1], 64, v4
	v_addc_co_u32_e32 v3, vcc, 0, v3, vcc
	v_addc_co_u32_e64 v5, vcc, 0, v5, s[0:1]
	s_cmp_ge_i32 s9, s11
	s_waitcnt vmcnt(1)
	ds_write_b64 v14, v[18:19]
	s_waitcnt vmcnt(0)
	ds_write_b64 v15, v[20:21]
	s_waitcnt lgkmcnt(0)
	s_barrier
	ds_read2_b64 v[18:21], v16 offset1:16
	ds_read_b128 v[22:25], v17
	s_waitcnt lgkmcnt(0)
	v_fma_f64 v[26:27], v[18:19], v[22:23], v[12:13]
	v_fma_f64 v[22:23], v[20:21], v[22:23], v[10:11]
	ds_read_b128 v[10:13], v17 offset:1024
	s_waitcnt lgkmcnt(0)
	v_fma_f64 v[18:19], v[18:19], v[10:11], v[8:9]
	v_fma_f64 v[10:11], v[20:21], v[10:11], v[6:7]
	ds_read2_b64 v[6:9], v16 offset0:32 offset1:48
	s_waitcnt lgkmcnt(0)
	v_fma_f64 v[20:21], v[6:7], v[24:25], v[26:27]
	v_fma_f64 v[22:23], v[8:9], v[24:25], v[22:23]
	;; [unrolled: 1-line block ×4, first 2 shown]
	ds_read_b128 v[6:9], v17 offset:16
	ds_read2_b64 v[10:13], v16 offset0:64 offset1:80
	s_waitcnt lgkmcnt(0)
	v_fma_f64 v[28:29], v[10:11], v[6:7], v[20:21]
	ds_read_b128 v[18:21], v17 offset:1040
	v_fma_f64 v[6:7], v[12:13], v[6:7], v[22:23]
	s_waitcnt lgkmcnt(0)
	v_fma_f64 v[22:23], v[10:11], v[18:19], v[24:25]
	v_fma_f64 v[18:19], v[12:13], v[18:19], v[26:27]
	ds_read2_b64 v[10:13], v16 offset0:96 offset1:112
	s_waitcnt lgkmcnt(0)
	v_fma_f64 v[24:25], v[10:11], v[8:9], v[28:29]
	v_fma_f64 v[26:27], v[12:13], v[8:9], v[6:7]
	;; [unrolled: 1-line block ×4, first 2 shown]
	ds_read2_b64 v[6:9], v16 offset0:128 offset1:144
	ds_read_b128 v[10:13], v17 offset:32
	ds_read_b128 v[18:21], v17 offset:1056
	s_waitcnt lgkmcnt(1)
	v_fma_f64 v[24:25], v[6:7], v[10:11], v[24:25]
	v_fma_f64 v[10:11], v[8:9], v[10:11], v[26:27]
	s_waitcnt lgkmcnt(0)
	v_fma_f64 v[22:23], v[6:7], v[18:19], v[22:23]
	v_fma_f64 v[18:19], v[8:9], v[18:19], v[28:29]
	ds_read2_b64 v[6:9], v16 offset0:160 offset1:176
	s_waitcnt lgkmcnt(0)
	v_fma_f64 v[24:25], v[6:7], v[12:13], v[24:25]
	v_fma_f64 v[26:27], v[8:9], v[12:13], v[10:11]
	;; [unrolled: 1-line block ×4, first 2 shown]
	ds_read_b128 v[6:9], v17 offset:48
	ds_read2_b64 v[10:13], v16 offset0:192 offset1:208
	ds_read_b128 v[18:21], v17 offset:1072
	s_waitcnt lgkmcnt(1)
	v_fma_f64 v[30:31], v[10:11], v[6:7], v[24:25]
	v_fma_f64 v[6:7], v[12:13], v[6:7], v[26:27]
	s_waitcnt lgkmcnt(0)
	v_fma_f64 v[26:27], v[10:11], v[18:19], v[22:23]
	v_fma_f64 v[18:19], v[12:13], v[18:19], v[28:29]
	ds_read2_b64 v[22:25], v16 offset0:224 offset1:240
	s_waitcnt lgkmcnt(0)
	s_barrier
	v_fma_f64 v[12:13], v[22:23], v[8:9], v[30:31]
	v_fma_f64 v[10:11], v[24:25], v[8:9], v[6:7]
	;; [unrolled: 1-line block ×4, first 2 shown]
	s_cbranch_scc0 .LBB92_2
	s_branch .LBB92_4
.LBB92_3:
	v_mov_b32_e32 v12, 0
	v_mov_b32_e32 v10, 0
	;; [unrolled: 1-line block ×8, first 2 shown]
.LBB92_4:
	s_load_dwordx2 s[0:1], s[4:5], 0x48
	s_load_dword s9, s[4:5], 0x40
	v_add_u32_e32 v4, s7, v1
	v_add_u32_e32 v0, s6, v0
	s_waitcnt lgkmcnt(0)
	s_mul_i32 s1, s1, s8
	s_mul_hi_u32 s4, s0, s8
	s_add_i32 s1, s4, s1
	v_mad_i64_i32 v[1:2], s[4:5], v4, s9, 0
	s_mul_i32 s0, s0, s8
	s_lshl_b64 s[0:1], s[0:1], 3
	s_add_u32 s7, s2, s0
	v_lshlrev_b64 v[1:2], 3, v[1:2]
	s_addc_u32 s8, s3, s1
	v_mov_b32_e32 v3, s8
	v_add_co_u32_e32 v5, vcc, s7, v1
	v_addc_co_u32_e32 v14, vcc, v3, v2, vcc
	v_cmp_le_i32_e64 s[0:1], v4, v0
	v_cmp_gt_i32_e32 vcc, s10, v0
	s_and_b64 s[0:1], s[0:1], vcc
	s_and_saveexec_b64 s[2:3], s[0:1]
	s_cbranch_execz .LBB92_6
; %bb.5:
	v_ashrrev_i32_e32 v1, 31, v0
	v_lshlrev_b64 v[1:2], 3, v[0:1]
	v_add_co_u32_e64 v1, s[0:1], v5, v1
	v_addc_co_u32_e64 v2, s[0:1], v14, v2, s[0:1]
	global_store_dwordx2 v[1:2], v[12:13], off
.LBB92_6:
	s_or_b64 exec, exec, s[2:3]
	v_add_u32_e32 v2, 16, v0
	v_cmp_le_i32_e64 s[2:3], v4, v2
	v_cmp_gt_i32_e64 s[0:1], s10, v2
	s_and_b64 s[2:3], s[2:3], s[0:1]
	s_and_saveexec_b64 s[4:5], s[2:3]
	s_cbranch_execz .LBB92_8
; %bb.7:
	v_ashrrev_i32_e32 v3, 31, v2
	v_lshlrev_b64 v[12:13], 3, v[2:3]
	v_add_co_u32_e64 v12, s[2:3], v5, v12
	v_addc_co_u32_e64 v13, s[2:3], v14, v13, s[2:3]
	global_store_dwordx2 v[12:13], v[10:11], off
.LBB92_8:
	s_or_b64 exec, exec, s[4:5]
	v_add_u32_e32 v3, 16, v4
	v_mad_i64_i32 v[4:5], s[2:3], v3, s9, 0
	v_mov_b32_e32 v1, s8
	v_lshlrev_b64 v[4:5], 3, v[4:5]
	v_add_co_u32_e64 v4, s[2:3], s7, v4
	v_addc_co_u32_e64 v5, s[2:3], v1, v5, s[2:3]
	v_cmp_le_i32_e64 s[2:3], v3, v0
	s_and_b64 s[4:5], s[2:3], vcc
	s_and_saveexec_b64 s[2:3], s[4:5]
	s_cbranch_execz .LBB92_10
; %bb.9:
	v_ashrrev_i32_e32 v1, 31, v0
	v_lshlrev_b64 v[0:1], 3, v[0:1]
	v_add_co_u32_e32 v0, vcc, v4, v0
	v_addc_co_u32_e32 v1, vcc, v5, v1, vcc
	global_store_dwordx2 v[0:1], v[8:9], off
.LBB92_10:
	s_or_b64 exec, exec, s[2:3]
	v_cmp_le_i32_e32 vcc, v3, v2
	s_and_b64 s[0:1], vcc, s[0:1]
	s_and_saveexec_b64 s[2:3], s[0:1]
	s_cbranch_execz .LBB92_12
; %bb.11:
	v_ashrrev_i32_e32 v3, 31, v2
	v_lshlrev_b64 v[0:1], 3, v[2:3]
	v_add_co_u32_e32 v0, vcc, v4, v0
	v_addc_co_u32_e32 v1, vcc, v5, v1, vcc
	global_store_dwordx2 v[0:1], v[6:7], off
.LBB92_12:
	s_endpgm
	.section	.rodata,"a",@progbits
	.p2align	6, 0x0
	.amdhsa_kernel _ZL37rocblas_syrkx_herkx_restricted_kernelIidLi16ELi32ELi8ELi1ELi0ELb0ELc67ELc76EKddEviT_PT9_S1_lS3_S1_lPT10_S1_li
		.amdhsa_group_segment_fixed_size 4096
		.amdhsa_private_segment_fixed_size 0
		.amdhsa_kernarg_size 84
		.amdhsa_user_sgpr_count 6
		.amdhsa_user_sgpr_private_segment_buffer 1
		.amdhsa_user_sgpr_dispatch_ptr 0
		.amdhsa_user_sgpr_queue_ptr 0
		.amdhsa_user_sgpr_kernarg_segment_ptr 1
		.amdhsa_user_sgpr_dispatch_id 0
		.amdhsa_user_sgpr_flat_scratch_init 0
		.amdhsa_user_sgpr_private_segment_size 0
		.amdhsa_uses_dynamic_stack 0
		.amdhsa_system_sgpr_private_segment_wavefront_offset 0
		.amdhsa_system_sgpr_workgroup_id_x 1
		.amdhsa_system_sgpr_workgroup_id_y 1
		.amdhsa_system_sgpr_workgroup_id_z 1
		.amdhsa_system_sgpr_workgroup_info 0
		.amdhsa_system_vgpr_workitem_id 1
		.amdhsa_next_free_vgpr 32
		.amdhsa_next_free_sgpr 22
		.amdhsa_reserve_vcc 1
		.amdhsa_reserve_flat_scratch 0
		.amdhsa_float_round_mode_32 0
		.amdhsa_float_round_mode_16_64 0
		.amdhsa_float_denorm_mode_32 3
		.amdhsa_float_denorm_mode_16_64 3
		.amdhsa_dx10_clamp 1
		.amdhsa_ieee_mode 1
		.amdhsa_fp16_overflow 0
		.amdhsa_exception_fp_ieee_invalid_op 0
		.amdhsa_exception_fp_denorm_src 0
		.amdhsa_exception_fp_ieee_div_zero 0
		.amdhsa_exception_fp_ieee_overflow 0
		.amdhsa_exception_fp_ieee_underflow 0
		.amdhsa_exception_fp_ieee_inexact 0
		.amdhsa_exception_int_div_zero 0
	.end_amdhsa_kernel
	.section	.text._ZL37rocblas_syrkx_herkx_restricted_kernelIidLi16ELi32ELi8ELi1ELi0ELb0ELc67ELc76EKddEviT_PT9_S1_lS3_S1_lPT10_S1_li,"axG",@progbits,_ZL37rocblas_syrkx_herkx_restricted_kernelIidLi16ELi32ELi8ELi1ELi0ELb0ELc67ELc76EKddEviT_PT9_S1_lS3_S1_lPT10_S1_li,comdat
.Lfunc_end92:
	.size	_ZL37rocblas_syrkx_herkx_restricted_kernelIidLi16ELi32ELi8ELi1ELi0ELb0ELc67ELc76EKddEviT_PT9_S1_lS3_S1_lPT10_S1_li, .Lfunc_end92-_ZL37rocblas_syrkx_herkx_restricted_kernelIidLi16ELi32ELi8ELi1ELi0ELb0ELc67ELc76EKddEviT_PT9_S1_lS3_S1_lPT10_S1_li
                                        ; -- End function
	.set _ZL37rocblas_syrkx_herkx_restricted_kernelIidLi16ELi32ELi8ELi1ELi0ELb0ELc67ELc76EKddEviT_PT9_S1_lS3_S1_lPT10_S1_li.num_vgpr, 32
	.set _ZL37rocblas_syrkx_herkx_restricted_kernelIidLi16ELi32ELi8ELi1ELi0ELb0ELc67ELc76EKddEviT_PT9_S1_lS3_S1_lPT10_S1_li.num_agpr, 0
	.set _ZL37rocblas_syrkx_herkx_restricted_kernelIidLi16ELi32ELi8ELi1ELi0ELb0ELc67ELc76EKddEviT_PT9_S1_lS3_S1_lPT10_S1_li.numbered_sgpr, 22
	.set _ZL37rocblas_syrkx_herkx_restricted_kernelIidLi16ELi32ELi8ELi1ELi0ELb0ELc67ELc76EKddEviT_PT9_S1_lS3_S1_lPT10_S1_li.num_named_barrier, 0
	.set _ZL37rocblas_syrkx_herkx_restricted_kernelIidLi16ELi32ELi8ELi1ELi0ELb0ELc67ELc76EKddEviT_PT9_S1_lS3_S1_lPT10_S1_li.private_seg_size, 0
	.set _ZL37rocblas_syrkx_herkx_restricted_kernelIidLi16ELi32ELi8ELi1ELi0ELb0ELc67ELc76EKddEviT_PT9_S1_lS3_S1_lPT10_S1_li.uses_vcc, 1
	.set _ZL37rocblas_syrkx_herkx_restricted_kernelIidLi16ELi32ELi8ELi1ELi0ELb0ELc67ELc76EKddEviT_PT9_S1_lS3_S1_lPT10_S1_li.uses_flat_scratch, 0
	.set _ZL37rocblas_syrkx_herkx_restricted_kernelIidLi16ELi32ELi8ELi1ELi0ELb0ELc67ELc76EKddEviT_PT9_S1_lS3_S1_lPT10_S1_li.has_dyn_sized_stack, 0
	.set _ZL37rocblas_syrkx_herkx_restricted_kernelIidLi16ELi32ELi8ELi1ELi0ELb0ELc67ELc76EKddEviT_PT9_S1_lS3_S1_lPT10_S1_li.has_recursion, 0
	.set _ZL37rocblas_syrkx_herkx_restricted_kernelIidLi16ELi32ELi8ELi1ELi0ELb0ELc67ELc76EKddEviT_PT9_S1_lS3_S1_lPT10_S1_li.has_indirect_call, 0
	.section	.AMDGPU.csdata,"",@progbits
; Kernel info:
; codeLenInByte = 1228
; TotalNumSgprs: 26
; NumVgprs: 32
; ScratchSize: 0
; MemoryBound: 0
; FloatMode: 240
; IeeeMode: 1
; LDSByteSize: 4096 bytes/workgroup (compile time only)
; SGPRBlocks: 3
; VGPRBlocks: 7
; NumSGPRsForWavesPerEU: 26
; NumVGPRsForWavesPerEU: 32
; Occupancy: 8
; WaveLimiterHint : 0
; COMPUTE_PGM_RSRC2:SCRATCH_EN: 0
; COMPUTE_PGM_RSRC2:USER_SGPR: 6
; COMPUTE_PGM_RSRC2:TRAP_HANDLER: 0
; COMPUTE_PGM_RSRC2:TGID_X_EN: 1
; COMPUTE_PGM_RSRC2:TGID_Y_EN: 1
; COMPUTE_PGM_RSRC2:TGID_Z_EN: 1
; COMPUTE_PGM_RSRC2:TIDIG_COMP_CNT: 1
	.section	.text._ZL37rocblas_syrkx_herkx_restricted_kernelIidLi16ELi32ELi8ELi1ELi0ELb0ELc78ELc76EKddEviT_PT9_S1_lS3_S1_lPT10_S1_li,"axG",@progbits,_ZL37rocblas_syrkx_herkx_restricted_kernelIidLi16ELi32ELi8ELi1ELi0ELb0ELc78ELc76EKddEviT_PT9_S1_lS3_S1_lPT10_S1_li,comdat
	.globl	_ZL37rocblas_syrkx_herkx_restricted_kernelIidLi16ELi32ELi8ELi1ELi0ELb0ELc78ELc76EKddEviT_PT9_S1_lS3_S1_lPT10_S1_li ; -- Begin function _ZL37rocblas_syrkx_herkx_restricted_kernelIidLi16ELi32ELi8ELi1ELi0ELb0ELc78ELc76EKddEviT_PT9_S1_lS3_S1_lPT10_S1_li
	.p2align	8
	.type	_ZL37rocblas_syrkx_herkx_restricted_kernelIidLi16ELi32ELi8ELi1ELi0ELb0ELc78ELc76EKddEviT_PT9_S1_lS3_S1_lPT10_S1_li,@function
_ZL37rocblas_syrkx_herkx_restricted_kernelIidLi16ELi32ELi8ELi1ELi0ELb0ELc78ELc76EKddEviT_PT9_S1_lS3_S1_lPT10_S1_li: ; @_ZL37rocblas_syrkx_herkx_restricted_kernelIidLi16ELi32ELi8ELi1ELi0ELb0ELc78ELc76EKddEviT_PT9_S1_lS3_S1_lPT10_S1_li
; %bb.0:
	s_load_dwordx2 s[10:11], s[4:5], 0x0
	s_load_dwordx4 s[0:3], s[4:5], 0x30
	s_lshl_b32 s9, s6, 5
	s_lshl_b32 s16, s7, 5
	s_mov_b32 s17, 0
	s_waitcnt lgkmcnt(0)
	s_cmp_lt_i32 s11, 1
	s_cbranch_scc1 .LBB93_3
; %bb.1:
	v_lshl_add_u32 v7, v1, 4, v0
	s_load_dword s6, s[4:5], 0x10
	s_load_dword s18, s[4:5], 0x28
	s_load_dwordx2 s[20:21], s[4:5], 0x8
	s_load_dwordx4 s[12:15], s[4:5], 0x18
	v_lshrrev_b32_e32 v8, 3, v7
	v_add_u32_e32 v2, s16, v8
	v_and_b32_e32 v6, 7, v0
	v_ashrrev_i32_e32 v3, 31, v2
	s_waitcnt lgkmcnt(0)
	v_mad_i64_i32 v[4:5], s[22:23], s18, v6, v[2:3]
	v_and_b32_e32 v2, 31, v7
	v_lshrrev_b32_e32 v9, 5, v7
	v_lshlrev_b32_e32 v3, 3, v2
	v_lshl_or_b32 v14, v9, 8, v3
	v_lshlrev_b32_e32 v3, 3, v6
	v_lshl_or_b32 v3, v8, 6, v3
	v_add_u32_e32 v15, 0x800, v3
	v_mov_b32_e32 v3, 0x800
	v_add_u32_e32 v2, s9, v2
	v_lshl_add_u32 v17, v1, 6, v3
	v_ashrrev_i32_e32 v3, 31, v2
	v_mad_i64_i32 v[2:3], s[22:23], s6, v9, v[2:3]
	s_mul_i32 s13, s13, s8
	s_mul_hi_u32 s24, s12, s8
	s_add_i32 s13, s24, s13
	s_mul_i32 s12, s12, s8
	s_ashr_i32 s7, s6, 31
	s_ashr_i32 s19, s18, 31
	s_lshl_b64 s[12:13], s[12:13], 3
	v_lshlrev_b64 v[2:3], 3, v[2:3]
	s_add_u32 s12, s20, s12
	v_add_co_u32_e32 v2, vcc, s12, v2
	s_mul_i32 s1, s1, s8
	s_mul_hi_u32 s12, s0, s8
	s_addc_u32 s13, s21, s13
	s_add_i32 s1, s12, s1
	s_mul_i32 s0, s0, s8
	s_lshl_b64 s[6:7], s[6:7], 6
	s_lshl_b64 s[0:1], s[0:1], 3
	v_mov_b32_e32 v6, s13
	v_lshlrev_b64 v[4:5], 3, v[4:5]
	s_add_u32 s0, s14, s0
	v_addc_co_u32_e32 v3, vcc, v6, v3, vcc
	s_addc_u32 s1, s15, s1
	v_mov_b32_e32 v6, s1
	v_add_co_u32_e32 v4, vcc, s0, v4
	v_addc_co_u32_e32 v5, vcc, v6, v5, vcc
	s_lshl_b64 s[12:13], s[18:19], 6
	v_mov_b32_e32 v6, 0
	v_mov_b32_e32 v8, 0
	v_mov_b32_e32 v10, 0
	v_mov_b32_e32 v12, 0
	v_lshlrev_b32_e32 v16, 3, v0
	v_mov_b32_e32 v7, 0
	v_mov_b32_e32 v18, s7
	;; [unrolled: 1-line block ×6, first 2 shown]
.LBB93_2:                               ; =>This Inner Loop Header: Depth=1
	global_load_dwordx2 v[20:21], v[2:3], off
	global_load_dwordx2 v[22:23], v[4:5], off
	s_add_i32 s17, s17, 8
	v_add_co_u32_e32 v2, vcc, s6, v2
	v_add_co_u32_e64 v4, s[0:1], s12, v4
	v_addc_co_u32_e32 v3, vcc, v3, v18, vcc
	v_addc_co_u32_e64 v5, vcc, v5, v19, s[0:1]
	s_cmp_ge_i32 s17, s11
	s_waitcnt vmcnt(1)
	ds_write_b64 v14, v[20:21]
	s_waitcnt vmcnt(0)
	ds_write_b64 v15, v[22:23]
	s_waitcnt lgkmcnt(0)
	s_barrier
	ds_read2_b64 v[20:23], v16 offset1:16
	ds_read_b128 v[24:27], v17
	s_waitcnt lgkmcnt(0)
	v_fma_f64 v[28:29], v[20:21], v[24:25], v[12:13]
	v_fma_f64 v[24:25], v[22:23], v[24:25], v[10:11]
	ds_read_b128 v[10:13], v17 offset:1024
	s_waitcnt lgkmcnt(0)
	v_fma_f64 v[20:21], v[20:21], v[10:11], v[8:9]
	v_fma_f64 v[10:11], v[22:23], v[10:11], v[6:7]
	ds_read2_b64 v[6:9], v16 offset0:32 offset1:48
	s_waitcnt lgkmcnt(0)
	v_fma_f64 v[22:23], v[6:7], v[26:27], v[28:29]
	v_fma_f64 v[24:25], v[8:9], v[26:27], v[24:25]
	;; [unrolled: 1-line block ×4, first 2 shown]
	ds_read_b128 v[6:9], v17 offset:16
	ds_read2_b64 v[10:13], v16 offset0:64 offset1:80
	s_waitcnt lgkmcnt(0)
	v_fma_f64 v[30:31], v[10:11], v[6:7], v[22:23]
	ds_read_b128 v[20:23], v17 offset:1040
	v_fma_f64 v[6:7], v[12:13], v[6:7], v[24:25]
	s_waitcnt lgkmcnt(0)
	v_fma_f64 v[24:25], v[10:11], v[20:21], v[26:27]
	v_fma_f64 v[20:21], v[12:13], v[20:21], v[28:29]
	ds_read2_b64 v[10:13], v16 offset0:96 offset1:112
	s_waitcnt lgkmcnt(0)
	v_fma_f64 v[26:27], v[10:11], v[8:9], v[30:31]
	v_fma_f64 v[28:29], v[12:13], v[8:9], v[6:7]
	;; [unrolled: 1-line block ×4, first 2 shown]
	ds_read2_b64 v[6:9], v16 offset0:128 offset1:144
	ds_read_b128 v[10:13], v17 offset:32
	ds_read_b128 v[20:23], v17 offset:1056
	s_waitcnt lgkmcnt(1)
	v_fma_f64 v[26:27], v[6:7], v[10:11], v[26:27]
	v_fma_f64 v[10:11], v[8:9], v[10:11], v[28:29]
	s_waitcnt lgkmcnt(0)
	v_fma_f64 v[24:25], v[6:7], v[20:21], v[24:25]
	v_fma_f64 v[20:21], v[8:9], v[20:21], v[30:31]
	ds_read2_b64 v[6:9], v16 offset0:160 offset1:176
	s_waitcnt lgkmcnt(0)
	v_fma_f64 v[26:27], v[6:7], v[12:13], v[26:27]
	v_fma_f64 v[28:29], v[8:9], v[12:13], v[10:11]
	;; [unrolled: 1-line block ×4, first 2 shown]
	ds_read_b128 v[6:9], v17 offset:48
	ds_read2_b64 v[10:13], v16 offset0:192 offset1:208
	ds_read_b128 v[20:23], v17 offset:1072
	s_waitcnt lgkmcnt(1)
	v_fma_f64 v[32:33], v[10:11], v[6:7], v[26:27]
	v_fma_f64 v[6:7], v[12:13], v[6:7], v[28:29]
	s_waitcnt lgkmcnt(0)
	v_fma_f64 v[28:29], v[10:11], v[20:21], v[24:25]
	v_fma_f64 v[20:21], v[12:13], v[20:21], v[30:31]
	ds_read2_b64 v[24:27], v16 offset0:224 offset1:240
	s_waitcnt lgkmcnt(0)
	s_barrier
	v_fma_f64 v[12:13], v[24:25], v[8:9], v[32:33]
	v_fma_f64 v[10:11], v[26:27], v[8:9], v[6:7]
	;; [unrolled: 1-line block ×4, first 2 shown]
	s_cbranch_scc0 .LBB93_2
	s_branch .LBB93_4
.LBB93_3:
	v_mov_b32_e32 v12, 0
	v_mov_b32_e32 v10, 0
	;; [unrolled: 1-line block ×8, first 2 shown]
.LBB93_4:
	s_load_dwordx2 s[0:1], s[4:5], 0x48
	s_load_dword s6, s[4:5], 0x40
	v_add_u32_e32 v4, s16, v1
	v_add_u32_e32 v0, s9, v0
	s_waitcnt lgkmcnt(0)
	s_mul_i32 s1, s1, s8
	s_mul_hi_u32 s4, s0, s8
	s_add_i32 s1, s4, s1
	v_mad_i64_i32 v[1:2], s[4:5], v4, s6, 0
	s_mul_i32 s0, s0, s8
	s_lshl_b64 s[0:1], s[0:1], 3
	s_add_u32 s7, s2, s0
	v_lshlrev_b64 v[1:2], 3, v[1:2]
	s_addc_u32 s8, s3, s1
	v_mov_b32_e32 v3, s8
	v_add_co_u32_e32 v5, vcc, s7, v1
	v_addc_co_u32_e32 v14, vcc, v3, v2, vcc
	v_cmp_le_i32_e64 s[0:1], v4, v0
	v_cmp_gt_i32_e32 vcc, s10, v0
	s_and_b64 s[0:1], s[0:1], vcc
	s_and_saveexec_b64 s[2:3], s[0:1]
	s_cbranch_execz .LBB93_6
; %bb.5:
	v_ashrrev_i32_e32 v1, 31, v0
	v_lshlrev_b64 v[1:2], 3, v[0:1]
	v_add_co_u32_e64 v1, s[0:1], v5, v1
	v_addc_co_u32_e64 v2, s[0:1], v14, v2, s[0:1]
	global_store_dwordx2 v[1:2], v[12:13], off
.LBB93_6:
	s_or_b64 exec, exec, s[2:3]
	v_add_u32_e32 v2, 16, v0
	v_cmp_le_i32_e64 s[2:3], v4, v2
	v_cmp_gt_i32_e64 s[0:1], s10, v2
	s_and_b64 s[2:3], s[2:3], s[0:1]
	s_and_saveexec_b64 s[4:5], s[2:3]
	s_cbranch_execz .LBB93_8
; %bb.7:
	v_ashrrev_i32_e32 v3, 31, v2
	v_lshlrev_b64 v[12:13], 3, v[2:3]
	v_add_co_u32_e64 v12, s[2:3], v5, v12
	v_addc_co_u32_e64 v13, s[2:3], v14, v13, s[2:3]
	global_store_dwordx2 v[12:13], v[10:11], off
.LBB93_8:
	s_or_b64 exec, exec, s[4:5]
	v_add_u32_e32 v3, 16, v4
	v_mad_i64_i32 v[4:5], s[2:3], v3, s6, 0
	v_mov_b32_e32 v1, s8
	v_lshlrev_b64 v[4:5], 3, v[4:5]
	v_add_co_u32_e64 v4, s[2:3], s7, v4
	v_addc_co_u32_e64 v5, s[2:3], v1, v5, s[2:3]
	v_cmp_le_i32_e64 s[2:3], v3, v0
	s_and_b64 s[4:5], s[2:3], vcc
	s_and_saveexec_b64 s[2:3], s[4:5]
	s_cbranch_execz .LBB93_10
; %bb.9:
	v_ashrrev_i32_e32 v1, 31, v0
	v_lshlrev_b64 v[0:1], 3, v[0:1]
	v_add_co_u32_e32 v0, vcc, v4, v0
	v_addc_co_u32_e32 v1, vcc, v5, v1, vcc
	global_store_dwordx2 v[0:1], v[8:9], off
.LBB93_10:
	s_or_b64 exec, exec, s[2:3]
	v_cmp_le_i32_e32 vcc, v3, v2
	s_and_b64 s[0:1], vcc, s[0:1]
	s_and_saveexec_b64 s[2:3], s[0:1]
	s_cbranch_execz .LBB93_12
; %bb.11:
	v_ashrrev_i32_e32 v3, 31, v2
	v_lshlrev_b64 v[0:1], 3, v[2:3]
	v_add_co_u32_e32 v0, vcc, v4, v0
	v_addc_co_u32_e32 v1, vcc, v5, v1, vcc
	global_store_dwordx2 v[0:1], v[6:7], off
.LBB93_12:
	s_endpgm
	.section	.rodata,"a",@progbits
	.p2align	6, 0x0
	.amdhsa_kernel _ZL37rocblas_syrkx_herkx_restricted_kernelIidLi16ELi32ELi8ELi1ELi0ELb0ELc78ELc76EKddEviT_PT9_S1_lS3_S1_lPT10_S1_li
		.amdhsa_group_segment_fixed_size 4096
		.amdhsa_private_segment_fixed_size 0
		.amdhsa_kernarg_size 84
		.amdhsa_user_sgpr_count 6
		.amdhsa_user_sgpr_private_segment_buffer 1
		.amdhsa_user_sgpr_dispatch_ptr 0
		.amdhsa_user_sgpr_queue_ptr 0
		.amdhsa_user_sgpr_kernarg_segment_ptr 1
		.amdhsa_user_sgpr_dispatch_id 0
		.amdhsa_user_sgpr_flat_scratch_init 0
		.amdhsa_user_sgpr_private_segment_size 0
		.amdhsa_uses_dynamic_stack 0
		.amdhsa_system_sgpr_private_segment_wavefront_offset 0
		.amdhsa_system_sgpr_workgroup_id_x 1
		.amdhsa_system_sgpr_workgroup_id_y 1
		.amdhsa_system_sgpr_workgroup_id_z 1
		.amdhsa_system_sgpr_workgroup_info 0
		.amdhsa_system_vgpr_workitem_id 1
		.amdhsa_next_free_vgpr 34
		.amdhsa_next_free_sgpr 25
		.amdhsa_reserve_vcc 1
		.amdhsa_reserve_flat_scratch 0
		.amdhsa_float_round_mode_32 0
		.amdhsa_float_round_mode_16_64 0
		.amdhsa_float_denorm_mode_32 3
		.amdhsa_float_denorm_mode_16_64 3
		.amdhsa_dx10_clamp 1
		.amdhsa_ieee_mode 1
		.amdhsa_fp16_overflow 0
		.amdhsa_exception_fp_ieee_invalid_op 0
		.amdhsa_exception_fp_denorm_src 0
		.amdhsa_exception_fp_ieee_div_zero 0
		.amdhsa_exception_fp_ieee_overflow 0
		.amdhsa_exception_fp_ieee_underflow 0
		.amdhsa_exception_fp_ieee_inexact 0
		.amdhsa_exception_int_div_zero 0
	.end_amdhsa_kernel
	.section	.text._ZL37rocblas_syrkx_herkx_restricted_kernelIidLi16ELi32ELi8ELi1ELi0ELb0ELc78ELc76EKddEviT_PT9_S1_lS3_S1_lPT10_S1_li,"axG",@progbits,_ZL37rocblas_syrkx_herkx_restricted_kernelIidLi16ELi32ELi8ELi1ELi0ELb0ELc78ELc76EKddEviT_PT9_S1_lS3_S1_lPT10_S1_li,comdat
.Lfunc_end93:
	.size	_ZL37rocblas_syrkx_herkx_restricted_kernelIidLi16ELi32ELi8ELi1ELi0ELb0ELc78ELc76EKddEviT_PT9_S1_lS3_S1_lPT10_S1_li, .Lfunc_end93-_ZL37rocblas_syrkx_herkx_restricted_kernelIidLi16ELi32ELi8ELi1ELi0ELb0ELc78ELc76EKddEviT_PT9_S1_lS3_S1_lPT10_S1_li
                                        ; -- End function
	.set _ZL37rocblas_syrkx_herkx_restricted_kernelIidLi16ELi32ELi8ELi1ELi0ELb0ELc78ELc76EKddEviT_PT9_S1_lS3_S1_lPT10_S1_li.num_vgpr, 34
	.set _ZL37rocblas_syrkx_herkx_restricted_kernelIidLi16ELi32ELi8ELi1ELi0ELb0ELc78ELc76EKddEviT_PT9_S1_lS3_S1_lPT10_S1_li.num_agpr, 0
	.set _ZL37rocblas_syrkx_herkx_restricted_kernelIidLi16ELi32ELi8ELi1ELi0ELb0ELc78ELc76EKddEviT_PT9_S1_lS3_S1_lPT10_S1_li.numbered_sgpr, 25
	.set _ZL37rocblas_syrkx_herkx_restricted_kernelIidLi16ELi32ELi8ELi1ELi0ELb0ELc78ELc76EKddEviT_PT9_S1_lS3_S1_lPT10_S1_li.num_named_barrier, 0
	.set _ZL37rocblas_syrkx_herkx_restricted_kernelIidLi16ELi32ELi8ELi1ELi0ELb0ELc78ELc76EKddEviT_PT9_S1_lS3_S1_lPT10_S1_li.private_seg_size, 0
	.set _ZL37rocblas_syrkx_herkx_restricted_kernelIidLi16ELi32ELi8ELi1ELi0ELb0ELc78ELc76EKddEviT_PT9_S1_lS3_S1_lPT10_S1_li.uses_vcc, 1
	.set _ZL37rocblas_syrkx_herkx_restricted_kernelIidLi16ELi32ELi8ELi1ELi0ELb0ELc78ELc76EKddEviT_PT9_S1_lS3_S1_lPT10_S1_li.uses_flat_scratch, 0
	.set _ZL37rocblas_syrkx_herkx_restricted_kernelIidLi16ELi32ELi8ELi1ELi0ELb0ELc78ELc76EKddEviT_PT9_S1_lS3_S1_lPT10_S1_li.has_dyn_sized_stack, 0
	.set _ZL37rocblas_syrkx_herkx_restricted_kernelIidLi16ELi32ELi8ELi1ELi0ELb0ELc78ELc76EKddEviT_PT9_S1_lS3_S1_lPT10_S1_li.has_recursion, 0
	.set _ZL37rocblas_syrkx_herkx_restricted_kernelIidLi16ELi32ELi8ELi1ELi0ELb0ELc78ELc76EKddEviT_PT9_S1_lS3_S1_lPT10_S1_li.has_indirect_call, 0
	.section	.AMDGPU.csdata,"",@progbits
; Kernel info:
; codeLenInByte = 1252
; TotalNumSgprs: 29
; NumVgprs: 34
; ScratchSize: 0
; MemoryBound: 0
; FloatMode: 240
; IeeeMode: 1
; LDSByteSize: 4096 bytes/workgroup (compile time only)
; SGPRBlocks: 3
; VGPRBlocks: 8
; NumSGPRsForWavesPerEU: 29
; NumVGPRsForWavesPerEU: 34
; Occupancy: 7
; WaveLimiterHint : 0
; COMPUTE_PGM_RSRC2:SCRATCH_EN: 0
; COMPUTE_PGM_RSRC2:USER_SGPR: 6
; COMPUTE_PGM_RSRC2:TRAP_HANDLER: 0
; COMPUTE_PGM_RSRC2:TGID_X_EN: 1
; COMPUTE_PGM_RSRC2:TGID_Y_EN: 1
; COMPUTE_PGM_RSRC2:TGID_Z_EN: 1
; COMPUTE_PGM_RSRC2:TIDIG_COMP_CNT: 1
	.section	.text._ZL37rocblas_syrkx_herkx_restricted_kernelIidLi16ELi32ELi8ELi1ELi0ELb0ELc84ELc85EKddEviT_PT9_S1_lS3_S1_lPT10_S1_li,"axG",@progbits,_ZL37rocblas_syrkx_herkx_restricted_kernelIidLi16ELi32ELi8ELi1ELi0ELb0ELc84ELc85EKddEviT_PT9_S1_lS3_S1_lPT10_S1_li,comdat
	.globl	_ZL37rocblas_syrkx_herkx_restricted_kernelIidLi16ELi32ELi8ELi1ELi0ELb0ELc84ELc85EKddEviT_PT9_S1_lS3_S1_lPT10_S1_li ; -- Begin function _ZL37rocblas_syrkx_herkx_restricted_kernelIidLi16ELi32ELi8ELi1ELi0ELb0ELc84ELc85EKddEviT_PT9_S1_lS3_S1_lPT10_S1_li
	.p2align	8
	.type	_ZL37rocblas_syrkx_herkx_restricted_kernelIidLi16ELi32ELi8ELi1ELi0ELb0ELc84ELc85EKddEviT_PT9_S1_lS3_S1_lPT10_S1_li,@function
_ZL37rocblas_syrkx_herkx_restricted_kernelIidLi16ELi32ELi8ELi1ELi0ELb0ELc84ELc85EKddEviT_PT9_S1_lS3_S1_lPT10_S1_li: ; @_ZL37rocblas_syrkx_herkx_restricted_kernelIidLi16ELi32ELi8ELi1ELi0ELb0ELc84ELc85EKddEviT_PT9_S1_lS3_S1_lPT10_S1_li
; %bb.0:
	s_load_dwordx2 s[10:11], s[4:5], 0x0
	s_load_dwordx4 s[0:3], s[4:5], 0x30
	s_lshl_b32 s6, s6, 5
	s_lshl_b32 s7, s7, 5
	s_mov_b32 s9, 0
	s_waitcnt lgkmcnt(0)
	s_cmp_lt_i32 s11, 1
	s_cbranch_scc1 .LBB94_3
; %bb.1:
	s_load_dwordx2 s[16:17], s[4:5], 0x8
	s_load_dword s20, s[4:5], 0x10
	s_load_dwordx4 s[12:15], s[4:5], 0x18
	s_load_dword s18, s[4:5], 0x28
	v_lshl_add_u32 v6, v1, 4, v0
	v_lshrrev_b32_e32 v8, 3, v6
	v_add_u32_e32 v4, s7, v8
	v_and_b32_e32 v2, 7, v0
	v_mov_b32_e32 v3, 0
	s_waitcnt lgkmcnt(0)
	v_mad_i64_i32 v[4:5], s[18:19], s18, v4, v[2:3]
	v_lshlrev_b32_e32 v2, 3, v2
	v_and_b32_e32 v9, 31, v6
	v_lshl_or_b32 v2, v8, 6, v2
	v_lshrrev_b32_e32 v6, 5, v6
	v_mov_b32_e32 v7, v3
	v_lshlrev_b32_e32 v3, 3, v9
	v_add_u32_e32 v15, 0x800, v2
	v_add_u32_e32 v2, s6, v9
	v_lshl_or_b32 v14, v6, 8, v3
	v_mad_i64_i32 v[2:3], s[18:19], s20, v2, v[6:7]
	s_mul_i32 s13, s13, s8
	s_mul_hi_u32 s21, s12, s8
	s_add_i32 s13, s21, s13
	s_mul_i32 s12, s12, s8
	s_lshl_b64 s[12:13], s[12:13], 3
	v_lshlrev_b64 v[2:3], 3, v[2:3]
	s_add_u32 s12, s16, s12
	v_add_co_u32_e32 v2, vcc, s12, v2
	s_mul_i32 s1, s1, s8
	s_mul_hi_u32 s12, s0, s8
	s_addc_u32 s13, s17, s13
	s_add_i32 s1, s12, s1
	s_mul_i32 s0, s0, s8
	s_lshl_b64 s[0:1], s[0:1], 3
	v_mov_b32_e32 v6, s13
	v_lshlrev_b64 v[4:5], 3, v[4:5]
	s_add_u32 s0, s14, s0
	v_addc_co_u32_e32 v3, vcc, v6, v3, vcc
	s_addc_u32 s1, s15, s1
	v_mov_b32_e32 v6, s1
	v_add_co_u32_e32 v4, vcc, s0, v4
	v_mov_b32_e32 v17, 0x800
	v_addc_co_u32_e32 v5, vcc, v6, v5, vcc
	v_mov_b32_e32 v6, 0
	v_mov_b32_e32 v8, 0
	;; [unrolled: 1-line block ×4, first 2 shown]
	v_lshlrev_b32_e32 v16, 3, v0
	v_mov_b32_e32 v7, 0
	v_mov_b32_e32 v9, 0
	;; [unrolled: 1-line block ×4, first 2 shown]
	v_lshl_add_u32 v17, v1, 6, v17
.LBB94_2:                               ; =>This Inner Loop Header: Depth=1
	global_load_dwordx2 v[18:19], v[2:3], off
	global_load_dwordx2 v[20:21], v[4:5], off
	s_add_i32 s9, s9, 8
	v_add_co_u32_e32 v2, vcc, 64, v2
	v_add_co_u32_e64 v4, s[0:1], 64, v4
	v_addc_co_u32_e32 v3, vcc, 0, v3, vcc
	v_addc_co_u32_e64 v5, vcc, 0, v5, s[0:1]
	s_cmp_ge_i32 s9, s11
	s_waitcnt vmcnt(1)
	ds_write_b64 v14, v[18:19]
	s_waitcnt vmcnt(0)
	ds_write_b64 v15, v[20:21]
	s_waitcnt lgkmcnt(0)
	s_barrier
	ds_read2_b64 v[18:21], v16 offset1:16
	ds_read_b128 v[22:25], v17
	s_waitcnt lgkmcnt(0)
	v_fma_f64 v[26:27], v[18:19], v[22:23], v[12:13]
	v_fma_f64 v[22:23], v[20:21], v[22:23], v[10:11]
	ds_read_b128 v[10:13], v17 offset:1024
	s_waitcnt lgkmcnt(0)
	v_fma_f64 v[18:19], v[18:19], v[10:11], v[8:9]
	v_fma_f64 v[10:11], v[20:21], v[10:11], v[6:7]
	ds_read2_b64 v[6:9], v16 offset0:32 offset1:48
	s_waitcnt lgkmcnt(0)
	v_fma_f64 v[20:21], v[6:7], v[24:25], v[26:27]
	v_fma_f64 v[22:23], v[8:9], v[24:25], v[22:23]
	;; [unrolled: 1-line block ×4, first 2 shown]
	ds_read_b128 v[6:9], v17 offset:16
	ds_read2_b64 v[10:13], v16 offset0:64 offset1:80
	s_waitcnt lgkmcnt(0)
	v_fma_f64 v[28:29], v[10:11], v[6:7], v[20:21]
	ds_read_b128 v[18:21], v17 offset:1040
	v_fma_f64 v[6:7], v[12:13], v[6:7], v[22:23]
	s_waitcnt lgkmcnt(0)
	v_fma_f64 v[22:23], v[10:11], v[18:19], v[24:25]
	v_fma_f64 v[18:19], v[12:13], v[18:19], v[26:27]
	ds_read2_b64 v[10:13], v16 offset0:96 offset1:112
	s_waitcnt lgkmcnt(0)
	v_fma_f64 v[24:25], v[10:11], v[8:9], v[28:29]
	v_fma_f64 v[26:27], v[12:13], v[8:9], v[6:7]
	;; [unrolled: 1-line block ×4, first 2 shown]
	ds_read2_b64 v[6:9], v16 offset0:128 offset1:144
	ds_read_b128 v[10:13], v17 offset:32
	ds_read_b128 v[18:21], v17 offset:1056
	s_waitcnt lgkmcnt(1)
	v_fma_f64 v[24:25], v[6:7], v[10:11], v[24:25]
	v_fma_f64 v[10:11], v[8:9], v[10:11], v[26:27]
	s_waitcnt lgkmcnt(0)
	v_fma_f64 v[22:23], v[6:7], v[18:19], v[22:23]
	v_fma_f64 v[18:19], v[8:9], v[18:19], v[28:29]
	ds_read2_b64 v[6:9], v16 offset0:160 offset1:176
	s_waitcnt lgkmcnt(0)
	v_fma_f64 v[24:25], v[6:7], v[12:13], v[24:25]
	v_fma_f64 v[26:27], v[8:9], v[12:13], v[10:11]
	;; [unrolled: 1-line block ×4, first 2 shown]
	ds_read_b128 v[6:9], v17 offset:48
	ds_read2_b64 v[10:13], v16 offset0:192 offset1:208
	ds_read_b128 v[18:21], v17 offset:1072
	s_waitcnt lgkmcnt(1)
	v_fma_f64 v[30:31], v[10:11], v[6:7], v[24:25]
	v_fma_f64 v[6:7], v[12:13], v[6:7], v[26:27]
	s_waitcnt lgkmcnt(0)
	v_fma_f64 v[26:27], v[10:11], v[18:19], v[22:23]
	v_fma_f64 v[18:19], v[12:13], v[18:19], v[28:29]
	ds_read2_b64 v[22:25], v16 offset0:224 offset1:240
	s_waitcnt lgkmcnt(0)
	s_barrier
	v_fma_f64 v[12:13], v[22:23], v[8:9], v[30:31]
	v_fma_f64 v[10:11], v[24:25], v[8:9], v[6:7]
	v_fma_f64 v[8:9], v[22:23], v[20:21], v[26:27]
	v_fma_f64 v[6:7], v[24:25], v[20:21], v[18:19]
	s_cbranch_scc0 .LBB94_2
	s_branch .LBB94_4
.LBB94_3:
	v_mov_b32_e32 v12, 0
	v_mov_b32_e32 v10, 0
	v_mov_b32_e32 v8, 0
	v_mov_b32_e32 v6, 0
	v_mov_b32_e32 v13, 0
	v_mov_b32_e32 v11, 0
	v_mov_b32_e32 v9, 0
	v_mov_b32_e32 v7, 0
.LBB94_4:
	s_load_dwordx2 s[0:1], s[4:5], 0x48
	s_load_dword s9, s[4:5], 0x40
	v_add_u32_e32 v4, s7, v1
	v_add_u32_e32 v0, s6, v0
	v_cmp_gt_i32_e32 vcc, s10, v4
	s_waitcnt lgkmcnt(0)
	s_mul_i32 s1, s1, s8
	v_mad_i64_i32 v[1:2], s[12:13], v4, s9, 0
	s_mul_hi_u32 s4, s0, s8
	s_mul_i32 s0, s0, s8
	s_add_i32 s1, s4, s1
	s_lshl_b64 s[0:1], s[0:1], 3
	s_add_u32 s4, s2, s0
	v_lshlrev_b64 v[1:2], 3, v[1:2]
	s_addc_u32 s5, s3, s1
	v_mov_b32_e32 v3, s5
	v_add_co_u32_e64 v5, s[0:1], s4, v1
	v_addc_co_u32_e64 v14, s[0:1], v3, v2, s[0:1]
	v_cmp_le_i32_e64 s[0:1], v0, v4
	s_and_b64 s[0:1], vcc, s[0:1]
	s_and_saveexec_b64 s[2:3], s[0:1]
	s_cbranch_execz .LBB94_6
; %bb.5:
	v_ashrrev_i32_e32 v1, 31, v0
	v_lshlrev_b64 v[1:2], 3, v[0:1]
	v_add_co_u32_e64 v1, s[0:1], v5, v1
	v_addc_co_u32_e64 v2, s[0:1], v14, v2, s[0:1]
	global_store_dwordx2 v[1:2], v[12:13], off
.LBB94_6:
	s_or_b64 exec, exec, s[2:3]
	v_add_u32_e32 v2, 16, v0
	v_cmp_le_i32_e64 s[0:1], v2, v4
	s_and_b64 s[2:3], vcc, s[0:1]
	s_and_saveexec_b64 s[0:1], s[2:3]
	s_cbranch_execz .LBB94_8
; %bb.7:
	v_ashrrev_i32_e32 v3, 31, v2
	v_lshlrev_b64 v[12:13], 3, v[2:3]
	v_add_co_u32_e32 v12, vcc, v5, v12
	v_addc_co_u32_e32 v13, vcc, v14, v13, vcc
	global_store_dwordx2 v[12:13], v[10:11], off
.LBB94_8:
	s_or_b64 exec, exec, s[0:1]
	v_add_u32_e32 v3, 16, v4
	v_mad_i64_i32 v[4:5], s[0:1], v3, s9, 0
	v_mov_b32_e32 v1, s5
	v_cmp_gt_i32_e32 vcc, s10, v3
	v_lshlrev_b64 v[4:5], 3, v[4:5]
	v_add_co_u32_e64 v4, s[0:1], s4, v4
	v_addc_co_u32_e64 v5, s[0:1], v1, v5, s[0:1]
	v_cmp_le_i32_e64 s[0:1], v0, v3
	s_and_b64 s[0:1], vcc, s[0:1]
	s_and_saveexec_b64 s[2:3], s[0:1]
	s_cbranch_execz .LBB94_10
; %bb.9:
	v_ashrrev_i32_e32 v1, 31, v0
	v_lshlrev_b64 v[0:1], 3, v[0:1]
	v_add_co_u32_e64 v0, s[0:1], v4, v0
	v_addc_co_u32_e64 v1, s[0:1], v5, v1, s[0:1]
	global_store_dwordx2 v[0:1], v[8:9], off
.LBB94_10:
	s_or_b64 exec, exec, s[2:3]
	v_cmp_le_i32_e64 s[0:1], v2, v3
	s_and_b64 s[0:1], vcc, s[0:1]
	s_and_saveexec_b64 s[2:3], s[0:1]
	s_cbranch_execz .LBB94_12
; %bb.11:
	v_ashrrev_i32_e32 v3, 31, v2
	v_lshlrev_b64 v[0:1], 3, v[2:3]
	v_add_co_u32_e32 v0, vcc, v4, v0
	v_addc_co_u32_e32 v1, vcc, v5, v1, vcc
	global_store_dwordx2 v[0:1], v[6:7], off
.LBB94_12:
	s_endpgm
	.section	.rodata,"a",@progbits
	.p2align	6, 0x0
	.amdhsa_kernel _ZL37rocblas_syrkx_herkx_restricted_kernelIidLi16ELi32ELi8ELi1ELi0ELb0ELc84ELc85EKddEviT_PT9_S1_lS3_S1_lPT10_S1_li
		.amdhsa_group_segment_fixed_size 4096
		.amdhsa_private_segment_fixed_size 0
		.amdhsa_kernarg_size 84
		.amdhsa_user_sgpr_count 6
		.amdhsa_user_sgpr_private_segment_buffer 1
		.amdhsa_user_sgpr_dispatch_ptr 0
		.amdhsa_user_sgpr_queue_ptr 0
		.amdhsa_user_sgpr_kernarg_segment_ptr 1
		.amdhsa_user_sgpr_dispatch_id 0
		.amdhsa_user_sgpr_flat_scratch_init 0
		.amdhsa_user_sgpr_private_segment_size 0
		.amdhsa_uses_dynamic_stack 0
		.amdhsa_system_sgpr_private_segment_wavefront_offset 0
		.amdhsa_system_sgpr_workgroup_id_x 1
		.amdhsa_system_sgpr_workgroup_id_y 1
		.amdhsa_system_sgpr_workgroup_id_z 1
		.amdhsa_system_sgpr_workgroup_info 0
		.amdhsa_system_vgpr_workitem_id 1
		.amdhsa_next_free_vgpr 32
		.amdhsa_next_free_sgpr 22
		.amdhsa_reserve_vcc 1
		.amdhsa_reserve_flat_scratch 0
		.amdhsa_float_round_mode_32 0
		.amdhsa_float_round_mode_16_64 0
		.amdhsa_float_denorm_mode_32 3
		.amdhsa_float_denorm_mode_16_64 3
		.amdhsa_dx10_clamp 1
		.amdhsa_ieee_mode 1
		.amdhsa_fp16_overflow 0
		.amdhsa_exception_fp_ieee_invalid_op 0
		.amdhsa_exception_fp_denorm_src 0
		.amdhsa_exception_fp_ieee_div_zero 0
		.amdhsa_exception_fp_ieee_overflow 0
		.amdhsa_exception_fp_ieee_underflow 0
		.amdhsa_exception_fp_ieee_inexact 0
		.amdhsa_exception_int_div_zero 0
	.end_amdhsa_kernel
	.section	.text._ZL37rocblas_syrkx_herkx_restricted_kernelIidLi16ELi32ELi8ELi1ELi0ELb0ELc84ELc85EKddEviT_PT9_S1_lS3_S1_lPT10_S1_li,"axG",@progbits,_ZL37rocblas_syrkx_herkx_restricted_kernelIidLi16ELi32ELi8ELi1ELi0ELb0ELc84ELc85EKddEviT_PT9_S1_lS3_S1_lPT10_S1_li,comdat
.Lfunc_end94:
	.size	_ZL37rocblas_syrkx_herkx_restricted_kernelIidLi16ELi32ELi8ELi1ELi0ELb0ELc84ELc85EKddEviT_PT9_S1_lS3_S1_lPT10_S1_li, .Lfunc_end94-_ZL37rocblas_syrkx_herkx_restricted_kernelIidLi16ELi32ELi8ELi1ELi0ELb0ELc84ELc85EKddEviT_PT9_S1_lS3_S1_lPT10_S1_li
                                        ; -- End function
	.set _ZL37rocblas_syrkx_herkx_restricted_kernelIidLi16ELi32ELi8ELi1ELi0ELb0ELc84ELc85EKddEviT_PT9_S1_lS3_S1_lPT10_S1_li.num_vgpr, 32
	.set _ZL37rocblas_syrkx_herkx_restricted_kernelIidLi16ELi32ELi8ELi1ELi0ELb0ELc84ELc85EKddEviT_PT9_S1_lS3_S1_lPT10_S1_li.num_agpr, 0
	.set _ZL37rocblas_syrkx_herkx_restricted_kernelIidLi16ELi32ELi8ELi1ELi0ELb0ELc84ELc85EKddEviT_PT9_S1_lS3_S1_lPT10_S1_li.numbered_sgpr, 22
	.set _ZL37rocblas_syrkx_herkx_restricted_kernelIidLi16ELi32ELi8ELi1ELi0ELb0ELc84ELc85EKddEviT_PT9_S1_lS3_S1_lPT10_S1_li.num_named_barrier, 0
	.set _ZL37rocblas_syrkx_herkx_restricted_kernelIidLi16ELi32ELi8ELi1ELi0ELb0ELc84ELc85EKddEviT_PT9_S1_lS3_S1_lPT10_S1_li.private_seg_size, 0
	.set _ZL37rocblas_syrkx_herkx_restricted_kernelIidLi16ELi32ELi8ELi1ELi0ELb0ELc84ELc85EKddEviT_PT9_S1_lS3_S1_lPT10_S1_li.uses_vcc, 1
	.set _ZL37rocblas_syrkx_herkx_restricted_kernelIidLi16ELi32ELi8ELi1ELi0ELb0ELc84ELc85EKddEviT_PT9_S1_lS3_S1_lPT10_S1_li.uses_flat_scratch, 0
	.set _ZL37rocblas_syrkx_herkx_restricted_kernelIidLi16ELi32ELi8ELi1ELi0ELb0ELc84ELc85EKddEviT_PT9_S1_lS3_S1_lPT10_S1_li.has_dyn_sized_stack, 0
	.set _ZL37rocblas_syrkx_herkx_restricted_kernelIidLi16ELi32ELi8ELi1ELi0ELb0ELc84ELc85EKddEviT_PT9_S1_lS3_S1_lPT10_S1_li.has_recursion, 0
	.set _ZL37rocblas_syrkx_herkx_restricted_kernelIidLi16ELi32ELi8ELi1ELi0ELb0ELc84ELc85EKddEviT_PT9_S1_lS3_S1_lPT10_S1_li.has_indirect_call, 0
	.section	.AMDGPU.csdata,"",@progbits
; Kernel info:
; codeLenInByte = 1236
; TotalNumSgprs: 26
; NumVgprs: 32
; ScratchSize: 0
; MemoryBound: 0
; FloatMode: 240
; IeeeMode: 1
; LDSByteSize: 4096 bytes/workgroup (compile time only)
; SGPRBlocks: 3
; VGPRBlocks: 7
; NumSGPRsForWavesPerEU: 26
; NumVGPRsForWavesPerEU: 32
; Occupancy: 8
; WaveLimiterHint : 0
; COMPUTE_PGM_RSRC2:SCRATCH_EN: 0
; COMPUTE_PGM_RSRC2:USER_SGPR: 6
; COMPUTE_PGM_RSRC2:TRAP_HANDLER: 0
; COMPUTE_PGM_RSRC2:TGID_X_EN: 1
; COMPUTE_PGM_RSRC2:TGID_Y_EN: 1
; COMPUTE_PGM_RSRC2:TGID_Z_EN: 1
; COMPUTE_PGM_RSRC2:TIDIG_COMP_CNT: 1
	.section	.text._ZL37rocblas_syrkx_herkx_restricted_kernelIidLi16ELi32ELi8ELi1ELi0ELb0ELc67ELc85EKddEviT_PT9_S1_lS3_S1_lPT10_S1_li,"axG",@progbits,_ZL37rocblas_syrkx_herkx_restricted_kernelIidLi16ELi32ELi8ELi1ELi0ELb0ELc67ELc85EKddEviT_PT9_S1_lS3_S1_lPT10_S1_li,comdat
	.globl	_ZL37rocblas_syrkx_herkx_restricted_kernelIidLi16ELi32ELi8ELi1ELi0ELb0ELc67ELc85EKddEviT_PT9_S1_lS3_S1_lPT10_S1_li ; -- Begin function _ZL37rocblas_syrkx_herkx_restricted_kernelIidLi16ELi32ELi8ELi1ELi0ELb0ELc67ELc85EKddEviT_PT9_S1_lS3_S1_lPT10_S1_li
	.p2align	8
	.type	_ZL37rocblas_syrkx_herkx_restricted_kernelIidLi16ELi32ELi8ELi1ELi0ELb0ELc67ELc85EKddEviT_PT9_S1_lS3_S1_lPT10_S1_li,@function
_ZL37rocblas_syrkx_herkx_restricted_kernelIidLi16ELi32ELi8ELi1ELi0ELb0ELc67ELc85EKddEviT_PT9_S1_lS3_S1_lPT10_S1_li: ; @_ZL37rocblas_syrkx_herkx_restricted_kernelIidLi16ELi32ELi8ELi1ELi0ELb0ELc67ELc85EKddEviT_PT9_S1_lS3_S1_lPT10_S1_li
; %bb.0:
	s_load_dwordx2 s[10:11], s[4:5], 0x0
	s_load_dwordx4 s[0:3], s[4:5], 0x30
	s_lshl_b32 s6, s6, 5
	s_lshl_b32 s7, s7, 5
	s_mov_b32 s9, 0
	s_waitcnt lgkmcnt(0)
	s_cmp_lt_i32 s11, 1
	s_cbranch_scc1 .LBB95_3
; %bb.1:
	s_load_dwordx2 s[16:17], s[4:5], 0x8
	s_load_dword s20, s[4:5], 0x10
	s_load_dwordx4 s[12:15], s[4:5], 0x18
	s_load_dword s18, s[4:5], 0x28
	v_lshl_add_u32 v6, v1, 4, v0
	v_lshrrev_b32_e32 v8, 3, v6
	v_add_u32_e32 v4, s7, v8
	v_and_b32_e32 v2, 7, v0
	v_mov_b32_e32 v3, 0
	s_waitcnt lgkmcnt(0)
	v_mad_i64_i32 v[4:5], s[18:19], s18, v4, v[2:3]
	v_lshlrev_b32_e32 v2, 3, v2
	v_and_b32_e32 v9, 31, v6
	v_lshl_or_b32 v2, v8, 6, v2
	v_lshrrev_b32_e32 v6, 5, v6
	v_mov_b32_e32 v7, v3
	v_lshlrev_b32_e32 v3, 3, v9
	v_add_u32_e32 v15, 0x800, v2
	v_add_u32_e32 v2, s6, v9
	v_lshl_or_b32 v14, v6, 8, v3
	v_mad_i64_i32 v[2:3], s[18:19], s20, v2, v[6:7]
	s_mul_i32 s13, s13, s8
	s_mul_hi_u32 s21, s12, s8
	s_add_i32 s13, s21, s13
	s_mul_i32 s12, s12, s8
	s_lshl_b64 s[12:13], s[12:13], 3
	v_lshlrev_b64 v[2:3], 3, v[2:3]
	s_add_u32 s12, s16, s12
	v_add_co_u32_e32 v2, vcc, s12, v2
	s_mul_i32 s1, s1, s8
	s_mul_hi_u32 s12, s0, s8
	s_addc_u32 s13, s17, s13
	s_add_i32 s1, s12, s1
	s_mul_i32 s0, s0, s8
	s_lshl_b64 s[0:1], s[0:1], 3
	v_mov_b32_e32 v6, s13
	v_lshlrev_b64 v[4:5], 3, v[4:5]
	s_add_u32 s0, s14, s0
	v_addc_co_u32_e32 v3, vcc, v6, v3, vcc
	s_addc_u32 s1, s15, s1
	v_mov_b32_e32 v6, s1
	v_add_co_u32_e32 v4, vcc, s0, v4
	v_mov_b32_e32 v17, 0x800
	v_addc_co_u32_e32 v5, vcc, v6, v5, vcc
	v_mov_b32_e32 v6, 0
	v_mov_b32_e32 v8, 0
	v_mov_b32_e32 v10, 0
	v_mov_b32_e32 v12, 0
	v_lshlrev_b32_e32 v16, 3, v0
	v_mov_b32_e32 v7, 0
	v_mov_b32_e32 v9, 0
	;; [unrolled: 1-line block ×4, first 2 shown]
	v_lshl_add_u32 v17, v1, 6, v17
.LBB95_2:                               ; =>This Inner Loop Header: Depth=1
	global_load_dwordx2 v[18:19], v[2:3], off
	global_load_dwordx2 v[20:21], v[4:5], off
	s_add_i32 s9, s9, 8
	v_add_co_u32_e32 v2, vcc, 64, v2
	v_add_co_u32_e64 v4, s[0:1], 64, v4
	v_addc_co_u32_e32 v3, vcc, 0, v3, vcc
	v_addc_co_u32_e64 v5, vcc, 0, v5, s[0:1]
	s_cmp_ge_i32 s9, s11
	s_waitcnt vmcnt(1)
	ds_write_b64 v14, v[18:19]
	s_waitcnt vmcnt(0)
	ds_write_b64 v15, v[20:21]
	s_waitcnt lgkmcnt(0)
	s_barrier
	ds_read2_b64 v[18:21], v16 offset1:16
	ds_read_b128 v[22:25], v17
	s_waitcnt lgkmcnt(0)
	v_fma_f64 v[26:27], v[18:19], v[22:23], v[12:13]
	v_fma_f64 v[22:23], v[20:21], v[22:23], v[10:11]
	ds_read_b128 v[10:13], v17 offset:1024
	s_waitcnt lgkmcnt(0)
	v_fma_f64 v[18:19], v[18:19], v[10:11], v[8:9]
	v_fma_f64 v[10:11], v[20:21], v[10:11], v[6:7]
	ds_read2_b64 v[6:9], v16 offset0:32 offset1:48
	s_waitcnt lgkmcnt(0)
	v_fma_f64 v[20:21], v[6:7], v[24:25], v[26:27]
	v_fma_f64 v[22:23], v[8:9], v[24:25], v[22:23]
	;; [unrolled: 1-line block ×4, first 2 shown]
	ds_read_b128 v[6:9], v17 offset:16
	ds_read2_b64 v[10:13], v16 offset0:64 offset1:80
	s_waitcnt lgkmcnt(0)
	v_fma_f64 v[28:29], v[10:11], v[6:7], v[20:21]
	ds_read_b128 v[18:21], v17 offset:1040
	v_fma_f64 v[6:7], v[12:13], v[6:7], v[22:23]
	s_waitcnt lgkmcnt(0)
	v_fma_f64 v[22:23], v[10:11], v[18:19], v[24:25]
	v_fma_f64 v[18:19], v[12:13], v[18:19], v[26:27]
	ds_read2_b64 v[10:13], v16 offset0:96 offset1:112
	s_waitcnt lgkmcnt(0)
	v_fma_f64 v[24:25], v[10:11], v[8:9], v[28:29]
	v_fma_f64 v[26:27], v[12:13], v[8:9], v[6:7]
	;; [unrolled: 1-line block ×4, first 2 shown]
	ds_read2_b64 v[6:9], v16 offset0:128 offset1:144
	ds_read_b128 v[10:13], v17 offset:32
	ds_read_b128 v[18:21], v17 offset:1056
	s_waitcnt lgkmcnt(1)
	v_fma_f64 v[24:25], v[6:7], v[10:11], v[24:25]
	v_fma_f64 v[10:11], v[8:9], v[10:11], v[26:27]
	s_waitcnt lgkmcnt(0)
	v_fma_f64 v[22:23], v[6:7], v[18:19], v[22:23]
	v_fma_f64 v[18:19], v[8:9], v[18:19], v[28:29]
	ds_read2_b64 v[6:9], v16 offset0:160 offset1:176
	s_waitcnt lgkmcnt(0)
	v_fma_f64 v[24:25], v[6:7], v[12:13], v[24:25]
	v_fma_f64 v[26:27], v[8:9], v[12:13], v[10:11]
	;; [unrolled: 1-line block ×4, first 2 shown]
	ds_read_b128 v[6:9], v17 offset:48
	ds_read2_b64 v[10:13], v16 offset0:192 offset1:208
	ds_read_b128 v[18:21], v17 offset:1072
	s_waitcnt lgkmcnt(1)
	v_fma_f64 v[30:31], v[10:11], v[6:7], v[24:25]
	v_fma_f64 v[6:7], v[12:13], v[6:7], v[26:27]
	s_waitcnt lgkmcnt(0)
	v_fma_f64 v[26:27], v[10:11], v[18:19], v[22:23]
	v_fma_f64 v[18:19], v[12:13], v[18:19], v[28:29]
	ds_read2_b64 v[22:25], v16 offset0:224 offset1:240
	s_waitcnt lgkmcnt(0)
	s_barrier
	v_fma_f64 v[12:13], v[22:23], v[8:9], v[30:31]
	v_fma_f64 v[10:11], v[24:25], v[8:9], v[6:7]
	;; [unrolled: 1-line block ×4, first 2 shown]
	s_cbranch_scc0 .LBB95_2
	s_branch .LBB95_4
.LBB95_3:
	v_mov_b32_e32 v12, 0
	v_mov_b32_e32 v10, 0
	;; [unrolled: 1-line block ×8, first 2 shown]
.LBB95_4:
	s_load_dwordx2 s[0:1], s[4:5], 0x48
	s_load_dword s9, s[4:5], 0x40
	v_add_u32_e32 v4, s7, v1
	v_add_u32_e32 v0, s6, v0
	v_cmp_gt_i32_e32 vcc, s10, v4
	s_waitcnt lgkmcnt(0)
	s_mul_i32 s1, s1, s8
	v_mad_i64_i32 v[1:2], s[12:13], v4, s9, 0
	s_mul_hi_u32 s4, s0, s8
	s_mul_i32 s0, s0, s8
	s_add_i32 s1, s4, s1
	s_lshl_b64 s[0:1], s[0:1], 3
	s_add_u32 s4, s2, s0
	v_lshlrev_b64 v[1:2], 3, v[1:2]
	s_addc_u32 s5, s3, s1
	v_mov_b32_e32 v3, s5
	v_add_co_u32_e64 v5, s[0:1], s4, v1
	v_addc_co_u32_e64 v14, s[0:1], v3, v2, s[0:1]
	v_cmp_le_i32_e64 s[0:1], v0, v4
	s_and_b64 s[0:1], vcc, s[0:1]
	s_and_saveexec_b64 s[2:3], s[0:1]
	s_cbranch_execz .LBB95_6
; %bb.5:
	v_ashrrev_i32_e32 v1, 31, v0
	v_lshlrev_b64 v[1:2], 3, v[0:1]
	v_add_co_u32_e64 v1, s[0:1], v5, v1
	v_addc_co_u32_e64 v2, s[0:1], v14, v2, s[0:1]
	global_store_dwordx2 v[1:2], v[12:13], off
.LBB95_6:
	s_or_b64 exec, exec, s[2:3]
	v_add_u32_e32 v2, 16, v0
	v_cmp_le_i32_e64 s[0:1], v2, v4
	s_and_b64 s[2:3], vcc, s[0:1]
	s_and_saveexec_b64 s[0:1], s[2:3]
	s_cbranch_execz .LBB95_8
; %bb.7:
	v_ashrrev_i32_e32 v3, 31, v2
	v_lshlrev_b64 v[12:13], 3, v[2:3]
	v_add_co_u32_e32 v12, vcc, v5, v12
	v_addc_co_u32_e32 v13, vcc, v14, v13, vcc
	global_store_dwordx2 v[12:13], v[10:11], off
.LBB95_8:
	s_or_b64 exec, exec, s[0:1]
	v_add_u32_e32 v3, 16, v4
	v_mad_i64_i32 v[4:5], s[0:1], v3, s9, 0
	v_mov_b32_e32 v1, s5
	v_cmp_gt_i32_e32 vcc, s10, v3
	v_lshlrev_b64 v[4:5], 3, v[4:5]
	v_add_co_u32_e64 v4, s[0:1], s4, v4
	v_addc_co_u32_e64 v5, s[0:1], v1, v5, s[0:1]
	v_cmp_le_i32_e64 s[0:1], v0, v3
	s_and_b64 s[0:1], vcc, s[0:1]
	s_and_saveexec_b64 s[2:3], s[0:1]
	s_cbranch_execz .LBB95_10
; %bb.9:
	v_ashrrev_i32_e32 v1, 31, v0
	v_lshlrev_b64 v[0:1], 3, v[0:1]
	v_add_co_u32_e64 v0, s[0:1], v4, v0
	v_addc_co_u32_e64 v1, s[0:1], v5, v1, s[0:1]
	global_store_dwordx2 v[0:1], v[8:9], off
.LBB95_10:
	s_or_b64 exec, exec, s[2:3]
	v_cmp_le_i32_e64 s[0:1], v2, v3
	s_and_b64 s[0:1], vcc, s[0:1]
	s_and_saveexec_b64 s[2:3], s[0:1]
	s_cbranch_execz .LBB95_12
; %bb.11:
	v_ashrrev_i32_e32 v3, 31, v2
	v_lshlrev_b64 v[0:1], 3, v[2:3]
	v_add_co_u32_e32 v0, vcc, v4, v0
	v_addc_co_u32_e32 v1, vcc, v5, v1, vcc
	global_store_dwordx2 v[0:1], v[6:7], off
.LBB95_12:
	s_endpgm
	.section	.rodata,"a",@progbits
	.p2align	6, 0x0
	.amdhsa_kernel _ZL37rocblas_syrkx_herkx_restricted_kernelIidLi16ELi32ELi8ELi1ELi0ELb0ELc67ELc85EKddEviT_PT9_S1_lS3_S1_lPT10_S1_li
		.amdhsa_group_segment_fixed_size 4096
		.amdhsa_private_segment_fixed_size 0
		.amdhsa_kernarg_size 84
		.amdhsa_user_sgpr_count 6
		.amdhsa_user_sgpr_private_segment_buffer 1
		.amdhsa_user_sgpr_dispatch_ptr 0
		.amdhsa_user_sgpr_queue_ptr 0
		.amdhsa_user_sgpr_kernarg_segment_ptr 1
		.amdhsa_user_sgpr_dispatch_id 0
		.amdhsa_user_sgpr_flat_scratch_init 0
		.amdhsa_user_sgpr_private_segment_size 0
		.amdhsa_uses_dynamic_stack 0
		.amdhsa_system_sgpr_private_segment_wavefront_offset 0
		.amdhsa_system_sgpr_workgroup_id_x 1
		.amdhsa_system_sgpr_workgroup_id_y 1
		.amdhsa_system_sgpr_workgroup_id_z 1
		.amdhsa_system_sgpr_workgroup_info 0
		.amdhsa_system_vgpr_workitem_id 1
		.amdhsa_next_free_vgpr 32
		.amdhsa_next_free_sgpr 22
		.amdhsa_reserve_vcc 1
		.amdhsa_reserve_flat_scratch 0
		.amdhsa_float_round_mode_32 0
		.amdhsa_float_round_mode_16_64 0
		.amdhsa_float_denorm_mode_32 3
		.amdhsa_float_denorm_mode_16_64 3
		.amdhsa_dx10_clamp 1
		.amdhsa_ieee_mode 1
		.amdhsa_fp16_overflow 0
		.amdhsa_exception_fp_ieee_invalid_op 0
		.amdhsa_exception_fp_denorm_src 0
		.amdhsa_exception_fp_ieee_div_zero 0
		.amdhsa_exception_fp_ieee_overflow 0
		.amdhsa_exception_fp_ieee_underflow 0
		.amdhsa_exception_fp_ieee_inexact 0
		.amdhsa_exception_int_div_zero 0
	.end_amdhsa_kernel
	.section	.text._ZL37rocblas_syrkx_herkx_restricted_kernelIidLi16ELi32ELi8ELi1ELi0ELb0ELc67ELc85EKddEviT_PT9_S1_lS3_S1_lPT10_S1_li,"axG",@progbits,_ZL37rocblas_syrkx_herkx_restricted_kernelIidLi16ELi32ELi8ELi1ELi0ELb0ELc67ELc85EKddEviT_PT9_S1_lS3_S1_lPT10_S1_li,comdat
.Lfunc_end95:
	.size	_ZL37rocblas_syrkx_herkx_restricted_kernelIidLi16ELi32ELi8ELi1ELi0ELb0ELc67ELc85EKddEviT_PT9_S1_lS3_S1_lPT10_S1_li, .Lfunc_end95-_ZL37rocblas_syrkx_herkx_restricted_kernelIidLi16ELi32ELi8ELi1ELi0ELb0ELc67ELc85EKddEviT_PT9_S1_lS3_S1_lPT10_S1_li
                                        ; -- End function
	.set _ZL37rocblas_syrkx_herkx_restricted_kernelIidLi16ELi32ELi8ELi1ELi0ELb0ELc67ELc85EKddEviT_PT9_S1_lS3_S1_lPT10_S1_li.num_vgpr, 32
	.set _ZL37rocblas_syrkx_herkx_restricted_kernelIidLi16ELi32ELi8ELi1ELi0ELb0ELc67ELc85EKddEviT_PT9_S1_lS3_S1_lPT10_S1_li.num_agpr, 0
	.set _ZL37rocblas_syrkx_herkx_restricted_kernelIidLi16ELi32ELi8ELi1ELi0ELb0ELc67ELc85EKddEviT_PT9_S1_lS3_S1_lPT10_S1_li.numbered_sgpr, 22
	.set _ZL37rocblas_syrkx_herkx_restricted_kernelIidLi16ELi32ELi8ELi1ELi0ELb0ELc67ELc85EKddEviT_PT9_S1_lS3_S1_lPT10_S1_li.num_named_barrier, 0
	.set _ZL37rocblas_syrkx_herkx_restricted_kernelIidLi16ELi32ELi8ELi1ELi0ELb0ELc67ELc85EKddEviT_PT9_S1_lS3_S1_lPT10_S1_li.private_seg_size, 0
	.set _ZL37rocblas_syrkx_herkx_restricted_kernelIidLi16ELi32ELi8ELi1ELi0ELb0ELc67ELc85EKddEviT_PT9_S1_lS3_S1_lPT10_S1_li.uses_vcc, 1
	.set _ZL37rocblas_syrkx_herkx_restricted_kernelIidLi16ELi32ELi8ELi1ELi0ELb0ELc67ELc85EKddEviT_PT9_S1_lS3_S1_lPT10_S1_li.uses_flat_scratch, 0
	.set _ZL37rocblas_syrkx_herkx_restricted_kernelIidLi16ELi32ELi8ELi1ELi0ELb0ELc67ELc85EKddEviT_PT9_S1_lS3_S1_lPT10_S1_li.has_dyn_sized_stack, 0
	.set _ZL37rocblas_syrkx_herkx_restricted_kernelIidLi16ELi32ELi8ELi1ELi0ELb0ELc67ELc85EKddEviT_PT9_S1_lS3_S1_lPT10_S1_li.has_recursion, 0
	.set _ZL37rocblas_syrkx_herkx_restricted_kernelIidLi16ELi32ELi8ELi1ELi0ELb0ELc67ELc85EKddEviT_PT9_S1_lS3_S1_lPT10_S1_li.has_indirect_call, 0
	.section	.AMDGPU.csdata,"",@progbits
; Kernel info:
; codeLenInByte = 1236
; TotalNumSgprs: 26
; NumVgprs: 32
; ScratchSize: 0
; MemoryBound: 0
; FloatMode: 240
; IeeeMode: 1
; LDSByteSize: 4096 bytes/workgroup (compile time only)
; SGPRBlocks: 3
; VGPRBlocks: 7
; NumSGPRsForWavesPerEU: 26
; NumVGPRsForWavesPerEU: 32
; Occupancy: 8
; WaveLimiterHint : 0
; COMPUTE_PGM_RSRC2:SCRATCH_EN: 0
; COMPUTE_PGM_RSRC2:USER_SGPR: 6
; COMPUTE_PGM_RSRC2:TRAP_HANDLER: 0
; COMPUTE_PGM_RSRC2:TGID_X_EN: 1
; COMPUTE_PGM_RSRC2:TGID_Y_EN: 1
; COMPUTE_PGM_RSRC2:TGID_Z_EN: 1
; COMPUTE_PGM_RSRC2:TIDIG_COMP_CNT: 1
	.section	.text._ZL37rocblas_syrkx_herkx_restricted_kernelIidLi16ELi32ELi8ELi1ELi0ELb0ELc78ELc85EKddEviT_PT9_S1_lS3_S1_lPT10_S1_li,"axG",@progbits,_ZL37rocblas_syrkx_herkx_restricted_kernelIidLi16ELi32ELi8ELi1ELi0ELb0ELc78ELc85EKddEviT_PT9_S1_lS3_S1_lPT10_S1_li,comdat
	.globl	_ZL37rocblas_syrkx_herkx_restricted_kernelIidLi16ELi32ELi8ELi1ELi0ELb0ELc78ELc85EKddEviT_PT9_S1_lS3_S1_lPT10_S1_li ; -- Begin function _ZL37rocblas_syrkx_herkx_restricted_kernelIidLi16ELi32ELi8ELi1ELi0ELb0ELc78ELc85EKddEviT_PT9_S1_lS3_S1_lPT10_S1_li
	.p2align	8
	.type	_ZL37rocblas_syrkx_herkx_restricted_kernelIidLi16ELi32ELi8ELi1ELi0ELb0ELc78ELc85EKddEviT_PT9_S1_lS3_S1_lPT10_S1_li,@function
_ZL37rocblas_syrkx_herkx_restricted_kernelIidLi16ELi32ELi8ELi1ELi0ELb0ELc78ELc85EKddEviT_PT9_S1_lS3_S1_lPT10_S1_li: ; @_ZL37rocblas_syrkx_herkx_restricted_kernelIidLi16ELi32ELi8ELi1ELi0ELb0ELc78ELc85EKddEviT_PT9_S1_lS3_S1_lPT10_S1_li
; %bb.0:
	s_load_dwordx2 s[10:11], s[4:5], 0x0
	s_load_dwordx4 s[0:3], s[4:5], 0x30
	s_lshl_b32 s9, s6, 5
	s_lshl_b32 s16, s7, 5
	s_mov_b32 s17, 0
	s_waitcnt lgkmcnt(0)
	s_cmp_lt_i32 s11, 1
	s_cbranch_scc1 .LBB96_3
; %bb.1:
	v_lshl_add_u32 v7, v1, 4, v0
	s_load_dword s6, s[4:5], 0x10
	s_load_dword s18, s[4:5], 0x28
	s_load_dwordx2 s[20:21], s[4:5], 0x8
	s_load_dwordx4 s[12:15], s[4:5], 0x18
	v_lshrrev_b32_e32 v8, 3, v7
	v_add_u32_e32 v2, s16, v8
	v_and_b32_e32 v6, 7, v0
	v_ashrrev_i32_e32 v3, 31, v2
	s_waitcnt lgkmcnt(0)
	v_mad_i64_i32 v[4:5], s[22:23], s18, v6, v[2:3]
	v_and_b32_e32 v2, 31, v7
	v_lshrrev_b32_e32 v9, 5, v7
	v_lshlrev_b32_e32 v3, 3, v2
	v_lshl_or_b32 v14, v9, 8, v3
	v_lshlrev_b32_e32 v3, 3, v6
	v_lshl_or_b32 v3, v8, 6, v3
	v_add_u32_e32 v15, 0x800, v3
	v_mov_b32_e32 v3, 0x800
	v_add_u32_e32 v2, s9, v2
	v_lshl_add_u32 v17, v1, 6, v3
	v_ashrrev_i32_e32 v3, 31, v2
	v_mad_i64_i32 v[2:3], s[22:23], s6, v9, v[2:3]
	s_mul_i32 s13, s13, s8
	s_mul_hi_u32 s24, s12, s8
	s_add_i32 s13, s24, s13
	s_mul_i32 s12, s12, s8
	s_ashr_i32 s7, s6, 31
	s_ashr_i32 s19, s18, 31
	s_lshl_b64 s[12:13], s[12:13], 3
	v_lshlrev_b64 v[2:3], 3, v[2:3]
	s_add_u32 s12, s20, s12
	v_add_co_u32_e32 v2, vcc, s12, v2
	s_mul_i32 s1, s1, s8
	s_mul_hi_u32 s12, s0, s8
	s_addc_u32 s13, s21, s13
	s_add_i32 s1, s12, s1
	s_mul_i32 s0, s0, s8
	s_lshl_b64 s[6:7], s[6:7], 6
	s_lshl_b64 s[0:1], s[0:1], 3
	v_mov_b32_e32 v6, s13
	v_lshlrev_b64 v[4:5], 3, v[4:5]
	s_add_u32 s0, s14, s0
	v_addc_co_u32_e32 v3, vcc, v6, v3, vcc
	s_addc_u32 s1, s15, s1
	v_mov_b32_e32 v6, s1
	v_add_co_u32_e32 v4, vcc, s0, v4
	v_addc_co_u32_e32 v5, vcc, v6, v5, vcc
	s_lshl_b64 s[12:13], s[18:19], 6
	v_mov_b32_e32 v6, 0
	v_mov_b32_e32 v8, 0
	;; [unrolled: 1-line block ×4, first 2 shown]
	v_lshlrev_b32_e32 v16, 3, v0
	v_mov_b32_e32 v7, 0
	v_mov_b32_e32 v18, s7
	;; [unrolled: 1-line block ×6, first 2 shown]
.LBB96_2:                               ; =>This Inner Loop Header: Depth=1
	global_load_dwordx2 v[20:21], v[2:3], off
	global_load_dwordx2 v[22:23], v[4:5], off
	s_add_i32 s17, s17, 8
	v_add_co_u32_e32 v2, vcc, s6, v2
	v_add_co_u32_e64 v4, s[0:1], s12, v4
	v_addc_co_u32_e32 v3, vcc, v3, v18, vcc
	v_addc_co_u32_e64 v5, vcc, v5, v19, s[0:1]
	s_cmp_ge_i32 s17, s11
	s_waitcnt vmcnt(1)
	ds_write_b64 v14, v[20:21]
	s_waitcnt vmcnt(0)
	ds_write_b64 v15, v[22:23]
	s_waitcnt lgkmcnt(0)
	s_barrier
	ds_read2_b64 v[20:23], v16 offset1:16
	ds_read_b128 v[24:27], v17
	s_waitcnt lgkmcnt(0)
	v_fma_f64 v[28:29], v[20:21], v[24:25], v[12:13]
	v_fma_f64 v[24:25], v[22:23], v[24:25], v[10:11]
	ds_read_b128 v[10:13], v17 offset:1024
	s_waitcnt lgkmcnt(0)
	v_fma_f64 v[20:21], v[20:21], v[10:11], v[8:9]
	v_fma_f64 v[10:11], v[22:23], v[10:11], v[6:7]
	ds_read2_b64 v[6:9], v16 offset0:32 offset1:48
	s_waitcnt lgkmcnt(0)
	v_fma_f64 v[22:23], v[6:7], v[26:27], v[28:29]
	v_fma_f64 v[24:25], v[8:9], v[26:27], v[24:25]
	;; [unrolled: 1-line block ×4, first 2 shown]
	ds_read_b128 v[6:9], v17 offset:16
	ds_read2_b64 v[10:13], v16 offset0:64 offset1:80
	s_waitcnt lgkmcnt(0)
	v_fma_f64 v[30:31], v[10:11], v[6:7], v[22:23]
	ds_read_b128 v[20:23], v17 offset:1040
	v_fma_f64 v[6:7], v[12:13], v[6:7], v[24:25]
	s_waitcnt lgkmcnt(0)
	v_fma_f64 v[24:25], v[10:11], v[20:21], v[26:27]
	v_fma_f64 v[20:21], v[12:13], v[20:21], v[28:29]
	ds_read2_b64 v[10:13], v16 offset0:96 offset1:112
	s_waitcnt lgkmcnt(0)
	v_fma_f64 v[26:27], v[10:11], v[8:9], v[30:31]
	v_fma_f64 v[28:29], v[12:13], v[8:9], v[6:7]
	;; [unrolled: 1-line block ×4, first 2 shown]
	ds_read2_b64 v[6:9], v16 offset0:128 offset1:144
	ds_read_b128 v[10:13], v17 offset:32
	ds_read_b128 v[20:23], v17 offset:1056
	s_waitcnt lgkmcnt(1)
	v_fma_f64 v[26:27], v[6:7], v[10:11], v[26:27]
	v_fma_f64 v[10:11], v[8:9], v[10:11], v[28:29]
	s_waitcnt lgkmcnt(0)
	v_fma_f64 v[24:25], v[6:7], v[20:21], v[24:25]
	v_fma_f64 v[20:21], v[8:9], v[20:21], v[30:31]
	ds_read2_b64 v[6:9], v16 offset0:160 offset1:176
	s_waitcnt lgkmcnt(0)
	v_fma_f64 v[26:27], v[6:7], v[12:13], v[26:27]
	v_fma_f64 v[28:29], v[8:9], v[12:13], v[10:11]
	;; [unrolled: 1-line block ×4, first 2 shown]
	ds_read_b128 v[6:9], v17 offset:48
	ds_read2_b64 v[10:13], v16 offset0:192 offset1:208
	ds_read_b128 v[20:23], v17 offset:1072
	s_waitcnt lgkmcnt(1)
	v_fma_f64 v[32:33], v[10:11], v[6:7], v[26:27]
	v_fma_f64 v[6:7], v[12:13], v[6:7], v[28:29]
	s_waitcnt lgkmcnt(0)
	v_fma_f64 v[28:29], v[10:11], v[20:21], v[24:25]
	v_fma_f64 v[20:21], v[12:13], v[20:21], v[30:31]
	ds_read2_b64 v[24:27], v16 offset0:224 offset1:240
	s_waitcnt lgkmcnt(0)
	s_barrier
	v_fma_f64 v[12:13], v[24:25], v[8:9], v[32:33]
	v_fma_f64 v[10:11], v[26:27], v[8:9], v[6:7]
	;; [unrolled: 1-line block ×4, first 2 shown]
	s_cbranch_scc0 .LBB96_2
	s_branch .LBB96_4
.LBB96_3:
	v_mov_b32_e32 v12, 0
	v_mov_b32_e32 v10, 0
	;; [unrolled: 1-line block ×8, first 2 shown]
.LBB96_4:
	s_load_dwordx2 s[0:1], s[4:5], 0x48
	s_load_dword s6, s[4:5], 0x40
	v_add_u32_e32 v4, s16, v1
	v_add_u32_e32 v0, s9, v0
	v_cmp_gt_i32_e32 vcc, s10, v4
	s_waitcnt lgkmcnt(0)
	s_mul_i32 s1, s1, s8
	v_mad_i64_i32 v[1:2], s[12:13], v4, s6, 0
	s_mul_hi_u32 s4, s0, s8
	s_mul_i32 s0, s0, s8
	s_add_i32 s1, s4, s1
	s_lshl_b64 s[0:1], s[0:1], 3
	s_add_u32 s4, s2, s0
	v_lshlrev_b64 v[1:2], 3, v[1:2]
	s_addc_u32 s5, s3, s1
	v_mov_b32_e32 v3, s5
	v_add_co_u32_e64 v5, s[0:1], s4, v1
	v_addc_co_u32_e64 v14, s[0:1], v3, v2, s[0:1]
	v_cmp_le_i32_e64 s[0:1], v0, v4
	s_and_b64 s[0:1], vcc, s[0:1]
	s_and_saveexec_b64 s[2:3], s[0:1]
	s_cbranch_execz .LBB96_6
; %bb.5:
	v_ashrrev_i32_e32 v1, 31, v0
	v_lshlrev_b64 v[1:2], 3, v[0:1]
	v_add_co_u32_e64 v1, s[0:1], v5, v1
	v_addc_co_u32_e64 v2, s[0:1], v14, v2, s[0:1]
	global_store_dwordx2 v[1:2], v[12:13], off
.LBB96_6:
	s_or_b64 exec, exec, s[2:3]
	v_add_u32_e32 v2, 16, v0
	v_cmp_le_i32_e64 s[0:1], v2, v4
	s_and_b64 s[2:3], vcc, s[0:1]
	s_and_saveexec_b64 s[0:1], s[2:3]
	s_cbranch_execz .LBB96_8
; %bb.7:
	v_ashrrev_i32_e32 v3, 31, v2
	v_lshlrev_b64 v[12:13], 3, v[2:3]
	v_add_co_u32_e32 v12, vcc, v5, v12
	v_addc_co_u32_e32 v13, vcc, v14, v13, vcc
	global_store_dwordx2 v[12:13], v[10:11], off
.LBB96_8:
	s_or_b64 exec, exec, s[0:1]
	v_add_u32_e32 v3, 16, v4
	v_mad_i64_i32 v[4:5], s[0:1], v3, s6, 0
	v_mov_b32_e32 v1, s5
	v_cmp_gt_i32_e32 vcc, s10, v3
	v_lshlrev_b64 v[4:5], 3, v[4:5]
	v_add_co_u32_e64 v4, s[0:1], s4, v4
	v_addc_co_u32_e64 v5, s[0:1], v1, v5, s[0:1]
	v_cmp_le_i32_e64 s[0:1], v0, v3
	s_and_b64 s[0:1], vcc, s[0:1]
	s_and_saveexec_b64 s[2:3], s[0:1]
	s_cbranch_execz .LBB96_10
; %bb.9:
	v_ashrrev_i32_e32 v1, 31, v0
	v_lshlrev_b64 v[0:1], 3, v[0:1]
	v_add_co_u32_e64 v0, s[0:1], v4, v0
	v_addc_co_u32_e64 v1, s[0:1], v5, v1, s[0:1]
	global_store_dwordx2 v[0:1], v[8:9], off
.LBB96_10:
	s_or_b64 exec, exec, s[2:3]
	v_cmp_le_i32_e64 s[0:1], v2, v3
	s_and_b64 s[0:1], vcc, s[0:1]
	s_and_saveexec_b64 s[2:3], s[0:1]
	s_cbranch_execz .LBB96_12
; %bb.11:
	v_ashrrev_i32_e32 v3, 31, v2
	v_lshlrev_b64 v[0:1], 3, v[2:3]
	v_add_co_u32_e32 v0, vcc, v4, v0
	v_addc_co_u32_e32 v1, vcc, v5, v1, vcc
	global_store_dwordx2 v[0:1], v[6:7], off
.LBB96_12:
	s_endpgm
	.section	.rodata,"a",@progbits
	.p2align	6, 0x0
	.amdhsa_kernel _ZL37rocblas_syrkx_herkx_restricted_kernelIidLi16ELi32ELi8ELi1ELi0ELb0ELc78ELc85EKddEviT_PT9_S1_lS3_S1_lPT10_S1_li
		.amdhsa_group_segment_fixed_size 4096
		.amdhsa_private_segment_fixed_size 0
		.amdhsa_kernarg_size 84
		.amdhsa_user_sgpr_count 6
		.amdhsa_user_sgpr_private_segment_buffer 1
		.amdhsa_user_sgpr_dispatch_ptr 0
		.amdhsa_user_sgpr_queue_ptr 0
		.amdhsa_user_sgpr_kernarg_segment_ptr 1
		.amdhsa_user_sgpr_dispatch_id 0
		.amdhsa_user_sgpr_flat_scratch_init 0
		.amdhsa_user_sgpr_private_segment_size 0
		.amdhsa_uses_dynamic_stack 0
		.amdhsa_system_sgpr_private_segment_wavefront_offset 0
		.amdhsa_system_sgpr_workgroup_id_x 1
		.amdhsa_system_sgpr_workgroup_id_y 1
		.amdhsa_system_sgpr_workgroup_id_z 1
		.amdhsa_system_sgpr_workgroup_info 0
		.amdhsa_system_vgpr_workitem_id 1
		.amdhsa_next_free_vgpr 34
		.amdhsa_next_free_sgpr 25
		.amdhsa_reserve_vcc 1
		.amdhsa_reserve_flat_scratch 0
		.amdhsa_float_round_mode_32 0
		.amdhsa_float_round_mode_16_64 0
		.amdhsa_float_denorm_mode_32 3
		.amdhsa_float_denorm_mode_16_64 3
		.amdhsa_dx10_clamp 1
		.amdhsa_ieee_mode 1
		.amdhsa_fp16_overflow 0
		.amdhsa_exception_fp_ieee_invalid_op 0
		.amdhsa_exception_fp_denorm_src 0
		.amdhsa_exception_fp_ieee_div_zero 0
		.amdhsa_exception_fp_ieee_overflow 0
		.amdhsa_exception_fp_ieee_underflow 0
		.amdhsa_exception_fp_ieee_inexact 0
		.amdhsa_exception_int_div_zero 0
	.end_amdhsa_kernel
	.section	.text._ZL37rocblas_syrkx_herkx_restricted_kernelIidLi16ELi32ELi8ELi1ELi0ELb0ELc78ELc85EKddEviT_PT9_S1_lS3_S1_lPT10_S1_li,"axG",@progbits,_ZL37rocblas_syrkx_herkx_restricted_kernelIidLi16ELi32ELi8ELi1ELi0ELb0ELc78ELc85EKddEviT_PT9_S1_lS3_S1_lPT10_S1_li,comdat
.Lfunc_end96:
	.size	_ZL37rocblas_syrkx_herkx_restricted_kernelIidLi16ELi32ELi8ELi1ELi0ELb0ELc78ELc85EKddEviT_PT9_S1_lS3_S1_lPT10_S1_li, .Lfunc_end96-_ZL37rocblas_syrkx_herkx_restricted_kernelIidLi16ELi32ELi8ELi1ELi0ELb0ELc78ELc85EKddEviT_PT9_S1_lS3_S1_lPT10_S1_li
                                        ; -- End function
	.set _ZL37rocblas_syrkx_herkx_restricted_kernelIidLi16ELi32ELi8ELi1ELi0ELb0ELc78ELc85EKddEviT_PT9_S1_lS3_S1_lPT10_S1_li.num_vgpr, 34
	.set _ZL37rocblas_syrkx_herkx_restricted_kernelIidLi16ELi32ELi8ELi1ELi0ELb0ELc78ELc85EKddEviT_PT9_S1_lS3_S1_lPT10_S1_li.num_agpr, 0
	.set _ZL37rocblas_syrkx_herkx_restricted_kernelIidLi16ELi32ELi8ELi1ELi0ELb0ELc78ELc85EKddEviT_PT9_S1_lS3_S1_lPT10_S1_li.numbered_sgpr, 25
	.set _ZL37rocblas_syrkx_herkx_restricted_kernelIidLi16ELi32ELi8ELi1ELi0ELb0ELc78ELc85EKddEviT_PT9_S1_lS3_S1_lPT10_S1_li.num_named_barrier, 0
	.set _ZL37rocblas_syrkx_herkx_restricted_kernelIidLi16ELi32ELi8ELi1ELi0ELb0ELc78ELc85EKddEviT_PT9_S1_lS3_S1_lPT10_S1_li.private_seg_size, 0
	.set _ZL37rocblas_syrkx_herkx_restricted_kernelIidLi16ELi32ELi8ELi1ELi0ELb0ELc78ELc85EKddEviT_PT9_S1_lS3_S1_lPT10_S1_li.uses_vcc, 1
	.set _ZL37rocblas_syrkx_herkx_restricted_kernelIidLi16ELi32ELi8ELi1ELi0ELb0ELc78ELc85EKddEviT_PT9_S1_lS3_S1_lPT10_S1_li.uses_flat_scratch, 0
	.set _ZL37rocblas_syrkx_herkx_restricted_kernelIidLi16ELi32ELi8ELi1ELi0ELb0ELc78ELc85EKddEviT_PT9_S1_lS3_S1_lPT10_S1_li.has_dyn_sized_stack, 0
	.set _ZL37rocblas_syrkx_herkx_restricted_kernelIidLi16ELi32ELi8ELi1ELi0ELb0ELc78ELc85EKddEviT_PT9_S1_lS3_S1_lPT10_S1_li.has_recursion, 0
	.set _ZL37rocblas_syrkx_herkx_restricted_kernelIidLi16ELi32ELi8ELi1ELi0ELb0ELc78ELc85EKddEviT_PT9_S1_lS3_S1_lPT10_S1_li.has_indirect_call, 0
	.section	.AMDGPU.csdata,"",@progbits
; Kernel info:
; codeLenInByte = 1260
; TotalNumSgprs: 29
; NumVgprs: 34
; ScratchSize: 0
; MemoryBound: 0
; FloatMode: 240
; IeeeMode: 1
; LDSByteSize: 4096 bytes/workgroup (compile time only)
; SGPRBlocks: 3
; VGPRBlocks: 8
; NumSGPRsForWavesPerEU: 29
; NumVGPRsForWavesPerEU: 34
; Occupancy: 7
; WaveLimiterHint : 0
; COMPUTE_PGM_RSRC2:SCRATCH_EN: 0
; COMPUTE_PGM_RSRC2:USER_SGPR: 6
; COMPUTE_PGM_RSRC2:TRAP_HANDLER: 0
; COMPUTE_PGM_RSRC2:TGID_X_EN: 1
; COMPUTE_PGM_RSRC2:TGID_Y_EN: 1
; COMPUTE_PGM_RSRC2:TGID_Z_EN: 1
; COMPUTE_PGM_RSRC2:TIDIG_COMP_CNT: 1
	.section	.text._ZL37rocblas_syrkx_herkx_restricted_kernelIidLi16ELi32ELi8ELin1ELi0ELb0ELc84ELc76EKddEviT_PT9_S1_lS3_S1_lPT10_S1_li,"axG",@progbits,_ZL37rocblas_syrkx_herkx_restricted_kernelIidLi16ELi32ELi8ELin1ELi0ELb0ELc84ELc76EKddEviT_PT9_S1_lS3_S1_lPT10_S1_li,comdat
	.globl	_ZL37rocblas_syrkx_herkx_restricted_kernelIidLi16ELi32ELi8ELin1ELi0ELb0ELc84ELc76EKddEviT_PT9_S1_lS3_S1_lPT10_S1_li ; -- Begin function _ZL37rocblas_syrkx_herkx_restricted_kernelIidLi16ELi32ELi8ELin1ELi0ELb0ELc84ELc76EKddEviT_PT9_S1_lS3_S1_lPT10_S1_li
	.p2align	8
	.type	_ZL37rocblas_syrkx_herkx_restricted_kernelIidLi16ELi32ELi8ELin1ELi0ELb0ELc84ELc76EKddEviT_PT9_S1_lS3_S1_lPT10_S1_li,@function
_ZL37rocblas_syrkx_herkx_restricted_kernelIidLi16ELi32ELi8ELin1ELi0ELb0ELc84ELc76EKddEviT_PT9_S1_lS3_S1_lPT10_S1_li: ; @_ZL37rocblas_syrkx_herkx_restricted_kernelIidLi16ELi32ELi8ELin1ELi0ELb0ELc84ELc76EKddEviT_PT9_S1_lS3_S1_lPT10_S1_li
; %bb.0:
	s_load_dwordx2 s[10:11], s[4:5], 0x0
	s_load_dwordx4 s[0:3], s[4:5], 0x30
	s_lshl_b32 s6, s6, 5
	s_lshl_b32 s7, s7, 5
	s_mov_b32 s9, 0
	s_waitcnt lgkmcnt(0)
	s_cmp_lt_i32 s11, 1
	s_cbranch_scc1 .LBB97_3
; %bb.1:
	s_load_dwordx2 s[16:17], s[4:5], 0x8
	s_load_dword s20, s[4:5], 0x10
	s_load_dwordx4 s[12:15], s[4:5], 0x18
	s_load_dword s18, s[4:5], 0x28
	v_lshl_add_u32 v6, v1, 4, v0
	v_lshrrev_b32_e32 v8, 3, v6
	v_add_u32_e32 v4, s7, v8
	v_and_b32_e32 v2, 7, v0
	v_mov_b32_e32 v3, 0
	s_waitcnt lgkmcnt(0)
	v_mad_i64_i32 v[4:5], s[18:19], s18, v4, v[2:3]
	v_lshlrev_b32_e32 v2, 3, v2
	v_and_b32_e32 v9, 31, v6
	v_lshl_or_b32 v2, v8, 6, v2
	v_lshrrev_b32_e32 v6, 5, v6
	v_mov_b32_e32 v7, v3
	v_lshlrev_b32_e32 v3, 3, v9
	v_add_u32_e32 v15, 0x800, v2
	v_add_u32_e32 v2, s6, v9
	v_lshl_or_b32 v14, v6, 8, v3
	v_mad_i64_i32 v[2:3], s[18:19], s20, v2, v[6:7]
	s_mul_i32 s13, s13, s8
	s_mul_hi_u32 s21, s12, s8
	s_add_i32 s13, s21, s13
	s_mul_i32 s12, s12, s8
	s_lshl_b64 s[12:13], s[12:13], 3
	v_lshlrev_b64 v[2:3], 3, v[2:3]
	s_add_u32 s12, s16, s12
	v_add_co_u32_e32 v2, vcc, s12, v2
	s_mul_i32 s1, s1, s8
	s_mul_hi_u32 s12, s0, s8
	s_addc_u32 s13, s17, s13
	s_add_i32 s1, s12, s1
	s_mul_i32 s0, s0, s8
	s_lshl_b64 s[0:1], s[0:1], 3
	v_mov_b32_e32 v6, s13
	v_lshlrev_b64 v[4:5], 3, v[4:5]
	s_add_u32 s0, s14, s0
	v_addc_co_u32_e32 v3, vcc, v6, v3, vcc
	s_addc_u32 s1, s15, s1
	v_mov_b32_e32 v6, s1
	v_add_co_u32_e32 v4, vcc, s0, v4
	v_mov_b32_e32 v17, 0x800
	v_addc_co_u32_e32 v5, vcc, v6, v5, vcc
	v_mov_b32_e32 v6, 0
	v_mov_b32_e32 v8, 0
	;; [unrolled: 1-line block ×4, first 2 shown]
	v_lshlrev_b32_e32 v16, 3, v0
	v_mov_b32_e32 v7, 0
	v_mov_b32_e32 v9, 0
	v_mov_b32_e32 v11, 0
	v_mov_b32_e32 v13, 0
	v_lshl_add_u32 v17, v1, 6, v17
.LBB97_2:                               ; =>This Inner Loop Header: Depth=1
	global_load_dwordx2 v[18:19], v[2:3], off
	global_load_dwordx2 v[20:21], v[4:5], off
	s_add_i32 s9, s9, 8
	v_add_co_u32_e32 v2, vcc, 64, v2
	v_add_co_u32_e64 v4, s[0:1], 64, v4
	v_addc_co_u32_e32 v3, vcc, 0, v3, vcc
	v_addc_co_u32_e64 v5, vcc, 0, v5, s[0:1]
	s_cmp_ge_i32 s9, s11
	s_waitcnt vmcnt(1)
	ds_write_b64 v14, v[18:19]
	s_waitcnt vmcnt(0)
	ds_write_b64 v15, v[20:21]
	s_waitcnt lgkmcnt(0)
	s_barrier
	ds_read2_b64 v[18:21], v16 offset1:16
	ds_read_b128 v[22:25], v17
	s_waitcnt lgkmcnt(0)
	v_fma_f64 v[26:27], v[18:19], v[22:23], v[12:13]
	v_fma_f64 v[22:23], v[20:21], v[22:23], v[10:11]
	ds_read_b128 v[10:13], v17 offset:1024
	s_waitcnt lgkmcnt(0)
	v_fma_f64 v[18:19], v[18:19], v[10:11], v[8:9]
	v_fma_f64 v[10:11], v[20:21], v[10:11], v[6:7]
	ds_read2_b64 v[6:9], v16 offset0:32 offset1:48
	s_waitcnt lgkmcnt(0)
	v_fma_f64 v[20:21], v[6:7], v[24:25], v[26:27]
	v_fma_f64 v[22:23], v[8:9], v[24:25], v[22:23]
	;; [unrolled: 1-line block ×4, first 2 shown]
	ds_read_b128 v[6:9], v17 offset:16
	ds_read2_b64 v[10:13], v16 offset0:64 offset1:80
	s_waitcnt lgkmcnt(0)
	v_fma_f64 v[28:29], v[10:11], v[6:7], v[20:21]
	ds_read_b128 v[18:21], v17 offset:1040
	v_fma_f64 v[6:7], v[12:13], v[6:7], v[22:23]
	s_waitcnt lgkmcnt(0)
	v_fma_f64 v[22:23], v[10:11], v[18:19], v[24:25]
	v_fma_f64 v[18:19], v[12:13], v[18:19], v[26:27]
	ds_read2_b64 v[10:13], v16 offset0:96 offset1:112
	s_waitcnt lgkmcnt(0)
	v_fma_f64 v[24:25], v[10:11], v[8:9], v[28:29]
	v_fma_f64 v[26:27], v[12:13], v[8:9], v[6:7]
	;; [unrolled: 1-line block ×4, first 2 shown]
	ds_read2_b64 v[6:9], v16 offset0:128 offset1:144
	ds_read_b128 v[10:13], v17 offset:32
	ds_read_b128 v[18:21], v17 offset:1056
	s_waitcnt lgkmcnt(1)
	v_fma_f64 v[24:25], v[6:7], v[10:11], v[24:25]
	v_fma_f64 v[10:11], v[8:9], v[10:11], v[26:27]
	s_waitcnt lgkmcnt(0)
	v_fma_f64 v[22:23], v[6:7], v[18:19], v[22:23]
	v_fma_f64 v[18:19], v[8:9], v[18:19], v[28:29]
	ds_read2_b64 v[6:9], v16 offset0:160 offset1:176
	s_waitcnt lgkmcnt(0)
	v_fma_f64 v[24:25], v[6:7], v[12:13], v[24:25]
	v_fma_f64 v[26:27], v[8:9], v[12:13], v[10:11]
	v_fma_f64 v[22:23], v[6:7], v[20:21], v[22:23]
	v_fma_f64 v[28:29], v[8:9], v[20:21], v[18:19]
	ds_read_b128 v[6:9], v17 offset:48
	ds_read2_b64 v[10:13], v16 offset0:192 offset1:208
	ds_read_b128 v[18:21], v17 offset:1072
	s_waitcnt lgkmcnt(1)
	v_fma_f64 v[30:31], v[10:11], v[6:7], v[24:25]
	v_fma_f64 v[6:7], v[12:13], v[6:7], v[26:27]
	s_waitcnt lgkmcnt(0)
	v_fma_f64 v[26:27], v[10:11], v[18:19], v[22:23]
	v_fma_f64 v[18:19], v[12:13], v[18:19], v[28:29]
	ds_read2_b64 v[22:25], v16 offset0:224 offset1:240
	s_waitcnt lgkmcnt(0)
	s_barrier
	v_fma_f64 v[12:13], v[22:23], v[8:9], v[30:31]
	v_fma_f64 v[10:11], v[24:25], v[8:9], v[6:7]
	v_fma_f64 v[8:9], v[22:23], v[20:21], v[26:27]
	v_fma_f64 v[6:7], v[24:25], v[20:21], v[18:19]
	s_cbranch_scc0 .LBB97_2
	s_branch .LBB97_4
.LBB97_3:
	v_mov_b32_e32 v12, 0
	v_mov_b32_e32 v10, 0
	;; [unrolled: 1-line block ×8, first 2 shown]
.LBB97_4:
	s_load_dwordx2 s[0:1], s[4:5], 0x48
	s_load_dword s9, s[4:5], 0x40
	v_add_u32_e32 v4, s7, v1
	v_add_u32_e32 v0, s6, v0
	s_waitcnt lgkmcnt(0)
	s_mul_i32 s1, s1, s8
	s_mul_hi_u32 s4, s0, s8
	s_add_i32 s1, s4, s1
	v_mad_i64_i32 v[1:2], s[4:5], v4, s9, 0
	s_mul_i32 s0, s0, s8
	s_lshl_b64 s[0:1], s[0:1], 3
	s_add_u32 s7, s2, s0
	v_lshlrev_b64 v[1:2], 3, v[1:2]
	s_addc_u32 s8, s3, s1
	v_mov_b32_e32 v3, s8
	v_add_co_u32_e32 v5, vcc, s7, v1
	v_addc_co_u32_e32 v14, vcc, v3, v2, vcc
	v_cmp_le_i32_e64 s[0:1], v4, v0
	v_cmp_gt_i32_e32 vcc, s10, v0
	s_and_b64 s[0:1], s[0:1], vcc
	s_and_saveexec_b64 s[2:3], s[0:1]
	s_cbranch_execz .LBB97_6
; %bb.5:
	v_ashrrev_i32_e32 v1, 31, v0
	v_lshlrev_b64 v[1:2], 3, v[0:1]
	v_xor_b32_e32 v13, 0x80000000, v13
	v_add_co_u32_e64 v1, s[0:1], v5, v1
	v_addc_co_u32_e64 v2, s[0:1], v14, v2, s[0:1]
	global_store_dwordx2 v[1:2], v[12:13], off
.LBB97_6:
	s_or_b64 exec, exec, s[2:3]
	v_add_u32_e32 v2, 16, v0
	v_cmp_le_i32_e64 s[2:3], v4, v2
	v_cmp_gt_i32_e64 s[0:1], s10, v2
	s_and_b64 s[2:3], s[2:3], s[0:1]
	s_and_saveexec_b64 s[4:5], s[2:3]
	s_cbranch_execz .LBB97_8
; %bb.7:
	v_ashrrev_i32_e32 v3, 31, v2
	v_lshlrev_b64 v[12:13], 3, v[2:3]
	v_xor_b32_e32 v11, 0x80000000, v11
	v_add_co_u32_e64 v12, s[2:3], v5, v12
	v_addc_co_u32_e64 v13, s[2:3], v14, v13, s[2:3]
	global_store_dwordx2 v[12:13], v[10:11], off
.LBB97_8:
	s_or_b64 exec, exec, s[4:5]
	v_add_u32_e32 v3, 16, v4
	v_mad_i64_i32 v[4:5], s[2:3], v3, s9, 0
	v_mov_b32_e32 v1, s8
	v_lshlrev_b64 v[4:5], 3, v[4:5]
	v_add_co_u32_e64 v4, s[2:3], s7, v4
	v_addc_co_u32_e64 v5, s[2:3], v1, v5, s[2:3]
	v_cmp_le_i32_e64 s[2:3], v3, v0
	s_and_b64 s[4:5], s[2:3], vcc
	s_and_saveexec_b64 s[2:3], s[4:5]
	s_cbranch_execz .LBB97_10
; %bb.9:
	v_ashrrev_i32_e32 v1, 31, v0
	v_lshlrev_b64 v[0:1], 3, v[0:1]
	v_xor_b32_e32 v9, 0x80000000, v9
	v_add_co_u32_e32 v0, vcc, v4, v0
	v_addc_co_u32_e32 v1, vcc, v5, v1, vcc
	global_store_dwordx2 v[0:1], v[8:9], off
.LBB97_10:
	s_or_b64 exec, exec, s[2:3]
	v_cmp_le_i32_e32 vcc, v3, v2
	s_and_b64 s[0:1], vcc, s[0:1]
	s_and_saveexec_b64 s[2:3], s[0:1]
	s_cbranch_execz .LBB97_12
; %bb.11:
	v_ashrrev_i32_e32 v3, 31, v2
	v_lshlrev_b64 v[0:1], 3, v[2:3]
	v_xor_b32_e32 v7, 0x80000000, v7
	v_add_co_u32_e32 v0, vcc, v4, v0
	v_addc_co_u32_e32 v1, vcc, v5, v1, vcc
	global_store_dwordx2 v[0:1], v[6:7], off
.LBB97_12:
	s_endpgm
	.section	.rodata,"a",@progbits
	.p2align	6, 0x0
	.amdhsa_kernel _ZL37rocblas_syrkx_herkx_restricted_kernelIidLi16ELi32ELi8ELin1ELi0ELb0ELc84ELc76EKddEviT_PT9_S1_lS3_S1_lPT10_S1_li
		.amdhsa_group_segment_fixed_size 4096
		.amdhsa_private_segment_fixed_size 0
		.amdhsa_kernarg_size 84
		.amdhsa_user_sgpr_count 6
		.amdhsa_user_sgpr_private_segment_buffer 1
		.amdhsa_user_sgpr_dispatch_ptr 0
		.amdhsa_user_sgpr_queue_ptr 0
		.amdhsa_user_sgpr_kernarg_segment_ptr 1
		.amdhsa_user_sgpr_dispatch_id 0
		.amdhsa_user_sgpr_flat_scratch_init 0
		.amdhsa_user_sgpr_private_segment_size 0
		.amdhsa_uses_dynamic_stack 0
		.amdhsa_system_sgpr_private_segment_wavefront_offset 0
		.amdhsa_system_sgpr_workgroup_id_x 1
		.amdhsa_system_sgpr_workgroup_id_y 1
		.amdhsa_system_sgpr_workgroup_id_z 1
		.amdhsa_system_sgpr_workgroup_info 0
		.amdhsa_system_vgpr_workitem_id 1
		.amdhsa_next_free_vgpr 32
		.amdhsa_next_free_sgpr 22
		.amdhsa_reserve_vcc 1
		.amdhsa_reserve_flat_scratch 0
		.amdhsa_float_round_mode_32 0
		.amdhsa_float_round_mode_16_64 0
		.amdhsa_float_denorm_mode_32 3
		.amdhsa_float_denorm_mode_16_64 3
		.amdhsa_dx10_clamp 1
		.amdhsa_ieee_mode 1
		.amdhsa_fp16_overflow 0
		.amdhsa_exception_fp_ieee_invalid_op 0
		.amdhsa_exception_fp_denorm_src 0
		.amdhsa_exception_fp_ieee_div_zero 0
		.amdhsa_exception_fp_ieee_overflow 0
		.amdhsa_exception_fp_ieee_underflow 0
		.amdhsa_exception_fp_ieee_inexact 0
		.amdhsa_exception_int_div_zero 0
	.end_amdhsa_kernel
	.section	.text._ZL37rocblas_syrkx_herkx_restricted_kernelIidLi16ELi32ELi8ELin1ELi0ELb0ELc84ELc76EKddEviT_PT9_S1_lS3_S1_lPT10_S1_li,"axG",@progbits,_ZL37rocblas_syrkx_herkx_restricted_kernelIidLi16ELi32ELi8ELin1ELi0ELb0ELc84ELc76EKddEviT_PT9_S1_lS3_S1_lPT10_S1_li,comdat
.Lfunc_end97:
	.size	_ZL37rocblas_syrkx_herkx_restricted_kernelIidLi16ELi32ELi8ELin1ELi0ELb0ELc84ELc76EKddEviT_PT9_S1_lS3_S1_lPT10_S1_li, .Lfunc_end97-_ZL37rocblas_syrkx_herkx_restricted_kernelIidLi16ELi32ELi8ELin1ELi0ELb0ELc84ELc76EKddEviT_PT9_S1_lS3_S1_lPT10_S1_li
                                        ; -- End function
	.set _ZL37rocblas_syrkx_herkx_restricted_kernelIidLi16ELi32ELi8ELin1ELi0ELb0ELc84ELc76EKddEviT_PT9_S1_lS3_S1_lPT10_S1_li.num_vgpr, 32
	.set _ZL37rocblas_syrkx_herkx_restricted_kernelIidLi16ELi32ELi8ELin1ELi0ELb0ELc84ELc76EKddEviT_PT9_S1_lS3_S1_lPT10_S1_li.num_agpr, 0
	.set _ZL37rocblas_syrkx_herkx_restricted_kernelIidLi16ELi32ELi8ELin1ELi0ELb0ELc84ELc76EKddEviT_PT9_S1_lS3_S1_lPT10_S1_li.numbered_sgpr, 22
	.set _ZL37rocblas_syrkx_herkx_restricted_kernelIidLi16ELi32ELi8ELin1ELi0ELb0ELc84ELc76EKddEviT_PT9_S1_lS3_S1_lPT10_S1_li.num_named_barrier, 0
	.set _ZL37rocblas_syrkx_herkx_restricted_kernelIidLi16ELi32ELi8ELin1ELi0ELb0ELc84ELc76EKddEviT_PT9_S1_lS3_S1_lPT10_S1_li.private_seg_size, 0
	.set _ZL37rocblas_syrkx_herkx_restricted_kernelIidLi16ELi32ELi8ELin1ELi0ELb0ELc84ELc76EKddEviT_PT9_S1_lS3_S1_lPT10_S1_li.uses_vcc, 1
	.set _ZL37rocblas_syrkx_herkx_restricted_kernelIidLi16ELi32ELi8ELin1ELi0ELb0ELc84ELc76EKddEviT_PT9_S1_lS3_S1_lPT10_S1_li.uses_flat_scratch, 0
	.set _ZL37rocblas_syrkx_herkx_restricted_kernelIidLi16ELi32ELi8ELin1ELi0ELb0ELc84ELc76EKddEviT_PT9_S1_lS3_S1_lPT10_S1_li.has_dyn_sized_stack, 0
	.set _ZL37rocblas_syrkx_herkx_restricted_kernelIidLi16ELi32ELi8ELin1ELi0ELb0ELc84ELc76EKddEviT_PT9_S1_lS3_S1_lPT10_S1_li.has_recursion, 0
	.set _ZL37rocblas_syrkx_herkx_restricted_kernelIidLi16ELi32ELi8ELin1ELi0ELb0ELc84ELc76EKddEviT_PT9_S1_lS3_S1_lPT10_S1_li.has_indirect_call, 0
	.section	.AMDGPU.csdata,"",@progbits
; Kernel info:
; codeLenInByte = 1260
; TotalNumSgprs: 26
; NumVgprs: 32
; ScratchSize: 0
; MemoryBound: 0
; FloatMode: 240
; IeeeMode: 1
; LDSByteSize: 4096 bytes/workgroup (compile time only)
; SGPRBlocks: 3
; VGPRBlocks: 7
; NumSGPRsForWavesPerEU: 26
; NumVGPRsForWavesPerEU: 32
; Occupancy: 8
; WaveLimiterHint : 0
; COMPUTE_PGM_RSRC2:SCRATCH_EN: 0
; COMPUTE_PGM_RSRC2:USER_SGPR: 6
; COMPUTE_PGM_RSRC2:TRAP_HANDLER: 0
; COMPUTE_PGM_RSRC2:TGID_X_EN: 1
; COMPUTE_PGM_RSRC2:TGID_Y_EN: 1
; COMPUTE_PGM_RSRC2:TGID_Z_EN: 1
; COMPUTE_PGM_RSRC2:TIDIG_COMP_CNT: 1
	.section	.text._ZL37rocblas_syrkx_herkx_restricted_kernelIidLi16ELi32ELi8ELin1ELi0ELb0ELc67ELc76EKddEviT_PT9_S1_lS3_S1_lPT10_S1_li,"axG",@progbits,_ZL37rocblas_syrkx_herkx_restricted_kernelIidLi16ELi32ELi8ELin1ELi0ELb0ELc67ELc76EKddEviT_PT9_S1_lS3_S1_lPT10_S1_li,comdat
	.globl	_ZL37rocblas_syrkx_herkx_restricted_kernelIidLi16ELi32ELi8ELin1ELi0ELb0ELc67ELc76EKddEviT_PT9_S1_lS3_S1_lPT10_S1_li ; -- Begin function _ZL37rocblas_syrkx_herkx_restricted_kernelIidLi16ELi32ELi8ELin1ELi0ELb0ELc67ELc76EKddEviT_PT9_S1_lS3_S1_lPT10_S1_li
	.p2align	8
	.type	_ZL37rocblas_syrkx_herkx_restricted_kernelIidLi16ELi32ELi8ELin1ELi0ELb0ELc67ELc76EKddEviT_PT9_S1_lS3_S1_lPT10_S1_li,@function
_ZL37rocblas_syrkx_herkx_restricted_kernelIidLi16ELi32ELi8ELin1ELi0ELb0ELc67ELc76EKddEviT_PT9_S1_lS3_S1_lPT10_S1_li: ; @_ZL37rocblas_syrkx_herkx_restricted_kernelIidLi16ELi32ELi8ELin1ELi0ELb0ELc67ELc76EKddEviT_PT9_S1_lS3_S1_lPT10_S1_li
; %bb.0:
	s_load_dwordx2 s[10:11], s[4:5], 0x0
	s_load_dwordx4 s[0:3], s[4:5], 0x30
	s_lshl_b32 s6, s6, 5
	s_lshl_b32 s7, s7, 5
	s_mov_b32 s9, 0
	s_waitcnt lgkmcnt(0)
	s_cmp_lt_i32 s11, 1
	s_cbranch_scc1 .LBB98_3
; %bb.1:
	s_load_dwordx2 s[16:17], s[4:5], 0x8
	s_load_dword s20, s[4:5], 0x10
	s_load_dwordx4 s[12:15], s[4:5], 0x18
	s_load_dword s18, s[4:5], 0x28
	v_lshl_add_u32 v6, v1, 4, v0
	v_lshrrev_b32_e32 v8, 3, v6
	v_add_u32_e32 v4, s7, v8
	v_and_b32_e32 v2, 7, v0
	v_mov_b32_e32 v3, 0
	s_waitcnt lgkmcnt(0)
	v_mad_i64_i32 v[4:5], s[18:19], s18, v4, v[2:3]
	v_lshlrev_b32_e32 v2, 3, v2
	v_and_b32_e32 v9, 31, v6
	v_lshl_or_b32 v2, v8, 6, v2
	v_lshrrev_b32_e32 v6, 5, v6
	v_mov_b32_e32 v7, v3
	v_lshlrev_b32_e32 v3, 3, v9
	v_add_u32_e32 v15, 0x800, v2
	v_add_u32_e32 v2, s6, v9
	v_lshl_or_b32 v14, v6, 8, v3
	v_mad_i64_i32 v[2:3], s[18:19], s20, v2, v[6:7]
	s_mul_i32 s13, s13, s8
	s_mul_hi_u32 s21, s12, s8
	s_add_i32 s13, s21, s13
	s_mul_i32 s12, s12, s8
	s_lshl_b64 s[12:13], s[12:13], 3
	v_lshlrev_b64 v[2:3], 3, v[2:3]
	s_add_u32 s12, s16, s12
	v_add_co_u32_e32 v2, vcc, s12, v2
	s_mul_i32 s1, s1, s8
	s_mul_hi_u32 s12, s0, s8
	s_addc_u32 s13, s17, s13
	s_add_i32 s1, s12, s1
	s_mul_i32 s0, s0, s8
	s_lshl_b64 s[0:1], s[0:1], 3
	v_mov_b32_e32 v6, s13
	v_lshlrev_b64 v[4:5], 3, v[4:5]
	s_add_u32 s0, s14, s0
	v_addc_co_u32_e32 v3, vcc, v6, v3, vcc
	s_addc_u32 s1, s15, s1
	v_mov_b32_e32 v6, s1
	v_add_co_u32_e32 v4, vcc, s0, v4
	v_mov_b32_e32 v17, 0x800
	v_addc_co_u32_e32 v5, vcc, v6, v5, vcc
	v_mov_b32_e32 v6, 0
	v_mov_b32_e32 v8, 0
	v_mov_b32_e32 v10, 0
	v_mov_b32_e32 v12, 0
	v_lshlrev_b32_e32 v16, 3, v0
	v_mov_b32_e32 v7, 0
	v_mov_b32_e32 v9, 0
	;; [unrolled: 1-line block ×4, first 2 shown]
	v_lshl_add_u32 v17, v1, 6, v17
.LBB98_2:                               ; =>This Inner Loop Header: Depth=1
	global_load_dwordx2 v[18:19], v[2:3], off
	global_load_dwordx2 v[20:21], v[4:5], off
	s_add_i32 s9, s9, 8
	v_add_co_u32_e32 v2, vcc, 64, v2
	v_add_co_u32_e64 v4, s[0:1], 64, v4
	v_addc_co_u32_e32 v3, vcc, 0, v3, vcc
	v_addc_co_u32_e64 v5, vcc, 0, v5, s[0:1]
	s_cmp_ge_i32 s9, s11
	s_waitcnt vmcnt(1)
	ds_write_b64 v14, v[18:19]
	s_waitcnt vmcnt(0)
	ds_write_b64 v15, v[20:21]
	s_waitcnt lgkmcnt(0)
	s_barrier
	ds_read2_b64 v[18:21], v16 offset1:16
	ds_read_b128 v[22:25], v17
	s_waitcnt lgkmcnt(0)
	v_fma_f64 v[26:27], v[18:19], v[22:23], v[12:13]
	v_fma_f64 v[22:23], v[20:21], v[22:23], v[10:11]
	ds_read_b128 v[10:13], v17 offset:1024
	s_waitcnt lgkmcnt(0)
	v_fma_f64 v[18:19], v[18:19], v[10:11], v[8:9]
	v_fma_f64 v[10:11], v[20:21], v[10:11], v[6:7]
	ds_read2_b64 v[6:9], v16 offset0:32 offset1:48
	s_waitcnt lgkmcnt(0)
	v_fma_f64 v[20:21], v[6:7], v[24:25], v[26:27]
	v_fma_f64 v[22:23], v[8:9], v[24:25], v[22:23]
	;; [unrolled: 1-line block ×4, first 2 shown]
	ds_read_b128 v[6:9], v17 offset:16
	ds_read2_b64 v[10:13], v16 offset0:64 offset1:80
	s_waitcnt lgkmcnt(0)
	v_fma_f64 v[28:29], v[10:11], v[6:7], v[20:21]
	ds_read_b128 v[18:21], v17 offset:1040
	v_fma_f64 v[6:7], v[12:13], v[6:7], v[22:23]
	s_waitcnt lgkmcnt(0)
	v_fma_f64 v[22:23], v[10:11], v[18:19], v[24:25]
	v_fma_f64 v[18:19], v[12:13], v[18:19], v[26:27]
	ds_read2_b64 v[10:13], v16 offset0:96 offset1:112
	s_waitcnt lgkmcnt(0)
	v_fma_f64 v[24:25], v[10:11], v[8:9], v[28:29]
	v_fma_f64 v[26:27], v[12:13], v[8:9], v[6:7]
	;; [unrolled: 1-line block ×4, first 2 shown]
	ds_read2_b64 v[6:9], v16 offset0:128 offset1:144
	ds_read_b128 v[10:13], v17 offset:32
	ds_read_b128 v[18:21], v17 offset:1056
	s_waitcnt lgkmcnt(1)
	v_fma_f64 v[24:25], v[6:7], v[10:11], v[24:25]
	v_fma_f64 v[10:11], v[8:9], v[10:11], v[26:27]
	s_waitcnt lgkmcnt(0)
	v_fma_f64 v[22:23], v[6:7], v[18:19], v[22:23]
	v_fma_f64 v[18:19], v[8:9], v[18:19], v[28:29]
	ds_read2_b64 v[6:9], v16 offset0:160 offset1:176
	s_waitcnt lgkmcnt(0)
	v_fma_f64 v[24:25], v[6:7], v[12:13], v[24:25]
	v_fma_f64 v[26:27], v[8:9], v[12:13], v[10:11]
	;; [unrolled: 1-line block ×4, first 2 shown]
	ds_read_b128 v[6:9], v17 offset:48
	ds_read2_b64 v[10:13], v16 offset0:192 offset1:208
	ds_read_b128 v[18:21], v17 offset:1072
	s_waitcnt lgkmcnt(1)
	v_fma_f64 v[30:31], v[10:11], v[6:7], v[24:25]
	v_fma_f64 v[6:7], v[12:13], v[6:7], v[26:27]
	s_waitcnt lgkmcnt(0)
	v_fma_f64 v[26:27], v[10:11], v[18:19], v[22:23]
	v_fma_f64 v[18:19], v[12:13], v[18:19], v[28:29]
	ds_read2_b64 v[22:25], v16 offset0:224 offset1:240
	s_waitcnt lgkmcnt(0)
	s_barrier
	v_fma_f64 v[12:13], v[22:23], v[8:9], v[30:31]
	v_fma_f64 v[10:11], v[24:25], v[8:9], v[6:7]
	;; [unrolled: 1-line block ×4, first 2 shown]
	s_cbranch_scc0 .LBB98_2
	s_branch .LBB98_4
.LBB98_3:
	v_mov_b32_e32 v12, 0
	v_mov_b32_e32 v10, 0
	v_mov_b32_e32 v8, 0
	v_mov_b32_e32 v6, 0
	v_mov_b32_e32 v13, 0
	v_mov_b32_e32 v11, 0
	v_mov_b32_e32 v9, 0
	v_mov_b32_e32 v7, 0
.LBB98_4:
	s_load_dwordx2 s[0:1], s[4:5], 0x48
	s_load_dword s9, s[4:5], 0x40
	v_add_u32_e32 v4, s7, v1
	v_add_u32_e32 v0, s6, v0
	s_waitcnt lgkmcnt(0)
	s_mul_i32 s1, s1, s8
	s_mul_hi_u32 s4, s0, s8
	s_add_i32 s1, s4, s1
	v_mad_i64_i32 v[1:2], s[4:5], v4, s9, 0
	s_mul_i32 s0, s0, s8
	s_lshl_b64 s[0:1], s[0:1], 3
	s_add_u32 s7, s2, s0
	v_lshlrev_b64 v[1:2], 3, v[1:2]
	s_addc_u32 s8, s3, s1
	v_mov_b32_e32 v3, s8
	v_add_co_u32_e32 v5, vcc, s7, v1
	v_addc_co_u32_e32 v14, vcc, v3, v2, vcc
	v_cmp_le_i32_e64 s[0:1], v4, v0
	v_cmp_gt_i32_e32 vcc, s10, v0
	s_and_b64 s[0:1], s[0:1], vcc
	s_and_saveexec_b64 s[2:3], s[0:1]
	s_cbranch_execz .LBB98_6
; %bb.5:
	v_ashrrev_i32_e32 v1, 31, v0
	v_lshlrev_b64 v[1:2], 3, v[0:1]
	v_xor_b32_e32 v13, 0x80000000, v13
	v_add_co_u32_e64 v1, s[0:1], v5, v1
	v_addc_co_u32_e64 v2, s[0:1], v14, v2, s[0:1]
	global_store_dwordx2 v[1:2], v[12:13], off
.LBB98_6:
	s_or_b64 exec, exec, s[2:3]
	v_add_u32_e32 v2, 16, v0
	v_cmp_le_i32_e64 s[2:3], v4, v2
	v_cmp_gt_i32_e64 s[0:1], s10, v2
	s_and_b64 s[2:3], s[2:3], s[0:1]
	s_and_saveexec_b64 s[4:5], s[2:3]
	s_cbranch_execz .LBB98_8
; %bb.7:
	v_ashrrev_i32_e32 v3, 31, v2
	v_lshlrev_b64 v[12:13], 3, v[2:3]
	v_xor_b32_e32 v11, 0x80000000, v11
	v_add_co_u32_e64 v12, s[2:3], v5, v12
	v_addc_co_u32_e64 v13, s[2:3], v14, v13, s[2:3]
	global_store_dwordx2 v[12:13], v[10:11], off
.LBB98_8:
	s_or_b64 exec, exec, s[4:5]
	v_add_u32_e32 v3, 16, v4
	v_mad_i64_i32 v[4:5], s[2:3], v3, s9, 0
	v_mov_b32_e32 v1, s8
	v_lshlrev_b64 v[4:5], 3, v[4:5]
	v_add_co_u32_e64 v4, s[2:3], s7, v4
	v_addc_co_u32_e64 v5, s[2:3], v1, v5, s[2:3]
	v_cmp_le_i32_e64 s[2:3], v3, v0
	s_and_b64 s[4:5], s[2:3], vcc
	s_and_saveexec_b64 s[2:3], s[4:5]
	s_cbranch_execz .LBB98_10
; %bb.9:
	v_ashrrev_i32_e32 v1, 31, v0
	v_lshlrev_b64 v[0:1], 3, v[0:1]
	v_xor_b32_e32 v9, 0x80000000, v9
	v_add_co_u32_e32 v0, vcc, v4, v0
	v_addc_co_u32_e32 v1, vcc, v5, v1, vcc
	global_store_dwordx2 v[0:1], v[8:9], off
.LBB98_10:
	s_or_b64 exec, exec, s[2:3]
	v_cmp_le_i32_e32 vcc, v3, v2
	s_and_b64 s[0:1], vcc, s[0:1]
	s_and_saveexec_b64 s[2:3], s[0:1]
	s_cbranch_execz .LBB98_12
; %bb.11:
	v_ashrrev_i32_e32 v3, 31, v2
	v_lshlrev_b64 v[0:1], 3, v[2:3]
	v_xor_b32_e32 v7, 0x80000000, v7
	v_add_co_u32_e32 v0, vcc, v4, v0
	v_addc_co_u32_e32 v1, vcc, v5, v1, vcc
	global_store_dwordx2 v[0:1], v[6:7], off
.LBB98_12:
	s_endpgm
	.section	.rodata,"a",@progbits
	.p2align	6, 0x0
	.amdhsa_kernel _ZL37rocblas_syrkx_herkx_restricted_kernelIidLi16ELi32ELi8ELin1ELi0ELb0ELc67ELc76EKddEviT_PT9_S1_lS3_S1_lPT10_S1_li
		.amdhsa_group_segment_fixed_size 4096
		.amdhsa_private_segment_fixed_size 0
		.amdhsa_kernarg_size 84
		.amdhsa_user_sgpr_count 6
		.amdhsa_user_sgpr_private_segment_buffer 1
		.amdhsa_user_sgpr_dispatch_ptr 0
		.amdhsa_user_sgpr_queue_ptr 0
		.amdhsa_user_sgpr_kernarg_segment_ptr 1
		.amdhsa_user_sgpr_dispatch_id 0
		.amdhsa_user_sgpr_flat_scratch_init 0
		.amdhsa_user_sgpr_private_segment_size 0
		.amdhsa_uses_dynamic_stack 0
		.amdhsa_system_sgpr_private_segment_wavefront_offset 0
		.amdhsa_system_sgpr_workgroup_id_x 1
		.amdhsa_system_sgpr_workgroup_id_y 1
		.amdhsa_system_sgpr_workgroup_id_z 1
		.amdhsa_system_sgpr_workgroup_info 0
		.amdhsa_system_vgpr_workitem_id 1
		.amdhsa_next_free_vgpr 32
		.amdhsa_next_free_sgpr 22
		.amdhsa_reserve_vcc 1
		.amdhsa_reserve_flat_scratch 0
		.amdhsa_float_round_mode_32 0
		.amdhsa_float_round_mode_16_64 0
		.amdhsa_float_denorm_mode_32 3
		.amdhsa_float_denorm_mode_16_64 3
		.amdhsa_dx10_clamp 1
		.amdhsa_ieee_mode 1
		.amdhsa_fp16_overflow 0
		.amdhsa_exception_fp_ieee_invalid_op 0
		.amdhsa_exception_fp_denorm_src 0
		.amdhsa_exception_fp_ieee_div_zero 0
		.amdhsa_exception_fp_ieee_overflow 0
		.amdhsa_exception_fp_ieee_underflow 0
		.amdhsa_exception_fp_ieee_inexact 0
		.amdhsa_exception_int_div_zero 0
	.end_amdhsa_kernel
	.section	.text._ZL37rocblas_syrkx_herkx_restricted_kernelIidLi16ELi32ELi8ELin1ELi0ELb0ELc67ELc76EKddEviT_PT9_S1_lS3_S1_lPT10_S1_li,"axG",@progbits,_ZL37rocblas_syrkx_herkx_restricted_kernelIidLi16ELi32ELi8ELin1ELi0ELb0ELc67ELc76EKddEviT_PT9_S1_lS3_S1_lPT10_S1_li,comdat
.Lfunc_end98:
	.size	_ZL37rocblas_syrkx_herkx_restricted_kernelIidLi16ELi32ELi8ELin1ELi0ELb0ELc67ELc76EKddEviT_PT9_S1_lS3_S1_lPT10_S1_li, .Lfunc_end98-_ZL37rocblas_syrkx_herkx_restricted_kernelIidLi16ELi32ELi8ELin1ELi0ELb0ELc67ELc76EKddEviT_PT9_S1_lS3_S1_lPT10_S1_li
                                        ; -- End function
	.set _ZL37rocblas_syrkx_herkx_restricted_kernelIidLi16ELi32ELi8ELin1ELi0ELb0ELc67ELc76EKddEviT_PT9_S1_lS3_S1_lPT10_S1_li.num_vgpr, 32
	.set _ZL37rocblas_syrkx_herkx_restricted_kernelIidLi16ELi32ELi8ELin1ELi0ELb0ELc67ELc76EKddEviT_PT9_S1_lS3_S1_lPT10_S1_li.num_agpr, 0
	.set _ZL37rocblas_syrkx_herkx_restricted_kernelIidLi16ELi32ELi8ELin1ELi0ELb0ELc67ELc76EKddEviT_PT9_S1_lS3_S1_lPT10_S1_li.numbered_sgpr, 22
	.set _ZL37rocblas_syrkx_herkx_restricted_kernelIidLi16ELi32ELi8ELin1ELi0ELb0ELc67ELc76EKddEviT_PT9_S1_lS3_S1_lPT10_S1_li.num_named_barrier, 0
	.set _ZL37rocblas_syrkx_herkx_restricted_kernelIidLi16ELi32ELi8ELin1ELi0ELb0ELc67ELc76EKddEviT_PT9_S1_lS3_S1_lPT10_S1_li.private_seg_size, 0
	.set _ZL37rocblas_syrkx_herkx_restricted_kernelIidLi16ELi32ELi8ELin1ELi0ELb0ELc67ELc76EKddEviT_PT9_S1_lS3_S1_lPT10_S1_li.uses_vcc, 1
	.set _ZL37rocblas_syrkx_herkx_restricted_kernelIidLi16ELi32ELi8ELin1ELi0ELb0ELc67ELc76EKddEviT_PT9_S1_lS3_S1_lPT10_S1_li.uses_flat_scratch, 0
	.set _ZL37rocblas_syrkx_herkx_restricted_kernelIidLi16ELi32ELi8ELin1ELi0ELb0ELc67ELc76EKddEviT_PT9_S1_lS3_S1_lPT10_S1_li.has_dyn_sized_stack, 0
	.set _ZL37rocblas_syrkx_herkx_restricted_kernelIidLi16ELi32ELi8ELin1ELi0ELb0ELc67ELc76EKddEviT_PT9_S1_lS3_S1_lPT10_S1_li.has_recursion, 0
	.set _ZL37rocblas_syrkx_herkx_restricted_kernelIidLi16ELi32ELi8ELin1ELi0ELb0ELc67ELc76EKddEviT_PT9_S1_lS3_S1_lPT10_S1_li.has_indirect_call, 0
	.section	.AMDGPU.csdata,"",@progbits
; Kernel info:
; codeLenInByte = 1260
; TotalNumSgprs: 26
; NumVgprs: 32
; ScratchSize: 0
; MemoryBound: 0
; FloatMode: 240
; IeeeMode: 1
; LDSByteSize: 4096 bytes/workgroup (compile time only)
; SGPRBlocks: 3
; VGPRBlocks: 7
; NumSGPRsForWavesPerEU: 26
; NumVGPRsForWavesPerEU: 32
; Occupancy: 8
; WaveLimiterHint : 0
; COMPUTE_PGM_RSRC2:SCRATCH_EN: 0
; COMPUTE_PGM_RSRC2:USER_SGPR: 6
; COMPUTE_PGM_RSRC2:TRAP_HANDLER: 0
; COMPUTE_PGM_RSRC2:TGID_X_EN: 1
; COMPUTE_PGM_RSRC2:TGID_Y_EN: 1
; COMPUTE_PGM_RSRC2:TGID_Z_EN: 1
; COMPUTE_PGM_RSRC2:TIDIG_COMP_CNT: 1
	.section	.text._ZL37rocblas_syrkx_herkx_restricted_kernelIidLi16ELi32ELi8ELin1ELi0ELb0ELc78ELc76EKddEviT_PT9_S1_lS3_S1_lPT10_S1_li,"axG",@progbits,_ZL37rocblas_syrkx_herkx_restricted_kernelIidLi16ELi32ELi8ELin1ELi0ELb0ELc78ELc76EKddEviT_PT9_S1_lS3_S1_lPT10_S1_li,comdat
	.globl	_ZL37rocblas_syrkx_herkx_restricted_kernelIidLi16ELi32ELi8ELin1ELi0ELb0ELc78ELc76EKddEviT_PT9_S1_lS3_S1_lPT10_S1_li ; -- Begin function _ZL37rocblas_syrkx_herkx_restricted_kernelIidLi16ELi32ELi8ELin1ELi0ELb0ELc78ELc76EKddEviT_PT9_S1_lS3_S1_lPT10_S1_li
	.p2align	8
	.type	_ZL37rocblas_syrkx_herkx_restricted_kernelIidLi16ELi32ELi8ELin1ELi0ELb0ELc78ELc76EKddEviT_PT9_S1_lS3_S1_lPT10_S1_li,@function
_ZL37rocblas_syrkx_herkx_restricted_kernelIidLi16ELi32ELi8ELin1ELi0ELb0ELc78ELc76EKddEviT_PT9_S1_lS3_S1_lPT10_S1_li: ; @_ZL37rocblas_syrkx_herkx_restricted_kernelIidLi16ELi32ELi8ELin1ELi0ELb0ELc78ELc76EKddEviT_PT9_S1_lS3_S1_lPT10_S1_li
; %bb.0:
	s_load_dwordx2 s[10:11], s[4:5], 0x0
	s_load_dwordx4 s[0:3], s[4:5], 0x30
	s_lshl_b32 s9, s6, 5
	s_lshl_b32 s16, s7, 5
	s_mov_b32 s17, 0
	s_waitcnt lgkmcnt(0)
	s_cmp_lt_i32 s11, 1
	s_cbranch_scc1 .LBB99_3
; %bb.1:
	v_lshl_add_u32 v7, v1, 4, v0
	s_load_dword s6, s[4:5], 0x10
	s_load_dword s18, s[4:5], 0x28
	s_load_dwordx2 s[20:21], s[4:5], 0x8
	s_load_dwordx4 s[12:15], s[4:5], 0x18
	v_lshrrev_b32_e32 v8, 3, v7
	v_add_u32_e32 v2, s16, v8
	v_and_b32_e32 v6, 7, v0
	v_ashrrev_i32_e32 v3, 31, v2
	s_waitcnt lgkmcnt(0)
	v_mad_i64_i32 v[4:5], s[22:23], s18, v6, v[2:3]
	v_and_b32_e32 v2, 31, v7
	v_lshrrev_b32_e32 v9, 5, v7
	v_lshlrev_b32_e32 v3, 3, v2
	v_lshl_or_b32 v14, v9, 8, v3
	v_lshlrev_b32_e32 v3, 3, v6
	v_lshl_or_b32 v3, v8, 6, v3
	v_add_u32_e32 v15, 0x800, v3
	v_mov_b32_e32 v3, 0x800
	v_add_u32_e32 v2, s9, v2
	v_lshl_add_u32 v17, v1, 6, v3
	v_ashrrev_i32_e32 v3, 31, v2
	v_mad_i64_i32 v[2:3], s[22:23], s6, v9, v[2:3]
	s_mul_i32 s13, s13, s8
	s_mul_hi_u32 s24, s12, s8
	s_add_i32 s13, s24, s13
	s_mul_i32 s12, s12, s8
	s_ashr_i32 s7, s6, 31
	s_ashr_i32 s19, s18, 31
	s_lshl_b64 s[12:13], s[12:13], 3
	v_lshlrev_b64 v[2:3], 3, v[2:3]
	s_add_u32 s12, s20, s12
	v_add_co_u32_e32 v2, vcc, s12, v2
	s_mul_i32 s1, s1, s8
	s_mul_hi_u32 s12, s0, s8
	s_addc_u32 s13, s21, s13
	s_add_i32 s1, s12, s1
	s_mul_i32 s0, s0, s8
	s_lshl_b64 s[6:7], s[6:7], 6
	s_lshl_b64 s[0:1], s[0:1], 3
	v_mov_b32_e32 v6, s13
	v_lshlrev_b64 v[4:5], 3, v[4:5]
	s_add_u32 s0, s14, s0
	v_addc_co_u32_e32 v3, vcc, v6, v3, vcc
	s_addc_u32 s1, s15, s1
	v_mov_b32_e32 v7, s1
	v_add_co_u32_e32 v6, vcc, s0, v4
	v_addc_co_u32_e32 v7, vcc, v7, v5, vcc
	s_lshl_b64 s[12:13], s[18:19], 6
	v_mov_b32_e32 v4, 0
	v_mov_b32_e32 v8, 0
	;; [unrolled: 1-line block ×4, first 2 shown]
	v_lshlrev_b32_e32 v16, 3, v0
	v_mov_b32_e32 v5, 0
	v_mov_b32_e32 v18, s7
	v_mov_b32_e32 v9, 0
	v_mov_b32_e32 v11, 0
	v_mov_b32_e32 v13, 0
	v_mov_b32_e32 v19, s13
.LBB99_2:                               ; =>This Inner Loop Header: Depth=1
	global_load_dwordx2 v[20:21], v[2:3], off
	global_load_dwordx2 v[22:23], v[6:7], off
	s_add_i32 s17, s17, 8
	v_add_co_u32_e32 v2, vcc, s6, v2
	v_add_co_u32_e64 v6, s[0:1], s12, v6
	v_addc_co_u32_e32 v3, vcc, v3, v18, vcc
	v_addc_co_u32_e64 v7, vcc, v7, v19, s[0:1]
	s_cmp_ge_i32 s17, s11
	s_waitcnt vmcnt(1)
	ds_write_b64 v14, v[20:21]
	s_waitcnt vmcnt(0)
	ds_write_b64 v15, v[22:23]
	s_waitcnt lgkmcnt(0)
	s_barrier
	ds_read2_b64 v[20:23], v16 offset1:16
	ds_read_b128 v[24:27], v17
	s_waitcnt lgkmcnt(0)
	v_fma_f64 v[28:29], v[20:21], v[24:25], v[12:13]
	v_fma_f64 v[24:25], v[22:23], v[24:25], v[10:11]
	ds_read_b128 v[10:13], v17 offset:1024
	s_waitcnt lgkmcnt(0)
	v_fma_f64 v[20:21], v[20:21], v[10:11], v[8:9]
	v_fma_f64 v[4:5], v[22:23], v[10:11], v[4:5]
	ds_read2_b64 v[8:11], v16 offset0:32 offset1:48
	s_waitcnt lgkmcnt(0)
	v_fma_f64 v[28:29], v[8:9], v[26:27], v[28:29]
	v_fma_f64 v[24:25], v[10:11], v[26:27], v[24:25]
	;; [unrolled: 1-line block ×4, first 2 shown]
	ds_read_b128 v[8:11], v17 offset:16
	ds_read2_b64 v[20:23], v16 offset0:64 offset1:80
	s_waitcnt lgkmcnt(0)
	v_fma_f64 v[12:13], v[20:21], v[8:9], v[28:29]
	v_fma_f64 v[8:9], v[22:23], v[8:9], v[24:25]
	ds_read_b128 v[24:27], v17 offset:1040
	s_waitcnt lgkmcnt(0)
	v_fma_f64 v[28:29], v[20:21], v[24:25], v[30:31]
	v_fma_f64 v[4:5], v[22:23], v[24:25], v[4:5]
	ds_read2_b64 v[20:23], v16 offset0:96 offset1:112
	s_waitcnt lgkmcnt(0)
	v_fma_f64 v[12:13], v[20:21], v[10:11], v[12:13]
	v_fma_f64 v[24:25], v[22:23], v[10:11], v[8:9]
	;; [unrolled: 1-line block ×4, first 2 shown]
	ds_read2_b64 v[8:11], v16 offset0:128 offset1:144
	ds_read_b128 v[20:23], v17 offset:32
	s_waitcnt lgkmcnt(0)
	v_fma_f64 v[12:13], v[8:9], v[20:21], v[12:13]
	v_fma_f64 v[20:21], v[10:11], v[20:21], v[24:25]
	ds_read_b128 v[24:27], v17 offset:1056
	s_waitcnt lgkmcnt(0)
	v_fma_f64 v[28:29], v[8:9], v[24:25], v[28:29]
	v_fma_f64 v[4:5], v[10:11], v[24:25], v[4:5]
	ds_read2_b64 v[8:11], v16 offset0:160 offset1:176
	s_waitcnt lgkmcnt(0)
	v_fma_f64 v[12:13], v[8:9], v[22:23], v[12:13]
	v_fma_f64 v[24:25], v[10:11], v[22:23], v[20:21]
	;; [unrolled: 1-line block ×4, first 2 shown]
	ds_read_b128 v[8:11], v17 offset:48
	ds_read2_b64 v[20:23], v16 offset0:192 offset1:208
	s_waitcnt lgkmcnt(0)
	v_fma_f64 v[12:13], v[20:21], v[8:9], v[12:13]
	v_fma_f64 v[8:9], v[22:23], v[8:9], v[24:25]
	ds_read_b128 v[24:27], v17 offset:1072
	s_waitcnt lgkmcnt(0)
	v_fma_f64 v[28:29], v[20:21], v[24:25], v[28:29]
	v_fma_f64 v[4:5], v[22:23], v[24:25], v[4:5]
	ds_read2_b64 v[20:23], v16 offset0:224 offset1:240
	s_waitcnt lgkmcnt(0)
	s_barrier
	v_fma_f64 v[12:13], v[20:21], v[10:11], v[12:13]
	v_fma_f64 v[10:11], v[22:23], v[10:11], v[8:9]
	;; [unrolled: 1-line block ×4, first 2 shown]
	s_cbranch_scc0 .LBB99_2
	s_branch .LBB99_4
.LBB99_3:
	v_mov_b32_e32 v12, 0
	v_mov_b32_e32 v10, 0
	;; [unrolled: 1-line block ×8, first 2 shown]
.LBB99_4:
	s_load_dwordx2 s[0:1], s[4:5], 0x48
	s_load_dword s6, s[4:5], 0x40
	v_add_u32_e32 v6, s16, v1
	v_add_u32_e32 v0, s9, v0
	s_waitcnt lgkmcnt(0)
	s_mul_i32 s1, s1, s8
	s_mul_hi_u32 s4, s0, s8
	s_add_i32 s1, s4, s1
	v_mad_i64_i32 v[1:2], s[4:5], v6, s6, 0
	s_mul_i32 s0, s0, s8
	s_lshl_b64 s[0:1], s[0:1], 3
	s_add_u32 s7, s2, s0
	v_lshlrev_b64 v[1:2], 3, v[1:2]
	s_addc_u32 s8, s3, s1
	v_mov_b32_e32 v3, s8
	v_add_co_u32_e32 v7, vcc, s7, v1
	v_addc_co_u32_e32 v14, vcc, v3, v2, vcc
	v_cmp_le_i32_e64 s[0:1], v6, v0
	v_cmp_gt_i32_e32 vcc, s10, v0
	s_and_b64 s[0:1], s[0:1], vcc
	s_and_saveexec_b64 s[2:3], s[0:1]
	s_cbranch_execz .LBB99_6
; %bb.5:
	v_ashrrev_i32_e32 v1, 31, v0
	v_lshlrev_b64 v[1:2], 3, v[0:1]
	v_xor_b32_e32 v13, 0x80000000, v13
	v_add_co_u32_e64 v1, s[0:1], v7, v1
	v_addc_co_u32_e64 v2, s[0:1], v14, v2, s[0:1]
	global_store_dwordx2 v[1:2], v[12:13], off
.LBB99_6:
	s_or_b64 exec, exec, s[2:3]
	v_add_u32_e32 v2, 16, v0
	v_cmp_le_i32_e64 s[2:3], v6, v2
	v_cmp_gt_i32_e64 s[0:1], s10, v2
	s_and_b64 s[2:3], s[2:3], s[0:1]
	s_and_saveexec_b64 s[4:5], s[2:3]
	s_cbranch_execz .LBB99_8
; %bb.7:
	v_ashrrev_i32_e32 v3, 31, v2
	v_lshlrev_b64 v[12:13], 3, v[2:3]
	v_xor_b32_e32 v11, 0x80000000, v11
	v_add_co_u32_e64 v12, s[2:3], v7, v12
	v_addc_co_u32_e64 v13, s[2:3], v14, v13, s[2:3]
	global_store_dwordx2 v[12:13], v[10:11], off
.LBB99_8:
	s_or_b64 exec, exec, s[4:5]
	v_add_u32_e32 v3, 16, v6
	v_mad_i64_i32 v[6:7], s[2:3], v3, s6, 0
	v_mov_b32_e32 v1, s8
	v_lshlrev_b64 v[6:7], 3, v[6:7]
	v_add_co_u32_e64 v6, s[2:3], s7, v6
	v_addc_co_u32_e64 v7, s[2:3], v1, v7, s[2:3]
	v_cmp_le_i32_e64 s[2:3], v3, v0
	s_and_b64 s[4:5], s[2:3], vcc
	s_and_saveexec_b64 s[2:3], s[4:5]
	s_cbranch_execz .LBB99_10
; %bb.9:
	v_ashrrev_i32_e32 v1, 31, v0
	v_lshlrev_b64 v[0:1], 3, v[0:1]
	v_xor_b32_e32 v9, 0x80000000, v9
	v_add_co_u32_e32 v0, vcc, v6, v0
	v_addc_co_u32_e32 v1, vcc, v7, v1, vcc
	global_store_dwordx2 v[0:1], v[8:9], off
.LBB99_10:
	s_or_b64 exec, exec, s[2:3]
	v_cmp_le_i32_e32 vcc, v3, v2
	s_and_b64 s[0:1], vcc, s[0:1]
	s_and_saveexec_b64 s[2:3], s[0:1]
	s_cbranch_execz .LBB99_12
; %bb.11:
	v_ashrrev_i32_e32 v3, 31, v2
	v_lshlrev_b64 v[0:1], 3, v[2:3]
	v_xor_b32_e32 v5, 0x80000000, v5
	v_add_co_u32_e32 v0, vcc, v6, v0
	v_addc_co_u32_e32 v1, vcc, v7, v1, vcc
	global_store_dwordx2 v[0:1], v[4:5], off
.LBB99_12:
	s_endpgm
	.section	.rodata,"a",@progbits
	.p2align	6, 0x0
	.amdhsa_kernel _ZL37rocblas_syrkx_herkx_restricted_kernelIidLi16ELi32ELi8ELin1ELi0ELb0ELc78ELc76EKddEviT_PT9_S1_lS3_S1_lPT10_S1_li
		.amdhsa_group_segment_fixed_size 4096
		.amdhsa_private_segment_fixed_size 0
		.amdhsa_kernarg_size 84
		.amdhsa_user_sgpr_count 6
		.amdhsa_user_sgpr_private_segment_buffer 1
		.amdhsa_user_sgpr_dispatch_ptr 0
		.amdhsa_user_sgpr_queue_ptr 0
		.amdhsa_user_sgpr_kernarg_segment_ptr 1
		.amdhsa_user_sgpr_dispatch_id 0
		.amdhsa_user_sgpr_flat_scratch_init 0
		.amdhsa_user_sgpr_private_segment_size 0
		.amdhsa_uses_dynamic_stack 0
		.amdhsa_system_sgpr_private_segment_wavefront_offset 0
		.amdhsa_system_sgpr_workgroup_id_x 1
		.amdhsa_system_sgpr_workgroup_id_y 1
		.amdhsa_system_sgpr_workgroup_id_z 1
		.amdhsa_system_sgpr_workgroup_info 0
		.amdhsa_system_vgpr_workitem_id 1
		.amdhsa_next_free_vgpr 32
		.amdhsa_next_free_sgpr 25
		.amdhsa_reserve_vcc 1
		.amdhsa_reserve_flat_scratch 0
		.amdhsa_float_round_mode_32 0
		.amdhsa_float_round_mode_16_64 0
		.amdhsa_float_denorm_mode_32 3
		.amdhsa_float_denorm_mode_16_64 3
		.amdhsa_dx10_clamp 1
		.amdhsa_ieee_mode 1
		.amdhsa_fp16_overflow 0
		.amdhsa_exception_fp_ieee_invalid_op 0
		.amdhsa_exception_fp_denorm_src 0
		.amdhsa_exception_fp_ieee_div_zero 0
		.amdhsa_exception_fp_ieee_overflow 0
		.amdhsa_exception_fp_ieee_underflow 0
		.amdhsa_exception_fp_ieee_inexact 0
		.amdhsa_exception_int_div_zero 0
	.end_amdhsa_kernel
	.section	.text._ZL37rocblas_syrkx_herkx_restricted_kernelIidLi16ELi32ELi8ELin1ELi0ELb0ELc78ELc76EKddEviT_PT9_S1_lS3_S1_lPT10_S1_li,"axG",@progbits,_ZL37rocblas_syrkx_herkx_restricted_kernelIidLi16ELi32ELi8ELin1ELi0ELb0ELc78ELc76EKddEviT_PT9_S1_lS3_S1_lPT10_S1_li,comdat
.Lfunc_end99:
	.size	_ZL37rocblas_syrkx_herkx_restricted_kernelIidLi16ELi32ELi8ELin1ELi0ELb0ELc78ELc76EKddEviT_PT9_S1_lS3_S1_lPT10_S1_li, .Lfunc_end99-_ZL37rocblas_syrkx_herkx_restricted_kernelIidLi16ELi32ELi8ELin1ELi0ELb0ELc78ELc76EKddEviT_PT9_S1_lS3_S1_lPT10_S1_li
                                        ; -- End function
	.set _ZL37rocblas_syrkx_herkx_restricted_kernelIidLi16ELi32ELi8ELin1ELi0ELb0ELc78ELc76EKddEviT_PT9_S1_lS3_S1_lPT10_S1_li.num_vgpr, 32
	.set _ZL37rocblas_syrkx_herkx_restricted_kernelIidLi16ELi32ELi8ELin1ELi0ELb0ELc78ELc76EKddEviT_PT9_S1_lS3_S1_lPT10_S1_li.num_agpr, 0
	.set _ZL37rocblas_syrkx_herkx_restricted_kernelIidLi16ELi32ELi8ELin1ELi0ELb0ELc78ELc76EKddEviT_PT9_S1_lS3_S1_lPT10_S1_li.numbered_sgpr, 25
	.set _ZL37rocblas_syrkx_herkx_restricted_kernelIidLi16ELi32ELi8ELin1ELi0ELb0ELc78ELc76EKddEviT_PT9_S1_lS3_S1_lPT10_S1_li.num_named_barrier, 0
	.set _ZL37rocblas_syrkx_herkx_restricted_kernelIidLi16ELi32ELi8ELin1ELi0ELb0ELc78ELc76EKddEviT_PT9_S1_lS3_S1_lPT10_S1_li.private_seg_size, 0
	.set _ZL37rocblas_syrkx_herkx_restricted_kernelIidLi16ELi32ELi8ELin1ELi0ELb0ELc78ELc76EKddEviT_PT9_S1_lS3_S1_lPT10_S1_li.uses_vcc, 1
	.set _ZL37rocblas_syrkx_herkx_restricted_kernelIidLi16ELi32ELi8ELin1ELi0ELb0ELc78ELc76EKddEviT_PT9_S1_lS3_S1_lPT10_S1_li.uses_flat_scratch, 0
	.set _ZL37rocblas_syrkx_herkx_restricted_kernelIidLi16ELi32ELi8ELin1ELi0ELb0ELc78ELc76EKddEviT_PT9_S1_lS3_S1_lPT10_S1_li.has_dyn_sized_stack, 0
	.set _ZL37rocblas_syrkx_herkx_restricted_kernelIidLi16ELi32ELi8ELin1ELi0ELb0ELc78ELc76EKddEviT_PT9_S1_lS3_S1_lPT10_S1_li.has_recursion, 0
	.set _ZL37rocblas_syrkx_herkx_restricted_kernelIidLi16ELi32ELi8ELin1ELi0ELb0ELc78ELc76EKddEviT_PT9_S1_lS3_S1_lPT10_S1_li.has_indirect_call, 0
	.section	.AMDGPU.csdata,"",@progbits
; Kernel info:
; codeLenInByte = 1284
; TotalNumSgprs: 29
; NumVgprs: 32
; ScratchSize: 0
; MemoryBound: 0
; FloatMode: 240
; IeeeMode: 1
; LDSByteSize: 4096 bytes/workgroup (compile time only)
; SGPRBlocks: 3
; VGPRBlocks: 7
; NumSGPRsForWavesPerEU: 29
; NumVGPRsForWavesPerEU: 32
; Occupancy: 8
; WaveLimiterHint : 0
; COMPUTE_PGM_RSRC2:SCRATCH_EN: 0
; COMPUTE_PGM_RSRC2:USER_SGPR: 6
; COMPUTE_PGM_RSRC2:TRAP_HANDLER: 0
; COMPUTE_PGM_RSRC2:TGID_X_EN: 1
; COMPUTE_PGM_RSRC2:TGID_Y_EN: 1
; COMPUTE_PGM_RSRC2:TGID_Z_EN: 1
; COMPUTE_PGM_RSRC2:TIDIG_COMP_CNT: 1
	.section	.text._ZL37rocblas_syrkx_herkx_restricted_kernelIidLi16ELi32ELi8ELin1ELi0ELb0ELc84ELc85EKddEviT_PT9_S1_lS3_S1_lPT10_S1_li,"axG",@progbits,_ZL37rocblas_syrkx_herkx_restricted_kernelIidLi16ELi32ELi8ELin1ELi0ELb0ELc84ELc85EKddEviT_PT9_S1_lS3_S1_lPT10_S1_li,comdat
	.globl	_ZL37rocblas_syrkx_herkx_restricted_kernelIidLi16ELi32ELi8ELin1ELi0ELb0ELc84ELc85EKddEviT_PT9_S1_lS3_S1_lPT10_S1_li ; -- Begin function _ZL37rocblas_syrkx_herkx_restricted_kernelIidLi16ELi32ELi8ELin1ELi0ELb0ELc84ELc85EKddEviT_PT9_S1_lS3_S1_lPT10_S1_li
	.p2align	8
	.type	_ZL37rocblas_syrkx_herkx_restricted_kernelIidLi16ELi32ELi8ELin1ELi0ELb0ELc84ELc85EKddEviT_PT9_S1_lS3_S1_lPT10_S1_li,@function
_ZL37rocblas_syrkx_herkx_restricted_kernelIidLi16ELi32ELi8ELin1ELi0ELb0ELc84ELc85EKddEviT_PT9_S1_lS3_S1_lPT10_S1_li: ; @_ZL37rocblas_syrkx_herkx_restricted_kernelIidLi16ELi32ELi8ELin1ELi0ELb0ELc84ELc85EKddEviT_PT9_S1_lS3_S1_lPT10_S1_li
; %bb.0:
	s_load_dwordx2 s[10:11], s[4:5], 0x0
	s_load_dwordx4 s[0:3], s[4:5], 0x30
	s_lshl_b32 s6, s6, 5
	s_lshl_b32 s7, s7, 5
	s_mov_b32 s9, 0
	s_waitcnt lgkmcnt(0)
	s_cmp_lt_i32 s11, 1
	s_cbranch_scc1 .LBB100_3
; %bb.1:
	s_load_dwordx2 s[16:17], s[4:5], 0x8
	s_load_dword s20, s[4:5], 0x10
	s_load_dwordx4 s[12:15], s[4:5], 0x18
	s_load_dword s18, s[4:5], 0x28
	v_lshl_add_u32 v6, v1, 4, v0
	v_lshrrev_b32_e32 v8, 3, v6
	v_add_u32_e32 v4, s7, v8
	v_and_b32_e32 v2, 7, v0
	v_mov_b32_e32 v3, 0
	s_waitcnt lgkmcnt(0)
	v_mad_i64_i32 v[4:5], s[18:19], s18, v4, v[2:3]
	v_lshlrev_b32_e32 v2, 3, v2
	v_and_b32_e32 v9, 31, v6
	v_lshl_or_b32 v2, v8, 6, v2
	v_lshrrev_b32_e32 v6, 5, v6
	v_mov_b32_e32 v7, v3
	v_lshlrev_b32_e32 v3, 3, v9
	v_add_u32_e32 v15, 0x800, v2
	v_add_u32_e32 v2, s6, v9
	v_lshl_or_b32 v14, v6, 8, v3
	v_mad_i64_i32 v[2:3], s[18:19], s20, v2, v[6:7]
	s_mul_i32 s13, s13, s8
	s_mul_hi_u32 s21, s12, s8
	s_add_i32 s13, s21, s13
	s_mul_i32 s12, s12, s8
	s_lshl_b64 s[12:13], s[12:13], 3
	v_lshlrev_b64 v[2:3], 3, v[2:3]
	s_add_u32 s12, s16, s12
	v_add_co_u32_e32 v2, vcc, s12, v2
	s_mul_i32 s1, s1, s8
	s_mul_hi_u32 s12, s0, s8
	s_addc_u32 s13, s17, s13
	s_add_i32 s1, s12, s1
	s_mul_i32 s0, s0, s8
	s_lshl_b64 s[0:1], s[0:1], 3
	v_mov_b32_e32 v6, s13
	v_lshlrev_b64 v[4:5], 3, v[4:5]
	s_add_u32 s0, s14, s0
	v_addc_co_u32_e32 v3, vcc, v6, v3, vcc
	s_addc_u32 s1, s15, s1
	v_mov_b32_e32 v6, s1
	v_add_co_u32_e32 v4, vcc, s0, v4
	v_mov_b32_e32 v17, 0x800
	v_addc_co_u32_e32 v5, vcc, v6, v5, vcc
	v_mov_b32_e32 v6, 0
	v_mov_b32_e32 v8, 0
	;; [unrolled: 1-line block ×4, first 2 shown]
	v_lshlrev_b32_e32 v16, 3, v0
	v_mov_b32_e32 v7, 0
	v_mov_b32_e32 v9, 0
	;; [unrolled: 1-line block ×4, first 2 shown]
	v_lshl_add_u32 v17, v1, 6, v17
.LBB100_2:                              ; =>This Inner Loop Header: Depth=1
	global_load_dwordx2 v[18:19], v[2:3], off
	global_load_dwordx2 v[20:21], v[4:5], off
	s_add_i32 s9, s9, 8
	v_add_co_u32_e32 v2, vcc, 64, v2
	v_add_co_u32_e64 v4, s[0:1], 64, v4
	v_addc_co_u32_e32 v3, vcc, 0, v3, vcc
	v_addc_co_u32_e64 v5, vcc, 0, v5, s[0:1]
	s_cmp_ge_i32 s9, s11
	s_waitcnt vmcnt(1)
	ds_write_b64 v14, v[18:19]
	s_waitcnt vmcnt(0)
	ds_write_b64 v15, v[20:21]
	s_waitcnt lgkmcnt(0)
	s_barrier
	ds_read2_b64 v[18:21], v16 offset1:16
	ds_read_b128 v[22:25], v17
	s_waitcnt lgkmcnt(0)
	v_fma_f64 v[26:27], v[18:19], v[22:23], v[12:13]
	v_fma_f64 v[22:23], v[20:21], v[22:23], v[10:11]
	ds_read_b128 v[10:13], v17 offset:1024
	s_waitcnt lgkmcnt(0)
	v_fma_f64 v[18:19], v[18:19], v[10:11], v[8:9]
	v_fma_f64 v[10:11], v[20:21], v[10:11], v[6:7]
	ds_read2_b64 v[6:9], v16 offset0:32 offset1:48
	s_waitcnt lgkmcnt(0)
	v_fma_f64 v[20:21], v[6:7], v[24:25], v[26:27]
	v_fma_f64 v[22:23], v[8:9], v[24:25], v[22:23]
	;; [unrolled: 1-line block ×4, first 2 shown]
	ds_read_b128 v[6:9], v17 offset:16
	ds_read2_b64 v[10:13], v16 offset0:64 offset1:80
	s_waitcnt lgkmcnt(0)
	v_fma_f64 v[28:29], v[10:11], v[6:7], v[20:21]
	ds_read_b128 v[18:21], v17 offset:1040
	v_fma_f64 v[6:7], v[12:13], v[6:7], v[22:23]
	s_waitcnt lgkmcnt(0)
	v_fma_f64 v[22:23], v[10:11], v[18:19], v[24:25]
	v_fma_f64 v[18:19], v[12:13], v[18:19], v[26:27]
	ds_read2_b64 v[10:13], v16 offset0:96 offset1:112
	s_waitcnt lgkmcnt(0)
	v_fma_f64 v[24:25], v[10:11], v[8:9], v[28:29]
	v_fma_f64 v[26:27], v[12:13], v[8:9], v[6:7]
	;; [unrolled: 1-line block ×4, first 2 shown]
	ds_read2_b64 v[6:9], v16 offset0:128 offset1:144
	ds_read_b128 v[10:13], v17 offset:32
	ds_read_b128 v[18:21], v17 offset:1056
	s_waitcnt lgkmcnt(1)
	v_fma_f64 v[24:25], v[6:7], v[10:11], v[24:25]
	v_fma_f64 v[10:11], v[8:9], v[10:11], v[26:27]
	s_waitcnt lgkmcnt(0)
	v_fma_f64 v[22:23], v[6:7], v[18:19], v[22:23]
	v_fma_f64 v[18:19], v[8:9], v[18:19], v[28:29]
	ds_read2_b64 v[6:9], v16 offset0:160 offset1:176
	s_waitcnt lgkmcnt(0)
	v_fma_f64 v[24:25], v[6:7], v[12:13], v[24:25]
	v_fma_f64 v[26:27], v[8:9], v[12:13], v[10:11]
	;; [unrolled: 1-line block ×4, first 2 shown]
	ds_read_b128 v[6:9], v17 offset:48
	ds_read2_b64 v[10:13], v16 offset0:192 offset1:208
	ds_read_b128 v[18:21], v17 offset:1072
	s_waitcnt lgkmcnt(1)
	v_fma_f64 v[30:31], v[10:11], v[6:7], v[24:25]
	v_fma_f64 v[6:7], v[12:13], v[6:7], v[26:27]
	s_waitcnt lgkmcnt(0)
	v_fma_f64 v[26:27], v[10:11], v[18:19], v[22:23]
	v_fma_f64 v[18:19], v[12:13], v[18:19], v[28:29]
	ds_read2_b64 v[22:25], v16 offset0:224 offset1:240
	s_waitcnt lgkmcnt(0)
	s_barrier
	v_fma_f64 v[12:13], v[22:23], v[8:9], v[30:31]
	v_fma_f64 v[10:11], v[24:25], v[8:9], v[6:7]
	;; [unrolled: 1-line block ×4, first 2 shown]
	s_cbranch_scc0 .LBB100_2
	s_branch .LBB100_4
.LBB100_3:
	v_mov_b32_e32 v12, 0
	v_mov_b32_e32 v10, 0
	;; [unrolled: 1-line block ×8, first 2 shown]
.LBB100_4:
	s_load_dwordx2 s[0:1], s[4:5], 0x48
	s_load_dword s9, s[4:5], 0x40
	v_add_u32_e32 v4, s7, v1
	v_add_u32_e32 v0, s6, v0
	v_cmp_gt_i32_e32 vcc, s10, v4
	s_waitcnt lgkmcnt(0)
	s_mul_i32 s1, s1, s8
	v_mad_i64_i32 v[1:2], s[12:13], v4, s9, 0
	s_mul_hi_u32 s4, s0, s8
	s_mul_i32 s0, s0, s8
	s_add_i32 s1, s4, s1
	s_lshl_b64 s[0:1], s[0:1], 3
	s_add_u32 s4, s2, s0
	v_lshlrev_b64 v[1:2], 3, v[1:2]
	s_addc_u32 s5, s3, s1
	v_mov_b32_e32 v3, s5
	v_add_co_u32_e64 v5, s[0:1], s4, v1
	v_addc_co_u32_e64 v14, s[0:1], v3, v2, s[0:1]
	v_cmp_le_i32_e64 s[0:1], v0, v4
	s_and_b64 s[0:1], vcc, s[0:1]
	s_and_saveexec_b64 s[2:3], s[0:1]
	s_cbranch_execz .LBB100_6
; %bb.5:
	v_ashrrev_i32_e32 v1, 31, v0
	v_lshlrev_b64 v[1:2], 3, v[0:1]
	v_xor_b32_e32 v13, 0x80000000, v13
	v_add_co_u32_e64 v1, s[0:1], v5, v1
	v_addc_co_u32_e64 v2, s[0:1], v14, v2, s[0:1]
	global_store_dwordx2 v[1:2], v[12:13], off
.LBB100_6:
	s_or_b64 exec, exec, s[2:3]
	v_add_u32_e32 v2, 16, v0
	v_cmp_le_i32_e64 s[0:1], v2, v4
	s_and_b64 s[2:3], vcc, s[0:1]
	s_and_saveexec_b64 s[0:1], s[2:3]
	s_cbranch_execz .LBB100_8
; %bb.7:
	v_ashrrev_i32_e32 v3, 31, v2
	v_lshlrev_b64 v[12:13], 3, v[2:3]
	v_xor_b32_e32 v11, 0x80000000, v11
	v_add_co_u32_e32 v12, vcc, v5, v12
	v_addc_co_u32_e32 v13, vcc, v14, v13, vcc
	global_store_dwordx2 v[12:13], v[10:11], off
.LBB100_8:
	s_or_b64 exec, exec, s[0:1]
	v_add_u32_e32 v3, 16, v4
	v_mad_i64_i32 v[4:5], s[0:1], v3, s9, 0
	v_mov_b32_e32 v1, s5
	v_cmp_gt_i32_e32 vcc, s10, v3
	v_lshlrev_b64 v[4:5], 3, v[4:5]
	v_add_co_u32_e64 v4, s[0:1], s4, v4
	v_addc_co_u32_e64 v5, s[0:1], v1, v5, s[0:1]
	v_cmp_le_i32_e64 s[0:1], v0, v3
	s_and_b64 s[0:1], vcc, s[0:1]
	s_and_saveexec_b64 s[2:3], s[0:1]
	s_cbranch_execz .LBB100_10
; %bb.9:
	v_ashrrev_i32_e32 v1, 31, v0
	v_lshlrev_b64 v[0:1], 3, v[0:1]
	v_xor_b32_e32 v9, 0x80000000, v9
	v_add_co_u32_e64 v0, s[0:1], v4, v0
	v_addc_co_u32_e64 v1, s[0:1], v5, v1, s[0:1]
	global_store_dwordx2 v[0:1], v[8:9], off
.LBB100_10:
	s_or_b64 exec, exec, s[2:3]
	v_cmp_le_i32_e64 s[0:1], v2, v3
	s_and_b64 s[0:1], vcc, s[0:1]
	s_and_saveexec_b64 s[2:3], s[0:1]
	s_cbranch_execz .LBB100_12
; %bb.11:
	v_ashrrev_i32_e32 v3, 31, v2
	v_lshlrev_b64 v[0:1], 3, v[2:3]
	v_xor_b32_e32 v7, 0x80000000, v7
	v_add_co_u32_e32 v0, vcc, v4, v0
	v_addc_co_u32_e32 v1, vcc, v5, v1, vcc
	global_store_dwordx2 v[0:1], v[6:7], off
.LBB100_12:
	s_endpgm
	.section	.rodata,"a",@progbits
	.p2align	6, 0x0
	.amdhsa_kernel _ZL37rocblas_syrkx_herkx_restricted_kernelIidLi16ELi32ELi8ELin1ELi0ELb0ELc84ELc85EKddEviT_PT9_S1_lS3_S1_lPT10_S1_li
		.amdhsa_group_segment_fixed_size 4096
		.amdhsa_private_segment_fixed_size 0
		.amdhsa_kernarg_size 84
		.amdhsa_user_sgpr_count 6
		.amdhsa_user_sgpr_private_segment_buffer 1
		.amdhsa_user_sgpr_dispatch_ptr 0
		.amdhsa_user_sgpr_queue_ptr 0
		.amdhsa_user_sgpr_kernarg_segment_ptr 1
		.amdhsa_user_sgpr_dispatch_id 0
		.amdhsa_user_sgpr_flat_scratch_init 0
		.amdhsa_user_sgpr_private_segment_size 0
		.amdhsa_uses_dynamic_stack 0
		.amdhsa_system_sgpr_private_segment_wavefront_offset 0
		.amdhsa_system_sgpr_workgroup_id_x 1
		.amdhsa_system_sgpr_workgroup_id_y 1
		.amdhsa_system_sgpr_workgroup_id_z 1
		.amdhsa_system_sgpr_workgroup_info 0
		.amdhsa_system_vgpr_workitem_id 1
		.amdhsa_next_free_vgpr 32
		.amdhsa_next_free_sgpr 22
		.amdhsa_reserve_vcc 1
		.amdhsa_reserve_flat_scratch 0
		.amdhsa_float_round_mode_32 0
		.amdhsa_float_round_mode_16_64 0
		.amdhsa_float_denorm_mode_32 3
		.amdhsa_float_denorm_mode_16_64 3
		.amdhsa_dx10_clamp 1
		.amdhsa_ieee_mode 1
		.amdhsa_fp16_overflow 0
		.amdhsa_exception_fp_ieee_invalid_op 0
		.amdhsa_exception_fp_denorm_src 0
		.amdhsa_exception_fp_ieee_div_zero 0
		.amdhsa_exception_fp_ieee_overflow 0
		.amdhsa_exception_fp_ieee_underflow 0
		.amdhsa_exception_fp_ieee_inexact 0
		.amdhsa_exception_int_div_zero 0
	.end_amdhsa_kernel
	.section	.text._ZL37rocblas_syrkx_herkx_restricted_kernelIidLi16ELi32ELi8ELin1ELi0ELb0ELc84ELc85EKddEviT_PT9_S1_lS3_S1_lPT10_S1_li,"axG",@progbits,_ZL37rocblas_syrkx_herkx_restricted_kernelIidLi16ELi32ELi8ELin1ELi0ELb0ELc84ELc85EKddEviT_PT9_S1_lS3_S1_lPT10_S1_li,comdat
.Lfunc_end100:
	.size	_ZL37rocblas_syrkx_herkx_restricted_kernelIidLi16ELi32ELi8ELin1ELi0ELb0ELc84ELc85EKddEviT_PT9_S1_lS3_S1_lPT10_S1_li, .Lfunc_end100-_ZL37rocblas_syrkx_herkx_restricted_kernelIidLi16ELi32ELi8ELin1ELi0ELb0ELc84ELc85EKddEviT_PT9_S1_lS3_S1_lPT10_S1_li
                                        ; -- End function
	.set _ZL37rocblas_syrkx_herkx_restricted_kernelIidLi16ELi32ELi8ELin1ELi0ELb0ELc84ELc85EKddEviT_PT9_S1_lS3_S1_lPT10_S1_li.num_vgpr, 32
	.set _ZL37rocblas_syrkx_herkx_restricted_kernelIidLi16ELi32ELi8ELin1ELi0ELb0ELc84ELc85EKddEviT_PT9_S1_lS3_S1_lPT10_S1_li.num_agpr, 0
	.set _ZL37rocblas_syrkx_herkx_restricted_kernelIidLi16ELi32ELi8ELin1ELi0ELb0ELc84ELc85EKddEviT_PT9_S1_lS3_S1_lPT10_S1_li.numbered_sgpr, 22
	.set _ZL37rocblas_syrkx_herkx_restricted_kernelIidLi16ELi32ELi8ELin1ELi0ELb0ELc84ELc85EKddEviT_PT9_S1_lS3_S1_lPT10_S1_li.num_named_barrier, 0
	.set _ZL37rocblas_syrkx_herkx_restricted_kernelIidLi16ELi32ELi8ELin1ELi0ELb0ELc84ELc85EKddEviT_PT9_S1_lS3_S1_lPT10_S1_li.private_seg_size, 0
	.set _ZL37rocblas_syrkx_herkx_restricted_kernelIidLi16ELi32ELi8ELin1ELi0ELb0ELc84ELc85EKddEviT_PT9_S1_lS3_S1_lPT10_S1_li.uses_vcc, 1
	.set _ZL37rocblas_syrkx_herkx_restricted_kernelIidLi16ELi32ELi8ELin1ELi0ELb0ELc84ELc85EKddEviT_PT9_S1_lS3_S1_lPT10_S1_li.uses_flat_scratch, 0
	.set _ZL37rocblas_syrkx_herkx_restricted_kernelIidLi16ELi32ELi8ELin1ELi0ELb0ELc84ELc85EKddEviT_PT9_S1_lS3_S1_lPT10_S1_li.has_dyn_sized_stack, 0
	.set _ZL37rocblas_syrkx_herkx_restricted_kernelIidLi16ELi32ELi8ELin1ELi0ELb0ELc84ELc85EKddEviT_PT9_S1_lS3_S1_lPT10_S1_li.has_recursion, 0
	.set _ZL37rocblas_syrkx_herkx_restricted_kernelIidLi16ELi32ELi8ELin1ELi0ELb0ELc84ELc85EKddEviT_PT9_S1_lS3_S1_lPT10_S1_li.has_indirect_call, 0
	.section	.AMDGPU.csdata,"",@progbits
; Kernel info:
; codeLenInByte = 1268
; TotalNumSgprs: 26
; NumVgprs: 32
; ScratchSize: 0
; MemoryBound: 0
; FloatMode: 240
; IeeeMode: 1
; LDSByteSize: 4096 bytes/workgroup (compile time only)
; SGPRBlocks: 3
; VGPRBlocks: 7
; NumSGPRsForWavesPerEU: 26
; NumVGPRsForWavesPerEU: 32
; Occupancy: 8
; WaveLimiterHint : 0
; COMPUTE_PGM_RSRC2:SCRATCH_EN: 0
; COMPUTE_PGM_RSRC2:USER_SGPR: 6
; COMPUTE_PGM_RSRC2:TRAP_HANDLER: 0
; COMPUTE_PGM_RSRC2:TGID_X_EN: 1
; COMPUTE_PGM_RSRC2:TGID_Y_EN: 1
; COMPUTE_PGM_RSRC2:TGID_Z_EN: 1
; COMPUTE_PGM_RSRC2:TIDIG_COMP_CNT: 1
	.section	.text._ZL37rocblas_syrkx_herkx_restricted_kernelIidLi16ELi32ELi8ELin1ELi0ELb0ELc67ELc85EKddEviT_PT9_S1_lS3_S1_lPT10_S1_li,"axG",@progbits,_ZL37rocblas_syrkx_herkx_restricted_kernelIidLi16ELi32ELi8ELin1ELi0ELb0ELc67ELc85EKddEviT_PT9_S1_lS3_S1_lPT10_S1_li,comdat
	.globl	_ZL37rocblas_syrkx_herkx_restricted_kernelIidLi16ELi32ELi8ELin1ELi0ELb0ELc67ELc85EKddEviT_PT9_S1_lS3_S1_lPT10_S1_li ; -- Begin function _ZL37rocblas_syrkx_herkx_restricted_kernelIidLi16ELi32ELi8ELin1ELi0ELb0ELc67ELc85EKddEviT_PT9_S1_lS3_S1_lPT10_S1_li
	.p2align	8
	.type	_ZL37rocblas_syrkx_herkx_restricted_kernelIidLi16ELi32ELi8ELin1ELi0ELb0ELc67ELc85EKddEviT_PT9_S1_lS3_S1_lPT10_S1_li,@function
_ZL37rocblas_syrkx_herkx_restricted_kernelIidLi16ELi32ELi8ELin1ELi0ELb0ELc67ELc85EKddEviT_PT9_S1_lS3_S1_lPT10_S1_li: ; @_ZL37rocblas_syrkx_herkx_restricted_kernelIidLi16ELi32ELi8ELin1ELi0ELb0ELc67ELc85EKddEviT_PT9_S1_lS3_S1_lPT10_S1_li
; %bb.0:
	s_load_dwordx2 s[10:11], s[4:5], 0x0
	s_load_dwordx4 s[0:3], s[4:5], 0x30
	s_lshl_b32 s6, s6, 5
	s_lshl_b32 s7, s7, 5
	s_mov_b32 s9, 0
	s_waitcnt lgkmcnt(0)
	s_cmp_lt_i32 s11, 1
	s_cbranch_scc1 .LBB101_3
; %bb.1:
	s_load_dwordx2 s[16:17], s[4:5], 0x8
	s_load_dword s20, s[4:5], 0x10
	s_load_dwordx4 s[12:15], s[4:5], 0x18
	s_load_dword s18, s[4:5], 0x28
	v_lshl_add_u32 v6, v1, 4, v0
	v_lshrrev_b32_e32 v8, 3, v6
	v_add_u32_e32 v4, s7, v8
	v_and_b32_e32 v2, 7, v0
	v_mov_b32_e32 v3, 0
	s_waitcnt lgkmcnt(0)
	v_mad_i64_i32 v[4:5], s[18:19], s18, v4, v[2:3]
	v_lshlrev_b32_e32 v2, 3, v2
	v_and_b32_e32 v9, 31, v6
	v_lshl_or_b32 v2, v8, 6, v2
	v_lshrrev_b32_e32 v6, 5, v6
	v_mov_b32_e32 v7, v3
	v_lshlrev_b32_e32 v3, 3, v9
	v_add_u32_e32 v15, 0x800, v2
	v_add_u32_e32 v2, s6, v9
	v_lshl_or_b32 v14, v6, 8, v3
	v_mad_i64_i32 v[2:3], s[18:19], s20, v2, v[6:7]
	s_mul_i32 s13, s13, s8
	s_mul_hi_u32 s21, s12, s8
	s_add_i32 s13, s21, s13
	s_mul_i32 s12, s12, s8
	s_lshl_b64 s[12:13], s[12:13], 3
	v_lshlrev_b64 v[2:3], 3, v[2:3]
	s_add_u32 s12, s16, s12
	v_add_co_u32_e32 v2, vcc, s12, v2
	s_mul_i32 s1, s1, s8
	s_mul_hi_u32 s12, s0, s8
	s_addc_u32 s13, s17, s13
	s_add_i32 s1, s12, s1
	s_mul_i32 s0, s0, s8
	s_lshl_b64 s[0:1], s[0:1], 3
	v_mov_b32_e32 v6, s13
	v_lshlrev_b64 v[4:5], 3, v[4:5]
	s_add_u32 s0, s14, s0
	v_addc_co_u32_e32 v3, vcc, v6, v3, vcc
	s_addc_u32 s1, s15, s1
	v_mov_b32_e32 v6, s1
	v_add_co_u32_e32 v4, vcc, s0, v4
	v_mov_b32_e32 v17, 0x800
	v_addc_co_u32_e32 v5, vcc, v6, v5, vcc
	v_mov_b32_e32 v6, 0
	v_mov_b32_e32 v8, 0
	;; [unrolled: 1-line block ×4, first 2 shown]
	v_lshlrev_b32_e32 v16, 3, v0
	v_mov_b32_e32 v7, 0
	v_mov_b32_e32 v9, 0
	v_mov_b32_e32 v11, 0
	v_mov_b32_e32 v13, 0
	v_lshl_add_u32 v17, v1, 6, v17
.LBB101_2:                              ; =>This Inner Loop Header: Depth=1
	global_load_dwordx2 v[18:19], v[2:3], off
	global_load_dwordx2 v[20:21], v[4:5], off
	s_add_i32 s9, s9, 8
	v_add_co_u32_e32 v2, vcc, 64, v2
	v_add_co_u32_e64 v4, s[0:1], 64, v4
	v_addc_co_u32_e32 v3, vcc, 0, v3, vcc
	v_addc_co_u32_e64 v5, vcc, 0, v5, s[0:1]
	s_cmp_ge_i32 s9, s11
	s_waitcnt vmcnt(1)
	ds_write_b64 v14, v[18:19]
	s_waitcnt vmcnt(0)
	ds_write_b64 v15, v[20:21]
	s_waitcnt lgkmcnt(0)
	s_barrier
	ds_read2_b64 v[18:21], v16 offset1:16
	ds_read_b128 v[22:25], v17
	s_waitcnt lgkmcnt(0)
	v_fma_f64 v[26:27], v[18:19], v[22:23], v[12:13]
	v_fma_f64 v[22:23], v[20:21], v[22:23], v[10:11]
	ds_read_b128 v[10:13], v17 offset:1024
	s_waitcnt lgkmcnt(0)
	v_fma_f64 v[18:19], v[18:19], v[10:11], v[8:9]
	v_fma_f64 v[10:11], v[20:21], v[10:11], v[6:7]
	ds_read2_b64 v[6:9], v16 offset0:32 offset1:48
	s_waitcnt lgkmcnt(0)
	v_fma_f64 v[20:21], v[6:7], v[24:25], v[26:27]
	v_fma_f64 v[22:23], v[8:9], v[24:25], v[22:23]
	;; [unrolled: 1-line block ×4, first 2 shown]
	ds_read_b128 v[6:9], v17 offset:16
	ds_read2_b64 v[10:13], v16 offset0:64 offset1:80
	s_waitcnt lgkmcnt(0)
	v_fma_f64 v[28:29], v[10:11], v[6:7], v[20:21]
	ds_read_b128 v[18:21], v17 offset:1040
	v_fma_f64 v[6:7], v[12:13], v[6:7], v[22:23]
	s_waitcnt lgkmcnt(0)
	v_fma_f64 v[22:23], v[10:11], v[18:19], v[24:25]
	v_fma_f64 v[18:19], v[12:13], v[18:19], v[26:27]
	ds_read2_b64 v[10:13], v16 offset0:96 offset1:112
	s_waitcnt lgkmcnt(0)
	v_fma_f64 v[24:25], v[10:11], v[8:9], v[28:29]
	v_fma_f64 v[26:27], v[12:13], v[8:9], v[6:7]
	;; [unrolled: 1-line block ×4, first 2 shown]
	ds_read2_b64 v[6:9], v16 offset0:128 offset1:144
	ds_read_b128 v[10:13], v17 offset:32
	ds_read_b128 v[18:21], v17 offset:1056
	s_waitcnt lgkmcnt(1)
	v_fma_f64 v[24:25], v[6:7], v[10:11], v[24:25]
	v_fma_f64 v[10:11], v[8:9], v[10:11], v[26:27]
	s_waitcnt lgkmcnt(0)
	v_fma_f64 v[22:23], v[6:7], v[18:19], v[22:23]
	v_fma_f64 v[18:19], v[8:9], v[18:19], v[28:29]
	ds_read2_b64 v[6:9], v16 offset0:160 offset1:176
	s_waitcnt lgkmcnt(0)
	v_fma_f64 v[24:25], v[6:7], v[12:13], v[24:25]
	v_fma_f64 v[26:27], v[8:9], v[12:13], v[10:11]
	;; [unrolled: 1-line block ×4, first 2 shown]
	ds_read_b128 v[6:9], v17 offset:48
	ds_read2_b64 v[10:13], v16 offset0:192 offset1:208
	ds_read_b128 v[18:21], v17 offset:1072
	s_waitcnt lgkmcnt(1)
	v_fma_f64 v[30:31], v[10:11], v[6:7], v[24:25]
	v_fma_f64 v[6:7], v[12:13], v[6:7], v[26:27]
	s_waitcnt lgkmcnt(0)
	v_fma_f64 v[26:27], v[10:11], v[18:19], v[22:23]
	v_fma_f64 v[18:19], v[12:13], v[18:19], v[28:29]
	ds_read2_b64 v[22:25], v16 offset0:224 offset1:240
	s_waitcnt lgkmcnt(0)
	s_barrier
	v_fma_f64 v[12:13], v[22:23], v[8:9], v[30:31]
	v_fma_f64 v[10:11], v[24:25], v[8:9], v[6:7]
	;; [unrolled: 1-line block ×4, first 2 shown]
	s_cbranch_scc0 .LBB101_2
	s_branch .LBB101_4
.LBB101_3:
	v_mov_b32_e32 v12, 0
	v_mov_b32_e32 v10, 0
	;; [unrolled: 1-line block ×8, first 2 shown]
.LBB101_4:
	s_load_dwordx2 s[0:1], s[4:5], 0x48
	s_load_dword s9, s[4:5], 0x40
	v_add_u32_e32 v4, s7, v1
	v_add_u32_e32 v0, s6, v0
	v_cmp_gt_i32_e32 vcc, s10, v4
	s_waitcnt lgkmcnt(0)
	s_mul_i32 s1, s1, s8
	v_mad_i64_i32 v[1:2], s[12:13], v4, s9, 0
	s_mul_hi_u32 s4, s0, s8
	s_mul_i32 s0, s0, s8
	s_add_i32 s1, s4, s1
	s_lshl_b64 s[0:1], s[0:1], 3
	s_add_u32 s4, s2, s0
	v_lshlrev_b64 v[1:2], 3, v[1:2]
	s_addc_u32 s5, s3, s1
	v_mov_b32_e32 v3, s5
	v_add_co_u32_e64 v5, s[0:1], s4, v1
	v_addc_co_u32_e64 v14, s[0:1], v3, v2, s[0:1]
	v_cmp_le_i32_e64 s[0:1], v0, v4
	s_and_b64 s[0:1], vcc, s[0:1]
	s_and_saveexec_b64 s[2:3], s[0:1]
	s_cbranch_execz .LBB101_6
; %bb.5:
	v_ashrrev_i32_e32 v1, 31, v0
	v_lshlrev_b64 v[1:2], 3, v[0:1]
	v_xor_b32_e32 v13, 0x80000000, v13
	v_add_co_u32_e64 v1, s[0:1], v5, v1
	v_addc_co_u32_e64 v2, s[0:1], v14, v2, s[0:1]
	global_store_dwordx2 v[1:2], v[12:13], off
.LBB101_6:
	s_or_b64 exec, exec, s[2:3]
	v_add_u32_e32 v2, 16, v0
	v_cmp_le_i32_e64 s[0:1], v2, v4
	s_and_b64 s[2:3], vcc, s[0:1]
	s_and_saveexec_b64 s[0:1], s[2:3]
	s_cbranch_execz .LBB101_8
; %bb.7:
	v_ashrrev_i32_e32 v3, 31, v2
	v_lshlrev_b64 v[12:13], 3, v[2:3]
	v_xor_b32_e32 v11, 0x80000000, v11
	v_add_co_u32_e32 v12, vcc, v5, v12
	v_addc_co_u32_e32 v13, vcc, v14, v13, vcc
	global_store_dwordx2 v[12:13], v[10:11], off
.LBB101_8:
	s_or_b64 exec, exec, s[0:1]
	v_add_u32_e32 v3, 16, v4
	v_mad_i64_i32 v[4:5], s[0:1], v3, s9, 0
	v_mov_b32_e32 v1, s5
	v_cmp_gt_i32_e32 vcc, s10, v3
	v_lshlrev_b64 v[4:5], 3, v[4:5]
	v_add_co_u32_e64 v4, s[0:1], s4, v4
	v_addc_co_u32_e64 v5, s[0:1], v1, v5, s[0:1]
	v_cmp_le_i32_e64 s[0:1], v0, v3
	s_and_b64 s[0:1], vcc, s[0:1]
	s_and_saveexec_b64 s[2:3], s[0:1]
	s_cbranch_execz .LBB101_10
; %bb.9:
	v_ashrrev_i32_e32 v1, 31, v0
	v_lshlrev_b64 v[0:1], 3, v[0:1]
	v_xor_b32_e32 v9, 0x80000000, v9
	v_add_co_u32_e64 v0, s[0:1], v4, v0
	v_addc_co_u32_e64 v1, s[0:1], v5, v1, s[0:1]
	global_store_dwordx2 v[0:1], v[8:9], off
.LBB101_10:
	s_or_b64 exec, exec, s[2:3]
	v_cmp_le_i32_e64 s[0:1], v2, v3
	s_and_b64 s[0:1], vcc, s[0:1]
	s_and_saveexec_b64 s[2:3], s[0:1]
	s_cbranch_execz .LBB101_12
; %bb.11:
	v_ashrrev_i32_e32 v3, 31, v2
	v_lshlrev_b64 v[0:1], 3, v[2:3]
	v_xor_b32_e32 v7, 0x80000000, v7
	v_add_co_u32_e32 v0, vcc, v4, v0
	v_addc_co_u32_e32 v1, vcc, v5, v1, vcc
	global_store_dwordx2 v[0:1], v[6:7], off
.LBB101_12:
	s_endpgm
	.section	.rodata,"a",@progbits
	.p2align	6, 0x0
	.amdhsa_kernel _ZL37rocblas_syrkx_herkx_restricted_kernelIidLi16ELi32ELi8ELin1ELi0ELb0ELc67ELc85EKddEviT_PT9_S1_lS3_S1_lPT10_S1_li
		.amdhsa_group_segment_fixed_size 4096
		.amdhsa_private_segment_fixed_size 0
		.amdhsa_kernarg_size 84
		.amdhsa_user_sgpr_count 6
		.amdhsa_user_sgpr_private_segment_buffer 1
		.amdhsa_user_sgpr_dispatch_ptr 0
		.amdhsa_user_sgpr_queue_ptr 0
		.amdhsa_user_sgpr_kernarg_segment_ptr 1
		.amdhsa_user_sgpr_dispatch_id 0
		.amdhsa_user_sgpr_flat_scratch_init 0
		.amdhsa_user_sgpr_private_segment_size 0
		.amdhsa_uses_dynamic_stack 0
		.amdhsa_system_sgpr_private_segment_wavefront_offset 0
		.amdhsa_system_sgpr_workgroup_id_x 1
		.amdhsa_system_sgpr_workgroup_id_y 1
		.amdhsa_system_sgpr_workgroup_id_z 1
		.amdhsa_system_sgpr_workgroup_info 0
		.amdhsa_system_vgpr_workitem_id 1
		.amdhsa_next_free_vgpr 32
		.amdhsa_next_free_sgpr 22
		.amdhsa_reserve_vcc 1
		.amdhsa_reserve_flat_scratch 0
		.amdhsa_float_round_mode_32 0
		.amdhsa_float_round_mode_16_64 0
		.amdhsa_float_denorm_mode_32 3
		.amdhsa_float_denorm_mode_16_64 3
		.amdhsa_dx10_clamp 1
		.amdhsa_ieee_mode 1
		.amdhsa_fp16_overflow 0
		.amdhsa_exception_fp_ieee_invalid_op 0
		.amdhsa_exception_fp_denorm_src 0
		.amdhsa_exception_fp_ieee_div_zero 0
		.amdhsa_exception_fp_ieee_overflow 0
		.amdhsa_exception_fp_ieee_underflow 0
		.amdhsa_exception_fp_ieee_inexact 0
		.amdhsa_exception_int_div_zero 0
	.end_amdhsa_kernel
	.section	.text._ZL37rocblas_syrkx_herkx_restricted_kernelIidLi16ELi32ELi8ELin1ELi0ELb0ELc67ELc85EKddEviT_PT9_S1_lS3_S1_lPT10_S1_li,"axG",@progbits,_ZL37rocblas_syrkx_herkx_restricted_kernelIidLi16ELi32ELi8ELin1ELi0ELb0ELc67ELc85EKddEviT_PT9_S1_lS3_S1_lPT10_S1_li,comdat
.Lfunc_end101:
	.size	_ZL37rocblas_syrkx_herkx_restricted_kernelIidLi16ELi32ELi8ELin1ELi0ELb0ELc67ELc85EKddEviT_PT9_S1_lS3_S1_lPT10_S1_li, .Lfunc_end101-_ZL37rocblas_syrkx_herkx_restricted_kernelIidLi16ELi32ELi8ELin1ELi0ELb0ELc67ELc85EKddEviT_PT9_S1_lS3_S1_lPT10_S1_li
                                        ; -- End function
	.set _ZL37rocblas_syrkx_herkx_restricted_kernelIidLi16ELi32ELi8ELin1ELi0ELb0ELc67ELc85EKddEviT_PT9_S1_lS3_S1_lPT10_S1_li.num_vgpr, 32
	.set _ZL37rocblas_syrkx_herkx_restricted_kernelIidLi16ELi32ELi8ELin1ELi0ELb0ELc67ELc85EKddEviT_PT9_S1_lS3_S1_lPT10_S1_li.num_agpr, 0
	.set _ZL37rocblas_syrkx_herkx_restricted_kernelIidLi16ELi32ELi8ELin1ELi0ELb0ELc67ELc85EKddEviT_PT9_S1_lS3_S1_lPT10_S1_li.numbered_sgpr, 22
	.set _ZL37rocblas_syrkx_herkx_restricted_kernelIidLi16ELi32ELi8ELin1ELi0ELb0ELc67ELc85EKddEviT_PT9_S1_lS3_S1_lPT10_S1_li.num_named_barrier, 0
	.set _ZL37rocblas_syrkx_herkx_restricted_kernelIidLi16ELi32ELi8ELin1ELi0ELb0ELc67ELc85EKddEviT_PT9_S1_lS3_S1_lPT10_S1_li.private_seg_size, 0
	.set _ZL37rocblas_syrkx_herkx_restricted_kernelIidLi16ELi32ELi8ELin1ELi0ELb0ELc67ELc85EKddEviT_PT9_S1_lS3_S1_lPT10_S1_li.uses_vcc, 1
	.set _ZL37rocblas_syrkx_herkx_restricted_kernelIidLi16ELi32ELi8ELin1ELi0ELb0ELc67ELc85EKddEviT_PT9_S1_lS3_S1_lPT10_S1_li.uses_flat_scratch, 0
	.set _ZL37rocblas_syrkx_herkx_restricted_kernelIidLi16ELi32ELi8ELin1ELi0ELb0ELc67ELc85EKddEviT_PT9_S1_lS3_S1_lPT10_S1_li.has_dyn_sized_stack, 0
	.set _ZL37rocblas_syrkx_herkx_restricted_kernelIidLi16ELi32ELi8ELin1ELi0ELb0ELc67ELc85EKddEviT_PT9_S1_lS3_S1_lPT10_S1_li.has_recursion, 0
	.set _ZL37rocblas_syrkx_herkx_restricted_kernelIidLi16ELi32ELi8ELin1ELi0ELb0ELc67ELc85EKddEviT_PT9_S1_lS3_S1_lPT10_S1_li.has_indirect_call, 0
	.section	.AMDGPU.csdata,"",@progbits
; Kernel info:
; codeLenInByte = 1268
; TotalNumSgprs: 26
; NumVgprs: 32
; ScratchSize: 0
; MemoryBound: 0
; FloatMode: 240
; IeeeMode: 1
; LDSByteSize: 4096 bytes/workgroup (compile time only)
; SGPRBlocks: 3
; VGPRBlocks: 7
; NumSGPRsForWavesPerEU: 26
; NumVGPRsForWavesPerEU: 32
; Occupancy: 8
; WaveLimiterHint : 0
; COMPUTE_PGM_RSRC2:SCRATCH_EN: 0
; COMPUTE_PGM_RSRC2:USER_SGPR: 6
; COMPUTE_PGM_RSRC2:TRAP_HANDLER: 0
; COMPUTE_PGM_RSRC2:TGID_X_EN: 1
; COMPUTE_PGM_RSRC2:TGID_Y_EN: 1
; COMPUTE_PGM_RSRC2:TGID_Z_EN: 1
; COMPUTE_PGM_RSRC2:TIDIG_COMP_CNT: 1
	.section	.text._ZL37rocblas_syrkx_herkx_restricted_kernelIidLi16ELi32ELi8ELin1ELi0ELb0ELc78ELc85EKddEviT_PT9_S1_lS3_S1_lPT10_S1_li,"axG",@progbits,_ZL37rocblas_syrkx_herkx_restricted_kernelIidLi16ELi32ELi8ELin1ELi0ELb0ELc78ELc85EKddEviT_PT9_S1_lS3_S1_lPT10_S1_li,comdat
	.globl	_ZL37rocblas_syrkx_herkx_restricted_kernelIidLi16ELi32ELi8ELin1ELi0ELb0ELc78ELc85EKddEviT_PT9_S1_lS3_S1_lPT10_S1_li ; -- Begin function _ZL37rocblas_syrkx_herkx_restricted_kernelIidLi16ELi32ELi8ELin1ELi0ELb0ELc78ELc85EKddEviT_PT9_S1_lS3_S1_lPT10_S1_li
	.p2align	8
	.type	_ZL37rocblas_syrkx_herkx_restricted_kernelIidLi16ELi32ELi8ELin1ELi0ELb0ELc78ELc85EKddEviT_PT9_S1_lS3_S1_lPT10_S1_li,@function
_ZL37rocblas_syrkx_herkx_restricted_kernelIidLi16ELi32ELi8ELin1ELi0ELb0ELc78ELc85EKddEviT_PT9_S1_lS3_S1_lPT10_S1_li: ; @_ZL37rocblas_syrkx_herkx_restricted_kernelIidLi16ELi32ELi8ELin1ELi0ELb0ELc78ELc85EKddEviT_PT9_S1_lS3_S1_lPT10_S1_li
; %bb.0:
	s_load_dwordx2 s[10:11], s[4:5], 0x0
	s_load_dwordx4 s[0:3], s[4:5], 0x30
	s_lshl_b32 s9, s6, 5
	s_lshl_b32 s16, s7, 5
	s_mov_b32 s17, 0
	s_waitcnt lgkmcnt(0)
	s_cmp_lt_i32 s11, 1
	s_cbranch_scc1 .LBB102_3
; %bb.1:
	v_lshl_add_u32 v7, v1, 4, v0
	s_load_dword s6, s[4:5], 0x10
	s_load_dword s18, s[4:5], 0x28
	s_load_dwordx2 s[20:21], s[4:5], 0x8
	s_load_dwordx4 s[12:15], s[4:5], 0x18
	v_lshrrev_b32_e32 v8, 3, v7
	v_add_u32_e32 v2, s16, v8
	v_and_b32_e32 v6, 7, v0
	v_ashrrev_i32_e32 v3, 31, v2
	s_waitcnt lgkmcnt(0)
	v_mad_i64_i32 v[4:5], s[22:23], s18, v6, v[2:3]
	v_and_b32_e32 v2, 31, v7
	v_lshrrev_b32_e32 v9, 5, v7
	v_lshlrev_b32_e32 v3, 3, v2
	v_lshl_or_b32 v14, v9, 8, v3
	v_lshlrev_b32_e32 v3, 3, v6
	v_lshl_or_b32 v3, v8, 6, v3
	v_add_u32_e32 v15, 0x800, v3
	v_mov_b32_e32 v3, 0x800
	v_add_u32_e32 v2, s9, v2
	v_lshl_add_u32 v17, v1, 6, v3
	v_ashrrev_i32_e32 v3, 31, v2
	v_mad_i64_i32 v[2:3], s[22:23], s6, v9, v[2:3]
	s_mul_i32 s13, s13, s8
	s_mul_hi_u32 s24, s12, s8
	s_add_i32 s13, s24, s13
	s_mul_i32 s12, s12, s8
	s_ashr_i32 s7, s6, 31
	s_ashr_i32 s19, s18, 31
	s_lshl_b64 s[12:13], s[12:13], 3
	v_lshlrev_b64 v[2:3], 3, v[2:3]
	s_add_u32 s12, s20, s12
	v_add_co_u32_e32 v2, vcc, s12, v2
	s_mul_i32 s1, s1, s8
	s_mul_hi_u32 s12, s0, s8
	s_addc_u32 s13, s21, s13
	s_add_i32 s1, s12, s1
	s_mul_i32 s0, s0, s8
	s_lshl_b64 s[6:7], s[6:7], 6
	s_lshl_b64 s[0:1], s[0:1], 3
	v_mov_b32_e32 v6, s13
	v_lshlrev_b64 v[4:5], 3, v[4:5]
	s_add_u32 s0, s14, s0
	v_addc_co_u32_e32 v3, vcc, v6, v3, vcc
	s_addc_u32 s1, s15, s1
	v_mov_b32_e32 v7, s1
	v_add_co_u32_e32 v6, vcc, s0, v4
	v_addc_co_u32_e32 v7, vcc, v7, v5, vcc
	s_lshl_b64 s[12:13], s[18:19], 6
	v_mov_b32_e32 v4, 0
	v_mov_b32_e32 v8, 0
	;; [unrolled: 1-line block ×4, first 2 shown]
	v_lshlrev_b32_e32 v16, 3, v0
	v_mov_b32_e32 v5, 0
	v_mov_b32_e32 v18, s7
	;; [unrolled: 1-line block ×6, first 2 shown]
.LBB102_2:                              ; =>This Inner Loop Header: Depth=1
	global_load_dwordx2 v[20:21], v[2:3], off
	global_load_dwordx2 v[22:23], v[6:7], off
	s_add_i32 s17, s17, 8
	v_add_co_u32_e32 v2, vcc, s6, v2
	v_add_co_u32_e64 v6, s[0:1], s12, v6
	v_addc_co_u32_e32 v3, vcc, v3, v18, vcc
	v_addc_co_u32_e64 v7, vcc, v7, v19, s[0:1]
	s_cmp_ge_i32 s17, s11
	s_waitcnt vmcnt(1)
	ds_write_b64 v14, v[20:21]
	s_waitcnt vmcnt(0)
	ds_write_b64 v15, v[22:23]
	s_waitcnt lgkmcnt(0)
	s_barrier
	ds_read2_b64 v[20:23], v16 offset1:16
	ds_read_b128 v[24:27], v17
	s_waitcnt lgkmcnt(0)
	v_fma_f64 v[28:29], v[20:21], v[24:25], v[12:13]
	v_fma_f64 v[24:25], v[22:23], v[24:25], v[10:11]
	ds_read_b128 v[10:13], v17 offset:1024
	s_waitcnt lgkmcnt(0)
	v_fma_f64 v[20:21], v[20:21], v[10:11], v[8:9]
	v_fma_f64 v[4:5], v[22:23], v[10:11], v[4:5]
	ds_read2_b64 v[8:11], v16 offset0:32 offset1:48
	s_waitcnt lgkmcnt(0)
	v_fma_f64 v[28:29], v[8:9], v[26:27], v[28:29]
	v_fma_f64 v[24:25], v[10:11], v[26:27], v[24:25]
	;; [unrolled: 1-line block ×4, first 2 shown]
	ds_read_b128 v[8:11], v17 offset:16
	ds_read2_b64 v[20:23], v16 offset0:64 offset1:80
	s_waitcnt lgkmcnt(0)
	v_fma_f64 v[12:13], v[20:21], v[8:9], v[28:29]
	v_fma_f64 v[8:9], v[22:23], v[8:9], v[24:25]
	ds_read_b128 v[24:27], v17 offset:1040
	s_waitcnt lgkmcnt(0)
	v_fma_f64 v[28:29], v[20:21], v[24:25], v[30:31]
	v_fma_f64 v[4:5], v[22:23], v[24:25], v[4:5]
	ds_read2_b64 v[20:23], v16 offset0:96 offset1:112
	s_waitcnt lgkmcnt(0)
	v_fma_f64 v[12:13], v[20:21], v[10:11], v[12:13]
	v_fma_f64 v[24:25], v[22:23], v[10:11], v[8:9]
	;; [unrolled: 1-line block ×4, first 2 shown]
	ds_read2_b64 v[8:11], v16 offset0:128 offset1:144
	ds_read_b128 v[20:23], v17 offset:32
	s_waitcnt lgkmcnt(0)
	v_fma_f64 v[12:13], v[8:9], v[20:21], v[12:13]
	v_fma_f64 v[20:21], v[10:11], v[20:21], v[24:25]
	ds_read_b128 v[24:27], v17 offset:1056
	s_waitcnt lgkmcnt(0)
	v_fma_f64 v[28:29], v[8:9], v[24:25], v[28:29]
	v_fma_f64 v[4:5], v[10:11], v[24:25], v[4:5]
	ds_read2_b64 v[8:11], v16 offset0:160 offset1:176
	s_waitcnt lgkmcnt(0)
	v_fma_f64 v[12:13], v[8:9], v[22:23], v[12:13]
	v_fma_f64 v[24:25], v[10:11], v[22:23], v[20:21]
	;; [unrolled: 1-line block ×4, first 2 shown]
	ds_read_b128 v[8:11], v17 offset:48
	ds_read2_b64 v[20:23], v16 offset0:192 offset1:208
	s_waitcnt lgkmcnt(0)
	v_fma_f64 v[12:13], v[20:21], v[8:9], v[12:13]
	v_fma_f64 v[8:9], v[22:23], v[8:9], v[24:25]
	ds_read_b128 v[24:27], v17 offset:1072
	s_waitcnt lgkmcnt(0)
	v_fma_f64 v[28:29], v[20:21], v[24:25], v[28:29]
	v_fma_f64 v[4:5], v[22:23], v[24:25], v[4:5]
	ds_read2_b64 v[20:23], v16 offset0:224 offset1:240
	s_waitcnt lgkmcnt(0)
	s_barrier
	v_fma_f64 v[12:13], v[20:21], v[10:11], v[12:13]
	v_fma_f64 v[10:11], v[22:23], v[10:11], v[8:9]
	;; [unrolled: 1-line block ×4, first 2 shown]
	s_cbranch_scc0 .LBB102_2
	s_branch .LBB102_4
.LBB102_3:
	v_mov_b32_e32 v12, 0
	v_mov_b32_e32 v10, 0
	;; [unrolled: 1-line block ×8, first 2 shown]
.LBB102_4:
	s_load_dwordx2 s[0:1], s[4:5], 0x48
	s_load_dword s6, s[4:5], 0x40
	v_add_u32_e32 v6, s16, v1
	v_add_u32_e32 v0, s9, v0
	v_cmp_gt_i32_e32 vcc, s10, v6
	s_waitcnt lgkmcnt(0)
	s_mul_i32 s1, s1, s8
	v_mad_i64_i32 v[1:2], s[12:13], v6, s6, 0
	s_mul_hi_u32 s4, s0, s8
	s_mul_i32 s0, s0, s8
	s_add_i32 s1, s4, s1
	s_lshl_b64 s[0:1], s[0:1], 3
	s_add_u32 s4, s2, s0
	v_lshlrev_b64 v[1:2], 3, v[1:2]
	s_addc_u32 s5, s3, s1
	v_mov_b32_e32 v3, s5
	v_add_co_u32_e64 v7, s[0:1], s4, v1
	v_addc_co_u32_e64 v14, s[0:1], v3, v2, s[0:1]
	v_cmp_le_i32_e64 s[0:1], v0, v6
	s_and_b64 s[0:1], vcc, s[0:1]
	s_and_saveexec_b64 s[2:3], s[0:1]
	s_cbranch_execz .LBB102_6
; %bb.5:
	v_ashrrev_i32_e32 v1, 31, v0
	v_lshlrev_b64 v[1:2], 3, v[0:1]
	v_xor_b32_e32 v13, 0x80000000, v13
	v_add_co_u32_e64 v1, s[0:1], v7, v1
	v_addc_co_u32_e64 v2, s[0:1], v14, v2, s[0:1]
	global_store_dwordx2 v[1:2], v[12:13], off
.LBB102_6:
	s_or_b64 exec, exec, s[2:3]
	v_add_u32_e32 v2, 16, v0
	v_cmp_le_i32_e64 s[0:1], v2, v6
	s_and_b64 s[2:3], vcc, s[0:1]
	s_and_saveexec_b64 s[0:1], s[2:3]
	s_cbranch_execz .LBB102_8
; %bb.7:
	v_ashrrev_i32_e32 v3, 31, v2
	v_lshlrev_b64 v[12:13], 3, v[2:3]
	v_xor_b32_e32 v11, 0x80000000, v11
	v_add_co_u32_e32 v12, vcc, v7, v12
	v_addc_co_u32_e32 v13, vcc, v14, v13, vcc
	global_store_dwordx2 v[12:13], v[10:11], off
.LBB102_8:
	s_or_b64 exec, exec, s[0:1]
	v_add_u32_e32 v3, 16, v6
	v_mad_i64_i32 v[6:7], s[0:1], v3, s6, 0
	v_mov_b32_e32 v1, s5
	v_cmp_gt_i32_e32 vcc, s10, v3
	v_lshlrev_b64 v[6:7], 3, v[6:7]
	v_add_co_u32_e64 v6, s[0:1], s4, v6
	v_addc_co_u32_e64 v7, s[0:1], v1, v7, s[0:1]
	v_cmp_le_i32_e64 s[0:1], v0, v3
	s_and_b64 s[0:1], vcc, s[0:1]
	s_and_saveexec_b64 s[2:3], s[0:1]
	s_cbranch_execz .LBB102_10
; %bb.9:
	v_ashrrev_i32_e32 v1, 31, v0
	v_lshlrev_b64 v[0:1], 3, v[0:1]
	v_xor_b32_e32 v9, 0x80000000, v9
	v_add_co_u32_e64 v0, s[0:1], v6, v0
	v_addc_co_u32_e64 v1, s[0:1], v7, v1, s[0:1]
	global_store_dwordx2 v[0:1], v[8:9], off
.LBB102_10:
	s_or_b64 exec, exec, s[2:3]
	v_cmp_le_i32_e64 s[0:1], v2, v3
	s_and_b64 s[0:1], vcc, s[0:1]
	s_and_saveexec_b64 s[2:3], s[0:1]
	s_cbranch_execz .LBB102_12
; %bb.11:
	v_ashrrev_i32_e32 v3, 31, v2
	v_lshlrev_b64 v[0:1], 3, v[2:3]
	v_xor_b32_e32 v5, 0x80000000, v5
	v_add_co_u32_e32 v0, vcc, v6, v0
	v_addc_co_u32_e32 v1, vcc, v7, v1, vcc
	global_store_dwordx2 v[0:1], v[4:5], off
.LBB102_12:
	s_endpgm
	.section	.rodata,"a",@progbits
	.p2align	6, 0x0
	.amdhsa_kernel _ZL37rocblas_syrkx_herkx_restricted_kernelIidLi16ELi32ELi8ELin1ELi0ELb0ELc78ELc85EKddEviT_PT9_S1_lS3_S1_lPT10_S1_li
		.amdhsa_group_segment_fixed_size 4096
		.amdhsa_private_segment_fixed_size 0
		.amdhsa_kernarg_size 84
		.amdhsa_user_sgpr_count 6
		.amdhsa_user_sgpr_private_segment_buffer 1
		.amdhsa_user_sgpr_dispatch_ptr 0
		.amdhsa_user_sgpr_queue_ptr 0
		.amdhsa_user_sgpr_kernarg_segment_ptr 1
		.amdhsa_user_sgpr_dispatch_id 0
		.amdhsa_user_sgpr_flat_scratch_init 0
		.amdhsa_user_sgpr_private_segment_size 0
		.amdhsa_uses_dynamic_stack 0
		.amdhsa_system_sgpr_private_segment_wavefront_offset 0
		.amdhsa_system_sgpr_workgroup_id_x 1
		.amdhsa_system_sgpr_workgroup_id_y 1
		.amdhsa_system_sgpr_workgroup_id_z 1
		.amdhsa_system_sgpr_workgroup_info 0
		.amdhsa_system_vgpr_workitem_id 1
		.amdhsa_next_free_vgpr 32
		.amdhsa_next_free_sgpr 25
		.amdhsa_reserve_vcc 1
		.amdhsa_reserve_flat_scratch 0
		.amdhsa_float_round_mode_32 0
		.amdhsa_float_round_mode_16_64 0
		.amdhsa_float_denorm_mode_32 3
		.amdhsa_float_denorm_mode_16_64 3
		.amdhsa_dx10_clamp 1
		.amdhsa_ieee_mode 1
		.amdhsa_fp16_overflow 0
		.amdhsa_exception_fp_ieee_invalid_op 0
		.amdhsa_exception_fp_denorm_src 0
		.amdhsa_exception_fp_ieee_div_zero 0
		.amdhsa_exception_fp_ieee_overflow 0
		.amdhsa_exception_fp_ieee_underflow 0
		.amdhsa_exception_fp_ieee_inexact 0
		.amdhsa_exception_int_div_zero 0
	.end_amdhsa_kernel
	.section	.text._ZL37rocblas_syrkx_herkx_restricted_kernelIidLi16ELi32ELi8ELin1ELi0ELb0ELc78ELc85EKddEviT_PT9_S1_lS3_S1_lPT10_S1_li,"axG",@progbits,_ZL37rocblas_syrkx_herkx_restricted_kernelIidLi16ELi32ELi8ELin1ELi0ELb0ELc78ELc85EKddEviT_PT9_S1_lS3_S1_lPT10_S1_li,comdat
.Lfunc_end102:
	.size	_ZL37rocblas_syrkx_herkx_restricted_kernelIidLi16ELi32ELi8ELin1ELi0ELb0ELc78ELc85EKddEviT_PT9_S1_lS3_S1_lPT10_S1_li, .Lfunc_end102-_ZL37rocblas_syrkx_herkx_restricted_kernelIidLi16ELi32ELi8ELin1ELi0ELb0ELc78ELc85EKddEviT_PT9_S1_lS3_S1_lPT10_S1_li
                                        ; -- End function
	.set _ZL37rocblas_syrkx_herkx_restricted_kernelIidLi16ELi32ELi8ELin1ELi0ELb0ELc78ELc85EKddEviT_PT9_S1_lS3_S1_lPT10_S1_li.num_vgpr, 32
	.set _ZL37rocblas_syrkx_herkx_restricted_kernelIidLi16ELi32ELi8ELin1ELi0ELb0ELc78ELc85EKddEviT_PT9_S1_lS3_S1_lPT10_S1_li.num_agpr, 0
	.set _ZL37rocblas_syrkx_herkx_restricted_kernelIidLi16ELi32ELi8ELin1ELi0ELb0ELc78ELc85EKddEviT_PT9_S1_lS3_S1_lPT10_S1_li.numbered_sgpr, 25
	.set _ZL37rocblas_syrkx_herkx_restricted_kernelIidLi16ELi32ELi8ELin1ELi0ELb0ELc78ELc85EKddEviT_PT9_S1_lS3_S1_lPT10_S1_li.num_named_barrier, 0
	.set _ZL37rocblas_syrkx_herkx_restricted_kernelIidLi16ELi32ELi8ELin1ELi0ELb0ELc78ELc85EKddEviT_PT9_S1_lS3_S1_lPT10_S1_li.private_seg_size, 0
	.set _ZL37rocblas_syrkx_herkx_restricted_kernelIidLi16ELi32ELi8ELin1ELi0ELb0ELc78ELc85EKddEviT_PT9_S1_lS3_S1_lPT10_S1_li.uses_vcc, 1
	.set _ZL37rocblas_syrkx_herkx_restricted_kernelIidLi16ELi32ELi8ELin1ELi0ELb0ELc78ELc85EKddEviT_PT9_S1_lS3_S1_lPT10_S1_li.uses_flat_scratch, 0
	.set _ZL37rocblas_syrkx_herkx_restricted_kernelIidLi16ELi32ELi8ELin1ELi0ELb0ELc78ELc85EKddEviT_PT9_S1_lS3_S1_lPT10_S1_li.has_dyn_sized_stack, 0
	.set _ZL37rocblas_syrkx_herkx_restricted_kernelIidLi16ELi32ELi8ELin1ELi0ELb0ELc78ELc85EKddEviT_PT9_S1_lS3_S1_lPT10_S1_li.has_recursion, 0
	.set _ZL37rocblas_syrkx_herkx_restricted_kernelIidLi16ELi32ELi8ELin1ELi0ELb0ELc78ELc85EKddEviT_PT9_S1_lS3_S1_lPT10_S1_li.has_indirect_call, 0
	.section	.AMDGPU.csdata,"",@progbits
; Kernel info:
; codeLenInByte = 1292
; TotalNumSgprs: 29
; NumVgprs: 32
; ScratchSize: 0
; MemoryBound: 0
; FloatMode: 240
; IeeeMode: 1
; LDSByteSize: 4096 bytes/workgroup (compile time only)
; SGPRBlocks: 3
; VGPRBlocks: 7
; NumSGPRsForWavesPerEU: 29
; NumVGPRsForWavesPerEU: 32
; Occupancy: 8
; WaveLimiterHint : 0
; COMPUTE_PGM_RSRC2:SCRATCH_EN: 0
; COMPUTE_PGM_RSRC2:USER_SGPR: 6
; COMPUTE_PGM_RSRC2:TRAP_HANDLER: 0
; COMPUTE_PGM_RSRC2:TGID_X_EN: 1
; COMPUTE_PGM_RSRC2:TGID_Y_EN: 1
; COMPUTE_PGM_RSRC2:TGID_Z_EN: 1
; COMPUTE_PGM_RSRC2:TIDIG_COMP_CNT: 1
	.section	.text._ZL37rocblas_syrkx_herkx_restricted_kernelIidLi16ELi32ELi8ELb1ELb0ELc84ELc76EKddEviT_T0_PT8_S1_lS4_S1_lS2_PT9_S1_li,"axG",@progbits,_ZL37rocblas_syrkx_herkx_restricted_kernelIidLi16ELi32ELi8ELb1ELb0ELc84ELc76EKddEviT_T0_PT8_S1_lS4_S1_lS2_PT9_S1_li,comdat
	.globl	_ZL37rocblas_syrkx_herkx_restricted_kernelIidLi16ELi32ELi8ELb1ELb0ELc84ELc76EKddEviT_T0_PT8_S1_lS4_S1_lS2_PT9_S1_li ; -- Begin function _ZL37rocblas_syrkx_herkx_restricted_kernelIidLi16ELi32ELi8ELb1ELb0ELc84ELc76EKddEviT_T0_PT8_S1_lS4_S1_lS2_PT9_S1_li
	.p2align	8
	.type	_ZL37rocblas_syrkx_herkx_restricted_kernelIidLi16ELi32ELi8ELb1ELb0ELc84ELc76EKddEviT_T0_PT8_S1_lS4_S1_lS2_PT9_S1_li,@function
_ZL37rocblas_syrkx_herkx_restricted_kernelIidLi16ELi32ELi8ELb1ELb0ELc84ELc76EKddEviT_T0_PT8_S1_lS4_S1_lS2_PT9_S1_li: ; @_ZL37rocblas_syrkx_herkx_restricted_kernelIidLi16ELi32ELi8ELb1ELb0ELc84ELc76EKddEviT_T0_PT8_S1_lS4_S1_lS2_PT9_S1_li
; %bb.0:
	s_load_dwordx2 s[10:11], s[4:5], 0x0
	s_load_dwordx4 s[12:15], s[4:5], 0x8
	s_lshl_b32 s6, s6, 5
	s_lshl_b32 s7, s7, 5
	s_mov_b32 s9, 0
	s_waitcnt lgkmcnt(0)
	s_cmp_lt_i32 s11, 1
	s_cbranch_scc1 .LBB103_3
; %bb.1:
	s_load_dword s20, s[4:5], 0x18
	s_load_dwordx4 s[0:3], s[4:5], 0x20
	s_load_dword s18, s[4:5], 0x30
	s_load_dwordx2 s[16:17], s[4:5], 0x38
	v_lshl_add_u32 v3, v1, 4, v0
	v_lshrrev_b32_e32 v6, 3, v3
	v_and_b32_e32 v7, 31, v3
	v_lshrrev_b32_e32 v4, 5, v3
	v_and_b32_e32 v2, 7, v0
	v_add_u32_e32 v8, s7, v6
	v_mov_b32_e32 v3, 0
	v_lshlrev_b32_e32 v9, 3, v7
	v_mov_b32_e32 v5, v3
	v_lshl_or_b32 v14, v4, 8, v9
	v_lshlrev_b32_e32 v9, 3, v2
	s_waitcnt lgkmcnt(0)
	v_mad_i64_i32 v[2:3], s[18:19], s18, v8, v[2:3]
	s_mul_i32 s17, s17, s8
	s_mul_hi_u32 s21, s16, s8
	s_add_i32 s17, s21, s17
	s_mul_i32 s16, s16, s8
	s_lshl_b64 s[16:17], s[16:17], 3
	v_lshlrev_b64 v[2:3], 3, v[2:3]
	s_add_u32 s2, s2, s16
	v_lshl_or_b32 v6, v6, 6, v9
	s_addc_u32 s3, s3, s17
	v_add_u32_e32 v15, 0x800, v6
	v_mov_b32_e32 v6, s3
	v_add_co_u32_e32 v2, vcc, s2, v2
	v_addc_co_u32_e32 v3, vcc, v6, v3, vcc
	v_add_u32_e32 v6, s6, v7
	v_mad_i64_i32 v[4:5], s[2:3], s20, v6, v[4:5]
	s_mul_i32 s1, s1, s8
	s_mul_hi_u32 s16, s0, s8
	s_add_i32 s1, s16, s1
	s_mul_i32 s0, s0, s8
	s_lshl_b64 s[0:1], s[0:1], 3
	v_lshlrev_b64 v[4:5], 3, v[4:5]
	s_add_u32 s0, s14, s0
	s_addc_u32 s1, s15, s1
	v_mov_b32_e32 v6, s1
	v_add_co_u32_e32 v4, vcc, s0, v4
	v_mov_b32_e32 v17, 0x800
	v_addc_co_u32_e32 v5, vcc, v6, v5, vcc
	v_mov_b32_e32 v6, 0
	v_mov_b32_e32 v8, 0
	v_mov_b32_e32 v10, 0
	v_mov_b32_e32 v12, 0
	v_lshlrev_b32_e32 v16, 3, v0
	v_mov_b32_e32 v7, 0
	v_mov_b32_e32 v9, 0
	;; [unrolled: 1-line block ×4, first 2 shown]
	v_lshl_add_u32 v17, v1, 6, v17
.LBB103_2:                              ; =>This Inner Loop Header: Depth=1
	global_load_dwordx2 v[18:19], v[4:5], off
	global_load_dwordx2 v[20:21], v[2:3], off
	s_add_i32 s9, s9, 8
	v_add_co_u32_e32 v2, vcc, 64, v2
	v_add_co_u32_e64 v4, s[0:1], 64, v4
	v_addc_co_u32_e32 v3, vcc, 0, v3, vcc
	v_addc_co_u32_e64 v5, vcc, 0, v5, s[0:1]
	s_cmp_ge_i32 s9, s11
	s_waitcnt vmcnt(1)
	ds_write_b64 v14, v[18:19]
	s_waitcnt vmcnt(0)
	ds_write_b64 v15, v[20:21]
	s_waitcnt lgkmcnt(0)
	s_barrier
	ds_read2_b64 v[18:21], v16 offset1:16
	ds_read_b128 v[22:25], v17
	s_waitcnt lgkmcnt(0)
	v_fma_f64 v[26:27], v[18:19], v[22:23], v[12:13]
	v_fma_f64 v[22:23], v[20:21], v[22:23], v[10:11]
	ds_read_b128 v[10:13], v17 offset:1024
	s_waitcnt lgkmcnt(0)
	v_fma_f64 v[18:19], v[18:19], v[10:11], v[8:9]
	v_fma_f64 v[10:11], v[20:21], v[10:11], v[6:7]
	ds_read2_b64 v[6:9], v16 offset0:32 offset1:48
	s_waitcnt lgkmcnt(0)
	v_fma_f64 v[20:21], v[6:7], v[24:25], v[26:27]
	v_fma_f64 v[22:23], v[8:9], v[24:25], v[22:23]
	;; [unrolled: 1-line block ×4, first 2 shown]
	ds_read_b128 v[6:9], v17 offset:16
	ds_read2_b64 v[10:13], v16 offset0:64 offset1:80
	s_waitcnt lgkmcnt(0)
	v_fma_f64 v[28:29], v[10:11], v[6:7], v[20:21]
	ds_read_b128 v[18:21], v17 offset:1040
	v_fma_f64 v[6:7], v[12:13], v[6:7], v[22:23]
	s_waitcnt lgkmcnt(0)
	v_fma_f64 v[22:23], v[10:11], v[18:19], v[24:25]
	v_fma_f64 v[18:19], v[12:13], v[18:19], v[26:27]
	ds_read2_b64 v[10:13], v16 offset0:96 offset1:112
	s_waitcnt lgkmcnt(0)
	v_fma_f64 v[24:25], v[10:11], v[8:9], v[28:29]
	v_fma_f64 v[26:27], v[12:13], v[8:9], v[6:7]
	;; [unrolled: 1-line block ×4, first 2 shown]
	ds_read2_b64 v[6:9], v16 offset0:128 offset1:144
	ds_read_b128 v[10:13], v17 offset:32
	ds_read_b128 v[18:21], v17 offset:1056
	s_waitcnt lgkmcnt(1)
	v_fma_f64 v[24:25], v[6:7], v[10:11], v[24:25]
	v_fma_f64 v[10:11], v[8:9], v[10:11], v[26:27]
	s_waitcnt lgkmcnt(0)
	v_fma_f64 v[22:23], v[6:7], v[18:19], v[22:23]
	v_fma_f64 v[18:19], v[8:9], v[18:19], v[28:29]
	ds_read2_b64 v[6:9], v16 offset0:160 offset1:176
	s_waitcnt lgkmcnt(0)
	v_fma_f64 v[24:25], v[6:7], v[12:13], v[24:25]
	v_fma_f64 v[26:27], v[8:9], v[12:13], v[10:11]
	;; [unrolled: 1-line block ×4, first 2 shown]
	ds_read_b128 v[6:9], v17 offset:48
	ds_read2_b64 v[10:13], v16 offset0:192 offset1:208
	ds_read_b128 v[18:21], v17 offset:1072
	s_waitcnt lgkmcnt(1)
	v_fma_f64 v[30:31], v[10:11], v[6:7], v[24:25]
	v_fma_f64 v[6:7], v[12:13], v[6:7], v[26:27]
	s_waitcnt lgkmcnt(0)
	v_fma_f64 v[26:27], v[10:11], v[18:19], v[22:23]
	v_fma_f64 v[18:19], v[12:13], v[18:19], v[28:29]
	ds_read2_b64 v[22:25], v16 offset0:224 offset1:240
	s_waitcnt lgkmcnt(0)
	s_barrier
	v_fma_f64 v[12:13], v[22:23], v[8:9], v[30:31]
	v_fma_f64 v[10:11], v[24:25], v[8:9], v[6:7]
	;; [unrolled: 1-line block ×4, first 2 shown]
	s_cbranch_scc0 .LBB103_2
	s_branch .LBB103_4
.LBB103_3:
	v_mov_b32_e32 v12, 0
	v_mov_b32_e32 v10, 0
	;; [unrolled: 1-line block ×8, first 2 shown]
.LBB103_4:
	s_load_dwordx2 s[0:1], s[4:5], 0x58
	s_load_dwordx2 s[2:3], s[4:5], 0x48
	s_load_dword s9, s[4:5], 0x50
	v_add_u32_e32 v4, s7, v1
	v_add_u32_e32 v0, s6, v0
	s_waitcnt lgkmcnt(0)
	s_mul_i32 s1, s1, s8
	s_mul_hi_u32 s4, s0, s8
	s_add_i32 s1, s4, s1
	v_mad_i64_i32 v[1:2], s[4:5], v4, s9, 0
	s_mul_i32 s0, s0, s8
	s_lshl_b64 s[0:1], s[0:1], 3
	s_add_u32 s7, s2, s0
	v_lshlrev_b64 v[1:2], 3, v[1:2]
	s_addc_u32 s8, s3, s1
	v_mov_b32_e32 v3, s8
	v_add_co_u32_e32 v5, vcc, s7, v1
	v_addc_co_u32_e32 v14, vcc, v3, v2, vcc
	v_cmp_le_i32_e64 s[0:1], v4, v0
	v_cmp_gt_i32_e32 vcc, s10, v0
	s_and_b64 s[0:1], s[0:1], vcc
	s_and_saveexec_b64 s[2:3], s[0:1]
	s_cbranch_execz .LBB103_6
; %bb.5:
	v_mul_f64 v[2:3], s[12:13], v[12:13]
	v_ashrrev_i32_e32 v1, 31, v0
	v_lshlrev_b64 v[12:13], 3, v[0:1]
	v_add_co_u32_e64 v12, s[0:1], v5, v12
	v_addc_co_u32_e64 v13, s[0:1], v14, v13, s[0:1]
	global_store_dwordx2 v[12:13], v[2:3], off
.LBB103_6:
	s_or_b64 exec, exec, s[2:3]
	v_add_u32_e32 v2, 16, v0
	v_cmp_le_i32_e64 s[2:3], v4, v2
	v_cmp_gt_i32_e64 s[0:1], s10, v2
	s_and_b64 s[2:3], s[2:3], s[0:1]
	s_and_saveexec_b64 s[4:5], s[2:3]
	s_cbranch_execz .LBB103_8
; %bb.7:
	v_mul_f64 v[10:11], s[12:13], v[10:11]
	v_ashrrev_i32_e32 v3, 31, v2
	v_lshlrev_b64 v[12:13], 3, v[2:3]
	v_add_co_u32_e64 v12, s[2:3], v5, v12
	v_addc_co_u32_e64 v13, s[2:3], v14, v13, s[2:3]
	global_store_dwordx2 v[12:13], v[10:11], off
.LBB103_8:
	s_or_b64 exec, exec, s[4:5]
	v_add_u32_e32 v3, 16, v4
	v_mad_i64_i32 v[4:5], s[2:3], v3, s9, 0
	v_mov_b32_e32 v1, s8
	v_lshlrev_b64 v[4:5], 3, v[4:5]
	v_add_co_u32_e64 v4, s[2:3], s7, v4
	v_addc_co_u32_e64 v5, s[2:3], v1, v5, s[2:3]
	v_cmp_le_i32_e64 s[2:3], v3, v0
	s_and_b64 s[4:5], s[2:3], vcc
	s_and_saveexec_b64 s[2:3], s[4:5]
	s_cbranch_execz .LBB103_10
; %bb.9:
	v_mul_f64 v[8:9], s[12:13], v[8:9]
	v_ashrrev_i32_e32 v1, 31, v0
	v_lshlrev_b64 v[0:1], 3, v[0:1]
	v_add_co_u32_e32 v0, vcc, v4, v0
	v_addc_co_u32_e32 v1, vcc, v5, v1, vcc
	global_store_dwordx2 v[0:1], v[8:9], off
.LBB103_10:
	s_or_b64 exec, exec, s[2:3]
	v_cmp_le_i32_e32 vcc, v3, v2
	s_and_b64 s[0:1], vcc, s[0:1]
	s_and_saveexec_b64 s[2:3], s[0:1]
	s_cbranch_execz .LBB103_12
; %bb.11:
	v_mul_f64 v[0:1], s[12:13], v[6:7]
	v_ashrrev_i32_e32 v3, 31, v2
	v_lshlrev_b64 v[2:3], 3, v[2:3]
	v_add_co_u32_e32 v2, vcc, v4, v2
	v_addc_co_u32_e32 v3, vcc, v5, v3, vcc
	global_store_dwordx2 v[2:3], v[0:1], off
.LBB103_12:
	s_endpgm
	.section	.rodata,"a",@progbits
	.p2align	6, 0x0
	.amdhsa_kernel _ZL37rocblas_syrkx_herkx_restricted_kernelIidLi16ELi32ELi8ELb1ELb0ELc84ELc76EKddEviT_T0_PT8_S1_lS4_S1_lS2_PT9_S1_li
		.amdhsa_group_segment_fixed_size 4096
		.amdhsa_private_segment_fixed_size 0
		.amdhsa_kernarg_size 100
		.amdhsa_user_sgpr_count 6
		.amdhsa_user_sgpr_private_segment_buffer 1
		.amdhsa_user_sgpr_dispatch_ptr 0
		.amdhsa_user_sgpr_queue_ptr 0
		.amdhsa_user_sgpr_kernarg_segment_ptr 1
		.amdhsa_user_sgpr_dispatch_id 0
		.amdhsa_user_sgpr_flat_scratch_init 0
		.amdhsa_user_sgpr_private_segment_size 0
		.amdhsa_uses_dynamic_stack 0
		.amdhsa_system_sgpr_private_segment_wavefront_offset 0
		.amdhsa_system_sgpr_workgroup_id_x 1
		.amdhsa_system_sgpr_workgroup_id_y 1
		.amdhsa_system_sgpr_workgroup_id_z 1
		.amdhsa_system_sgpr_workgroup_info 0
		.amdhsa_system_vgpr_workitem_id 1
		.amdhsa_next_free_vgpr 32
		.amdhsa_next_free_sgpr 22
		.amdhsa_reserve_vcc 1
		.amdhsa_reserve_flat_scratch 0
		.amdhsa_float_round_mode_32 0
		.amdhsa_float_round_mode_16_64 0
		.amdhsa_float_denorm_mode_32 3
		.amdhsa_float_denorm_mode_16_64 3
		.amdhsa_dx10_clamp 1
		.amdhsa_ieee_mode 1
		.amdhsa_fp16_overflow 0
		.amdhsa_exception_fp_ieee_invalid_op 0
		.amdhsa_exception_fp_denorm_src 0
		.amdhsa_exception_fp_ieee_div_zero 0
		.amdhsa_exception_fp_ieee_overflow 0
		.amdhsa_exception_fp_ieee_underflow 0
		.amdhsa_exception_fp_ieee_inexact 0
		.amdhsa_exception_int_div_zero 0
	.end_amdhsa_kernel
	.section	.text._ZL37rocblas_syrkx_herkx_restricted_kernelIidLi16ELi32ELi8ELb1ELb0ELc84ELc76EKddEviT_T0_PT8_S1_lS4_S1_lS2_PT9_S1_li,"axG",@progbits,_ZL37rocblas_syrkx_herkx_restricted_kernelIidLi16ELi32ELi8ELb1ELb0ELc84ELc76EKddEviT_T0_PT8_S1_lS4_S1_lS2_PT9_S1_li,comdat
.Lfunc_end103:
	.size	_ZL37rocblas_syrkx_herkx_restricted_kernelIidLi16ELi32ELi8ELb1ELb0ELc84ELc76EKddEviT_T0_PT8_S1_lS4_S1_lS2_PT9_S1_li, .Lfunc_end103-_ZL37rocblas_syrkx_herkx_restricted_kernelIidLi16ELi32ELi8ELb1ELb0ELc84ELc76EKddEviT_T0_PT8_S1_lS4_S1_lS2_PT9_S1_li
                                        ; -- End function
	.set _ZL37rocblas_syrkx_herkx_restricted_kernelIidLi16ELi32ELi8ELb1ELb0ELc84ELc76EKddEviT_T0_PT8_S1_lS4_S1_lS2_PT9_S1_li.num_vgpr, 32
	.set _ZL37rocblas_syrkx_herkx_restricted_kernelIidLi16ELi32ELi8ELb1ELb0ELc84ELc76EKddEviT_T0_PT8_S1_lS4_S1_lS2_PT9_S1_li.num_agpr, 0
	.set _ZL37rocblas_syrkx_herkx_restricted_kernelIidLi16ELi32ELi8ELb1ELb0ELc84ELc76EKddEviT_T0_PT8_S1_lS4_S1_lS2_PT9_S1_li.numbered_sgpr, 22
	.set _ZL37rocblas_syrkx_herkx_restricted_kernelIidLi16ELi32ELi8ELb1ELb0ELc84ELc76EKddEviT_T0_PT8_S1_lS4_S1_lS2_PT9_S1_li.num_named_barrier, 0
	.set _ZL37rocblas_syrkx_herkx_restricted_kernelIidLi16ELi32ELi8ELb1ELb0ELc84ELc76EKddEviT_T0_PT8_S1_lS4_S1_lS2_PT9_S1_li.private_seg_size, 0
	.set _ZL37rocblas_syrkx_herkx_restricted_kernelIidLi16ELi32ELi8ELb1ELb0ELc84ELc76EKddEviT_T0_PT8_S1_lS4_S1_lS2_PT9_S1_li.uses_vcc, 1
	.set _ZL37rocblas_syrkx_herkx_restricted_kernelIidLi16ELi32ELi8ELb1ELb0ELc84ELc76EKddEviT_T0_PT8_S1_lS4_S1_lS2_PT9_S1_li.uses_flat_scratch, 0
	.set _ZL37rocblas_syrkx_herkx_restricted_kernelIidLi16ELi32ELi8ELb1ELb0ELc84ELc76EKddEviT_T0_PT8_S1_lS4_S1_lS2_PT9_S1_li.has_dyn_sized_stack, 0
	.set _ZL37rocblas_syrkx_herkx_restricted_kernelIidLi16ELi32ELi8ELb1ELb0ELc84ELc76EKddEviT_T0_PT8_S1_lS4_S1_lS2_PT9_S1_li.has_recursion, 0
	.set _ZL37rocblas_syrkx_herkx_restricted_kernelIidLi16ELi32ELi8ELb1ELb0ELc84ELc76EKddEviT_T0_PT8_S1_lS4_S1_lS2_PT9_S1_li.has_indirect_call, 0
	.section	.AMDGPU.csdata,"",@progbits
; Kernel info:
; codeLenInByte = 1268
; TotalNumSgprs: 26
; NumVgprs: 32
; ScratchSize: 0
; MemoryBound: 0
; FloatMode: 240
; IeeeMode: 1
; LDSByteSize: 4096 bytes/workgroup (compile time only)
; SGPRBlocks: 3
; VGPRBlocks: 7
; NumSGPRsForWavesPerEU: 26
; NumVGPRsForWavesPerEU: 32
; Occupancy: 8
; WaveLimiterHint : 0
; COMPUTE_PGM_RSRC2:SCRATCH_EN: 0
; COMPUTE_PGM_RSRC2:USER_SGPR: 6
; COMPUTE_PGM_RSRC2:TRAP_HANDLER: 0
; COMPUTE_PGM_RSRC2:TGID_X_EN: 1
; COMPUTE_PGM_RSRC2:TGID_Y_EN: 1
; COMPUTE_PGM_RSRC2:TGID_Z_EN: 1
; COMPUTE_PGM_RSRC2:TIDIG_COMP_CNT: 1
	.section	.text._ZL37rocblas_syrkx_herkx_restricted_kernelIidLi16ELi32ELi8ELb1ELb0ELc67ELc76EKddEviT_T0_PT8_S1_lS4_S1_lS2_PT9_S1_li,"axG",@progbits,_ZL37rocblas_syrkx_herkx_restricted_kernelIidLi16ELi32ELi8ELb1ELb0ELc67ELc76EKddEviT_T0_PT8_S1_lS4_S1_lS2_PT9_S1_li,comdat
	.globl	_ZL37rocblas_syrkx_herkx_restricted_kernelIidLi16ELi32ELi8ELb1ELb0ELc67ELc76EKddEviT_T0_PT8_S1_lS4_S1_lS2_PT9_S1_li ; -- Begin function _ZL37rocblas_syrkx_herkx_restricted_kernelIidLi16ELi32ELi8ELb1ELb0ELc67ELc76EKddEviT_T0_PT8_S1_lS4_S1_lS2_PT9_S1_li
	.p2align	8
	.type	_ZL37rocblas_syrkx_herkx_restricted_kernelIidLi16ELi32ELi8ELb1ELb0ELc67ELc76EKddEviT_T0_PT8_S1_lS4_S1_lS2_PT9_S1_li,@function
_ZL37rocblas_syrkx_herkx_restricted_kernelIidLi16ELi32ELi8ELb1ELb0ELc67ELc76EKddEviT_T0_PT8_S1_lS4_S1_lS2_PT9_S1_li: ; @_ZL37rocblas_syrkx_herkx_restricted_kernelIidLi16ELi32ELi8ELb1ELb0ELc67ELc76EKddEviT_T0_PT8_S1_lS4_S1_lS2_PT9_S1_li
; %bb.0:
	s_load_dwordx2 s[10:11], s[4:5], 0x0
	s_load_dwordx4 s[12:15], s[4:5], 0x8
	s_lshl_b32 s6, s6, 5
	s_lshl_b32 s7, s7, 5
	s_mov_b32 s9, 0
	s_waitcnt lgkmcnt(0)
	s_cmp_lt_i32 s11, 1
	s_cbranch_scc1 .LBB104_3
; %bb.1:
	s_load_dword s20, s[4:5], 0x18
	s_load_dwordx4 s[0:3], s[4:5], 0x20
	s_load_dword s18, s[4:5], 0x30
	s_load_dwordx2 s[16:17], s[4:5], 0x38
	v_lshl_add_u32 v3, v1, 4, v0
	v_lshrrev_b32_e32 v6, 3, v3
	v_and_b32_e32 v7, 31, v3
	v_lshrrev_b32_e32 v4, 5, v3
	v_and_b32_e32 v2, 7, v0
	v_add_u32_e32 v8, s7, v6
	v_mov_b32_e32 v3, 0
	v_lshlrev_b32_e32 v9, 3, v7
	v_mov_b32_e32 v5, v3
	v_lshl_or_b32 v14, v4, 8, v9
	v_lshlrev_b32_e32 v9, 3, v2
	s_waitcnt lgkmcnt(0)
	v_mad_i64_i32 v[2:3], s[18:19], s18, v8, v[2:3]
	s_mul_i32 s17, s17, s8
	s_mul_hi_u32 s21, s16, s8
	s_add_i32 s17, s21, s17
	s_mul_i32 s16, s16, s8
	s_lshl_b64 s[16:17], s[16:17], 3
	v_lshlrev_b64 v[2:3], 3, v[2:3]
	s_add_u32 s2, s2, s16
	v_lshl_or_b32 v6, v6, 6, v9
	s_addc_u32 s3, s3, s17
	v_add_u32_e32 v15, 0x800, v6
	v_mov_b32_e32 v6, s3
	v_add_co_u32_e32 v2, vcc, s2, v2
	v_addc_co_u32_e32 v3, vcc, v6, v3, vcc
	v_add_u32_e32 v6, s6, v7
	v_mad_i64_i32 v[4:5], s[2:3], s20, v6, v[4:5]
	s_mul_i32 s1, s1, s8
	s_mul_hi_u32 s16, s0, s8
	s_add_i32 s1, s16, s1
	s_mul_i32 s0, s0, s8
	s_lshl_b64 s[0:1], s[0:1], 3
	v_lshlrev_b64 v[4:5], 3, v[4:5]
	s_add_u32 s0, s14, s0
	s_addc_u32 s1, s15, s1
	v_mov_b32_e32 v6, s1
	v_add_co_u32_e32 v4, vcc, s0, v4
	v_mov_b32_e32 v17, 0x800
	v_addc_co_u32_e32 v5, vcc, v6, v5, vcc
	v_mov_b32_e32 v6, 0
	v_mov_b32_e32 v8, 0
	v_mov_b32_e32 v10, 0
	v_mov_b32_e32 v12, 0
	v_lshlrev_b32_e32 v16, 3, v0
	v_mov_b32_e32 v7, 0
	v_mov_b32_e32 v9, 0
	;; [unrolled: 1-line block ×4, first 2 shown]
	v_lshl_add_u32 v17, v1, 6, v17
.LBB104_2:                              ; =>This Inner Loop Header: Depth=1
	global_load_dwordx2 v[18:19], v[4:5], off
	global_load_dwordx2 v[20:21], v[2:3], off
	s_add_i32 s9, s9, 8
	v_add_co_u32_e32 v2, vcc, 64, v2
	v_add_co_u32_e64 v4, s[0:1], 64, v4
	v_addc_co_u32_e32 v3, vcc, 0, v3, vcc
	v_addc_co_u32_e64 v5, vcc, 0, v5, s[0:1]
	s_cmp_ge_i32 s9, s11
	s_waitcnt vmcnt(1)
	ds_write_b64 v14, v[18:19]
	s_waitcnt vmcnt(0)
	ds_write_b64 v15, v[20:21]
	s_waitcnt lgkmcnt(0)
	s_barrier
	ds_read2_b64 v[18:21], v16 offset1:16
	ds_read_b128 v[22:25], v17
	s_waitcnt lgkmcnt(0)
	v_fma_f64 v[26:27], v[18:19], v[22:23], v[12:13]
	v_fma_f64 v[22:23], v[20:21], v[22:23], v[10:11]
	ds_read_b128 v[10:13], v17 offset:1024
	s_waitcnt lgkmcnt(0)
	v_fma_f64 v[18:19], v[18:19], v[10:11], v[8:9]
	v_fma_f64 v[10:11], v[20:21], v[10:11], v[6:7]
	ds_read2_b64 v[6:9], v16 offset0:32 offset1:48
	s_waitcnt lgkmcnt(0)
	v_fma_f64 v[20:21], v[6:7], v[24:25], v[26:27]
	v_fma_f64 v[22:23], v[8:9], v[24:25], v[22:23]
	;; [unrolled: 1-line block ×4, first 2 shown]
	ds_read_b128 v[6:9], v17 offset:16
	ds_read2_b64 v[10:13], v16 offset0:64 offset1:80
	s_waitcnt lgkmcnt(0)
	v_fma_f64 v[28:29], v[10:11], v[6:7], v[20:21]
	ds_read_b128 v[18:21], v17 offset:1040
	v_fma_f64 v[6:7], v[12:13], v[6:7], v[22:23]
	s_waitcnt lgkmcnt(0)
	v_fma_f64 v[22:23], v[10:11], v[18:19], v[24:25]
	v_fma_f64 v[18:19], v[12:13], v[18:19], v[26:27]
	ds_read2_b64 v[10:13], v16 offset0:96 offset1:112
	s_waitcnt lgkmcnt(0)
	v_fma_f64 v[24:25], v[10:11], v[8:9], v[28:29]
	v_fma_f64 v[26:27], v[12:13], v[8:9], v[6:7]
	;; [unrolled: 1-line block ×4, first 2 shown]
	ds_read2_b64 v[6:9], v16 offset0:128 offset1:144
	ds_read_b128 v[10:13], v17 offset:32
	ds_read_b128 v[18:21], v17 offset:1056
	s_waitcnt lgkmcnt(1)
	v_fma_f64 v[24:25], v[6:7], v[10:11], v[24:25]
	v_fma_f64 v[10:11], v[8:9], v[10:11], v[26:27]
	s_waitcnt lgkmcnt(0)
	v_fma_f64 v[22:23], v[6:7], v[18:19], v[22:23]
	v_fma_f64 v[18:19], v[8:9], v[18:19], v[28:29]
	ds_read2_b64 v[6:9], v16 offset0:160 offset1:176
	s_waitcnt lgkmcnt(0)
	v_fma_f64 v[24:25], v[6:7], v[12:13], v[24:25]
	v_fma_f64 v[26:27], v[8:9], v[12:13], v[10:11]
	;; [unrolled: 1-line block ×4, first 2 shown]
	ds_read_b128 v[6:9], v17 offset:48
	ds_read2_b64 v[10:13], v16 offset0:192 offset1:208
	ds_read_b128 v[18:21], v17 offset:1072
	s_waitcnt lgkmcnt(1)
	v_fma_f64 v[30:31], v[10:11], v[6:7], v[24:25]
	v_fma_f64 v[6:7], v[12:13], v[6:7], v[26:27]
	s_waitcnt lgkmcnt(0)
	v_fma_f64 v[26:27], v[10:11], v[18:19], v[22:23]
	v_fma_f64 v[18:19], v[12:13], v[18:19], v[28:29]
	ds_read2_b64 v[22:25], v16 offset0:224 offset1:240
	s_waitcnt lgkmcnt(0)
	s_barrier
	v_fma_f64 v[12:13], v[22:23], v[8:9], v[30:31]
	v_fma_f64 v[10:11], v[24:25], v[8:9], v[6:7]
	v_fma_f64 v[8:9], v[22:23], v[20:21], v[26:27]
	v_fma_f64 v[6:7], v[24:25], v[20:21], v[18:19]
	s_cbranch_scc0 .LBB104_2
	s_branch .LBB104_4
.LBB104_3:
	v_mov_b32_e32 v12, 0
	v_mov_b32_e32 v10, 0
	;; [unrolled: 1-line block ×8, first 2 shown]
.LBB104_4:
	s_load_dwordx2 s[0:1], s[4:5], 0x58
	s_load_dwordx2 s[2:3], s[4:5], 0x48
	s_load_dword s9, s[4:5], 0x50
	v_add_u32_e32 v4, s7, v1
	v_add_u32_e32 v0, s6, v0
	s_waitcnt lgkmcnt(0)
	s_mul_i32 s1, s1, s8
	s_mul_hi_u32 s4, s0, s8
	s_add_i32 s1, s4, s1
	v_mad_i64_i32 v[1:2], s[4:5], v4, s9, 0
	s_mul_i32 s0, s0, s8
	s_lshl_b64 s[0:1], s[0:1], 3
	s_add_u32 s7, s2, s0
	v_lshlrev_b64 v[1:2], 3, v[1:2]
	s_addc_u32 s8, s3, s1
	v_mov_b32_e32 v3, s8
	v_add_co_u32_e32 v5, vcc, s7, v1
	v_addc_co_u32_e32 v14, vcc, v3, v2, vcc
	v_cmp_le_i32_e64 s[0:1], v4, v0
	v_cmp_gt_i32_e32 vcc, s10, v0
	s_and_b64 s[0:1], s[0:1], vcc
	s_and_saveexec_b64 s[2:3], s[0:1]
	s_cbranch_execz .LBB104_6
; %bb.5:
	v_mul_f64 v[2:3], s[12:13], v[12:13]
	v_ashrrev_i32_e32 v1, 31, v0
	v_lshlrev_b64 v[12:13], 3, v[0:1]
	v_add_co_u32_e64 v12, s[0:1], v5, v12
	v_addc_co_u32_e64 v13, s[0:1], v14, v13, s[0:1]
	global_store_dwordx2 v[12:13], v[2:3], off
.LBB104_6:
	s_or_b64 exec, exec, s[2:3]
	v_add_u32_e32 v2, 16, v0
	v_cmp_le_i32_e64 s[2:3], v4, v2
	v_cmp_gt_i32_e64 s[0:1], s10, v2
	s_and_b64 s[2:3], s[2:3], s[0:1]
	s_and_saveexec_b64 s[4:5], s[2:3]
	s_cbranch_execz .LBB104_8
; %bb.7:
	v_mul_f64 v[10:11], s[12:13], v[10:11]
	v_ashrrev_i32_e32 v3, 31, v2
	v_lshlrev_b64 v[12:13], 3, v[2:3]
	v_add_co_u32_e64 v12, s[2:3], v5, v12
	v_addc_co_u32_e64 v13, s[2:3], v14, v13, s[2:3]
	global_store_dwordx2 v[12:13], v[10:11], off
.LBB104_8:
	s_or_b64 exec, exec, s[4:5]
	v_add_u32_e32 v3, 16, v4
	v_mad_i64_i32 v[4:5], s[2:3], v3, s9, 0
	v_mov_b32_e32 v1, s8
	v_lshlrev_b64 v[4:5], 3, v[4:5]
	v_add_co_u32_e64 v4, s[2:3], s7, v4
	v_addc_co_u32_e64 v5, s[2:3], v1, v5, s[2:3]
	v_cmp_le_i32_e64 s[2:3], v3, v0
	s_and_b64 s[4:5], s[2:3], vcc
	s_and_saveexec_b64 s[2:3], s[4:5]
	s_cbranch_execz .LBB104_10
; %bb.9:
	v_mul_f64 v[8:9], s[12:13], v[8:9]
	v_ashrrev_i32_e32 v1, 31, v0
	v_lshlrev_b64 v[0:1], 3, v[0:1]
	v_add_co_u32_e32 v0, vcc, v4, v0
	v_addc_co_u32_e32 v1, vcc, v5, v1, vcc
	global_store_dwordx2 v[0:1], v[8:9], off
.LBB104_10:
	s_or_b64 exec, exec, s[2:3]
	v_cmp_le_i32_e32 vcc, v3, v2
	s_and_b64 s[0:1], vcc, s[0:1]
	s_and_saveexec_b64 s[2:3], s[0:1]
	s_cbranch_execz .LBB104_12
; %bb.11:
	v_mul_f64 v[0:1], s[12:13], v[6:7]
	v_ashrrev_i32_e32 v3, 31, v2
	v_lshlrev_b64 v[2:3], 3, v[2:3]
	v_add_co_u32_e32 v2, vcc, v4, v2
	v_addc_co_u32_e32 v3, vcc, v5, v3, vcc
	global_store_dwordx2 v[2:3], v[0:1], off
.LBB104_12:
	s_endpgm
	.section	.rodata,"a",@progbits
	.p2align	6, 0x0
	.amdhsa_kernel _ZL37rocblas_syrkx_herkx_restricted_kernelIidLi16ELi32ELi8ELb1ELb0ELc67ELc76EKddEviT_T0_PT8_S1_lS4_S1_lS2_PT9_S1_li
		.amdhsa_group_segment_fixed_size 4096
		.amdhsa_private_segment_fixed_size 0
		.amdhsa_kernarg_size 100
		.amdhsa_user_sgpr_count 6
		.amdhsa_user_sgpr_private_segment_buffer 1
		.amdhsa_user_sgpr_dispatch_ptr 0
		.amdhsa_user_sgpr_queue_ptr 0
		.amdhsa_user_sgpr_kernarg_segment_ptr 1
		.amdhsa_user_sgpr_dispatch_id 0
		.amdhsa_user_sgpr_flat_scratch_init 0
		.amdhsa_user_sgpr_private_segment_size 0
		.amdhsa_uses_dynamic_stack 0
		.amdhsa_system_sgpr_private_segment_wavefront_offset 0
		.amdhsa_system_sgpr_workgroup_id_x 1
		.amdhsa_system_sgpr_workgroup_id_y 1
		.amdhsa_system_sgpr_workgroup_id_z 1
		.amdhsa_system_sgpr_workgroup_info 0
		.amdhsa_system_vgpr_workitem_id 1
		.amdhsa_next_free_vgpr 32
		.amdhsa_next_free_sgpr 22
		.amdhsa_reserve_vcc 1
		.amdhsa_reserve_flat_scratch 0
		.amdhsa_float_round_mode_32 0
		.amdhsa_float_round_mode_16_64 0
		.amdhsa_float_denorm_mode_32 3
		.amdhsa_float_denorm_mode_16_64 3
		.amdhsa_dx10_clamp 1
		.amdhsa_ieee_mode 1
		.amdhsa_fp16_overflow 0
		.amdhsa_exception_fp_ieee_invalid_op 0
		.amdhsa_exception_fp_denorm_src 0
		.amdhsa_exception_fp_ieee_div_zero 0
		.amdhsa_exception_fp_ieee_overflow 0
		.amdhsa_exception_fp_ieee_underflow 0
		.amdhsa_exception_fp_ieee_inexact 0
		.amdhsa_exception_int_div_zero 0
	.end_amdhsa_kernel
	.section	.text._ZL37rocblas_syrkx_herkx_restricted_kernelIidLi16ELi32ELi8ELb1ELb0ELc67ELc76EKddEviT_T0_PT8_S1_lS4_S1_lS2_PT9_S1_li,"axG",@progbits,_ZL37rocblas_syrkx_herkx_restricted_kernelIidLi16ELi32ELi8ELb1ELb0ELc67ELc76EKddEviT_T0_PT8_S1_lS4_S1_lS2_PT9_S1_li,comdat
.Lfunc_end104:
	.size	_ZL37rocblas_syrkx_herkx_restricted_kernelIidLi16ELi32ELi8ELb1ELb0ELc67ELc76EKddEviT_T0_PT8_S1_lS4_S1_lS2_PT9_S1_li, .Lfunc_end104-_ZL37rocblas_syrkx_herkx_restricted_kernelIidLi16ELi32ELi8ELb1ELb0ELc67ELc76EKddEviT_T0_PT8_S1_lS4_S1_lS2_PT9_S1_li
                                        ; -- End function
	.set _ZL37rocblas_syrkx_herkx_restricted_kernelIidLi16ELi32ELi8ELb1ELb0ELc67ELc76EKddEviT_T0_PT8_S1_lS4_S1_lS2_PT9_S1_li.num_vgpr, 32
	.set _ZL37rocblas_syrkx_herkx_restricted_kernelIidLi16ELi32ELi8ELb1ELb0ELc67ELc76EKddEviT_T0_PT8_S1_lS4_S1_lS2_PT9_S1_li.num_agpr, 0
	.set _ZL37rocblas_syrkx_herkx_restricted_kernelIidLi16ELi32ELi8ELb1ELb0ELc67ELc76EKddEviT_T0_PT8_S1_lS4_S1_lS2_PT9_S1_li.numbered_sgpr, 22
	.set _ZL37rocblas_syrkx_herkx_restricted_kernelIidLi16ELi32ELi8ELb1ELb0ELc67ELc76EKddEviT_T0_PT8_S1_lS4_S1_lS2_PT9_S1_li.num_named_barrier, 0
	.set _ZL37rocblas_syrkx_herkx_restricted_kernelIidLi16ELi32ELi8ELb1ELb0ELc67ELc76EKddEviT_T0_PT8_S1_lS4_S1_lS2_PT9_S1_li.private_seg_size, 0
	.set _ZL37rocblas_syrkx_herkx_restricted_kernelIidLi16ELi32ELi8ELb1ELb0ELc67ELc76EKddEviT_T0_PT8_S1_lS4_S1_lS2_PT9_S1_li.uses_vcc, 1
	.set _ZL37rocblas_syrkx_herkx_restricted_kernelIidLi16ELi32ELi8ELb1ELb0ELc67ELc76EKddEviT_T0_PT8_S1_lS4_S1_lS2_PT9_S1_li.uses_flat_scratch, 0
	.set _ZL37rocblas_syrkx_herkx_restricted_kernelIidLi16ELi32ELi8ELb1ELb0ELc67ELc76EKddEviT_T0_PT8_S1_lS4_S1_lS2_PT9_S1_li.has_dyn_sized_stack, 0
	.set _ZL37rocblas_syrkx_herkx_restricted_kernelIidLi16ELi32ELi8ELb1ELb0ELc67ELc76EKddEviT_T0_PT8_S1_lS4_S1_lS2_PT9_S1_li.has_recursion, 0
	.set _ZL37rocblas_syrkx_herkx_restricted_kernelIidLi16ELi32ELi8ELb1ELb0ELc67ELc76EKddEviT_T0_PT8_S1_lS4_S1_lS2_PT9_S1_li.has_indirect_call, 0
	.section	.AMDGPU.csdata,"",@progbits
; Kernel info:
; codeLenInByte = 1268
; TotalNumSgprs: 26
; NumVgprs: 32
; ScratchSize: 0
; MemoryBound: 0
; FloatMode: 240
; IeeeMode: 1
; LDSByteSize: 4096 bytes/workgroup (compile time only)
; SGPRBlocks: 3
; VGPRBlocks: 7
; NumSGPRsForWavesPerEU: 26
; NumVGPRsForWavesPerEU: 32
; Occupancy: 8
; WaveLimiterHint : 0
; COMPUTE_PGM_RSRC2:SCRATCH_EN: 0
; COMPUTE_PGM_RSRC2:USER_SGPR: 6
; COMPUTE_PGM_RSRC2:TRAP_HANDLER: 0
; COMPUTE_PGM_RSRC2:TGID_X_EN: 1
; COMPUTE_PGM_RSRC2:TGID_Y_EN: 1
; COMPUTE_PGM_RSRC2:TGID_Z_EN: 1
; COMPUTE_PGM_RSRC2:TIDIG_COMP_CNT: 1
	.section	.text._ZL37rocblas_syrkx_herkx_restricted_kernelIidLi16ELi32ELi8ELb1ELb0ELc78ELc76EKddEviT_T0_PT8_S1_lS4_S1_lS2_PT9_S1_li,"axG",@progbits,_ZL37rocblas_syrkx_herkx_restricted_kernelIidLi16ELi32ELi8ELb1ELb0ELc78ELc76EKddEviT_T0_PT8_S1_lS4_S1_lS2_PT9_S1_li,comdat
	.globl	_ZL37rocblas_syrkx_herkx_restricted_kernelIidLi16ELi32ELi8ELb1ELb0ELc78ELc76EKddEviT_T0_PT8_S1_lS4_S1_lS2_PT9_S1_li ; -- Begin function _ZL37rocblas_syrkx_herkx_restricted_kernelIidLi16ELi32ELi8ELb1ELb0ELc78ELc76EKddEviT_T0_PT8_S1_lS4_S1_lS2_PT9_S1_li
	.p2align	8
	.type	_ZL37rocblas_syrkx_herkx_restricted_kernelIidLi16ELi32ELi8ELb1ELb0ELc78ELc76EKddEviT_T0_PT8_S1_lS4_S1_lS2_PT9_S1_li,@function
_ZL37rocblas_syrkx_herkx_restricted_kernelIidLi16ELi32ELi8ELb1ELb0ELc78ELc76EKddEviT_T0_PT8_S1_lS4_S1_lS2_PT9_S1_li: ; @_ZL37rocblas_syrkx_herkx_restricted_kernelIidLi16ELi32ELi8ELb1ELb0ELc78ELc76EKddEviT_T0_PT8_S1_lS4_S1_lS2_PT9_S1_li
; %bb.0:
	s_load_dwordx2 s[10:11], s[4:5], 0x0
	s_load_dwordx4 s[12:15], s[4:5], 0x8
	s_lshl_b32 s9, s6, 5
	s_lshl_b32 s16, s7, 5
	s_mov_b32 s17, 0
	s_waitcnt lgkmcnt(0)
	s_cmp_lt_i32 s11, 1
	s_cbranch_scc1 .LBB105_3
; %bb.1:
	v_lshl_add_u32 v2, v1, 4, v0
	s_load_dword s6, s[4:5], 0x18
	s_load_dword s18, s[4:5], 0x30
	s_load_dwordx2 s[20:21], s[4:5], 0x38
	s_load_dwordx4 s[0:3], s[4:5], 0x20
	v_lshrrev_b32_e32 v4, 3, v2
	v_lshrrev_b32_e32 v6, 5, v2
	v_and_b32_e32 v7, 31, v2
	v_add_u32_e32 v2, s16, v4
	v_and_b32_e32 v5, 7, v0
	v_ashrrev_i32_e32 v3, 31, v2
	s_waitcnt lgkmcnt(0)
	v_mad_i64_i32 v[2:3], s[22:23], s18, v5, v[2:3]
	s_mul_i32 s21, s21, s8
	s_mul_hi_u32 s24, s20, s8
	v_lshlrev_b32_e32 v8, 3, v7
	s_add_i32 s21, s24, s21
	s_mul_i32 s20, s20, s8
	s_ashr_i32 s7, s6, 31
	s_ashr_i32 s19, s18, 31
	v_lshl_or_b32 v14, v6, 8, v8
	v_lshlrev_b32_e32 v8, 3, v5
	s_lshl_b64 s[20:21], s[20:21], 3
	v_lshl_or_b32 v4, v4, 6, v8
	v_lshlrev_b64 v[2:3], 3, v[2:3]
	s_add_u32 s2, s2, s20
	v_add_u32_e32 v15, 0x800, v4
	v_mov_b32_e32 v4, 0x800
	s_addc_u32 s3, s3, s21
	v_lshl_add_u32 v17, v1, 6, v4
	v_mov_b32_e32 v4, s3
	v_add_co_u32_e32 v2, vcc, s2, v2
	v_addc_co_u32_e32 v3, vcc, v4, v3, vcc
	v_add_u32_e32 v4, s9, v7
	v_ashrrev_i32_e32 v5, 31, v4
	s_lshl_b64 s[2:3], s[18:19], 6
	v_mad_i64_i32 v[4:5], s[18:19], s6, v6, v[4:5]
	s_mul_i32 s1, s1, s8
	s_mul_hi_u32 s20, s0, s8
	s_add_i32 s1, s20, s1
	s_mul_i32 s0, s0, s8
	s_lshl_b64 s[0:1], s[0:1], 3
	v_lshlrev_b64 v[4:5], 3, v[4:5]
	s_add_u32 s0, s14, s0
	s_addc_u32 s1, s15, s1
	v_mov_b32_e32 v6, s1
	v_add_co_u32_e32 v4, vcc, s0, v4
	v_addc_co_u32_e32 v5, vcc, v6, v5, vcc
	s_lshl_b64 s[6:7], s[6:7], 6
	v_mov_b32_e32 v6, 0
	v_mov_b32_e32 v8, 0
	;; [unrolled: 1-line block ×4, first 2 shown]
	v_lshlrev_b32_e32 v16, 3, v0
	v_mov_b32_e32 v7, 0
	v_mov_b32_e32 v18, s3
	;; [unrolled: 1-line block ×6, first 2 shown]
.LBB105_2:                              ; =>This Inner Loop Header: Depth=1
	global_load_dwordx2 v[20:21], v[4:5], off
	global_load_dwordx2 v[22:23], v[2:3], off
	s_add_i32 s17, s17, 8
	v_add_co_u32_e32 v2, vcc, s2, v2
	v_add_co_u32_e64 v4, s[0:1], s6, v4
	v_addc_co_u32_e32 v3, vcc, v3, v18, vcc
	v_addc_co_u32_e64 v5, vcc, v5, v19, s[0:1]
	s_cmp_ge_i32 s17, s11
	s_waitcnt vmcnt(1)
	ds_write_b64 v14, v[20:21]
	s_waitcnt vmcnt(0)
	ds_write_b64 v15, v[22:23]
	s_waitcnt lgkmcnt(0)
	s_barrier
	ds_read2_b64 v[20:23], v16 offset1:16
	ds_read_b128 v[24:27], v17
	s_waitcnt lgkmcnt(0)
	v_fma_f64 v[28:29], v[20:21], v[24:25], v[12:13]
	v_fma_f64 v[24:25], v[22:23], v[24:25], v[10:11]
	ds_read_b128 v[10:13], v17 offset:1024
	s_waitcnt lgkmcnt(0)
	v_fma_f64 v[20:21], v[20:21], v[10:11], v[8:9]
	v_fma_f64 v[10:11], v[22:23], v[10:11], v[6:7]
	ds_read2_b64 v[6:9], v16 offset0:32 offset1:48
	s_waitcnt lgkmcnt(0)
	v_fma_f64 v[22:23], v[6:7], v[26:27], v[28:29]
	v_fma_f64 v[24:25], v[8:9], v[26:27], v[24:25]
	;; [unrolled: 1-line block ×4, first 2 shown]
	ds_read_b128 v[6:9], v17 offset:16
	ds_read2_b64 v[10:13], v16 offset0:64 offset1:80
	s_waitcnt lgkmcnt(0)
	v_fma_f64 v[30:31], v[10:11], v[6:7], v[22:23]
	ds_read_b128 v[20:23], v17 offset:1040
	v_fma_f64 v[6:7], v[12:13], v[6:7], v[24:25]
	s_waitcnt lgkmcnt(0)
	v_fma_f64 v[24:25], v[10:11], v[20:21], v[26:27]
	v_fma_f64 v[20:21], v[12:13], v[20:21], v[28:29]
	ds_read2_b64 v[10:13], v16 offset0:96 offset1:112
	s_waitcnt lgkmcnt(0)
	v_fma_f64 v[26:27], v[10:11], v[8:9], v[30:31]
	v_fma_f64 v[28:29], v[12:13], v[8:9], v[6:7]
	;; [unrolled: 1-line block ×4, first 2 shown]
	ds_read2_b64 v[6:9], v16 offset0:128 offset1:144
	ds_read_b128 v[10:13], v17 offset:32
	ds_read_b128 v[20:23], v17 offset:1056
	s_waitcnt lgkmcnt(1)
	v_fma_f64 v[26:27], v[6:7], v[10:11], v[26:27]
	v_fma_f64 v[10:11], v[8:9], v[10:11], v[28:29]
	s_waitcnt lgkmcnt(0)
	v_fma_f64 v[24:25], v[6:7], v[20:21], v[24:25]
	v_fma_f64 v[20:21], v[8:9], v[20:21], v[30:31]
	ds_read2_b64 v[6:9], v16 offset0:160 offset1:176
	s_waitcnt lgkmcnt(0)
	v_fma_f64 v[26:27], v[6:7], v[12:13], v[26:27]
	v_fma_f64 v[28:29], v[8:9], v[12:13], v[10:11]
	;; [unrolled: 1-line block ×4, first 2 shown]
	ds_read_b128 v[6:9], v17 offset:48
	ds_read2_b64 v[10:13], v16 offset0:192 offset1:208
	ds_read_b128 v[20:23], v17 offset:1072
	s_waitcnt lgkmcnt(1)
	v_fma_f64 v[32:33], v[10:11], v[6:7], v[26:27]
	v_fma_f64 v[6:7], v[12:13], v[6:7], v[28:29]
	s_waitcnt lgkmcnt(0)
	v_fma_f64 v[28:29], v[10:11], v[20:21], v[24:25]
	v_fma_f64 v[20:21], v[12:13], v[20:21], v[30:31]
	ds_read2_b64 v[24:27], v16 offset0:224 offset1:240
	s_waitcnt lgkmcnt(0)
	s_barrier
	v_fma_f64 v[12:13], v[24:25], v[8:9], v[32:33]
	v_fma_f64 v[10:11], v[26:27], v[8:9], v[6:7]
	;; [unrolled: 1-line block ×4, first 2 shown]
	s_cbranch_scc0 .LBB105_2
	s_branch .LBB105_4
.LBB105_3:
	v_mov_b32_e32 v12, 0
	v_mov_b32_e32 v10, 0
	v_mov_b32_e32 v8, 0
	v_mov_b32_e32 v6, 0
	v_mov_b32_e32 v13, 0
	v_mov_b32_e32 v11, 0
	v_mov_b32_e32 v9, 0
	v_mov_b32_e32 v7, 0
.LBB105_4:
	s_load_dwordx2 s[0:1], s[4:5], 0x58
	s_load_dwordx2 s[2:3], s[4:5], 0x48
	s_load_dword s6, s[4:5], 0x50
	v_add_u32_e32 v4, s16, v1
	v_add_u32_e32 v0, s9, v0
	s_waitcnt lgkmcnt(0)
	s_mul_i32 s1, s1, s8
	s_mul_hi_u32 s4, s0, s8
	s_add_i32 s1, s4, s1
	v_mad_i64_i32 v[1:2], s[4:5], v4, s6, 0
	s_mul_i32 s0, s0, s8
	s_lshl_b64 s[0:1], s[0:1], 3
	s_add_u32 s7, s2, s0
	v_lshlrev_b64 v[1:2], 3, v[1:2]
	s_addc_u32 s8, s3, s1
	v_mov_b32_e32 v3, s8
	v_add_co_u32_e32 v5, vcc, s7, v1
	v_addc_co_u32_e32 v14, vcc, v3, v2, vcc
	v_cmp_le_i32_e64 s[0:1], v4, v0
	v_cmp_gt_i32_e32 vcc, s10, v0
	s_and_b64 s[0:1], s[0:1], vcc
	s_and_saveexec_b64 s[2:3], s[0:1]
	s_cbranch_execz .LBB105_6
; %bb.5:
	v_mul_f64 v[2:3], s[12:13], v[12:13]
	v_ashrrev_i32_e32 v1, 31, v0
	v_lshlrev_b64 v[12:13], 3, v[0:1]
	v_add_co_u32_e64 v12, s[0:1], v5, v12
	v_addc_co_u32_e64 v13, s[0:1], v14, v13, s[0:1]
	global_store_dwordx2 v[12:13], v[2:3], off
.LBB105_6:
	s_or_b64 exec, exec, s[2:3]
	v_add_u32_e32 v2, 16, v0
	v_cmp_le_i32_e64 s[2:3], v4, v2
	v_cmp_gt_i32_e64 s[0:1], s10, v2
	s_and_b64 s[2:3], s[2:3], s[0:1]
	s_and_saveexec_b64 s[4:5], s[2:3]
	s_cbranch_execz .LBB105_8
; %bb.7:
	v_mul_f64 v[10:11], s[12:13], v[10:11]
	v_ashrrev_i32_e32 v3, 31, v2
	v_lshlrev_b64 v[12:13], 3, v[2:3]
	v_add_co_u32_e64 v12, s[2:3], v5, v12
	v_addc_co_u32_e64 v13, s[2:3], v14, v13, s[2:3]
	global_store_dwordx2 v[12:13], v[10:11], off
.LBB105_8:
	s_or_b64 exec, exec, s[4:5]
	v_add_u32_e32 v3, 16, v4
	v_mad_i64_i32 v[4:5], s[2:3], v3, s6, 0
	v_mov_b32_e32 v1, s8
	v_lshlrev_b64 v[4:5], 3, v[4:5]
	v_add_co_u32_e64 v4, s[2:3], s7, v4
	v_addc_co_u32_e64 v5, s[2:3], v1, v5, s[2:3]
	v_cmp_le_i32_e64 s[2:3], v3, v0
	s_and_b64 s[4:5], s[2:3], vcc
	s_and_saveexec_b64 s[2:3], s[4:5]
	s_cbranch_execz .LBB105_10
; %bb.9:
	v_mul_f64 v[8:9], s[12:13], v[8:9]
	v_ashrrev_i32_e32 v1, 31, v0
	v_lshlrev_b64 v[0:1], 3, v[0:1]
	v_add_co_u32_e32 v0, vcc, v4, v0
	v_addc_co_u32_e32 v1, vcc, v5, v1, vcc
	global_store_dwordx2 v[0:1], v[8:9], off
.LBB105_10:
	s_or_b64 exec, exec, s[2:3]
	v_cmp_le_i32_e32 vcc, v3, v2
	s_and_b64 s[0:1], vcc, s[0:1]
	s_and_saveexec_b64 s[2:3], s[0:1]
	s_cbranch_execz .LBB105_12
; %bb.11:
	v_mul_f64 v[0:1], s[12:13], v[6:7]
	v_ashrrev_i32_e32 v3, 31, v2
	v_lshlrev_b64 v[2:3], 3, v[2:3]
	v_add_co_u32_e32 v2, vcc, v4, v2
	v_addc_co_u32_e32 v3, vcc, v5, v3, vcc
	global_store_dwordx2 v[2:3], v[0:1], off
.LBB105_12:
	s_endpgm
	.section	.rodata,"a",@progbits
	.p2align	6, 0x0
	.amdhsa_kernel _ZL37rocblas_syrkx_herkx_restricted_kernelIidLi16ELi32ELi8ELb1ELb0ELc78ELc76EKddEviT_T0_PT8_S1_lS4_S1_lS2_PT9_S1_li
		.amdhsa_group_segment_fixed_size 4096
		.amdhsa_private_segment_fixed_size 0
		.amdhsa_kernarg_size 100
		.amdhsa_user_sgpr_count 6
		.amdhsa_user_sgpr_private_segment_buffer 1
		.amdhsa_user_sgpr_dispatch_ptr 0
		.amdhsa_user_sgpr_queue_ptr 0
		.amdhsa_user_sgpr_kernarg_segment_ptr 1
		.amdhsa_user_sgpr_dispatch_id 0
		.amdhsa_user_sgpr_flat_scratch_init 0
		.amdhsa_user_sgpr_private_segment_size 0
		.amdhsa_uses_dynamic_stack 0
		.amdhsa_system_sgpr_private_segment_wavefront_offset 0
		.amdhsa_system_sgpr_workgroup_id_x 1
		.amdhsa_system_sgpr_workgroup_id_y 1
		.amdhsa_system_sgpr_workgroup_id_z 1
		.amdhsa_system_sgpr_workgroup_info 0
		.amdhsa_system_vgpr_workitem_id 1
		.amdhsa_next_free_vgpr 34
		.amdhsa_next_free_sgpr 25
		.amdhsa_reserve_vcc 1
		.amdhsa_reserve_flat_scratch 0
		.amdhsa_float_round_mode_32 0
		.amdhsa_float_round_mode_16_64 0
		.amdhsa_float_denorm_mode_32 3
		.amdhsa_float_denorm_mode_16_64 3
		.amdhsa_dx10_clamp 1
		.amdhsa_ieee_mode 1
		.amdhsa_fp16_overflow 0
		.amdhsa_exception_fp_ieee_invalid_op 0
		.amdhsa_exception_fp_denorm_src 0
		.amdhsa_exception_fp_ieee_div_zero 0
		.amdhsa_exception_fp_ieee_overflow 0
		.amdhsa_exception_fp_ieee_underflow 0
		.amdhsa_exception_fp_ieee_inexact 0
		.amdhsa_exception_int_div_zero 0
	.end_amdhsa_kernel
	.section	.text._ZL37rocblas_syrkx_herkx_restricted_kernelIidLi16ELi32ELi8ELb1ELb0ELc78ELc76EKddEviT_T0_PT8_S1_lS4_S1_lS2_PT9_S1_li,"axG",@progbits,_ZL37rocblas_syrkx_herkx_restricted_kernelIidLi16ELi32ELi8ELb1ELb0ELc78ELc76EKddEviT_T0_PT8_S1_lS4_S1_lS2_PT9_S1_li,comdat
.Lfunc_end105:
	.size	_ZL37rocblas_syrkx_herkx_restricted_kernelIidLi16ELi32ELi8ELb1ELb0ELc78ELc76EKddEviT_T0_PT8_S1_lS4_S1_lS2_PT9_S1_li, .Lfunc_end105-_ZL37rocblas_syrkx_herkx_restricted_kernelIidLi16ELi32ELi8ELb1ELb0ELc78ELc76EKddEviT_T0_PT8_S1_lS4_S1_lS2_PT9_S1_li
                                        ; -- End function
	.set _ZL37rocblas_syrkx_herkx_restricted_kernelIidLi16ELi32ELi8ELb1ELb0ELc78ELc76EKddEviT_T0_PT8_S1_lS4_S1_lS2_PT9_S1_li.num_vgpr, 34
	.set _ZL37rocblas_syrkx_herkx_restricted_kernelIidLi16ELi32ELi8ELb1ELb0ELc78ELc76EKddEviT_T0_PT8_S1_lS4_S1_lS2_PT9_S1_li.num_agpr, 0
	.set _ZL37rocblas_syrkx_herkx_restricted_kernelIidLi16ELi32ELi8ELb1ELb0ELc78ELc76EKddEviT_T0_PT8_S1_lS4_S1_lS2_PT9_S1_li.numbered_sgpr, 25
	.set _ZL37rocblas_syrkx_herkx_restricted_kernelIidLi16ELi32ELi8ELb1ELb0ELc78ELc76EKddEviT_T0_PT8_S1_lS4_S1_lS2_PT9_S1_li.num_named_barrier, 0
	.set _ZL37rocblas_syrkx_herkx_restricted_kernelIidLi16ELi32ELi8ELb1ELb0ELc78ELc76EKddEviT_T0_PT8_S1_lS4_S1_lS2_PT9_S1_li.private_seg_size, 0
	.set _ZL37rocblas_syrkx_herkx_restricted_kernelIidLi16ELi32ELi8ELb1ELb0ELc78ELc76EKddEviT_T0_PT8_S1_lS4_S1_lS2_PT9_S1_li.uses_vcc, 1
	.set _ZL37rocblas_syrkx_herkx_restricted_kernelIidLi16ELi32ELi8ELb1ELb0ELc78ELc76EKddEviT_T0_PT8_S1_lS4_S1_lS2_PT9_S1_li.uses_flat_scratch, 0
	.set _ZL37rocblas_syrkx_herkx_restricted_kernelIidLi16ELi32ELi8ELb1ELb0ELc78ELc76EKddEviT_T0_PT8_S1_lS4_S1_lS2_PT9_S1_li.has_dyn_sized_stack, 0
	.set _ZL37rocblas_syrkx_herkx_restricted_kernelIidLi16ELi32ELi8ELb1ELb0ELc78ELc76EKddEviT_T0_PT8_S1_lS4_S1_lS2_PT9_S1_li.has_recursion, 0
	.set _ZL37rocblas_syrkx_herkx_restricted_kernelIidLi16ELi32ELi8ELb1ELb0ELc78ELc76EKddEviT_T0_PT8_S1_lS4_S1_lS2_PT9_S1_li.has_indirect_call, 0
	.section	.AMDGPU.csdata,"",@progbits
; Kernel info:
; codeLenInByte = 1292
; TotalNumSgprs: 29
; NumVgprs: 34
; ScratchSize: 0
; MemoryBound: 0
; FloatMode: 240
; IeeeMode: 1
; LDSByteSize: 4096 bytes/workgroup (compile time only)
; SGPRBlocks: 3
; VGPRBlocks: 8
; NumSGPRsForWavesPerEU: 29
; NumVGPRsForWavesPerEU: 34
; Occupancy: 7
; WaveLimiterHint : 0
; COMPUTE_PGM_RSRC2:SCRATCH_EN: 0
; COMPUTE_PGM_RSRC2:USER_SGPR: 6
; COMPUTE_PGM_RSRC2:TRAP_HANDLER: 0
; COMPUTE_PGM_RSRC2:TGID_X_EN: 1
; COMPUTE_PGM_RSRC2:TGID_Y_EN: 1
; COMPUTE_PGM_RSRC2:TGID_Z_EN: 1
; COMPUTE_PGM_RSRC2:TIDIG_COMP_CNT: 1
	.section	.text._ZL37rocblas_syrkx_herkx_restricted_kernelIidLi16ELi32ELi8ELb1ELb0ELc84ELc85EKddEviT_T0_PT8_S1_lS4_S1_lS2_PT9_S1_li,"axG",@progbits,_ZL37rocblas_syrkx_herkx_restricted_kernelIidLi16ELi32ELi8ELb1ELb0ELc84ELc85EKddEviT_T0_PT8_S1_lS4_S1_lS2_PT9_S1_li,comdat
	.globl	_ZL37rocblas_syrkx_herkx_restricted_kernelIidLi16ELi32ELi8ELb1ELb0ELc84ELc85EKddEviT_T0_PT8_S1_lS4_S1_lS2_PT9_S1_li ; -- Begin function _ZL37rocblas_syrkx_herkx_restricted_kernelIidLi16ELi32ELi8ELb1ELb0ELc84ELc85EKddEviT_T0_PT8_S1_lS4_S1_lS2_PT9_S1_li
	.p2align	8
	.type	_ZL37rocblas_syrkx_herkx_restricted_kernelIidLi16ELi32ELi8ELb1ELb0ELc84ELc85EKddEviT_T0_PT8_S1_lS4_S1_lS2_PT9_S1_li,@function
_ZL37rocblas_syrkx_herkx_restricted_kernelIidLi16ELi32ELi8ELb1ELb0ELc84ELc85EKddEviT_T0_PT8_S1_lS4_S1_lS2_PT9_S1_li: ; @_ZL37rocblas_syrkx_herkx_restricted_kernelIidLi16ELi32ELi8ELb1ELb0ELc84ELc85EKddEviT_T0_PT8_S1_lS4_S1_lS2_PT9_S1_li
; %bb.0:
	s_load_dwordx2 s[10:11], s[4:5], 0x0
	s_load_dwordx4 s[12:15], s[4:5], 0x8
	s_lshl_b32 s6, s6, 5
	s_lshl_b32 s7, s7, 5
	s_mov_b32 s9, 0
	s_waitcnt lgkmcnt(0)
	s_cmp_lt_i32 s11, 1
	s_cbranch_scc1 .LBB106_3
; %bb.1:
	s_load_dword s20, s[4:5], 0x18
	s_load_dwordx4 s[0:3], s[4:5], 0x20
	s_load_dword s18, s[4:5], 0x30
	s_load_dwordx2 s[16:17], s[4:5], 0x38
	v_lshl_add_u32 v3, v1, 4, v0
	v_lshrrev_b32_e32 v6, 3, v3
	v_and_b32_e32 v7, 31, v3
	v_lshrrev_b32_e32 v4, 5, v3
	v_and_b32_e32 v2, 7, v0
	v_add_u32_e32 v8, s7, v6
	v_mov_b32_e32 v3, 0
	v_lshlrev_b32_e32 v9, 3, v7
	v_mov_b32_e32 v5, v3
	v_lshl_or_b32 v14, v4, 8, v9
	v_lshlrev_b32_e32 v9, 3, v2
	s_waitcnt lgkmcnt(0)
	v_mad_i64_i32 v[2:3], s[18:19], s18, v8, v[2:3]
	s_mul_i32 s17, s17, s8
	s_mul_hi_u32 s21, s16, s8
	s_add_i32 s17, s21, s17
	s_mul_i32 s16, s16, s8
	s_lshl_b64 s[16:17], s[16:17], 3
	v_lshlrev_b64 v[2:3], 3, v[2:3]
	s_add_u32 s2, s2, s16
	v_lshl_or_b32 v6, v6, 6, v9
	s_addc_u32 s3, s3, s17
	v_add_u32_e32 v15, 0x800, v6
	v_mov_b32_e32 v6, s3
	v_add_co_u32_e32 v2, vcc, s2, v2
	v_addc_co_u32_e32 v3, vcc, v6, v3, vcc
	v_add_u32_e32 v6, s6, v7
	v_mad_i64_i32 v[4:5], s[2:3], s20, v6, v[4:5]
	s_mul_i32 s1, s1, s8
	s_mul_hi_u32 s16, s0, s8
	s_add_i32 s1, s16, s1
	s_mul_i32 s0, s0, s8
	s_lshl_b64 s[0:1], s[0:1], 3
	v_lshlrev_b64 v[4:5], 3, v[4:5]
	s_add_u32 s0, s14, s0
	s_addc_u32 s1, s15, s1
	v_mov_b32_e32 v6, s1
	v_add_co_u32_e32 v4, vcc, s0, v4
	v_mov_b32_e32 v17, 0x800
	v_addc_co_u32_e32 v5, vcc, v6, v5, vcc
	v_mov_b32_e32 v6, 0
	v_mov_b32_e32 v8, 0
	;; [unrolled: 1-line block ×4, first 2 shown]
	v_lshlrev_b32_e32 v16, 3, v0
	v_mov_b32_e32 v7, 0
	v_mov_b32_e32 v9, 0
	;; [unrolled: 1-line block ×4, first 2 shown]
	v_lshl_add_u32 v17, v1, 6, v17
.LBB106_2:                              ; =>This Inner Loop Header: Depth=1
	global_load_dwordx2 v[18:19], v[4:5], off
	global_load_dwordx2 v[20:21], v[2:3], off
	s_add_i32 s9, s9, 8
	v_add_co_u32_e32 v2, vcc, 64, v2
	v_add_co_u32_e64 v4, s[0:1], 64, v4
	v_addc_co_u32_e32 v3, vcc, 0, v3, vcc
	v_addc_co_u32_e64 v5, vcc, 0, v5, s[0:1]
	s_cmp_ge_i32 s9, s11
	s_waitcnt vmcnt(1)
	ds_write_b64 v14, v[18:19]
	s_waitcnt vmcnt(0)
	ds_write_b64 v15, v[20:21]
	s_waitcnt lgkmcnt(0)
	s_barrier
	ds_read2_b64 v[18:21], v16 offset1:16
	ds_read_b128 v[22:25], v17
	s_waitcnt lgkmcnt(0)
	v_fma_f64 v[26:27], v[18:19], v[22:23], v[12:13]
	v_fma_f64 v[22:23], v[20:21], v[22:23], v[10:11]
	ds_read_b128 v[10:13], v17 offset:1024
	s_waitcnt lgkmcnt(0)
	v_fma_f64 v[18:19], v[18:19], v[10:11], v[8:9]
	v_fma_f64 v[10:11], v[20:21], v[10:11], v[6:7]
	ds_read2_b64 v[6:9], v16 offset0:32 offset1:48
	s_waitcnt lgkmcnt(0)
	v_fma_f64 v[20:21], v[6:7], v[24:25], v[26:27]
	v_fma_f64 v[22:23], v[8:9], v[24:25], v[22:23]
	;; [unrolled: 1-line block ×4, first 2 shown]
	ds_read_b128 v[6:9], v17 offset:16
	ds_read2_b64 v[10:13], v16 offset0:64 offset1:80
	s_waitcnt lgkmcnt(0)
	v_fma_f64 v[28:29], v[10:11], v[6:7], v[20:21]
	ds_read_b128 v[18:21], v17 offset:1040
	v_fma_f64 v[6:7], v[12:13], v[6:7], v[22:23]
	s_waitcnt lgkmcnt(0)
	v_fma_f64 v[22:23], v[10:11], v[18:19], v[24:25]
	v_fma_f64 v[18:19], v[12:13], v[18:19], v[26:27]
	ds_read2_b64 v[10:13], v16 offset0:96 offset1:112
	s_waitcnt lgkmcnt(0)
	v_fma_f64 v[24:25], v[10:11], v[8:9], v[28:29]
	v_fma_f64 v[26:27], v[12:13], v[8:9], v[6:7]
	;; [unrolled: 1-line block ×4, first 2 shown]
	ds_read2_b64 v[6:9], v16 offset0:128 offset1:144
	ds_read_b128 v[10:13], v17 offset:32
	ds_read_b128 v[18:21], v17 offset:1056
	s_waitcnt lgkmcnt(1)
	v_fma_f64 v[24:25], v[6:7], v[10:11], v[24:25]
	v_fma_f64 v[10:11], v[8:9], v[10:11], v[26:27]
	s_waitcnt lgkmcnt(0)
	v_fma_f64 v[22:23], v[6:7], v[18:19], v[22:23]
	v_fma_f64 v[18:19], v[8:9], v[18:19], v[28:29]
	ds_read2_b64 v[6:9], v16 offset0:160 offset1:176
	s_waitcnt lgkmcnt(0)
	v_fma_f64 v[24:25], v[6:7], v[12:13], v[24:25]
	v_fma_f64 v[26:27], v[8:9], v[12:13], v[10:11]
	;; [unrolled: 1-line block ×4, first 2 shown]
	ds_read_b128 v[6:9], v17 offset:48
	ds_read2_b64 v[10:13], v16 offset0:192 offset1:208
	ds_read_b128 v[18:21], v17 offset:1072
	s_waitcnt lgkmcnt(1)
	v_fma_f64 v[30:31], v[10:11], v[6:7], v[24:25]
	v_fma_f64 v[6:7], v[12:13], v[6:7], v[26:27]
	s_waitcnt lgkmcnt(0)
	v_fma_f64 v[26:27], v[10:11], v[18:19], v[22:23]
	v_fma_f64 v[18:19], v[12:13], v[18:19], v[28:29]
	ds_read2_b64 v[22:25], v16 offset0:224 offset1:240
	s_waitcnt lgkmcnt(0)
	s_barrier
	v_fma_f64 v[12:13], v[22:23], v[8:9], v[30:31]
	v_fma_f64 v[10:11], v[24:25], v[8:9], v[6:7]
	;; [unrolled: 1-line block ×4, first 2 shown]
	s_cbranch_scc0 .LBB106_2
	s_branch .LBB106_4
.LBB106_3:
	v_mov_b32_e32 v12, 0
	v_mov_b32_e32 v10, 0
	;; [unrolled: 1-line block ×8, first 2 shown]
.LBB106_4:
	s_load_dwordx2 s[0:1], s[4:5], 0x58
	s_load_dwordx2 s[2:3], s[4:5], 0x48
	s_load_dword s9, s[4:5], 0x50
	v_add_u32_e32 v4, s7, v1
	v_add_u32_e32 v0, s6, v0
	s_waitcnt lgkmcnt(0)
	s_mul_i32 s1, s1, s8
	s_mul_hi_u32 s4, s0, s8
	v_mad_i64_i32 v[1:2], s[14:15], v4, s9, 0
	s_mul_i32 s0, s0, s8
	s_add_i32 s1, s4, s1
	s_lshl_b64 s[0:1], s[0:1], 3
	s_add_u32 s4, s2, s0
	v_lshlrev_b64 v[1:2], 3, v[1:2]
	s_addc_u32 s5, s3, s1
	v_mov_b32_e32 v3, s5
	v_add_co_u32_e64 v5, s[0:1], s4, v1
	v_addc_co_u32_e64 v14, s[0:1], v3, v2, s[0:1]
	v_cmp_gt_i32_e32 vcc, s10, v4
	v_cmp_le_i32_e64 s[0:1], v0, v4
	s_and_b64 s[0:1], vcc, s[0:1]
	s_and_saveexec_b64 s[2:3], s[0:1]
	s_cbranch_execz .LBB106_6
; %bb.5:
	v_mul_f64 v[2:3], s[12:13], v[12:13]
	v_ashrrev_i32_e32 v1, 31, v0
	v_lshlrev_b64 v[12:13], 3, v[0:1]
	v_add_co_u32_e64 v12, s[0:1], v5, v12
	v_addc_co_u32_e64 v13, s[0:1], v14, v13, s[0:1]
	global_store_dwordx2 v[12:13], v[2:3], off
.LBB106_6:
	s_or_b64 exec, exec, s[2:3]
	v_add_u32_e32 v2, 16, v0
	v_cmp_le_i32_e64 s[0:1], v2, v4
	s_and_b64 s[2:3], vcc, s[0:1]
	s_and_saveexec_b64 s[0:1], s[2:3]
	s_cbranch_execz .LBB106_8
; %bb.7:
	v_mul_f64 v[10:11], s[12:13], v[10:11]
	v_ashrrev_i32_e32 v3, 31, v2
	v_lshlrev_b64 v[12:13], 3, v[2:3]
	v_add_co_u32_e32 v12, vcc, v5, v12
	v_addc_co_u32_e32 v13, vcc, v14, v13, vcc
	global_store_dwordx2 v[12:13], v[10:11], off
.LBB106_8:
	s_or_b64 exec, exec, s[0:1]
	v_add_u32_e32 v3, 16, v4
	v_mad_i64_i32 v[4:5], s[0:1], v3, s9, 0
	v_mov_b32_e32 v1, s5
	v_cmp_gt_i32_e32 vcc, s10, v3
	v_lshlrev_b64 v[4:5], 3, v[4:5]
	v_add_co_u32_e64 v4, s[0:1], s4, v4
	v_addc_co_u32_e64 v5, s[0:1], v1, v5, s[0:1]
	v_cmp_le_i32_e64 s[0:1], v0, v3
	s_and_b64 s[0:1], vcc, s[0:1]
	s_and_saveexec_b64 s[2:3], s[0:1]
	s_cbranch_execz .LBB106_10
; %bb.9:
	v_mul_f64 v[8:9], s[12:13], v[8:9]
	v_ashrrev_i32_e32 v1, 31, v0
	v_lshlrev_b64 v[0:1], 3, v[0:1]
	v_add_co_u32_e64 v0, s[0:1], v4, v0
	v_addc_co_u32_e64 v1, s[0:1], v5, v1, s[0:1]
	global_store_dwordx2 v[0:1], v[8:9], off
.LBB106_10:
	s_or_b64 exec, exec, s[2:3]
	v_cmp_le_i32_e64 s[0:1], v2, v3
	s_and_b64 s[0:1], vcc, s[0:1]
	s_and_saveexec_b64 s[2:3], s[0:1]
	s_cbranch_execz .LBB106_12
; %bb.11:
	v_mul_f64 v[0:1], s[12:13], v[6:7]
	v_ashrrev_i32_e32 v3, 31, v2
	v_lshlrev_b64 v[2:3], 3, v[2:3]
	v_add_co_u32_e32 v2, vcc, v4, v2
	v_addc_co_u32_e32 v3, vcc, v5, v3, vcc
	global_store_dwordx2 v[2:3], v[0:1], off
.LBB106_12:
	s_endpgm
	.section	.rodata,"a",@progbits
	.p2align	6, 0x0
	.amdhsa_kernel _ZL37rocblas_syrkx_herkx_restricted_kernelIidLi16ELi32ELi8ELb1ELb0ELc84ELc85EKddEviT_T0_PT8_S1_lS4_S1_lS2_PT9_S1_li
		.amdhsa_group_segment_fixed_size 4096
		.amdhsa_private_segment_fixed_size 0
		.amdhsa_kernarg_size 100
		.amdhsa_user_sgpr_count 6
		.amdhsa_user_sgpr_private_segment_buffer 1
		.amdhsa_user_sgpr_dispatch_ptr 0
		.amdhsa_user_sgpr_queue_ptr 0
		.amdhsa_user_sgpr_kernarg_segment_ptr 1
		.amdhsa_user_sgpr_dispatch_id 0
		.amdhsa_user_sgpr_flat_scratch_init 0
		.amdhsa_user_sgpr_private_segment_size 0
		.amdhsa_uses_dynamic_stack 0
		.amdhsa_system_sgpr_private_segment_wavefront_offset 0
		.amdhsa_system_sgpr_workgroup_id_x 1
		.amdhsa_system_sgpr_workgroup_id_y 1
		.amdhsa_system_sgpr_workgroup_id_z 1
		.amdhsa_system_sgpr_workgroup_info 0
		.amdhsa_system_vgpr_workitem_id 1
		.amdhsa_next_free_vgpr 32
		.amdhsa_next_free_sgpr 22
		.amdhsa_reserve_vcc 1
		.amdhsa_reserve_flat_scratch 0
		.amdhsa_float_round_mode_32 0
		.amdhsa_float_round_mode_16_64 0
		.amdhsa_float_denorm_mode_32 3
		.amdhsa_float_denorm_mode_16_64 3
		.amdhsa_dx10_clamp 1
		.amdhsa_ieee_mode 1
		.amdhsa_fp16_overflow 0
		.amdhsa_exception_fp_ieee_invalid_op 0
		.amdhsa_exception_fp_denorm_src 0
		.amdhsa_exception_fp_ieee_div_zero 0
		.amdhsa_exception_fp_ieee_overflow 0
		.amdhsa_exception_fp_ieee_underflow 0
		.amdhsa_exception_fp_ieee_inexact 0
		.amdhsa_exception_int_div_zero 0
	.end_amdhsa_kernel
	.section	.text._ZL37rocblas_syrkx_herkx_restricted_kernelIidLi16ELi32ELi8ELb1ELb0ELc84ELc85EKddEviT_T0_PT8_S1_lS4_S1_lS2_PT9_S1_li,"axG",@progbits,_ZL37rocblas_syrkx_herkx_restricted_kernelIidLi16ELi32ELi8ELb1ELb0ELc84ELc85EKddEviT_T0_PT8_S1_lS4_S1_lS2_PT9_S1_li,comdat
.Lfunc_end106:
	.size	_ZL37rocblas_syrkx_herkx_restricted_kernelIidLi16ELi32ELi8ELb1ELb0ELc84ELc85EKddEviT_T0_PT8_S1_lS4_S1_lS2_PT9_S1_li, .Lfunc_end106-_ZL37rocblas_syrkx_herkx_restricted_kernelIidLi16ELi32ELi8ELb1ELb0ELc84ELc85EKddEviT_T0_PT8_S1_lS4_S1_lS2_PT9_S1_li
                                        ; -- End function
	.set _ZL37rocblas_syrkx_herkx_restricted_kernelIidLi16ELi32ELi8ELb1ELb0ELc84ELc85EKddEviT_T0_PT8_S1_lS4_S1_lS2_PT9_S1_li.num_vgpr, 32
	.set _ZL37rocblas_syrkx_herkx_restricted_kernelIidLi16ELi32ELi8ELb1ELb0ELc84ELc85EKddEviT_T0_PT8_S1_lS4_S1_lS2_PT9_S1_li.num_agpr, 0
	.set _ZL37rocblas_syrkx_herkx_restricted_kernelIidLi16ELi32ELi8ELb1ELb0ELc84ELc85EKddEviT_T0_PT8_S1_lS4_S1_lS2_PT9_S1_li.numbered_sgpr, 22
	.set _ZL37rocblas_syrkx_herkx_restricted_kernelIidLi16ELi32ELi8ELb1ELb0ELc84ELc85EKddEviT_T0_PT8_S1_lS4_S1_lS2_PT9_S1_li.num_named_barrier, 0
	.set _ZL37rocblas_syrkx_herkx_restricted_kernelIidLi16ELi32ELi8ELb1ELb0ELc84ELc85EKddEviT_T0_PT8_S1_lS4_S1_lS2_PT9_S1_li.private_seg_size, 0
	.set _ZL37rocblas_syrkx_herkx_restricted_kernelIidLi16ELi32ELi8ELb1ELb0ELc84ELc85EKddEviT_T0_PT8_S1_lS4_S1_lS2_PT9_S1_li.uses_vcc, 1
	.set _ZL37rocblas_syrkx_herkx_restricted_kernelIidLi16ELi32ELi8ELb1ELb0ELc84ELc85EKddEviT_T0_PT8_S1_lS4_S1_lS2_PT9_S1_li.uses_flat_scratch, 0
	.set _ZL37rocblas_syrkx_herkx_restricted_kernelIidLi16ELi32ELi8ELb1ELb0ELc84ELc85EKddEviT_T0_PT8_S1_lS4_S1_lS2_PT9_S1_li.has_dyn_sized_stack, 0
	.set _ZL37rocblas_syrkx_herkx_restricted_kernelIidLi16ELi32ELi8ELb1ELb0ELc84ELc85EKddEviT_T0_PT8_S1_lS4_S1_lS2_PT9_S1_li.has_recursion, 0
	.set _ZL37rocblas_syrkx_herkx_restricted_kernelIidLi16ELi32ELi8ELb1ELb0ELc84ELc85EKddEviT_T0_PT8_S1_lS4_S1_lS2_PT9_S1_li.has_indirect_call, 0
	.section	.AMDGPU.csdata,"",@progbits
; Kernel info:
; codeLenInByte = 1276
; TotalNumSgprs: 26
; NumVgprs: 32
; ScratchSize: 0
; MemoryBound: 0
; FloatMode: 240
; IeeeMode: 1
; LDSByteSize: 4096 bytes/workgroup (compile time only)
; SGPRBlocks: 3
; VGPRBlocks: 7
; NumSGPRsForWavesPerEU: 26
; NumVGPRsForWavesPerEU: 32
; Occupancy: 8
; WaveLimiterHint : 0
; COMPUTE_PGM_RSRC2:SCRATCH_EN: 0
; COMPUTE_PGM_RSRC2:USER_SGPR: 6
; COMPUTE_PGM_RSRC2:TRAP_HANDLER: 0
; COMPUTE_PGM_RSRC2:TGID_X_EN: 1
; COMPUTE_PGM_RSRC2:TGID_Y_EN: 1
; COMPUTE_PGM_RSRC2:TGID_Z_EN: 1
; COMPUTE_PGM_RSRC2:TIDIG_COMP_CNT: 1
	.section	.text._ZL37rocblas_syrkx_herkx_restricted_kernelIidLi16ELi32ELi8ELb1ELb0ELc67ELc85EKddEviT_T0_PT8_S1_lS4_S1_lS2_PT9_S1_li,"axG",@progbits,_ZL37rocblas_syrkx_herkx_restricted_kernelIidLi16ELi32ELi8ELb1ELb0ELc67ELc85EKddEviT_T0_PT8_S1_lS4_S1_lS2_PT9_S1_li,comdat
	.globl	_ZL37rocblas_syrkx_herkx_restricted_kernelIidLi16ELi32ELi8ELb1ELb0ELc67ELc85EKddEviT_T0_PT8_S1_lS4_S1_lS2_PT9_S1_li ; -- Begin function _ZL37rocblas_syrkx_herkx_restricted_kernelIidLi16ELi32ELi8ELb1ELb0ELc67ELc85EKddEviT_T0_PT8_S1_lS4_S1_lS2_PT9_S1_li
	.p2align	8
	.type	_ZL37rocblas_syrkx_herkx_restricted_kernelIidLi16ELi32ELi8ELb1ELb0ELc67ELc85EKddEviT_T0_PT8_S1_lS4_S1_lS2_PT9_S1_li,@function
_ZL37rocblas_syrkx_herkx_restricted_kernelIidLi16ELi32ELi8ELb1ELb0ELc67ELc85EKddEviT_T0_PT8_S1_lS4_S1_lS2_PT9_S1_li: ; @_ZL37rocblas_syrkx_herkx_restricted_kernelIidLi16ELi32ELi8ELb1ELb0ELc67ELc85EKddEviT_T0_PT8_S1_lS4_S1_lS2_PT9_S1_li
; %bb.0:
	s_load_dwordx2 s[10:11], s[4:5], 0x0
	s_load_dwordx4 s[12:15], s[4:5], 0x8
	s_lshl_b32 s6, s6, 5
	s_lshl_b32 s7, s7, 5
	s_mov_b32 s9, 0
	s_waitcnt lgkmcnt(0)
	s_cmp_lt_i32 s11, 1
	s_cbranch_scc1 .LBB107_3
; %bb.1:
	s_load_dword s20, s[4:5], 0x18
	s_load_dwordx4 s[0:3], s[4:5], 0x20
	s_load_dword s18, s[4:5], 0x30
	s_load_dwordx2 s[16:17], s[4:5], 0x38
	v_lshl_add_u32 v3, v1, 4, v0
	v_lshrrev_b32_e32 v6, 3, v3
	v_and_b32_e32 v7, 31, v3
	v_lshrrev_b32_e32 v4, 5, v3
	v_and_b32_e32 v2, 7, v0
	v_add_u32_e32 v8, s7, v6
	v_mov_b32_e32 v3, 0
	v_lshlrev_b32_e32 v9, 3, v7
	v_mov_b32_e32 v5, v3
	v_lshl_or_b32 v14, v4, 8, v9
	v_lshlrev_b32_e32 v9, 3, v2
	s_waitcnt lgkmcnt(0)
	v_mad_i64_i32 v[2:3], s[18:19], s18, v8, v[2:3]
	s_mul_i32 s17, s17, s8
	s_mul_hi_u32 s21, s16, s8
	s_add_i32 s17, s21, s17
	s_mul_i32 s16, s16, s8
	s_lshl_b64 s[16:17], s[16:17], 3
	v_lshlrev_b64 v[2:3], 3, v[2:3]
	s_add_u32 s2, s2, s16
	v_lshl_or_b32 v6, v6, 6, v9
	s_addc_u32 s3, s3, s17
	v_add_u32_e32 v15, 0x800, v6
	v_mov_b32_e32 v6, s3
	v_add_co_u32_e32 v2, vcc, s2, v2
	v_addc_co_u32_e32 v3, vcc, v6, v3, vcc
	v_add_u32_e32 v6, s6, v7
	v_mad_i64_i32 v[4:5], s[2:3], s20, v6, v[4:5]
	s_mul_i32 s1, s1, s8
	s_mul_hi_u32 s16, s0, s8
	s_add_i32 s1, s16, s1
	s_mul_i32 s0, s0, s8
	s_lshl_b64 s[0:1], s[0:1], 3
	v_lshlrev_b64 v[4:5], 3, v[4:5]
	s_add_u32 s0, s14, s0
	s_addc_u32 s1, s15, s1
	v_mov_b32_e32 v6, s1
	v_add_co_u32_e32 v4, vcc, s0, v4
	v_mov_b32_e32 v17, 0x800
	v_addc_co_u32_e32 v5, vcc, v6, v5, vcc
	v_mov_b32_e32 v6, 0
	v_mov_b32_e32 v8, 0
	;; [unrolled: 1-line block ×4, first 2 shown]
	v_lshlrev_b32_e32 v16, 3, v0
	v_mov_b32_e32 v7, 0
	v_mov_b32_e32 v9, 0
	;; [unrolled: 1-line block ×4, first 2 shown]
	v_lshl_add_u32 v17, v1, 6, v17
.LBB107_2:                              ; =>This Inner Loop Header: Depth=1
	global_load_dwordx2 v[18:19], v[4:5], off
	global_load_dwordx2 v[20:21], v[2:3], off
	s_add_i32 s9, s9, 8
	v_add_co_u32_e32 v2, vcc, 64, v2
	v_add_co_u32_e64 v4, s[0:1], 64, v4
	v_addc_co_u32_e32 v3, vcc, 0, v3, vcc
	v_addc_co_u32_e64 v5, vcc, 0, v5, s[0:1]
	s_cmp_ge_i32 s9, s11
	s_waitcnt vmcnt(1)
	ds_write_b64 v14, v[18:19]
	s_waitcnt vmcnt(0)
	ds_write_b64 v15, v[20:21]
	s_waitcnt lgkmcnt(0)
	s_barrier
	ds_read2_b64 v[18:21], v16 offset1:16
	ds_read_b128 v[22:25], v17
	s_waitcnt lgkmcnt(0)
	v_fma_f64 v[26:27], v[18:19], v[22:23], v[12:13]
	v_fma_f64 v[22:23], v[20:21], v[22:23], v[10:11]
	ds_read_b128 v[10:13], v17 offset:1024
	s_waitcnt lgkmcnt(0)
	v_fma_f64 v[18:19], v[18:19], v[10:11], v[8:9]
	v_fma_f64 v[10:11], v[20:21], v[10:11], v[6:7]
	ds_read2_b64 v[6:9], v16 offset0:32 offset1:48
	s_waitcnt lgkmcnt(0)
	v_fma_f64 v[20:21], v[6:7], v[24:25], v[26:27]
	v_fma_f64 v[22:23], v[8:9], v[24:25], v[22:23]
	;; [unrolled: 1-line block ×4, first 2 shown]
	ds_read_b128 v[6:9], v17 offset:16
	ds_read2_b64 v[10:13], v16 offset0:64 offset1:80
	s_waitcnt lgkmcnt(0)
	v_fma_f64 v[28:29], v[10:11], v[6:7], v[20:21]
	ds_read_b128 v[18:21], v17 offset:1040
	v_fma_f64 v[6:7], v[12:13], v[6:7], v[22:23]
	s_waitcnt lgkmcnt(0)
	v_fma_f64 v[22:23], v[10:11], v[18:19], v[24:25]
	v_fma_f64 v[18:19], v[12:13], v[18:19], v[26:27]
	ds_read2_b64 v[10:13], v16 offset0:96 offset1:112
	s_waitcnt lgkmcnt(0)
	v_fma_f64 v[24:25], v[10:11], v[8:9], v[28:29]
	v_fma_f64 v[26:27], v[12:13], v[8:9], v[6:7]
	;; [unrolled: 1-line block ×4, first 2 shown]
	ds_read2_b64 v[6:9], v16 offset0:128 offset1:144
	ds_read_b128 v[10:13], v17 offset:32
	ds_read_b128 v[18:21], v17 offset:1056
	s_waitcnt lgkmcnt(1)
	v_fma_f64 v[24:25], v[6:7], v[10:11], v[24:25]
	v_fma_f64 v[10:11], v[8:9], v[10:11], v[26:27]
	s_waitcnt lgkmcnt(0)
	v_fma_f64 v[22:23], v[6:7], v[18:19], v[22:23]
	v_fma_f64 v[18:19], v[8:9], v[18:19], v[28:29]
	ds_read2_b64 v[6:9], v16 offset0:160 offset1:176
	s_waitcnt lgkmcnt(0)
	v_fma_f64 v[24:25], v[6:7], v[12:13], v[24:25]
	v_fma_f64 v[26:27], v[8:9], v[12:13], v[10:11]
	;; [unrolled: 1-line block ×4, first 2 shown]
	ds_read_b128 v[6:9], v17 offset:48
	ds_read2_b64 v[10:13], v16 offset0:192 offset1:208
	ds_read_b128 v[18:21], v17 offset:1072
	s_waitcnt lgkmcnt(1)
	v_fma_f64 v[30:31], v[10:11], v[6:7], v[24:25]
	v_fma_f64 v[6:7], v[12:13], v[6:7], v[26:27]
	s_waitcnt lgkmcnt(0)
	v_fma_f64 v[26:27], v[10:11], v[18:19], v[22:23]
	v_fma_f64 v[18:19], v[12:13], v[18:19], v[28:29]
	ds_read2_b64 v[22:25], v16 offset0:224 offset1:240
	s_waitcnt lgkmcnt(0)
	s_barrier
	v_fma_f64 v[12:13], v[22:23], v[8:9], v[30:31]
	v_fma_f64 v[10:11], v[24:25], v[8:9], v[6:7]
	;; [unrolled: 1-line block ×4, first 2 shown]
	s_cbranch_scc0 .LBB107_2
	s_branch .LBB107_4
.LBB107_3:
	v_mov_b32_e32 v12, 0
	v_mov_b32_e32 v10, 0
	;; [unrolled: 1-line block ×8, first 2 shown]
.LBB107_4:
	s_load_dwordx2 s[0:1], s[4:5], 0x58
	s_load_dwordx2 s[2:3], s[4:5], 0x48
	s_load_dword s9, s[4:5], 0x50
	v_add_u32_e32 v4, s7, v1
	v_add_u32_e32 v0, s6, v0
	s_waitcnt lgkmcnt(0)
	s_mul_i32 s1, s1, s8
	s_mul_hi_u32 s4, s0, s8
	v_mad_i64_i32 v[1:2], s[14:15], v4, s9, 0
	s_mul_i32 s0, s0, s8
	s_add_i32 s1, s4, s1
	s_lshl_b64 s[0:1], s[0:1], 3
	s_add_u32 s4, s2, s0
	v_lshlrev_b64 v[1:2], 3, v[1:2]
	s_addc_u32 s5, s3, s1
	v_mov_b32_e32 v3, s5
	v_add_co_u32_e64 v5, s[0:1], s4, v1
	v_addc_co_u32_e64 v14, s[0:1], v3, v2, s[0:1]
	v_cmp_gt_i32_e32 vcc, s10, v4
	v_cmp_le_i32_e64 s[0:1], v0, v4
	s_and_b64 s[0:1], vcc, s[0:1]
	s_and_saveexec_b64 s[2:3], s[0:1]
	s_cbranch_execz .LBB107_6
; %bb.5:
	v_mul_f64 v[2:3], s[12:13], v[12:13]
	v_ashrrev_i32_e32 v1, 31, v0
	v_lshlrev_b64 v[12:13], 3, v[0:1]
	v_add_co_u32_e64 v12, s[0:1], v5, v12
	v_addc_co_u32_e64 v13, s[0:1], v14, v13, s[0:1]
	global_store_dwordx2 v[12:13], v[2:3], off
.LBB107_6:
	s_or_b64 exec, exec, s[2:3]
	v_add_u32_e32 v2, 16, v0
	v_cmp_le_i32_e64 s[0:1], v2, v4
	s_and_b64 s[2:3], vcc, s[0:1]
	s_and_saveexec_b64 s[0:1], s[2:3]
	s_cbranch_execz .LBB107_8
; %bb.7:
	v_mul_f64 v[10:11], s[12:13], v[10:11]
	v_ashrrev_i32_e32 v3, 31, v2
	v_lshlrev_b64 v[12:13], 3, v[2:3]
	v_add_co_u32_e32 v12, vcc, v5, v12
	v_addc_co_u32_e32 v13, vcc, v14, v13, vcc
	global_store_dwordx2 v[12:13], v[10:11], off
.LBB107_8:
	s_or_b64 exec, exec, s[0:1]
	v_add_u32_e32 v3, 16, v4
	v_mad_i64_i32 v[4:5], s[0:1], v3, s9, 0
	v_mov_b32_e32 v1, s5
	v_cmp_gt_i32_e32 vcc, s10, v3
	v_lshlrev_b64 v[4:5], 3, v[4:5]
	v_add_co_u32_e64 v4, s[0:1], s4, v4
	v_addc_co_u32_e64 v5, s[0:1], v1, v5, s[0:1]
	v_cmp_le_i32_e64 s[0:1], v0, v3
	s_and_b64 s[0:1], vcc, s[0:1]
	s_and_saveexec_b64 s[2:3], s[0:1]
	s_cbranch_execz .LBB107_10
; %bb.9:
	v_mul_f64 v[8:9], s[12:13], v[8:9]
	v_ashrrev_i32_e32 v1, 31, v0
	v_lshlrev_b64 v[0:1], 3, v[0:1]
	v_add_co_u32_e64 v0, s[0:1], v4, v0
	v_addc_co_u32_e64 v1, s[0:1], v5, v1, s[0:1]
	global_store_dwordx2 v[0:1], v[8:9], off
.LBB107_10:
	s_or_b64 exec, exec, s[2:3]
	v_cmp_le_i32_e64 s[0:1], v2, v3
	s_and_b64 s[0:1], vcc, s[0:1]
	s_and_saveexec_b64 s[2:3], s[0:1]
	s_cbranch_execz .LBB107_12
; %bb.11:
	v_mul_f64 v[0:1], s[12:13], v[6:7]
	v_ashrrev_i32_e32 v3, 31, v2
	v_lshlrev_b64 v[2:3], 3, v[2:3]
	v_add_co_u32_e32 v2, vcc, v4, v2
	v_addc_co_u32_e32 v3, vcc, v5, v3, vcc
	global_store_dwordx2 v[2:3], v[0:1], off
.LBB107_12:
	s_endpgm
	.section	.rodata,"a",@progbits
	.p2align	6, 0x0
	.amdhsa_kernel _ZL37rocblas_syrkx_herkx_restricted_kernelIidLi16ELi32ELi8ELb1ELb0ELc67ELc85EKddEviT_T0_PT8_S1_lS4_S1_lS2_PT9_S1_li
		.amdhsa_group_segment_fixed_size 4096
		.amdhsa_private_segment_fixed_size 0
		.amdhsa_kernarg_size 100
		.amdhsa_user_sgpr_count 6
		.amdhsa_user_sgpr_private_segment_buffer 1
		.amdhsa_user_sgpr_dispatch_ptr 0
		.amdhsa_user_sgpr_queue_ptr 0
		.amdhsa_user_sgpr_kernarg_segment_ptr 1
		.amdhsa_user_sgpr_dispatch_id 0
		.amdhsa_user_sgpr_flat_scratch_init 0
		.amdhsa_user_sgpr_private_segment_size 0
		.amdhsa_uses_dynamic_stack 0
		.amdhsa_system_sgpr_private_segment_wavefront_offset 0
		.amdhsa_system_sgpr_workgroup_id_x 1
		.amdhsa_system_sgpr_workgroup_id_y 1
		.amdhsa_system_sgpr_workgroup_id_z 1
		.amdhsa_system_sgpr_workgroup_info 0
		.amdhsa_system_vgpr_workitem_id 1
		.amdhsa_next_free_vgpr 32
		.amdhsa_next_free_sgpr 22
		.amdhsa_reserve_vcc 1
		.amdhsa_reserve_flat_scratch 0
		.amdhsa_float_round_mode_32 0
		.amdhsa_float_round_mode_16_64 0
		.amdhsa_float_denorm_mode_32 3
		.amdhsa_float_denorm_mode_16_64 3
		.amdhsa_dx10_clamp 1
		.amdhsa_ieee_mode 1
		.amdhsa_fp16_overflow 0
		.amdhsa_exception_fp_ieee_invalid_op 0
		.amdhsa_exception_fp_denorm_src 0
		.amdhsa_exception_fp_ieee_div_zero 0
		.amdhsa_exception_fp_ieee_overflow 0
		.amdhsa_exception_fp_ieee_underflow 0
		.amdhsa_exception_fp_ieee_inexact 0
		.amdhsa_exception_int_div_zero 0
	.end_amdhsa_kernel
	.section	.text._ZL37rocblas_syrkx_herkx_restricted_kernelIidLi16ELi32ELi8ELb1ELb0ELc67ELc85EKddEviT_T0_PT8_S1_lS4_S1_lS2_PT9_S1_li,"axG",@progbits,_ZL37rocblas_syrkx_herkx_restricted_kernelIidLi16ELi32ELi8ELb1ELb0ELc67ELc85EKddEviT_T0_PT8_S1_lS4_S1_lS2_PT9_S1_li,comdat
.Lfunc_end107:
	.size	_ZL37rocblas_syrkx_herkx_restricted_kernelIidLi16ELi32ELi8ELb1ELb0ELc67ELc85EKddEviT_T0_PT8_S1_lS4_S1_lS2_PT9_S1_li, .Lfunc_end107-_ZL37rocblas_syrkx_herkx_restricted_kernelIidLi16ELi32ELi8ELb1ELb0ELc67ELc85EKddEviT_T0_PT8_S1_lS4_S1_lS2_PT9_S1_li
                                        ; -- End function
	.set _ZL37rocblas_syrkx_herkx_restricted_kernelIidLi16ELi32ELi8ELb1ELb0ELc67ELc85EKddEviT_T0_PT8_S1_lS4_S1_lS2_PT9_S1_li.num_vgpr, 32
	.set _ZL37rocblas_syrkx_herkx_restricted_kernelIidLi16ELi32ELi8ELb1ELb0ELc67ELc85EKddEviT_T0_PT8_S1_lS4_S1_lS2_PT9_S1_li.num_agpr, 0
	.set _ZL37rocblas_syrkx_herkx_restricted_kernelIidLi16ELi32ELi8ELb1ELb0ELc67ELc85EKddEviT_T0_PT8_S1_lS4_S1_lS2_PT9_S1_li.numbered_sgpr, 22
	.set _ZL37rocblas_syrkx_herkx_restricted_kernelIidLi16ELi32ELi8ELb1ELb0ELc67ELc85EKddEviT_T0_PT8_S1_lS4_S1_lS2_PT9_S1_li.num_named_barrier, 0
	.set _ZL37rocblas_syrkx_herkx_restricted_kernelIidLi16ELi32ELi8ELb1ELb0ELc67ELc85EKddEviT_T0_PT8_S1_lS4_S1_lS2_PT9_S1_li.private_seg_size, 0
	.set _ZL37rocblas_syrkx_herkx_restricted_kernelIidLi16ELi32ELi8ELb1ELb0ELc67ELc85EKddEviT_T0_PT8_S1_lS4_S1_lS2_PT9_S1_li.uses_vcc, 1
	.set _ZL37rocblas_syrkx_herkx_restricted_kernelIidLi16ELi32ELi8ELb1ELb0ELc67ELc85EKddEviT_T0_PT8_S1_lS4_S1_lS2_PT9_S1_li.uses_flat_scratch, 0
	.set _ZL37rocblas_syrkx_herkx_restricted_kernelIidLi16ELi32ELi8ELb1ELb0ELc67ELc85EKddEviT_T0_PT8_S1_lS4_S1_lS2_PT9_S1_li.has_dyn_sized_stack, 0
	.set _ZL37rocblas_syrkx_herkx_restricted_kernelIidLi16ELi32ELi8ELb1ELb0ELc67ELc85EKddEviT_T0_PT8_S1_lS4_S1_lS2_PT9_S1_li.has_recursion, 0
	.set _ZL37rocblas_syrkx_herkx_restricted_kernelIidLi16ELi32ELi8ELb1ELb0ELc67ELc85EKddEviT_T0_PT8_S1_lS4_S1_lS2_PT9_S1_li.has_indirect_call, 0
	.section	.AMDGPU.csdata,"",@progbits
; Kernel info:
; codeLenInByte = 1276
; TotalNumSgprs: 26
; NumVgprs: 32
; ScratchSize: 0
; MemoryBound: 0
; FloatMode: 240
; IeeeMode: 1
; LDSByteSize: 4096 bytes/workgroup (compile time only)
; SGPRBlocks: 3
; VGPRBlocks: 7
; NumSGPRsForWavesPerEU: 26
; NumVGPRsForWavesPerEU: 32
; Occupancy: 8
; WaveLimiterHint : 0
; COMPUTE_PGM_RSRC2:SCRATCH_EN: 0
; COMPUTE_PGM_RSRC2:USER_SGPR: 6
; COMPUTE_PGM_RSRC2:TRAP_HANDLER: 0
; COMPUTE_PGM_RSRC2:TGID_X_EN: 1
; COMPUTE_PGM_RSRC2:TGID_Y_EN: 1
; COMPUTE_PGM_RSRC2:TGID_Z_EN: 1
; COMPUTE_PGM_RSRC2:TIDIG_COMP_CNT: 1
	.section	.text._ZL37rocblas_syrkx_herkx_restricted_kernelIidLi16ELi32ELi8ELb1ELb0ELc78ELc85EKddEviT_T0_PT8_S1_lS4_S1_lS2_PT9_S1_li,"axG",@progbits,_ZL37rocblas_syrkx_herkx_restricted_kernelIidLi16ELi32ELi8ELb1ELb0ELc78ELc85EKddEviT_T0_PT8_S1_lS4_S1_lS2_PT9_S1_li,comdat
	.globl	_ZL37rocblas_syrkx_herkx_restricted_kernelIidLi16ELi32ELi8ELb1ELb0ELc78ELc85EKddEviT_T0_PT8_S1_lS4_S1_lS2_PT9_S1_li ; -- Begin function _ZL37rocblas_syrkx_herkx_restricted_kernelIidLi16ELi32ELi8ELb1ELb0ELc78ELc85EKddEviT_T0_PT8_S1_lS4_S1_lS2_PT9_S1_li
	.p2align	8
	.type	_ZL37rocblas_syrkx_herkx_restricted_kernelIidLi16ELi32ELi8ELb1ELb0ELc78ELc85EKddEviT_T0_PT8_S1_lS4_S1_lS2_PT9_S1_li,@function
_ZL37rocblas_syrkx_herkx_restricted_kernelIidLi16ELi32ELi8ELb1ELb0ELc78ELc85EKddEviT_T0_PT8_S1_lS4_S1_lS2_PT9_S1_li: ; @_ZL37rocblas_syrkx_herkx_restricted_kernelIidLi16ELi32ELi8ELb1ELb0ELc78ELc85EKddEviT_T0_PT8_S1_lS4_S1_lS2_PT9_S1_li
; %bb.0:
	s_load_dwordx2 s[10:11], s[4:5], 0x0
	s_load_dwordx4 s[12:15], s[4:5], 0x8
	s_lshl_b32 s9, s6, 5
	s_lshl_b32 s16, s7, 5
	s_mov_b32 s17, 0
	s_waitcnt lgkmcnt(0)
	s_cmp_lt_i32 s11, 1
	s_cbranch_scc1 .LBB108_3
; %bb.1:
	v_lshl_add_u32 v2, v1, 4, v0
	s_load_dword s6, s[4:5], 0x18
	s_load_dword s18, s[4:5], 0x30
	s_load_dwordx2 s[20:21], s[4:5], 0x38
	s_load_dwordx4 s[0:3], s[4:5], 0x20
	v_lshrrev_b32_e32 v4, 3, v2
	v_lshrrev_b32_e32 v6, 5, v2
	v_and_b32_e32 v7, 31, v2
	v_add_u32_e32 v2, s16, v4
	v_and_b32_e32 v5, 7, v0
	v_ashrrev_i32_e32 v3, 31, v2
	s_waitcnt lgkmcnt(0)
	v_mad_i64_i32 v[2:3], s[22:23], s18, v5, v[2:3]
	s_mul_i32 s21, s21, s8
	s_mul_hi_u32 s24, s20, s8
	v_lshlrev_b32_e32 v8, 3, v7
	s_add_i32 s21, s24, s21
	s_mul_i32 s20, s20, s8
	s_ashr_i32 s7, s6, 31
	s_ashr_i32 s19, s18, 31
	v_lshl_or_b32 v14, v6, 8, v8
	v_lshlrev_b32_e32 v8, 3, v5
	s_lshl_b64 s[20:21], s[20:21], 3
	v_lshl_or_b32 v4, v4, 6, v8
	v_lshlrev_b64 v[2:3], 3, v[2:3]
	s_add_u32 s2, s2, s20
	v_add_u32_e32 v15, 0x800, v4
	v_mov_b32_e32 v4, 0x800
	s_addc_u32 s3, s3, s21
	v_lshl_add_u32 v17, v1, 6, v4
	v_mov_b32_e32 v4, s3
	v_add_co_u32_e32 v2, vcc, s2, v2
	v_addc_co_u32_e32 v3, vcc, v4, v3, vcc
	v_add_u32_e32 v4, s9, v7
	v_ashrrev_i32_e32 v5, 31, v4
	s_lshl_b64 s[2:3], s[18:19], 6
	v_mad_i64_i32 v[4:5], s[18:19], s6, v6, v[4:5]
	s_mul_i32 s1, s1, s8
	s_mul_hi_u32 s20, s0, s8
	s_add_i32 s1, s20, s1
	s_mul_i32 s0, s0, s8
	s_lshl_b64 s[0:1], s[0:1], 3
	v_lshlrev_b64 v[4:5], 3, v[4:5]
	s_add_u32 s0, s14, s0
	s_addc_u32 s1, s15, s1
	v_mov_b32_e32 v6, s1
	v_add_co_u32_e32 v4, vcc, s0, v4
	v_addc_co_u32_e32 v5, vcc, v6, v5, vcc
	s_lshl_b64 s[6:7], s[6:7], 6
	v_mov_b32_e32 v6, 0
	v_mov_b32_e32 v8, 0
	;; [unrolled: 1-line block ×4, first 2 shown]
	v_lshlrev_b32_e32 v16, 3, v0
	v_mov_b32_e32 v7, 0
	v_mov_b32_e32 v18, s3
	;; [unrolled: 1-line block ×6, first 2 shown]
.LBB108_2:                              ; =>This Inner Loop Header: Depth=1
	global_load_dwordx2 v[20:21], v[4:5], off
	global_load_dwordx2 v[22:23], v[2:3], off
	s_add_i32 s17, s17, 8
	v_add_co_u32_e32 v2, vcc, s2, v2
	v_add_co_u32_e64 v4, s[0:1], s6, v4
	v_addc_co_u32_e32 v3, vcc, v3, v18, vcc
	v_addc_co_u32_e64 v5, vcc, v5, v19, s[0:1]
	s_cmp_ge_i32 s17, s11
	s_waitcnt vmcnt(1)
	ds_write_b64 v14, v[20:21]
	s_waitcnt vmcnt(0)
	ds_write_b64 v15, v[22:23]
	s_waitcnt lgkmcnt(0)
	s_barrier
	ds_read2_b64 v[20:23], v16 offset1:16
	ds_read_b128 v[24:27], v17
	s_waitcnt lgkmcnt(0)
	v_fma_f64 v[28:29], v[20:21], v[24:25], v[12:13]
	v_fma_f64 v[24:25], v[22:23], v[24:25], v[10:11]
	ds_read_b128 v[10:13], v17 offset:1024
	s_waitcnt lgkmcnt(0)
	v_fma_f64 v[20:21], v[20:21], v[10:11], v[8:9]
	v_fma_f64 v[10:11], v[22:23], v[10:11], v[6:7]
	ds_read2_b64 v[6:9], v16 offset0:32 offset1:48
	s_waitcnt lgkmcnt(0)
	v_fma_f64 v[22:23], v[6:7], v[26:27], v[28:29]
	v_fma_f64 v[24:25], v[8:9], v[26:27], v[24:25]
	;; [unrolled: 1-line block ×4, first 2 shown]
	ds_read_b128 v[6:9], v17 offset:16
	ds_read2_b64 v[10:13], v16 offset0:64 offset1:80
	s_waitcnt lgkmcnt(0)
	v_fma_f64 v[30:31], v[10:11], v[6:7], v[22:23]
	ds_read_b128 v[20:23], v17 offset:1040
	v_fma_f64 v[6:7], v[12:13], v[6:7], v[24:25]
	s_waitcnt lgkmcnt(0)
	v_fma_f64 v[24:25], v[10:11], v[20:21], v[26:27]
	v_fma_f64 v[20:21], v[12:13], v[20:21], v[28:29]
	ds_read2_b64 v[10:13], v16 offset0:96 offset1:112
	s_waitcnt lgkmcnt(0)
	v_fma_f64 v[26:27], v[10:11], v[8:9], v[30:31]
	v_fma_f64 v[28:29], v[12:13], v[8:9], v[6:7]
	;; [unrolled: 1-line block ×4, first 2 shown]
	ds_read2_b64 v[6:9], v16 offset0:128 offset1:144
	ds_read_b128 v[10:13], v17 offset:32
	ds_read_b128 v[20:23], v17 offset:1056
	s_waitcnt lgkmcnt(1)
	v_fma_f64 v[26:27], v[6:7], v[10:11], v[26:27]
	v_fma_f64 v[10:11], v[8:9], v[10:11], v[28:29]
	s_waitcnt lgkmcnt(0)
	v_fma_f64 v[24:25], v[6:7], v[20:21], v[24:25]
	v_fma_f64 v[20:21], v[8:9], v[20:21], v[30:31]
	ds_read2_b64 v[6:9], v16 offset0:160 offset1:176
	s_waitcnt lgkmcnt(0)
	v_fma_f64 v[26:27], v[6:7], v[12:13], v[26:27]
	v_fma_f64 v[28:29], v[8:9], v[12:13], v[10:11]
	;; [unrolled: 1-line block ×4, first 2 shown]
	ds_read_b128 v[6:9], v17 offset:48
	ds_read2_b64 v[10:13], v16 offset0:192 offset1:208
	ds_read_b128 v[20:23], v17 offset:1072
	s_waitcnt lgkmcnt(1)
	v_fma_f64 v[32:33], v[10:11], v[6:7], v[26:27]
	v_fma_f64 v[6:7], v[12:13], v[6:7], v[28:29]
	s_waitcnt lgkmcnt(0)
	v_fma_f64 v[28:29], v[10:11], v[20:21], v[24:25]
	v_fma_f64 v[20:21], v[12:13], v[20:21], v[30:31]
	ds_read2_b64 v[24:27], v16 offset0:224 offset1:240
	s_waitcnt lgkmcnt(0)
	s_barrier
	v_fma_f64 v[12:13], v[24:25], v[8:9], v[32:33]
	v_fma_f64 v[10:11], v[26:27], v[8:9], v[6:7]
	;; [unrolled: 1-line block ×4, first 2 shown]
	s_cbranch_scc0 .LBB108_2
	s_branch .LBB108_4
.LBB108_3:
	v_mov_b32_e32 v12, 0
	v_mov_b32_e32 v10, 0
	;; [unrolled: 1-line block ×8, first 2 shown]
.LBB108_4:
	s_load_dwordx2 s[0:1], s[4:5], 0x58
	s_load_dwordx2 s[2:3], s[4:5], 0x48
	s_load_dword s6, s[4:5], 0x50
	v_add_u32_e32 v4, s16, v1
	v_add_u32_e32 v0, s9, v0
	s_waitcnt lgkmcnt(0)
	s_mul_i32 s1, s1, s8
	s_mul_hi_u32 s4, s0, s8
	v_mad_i64_i32 v[1:2], s[14:15], v4, s6, 0
	s_mul_i32 s0, s0, s8
	s_add_i32 s1, s4, s1
	s_lshl_b64 s[0:1], s[0:1], 3
	s_add_u32 s4, s2, s0
	v_lshlrev_b64 v[1:2], 3, v[1:2]
	s_addc_u32 s5, s3, s1
	v_mov_b32_e32 v3, s5
	v_add_co_u32_e64 v5, s[0:1], s4, v1
	v_addc_co_u32_e64 v14, s[0:1], v3, v2, s[0:1]
	v_cmp_gt_i32_e32 vcc, s10, v4
	v_cmp_le_i32_e64 s[0:1], v0, v4
	s_and_b64 s[0:1], vcc, s[0:1]
	s_and_saveexec_b64 s[2:3], s[0:1]
	s_cbranch_execz .LBB108_6
; %bb.5:
	v_mul_f64 v[2:3], s[12:13], v[12:13]
	v_ashrrev_i32_e32 v1, 31, v0
	v_lshlrev_b64 v[12:13], 3, v[0:1]
	v_add_co_u32_e64 v12, s[0:1], v5, v12
	v_addc_co_u32_e64 v13, s[0:1], v14, v13, s[0:1]
	global_store_dwordx2 v[12:13], v[2:3], off
.LBB108_6:
	s_or_b64 exec, exec, s[2:3]
	v_add_u32_e32 v2, 16, v0
	v_cmp_le_i32_e64 s[0:1], v2, v4
	s_and_b64 s[2:3], vcc, s[0:1]
	s_and_saveexec_b64 s[0:1], s[2:3]
	s_cbranch_execz .LBB108_8
; %bb.7:
	v_mul_f64 v[10:11], s[12:13], v[10:11]
	v_ashrrev_i32_e32 v3, 31, v2
	v_lshlrev_b64 v[12:13], 3, v[2:3]
	v_add_co_u32_e32 v12, vcc, v5, v12
	v_addc_co_u32_e32 v13, vcc, v14, v13, vcc
	global_store_dwordx2 v[12:13], v[10:11], off
.LBB108_8:
	s_or_b64 exec, exec, s[0:1]
	v_add_u32_e32 v3, 16, v4
	v_mad_i64_i32 v[4:5], s[0:1], v3, s6, 0
	v_mov_b32_e32 v1, s5
	v_cmp_gt_i32_e32 vcc, s10, v3
	v_lshlrev_b64 v[4:5], 3, v[4:5]
	v_add_co_u32_e64 v4, s[0:1], s4, v4
	v_addc_co_u32_e64 v5, s[0:1], v1, v5, s[0:1]
	v_cmp_le_i32_e64 s[0:1], v0, v3
	s_and_b64 s[0:1], vcc, s[0:1]
	s_and_saveexec_b64 s[2:3], s[0:1]
	s_cbranch_execz .LBB108_10
; %bb.9:
	v_mul_f64 v[8:9], s[12:13], v[8:9]
	v_ashrrev_i32_e32 v1, 31, v0
	v_lshlrev_b64 v[0:1], 3, v[0:1]
	v_add_co_u32_e64 v0, s[0:1], v4, v0
	v_addc_co_u32_e64 v1, s[0:1], v5, v1, s[0:1]
	global_store_dwordx2 v[0:1], v[8:9], off
.LBB108_10:
	s_or_b64 exec, exec, s[2:3]
	v_cmp_le_i32_e64 s[0:1], v2, v3
	s_and_b64 s[0:1], vcc, s[0:1]
	s_and_saveexec_b64 s[2:3], s[0:1]
	s_cbranch_execz .LBB108_12
; %bb.11:
	v_mul_f64 v[0:1], s[12:13], v[6:7]
	v_ashrrev_i32_e32 v3, 31, v2
	v_lshlrev_b64 v[2:3], 3, v[2:3]
	v_add_co_u32_e32 v2, vcc, v4, v2
	v_addc_co_u32_e32 v3, vcc, v5, v3, vcc
	global_store_dwordx2 v[2:3], v[0:1], off
.LBB108_12:
	s_endpgm
	.section	.rodata,"a",@progbits
	.p2align	6, 0x0
	.amdhsa_kernel _ZL37rocblas_syrkx_herkx_restricted_kernelIidLi16ELi32ELi8ELb1ELb0ELc78ELc85EKddEviT_T0_PT8_S1_lS4_S1_lS2_PT9_S1_li
		.amdhsa_group_segment_fixed_size 4096
		.amdhsa_private_segment_fixed_size 0
		.amdhsa_kernarg_size 100
		.amdhsa_user_sgpr_count 6
		.amdhsa_user_sgpr_private_segment_buffer 1
		.amdhsa_user_sgpr_dispatch_ptr 0
		.amdhsa_user_sgpr_queue_ptr 0
		.amdhsa_user_sgpr_kernarg_segment_ptr 1
		.amdhsa_user_sgpr_dispatch_id 0
		.amdhsa_user_sgpr_flat_scratch_init 0
		.amdhsa_user_sgpr_private_segment_size 0
		.amdhsa_uses_dynamic_stack 0
		.amdhsa_system_sgpr_private_segment_wavefront_offset 0
		.amdhsa_system_sgpr_workgroup_id_x 1
		.amdhsa_system_sgpr_workgroup_id_y 1
		.amdhsa_system_sgpr_workgroup_id_z 1
		.amdhsa_system_sgpr_workgroup_info 0
		.amdhsa_system_vgpr_workitem_id 1
		.amdhsa_next_free_vgpr 34
		.amdhsa_next_free_sgpr 25
		.amdhsa_reserve_vcc 1
		.amdhsa_reserve_flat_scratch 0
		.amdhsa_float_round_mode_32 0
		.amdhsa_float_round_mode_16_64 0
		.amdhsa_float_denorm_mode_32 3
		.amdhsa_float_denorm_mode_16_64 3
		.amdhsa_dx10_clamp 1
		.amdhsa_ieee_mode 1
		.amdhsa_fp16_overflow 0
		.amdhsa_exception_fp_ieee_invalid_op 0
		.amdhsa_exception_fp_denorm_src 0
		.amdhsa_exception_fp_ieee_div_zero 0
		.amdhsa_exception_fp_ieee_overflow 0
		.amdhsa_exception_fp_ieee_underflow 0
		.amdhsa_exception_fp_ieee_inexact 0
		.amdhsa_exception_int_div_zero 0
	.end_amdhsa_kernel
	.section	.text._ZL37rocblas_syrkx_herkx_restricted_kernelIidLi16ELi32ELi8ELb1ELb0ELc78ELc85EKddEviT_T0_PT8_S1_lS4_S1_lS2_PT9_S1_li,"axG",@progbits,_ZL37rocblas_syrkx_herkx_restricted_kernelIidLi16ELi32ELi8ELb1ELb0ELc78ELc85EKddEviT_T0_PT8_S1_lS4_S1_lS2_PT9_S1_li,comdat
.Lfunc_end108:
	.size	_ZL37rocblas_syrkx_herkx_restricted_kernelIidLi16ELi32ELi8ELb1ELb0ELc78ELc85EKddEviT_T0_PT8_S1_lS4_S1_lS2_PT9_S1_li, .Lfunc_end108-_ZL37rocblas_syrkx_herkx_restricted_kernelIidLi16ELi32ELi8ELb1ELb0ELc78ELc85EKddEviT_T0_PT8_S1_lS4_S1_lS2_PT9_S1_li
                                        ; -- End function
	.set _ZL37rocblas_syrkx_herkx_restricted_kernelIidLi16ELi32ELi8ELb1ELb0ELc78ELc85EKddEviT_T0_PT8_S1_lS4_S1_lS2_PT9_S1_li.num_vgpr, 34
	.set _ZL37rocblas_syrkx_herkx_restricted_kernelIidLi16ELi32ELi8ELb1ELb0ELc78ELc85EKddEviT_T0_PT8_S1_lS4_S1_lS2_PT9_S1_li.num_agpr, 0
	.set _ZL37rocblas_syrkx_herkx_restricted_kernelIidLi16ELi32ELi8ELb1ELb0ELc78ELc85EKddEviT_T0_PT8_S1_lS4_S1_lS2_PT9_S1_li.numbered_sgpr, 25
	.set _ZL37rocblas_syrkx_herkx_restricted_kernelIidLi16ELi32ELi8ELb1ELb0ELc78ELc85EKddEviT_T0_PT8_S1_lS4_S1_lS2_PT9_S1_li.num_named_barrier, 0
	.set _ZL37rocblas_syrkx_herkx_restricted_kernelIidLi16ELi32ELi8ELb1ELb0ELc78ELc85EKddEviT_T0_PT8_S1_lS4_S1_lS2_PT9_S1_li.private_seg_size, 0
	.set _ZL37rocblas_syrkx_herkx_restricted_kernelIidLi16ELi32ELi8ELb1ELb0ELc78ELc85EKddEviT_T0_PT8_S1_lS4_S1_lS2_PT9_S1_li.uses_vcc, 1
	.set _ZL37rocblas_syrkx_herkx_restricted_kernelIidLi16ELi32ELi8ELb1ELb0ELc78ELc85EKddEviT_T0_PT8_S1_lS4_S1_lS2_PT9_S1_li.uses_flat_scratch, 0
	.set _ZL37rocblas_syrkx_herkx_restricted_kernelIidLi16ELi32ELi8ELb1ELb0ELc78ELc85EKddEviT_T0_PT8_S1_lS4_S1_lS2_PT9_S1_li.has_dyn_sized_stack, 0
	.set _ZL37rocblas_syrkx_herkx_restricted_kernelIidLi16ELi32ELi8ELb1ELb0ELc78ELc85EKddEviT_T0_PT8_S1_lS4_S1_lS2_PT9_S1_li.has_recursion, 0
	.set _ZL37rocblas_syrkx_herkx_restricted_kernelIidLi16ELi32ELi8ELb1ELb0ELc78ELc85EKddEviT_T0_PT8_S1_lS4_S1_lS2_PT9_S1_li.has_indirect_call, 0
	.section	.AMDGPU.csdata,"",@progbits
; Kernel info:
; codeLenInByte = 1300
; TotalNumSgprs: 29
; NumVgprs: 34
; ScratchSize: 0
; MemoryBound: 0
; FloatMode: 240
; IeeeMode: 1
; LDSByteSize: 4096 bytes/workgroup (compile time only)
; SGPRBlocks: 3
; VGPRBlocks: 8
; NumSGPRsForWavesPerEU: 29
; NumVGPRsForWavesPerEU: 34
; Occupancy: 7
; WaveLimiterHint : 0
; COMPUTE_PGM_RSRC2:SCRATCH_EN: 0
; COMPUTE_PGM_RSRC2:USER_SGPR: 6
; COMPUTE_PGM_RSRC2:TRAP_HANDLER: 0
; COMPUTE_PGM_RSRC2:TGID_X_EN: 1
; COMPUTE_PGM_RSRC2:TGID_Y_EN: 1
; COMPUTE_PGM_RSRC2:TGID_Z_EN: 1
; COMPUTE_PGM_RSRC2:TIDIG_COMP_CNT: 1
	.section	.text._ZL37rocblas_syrkx_herkx_restricted_kernelIidLi16ELi32ELi8ELb0ELb0ELc84ELc76EKddEviT_T0_PT8_S1_lS4_S1_lS2_PT9_S1_li,"axG",@progbits,_ZL37rocblas_syrkx_herkx_restricted_kernelIidLi16ELi32ELi8ELb0ELb0ELc84ELc76EKddEviT_T0_PT8_S1_lS4_S1_lS2_PT9_S1_li,comdat
	.globl	_ZL37rocblas_syrkx_herkx_restricted_kernelIidLi16ELi32ELi8ELb0ELb0ELc84ELc76EKddEviT_T0_PT8_S1_lS4_S1_lS2_PT9_S1_li ; -- Begin function _ZL37rocblas_syrkx_herkx_restricted_kernelIidLi16ELi32ELi8ELb0ELb0ELc84ELc76EKddEviT_T0_PT8_S1_lS4_S1_lS2_PT9_S1_li
	.p2align	8
	.type	_ZL37rocblas_syrkx_herkx_restricted_kernelIidLi16ELi32ELi8ELb0ELb0ELc84ELc76EKddEviT_T0_PT8_S1_lS4_S1_lS2_PT9_S1_li,@function
_ZL37rocblas_syrkx_herkx_restricted_kernelIidLi16ELi32ELi8ELb0ELb0ELc84ELc76EKddEviT_T0_PT8_S1_lS4_S1_lS2_PT9_S1_li: ; @_ZL37rocblas_syrkx_herkx_restricted_kernelIidLi16ELi32ELi8ELb0ELb0ELc84ELc76EKddEviT_T0_PT8_S1_lS4_S1_lS2_PT9_S1_li
; %bb.0:
	s_load_dwordx2 s[10:11], s[4:5], 0x0
	s_load_dwordx4 s[12:15], s[4:5], 0x8
	s_load_dwordx4 s[16:19], s[4:5], 0x38
	s_load_dwordx2 s[20:21], s[4:5], 0x48
	s_lshl_b32 s6, s6, 5
	s_lshl_b32 s7, s7, 5
	s_waitcnt lgkmcnt(0)
	s_cmp_lt_i32 s11, 1
	s_mov_b32 s9, 0
	s_cbranch_scc1 .LBB109_3
; %bb.1:
	s_load_dword s24, s[4:5], 0x18
	s_load_dwordx4 s[0:3], s[4:5], 0x20
	s_load_dword s22, s[4:5], 0x30
	v_lshl_add_u32 v3, v1, 4, v0
	v_lshrrev_b32_e32 v6, 3, v3
	v_and_b32_e32 v7, 31, v3
	v_lshrrev_b32_e32 v4, 5, v3
	v_and_b32_e32 v2, 7, v0
	v_add_u32_e32 v8, s7, v6
	v_mov_b32_e32 v3, 0
	v_lshlrev_b32_e32 v9, 3, v7
	v_mov_b32_e32 v5, v3
	v_lshl_or_b32 v14, v4, 8, v9
	v_lshlrev_b32_e32 v9, 3, v2
	s_waitcnt lgkmcnt(0)
	v_mad_i64_i32 v[2:3], s[22:23], s22, v8, v[2:3]
	s_mul_i32 s17, s17, s8
	s_mul_hi_u32 s25, s16, s8
	s_add_i32 s17, s25, s17
	s_mul_i32 s16, s16, s8
	s_lshl_b64 s[16:17], s[16:17], 3
	v_lshlrev_b64 v[2:3], 3, v[2:3]
	s_add_u32 s2, s2, s16
	v_lshl_or_b32 v6, v6, 6, v9
	s_addc_u32 s3, s3, s17
	v_add_u32_e32 v15, 0x800, v6
	v_mov_b32_e32 v6, s3
	v_add_co_u32_e32 v2, vcc, s2, v2
	v_addc_co_u32_e32 v3, vcc, v6, v3, vcc
	v_add_u32_e32 v6, s6, v7
	v_mad_i64_i32 v[4:5], s[2:3], s24, v6, v[4:5]
	s_mul_i32 s1, s1, s8
	s_mul_hi_u32 s16, s0, s8
	s_add_i32 s1, s16, s1
	s_mul_i32 s0, s0, s8
	s_lshl_b64 s[0:1], s[0:1], 3
	v_lshlrev_b64 v[4:5], 3, v[4:5]
	s_add_u32 s0, s14, s0
	s_addc_u32 s1, s15, s1
	v_mov_b32_e32 v6, s1
	v_add_co_u32_e32 v4, vcc, s0, v4
	v_mov_b32_e32 v17, 0x800
	v_addc_co_u32_e32 v5, vcc, v6, v5, vcc
	v_mov_b32_e32 v6, 0
	v_mov_b32_e32 v8, 0
	;; [unrolled: 1-line block ×4, first 2 shown]
	v_lshlrev_b32_e32 v16, 3, v0
	v_mov_b32_e32 v7, 0
	v_mov_b32_e32 v9, 0
	;; [unrolled: 1-line block ×4, first 2 shown]
	v_lshl_add_u32 v17, v1, 6, v17
.LBB109_2:                              ; =>This Inner Loop Header: Depth=1
	global_load_dwordx2 v[18:19], v[4:5], off
	global_load_dwordx2 v[20:21], v[2:3], off
	s_add_i32 s9, s9, 8
	v_add_co_u32_e32 v2, vcc, 64, v2
	v_add_co_u32_e64 v4, s[0:1], 64, v4
	v_addc_co_u32_e32 v3, vcc, 0, v3, vcc
	v_addc_co_u32_e64 v5, vcc, 0, v5, s[0:1]
	s_cmp_ge_i32 s9, s11
	s_waitcnt vmcnt(1)
	ds_write_b64 v14, v[18:19]
	s_waitcnt vmcnt(0)
	ds_write_b64 v15, v[20:21]
	s_waitcnt lgkmcnt(0)
	s_barrier
	ds_read2_b64 v[18:21], v16 offset1:16
	ds_read_b128 v[22:25], v17
	s_waitcnt lgkmcnt(0)
	v_fma_f64 v[26:27], v[18:19], v[22:23], v[12:13]
	v_fma_f64 v[22:23], v[20:21], v[22:23], v[10:11]
	ds_read_b128 v[10:13], v17 offset:1024
	s_waitcnt lgkmcnt(0)
	v_fma_f64 v[18:19], v[18:19], v[10:11], v[8:9]
	v_fma_f64 v[10:11], v[20:21], v[10:11], v[6:7]
	ds_read2_b64 v[6:9], v16 offset0:32 offset1:48
	s_waitcnt lgkmcnt(0)
	v_fma_f64 v[20:21], v[6:7], v[24:25], v[26:27]
	v_fma_f64 v[22:23], v[8:9], v[24:25], v[22:23]
	;; [unrolled: 1-line block ×4, first 2 shown]
	ds_read_b128 v[6:9], v17 offset:16
	ds_read2_b64 v[10:13], v16 offset0:64 offset1:80
	s_waitcnt lgkmcnt(0)
	v_fma_f64 v[28:29], v[10:11], v[6:7], v[20:21]
	ds_read_b128 v[18:21], v17 offset:1040
	v_fma_f64 v[6:7], v[12:13], v[6:7], v[22:23]
	s_waitcnt lgkmcnt(0)
	v_fma_f64 v[22:23], v[10:11], v[18:19], v[24:25]
	v_fma_f64 v[18:19], v[12:13], v[18:19], v[26:27]
	ds_read2_b64 v[10:13], v16 offset0:96 offset1:112
	s_waitcnt lgkmcnt(0)
	v_fma_f64 v[24:25], v[10:11], v[8:9], v[28:29]
	v_fma_f64 v[26:27], v[12:13], v[8:9], v[6:7]
	;; [unrolled: 1-line block ×4, first 2 shown]
	ds_read2_b64 v[6:9], v16 offset0:128 offset1:144
	ds_read_b128 v[10:13], v17 offset:32
	ds_read_b128 v[18:21], v17 offset:1056
	s_waitcnt lgkmcnt(1)
	v_fma_f64 v[24:25], v[6:7], v[10:11], v[24:25]
	v_fma_f64 v[10:11], v[8:9], v[10:11], v[26:27]
	s_waitcnt lgkmcnt(0)
	v_fma_f64 v[22:23], v[6:7], v[18:19], v[22:23]
	v_fma_f64 v[18:19], v[8:9], v[18:19], v[28:29]
	ds_read2_b64 v[6:9], v16 offset0:160 offset1:176
	s_waitcnt lgkmcnt(0)
	v_fma_f64 v[24:25], v[6:7], v[12:13], v[24:25]
	v_fma_f64 v[26:27], v[8:9], v[12:13], v[10:11]
	;; [unrolled: 1-line block ×4, first 2 shown]
	ds_read_b128 v[6:9], v17 offset:48
	ds_read2_b64 v[10:13], v16 offset0:192 offset1:208
	ds_read_b128 v[18:21], v17 offset:1072
	s_waitcnt lgkmcnt(1)
	v_fma_f64 v[30:31], v[10:11], v[6:7], v[24:25]
	v_fma_f64 v[6:7], v[12:13], v[6:7], v[26:27]
	s_waitcnt lgkmcnt(0)
	v_fma_f64 v[26:27], v[10:11], v[18:19], v[22:23]
	v_fma_f64 v[18:19], v[12:13], v[18:19], v[28:29]
	ds_read2_b64 v[22:25], v16 offset0:224 offset1:240
	s_waitcnt lgkmcnt(0)
	s_barrier
	v_fma_f64 v[12:13], v[22:23], v[8:9], v[30:31]
	v_fma_f64 v[10:11], v[24:25], v[8:9], v[6:7]
	;; [unrolled: 1-line block ×4, first 2 shown]
	s_cbranch_scc0 .LBB109_2
	s_branch .LBB109_4
.LBB109_3:
	v_mov_b32_e32 v12, 0
	v_mov_b32_e32 v10, 0
	;; [unrolled: 1-line block ×8, first 2 shown]
.LBB109_4:
	s_load_dwordx2 s[0:1], s[4:5], 0x58
	s_load_dword s9, s[4:5], 0x50
	v_add_u32_e32 v4, s7, v1
	v_add_u32_e32 v0, s6, v0
	s_waitcnt lgkmcnt(0)
	s_mul_i32 s1, s1, s8
	s_mul_hi_u32 s2, s0, s8
	s_add_i32 s1, s2, s1
	v_mad_i64_i32 v[1:2], s[2:3], v4, s9, 0
	s_mul_i32 s0, s0, s8
	s_lshl_b64 s[0:1], s[0:1], 3
	s_add_u32 s7, s20, s0
	v_lshlrev_b64 v[1:2], 3, v[1:2]
	s_addc_u32 s8, s21, s1
	v_mov_b32_e32 v3, s8
	v_add_co_u32_e32 v5, vcc, s7, v1
	v_addc_co_u32_e32 v14, vcc, v3, v2, vcc
	v_cmp_le_i32_e64 s[0:1], v4, v0
	v_cmp_gt_i32_e32 vcc, s10, v0
	s_and_b64 s[0:1], s[0:1], vcc
	s_and_saveexec_b64 s[2:3], s[0:1]
	s_cbranch_execz .LBB109_6
; %bb.5:
	v_ashrrev_i32_e32 v1, 31, v0
	v_lshlrev_b64 v[1:2], 3, v[0:1]
	v_add_co_u32_e64 v1, s[0:1], v5, v1
	v_addc_co_u32_e64 v2, s[0:1], v14, v2, s[0:1]
	global_load_dwordx2 v[15:16], v[1:2], off
	s_waitcnt vmcnt(0)
	v_mul_f64 v[15:16], s[18:19], v[15:16]
	v_fma_f64 v[12:13], s[12:13], v[12:13], v[15:16]
	global_store_dwordx2 v[1:2], v[12:13], off
.LBB109_6:
	s_or_b64 exec, exec, s[2:3]
	v_add_u32_e32 v2, 16, v0
	v_cmp_le_i32_e64 s[2:3], v4, v2
	v_cmp_gt_i32_e64 s[0:1], s10, v2
	s_and_b64 s[2:3], s[2:3], s[0:1]
	s_and_saveexec_b64 s[4:5], s[2:3]
	s_cbranch_execz .LBB109_8
; %bb.7:
	v_ashrrev_i32_e32 v3, 31, v2
	v_lshlrev_b64 v[12:13], 3, v[2:3]
	v_add_co_u32_e64 v12, s[2:3], v5, v12
	v_addc_co_u32_e64 v13, s[2:3], v14, v13, s[2:3]
	global_load_dwordx2 v[14:15], v[12:13], off
	s_waitcnt vmcnt(0)
	v_mul_f64 v[14:15], s[18:19], v[14:15]
	v_fma_f64 v[10:11], s[12:13], v[10:11], v[14:15]
	global_store_dwordx2 v[12:13], v[10:11], off
.LBB109_8:
	s_or_b64 exec, exec, s[4:5]
	v_add_u32_e32 v3, 16, v4
	v_mad_i64_i32 v[4:5], s[2:3], v3, s9, 0
	v_mov_b32_e32 v1, s8
	v_lshlrev_b64 v[4:5], 3, v[4:5]
	v_add_co_u32_e64 v4, s[2:3], s7, v4
	v_addc_co_u32_e64 v5, s[2:3], v1, v5, s[2:3]
	v_cmp_le_i32_e64 s[2:3], v3, v0
	s_and_b64 s[4:5], s[2:3], vcc
	s_and_saveexec_b64 s[2:3], s[4:5]
	s_cbranch_execz .LBB109_10
; %bb.9:
	v_ashrrev_i32_e32 v1, 31, v0
	v_lshlrev_b64 v[0:1], 3, v[0:1]
	v_add_co_u32_e32 v0, vcc, v4, v0
	v_addc_co_u32_e32 v1, vcc, v5, v1, vcc
	global_load_dwordx2 v[10:11], v[0:1], off
	s_waitcnt vmcnt(0)
	v_mul_f64 v[10:11], s[18:19], v[10:11]
	v_fma_f64 v[8:9], s[12:13], v[8:9], v[10:11]
	global_store_dwordx2 v[0:1], v[8:9], off
.LBB109_10:
	s_or_b64 exec, exec, s[2:3]
	v_cmp_le_i32_e32 vcc, v3, v2
	s_and_b64 s[0:1], vcc, s[0:1]
	s_and_saveexec_b64 s[2:3], s[0:1]
	s_cbranch_execz .LBB109_12
; %bb.11:
	v_ashrrev_i32_e32 v3, 31, v2
	v_lshlrev_b64 v[0:1], 3, v[2:3]
	v_add_co_u32_e32 v0, vcc, v4, v0
	v_addc_co_u32_e32 v1, vcc, v5, v1, vcc
	global_load_dwordx2 v[2:3], v[0:1], off
	s_waitcnt vmcnt(0)
	v_mul_f64 v[2:3], s[18:19], v[2:3]
	v_fma_f64 v[2:3], s[12:13], v[6:7], v[2:3]
	global_store_dwordx2 v[0:1], v[2:3], off
.LBB109_12:
	s_endpgm
	.section	.rodata,"a",@progbits
	.p2align	6, 0x0
	.amdhsa_kernel _ZL37rocblas_syrkx_herkx_restricted_kernelIidLi16ELi32ELi8ELb0ELb0ELc84ELc76EKddEviT_T0_PT8_S1_lS4_S1_lS2_PT9_S1_li
		.amdhsa_group_segment_fixed_size 4096
		.amdhsa_private_segment_fixed_size 0
		.amdhsa_kernarg_size 100
		.amdhsa_user_sgpr_count 6
		.amdhsa_user_sgpr_private_segment_buffer 1
		.amdhsa_user_sgpr_dispatch_ptr 0
		.amdhsa_user_sgpr_queue_ptr 0
		.amdhsa_user_sgpr_kernarg_segment_ptr 1
		.amdhsa_user_sgpr_dispatch_id 0
		.amdhsa_user_sgpr_flat_scratch_init 0
		.amdhsa_user_sgpr_private_segment_size 0
		.amdhsa_uses_dynamic_stack 0
		.amdhsa_system_sgpr_private_segment_wavefront_offset 0
		.amdhsa_system_sgpr_workgroup_id_x 1
		.amdhsa_system_sgpr_workgroup_id_y 1
		.amdhsa_system_sgpr_workgroup_id_z 1
		.amdhsa_system_sgpr_workgroup_info 0
		.amdhsa_system_vgpr_workitem_id 1
		.amdhsa_next_free_vgpr 32
		.amdhsa_next_free_sgpr 26
		.amdhsa_reserve_vcc 1
		.amdhsa_reserve_flat_scratch 0
		.amdhsa_float_round_mode_32 0
		.amdhsa_float_round_mode_16_64 0
		.amdhsa_float_denorm_mode_32 3
		.amdhsa_float_denorm_mode_16_64 3
		.amdhsa_dx10_clamp 1
		.amdhsa_ieee_mode 1
		.amdhsa_fp16_overflow 0
		.amdhsa_exception_fp_ieee_invalid_op 0
		.amdhsa_exception_fp_denorm_src 0
		.amdhsa_exception_fp_ieee_div_zero 0
		.amdhsa_exception_fp_ieee_overflow 0
		.amdhsa_exception_fp_ieee_underflow 0
		.amdhsa_exception_fp_ieee_inexact 0
		.amdhsa_exception_int_div_zero 0
	.end_amdhsa_kernel
	.section	.text._ZL37rocblas_syrkx_herkx_restricted_kernelIidLi16ELi32ELi8ELb0ELb0ELc84ELc76EKddEviT_T0_PT8_S1_lS4_S1_lS2_PT9_S1_li,"axG",@progbits,_ZL37rocblas_syrkx_herkx_restricted_kernelIidLi16ELi32ELi8ELb0ELb0ELc84ELc76EKddEviT_T0_PT8_S1_lS4_S1_lS2_PT9_S1_li,comdat
.Lfunc_end109:
	.size	_ZL37rocblas_syrkx_herkx_restricted_kernelIidLi16ELi32ELi8ELb0ELb0ELc84ELc76EKddEviT_T0_PT8_S1_lS4_S1_lS2_PT9_S1_li, .Lfunc_end109-_ZL37rocblas_syrkx_herkx_restricted_kernelIidLi16ELi32ELi8ELb0ELb0ELc84ELc76EKddEviT_T0_PT8_S1_lS4_S1_lS2_PT9_S1_li
                                        ; -- End function
	.set _ZL37rocblas_syrkx_herkx_restricted_kernelIidLi16ELi32ELi8ELb0ELb0ELc84ELc76EKddEviT_T0_PT8_S1_lS4_S1_lS2_PT9_S1_li.num_vgpr, 32
	.set _ZL37rocblas_syrkx_herkx_restricted_kernelIidLi16ELi32ELi8ELb0ELb0ELc84ELc76EKddEviT_T0_PT8_S1_lS4_S1_lS2_PT9_S1_li.num_agpr, 0
	.set _ZL37rocblas_syrkx_herkx_restricted_kernelIidLi16ELi32ELi8ELb0ELb0ELc84ELc76EKddEviT_T0_PT8_S1_lS4_S1_lS2_PT9_S1_li.numbered_sgpr, 26
	.set _ZL37rocblas_syrkx_herkx_restricted_kernelIidLi16ELi32ELi8ELb0ELb0ELc84ELc76EKddEviT_T0_PT8_S1_lS4_S1_lS2_PT9_S1_li.num_named_barrier, 0
	.set _ZL37rocblas_syrkx_herkx_restricted_kernelIidLi16ELi32ELi8ELb0ELb0ELc84ELc76EKddEviT_T0_PT8_S1_lS4_S1_lS2_PT9_S1_li.private_seg_size, 0
	.set _ZL37rocblas_syrkx_herkx_restricted_kernelIidLi16ELi32ELi8ELb0ELb0ELc84ELc76EKddEviT_T0_PT8_S1_lS4_S1_lS2_PT9_S1_li.uses_vcc, 1
	.set _ZL37rocblas_syrkx_herkx_restricted_kernelIidLi16ELi32ELi8ELb0ELb0ELc84ELc76EKddEviT_T0_PT8_S1_lS4_S1_lS2_PT9_S1_li.uses_flat_scratch, 0
	.set _ZL37rocblas_syrkx_herkx_restricted_kernelIidLi16ELi32ELi8ELb0ELb0ELc84ELc76EKddEviT_T0_PT8_S1_lS4_S1_lS2_PT9_S1_li.has_dyn_sized_stack, 0
	.set _ZL37rocblas_syrkx_herkx_restricted_kernelIidLi16ELi32ELi8ELb0ELb0ELc84ELc76EKddEviT_T0_PT8_S1_lS4_S1_lS2_PT9_S1_li.has_recursion, 0
	.set _ZL37rocblas_syrkx_herkx_restricted_kernelIidLi16ELi32ELi8ELb0ELb0ELc84ELc76EKddEviT_T0_PT8_S1_lS4_S1_lS2_PT9_S1_li.has_indirect_call, 0
	.section	.AMDGPU.csdata,"",@progbits
; Kernel info:
; codeLenInByte = 1348
; TotalNumSgprs: 30
; NumVgprs: 32
; ScratchSize: 0
; MemoryBound: 0
; FloatMode: 240
; IeeeMode: 1
; LDSByteSize: 4096 bytes/workgroup (compile time only)
; SGPRBlocks: 3
; VGPRBlocks: 7
; NumSGPRsForWavesPerEU: 30
; NumVGPRsForWavesPerEU: 32
; Occupancy: 8
; WaveLimiterHint : 0
; COMPUTE_PGM_RSRC2:SCRATCH_EN: 0
; COMPUTE_PGM_RSRC2:USER_SGPR: 6
; COMPUTE_PGM_RSRC2:TRAP_HANDLER: 0
; COMPUTE_PGM_RSRC2:TGID_X_EN: 1
; COMPUTE_PGM_RSRC2:TGID_Y_EN: 1
; COMPUTE_PGM_RSRC2:TGID_Z_EN: 1
; COMPUTE_PGM_RSRC2:TIDIG_COMP_CNT: 1
	.section	.text._ZL37rocblas_syrkx_herkx_restricted_kernelIidLi16ELi32ELi8ELb0ELb0ELc67ELc76EKddEviT_T0_PT8_S1_lS4_S1_lS2_PT9_S1_li,"axG",@progbits,_ZL37rocblas_syrkx_herkx_restricted_kernelIidLi16ELi32ELi8ELb0ELb0ELc67ELc76EKddEviT_T0_PT8_S1_lS4_S1_lS2_PT9_S1_li,comdat
	.globl	_ZL37rocblas_syrkx_herkx_restricted_kernelIidLi16ELi32ELi8ELb0ELb0ELc67ELc76EKddEviT_T0_PT8_S1_lS4_S1_lS2_PT9_S1_li ; -- Begin function _ZL37rocblas_syrkx_herkx_restricted_kernelIidLi16ELi32ELi8ELb0ELb0ELc67ELc76EKddEviT_T0_PT8_S1_lS4_S1_lS2_PT9_S1_li
	.p2align	8
	.type	_ZL37rocblas_syrkx_herkx_restricted_kernelIidLi16ELi32ELi8ELb0ELb0ELc67ELc76EKddEviT_T0_PT8_S1_lS4_S1_lS2_PT9_S1_li,@function
_ZL37rocblas_syrkx_herkx_restricted_kernelIidLi16ELi32ELi8ELb0ELb0ELc67ELc76EKddEviT_T0_PT8_S1_lS4_S1_lS2_PT9_S1_li: ; @_ZL37rocblas_syrkx_herkx_restricted_kernelIidLi16ELi32ELi8ELb0ELb0ELc67ELc76EKddEviT_T0_PT8_S1_lS4_S1_lS2_PT9_S1_li
; %bb.0:
	s_load_dwordx2 s[10:11], s[4:5], 0x0
	s_load_dwordx4 s[12:15], s[4:5], 0x8
	s_load_dwordx4 s[16:19], s[4:5], 0x38
	s_load_dwordx2 s[20:21], s[4:5], 0x48
	s_lshl_b32 s6, s6, 5
	s_lshl_b32 s7, s7, 5
	s_waitcnt lgkmcnt(0)
	s_cmp_lt_i32 s11, 1
	s_mov_b32 s9, 0
	s_cbranch_scc1 .LBB110_3
; %bb.1:
	s_load_dword s24, s[4:5], 0x18
	s_load_dwordx4 s[0:3], s[4:5], 0x20
	s_load_dword s22, s[4:5], 0x30
	v_lshl_add_u32 v3, v1, 4, v0
	v_lshrrev_b32_e32 v6, 3, v3
	v_and_b32_e32 v7, 31, v3
	v_lshrrev_b32_e32 v4, 5, v3
	v_and_b32_e32 v2, 7, v0
	v_add_u32_e32 v8, s7, v6
	v_mov_b32_e32 v3, 0
	v_lshlrev_b32_e32 v9, 3, v7
	v_mov_b32_e32 v5, v3
	v_lshl_or_b32 v14, v4, 8, v9
	v_lshlrev_b32_e32 v9, 3, v2
	s_waitcnt lgkmcnt(0)
	v_mad_i64_i32 v[2:3], s[22:23], s22, v8, v[2:3]
	s_mul_i32 s17, s17, s8
	s_mul_hi_u32 s25, s16, s8
	s_add_i32 s17, s25, s17
	s_mul_i32 s16, s16, s8
	s_lshl_b64 s[16:17], s[16:17], 3
	v_lshlrev_b64 v[2:3], 3, v[2:3]
	s_add_u32 s2, s2, s16
	v_lshl_or_b32 v6, v6, 6, v9
	s_addc_u32 s3, s3, s17
	v_add_u32_e32 v15, 0x800, v6
	v_mov_b32_e32 v6, s3
	v_add_co_u32_e32 v2, vcc, s2, v2
	v_addc_co_u32_e32 v3, vcc, v6, v3, vcc
	v_add_u32_e32 v6, s6, v7
	v_mad_i64_i32 v[4:5], s[2:3], s24, v6, v[4:5]
	s_mul_i32 s1, s1, s8
	s_mul_hi_u32 s16, s0, s8
	s_add_i32 s1, s16, s1
	s_mul_i32 s0, s0, s8
	s_lshl_b64 s[0:1], s[0:1], 3
	v_lshlrev_b64 v[4:5], 3, v[4:5]
	s_add_u32 s0, s14, s0
	s_addc_u32 s1, s15, s1
	v_mov_b32_e32 v6, s1
	v_add_co_u32_e32 v4, vcc, s0, v4
	v_mov_b32_e32 v17, 0x800
	v_addc_co_u32_e32 v5, vcc, v6, v5, vcc
	v_mov_b32_e32 v6, 0
	v_mov_b32_e32 v8, 0
	;; [unrolled: 1-line block ×4, first 2 shown]
	v_lshlrev_b32_e32 v16, 3, v0
	v_mov_b32_e32 v7, 0
	v_mov_b32_e32 v9, 0
	v_mov_b32_e32 v11, 0
	v_mov_b32_e32 v13, 0
	v_lshl_add_u32 v17, v1, 6, v17
.LBB110_2:                              ; =>This Inner Loop Header: Depth=1
	global_load_dwordx2 v[18:19], v[4:5], off
	global_load_dwordx2 v[20:21], v[2:3], off
	s_add_i32 s9, s9, 8
	v_add_co_u32_e32 v2, vcc, 64, v2
	v_add_co_u32_e64 v4, s[0:1], 64, v4
	v_addc_co_u32_e32 v3, vcc, 0, v3, vcc
	v_addc_co_u32_e64 v5, vcc, 0, v5, s[0:1]
	s_cmp_ge_i32 s9, s11
	s_waitcnt vmcnt(1)
	ds_write_b64 v14, v[18:19]
	s_waitcnt vmcnt(0)
	ds_write_b64 v15, v[20:21]
	s_waitcnt lgkmcnt(0)
	s_barrier
	ds_read2_b64 v[18:21], v16 offset1:16
	ds_read_b128 v[22:25], v17
	s_waitcnt lgkmcnt(0)
	v_fma_f64 v[26:27], v[18:19], v[22:23], v[12:13]
	v_fma_f64 v[22:23], v[20:21], v[22:23], v[10:11]
	ds_read_b128 v[10:13], v17 offset:1024
	s_waitcnt lgkmcnt(0)
	v_fma_f64 v[18:19], v[18:19], v[10:11], v[8:9]
	v_fma_f64 v[10:11], v[20:21], v[10:11], v[6:7]
	ds_read2_b64 v[6:9], v16 offset0:32 offset1:48
	s_waitcnt lgkmcnt(0)
	v_fma_f64 v[20:21], v[6:7], v[24:25], v[26:27]
	v_fma_f64 v[22:23], v[8:9], v[24:25], v[22:23]
	;; [unrolled: 1-line block ×4, first 2 shown]
	ds_read_b128 v[6:9], v17 offset:16
	ds_read2_b64 v[10:13], v16 offset0:64 offset1:80
	s_waitcnt lgkmcnt(0)
	v_fma_f64 v[28:29], v[10:11], v[6:7], v[20:21]
	ds_read_b128 v[18:21], v17 offset:1040
	v_fma_f64 v[6:7], v[12:13], v[6:7], v[22:23]
	s_waitcnt lgkmcnt(0)
	v_fma_f64 v[22:23], v[10:11], v[18:19], v[24:25]
	v_fma_f64 v[18:19], v[12:13], v[18:19], v[26:27]
	ds_read2_b64 v[10:13], v16 offset0:96 offset1:112
	s_waitcnt lgkmcnt(0)
	v_fma_f64 v[24:25], v[10:11], v[8:9], v[28:29]
	v_fma_f64 v[26:27], v[12:13], v[8:9], v[6:7]
	;; [unrolled: 1-line block ×4, first 2 shown]
	ds_read2_b64 v[6:9], v16 offset0:128 offset1:144
	ds_read_b128 v[10:13], v17 offset:32
	ds_read_b128 v[18:21], v17 offset:1056
	s_waitcnt lgkmcnt(1)
	v_fma_f64 v[24:25], v[6:7], v[10:11], v[24:25]
	v_fma_f64 v[10:11], v[8:9], v[10:11], v[26:27]
	s_waitcnt lgkmcnt(0)
	v_fma_f64 v[22:23], v[6:7], v[18:19], v[22:23]
	v_fma_f64 v[18:19], v[8:9], v[18:19], v[28:29]
	ds_read2_b64 v[6:9], v16 offset0:160 offset1:176
	s_waitcnt lgkmcnt(0)
	v_fma_f64 v[24:25], v[6:7], v[12:13], v[24:25]
	v_fma_f64 v[26:27], v[8:9], v[12:13], v[10:11]
	;; [unrolled: 1-line block ×4, first 2 shown]
	ds_read_b128 v[6:9], v17 offset:48
	ds_read2_b64 v[10:13], v16 offset0:192 offset1:208
	ds_read_b128 v[18:21], v17 offset:1072
	s_waitcnt lgkmcnt(1)
	v_fma_f64 v[30:31], v[10:11], v[6:7], v[24:25]
	v_fma_f64 v[6:7], v[12:13], v[6:7], v[26:27]
	s_waitcnt lgkmcnt(0)
	v_fma_f64 v[26:27], v[10:11], v[18:19], v[22:23]
	v_fma_f64 v[18:19], v[12:13], v[18:19], v[28:29]
	ds_read2_b64 v[22:25], v16 offset0:224 offset1:240
	s_waitcnt lgkmcnt(0)
	s_barrier
	v_fma_f64 v[12:13], v[22:23], v[8:9], v[30:31]
	v_fma_f64 v[10:11], v[24:25], v[8:9], v[6:7]
	;; [unrolled: 1-line block ×4, first 2 shown]
	s_cbranch_scc0 .LBB110_2
	s_branch .LBB110_4
.LBB110_3:
	v_mov_b32_e32 v12, 0
	v_mov_b32_e32 v10, 0
	;; [unrolled: 1-line block ×8, first 2 shown]
.LBB110_4:
	s_load_dwordx2 s[0:1], s[4:5], 0x58
	s_load_dword s9, s[4:5], 0x50
	v_add_u32_e32 v4, s7, v1
	v_add_u32_e32 v0, s6, v0
	s_waitcnt lgkmcnt(0)
	s_mul_i32 s1, s1, s8
	s_mul_hi_u32 s2, s0, s8
	s_add_i32 s1, s2, s1
	v_mad_i64_i32 v[1:2], s[2:3], v4, s9, 0
	s_mul_i32 s0, s0, s8
	s_lshl_b64 s[0:1], s[0:1], 3
	s_add_u32 s7, s20, s0
	v_lshlrev_b64 v[1:2], 3, v[1:2]
	s_addc_u32 s8, s21, s1
	v_mov_b32_e32 v3, s8
	v_add_co_u32_e32 v5, vcc, s7, v1
	v_addc_co_u32_e32 v14, vcc, v3, v2, vcc
	v_cmp_le_i32_e64 s[0:1], v4, v0
	v_cmp_gt_i32_e32 vcc, s10, v0
	s_and_b64 s[0:1], s[0:1], vcc
	s_and_saveexec_b64 s[2:3], s[0:1]
	s_cbranch_execz .LBB110_6
; %bb.5:
	v_ashrrev_i32_e32 v1, 31, v0
	v_lshlrev_b64 v[1:2], 3, v[0:1]
	v_add_co_u32_e64 v1, s[0:1], v5, v1
	v_addc_co_u32_e64 v2, s[0:1], v14, v2, s[0:1]
	global_load_dwordx2 v[15:16], v[1:2], off
	s_waitcnt vmcnt(0)
	v_mul_f64 v[15:16], s[18:19], v[15:16]
	v_fma_f64 v[12:13], s[12:13], v[12:13], v[15:16]
	global_store_dwordx2 v[1:2], v[12:13], off
.LBB110_6:
	s_or_b64 exec, exec, s[2:3]
	v_add_u32_e32 v2, 16, v0
	v_cmp_le_i32_e64 s[2:3], v4, v2
	v_cmp_gt_i32_e64 s[0:1], s10, v2
	s_and_b64 s[2:3], s[2:3], s[0:1]
	s_and_saveexec_b64 s[4:5], s[2:3]
	s_cbranch_execz .LBB110_8
; %bb.7:
	v_ashrrev_i32_e32 v3, 31, v2
	v_lshlrev_b64 v[12:13], 3, v[2:3]
	v_add_co_u32_e64 v12, s[2:3], v5, v12
	v_addc_co_u32_e64 v13, s[2:3], v14, v13, s[2:3]
	global_load_dwordx2 v[14:15], v[12:13], off
	s_waitcnt vmcnt(0)
	v_mul_f64 v[14:15], s[18:19], v[14:15]
	v_fma_f64 v[10:11], s[12:13], v[10:11], v[14:15]
	global_store_dwordx2 v[12:13], v[10:11], off
.LBB110_8:
	s_or_b64 exec, exec, s[4:5]
	v_add_u32_e32 v3, 16, v4
	v_mad_i64_i32 v[4:5], s[2:3], v3, s9, 0
	v_mov_b32_e32 v1, s8
	v_lshlrev_b64 v[4:5], 3, v[4:5]
	v_add_co_u32_e64 v4, s[2:3], s7, v4
	v_addc_co_u32_e64 v5, s[2:3], v1, v5, s[2:3]
	v_cmp_le_i32_e64 s[2:3], v3, v0
	s_and_b64 s[4:5], s[2:3], vcc
	s_and_saveexec_b64 s[2:3], s[4:5]
	s_cbranch_execz .LBB110_10
; %bb.9:
	v_ashrrev_i32_e32 v1, 31, v0
	v_lshlrev_b64 v[0:1], 3, v[0:1]
	v_add_co_u32_e32 v0, vcc, v4, v0
	v_addc_co_u32_e32 v1, vcc, v5, v1, vcc
	global_load_dwordx2 v[10:11], v[0:1], off
	s_waitcnt vmcnt(0)
	v_mul_f64 v[10:11], s[18:19], v[10:11]
	v_fma_f64 v[8:9], s[12:13], v[8:9], v[10:11]
	global_store_dwordx2 v[0:1], v[8:9], off
.LBB110_10:
	s_or_b64 exec, exec, s[2:3]
	v_cmp_le_i32_e32 vcc, v3, v2
	s_and_b64 s[0:1], vcc, s[0:1]
	s_and_saveexec_b64 s[2:3], s[0:1]
	s_cbranch_execz .LBB110_12
; %bb.11:
	v_ashrrev_i32_e32 v3, 31, v2
	v_lshlrev_b64 v[0:1], 3, v[2:3]
	v_add_co_u32_e32 v0, vcc, v4, v0
	v_addc_co_u32_e32 v1, vcc, v5, v1, vcc
	global_load_dwordx2 v[2:3], v[0:1], off
	s_waitcnt vmcnt(0)
	v_mul_f64 v[2:3], s[18:19], v[2:3]
	v_fma_f64 v[2:3], s[12:13], v[6:7], v[2:3]
	global_store_dwordx2 v[0:1], v[2:3], off
.LBB110_12:
	s_endpgm
	.section	.rodata,"a",@progbits
	.p2align	6, 0x0
	.amdhsa_kernel _ZL37rocblas_syrkx_herkx_restricted_kernelIidLi16ELi32ELi8ELb0ELb0ELc67ELc76EKddEviT_T0_PT8_S1_lS4_S1_lS2_PT9_S1_li
		.amdhsa_group_segment_fixed_size 4096
		.amdhsa_private_segment_fixed_size 0
		.amdhsa_kernarg_size 100
		.amdhsa_user_sgpr_count 6
		.amdhsa_user_sgpr_private_segment_buffer 1
		.amdhsa_user_sgpr_dispatch_ptr 0
		.amdhsa_user_sgpr_queue_ptr 0
		.amdhsa_user_sgpr_kernarg_segment_ptr 1
		.amdhsa_user_sgpr_dispatch_id 0
		.amdhsa_user_sgpr_flat_scratch_init 0
		.amdhsa_user_sgpr_private_segment_size 0
		.amdhsa_uses_dynamic_stack 0
		.amdhsa_system_sgpr_private_segment_wavefront_offset 0
		.amdhsa_system_sgpr_workgroup_id_x 1
		.amdhsa_system_sgpr_workgroup_id_y 1
		.amdhsa_system_sgpr_workgroup_id_z 1
		.amdhsa_system_sgpr_workgroup_info 0
		.amdhsa_system_vgpr_workitem_id 1
		.amdhsa_next_free_vgpr 32
		.amdhsa_next_free_sgpr 26
		.amdhsa_reserve_vcc 1
		.amdhsa_reserve_flat_scratch 0
		.amdhsa_float_round_mode_32 0
		.amdhsa_float_round_mode_16_64 0
		.amdhsa_float_denorm_mode_32 3
		.amdhsa_float_denorm_mode_16_64 3
		.amdhsa_dx10_clamp 1
		.amdhsa_ieee_mode 1
		.amdhsa_fp16_overflow 0
		.amdhsa_exception_fp_ieee_invalid_op 0
		.amdhsa_exception_fp_denorm_src 0
		.amdhsa_exception_fp_ieee_div_zero 0
		.amdhsa_exception_fp_ieee_overflow 0
		.amdhsa_exception_fp_ieee_underflow 0
		.amdhsa_exception_fp_ieee_inexact 0
		.amdhsa_exception_int_div_zero 0
	.end_amdhsa_kernel
	.section	.text._ZL37rocblas_syrkx_herkx_restricted_kernelIidLi16ELi32ELi8ELb0ELb0ELc67ELc76EKddEviT_T0_PT8_S1_lS4_S1_lS2_PT9_S1_li,"axG",@progbits,_ZL37rocblas_syrkx_herkx_restricted_kernelIidLi16ELi32ELi8ELb0ELb0ELc67ELc76EKddEviT_T0_PT8_S1_lS4_S1_lS2_PT9_S1_li,comdat
.Lfunc_end110:
	.size	_ZL37rocblas_syrkx_herkx_restricted_kernelIidLi16ELi32ELi8ELb0ELb0ELc67ELc76EKddEviT_T0_PT8_S1_lS4_S1_lS2_PT9_S1_li, .Lfunc_end110-_ZL37rocblas_syrkx_herkx_restricted_kernelIidLi16ELi32ELi8ELb0ELb0ELc67ELc76EKddEviT_T0_PT8_S1_lS4_S1_lS2_PT9_S1_li
                                        ; -- End function
	.set _ZL37rocblas_syrkx_herkx_restricted_kernelIidLi16ELi32ELi8ELb0ELb0ELc67ELc76EKddEviT_T0_PT8_S1_lS4_S1_lS2_PT9_S1_li.num_vgpr, 32
	.set _ZL37rocblas_syrkx_herkx_restricted_kernelIidLi16ELi32ELi8ELb0ELb0ELc67ELc76EKddEviT_T0_PT8_S1_lS4_S1_lS2_PT9_S1_li.num_agpr, 0
	.set _ZL37rocblas_syrkx_herkx_restricted_kernelIidLi16ELi32ELi8ELb0ELb0ELc67ELc76EKddEviT_T0_PT8_S1_lS4_S1_lS2_PT9_S1_li.numbered_sgpr, 26
	.set _ZL37rocblas_syrkx_herkx_restricted_kernelIidLi16ELi32ELi8ELb0ELb0ELc67ELc76EKddEviT_T0_PT8_S1_lS4_S1_lS2_PT9_S1_li.num_named_barrier, 0
	.set _ZL37rocblas_syrkx_herkx_restricted_kernelIidLi16ELi32ELi8ELb0ELb0ELc67ELc76EKddEviT_T0_PT8_S1_lS4_S1_lS2_PT9_S1_li.private_seg_size, 0
	.set _ZL37rocblas_syrkx_herkx_restricted_kernelIidLi16ELi32ELi8ELb0ELb0ELc67ELc76EKddEviT_T0_PT8_S1_lS4_S1_lS2_PT9_S1_li.uses_vcc, 1
	.set _ZL37rocblas_syrkx_herkx_restricted_kernelIidLi16ELi32ELi8ELb0ELb0ELc67ELc76EKddEviT_T0_PT8_S1_lS4_S1_lS2_PT9_S1_li.uses_flat_scratch, 0
	.set _ZL37rocblas_syrkx_herkx_restricted_kernelIidLi16ELi32ELi8ELb0ELb0ELc67ELc76EKddEviT_T0_PT8_S1_lS4_S1_lS2_PT9_S1_li.has_dyn_sized_stack, 0
	.set _ZL37rocblas_syrkx_herkx_restricted_kernelIidLi16ELi32ELi8ELb0ELb0ELc67ELc76EKddEviT_T0_PT8_S1_lS4_S1_lS2_PT9_S1_li.has_recursion, 0
	.set _ZL37rocblas_syrkx_herkx_restricted_kernelIidLi16ELi32ELi8ELb0ELb0ELc67ELc76EKddEviT_T0_PT8_S1_lS4_S1_lS2_PT9_S1_li.has_indirect_call, 0
	.section	.AMDGPU.csdata,"",@progbits
; Kernel info:
; codeLenInByte = 1348
; TotalNumSgprs: 30
; NumVgprs: 32
; ScratchSize: 0
; MemoryBound: 0
; FloatMode: 240
; IeeeMode: 1
; LDSByteSize: 4096 bytes/workgroup (compile time only)
; SGPRBlocks: 3
; VGPRBlocks: 7
; NumSGPRsForWavesPerEU: 30
; NumVGPRsForWavesPerEU: 32
; Occupancy: 8
; WaveLimiterHint : 0
; COMPUTE_PGM_RSRC2:SCRATCH_EN: 0
; COMPUTE_PGM_RSRC2:USER_SGPR: 6
; COMPUTE_PGM_RSRC2:TRAP_HANDLER: 0
; COMPUTE_PGM_RSRC2:TGID_X_EN: 1
; COMPUTE_PGM_RSRC2:TGID_Y_EN: 1
; COMPUTE_PGM_RSRC2:TGID_Z_EN: 1
; COMPUTE_PGM_RSRC2:TIDIG_COMP_CNT: 1
	.section	.text._ZL37rocblas_syrkx_herkx_restricted_kernelIidLi16ELi32ELi8ELb0ELb0ELc78ELc76EKddEviT_T0_PT8_S1_lS4_S1_lS2_PT9_S1_li,"axG",@progbits,_ZL37rocblas_syrkx_herkx_restricted_kernelIidLi16ELi32ELi8ELb0ELb0ELc78ELc76EKddEviT_T0_PT8_S1_lS4_S1_lS2_PT9_S1_li,comdat
	.globl	_ZL37rocblas_syrkx_herkx_restricted_kernelIidLi16ELi32ELi8ELb0ELb0ELc78ELc76EKddEviT_T0_PT8_S1_lS4_S1_lS2_PT9_S1_li ; -- Begin function _ZL37rocblas_syrkx_herkx_restricted_kernelIidLi16ELi32ELi8ELb0ELb0ELc78ELc76EKddEviT_T0_PT8_S1_lS4_S1_lS2_PT9_S1_li
	.p2align	8
	.type	_ZL37rocblas_syrkx_herkx_restricted_kernelIidLi16ELi32ELi8ELb0ELb0ELc78ELc76EKddEviT_T0_PT8_S1_lS4_S1_lS2_PT9_S1_li,@function
_ZL37rocblas_syrkx_herkx_restricted_kernelIidLi16ELi32ELi8ELb0ELb0ELc78ELc76EKddEviT_T0_PT8_S1_lS4_S1_lS2_PT9_S1_li: ; @_ZL37rocblas_syrkx_herkx_restricted_kernelIidLi16ELi32ELi8ELb0ELb0ELc78ELc76EKddEviT_T0_PT8_S1_lS4_S1_lS2_PT9_S1_li
; %bb.0:
	s_load_dwordx2 s[10:11], s[4:5], 0x0
	s_load_dwordx4 s[12:15], s[4:5], 0x8
	s_load_dwordx4 s[16:19], s[4:5], 0x38
	s_load_dwordx2 s[20:21], s[4:5], 0x48
	s_lshl_b32 s9, s6, 5
	s_lshl_b32 s22, s7, 5
	s_waitcnt lgkmcnt(0)
	s_cmp_lt_i32 s11, 1
	s_mov_b32 s23, 0
	s_cbranch_scc1 .LBB111_3
; %bb.1:
	s_load_dword s6, s[4:5], 0x18
	s_load_dword s24, s[4:5], 0x30
	s_load_dwordx4 s[0:3], s[4:5], 0x20
	v_lshl_add_u32 v2, v1, 4, v0
	v_lshrrev_b32_e32 v4, 3, v2
	v_lshrrev_b32_e32 v6, 5, v2
	v_and_b32_e32 v7, 31, v2
	v_add_u32_e32 v2, s22, v4
	v_and_b32_e32 v5, 7, v0
	v_ashrrev_i32_e32 v3, 31, v2
	s_waitcnt lgkmcnt(0)
	v_mad_i64_i32 v[2:3], s[26:27], s24, v5, v[2:3]
	s_mul_i32 s17, s17, s8
	s_mul_hi_u32 s28, s16, s8
	v_lshlrev_b32_e32 v8, 3, v7
	s_add_i32 s17, s28, s17
	s_mul_i32 s16, s16, s8
	s_ashr_i32 s7, s6, 31
	s_ashr_i32 s25, s24, 31
	v_lshl_or_b32 v14, v6, 8, v8
	v_lshlrev_b32_e32 v8, 3, v5
	s_lshl_b64 s[16:17], s[16:17], 3
	v_lshl_or_b32 v4, v4, 6, v8
	v_lshlrev_b64 v[2:3], 3, v[2:3]
	s_add_u32 s2, s2, s16
	v_add_u32_e32 v15, 0x800, v4
	v_mov_b32_e32 v4, 0x800
	s_addc_u32 s3, s3, s17
	v_lshl_add_u32 v17, v1, 6, v4
	v_mov_b32_e32 v4, s3
	v_add_co_u32_e32 v2, vcc, s2, v2
	v_addc_co_u32_e32 v3, vcc, v4, v3, vcc
	v_add_u32_e32 v4, s9, v7
	v_ashrrev_i32_e32 v5, 31, v4
	v_mad_i64_i32 v[4:5], s[16:17], s6, v6, v[4:5]
	s_lshl_b64 s[2:3], s[24:25], 6
	s_mul_i32 s1, s1, s8
	s_mul_hi_u32 s24, s0, s8
	s_add_i32 s1, s24, s1
	s_mul_i32 s0, s0, s8
	s_lshl_b64 s[0:1], s[0:1], 3
	v_lshlrev_b64 v[4:5], 3, v[4:5]
	s_add_u32 s0, s14, s0
	s_addc_u32 s1, s15, s1
	v_mov_b32_e32 v7, s1
	v_add_co_u32_e32 v6, vcc, s0, v4
	v_addc_co_u32_e32 v7, vcc, v7, v5, vcc
	s_lshl_b64 s[6:7], s[6:7], 6
	v_mov_b32_e32 v4, 0
	v_mov_b32_e32 v8, 0
	;; [unrolled: 1-line block ×4, first 2 shown]
	v_lshlrev_b32_e32 v16, 3, v0
	v_mov_b32_e32 v5, 0
	v_mov_b32_e32 v18, s3
	;; [unrolled: 1-line block ×6, first 2 shown]
.LBB111_2:                              ; =>This Inner Loop Header: Depth=1
	global_load_dwordx2 v[20:21], v[6:7], off
	global_load_dwordx2 v[22:23], v[2:3], off
	s_add_i32 s23, s23, 8
	v_add_co_u32_e32 v2, vcc, s2, v2
	v_add_co_u32_e64 v6, s[0:1], s6, v6
	v_addc_co_u32_e32 v3, vcc, v3, v18, vcc
	v_addc_co_u32_e64 v7, vcc, v7, v19, s[0:1]
	s_cmp_ge_i32 s23, s11
	s_waitcnt vmcnt(1)
	ds_write_b64 v14, v[20:21]
	s_waitcnt vmcnt(0)
	ds_write_b64 v15, v[22:23]
	s_waitcnt lgkmcnt(0)
	s_barrier
	ds_read2_b64 v[20:23], v16 offset1:16
	ds_read_b128 v[24:27], v17
	s_waitcnt lgkmcnt(0)
	v_fma_f64 v[28:29], v[20:21], v[24:25], v[12:13]
	v_fma_f64 v[24:25], v[22:23], v[24:25], v[10:11]
	ds_read_b128 v[10:13], v17 offset:1024
	s_waitcnt lgkmcnt(0)
	v_fma_f64 v[20:21], v[20:21], v[10:11], v[8:9]
	v_fma_f64 v[4:5], v[22:23], v[10:11], v[4:5]
	ds_read2_b64 v[8:11], v16 offset0:32 offset1:48
	s_waitcnt lgkmcnt(0)
	v_fma_f64 v[28:29], v[8:9], v[26:27], v[28:29]
	v_fma_f64 v[24:25], v[10:11], v[26:27], v[24:25]
	v_fma_f64 v[30:31], v[8:9], v[12:13], v[20:21]
	v_fma_f64 v[4:5], v[10:11], v[12:13], v[4:5]
	ds_read_b128 v[8:11], v17 offset:16
	ds_read2_b64 v[20:23], v16 offset0:64 offset1:80
	s_waitcnt lgkmcnt(0)
	v_fma_f64 v[12:13], v[20:21], v[8:9], v[28:29]
	v_fma_f64 v[8:9], v[22:23], v[8:9], v[24:25]
	ds_read_b128 v[24:27], v17 offset:1040
	s_waitcnt lgkmcnt(0)
	v_fma_f64 v[28:29], v[20:21], v[24:25], v[30:31]
	v_fma_f64 v[4:5], v[22:23], v[24:25], v[4:5]
	ds_read2_b64 v[20:23], v16 offset0:96 offset1:112
	s_waitcnt lgkmcnt(0)
	v_fma_f64 v[12:13], v[20:21], v[10:11], v[12:13]
	v_fma_f64 v[24:25], v[22:23], v[10:11], v[8:9]
	;; [unrolled: 1-line block ×4, first 2 shown]
	ds_read2_b64 v[8:11], v16 offset0:128 offset1:144
	ds_read_b128 v[20:23], v17 offset:32
	s_waitcnt lgkmcnt(0)
	v_fma_f64 v[12:13], v[8:9], v[20:21], v[12:13]
	v_fma_f64 v[20:21], v[10:11], v[20:21], v[24:25]
	ds_read_b128 v[24:27], v17 offset:1056
	s_waitcnt lgkmcnt(0)
	v_fma_f64 v[28:29], v[8:9], v[24:25], v[28:29]
	v_fma_f64 v[4:5], v[10:11], v[24:25], v[4:5]
	ds_read2_b64 v[8:11], v16 offset0:160 offset1:176
	s_waitcnt lgkmcnt(0)
	v_fma_f64 v[12:13], v[8:9], v[22:23], v[12:13]
	v_fma_f64 v[24:25], v[10:11], v[22:23], v[20:21]
	v_fma_f64 v[28:29], v[8:9], v[26:27], v[28:29]
	v_fma_f64 v[4:5], v[10:11], v[26:27], v[4:5]
	ds_read_b128 v[8:11], v17 offset:48
	ds_read2_b64 v[20:23], v16 offset0:192 offset1:208
	s_waitcnt lgkmcnt(0)
	v_fma_f64 v[12:13], v[20:21], v[8:9], v[12:13]
	v_fma_f64 v[8:9], v[22:23], v[8:9], v[24:25]
	ds_read_b128 v[24:27], v17 offset:1072
	s_waitcnt lgkmcnt(0)
	v_fma_f64 v[28:29], v[20:21], v[24:25], v[28:29]
	v_fma_f64 v[4:5], v[22:23], v[24:25], v[4:5]
	ds_read2_b64 v[20:23], v16 offset0:224 offset1:240
	s_waitcnt lgkmcnt(0)
	s_barrier
	v_fma_f64 v[12:13], v[20:21], v[10:11], v[12:13]
	v_fma_f64 v[10:11], v[22:23], v[10:11], v[8:9]
	;; [unrolled: 1-line block ×4, first 2 shown]
	s_cbranch_scc0 .LBB111_2
	s_branch .LBB111_4
.LBB111_3:
	v_mov_b32_e32 v12, 0
	v_mov_b32_e32 v10, 0
	;; [unrolled: 1-line block ×8, first 2 shown]
.LBB111_4:
	s_load_dwordx2 s[0:1], s[4:5], 0x58
	s_load_dword s6, s[4:5], 0x50
	v_add_u32_e32 v6, s22, v1
	v_add_u32_e32 v0, s9, v0
	s_waitcnt lgkmcnt(0)
	s_mul_i32 s1, s1, s8
	s_mul_hi_u32 s2, s0, s8
	s_add_i32 s1, s2, s1
	v_mad_i64_i32 v[1:2], s[2:3], v6, s6, 0
	s_mul_i32 s0, s0, s8
	s_lshl_b64 s[0:1], s[0:1], 3
	s_add_u32 s7, s20, s0
	v_lshlrev_b64 v[1:2], 3, v[1:2]
	s_addc_u32 s8, s21, s1
	v_mov_b32_e32 v3, s8
	v_add_co_u32_e32 v7, vcc, s7, v1
	v_addc_co_u32_e32 v14, vcc, v3, v2, vcc
	v_cmp_le_i32_e64 s[0:1], v6, v0
	v_cmp_gt_i32_e32 vcc, s10, v0
	s_and_b64 s[0:1], s[0:1], vcc
	s_and_saveexec_b64 s[2:3], s[0:1]
	s_cbranch_execz .LBB111_6
; %bb.5:
	v_ashrrev_i32_e32 v1, 31, v0
	v_lshlrev_b64 v[1:2], 3, v[0:1]
	v_add_co_u32_e64 v1, s[0:1], v7, v1
	v_addc_co_u32_e64 v2, s[0:1], v14, v2, s[0:1]
	global_load_dwordx2 v[15:16], v[1:2], off
	s_waitcnt vmcnt(0)
	v_mul_f64 v[15:16], s[18:19], v[15:16]
	v_fma_f64 v[12:13], s[12:13], v[12:13], v[15:16]
	global_store_dwordx2 v[1:2], v[12:13], off
.LBB111_6:
	s_or_b64 exec, exec, s[2:3]
	v_add_u32_e32 v2, 16, v0
	v_cmp_le_i32_e64 s[2:3], v6, v2
	v_cmp_gt_i32_e64 s[0:1], s10, v2
	s_and_b64 s[2:3], s[2:3], s[0:1]
	s_and_saveexec_b64 s[4:5], s[2:3]
	s_cbranch_execz .LBB111_8
; %bb.7:
	v_ashrrev_i32_e32 v3, 31, v2
	v_lshlrev_b64 v[12:13], 3, v[2:3]
	v_add_co_u32_e64 v12, s[2:3], v7, v12
	v_addc_co_u32_e64 v13, s[2:3], v14, v13, s[2:3]
	global_load_dwordx2 v[14:15], v[12:13], off
	s_waitcnt vmcnt(0)
	v_mul_f64 v[14:15], s[18:19], v[14:15]
	v_fma_f64 v[10:11], s[12:13], v[10:11], v[14:15]
	global_store_dwordx2 v[12:13], v[10:11], off
.LBB111_8:
	s_or_b64 exec, exec, s[4:5]
	v_add_u32_e32 v3, 16, v6
	v_mad_i64_i32 v[6:7], s[2:3], v3, s6, 0
	v_mov_b32_e32 v1, s8
	v_lshlrev_b64 v[6:7], 3, v[6:7]
	v_add_co_u32_e64 v6, s[2:3], s7, v6
	v_addc_co_u32_e64 v7, s[2:3], v1, v7, s[2:3]
	v_cmp_le_i32_e64 s[2:3], v3, v0
	s_and_b64 s[4:5], s[2:3], vcc
	s_and_saveexec_b64 s[2:3], s[4:5]
	s_cbranch_execz .LBB111_10
; %bb.9:
	v_ashrrev_i32_e32 v1, 31, v0
	v_lshlrev_b64 v[0:1], 3, v[0:1]
	v_add_co_u32_e32 v0, vcc, v6, v0
	v_addc_co_u32_e32 v1, vcc, v7, v1, vcc
	global_load_dwordx2 v[10:11], v[0:1], off
	s_waitcnt vmcnt(0)
	v_mul_f64 v[10:11], s[18:19], v[10:11]
	v_fma_f64 v[8:9], s[12:13], v[8:9], v[10:11]
	global_store_dwordx2 v[0:1], v[8:9], off
.LBB111_10:
	s_or_b64 exec, exec, s[2:3]
	v_cmp_le_i32_e32 vcc, v3, v2
	s_and_b64 s[0:1], vcc, s[0:1]
	s_and_saveexec_b64 s[2:3], s[0:1]
	s_cbranch_execz .LBB111_12
; %bb.11:
	v_ashrrev_i32_e32 v3, 31, v2
	v_lshlrev_b64 v[0:1], 3, v[2:3]
	v_add_co_u32_e32 v0, vcc, v6, v0
	v_addc_co_u32_e32 v1, vcc, v7, v1, vcc
	global_load_dwordx2 v[2:3], v[0:1], off
	s_waitcnt vmcnt(0)
	v_mul_f64 v[2:3], s[18:19], v[2:3]
	v_fma_f64 v[2:3], s[12:13], v[4:5], v[2:3]
	global_store_dwordx2 v[0:1], v[2:3], off
.LBB111_12:
	s_endpgm
	.section	.rodata,"a",@progbits
	.p2align	6, 0x0
	.amdhsa_kernel _ZL37rocblas_syrkx_herkx_restricted_kernelIidLi16ELi32ELi8ELb0ELb0ELc78ELc76EKddEviT_T0_PT8_S1_lS4_S1_lS2_PT9_S1_li
		.amdhsa_group_segment_fixed_size 4096
		.amdhsa_private_segment_fixed_size 0
		.amdhsa_kernarg_size 100
		.amdhsa_user_sgpr_count 6
		.amdhsa_user_sgpr_private_segment_buffer 1
		.amdhsa_user_sgpr_dispatch_ptr 0
		.amdhsa_user_sgpr_queue_ptr 0
		.amdhsa_user_sgpr_kernarg_segment_ptr 1
		.amdhsa_user_sgpr_dispatch_id 0
		.amdhsa_user_sgpr_flat_scratch_init 0
		.amdhsa_user_sgpr_private_segment_size 0
		.amdhsa_uses_dynamic_stack 0
		.amdhsa_system_sgpr_private_segment_wavefront_offset 0
		.amdhsa_system_sgpr_workgroup_id_x 1
		.amdhsa_system_sgpr_workgroup_id_y 1
		.amdhsa_system_sgpr_workgroup_id_z 1
		.amdhsa_system_sgpr_workgroup_info 0
		.amdhsa_system_vgpr_workitem_id 1
		.amdhsa_next_free_vgpr 32
		.amdhsa_next_free_sgpr 29
		.amdhsa_reserve_vcc 1
		.amdhsa_reserve_flat_scratch 0
		.amdhsa_float_round_mode_32 0
		.amdhsa_float_round_mode_16_64 0
		.amdhsa_float_denorm_mode_32 3
		.amdhsa_float_denorm_mode_16_64 3
		.amdhsa_dx10_clamp 1
		.amdhsa_ieee_mode 1
		.amdhsa_fp16_overflow 0
		.amdhsa_exception_fp_ieee_invalid_op 0
		.amdhsa_exception_fp_denorm_src 0
		.amdhsa_exception_fp_ieee_div_zero 0
		.amdhsa_exception_fp_ieee_overflow 0
		.amdhsa_exception_fp_ieee_underflow 0
		.amdhsa_exception_fp_ieee_inexact 0
		.amdhsa_exception_int_div_zero 0
	.end_amdhsa_kernel
	.section	.text._ZL37rocblas_syrkx_herkx_restricted_kernelIidLi16ELi32ELi8ELb0ELb0ELc78ELc76EKddEviT_T0_PT8_S1_lS4_S1_lS2_PT9_S1_li,"axG",@progbits,_ZL37rocblas_syrkx_herkx_restricted_kernelIidLi16ELi32ELi8ELb0ELb0ELc78ELc76EKddEviT_T0_PT8_S1_lS4_S1_lS2_PT9_S1_li,comdat
.Lfunc_end111:
	.size	_ZL37rocblas_syrkx_herkx_restricted_kernelIidLi16ELi32ELi8ELb0ELb0ELc78ELc76EKddEviT_T0_PT8_S1_lS4_S1_lS2_PT9_S1_li, .Lfunc_end111-_ZL37rocblas_syrkx_herkx_restricted_kernelIidLi16ELi32ELi8ELb0ELb0ELc78ELc76EKddEviT_T0_PT8_S1_lS4_S1_lS2_PT9_S1_li
                                        ; -- End function
	.set _ZL37rocblas_syrkx_herkx_restricted_kernelIidLi16ELi32ELi8ELb0ELb0ELc78ELc76EKddEviT_T0_PT8_S1_lS4_S1_lS2_PT9_S1_li.num_vgpr, 32
	.set _ZL37rocblas_syrkx_herkx_restricted_kernelIidLi16ELi32ELi8ELb0ELb0ELc78ELc76EKddEviT_T0_PT8_S1_lS4_S1_lS2_PT9_S1_li.num_agpr, 0
	.set _ZL37rocblas_syrkx_herkx_restricted_kernelIidLi16ELi32ELi8ELb0ELb0ELc78ELc76EKddEviT_T0_PT8_S1_lS4_S1_lS2_PT9_S1_li.numbered_sgpr, 29
	.set _ZL37rocblas_syrkx_herkx_restricted_kernelIidLi16ELi32ELi8ELb0ELb0ELc78ELc76EKddEviT_T0_PT8_S1_lS4_S1_lS2_PT9_S1_li.num_named_barrier, 0
	.set _ZL37rocblas_syrkx_herkx_restricted_kernelIidLi16ELi32ELi8ELb0ELb0ELc78ELc76EKddEviT_T0_PT8_S1_lS4_S1_lS2_PT9_S1_li.private_seg_size, 0
	.set _ZL37rocblas_syrkx_herkx_restricted_kernelIidLi16ELi32ELi8ELb0ELb0ELc78ELc76EKddEviT_T0_PT8_S1_lS4_S1_lS2_PT9_S1_li.uses_vcc, 1
	.set _ZL37rocblas_syrkx_herkx_restricted_kernelIidLi16ELi32ELi8ELb0ELb0ELc78ELc76EKddEviT_T0_PT8_S1_lS4_S1_lS2_PT9_S1_li.uses_flat_scratch, 0
	.set _ZL37rocblas_syrkx_herkx_restricted_kernelIidLi16ELi32ELi8ELb0ELb0ELc78ELc76EKddEviT_T0_PT8_S1_lS4_S1_lS2_PT9_S1_li.has_dyn_sized_stack, 0
	.set _ZL37rocblas_syrkx_herkx_restricted_kernelIidLi16ELi32ELi8ELb0ELb0ELc78ELc76EKddEviT_T0_PT8_S1_lS4_S1_lS2_PT9_S1_li.has_recursion, 0
	.set _ZL37rocblas_syrkx_herkx_restricted_kernelIidLi16ELi32ELi8ELb0ELb0ELc78ELc76EKddEviT_T0_PT8_S1_lS4_S1_lS2_PT9_S1_li.has_indirect_call, 0
	.section	.AMDGPU.csdata,"",@progbits
; Kernel info:
; codeLenInByte = 1372
; TotalNumSgprs: 33
; NumVgprs: 32
; ScratchSize: 0
; MemoryBound: 0
; FloatMode: 240
; IeeeMode: 1
; LDSByteSize: 4096 bytes/workgroup (compile time only)
; SGPRBlocks: 4
; VGPRBlocks: 7
; NumSGPRsForWavesPerEU: 33
; NumVGPRsForWavesPerEU: 32
; Occupancy: 8
; WaveLimiterHint : 0
; COMPUTE_PGM_RSRC2:SCRATCH_EN: 0
; COMPUTE_PGM_RSRC2:USER_SGPR: 6
; COMPUTE_PGM_RSRC2:TRAP_HANDLER: 0
; COMPUTE_PGM_RSRC2:TGID_X_EN: 1
; COMPUTE_PGM_RSRC2:TGID_Y_EN: 1
; COMPUTE_PGM_RSRC2:TGID_Z_EN: 1
; COMPUTE_PGM_RSRC2:TIDIG_COMP_CNT: 1
	.section	.text._ZL37rocblas_syrkx_herkx_restricted_kernelIidLi16ELi32ELi8ELb0ELb0ELc84ELc85EKddEviT_T0_PT8_S1_lS4_S1_lS2_PT9_S1_li,"axG",@progbits,_ZL37rocblas_syrkx_herkx_restricted_kernelIidLi16ELi32ELi8ELb0ELb0ELc84ELc85EKddEviT_T0_PT8_S1_lS4_S1_lS2_PT9_S1_li,comdat
	.globl	_ZL37rocblas_syrkx_herkx_restricted_kernelIidLi16ELi32ELi8ELb0ELb0ELc84ELc85EKddEviT_T0_PT8_S1_lS4_S1_lS2_PT9_S1_li ; -- Begin function _ZL37rocblas_syrkx_herkx_restricted_kernelIidLi16ELi32ELi8ELb0ELb0ELc84ELc85EKddEviT_T0_PT8_S1_lS4_S1_lS2_PT9_S1_li
	.p2align	8
	.type	_ZL37rocblas_syrkx_herkx_restricted_kernelIidLi16ELi32ELi8ELb0ELb0ELc84ELc85EKddEviT_T0_PT8_S1_lS4_S1_lS2_PT9_S1_li,@function
_ZL37rocblas_syrkx_herkx_restricted_kernelIidLi16ELi32ELi8ELb0ELb0ELc84ELc85EKddEviT_T0_PT8_S1_lS4_S1_lS2_PT9_S1_li: ; @_ZL37rocblas_syrkx_herkx_restricted_kernelIidLi16ELi32ELi8ELb0ELb0ELc84ELc85EKddEviT_T0_PT8_S1_lS4_S1_lS2_PT9_S1_li
; %bb.0:
	s_load_dwordx2 s[10:11], s[4:5], 0x0
	s_load_dwordx4 s[12:15], s[4:5], 0x8
	s_load_dwordx4 s[0:3], s[4:5], 0x38
	s_load_dwordx2 s[20:21], s[4:5], 0x48
	s_lshl_b32 s6, s6, 5
	s_lshl_b32 s7, s7, 5
	s_waitcnt lgkmcnt(0)
	s_cmp_lt_i32 s11, 1
	s_mov_b32 s9, 0
	s_cbranch_scc1 .LBB112_3
; %bb.1:
	s_load_dword s24, s[4:5], 0x18
	s_load_dwordx4 s[16:19], s[4:5], 0x20
	s_load_dword s22, s[4:5], 0x30
	v_lshl_add_u32 v3, v1, 4, v0
	v_lshrrev_b32_e32 v6, 3, v3
	v_and_b32_e32 v7, 31, v3
	v_lshrrev_b32_e32 v4, 5, v3
	v_and_b32_e32 v2, 7, v0
	v_add_u32_e32 v8, s7, v6
	v_mov_b32_e32 v3, 0
	v_lshlrev_b32_e32 v9, 3, v7
	v_mov_b32_e32 v5, v3
	v_lshl_or_b32 v14, v4, 8, v9
	v_lshlrev_b32_e32 v9, 3, v2
	s_waitcnt lgkmcnt(0)
	v_mad_i64_i32 v[2:3], s[22:23], s22, v8, v[2:3]
	s_mul_i32 s1, s1, s8
	s_mul_hi_u32 s25, s0, s8
	s_add_i32 s1, s25, s1
	s_mul_i32 s0, s0, s8
	s_lshl_b64 s[0:1], s[0:1], 3
	v_lshlrev_b64 v[2:3], 3, v[2:3]
	s_add_u32 s0, s18, s0
	v_lshl_or_b32 v6, v6, 6, v9
	s_addc_u32 s1, s19, s1
	v_add_u32_e32 v15, 0x800, v6
	v_mov_b32_e32 v6, s1
	v_add_co_u32_e32 v2, vcc, s0, v2
	v_addc_co_u32_e32 v3, vcc, v6, v3, vcc
	v_add_u32_e32 v6, s6, v7
	v_mad_i64_i32 v[4:5], s[0:1], s24, v6, v[4:5]
	s_mul_i32 s17, s17, s8
	s_mul_hi_u32 s18, s16, s8
	s_add_i32 s1, s18, s17
	s_mul_i32 s0, s16, s8
	s_lshl_b64 s[0:1], s[0:1], 3
	v_lshlrev_b64 v[4:5], 3, v[4:5]
	s_add_u32 s0, s14, s0
	s_addc_u32 s1, s15, s1
	v_mov_b32_e32 v6, s1
	v_add_co_u32_e32 v4, vcc, s0, v4
	v_mov_b32_e32 v17, 0x800
	v_addc_co_u32_e32 v5, vcc, v6, v5, vcc
	v_mov_b32_e32 v6, 0
	v_mov_b32_e32 v8, 0
	;; [unrolled: 1-line block ×4, first 2 shown]
	v_lshlrev_b32_e32 v16, 3, v0
	v_mov_b32_e32 v7, 0
	v_mov_b32_e32 v9, 0
	;; [unrolled: 1-line block ×4, first 2 shown]
	v_lshl_add_u32 v17, v1, 6, v17
.LBB112_2:                              ; =>This Inner Loop Header: Depth=1
	global_load_dwordx2 v[18:19], v[4:5], off
	global_load_dwordx2 v[20:21], v[2:3], off
	s_add_i32 s9, s9, 8
	v_add_co_u32_e32 v2, vcc, 64, v2
	v_add_co_u32_e64 v4, s[0:1], 64, v4
	v_addc_co_u32_e32 v3, vcc, 0, v3, vcc
	v_addc_co_u32_e64 v5, vcc, 0, v5, s[0:1]
	s_cmp_ge_i32 s9, s11
	s_waitcnt vmcnt(1)
	ds_write_b64 v14, v[18:19]
	s_waitcnt vmcnt(0)
	ds_write_b64 v15, v[20:21]
	s_waitcnt lgkmcnt(0)
	s_barrier
	ds_read2_b64 v[18:21], v16 offset1:16
	ds_read_b128 v[22:25], v17
	s_waitcnt lgkmcnt(0)
	v_fma_f64 v[26:27], v[18:19], v[22:23], v[12:13]
	v_fma_f64 v[22:23], v[20:21], v[22:23], v[10:11]
	ds_read_b128 v[10:13], v17 offset:1024
	s_waitcnt lgkmcnt(0)
	v_fma_f64 v[18:19], v[18:19], v[10:11], v[8:9]
	v_fma_f64 v[10:11], v[20:21], v[10:11], v[6:7]
	ds_read2_b64 v[6:9], v16 offset0:32 offset1:48
	s_waitcnt lgkmcnt(0)
	v_fma_f64 v[20:21], v[6:7], v[24:25], v[26:27]
	v_fma_f64 v[22:23], v[8:9], v[24:25], v[22:23]
	v_fma_f64 v[24:25], v[6:7], v[12:13], v[18:19]
	v_fma_f64 v[26:27], v[8:9], v[12:13], v[10:11]
	ds_read_b128 v[6:9], v17 offset:16
	ds_read2_b64 v[10:13], v16 offset0:64 offset1:80
	s_waitcnt lgkmcnt(0)
	v_fma_f64 v[28:29], v[10:11], v[6:7], v[20:21]
	ds_read_b128 v[18:21], v17 offset:1040
	v_fma_f64 v[6:7], v[12:13], v[6:7], v[22:23]
	s_waitcnt lgkmcnt(0)
	v_fma_f64 v[22:23], v[10:11], v[18:19], v[24:25]
	v_fma_f64 v[18:19], v[12:13], v[18:19], v[26:27]
	ds_read2_b64 v[10:13], v16 offset0:96 offset1:112
	s_waitcnt lgkmcnt(0)
	v_fma_f64 v[24:25], v[10:11], v[8:9], v[28:29]
	v_fma_f64 v[26:27], v[12:13], v[8:9], v[6:7]
	;; [unrolled: 1-line block ×4, first 2 shown]
	ds_read2_b64 v[6:9], v16 offset0:128 offset1:144
	ds_read_b128 v[10:13], v17 offset:32
	ds_read_b128 v[18:21], v17 offset:1056
	s_waitcnt lgkmcnt(1)
	v_fma_f64 v[24:25], v[6:7], v[10:11], v[24:25]
	v_fma_f64 v[10:11], v[8:9], v[10:11], v[26:27]
	s_waitcnt lgkmcnt(0)
	v_fma_f64 v[22:23], v[6:7], v[18:19], v[22:23]
	v_fma_f64 v[18:19], v[8:9], v[18:19], v[28:29]
	ds_read2_b64 v[6:9], v16 offset0:160 offset1:176
	s_waitcnt lgkmcnt(0)
	v_fma_f64 v[24:25], v[6:7], v[12:13], v[24:25]
	v_fma_f64 v[26:27], v[8:9], v[12:13], v[10:11]
	v_fma_f64 v[22:23], v[6:7], v[20:21], v[22:23]
	v_fma_f64 v[28:29], v[8:9], v[20:21], v[18:19]
	ds_read_b128 v[6:9], v17 offset:48
	ds_read2_b64 v[10:13], v16 offset0:192 offset1:208
	ds_read_b128 v[18:21], v17 offset:1072
	s_waitcnt lgkmcnt(1)
	v_fma_f64 v[30:31], v[10:11], v[6:7], v[24:25]
	v_fma_f64 v[6:7], v[12:13], v[6:7], v[26:27]
	s_waitcnt lgkmcnt(0)
	v_fma_f64 v[26:27], v[10:11], v[18:19], v[22:23]
	v_fma_f64 v[18:19], v[12:13], v[18:19], v[28:29]
	ds_read2_b64 v[22:25], v16 offset0:224 offset1:240
	s_waitcnt lgkmcnt(0)
	s_barrier
	v_fma_f64 v[12:13], v[22:23], v[8:9], v[30:31]
	v_fma_f64 v[10:11], v[24:25], v[8:9], v[6:7]
	;; [unrolled: 1-line block ×4, first 2 shown]
	s_cbranch_scc0 .LBB112_2
	s_branch .LBB112_4
.LBB112_3:
	v_mov_b32_e32 v12, 0
	v_mov_b32_e32 v10, 0
	;; [unrolled: 1-line block ×8, first 2 shown]
.LBB112_4:
	s_load_dwordx2 s[0:1], s[4:5], 0x58
	s_load_dword s9, s[4:5], 0x50
	v_add_u32_e32 v4, s7, v1
	v_add_u32_e32 v0, s6, v0
	v_cmp_gt_i32_e32 vcc, s10, v4
	s_waitcnt lgkmcnt(0)
	s_mul_i32 s1, s1, s8
	s_mul_hi_u32 s4, s0, s8
	s_add_i32 s1, s4, s1
	v_mad_i64_i32 v[1:2], s[4:5], v4, s9, 0
	s_mul_i32 s0, s0, s8
	s_lshl_b64 s[0:1], s[0:1], 3
	s_add_u32 s7, s20, s0
	v_lshlrev_b64 v[1:2], 3, v[1:2]
	s_addc_u32 s8, s21, s1
	v_mov_b32_e32 v3, s8
	v_add_co_u32_e64 v5, s[0:1], s7, v1
	v_addc_co_u32_e64 v14, s[0:1], v3, v2, s[0:1]
	v_cmp_le_i32_e64 s[0:1], v0, v4
	s_and_b64 s[0:1], vcc, s[0:1]
	s_and_saveexec_b64 s[4:5], s[0:1]
	s_cbranch_execz .LBB112_6
; %bb.5:
	v_ashrrev_i32_e32 v1, 31, v0
	v_lshlrev_b64 v[1:2], 3, v[0:1]
	v_add_co_u32_e64 v1, s[0:1], v5, v1
	v_addc_co_u32_e64 v2, s[0:1], v14, v2, s[0:1]
	global_load_dwordx2 v[15:16], v[1:2], off
	s_waitcnt vmcnt(0)
	v_mul_f64 v[15:16], s[2:3], v[15:16]
	v_fma_f64 v[12:13], s[12:13], v[12:13], v[15:16]
	global_store_dwordx2 v[1:2], v[12:13], off
.LBB112_6:
	s_or_b64 exec, exec, s[4:5]
	v_add_u32_e32 v2, 16, v0
	v_cmp_le_i32_e64 s[0:1], v2, v4
	s_and_b64 s[4:5], vcc, s[0:1]
	s_and_saveexec_b64 s[0:1], s[4:5]
	s_cbranch_execz .LBB112_8
; %bb.7:
	v_ashrrev_i32_e32 v3, 31, v2
	v_lshlrev_b64 v[12:13], 3, v[2:3]
	v_add_co_u32_e32 v12, vcc, v5, v12
	v_addc_co_u32_e32 v13, vcc, v14, v13, vcc
	global_load_dwordx2 v[14:15], v[12:13], off
	s_waitcnt vmcnt(0)
	v_mul_f64 v[14:15], s[2:3], v[14:15]
	v_fma_f64 v[10:11], s[12:13], v[10:11], v[14:15]
	global_store_dwordx2 v[12:13], v[10:11], off
.LBB112_8:
	s_or_b64 exec, exec, s[0:1]
	v_add_u32_e32 v3, 16, v4
	v_mad_i64_i32 v[4:5], s[0:1], v3, s9, 0
	v_mov_b32_e32 v1, s8
	v_cmp_gt_i32_e32 vcc, s10, v3
	v_lshlrev_b64 v[4:5], 3, v[4:5]
	v_add_co_u32_e64 v4, s[0:1], s7, v4
	v_addc_co_u32_e64 v5, s[0:1], v1, v5, s[0:1]
	v_cmp_le_i32_e64 s[0:1], v0, v3
	s_and_b64 s[0:1], vcc, s[0:1]
	s_and_saveexec_b64 s[4:5], s[0:1]
	s_cbranch_execz .LBB112_10
; %bb.9:
	v_ashrrev_i32_e32 v1, 31, v0
	v_lshlrev_b64 v[0:1], 3, v[0:1]
	v_add_co_u32_e64 v0, s[0:1], v4, v0
	v_addc_co_u32_e64 v1, s[0:1], v5, v1, s[0:1]
	global_load_dwordx2 v[10:11], v[0:1], off
	s_waitcnt vmcnt(0)
	v_mul_f64 v[10:11], s[2:3], v[10:11]
	v_fma_f64 v[8:9], s[12:13], v[8:9], v[10:11]
	global_store_dwordx2 v[0:1], v[8:9], off
.LBB112_10:
	s_or_b64 exec, exec, s[4:5]
	v_cmp_le_i32_e64 s[0:1], v2, v3
	s_and_b64 s[0:1], vcc, s[0:1]
	s_and_saveexec_b64 s[4:5], s[0:1]
	s_cbranch_execz .LBB112_12
; %bb.11:
	v_ashrrev_i32_e32 v3, 31, v2
	v_lshlrev_b64 v[0:1], 3, v[2:3]
	v_add_co_u32_e32 v0, vcc, v4, v0
	v_addc_co_u32_e32 v1, vcc, v5, v1, vcc
	global_load_dwordx2 v[2:3], v[0:1], off
	s_waitcnt vmcnt(0)
	v_mul_f64 v[2:3], s[2:3], v[2:3]
	v_fma_f64 v[2:3], s[12:13], v[6:7], v[2:3]
	global_store_dwordx2 v[0:1], v[2:3], off
.LBB112_12:
	s_endpgm
	.section	.rodata,"a",@progbits
	.p2align	6, 0x0
	.amdhsa_kernel _ZL37rocblas_syrkx_herkx_restricted_kernelIidLi16ELi32ELi8ELb0ELb0ELc84ELc85EKddEviT_T0_PT8_S1_lS4_S1_lS2_PT9_S1_li
		.amdhsa_group_segment_fixed_size 4096
		.amdhsa_private_segment_fixed_size 0
		.amdhsa_kernarg_size 100
		.amdhsa_user_sgpr_count 6
		.amdhsa_user_sgpr_private_segment_buffer 1
		.amdhsa_user_sgpr_dispatch_ptr 0
		.amdhsa_user_sgpr_queue_ptr 0
		.amdhsa_user_sgpr_kernarg_segment_ptr 1
		.amdhsa_user_sgpr_dispatch_id 0
		.amdhsa_user_sgpr_flat_scratch_init 0
		.amdhsa_user_sgpr_private_segment_size 0
		.amdhsa_uses_dynamic_stack 0
		.amdhsa_system_sgpr_private_segment_wavefront_offset 0
		.amdhsa_system_sgpr_workgroup_id_x 1
		.amdhsa_system_sgpr_workgroup_id_y 1
		.amdhsa_system_sgpr_workgroup_id_z 1
		.amdhsa_system_sgpr_workgroup_info 0
		.amdhsa_system_vgpr_workitem_id 1
		.amdhsa_next_free_vgpr 32
		.amdhsa_next_free_sgpr 26
		.amdhsa_reserve_vcc 1
		.amdhsa_reserve_flat_scratch 0
		.amdhsa_float_round_mode_32 0
		.amdhsa_float_round_mode_16_64 0
		.amdhsa_float_denorm_mode_32 3
		.amdhsa_float_denorm_mode_16_64 3
		.amdhsa_dx10_clamp 1
		.amdhsa_ieee_mode 1
		.amdhsa_fp16_overflow 0
		.amdhsa_exception_fp_ieee_invalid_op 0
		.amdhsa_exception_fp_denorm_src 0
		.amdhsa_exception_fp_ieee_div_zero 0
		.amdhsa_exception_fp_ieee_overflow 0
		.amdhsa_exception_fp_ieee_underflow 0
		.amdhsa_exception_fp_ieee_inexact 0
		.amdhsa_exception_int_div_zero 0
	.end_amdhsa_kernel
	.section	.text._ZL37rocblas_syrkx_herkx_restricted_kernelIidLi16ELi32ELi8ELb0ELb0ELc84ELc85EKddEviT_T0_PT8_S1_lS4_S1_lS2_PT9_S1_li,"axG",@progbits,_ZL37rocblas_syrkx_herkx_restricted_kernelIidLi16ELi32ELi8ELb0ELb0ELc84ELc85EKddEviT_T0_PT8_S1_lS4_S1_lS2_PT9_S1_li,comdat
.Lfunc_end112:
	.size	_ZL37rocblas_syrkx_herkx_restricted_kernelIidLi16ELi32ELi8ELb0ELb0ELc84ELc85EKddEviT_T0_PT8_S1_lS4_S1_lS2_PT9_S1_li, .Lfunc_end112-_ZL37rocblas_syrkx_herkx_restricted_kernelIidLi16ELi32ELi8ELb0ELb0ELc84ELc85EKddEviT_T0_PT8_S1_lS4_S1_lS2_PT9_S1_li
                                        ; -- End function
	.set _ZL37rocblas_syrkx_herkx_restricted_kernelIidLi16ELi32ELi8ELb0ELb0ELc84ELc85EKddEviT_T0_PT8_S1_lS4_S1_lS2_PT9_S1_li.num_vgpr, 32
	.set _ZL37rocblas_syrkx_herkx_restricted_kernelIidLi16ELi32ELi8ELb0ELb0ELc84ELc85EKddEviT_T0_PT8_S1_lS4_S1_lS2_PT9_S1_li.num_agpr, 0
	.set _ZL37rocblas_syrkx_herkx_restricted_kernelIidLi16ELi32ELi8ELb0ELb0ELc84ELc85EKddEviT_T0_PT8_S1_lS4_S1_lS2_PT9_S1_li.numbered_sgpr, 26
	.set _ZL37rocblas_syrkx_herkx_restricted_kernelIidLi16ELi32ELi8ELb0ELb0ELc84ELc85EKddEviT_T0_PT8_S1_lS4_S1_lS2_PT9_S1_li.num_named_barrier, 0
	.set _ZL37rocblas_syrkx_herkx_restricted_kernelIidLi16ELi32ELi8ELb0ELb0ELc84ELc85EKddEviT_T0_PT8_S1_lS4_S1_lS2_PT9_S1_li.private_seg_size, 0
	.set _ZL37rocblas_syrkx_herkx_restricted_kernelIidLi16ELi32ELi8ELb0ELb0ELc84ELc85EKddEviT_T0_PT8_S1_lS4_S1_lS2_PT9_S1_li.uses_vcc, 1
	.set _ZL37rocblas_syrkx_herkx_restricted_kernelIidLi16ELi32ELi8ELb0ELb0ELc84ELc85EKddEviT_T0_PT8_S1_lS4_S1_lS2_PT9_S1_li.uses_flat_scratch, 0
	.set _ZL37rocblas_syrkx_herkx_restricted_kernelIidLi16ELi32ELi8ELb0ELb0ELc84ELc85EKddEviT_T0_PT8_S1_lS4_S1_lS2_PT9_S1_li.has_dyn_sized_stack, 0
	.set _ZL37rocblas_syrkx_herkx_restricted_kernelIidLi16ELi32ELi8ELb0ELb0ELc84ELc85EKddEviT_T0_PT8_S1_lS4_S1_lS2_PT9_S1_li.has_recursion, 0
	.set _ZL37rocblas_syrkx_herkx_restricted_kernelIidLi16ELi32ELi8ELb0ELb0ELc84ELc85EKddEviT_T0_PT8_S1_lS4_S1_lS2_PT9_S1_li.has_indirect_call, 0
	.section	.AMDGPU.csdata,"",@progbits
; Kernel info:
; codeLenInByte = 1356
; TotalNumSgprs: 30
; NumVgprs: 32
; ScratchSize: 0
; MemoryBound: 0
; FloatMode: 240
; IeeeMode: 1
; LDSByteSize: 4096 bytes/workgroup (compile time only)
; SGPRBlocks: 3
; VGPRBlocks: 7
; NumSGPRsForWavesPerEU: 30
; NumVGPRsForWavesPerEU: 32
; Occupancy: 8
; WaveLimiterHint : 0
; COMPUTE_PGM_RSRC2:SCRATCH_EN: 0
; COMPUTE_PGM_RSRC2:USER_SGPR: 6
; COMPUTE_PGM_RSRC2:TRAP_HANDLER: 0
; COMPUTE_PGM_RSRC2:TGID_X_EN: 1
; COMPUTE_PGM_RSRC2:TGID_Y_EN: 1
; COMPUTE_PGM_RSRC2:TGID_Z_EN: 1
; COMPUTE_PGM_RSRC2:TIDIG_COMP_CNT: 1
	.section	.text._ZL37rocblas_syrkx_herkx_restricted_kernelIidLi16ELi32ELi8ELb0ELb0ELc67ELc85EKddEviT_T0_PT8_S1_lS4_S1_lS2_PT9_S1_li,"axG",@progbits,_ZL37rocblas_syrkx_herkx_restricted_kernelIidLi16ELi32ELi8ELb0ELb0ELc67ELc85EKddEviT_T0_PT8_S1_lS4_S1_lS2_PT9_S1_li,comdat
	.globl	_ZL37rocblas_syrkx_herkx_restricted_kernelIidLi16ELi32ELi8ELb0ELb0ELc67ELc85EKddEviT_T0_PT8_S1_lS4_S1_lS2_PT9_S1_li ; -- Begin function _ZL37rocblas_syrkx_herkx_restricted_kernelIidLi16ELi32ELi8ELb0ELb0ELc67ELc85EKddEviT_T0_PT8_S1_lS4_S1_lS2_PT9_S1_li
	.p2align	8
	.type	_ZL37rocblas_syrkx_herkx_restricted_kernelIidLi16ELi32ELi8ELb0ELb0ELc67ELc85EKddEviT_T0_PT8_S1_lS4_S1_lS2_PT9_S1_li,@function
_ZL37rocblas_syrkx_herkx_restricted_kernelIidLi16ELi32ELi8ELb0ELb0ELc67ELc85EKddEviT_T0_PT8_S1_lS4_S1_lS2_PT9_S1_li: ; @_ZL37rocblas_syrkx_herkx_restricted_kernelIidLi16ELi32ELi8ELb0ELb0ELc67ELc85EKddEviT_T0_PT8_S1_lS4_S1_lS2_PT9_S1_li
; %bb.0:
	s_load_dwordx2 s[10:11], s[4:5], 0x0
	s_load_dwordx4 s[12:15], s[4:5], 0x8
	s_load_dwordx4 s[0:3], s[4:5], 0x38
	s_load_dwordx2 s[20:21], s[4:5], 0x48
	s_lshl_b32 s6, s6, 5
	s_lshl_b32 s7, s7, 5
	s_waitcnt lgkmcnt(0)
	s_cmp_lt_i32 s11, 1
	s_mov_b32 s9, 0
	s_cbranch_scc1 .LBB113_3
; %bb.1:
	s_load_dword s24, s[4:5], 0x18
	s_load_dwordx4 s[16:19], s[4:5], 0x20
	s_load_dword s22, s[4:5], 0x30
	v_lshl_add_u32 v3, v1, 4, v0
	v_lshrrev_b32_e32 v6, 3, v3
	v_and_b32_e32 v7, 31, v3
	v_lshrrev_b32_e32 v4, 5, v3
	v_and_b32_e32 v2, 7, v0
	v_add_u32_e32 v8, s7, v6
	v_mov_b32_e32 v3, 0
	v_lshlrev_b32_e32 v9, 3, v7
	v_mov_b32_e32 v5, v3
	v_lshl_or_b32 v14, v4, 8, v9
	v_lshlrev_b32_e32 v9, 3, v2
	s_waitcnt lgkmcnt(0)
	v_mad_i64_i32 v[2:3], s[22:23], s22, v8, v[2:3]
	s_mul_i32 s1, s1, s8
	s_mul_hi_u32 s25, s0, s8
	s_add_i32 s1, s25, s1
	s_mul_i32 s0, s0, s8
	s_lshl_b64 s[0:1], s[0:1], 3
	v_lshlrev_b64 v[2:3], 3, v[2:3]
	s_add_u32 s0, s18, s0
	v_lshl_or_b32 v6, v6, 6, v9
	s_addc_u32 s1, s19, s1
	v_add_u32_e32 v15, 0x800, v6
	v_mov_b32_e32 v6, s1
	v_add_co_u32_e32 v2, vcc, s0, v2
	v_addc_co_u32_e32 v3, vcc, v6, v3, vcc
	v_add_u32_e32 v6, s6, v7
	v_mad_i64_i32 v[4:5], s[0:1], s24, v6, v[4:5]
	s_mul_i32 s17, s17, s8
	s_mul_hi_u32 s18, s16, s8
	s_add_i32 s1, s18, s17
	s_mul_i32 s0, s16, s8
	s_lshl_b64 s[0:1], s[0:1], 3
	v_lshlrev_b64 v[4:5], 3, v[4:5]
	s_add_u32 s0, s14, s0
	s_addc_u32 s1, s15, s1
	v_mov_b32_e32 v6, s1
	v_add_co_u32_e32 v4, vcc, s0, v4
	v_mov_b32_e32 v17, 0x800
	v_addc_co_u32_e32 v5, vcc, v6, v5, vcc
	v_mov_b32_e32 v6, 0
	v_mov_b32_e32 v8, 0
	;; [unrolled: 1-line block ×4, first 2 shown]
	v_lshlrev_b32_e32 v16, 3, v0
	v_mov_b32_e32 v7, 0
	v_mov_b32_e32 v9, 0
	;; [unrolled: 1-line block ×4, first 2 shown]
	v_lshl_add_u32 v17, v1, 6, v17
.LBB113_2:                              ; =>This Inner Loop Header: Depth=1
	global_load_dwordx2 v[18:19], v[4:5], off
	global_load_dwordx2 v[20:21], v[2:3], off
	s_add_i32 s9, s9, 8
	v_add_co_u32_e32 v2, vcc, 64, v2
	v_add_co_u32_e64 v4, s[0:1], 64, v4
	v_addc_co_u32_e32 v3, vcc, 0, v3, vcc
	v_addc_co_u32_e64 v5, vcc, 0, v5, s[0:1]
	s_cmp_ge_i32 s9, s11
	s_waitcnt vmcnt(1)
	ds_write_b64 v14, v[18:19]
	s_waitcnt vmcnt(0)
	ds_write_b64 v15, v[20:21]
	s_waitcnt lgkmcnt(0)
	s_barrier
	ds_read2_b64 v[18:21], v16 offset1:16
	ds_read_b128 v[22:25], v17
	s_waitcnt lgkmcnt(0)
	v_fma_f64 v[26:27], v[18:19], v[22:23], v[12:13]
	v_fma_f64 v[22:23], v[20:21], v[22:23], v[10:11]
	ds_read_b128 v[10:13], v17 offset:1024
	s_waitcnt lgkmcnt(0)
	v_fma_f64 v[18:19], v[18:19], v[10:11], v[8:9]
	v_fma_f64 v[10:11], v[20:21], v[10:11], v[6:7]
	ds_read2_b64 v[6:9], v16 offset0:32 offset1:48
	s_waitcnt lgkmcnt(0)
	v_fma_f64 v[20:21], v[6:7], v[24:25], v[26:27]
	v_fma_f64 v[22:23], v[8:9], v[24:25], v[22:23]
	;; [unrolled: 1-line block ×4, first 2 shown]
	ds_read_b128 v[6:9], v17 offset:16
	ds_read2_b64 v[10:13], v16 offset0:64 offset1:80
	s_waitcnt lgkmcnt(0)
	v_fma_f64 v[28:29], v[10:11], v[6:7], v[20:21]
	ds_read_b128 v[18:21], v17 offset:1040
	v_fma_f64 v[6:7], v[12:13], v[6:7], v[22:23]
	s_waitcnt lgkmcnt(0)
	v_fma_f64 v[22:23], v[10:11], v[18:19], v[24:25]
	v_fma_f64 v[18:19], v[12:13], v[18:19], v[26:27]
	ds_read2_b64 v[10:13], v16 offset0:96 offset1:112
	s_waitcnt lgkmcnt(0)
	v_fma_f64 v[24:25], v[10:11], v[8:9], v[28:29]
	v_fma_f64 v[26:27], v[12:13], v[8:9], v[6:7]
	;; [unrolled: 1-line block ×4, first 2 shown]
	ds_read2_b64 v[6:9], v16 offset0:128 offset1:144
	ds_read_b128 v[10:13], v17 offset:32
	ds_read_b128 v[18:21], v17 offset:1056
	s_waitcnt lgkmcnt(1)
	v_fma_f64 v[24:25], v[6:7], v[10:11], v[24:25]
	v_fma_f64 v[10:11], v[8:9], v[10:11], v[26:27]
	s_waitcnt lgkmcnt(0)
	v_fma_f64 v[22:23], v[6:7], v[18:19], v[22:23]
	v_fma_f64 v[18:19], v[8:9], v[18:19], v[28:29]
	ds_read2_b64 v[6:9], v16 offset0:160 offset1:176
	s_waitcnt lgkmcnt(0)
	v_fma_f64 v[24:25], v[6:7], v[12:13], v[24:25]
	v_fma_f64 v[26:27], v[8:9], v[12:13], v[10:11]
	;; [unrolled: 1-line block ×4, first 2 shown]
	ds_read_b128 v[6:9], v17 offset:48
	ds_read2_b64 v[10:13], v16 offset0:192 offset1:208
	ds_read_b128 v[18:21], v17 offset:1072
	s_waitcnt lgkmcnt(1)
	v_fma_f64 v[30:31], v[10:11], v[6:7], v[24:25]
	v_fma_f64 v[6:7], v[12:13], v[6:7], v[26:27]
	s_waitcnt lgkmcnt(0)
	v_fma_f64 v[26:27], v[10:11], v[18:19], v[22:23]
	v_fma_f64 v[18:19], v[12:13], v[18:19], v[28:29]
	ds_read2_b64 v[22:25], v16 offset0:224 offset1:240
	s_waitcnt lgkmcnt(0)
	s_barrier
	v_fma_f64 v[12:13], v[22:23], v[8:9], v[30:31]
	v_fma_f64 v[10:11], v[24:25], v[8:9], v[6:7]
	;; [unrolled: 1-line block ×4, first 2 shown]
	s_cbranch_scc0 .LBB113_2
	s_branch .LBB113_4
.LBB113_3:
	v_mov_b32_e32 v12, 0
	v_mov_b32_e32 v10, 0
	;; [unrolled: 1-line block ×8, first 2 shown]
.LBB113_4:
	s_load_dwordx2 s[0:1], s[4:5], 0x58
	s_load_dword s9, s[4:5], 0x50
	v_add_u32_e32 v4, s7, v1
	v_add_u32_e32 v0, s6, v0
	v_cmp_gt_i32_e32 vcc, s10, v4
	s_waitcnt lgkmcnt(0)
	s_mul_i32 s1, s1, s8
	s_mul_hi_u32 s4, s0, s8
	s_add_i32 s1, s4, s1
	v_mad_i64_i32 v[1:2], s[4:5], v4, s9, 0
	s_mul_i32 s0, s0, s8
	s_lshl_b64 s[0:1], s[0:1], 3
	s_add_u32 s7, s20, s0
	v_lshlrev_b64 v[1:2], 3, v[1:2]
	s_addc_u32 s8, s21, s1
	v_mov_b32_e32 v3, s8
	v_add_co_u32_e64 v5, s[0:1], s7, v1
	v_addc_co_u32_e64 v14, s[0:1], v3, v2, s[0:1]
	v_cmp_le_i32_e64 s[0:1], v0, v4
	s_and_b64 s[0:1], vcc, s[0:1]
	s_and_saveexec_b64 s[4:5], s[0:1]
	s_cbranch_execz .LBB113_6
; %bb.5:
	v_ashrrev_i32_e32 v1, 31, v0
	v_lshlrev_b64 v[1:2], 3, v[0:1]
	v_add_co_u32_e64 v1, s[0:1], v5, v1
	v_addc_co_u32_e64 v2, s[0:1], v14, v2, s[0:1]
	global_load_dwordx2 v[15:16], v[1:2], off
	s_waitcnt vmcnt(0)
	v_mul_f64 v[15:16], s[2:3], v[15:16]
	v_fma_f64 v[12:13], s[12:13], v[12:13], v[15:16]
	global_store_dwordx2 v[1:2], v[12:13], off
.LBB113_6:
	s_or_b64 exec, exec, s[4:5]
	v_add_u32_e32 v2, 16, v0
	v_cmp_le_i32_e64 s[0:1], v2, v4
	s_and_b64 s[4:5], vcc, s[0:1]
	s_and_saveexec_b64 s[0:1], s[4:5]
	s_cbranch_execz .LBB113_8
; %bb.7:
	v_ashrrev_i32_e32 v3, 31, v2
	v_lshlrev_b64 v[12:13], 3, v[2:3]
	v_add_co_u32_e32 v12, vcc, v5, v12
	v_addc_co_u32_e32 v13, vcc, v14, v13, vcc
	global_load_dwordx2 v[14:15], v[12:13], off
	s_waitcnt vmcnt(0)
	v_mul_f64 v[14:15], s[2:3], v[14:15]
	v_fma_f64 v[10:11], s[12:13], v[10:11], v[14:15]
	global_store_dwordx2 v[12:13], v[10:11], off
.LBB113_8:
	s_or_b64 exec, exec, s[0:1]
	v_add_u32_e32 v3, 16, v4
	v_mad_i64_i32 v[4:5], s[0:1], v3, s9, 0
	v_mov_b32_e32 v1, s8
	v_cmp_gt_i32_e32 vcc, s10, v3
	v_lshlrev_b64 v[4:5], 3, v[4:5]
	v_add_co_u32_e64 v4, s[0:1], s7, v4
	v_addc_co_u32_e64 v5, s[0:1], v1, v5, s[0:1]
	v_cmp_le_i32_e64 s[0:1], v0, v3
	s_and_b64 s[0:1], vcc, s[0:1]
	s_and_saveexec_b64 s[4:5], s[0:1]
	s_cbranch_execz .LBB113_10
; %bb.9:
	v_ashrrev_i32_e32 v1, 31, v0
	v_lshlrev_b64 v[0:1], 3, v[0:1]
	v_add_co_u32_e64 v0, s[0:1], v4, v0
	v_addc_co_u32_e64 v1, s[0:1], v5, v1, s[0:1]
	global_load_dwordx2 v[10:11], v[0:1], off
	s_waitcnt vmcnt(0)
	v_mul_f64 v[10:11], s[2:3], v[10:11]
	v_fma_f64 v[8:9], s[12:13], v[8:9], v[10:11]
	global_store_dwordx2 v[0:1], v[8:9], off
.LBB113_10:
	s_or_b64 exec, exec, s[4:5]
	v_cmp_le_i32_e64 s[0:1], v2, v3
	s_and_b64 s[0:1], vcc, s[0:1]
	s_and_saveexec_b64 s[4:5], s[0:1]
	s_cbranch_execz .LBB113_12
; %bb.11:
	v_ashrrev_i32_e32 v3, 31, v2
	v_lshlrev_b64 v[0:1], 3, v[2:3]
	v_add_co_u32_e32 v0, vcc, v4, v0
	v_addc_co_u32_e32 v1, vcc, v5, v1, vcc
	global_load_dwordx2 v[2:3], v[0:1], off
	s_waitcnt vmcnt(0)
	v_mul_f64 v[2:3], s[2:3], v[2:3]
	v_fma_f64 v[2:3], s[12:13], v[6:7], v[2:3]
	global_store_dwordx2 v[0:1], v[2:3], off
.LBB113_12:
	s_endpgm
	.section	.rodata,"a",@progbits
	.p2align	6, 0x0
	.amdhsa_kernel _ZL37rocblas_syrkx_herkx_restricted_kernelIidLi16ELi32ELi8ELb0ELb0ELc67ELc85EKddEviT_T0_PT8_S1_lS4_S1_lS2_PT9_S1_li
		.amdhsa_group_segment_fixed_size 4096
		.amdhsa_private_segment_fixed_size 0
		.amdhsa_kernarg_size 100
		.amdhsa_user_sgpr_count 6
		.amdhsa_user_sgpr_private_segment_buffer 1
		.amdhsa_user_sgpr_dispatch_ptr 0
		.amdhsa_user_sgpr_queue_ptr 0
		.amdhsa_user_sgpr_kernarg_segment_ptr 1
		.amdhsa_user_sgpr_dispatch_id 0
		.amdhsa_user_sgpr_flat_scratch_init 0
		.amdhsa_user_sgpr_private_segment_size 0
		.amdhsa_uses_dynamic_stack 0
		.amdhsa_system_sgpr_private_segment_wavefront_offset 0
		.amdhsa_system_sgpr_workgroup_id_x 1
		.amdhsa_system_sgpr_workgroup_id_y 1
		.amdhsa_system_sgpr_workgroup_id_z 1
		.amdhsa_system_sgpr_workgroup_info 0
		.amdhsa_system_vgpr_workitem_id 1
		.amdhsa_next_free_vgpr 32
		.amdhsa_next_free_sgpr 26
		.amdhsa_reserve_vcc 1
		.amdhsa_reserve_flat_scratch 0
		.amdhsa_float_round_mode_32 0
		.amdhsa_float_round_mode_16_64 0
		.amdhsa_float_denorm_mode_32 3
		.amdhsa_float_denorm_mode_16_64 3
		.amdhsa_dx10_clamp 1
		.amdhsa_ieee_mode 1
		.amdhsa_fp16_overflow 0
		.amdhsa_exception_fp_ieee_invalid_op 0
		.amdhsa_exception_fp_denorm_src 0
		.amdhsa_exception_fp_ieee_div_zero 0
		.amdhsa_exception_fp_ieee_overflow 0
		.amdhsa_exception_fp_ieee_underflow 0
		.amdhsa_exception_fp_ieee_inexact 0
		.amdhsa_exception_int_div_zero 0
	.end_amdhsa_kernel
	.section	.text._ZL37rocblas_syrkx_herkx_restricted_kernelIidLi16ELi32ELi8ELb0ELb0ELc67ELc85EKddEviT_T0_PT8_S1_lS4_S1_lS2_PT9_S1_li,"axG",@progbits,_ZL37rocblas_syrkx_herkx_restricted_kernelIidLi16ELi32ELi8ELb0ELb0ELc67ELc85EKddEviT_T0_PT8_S1_lS4_S1_lS2_PT9_S1_li,comdat
.Lfunc_end113:
	.size	_ZL37rocblas_syrkx_herkx_restricted_kernelIidLi16ELi32ELi8ELb0ELb0ELc67ELc85EKddEviT_T0_PT8_S1_lS4_S1_lS2_PT9_S1_li, .Lfunc_end113-_ZL37rocblas_syrkx_herkx_restricted_kernelIidLi16ELi32ELi8ELb0ELb0ELc67ELc85EKddEviT_T0_PT8_S1_lS4_S1_lS2_PT9_S1_li
                                        ; -- End function
	.set _ZL37rocblas_syrkx_herkx_restricted_kernelIidLi16ELi32ELi8ELb0ELb0ELc67ELc85EKddEviT_T0_PT8_S1_lS4_S1_lS2_PT9_S1_li.num_vgpr, 32
	.set _ZL37rocblas_syrkx_herkx_restricted_kernelIidLi16ELi32ELi8ELb0ELb0ELc67ELc85EKddEviT_T0_PT8_S1_lS4_S1_lS2_PT9_S1_li.num_agpr, 0
	.set _ZL37rocblas_syrkx_herkx_restricted_kernelIidLi16ELi32ELi8ELb0ELb0ELc67ELc85EKddEviT_T0_PT8_S1_lS4_S1_lS2_PT9_S1_li.numbered_sgpr, 26
	.set _ZL37rocblas_syrkx_herkx_restricted_kernelIidLi16ELi32ELi8ELb0ELb0ELc67ELc85EKddEviT_T0_PT8_S1_lS4_S1_lS2_PT9_S1_li.num_named_barrier, 0
	.set _ZL37rocblas_syrkx_herkx_restricted_kernelIidLi16ELi32ELi8ELb0ELb0ELc67ELc85EKddEviT_T0_PT8_S1_lS4_S1_lS2_PT9_S1_li.private_seg_size, 0
	.set _ZL37rocblas_syrkx_herkx_restricted_kernelIidLi16ELi32ELi8ELb0ELb0ELc67ELc85EKddEviT_T0_PT8_S1_lS4_S1_lS2_PT9_S1_li.uses_vcc, 1
	.set _ZL37rocblas_syrkx_herkx_restricted_kernelIidLi16ELi32ELi8ELb0ELb0ELc67ELc85EKddEviT_T0_PT8_S1_lS4_S1_lS2_PT9_S1_li.uses_flat_scratch, 0
	.set _ZL37rocblas_syrkx_herkx_restricted_kernelIidLi16ELi32ELi8ELb0ELb0ELc67ELc85EKddEviT_T0_PT8_S1_lS4_S1_lS2_PT9_S1_li.has_dyn_sized_stack, 0
	.set _ZL37rocblas_syrkx_herkx_restricted_kernelIidLi16ELi32ELi8ELb0ELb0ELc67ELc85EKddEviT_T0_PT8_S1_lS4_S1_lS2_PT9_S1_li.has_recursion, 0
	.set _ZL37rocblas_syrkx_herkx_restricted_kernelIidLi16ELi32ELi8ELb0ELb0ELc67ELc85EKddEviT_T0_PT8_S1_lS4_S1_lS2_PT9_S1_li.has_indirect_call, 0
	.section	.AMDGPU.csdata,"",@progbits
; Kernel info:
; codeLenInByte = 1356
; TotalNumSgprs: 30
; NumVgprs: 32
; ScratchSize: 0
; MemoryBound: 0
; FloatMode: 240
; IeeeMode: 1
; LDSByteSize: 4096 bytes/workgroup (compile time only)
; SGPRBlocks: 3
; VGPRBlocks: 7
; NumSGPRsForWavesPerEU: 30
; NumVGPRsForWavesPerEU: 32
; Occupancy: 8
; WaveLimiterHint : 0
; COMPUTE_PGM_RSRC2:SCRATCH_EN: 0
; COMPUTE_PGM_RSRC2:USER_SGPR: 6
; COMPUTE_PGM_RSRC2:TRAP_HANDLER: 0
; COMPUTE_PGM_RSRC2:TGID_X_EN: 1
; COMPUTE_PGM_RSRC2:TGID_Y_EN: 1
; COMPUTE_PGM_RSRC2:TGID_Z_EN: 1
; COMPUTE_PGM_RSRC2:TIDIG_COMP_CNT: 1
	.section	.text._ZL37rocblas_syrkx_herkx_restricted_kernelIidLi16ELi32ELi8ELb0ELb0ELc78ELc85EKddEviT_T0_PT8_S1_lS4_S1_lS2_PT9_S1_li,"axG",@progbits,_ZL37rocblas_syrkx_herkx_restricted_kernelIidLi16ELi32ELi8ELb0ELb0ELc78ELc85EKddEviT_T0_PT8_S1_lS4_S1_lS2_PT9_S1_li,comdat
	.globl	_ZL37rocblas_syrkx_herkx_restricted_kernelIidLi16ELi32ELi8ELb0ELb0ELc78ELc85EKddEviT_T0_PT8_S1_lS4_S1_lS2_PT9_S1_li ; -- Begin function _ZL37rocblas_syrkx_herkx_restricted_kernelIidLi16ELi32ELi8ELb0ELb0ELc78ELc85EKddEviT_T0_PT8_S1_lS4_S1_lS2_PT9_S1_li
	.p2align	8
	.type	_ZL37rocblas_syrkx_herkx_restricted_kernelIidLi16ELi32ELi8ELb0ELb0ELc78ELc85EKddEviT_T0_PT8_S1_lS4_S1_lS2_PT9_S1_li,@function
_ZL37rocblas_syrkx_herkx_restricted_kernelIidLi16ELi32ELi8ELb0ELb0ELc78ELc85EKddEviT_T0_PT8_S1_lS4_S1_lS2_PT9_S1_li: ; @_ZL37rocblas_syrkx_herkx_restricted_kernelIidLi16ELi32ELi8ELb0ELb0ELc78ELc85EKddEviT_T0_PT8_S1_lS4_S1_lS2_PT9_S1_li
; %bb.0:
	s_load_dwordx2 s[10:11], s[4:5], 0x0
	s_load_dwordx4 s[12:15], s[4:5], 0x8
	s_load_dwordx4 s[0:3], s[4:5], 0x38
	s_load_dwordx2 s[20:21], s[4:5], 0x48
	s_lshl_b32 s9, s6, 5
	s_lshl_b32 s22, s7, 5
	s_waitcnt lgkmcnt(0)
	s_cmp_lt_i32 s11, 1
	s_mov_b32 s23, 0
	s_cbranch_scc1 .LBB114_3
; %bb.1:
	s_load_dword s24, s[4:5], 0x18
	s_load_dword s6, s[4:5], 0x30
	s_load_dwordx4 s[16:19], s[4:5], 0x20
	v_lshl_add_u32 v2, v1, 4, v0
	v_lshrrev_b32_e32 v4, 3, v2
	v_lshrrev_b32_e32 v6, 5, v2
	v_and_b32_e32 v7, 31, v2
	v_add_u32_e32 v2, s22, v4
	v_and_b32_e32 v5, 7, v0
	v_ashrrev_i32_e32 v3, 31, v2
	s_waitcnt lgkmcnt(0)
	v_mad_i64_i32 v[2:3], s[26:27], s6, v5, v[2:3]
	s_mul_i32 s1, s1, s8
	s_mul_hi_u32 s28, s0, s8
	v_lshlrev_b32_e32 v8, 3, v7
	s_add_i32 s1, s28, s1
	s_mul_i32 s0, s0, s8
	s_ashr_i32 s25, s24, 31
	s_ashr_i32 s7, s6, 31
	v_lshl_or_b32 v14, v6, 8, v8
	v_lshlrev_b32_e32 v8, 3, v5
	s_lshl_b64 s[0:1], s[0:1], 3
	v_lshl_or_b32 v4, v4, 6, v8
	v_lshlrev_b64 v[2:3], 3, v[2:3]
	s_add_u32 s0, s18, s0
	v_add_u32_e32 v15, 0x800, v4
	v_mov_b32_e32 v4, 0x800
	s_addc_u32 s1, s19, s1
	v_lshl_add_u32 v17, v1, 6, v4
	v_mov_b32_e32 v4, s1
	v_add_co_u32_e32 v2, vcc, s0, v2
	v_addc_co_u32_e32 v3, vcc, v4, v3, vcc
	v_add_u32_e32 v4, s9, v7
	v_ashrrev_i32_e32 v5, 31, v4
	v_mad_i64_i32 v[4:5], s[0:1], s24, v6, v[4:5]
	s_mul_i32 s17, s17, s8
	s_mul_hi_u32 s18, s16, s8
	s_add_i32 s1, s18, s17
	s_mul_i32 s0, s16, s8
	s_lshl_b64 s[6:7], s[6:7], 6
	s_lshl_b64 s[0:1], s[0:1], 3
	v_lshlrev_b64 v[4:5], 3, v[4:5]
	s_add_u32 s0, s14, s0
	s_addc_u32 s1, s15, s1
	v_mov_b32_e32 v7, s1
	v_add_co_u32_e32 v6, vcc, s0, v4
	v_addc_co_u32_e32 v7, vcc, v7, v5, vcc
	s_lshl_b64 s[14:15], s[24:25], 6
	v_mov_b32_e32 v4, 0
	v_mov_b32_e32 v8, 0
	;; [unrolled: 1-line block ×4, first 2 shown]
	v_lshlrev_b32_e32 v16, 3, v0
	v_mov_b32_e32 v5, 0
	v_mov_b32_e32 v18, s7
	;; [unrolled: 1-line block ×6, first 2 shown]
.LBB114_2:                              ; =>This Inner Loop Header: Depth=1
	global_load_dwordx2 v[20:21], v[6:7], off
	global_load_dwordx2 v[22:23], v[2:3], off
	s_add_i32 s23, s23, 8
	v_add_co_u32_e32 v2, vcc, s6, v2
	v_add_co_u32_e64 v6, s[0:1], s14, v6
	v_addc_co_u32_e32 v3, vcc, v3, v18, vcc
	v_addc_co_u32_e64 v7, vcc, v7, v19, s[0:1]
	s_cmp_ge_i32 s23, s11
	s_waitcnt vmcnt(1)
	ds_write_b64 v14, v[20:21]
	s_waitcnt vmcnt(0)
	ds_write_b64 v15, v[22:23]
	s_waitcnt lgkmcnt(0)
	s_barrier
	ds_read2_b64 v[20:23], v16 offset1:16
	ds_read_b128 v[24:27], v17
	s_waitcnt lgkmcnt(0)
	v_fma_f64 v[28:29], v[20:21], v[24:25], v[12:13]
	v_fma_f64 v[24:25], v[22:23], v[24:25], v[10:11]
	ds_read_b128 v[10:13], v17 offset:1024
	s_waitcnt lgkmcnt(0)
	v_fma_f64 v[20:21], v[20:21], v[10:11], v[8:9]
	v_fma_f64 v[4:5], v[22:23], v[10:11], v[4:5]
	ds_read2_b64 v[8:11], v16 offset0:32 offset1:48
	s_waitcnt lgkmcnt(0)
	v_fma_f64 v[28:29], v[8:9], v[26:27], v[28:29]
	v_fma_f64 v[24:25], v[10:11], v[26:27], v[24:25]
	;; [unrolled: 1-line block ×4, first 2 shown]
	ds_read_b128 v[8:11], v17 offset:16
	ds_read2_b64 v[20:23], v16 offset0:64 offset1:80
	s_waitcnt lgkmcnt(0)
	v_fma_f64 v[12:13], v[20:21], v[8:9], v[28:29]
	v_fma_f64 v[8:9], v[22:23], v[8:9], v[24:25]
	ds_read_b128 v[24:27], v17 offset:1040
	s_waitcnt lgkmcnt(0)
	v_fma_f64 v[28:29], v[20:21], v[24:25], v[30:31]
	v_fma_f64 v[4:5], v[22:23], v[24:25], v[4:5]
	ds_read2_b64 v[20:23], v16 offset0:96 offset1:112
	s_waitcnt lgkmcnt(0)
	v_fma_f64 v[12:13], v[20:21], v[10:11], v[12:13]
	v_fma_f64 v[24:25], v[22:23], v[10:11], v[8:9]
	;; [unrolled: 1-line block ×4, first 2 shown]
	ds_read2_b64 v[8:11], v16 offset0:128 offset1:144
	ds_read_b128 v[20:23], v17 offset:32
	s_waitcnt lgkmcnt(0)
	v_fma_f64 v[12:13], v[8:9], v[20:21], v[12:13]
	v_fma_f64 v[20:21], v[10:11], v[20:21], v[24:25]
	ds_read_b128 v[24:27], v17 offset:1056
	s_waitcnt lgkmcnt(0)
	v_fma_f64 v[28:29], v[8:9], v[24:25], v[28:29]
	v_fma_f64 v[4:5], v[10:11], v[24:25], v[4:5]
	ds_read2_b64 v[8:11], v16 offset0:160 offset1:176
	s_waitcnt lgkmcnt(0)
	v_fma_f64 v[12:13], v[8:9], v[22:23], v[12:13]
	v_fma_f64 v[24:25], v[10:11], v[22:23], v[20:21]
	;; [unrolled: 1-line block ×4, first 2 shown]
	ds_read_b128 v[8:11], v17 offset:48
	ds_read2_b64 v[20:23], v16 offset0:192 offset1:208
	s_waitcnt lgkmcnt(0)
	v_fma_f64 v[12:13], v[20:21], v[8:9], v[12:13]
	v_fma_f64 v[8:9], v[22:23], v[8:9], v[24:25]
	ds_read_b128 v[24:27], v17 offset:1072
	s_waitcnt lgkmcnt(0)
	v_fma_f64 v[28:29], v[20:21], v[24:25], v[28:29]
	v_fma_f64 v[4:5], v[22:23], v[24:25], v[4:5]
	ds_read2_b64 v[20:23], v16 offset0:224 offset1:240
	s_waitcnt lgkmcnt(0)
	s_barrier
	v_fma_f64 v[12:13], v[20:21], v[10:11], v[12:13]
	v_fma_f64 v[10:11], v[22:23], v[10:11], v[8:9]
	;; [unrolled: 1-line block ×4, first 2 shown]
	s_cbranch_scc0 .LBB114_2
	s_branch .LBB114_4
.LBB114_3:
	v_mov_b32_e32 v12, 0
	v_mov_b32_e32 v10, 0
	;; [unrolled: 1-line block ×8, first 2 shown]
.LBB114_4:
	s_load_dwordx2 s[0:1], s[4:5], 0x58
	s_load_dword s6, s[4:5], 0x50
	v_add_u32_e32 v6, s22, v1
	v_add_u32_e32 v0, s9, v0
	v_cmp_gt_i32_e32 vcc, s10, v6
	s_waitcnt lgkmcnt(0)
	s_mul_i32 s1, s1, s8
	s_mul_hi_u32 s4, s0, s8
	s_add_i32 s1, s4, s1
	v_mad_i64_i32 v[1:2], s[4:5], v6, s6, 0
	s_mul_i32 s0, s0, s8
	s_lshl_b64 s[0:1], s[0:1], 3
	s_add_u32 s7, s20, s0
	v_lshlrev_b64 v[1:2], 3, v[1:2]
	s_addc_u32 s8, s21, s1
	v_mov_b32_e32 v3, s8
	v_add_co_u32_e64 v7, s[0:1], s7, v1
	v_addc_co_u32_e64 v14, s[0:1], v3, v2, s[0:1]
	v_cmp_le_i32_e64 s[0:1], v0, v6
	s_and_b64 s[0:1], vcc, s[0:1]
	s_and_saveexec_b64 s[4:5], s[0:1]
	s_cbranch_execz .LBB114_6
; %bb.5:
	v_ashrrev_i32_e32 v1, 31, v0
	v_lshlrev_b64 v[1:2], 3, v[0:1]
	v_add_co_u32_e64 v1, s[0:1], v7, v1
	v_addc_co_u32_e64 v2, s[0:1], v14, v2, s[0:1]
	global_load_dwordx2 v[15:16], v[1:2], off
	s_waitcnt vmcnt(0)
	v_mul_f64 v[15:16], s[2:3], v[15:16]
	v_fma_f64 v[12:13], s[12:13], v[12:13], v[15:16]
	global_store_dwordx2 v[1:2], v[12:13], off
.LBB114_6:
	s_or_b64 exec, exec, s[4:5]
	v_add_u32_e32 v2, 16, v0
	v_cmp_le_i32_e64 s[0:1], v2, v6
	s_and_b64 s[4:5], vcc, s[0:1]
	s_and_saveexec_b64 s[0:1], s[4:5]
	s_cbranch_execz .LBB114_8
; %bb.7:
	v_ashrrev_i32_e32 v3, 31, v2
	v_lshlrev_b64 v[12:13], 3, v[2:3]
	v_add_co_u32_e32 v12, vcc, v7, v12
	v_addc_co_u32_e32 v13, vcc, v14, v13, vcc
	global_load_dwordx2 v[14:15], v[12:13], off
	s_waitcnt vmcnt(0)
	v_mul_f64 v[14:15], s[2:3], v[14:15]
	v_fma_f64 v[10:11], s[12:13], v[10:11], v[14:15]
	global_store_dwordx2 v[12:13], v[10:11], off
.LBB114_8:
	s_or_b64 exec, exec, s[0:1]
	v_add_u32_e32 v3, 16, v6
	v_mad_i64_i32 v[6:7], s[0:1], v3, s6, 0
	v_mov_b32_e32 v1, s8
	v_cmp_gt_i32_e32 vcc, s10, v3
	v_lshlrev_b64 v[6:7], 3, v[6:7]
	v_add_co_u32_e64 v6, s[0:1], s7, v6
	v_addc_co_u32_e64 v7, s[0:1], v1, v7, s[0:1]
	v_cmp_le_i32_e64 s[0:1], v0, v3
	s_and_b64 s[0:1], vcc, s[0:1]
	s_and_saveexec_b64 s[4:5], s[0:1]
	s_cbranch_execz .LBB114_10
; %bb.9:
	v_ashrrev_i32_e32 v1, 31, v0
	v_lshlrev_b64 v[0:1], 3, v[0:1]
	v_add_co_u32_e64 v0, s[0:1], v6, v0
	v_addc_co_u32_e64 v1, s[0:1], v7, v1, s[0:1]
	global_load_dwordx2 v[10:11], v[0:1], off
	s_waitcnt vmcnt(0)
	v_mul_f64 v[10:11], s[2:3], v[10:11]
	v_fma_f64 v[8:9], s[12:13], v[8:9], v[10:11]
	global_store_dwordx2 v[0:1], v[8:9], off
.LBB114_10:
	s_or_b64 exec, exec, s[4:5]
	v_cmp_le_i32_e64 s[0:1], v2, v3
	s_and_b64 s[0:1], vcc, s[0:1]
	s_and_saveexec_b64 s[4:5], s[0:1]
	s_cbranch_execz .LBB114_12
; %bb.11:
	v_ashrrev_i32_e32 v3, 31, v2
	v_lshlrev_b64 v[0:1], 3, v[2:3]
	v_add_co_u32_e32 v0, vcc, v6, v0
	v_addc_co_u32_e32 v1, vcc, v7, v1, vcc
	global_load_dwordx2 v[2:3], v[0:1], off
	s_waitcnt vmcnt(0)
	v_mul_f64 v[2:3], s[2:3], v[2:3]
	v_fma_f64 v[2:3], s[12:13], v[4:5], v[2:3]
	global_store_dwordx2 v[0:1], v[2:3], off
.LBB114_12:
	s_endpgm
	.section	.rodata,"a",@progbits
	.p2align	6, 0x0
	.amdhsa_kernel _ZL37rocblas_syrkx_herkx_restricted_kernelIidLi16ELi32ELi8ELb0ELb0ELc78ELc85EKddEviT_T0_PT8_S1_lS4_S1_lS2_PT9_S1_li
		.amdhsa_group_segment_fixed_size 4096
		.amdhsa_private_segment_fixed_size 0
		.amdhsa_kernarg_size 100
		.amdhsa_user_sgpr_count 6
		.amdhsa_user_sgpr_private_segment_buffer 1
		.amdhsa_user_sgpr_dispatch_ptr 0
		.amdhsa_user_sgpr_queue_ptr 0
		.amdhsa_user_sgpr_kernarg_segment_ptr 1
		.amdhsa_user_sgpr_dispatch_id 0
		.amdhsa_user_sgpr_flat_scratch_init 0
		.amdhsa_user_sgpr_private_segment_size 0
		.amdhsa_uses_dynamic_stack 0
		.amdhsa_system_sgpr_private_segment_wavefront_offset 0
		.amdhsa_system_sgpr_workgroup_id_x 1
		.amdhsa_system_sgpr_workgroup_id_y 1
		.amdhsa_system_sgpr_workgroup_id_z 1
		.amdhsa_system_sgpr_workgroup_info 0
		.amdhsa_system_vgpr_workitem_id 1
		.amdhsa_next_free_vgpr 32
		.amdhsa_next_free_sgpr 29
		.amdhsa_reserve_vcc 1
		.amdhsa_reserve_flat_scratch 0
		.amdhsa_float_round_mode_32 0
		.amdhsa_float_round_mode_16_64 0
		.amdhsa_float_denorm_mode_32 3
		.amdhsa_float_denorm_mode_16_64 3
		.amdhsa_dx10_clamp 1
		.amdhsa_ieee_mode 1
		.amdhsa_fp16_overflow 0
		.amdhsa_exception_fp_ieee_invalid_op 0
		.amdhsa_exception_fp_denorm_src 0
		.amdhsa_exception_fp_ieee_div_zero 0
		.amdhsa_exception_fp_ieee_overflow 0
		.amdhsa_exception_fp_ieee_underflow 0
		.amdhsa_exception_fp_ieee_inexact 0
		.amdhsa_exception_int_div_zero 0
	.end_amdhsa_kernel
	.section	.text._ZL37rocblas_syrkx_herkx_restricted_kernelIidLi16ELi32ELi8ELb0ELb0ELc78ELc85EKddEviT_T0_PT8_S1_lS4_S1_lS2_PT9_S1_li,"axG",@progbits,_ZL37rocblas_syrkx_herkx_restricted_kernelIidLi16ELi32ELi8ELb0ELb0ELc78ELc85EKddEviT_T0_PT8_S1_lS4_S1_lS2_PT9_S1_li,comdat
.Lfunc_end114:
	.size	_ZL37rocblas_syrkx_herkx_restricted_kernelIidLi16ELi32ELi8ELb0ELb0ELc78ELc85EKddEviT_T0_PT8_S1_lS4_S1_lS2_PT9_S1_li, .Lfunc_end114-_ZL37rocblas_syrkx_herkx_restricted_kernelIidLi16ELi32ELi8ELb0ELb0ELc78ELc85EKddEviT_T0_PT8_S1_lS4_S1_lS2_PT9_S1_li
                                        ; -- End function
	.set _ZL37rocblas_syrkx_herkx_restricted_kernelIidLi16ELi32ELi8ELb0ELb0ELc78ELc85EKddEviT_T0_PT8_S1_lS4_S1_lS2_PT9_S1_li.num_vgpr, 32
	.set _ZL37rocblas_syrkx_herkx_restricted_kernelIidLi16ELi32ELi8ELb0ELb0ELc78ELc85EKddEviT_T0_PT8_S1_lS4_S1_lS2_PT9_S1_li.num_agpr, 0
	.set _ZL37rocblas_syrkx_herkx_restricted_kernelIidLi16ELi32ELi8ELb0ELb0ELc78ELc85EKddEviT_T0_PT8_S1_lS4_S1_lS2_PT9_S1_li.numbered_sgpr, 29
	.set _ZL37rocblas_syrkx_herkx_restricted_kernelIidLi16ELi32ELi8ELb0ELb0ELc78ELc85EKddEviT_T0_PT8_S1_lS4_S1_lS2_PT9_S1_li.num_named_barrier, 0
	.set _ZL37rocblas_syrkx_herkx_restricted_kernelIidLi16ELi32ELi8ELb0ELb0ELc78ELc85EKddEviT_T0_PT8_S1_lS4_S1_lS2_PT9_S1_li.private_seg_size, 0
	.set _ZL37rocblas_syrkx_herkx_restricted_kernelIidLi16ELi32ELi8ELb0ELb0ELc78ELc85EKddEviT_T0_PT8_S1_lS4_S1_lS2_PT9_S1_li.uses_vcc, 1
	.set _ZL37rocblas_syrkx_herkx_restricted_kernelIidLi16ELi32ELi8ELb0ELb0ELc78ELc85EKddEviT_T0_PT8_S1_lS4_S1_lS2_PT9_S1_li.uses_flat_scratch, 0
	.set _ZL37rocblas_syrkx_herkx_restricted_kernelIidLi16ELi32ELi8ELb0ELb0ELc78ELc85EKddEviT_T0_PT8_S1_lS4_S1_lS2_PT9_S1_li.has_dyn_sized_stack, 0
	.set _ZL37rocblas_syrkx_herkx_restricted_kernelIidLi16ELi32ELi8ELb0ELb0ELc78ELc85EKddEviT_T0_PT8_S1_lS4_S1_lS2_PT9_S1_li.has_recursion, 0
	.set _ZL37rocblas_syrkx_herkx_restricted_kernelIidLi16ELi32ELi8ELb0ELb0ELc78ELc85EKddEviT_T0_PT8_S1_lS4_S1_lS2_PT9_S1_li.has_indirect_call, 0
	.section	.AMDGPU.csdata,"",@progbits
; Kernel info:
; codeLenInByte = 1380
; TotalNumSgprs: 33
; NumVgprs: 32
; ScratchSize: 0
; MemoryBound: 0
; FloatMode: 240
; IeeeMode: 1
; LDSByteSize: 4096 bytes/workgroup (compile time only)
; SGPRBlocks: 4
; VGPRBlocks: 7
; NumSGPRsForWavesPerEU: 33
; NumVGPRsForWavesPerEU: 32
; Occupancy: 8
; WaveLimiterHint : 0
; COMPUTE_PGM_RSRC2:SCRATCH_EN: 0
; COMPUTE_PGM_RSRC2:USER_SGPR: 6
; COMPUTE_PGM_RSRC2:TRAP_HANDLER: 0
; COMPUTE_PGM_RSRC2:TGID_X_EN: 1
; COMPUTE_PGM_RSRC2:TGID_Y_EN: 1
; COMPUTE_PGM_RSRC2:TGID_Z_EN: 1
; COMPUTE_PGM_RSRC2:TIDIG_COMP_CNT: 1
	.section	.text._ZL41rocblas_syrkx_herkx_small_restrict_kernelIidLi16ELb1ELb0ELc84ELc76EKddEviT_T0_PT6_S1_lS4_S1_lS2_PT7_S1_li,"axG",@progbits,_ZL41rocblas_syrkx_herkx_small_restrict_kernelIidLi16ELb1ELb0ELc84ELc76EKddEviT_T0_PT6_S1_lS4_S1_lS2_PT7_S1_li,comdat
	.globl	_ZL41rocblas_syrkx_herkx_small_restrict_kernelIidLi16ELb1ELb0ELc84ELc76EKddEviT_T0_PT6_S1_lS4_S1_lS2_PT7_S1_li ; -- Begin function _ZL41rocblas_syrkx_herkx_small_restrict_kernelIidLi16ELb1ELb0ELc84ELc76EKddEviT_T0_PT6_S1_lS4_S1_lS2_PT7_S1_li
	.p2align	8
	.type	_ZL41rocblas_syrkx_herkx_small_restrict_kernelIidLi16ELb1ELb0ELc84ELc76EKddEviT_T0_PT6_S1_lS4_S1_lS2_PT7_S1_li,@function
_ZL41rocblas_syrkx_herkx_small_restrict_kernelIidLi16ELb1ELb0ELc84ELc76EKddEviT_T0_PT6_S1_lS4_S1_lS2_PT7_S1_li: ; @_ZL41rocblas_syrkx_herkx_small_restrict_kernelIidLi16ELb1ELb0ELc84ELc76EKddEviT_T0_PT6_S1_lS4_S1_lS2_PT7_S1_li
; %bb.0:
	s_load_dword s2, s[4:5], 0x4
	s_load_dwordx4 s[12:15], s[4:5], 0x8
	s_mov_b32 s3, 0
	v_lshl_add_u32 v2, s6, 4, v0
	v_lshl_add_u32 v7, s7, 4, v1
	s_waitcnt lgkmcnt(0)
	s_cmp_lt_i32 s2, 1
	s_cbranch_scc1 .LBB115_6
; %bb.1:
	s_load_dword s9, s[4:5], 0x18
	s_load_dwordx4 s[16:19], s[4:5], 0x20
	s_load_dword s6, s[4:5], 0x30
	s_load_dwordx2 s[0:1], s[4:5], 0x38
	v_lshlrev_b32_e32 v5, 7, v1
	v_lshlrev_b32_e32 v8, 3, v0
	v_add_u32_e32 v9, v8, v5
	s_waitcnt lgkmcnt(0)
	v_mad_i64_i32 v[3:4], s[6:7], s6, v7, 0
	s_mul_i32 s1, s1, s8
	s_mul_hi_u32 s6, s0, s8
	v_lshlrev_b64 v[3:4], 3, v[3:4]
	s_add_i32 s1, s6, s1
	s_mul_i32 s0, s0, s8
	s_lshl_b64 s[0:1], s[0:1], 3
	v_add_u32_e32 v10, 0x800, v5
	v_mov_b32_e32 v0, s1
	v_add_co_u32_e32 v3, vcc, s0, v3
	v_mad_i64_i32 v[5:6], s[0:1], s9, v2, 0
	v_addc_co_u32_e32 v0, vcc, v4, v0, vcc
	v_add_co_u32_e32 v3, vcc, v3, v8
	v_addc_co_u32_e32 v0, vcc, 0, v0, vcc
	s_mul_i32 s0, s17, s8
	s_mul_hi_u32 s1, s16, s8
	v_mov_b32_e32 v4, s19
	v_add_co_u32_e32 v3, vcc, s18, v3
	v_lshlrev_b64 v[5:6], 3, v[5:6]
	s_add_i32 s1, s1, s0
	s_mul_i32 s0, s16, s8
	v_addc_co_u32_e32 v4, vcc, v4, v0, vcc
	s_lshl_b64 s[0:1], s[0:1], 3
	v_mov_b32_e32 v0, s1
	v_add_co_u32_e32 v5, vcc, s0, v5
	v_addc_co_u32_e32 v0, vcc, v6, v0, vcc
	v_lshlrev_b32_e32 v1, 3, v1
	v_add_co_u32_e32 v1, vcc, v5, v1
	v_addc_co_u32_e32 v12, vcc, 0, v0, vcc
	v_mov_b32_e32 v13, s15
	v_mov_b32_e32 v5, 0
	v_add_co_u32_e32 v0, vcc, s14, v1
	v_add_u32_e32 v11, v10, v8
	v_mov_b32_e32 v6, 0
	v_addc_co_u32_e32 v1, vcc, v13, v12, vcc
.LBB115_2:                              ; =>This Inner Loop Header: Depth=1
	global_load_dwordx2 v[12:13], v[0:1], off
	s_add_i32 s3, s3, 16
	s_cmp_lt_i32 s3, s2
	s_waitcnt vmcnt(0)
	ds_write_b64 v9, v[12:13]
	global_load_dwordx2 v[12:13], v[3:4], off
	v_add_co_u32_e32 v3, vcc, 0x80, v3
	s_mov_b64 s[0:1], vcc
	v_add_co_u32_e32 v0, vcc, 0x80, v0
	v_addc_co_u32_e64 v4, s[0:1], 0, v4, s[0:1]
	v_addc_co_u32_e32 v1, vcc, 0, v1, vcc
	s_waitcnt vmcnt(0)
	ds_write_b64 v11, v[12:13]
	s_waitcnt lgkmcnt(0)
	s_barrier
	ds_read2_b64 v[12:15], v8 offset1:16
	ds_read_b128 v[16:19], v10
	s_waitcnt lgkmcnt(0)
	v_fma_f64 v[5:6], v[12:13], v[16:17], v[5:6]
	v_fma_f64 v[5:6], v[14:15], v[18:19], v[5:6]
	ds_read_b128 v[12:15], v10 offset:16
	ds_read2_b64 v[16:19], v8 offset0:32 offset1:48
	s_waitcnt lgkmcnt(0)
	v_fma_f64 v[5:6], v[16:17], v[12:13], v[5:6]
	v_fma_f64 v[5:6], v[18:19], v[14:15], v[5:6]
	ds_read2_b64 v[12:15], v8 offset0:64 offset1:80
	ds_read_b128 v[16:19], v10 offset:32
	s_waitcnt lgkmcnt(0)
	v_fma_f64 v[5:6], v[12:13], v[16:17], v[5:6]
	v_fma_f64 v[5:6], v[14:15], v[18:19], v[5:6]
	ds_read_b128 v[12:15], v10 offset:48
	ds_read2_b64 v[16:19], v8 offset0:96 offset1:112
	s_waitcnt lgkmcnt(0)
	v_fma_f64 v[5:6], v[16:17], v[12:13], v[5:6]
	v_fma_f64 v[5:6], v[18:19], v[14:15], v[5:6]
	ds_read2_b64 v[12:15], v8 offset0:128 offset1:144
	ds_read_b128 v[16:19], v10 offset:64
	;; [unrolled: 10-line block ×3, first 2 shown]
	s_waitcnt lgkmcnt(0)
	v_fma_f64 v[5:6], v[12:13], v[16:17], v[5:6]
	v_fma_f64 v[5:6], v[14:15], v[18:19], v[5:6]
	ds_read_b128 v[12:15], v10 offset:112
	ds_read2_b64 v[16:19], v8 offset0:224 offset1:240
	s_waitcnt lgkmcnt(0)
	s_barrier
	v_fma_f64 v[5:6], v[16:17], v[12:13], v[5:6]
	v_fma_f64 v[5:6], v[18:19], v[14:15], v[5:6]
	s_cbranch_scc1 .LBB115_2
; %bb.3:
	v_cmp_le_i32_e32 vcc, v7, v2
	s_and_saveexec_b64 s[0:1], vcc
	s_cbranch_execz .LBB115_5
.LBB115_4:
	s_load_dwordx2 s[0:1], s[4:5], 0x58
	s_load_dwordx2 s[2:3], s[4:5], 0x48
	s_load_dword s6, s[4:5], 0x50
	v_mul_f64 v[4:5], s[12:13], v[5:6]
	v_ashrrev_i32_e32 v3, 31, v2
	s_waitcnt lgkmcnt(0)
	s_mul_i32 s1, s1, s8
	s_mul_hi_u32 s4, s0, s8
	s_add_i32 s1, s4, s1
	v_mad_i64_i32 v[0:1], s[4:5], s6, v7, 0
	s_mul_i32 s0, s0, s8
	s_lshl_b64 s[0:1], s[0:1], 3
	s_add_u32 s0, s2, s0
	v_lshlrev_b64 v[0:1], 3, v[0:1]
	s_addc_u32 s1, s3, s1
	v_mov_b32_e32 v6, s1
	v_add_co_u32_e32 v7, vcc, s0, v0
	v_addc_co_u32_e32 v6, vcc, v6, v1, vcc
	v_lshlrev_b64 v[0:1], 3, v[2:3]
	v_add_co_u32_e32 v0, vcc, v7, v0
	v_addc_co_u32_e32 v1, vcc, v6, v1, vcc
	global_store_dwordx2 v[0:1], v[4:5], off
.LBB115_5:
	s_endpgm
.LBB115_6:
	v_mov_b32_e32 v5, 0
	v_mov_b32_e32 v6, 0
	v_cmp_le_i32_e32 vcc, v7, v2
	s_and_saveexec_b64 s[0:1], vcc
	s_cbranch_execnz .LBB115_4
	s_branch .LBB115_5
	.section	.rodata,"a",@progbits
	.p2align	6, 0x0
	.amdhsa_kernel _ZL41rocblas_syrkx_herkx_small_restrict_kernelIidLi16ELb1ELb0ELc84ELc76EKddEviT_T0_PT6_S1_lS4_S1_lS2_PT7_S1_li
		.amdhsa_group_segment_fixed_size 4096
		.amdhsa_private_segment_fixed_size 0
		.amdhsa_kernarg_size 100
		.amdhsa_user_sgpr_count 6
		.amdhsa_user_sgpr_private_segment_buffer 1
		.amdhsa_user_sgpr_dispatch_ptr 0
		.amdhsa_user_sgpr_queue_ptr 0
		.amdhsa_user_sgpr_kernarg_segment_ptr 1
		.amdhsa_user_sgpr_dispatch_id 0
		.amdhsa_user_sgpr_flat_scratch_init 0
		.amdhsa_user_sgpr_private_segment_size 0
		.amdhsa_uses_dynamic_stack 0
		.amdhsa_system_sgpr_private_segment_wavefront_offset 0
		.amdhsa_system_sgpr_workgroup_id_x 1
		.amdhsa_system_sgpr_workgroup_id_y 1
		.amdhsa_system_sgpr_workgroup_id_z 1
		.amdhsa_system_sgpr_workgroup_info 0
		.amdhsa_system_vgpr_workitem_id 1
		.amdhsa_next_free_vgpr 20
		.amdhsa_next_free_sgpr 20
		.amdhsa_reserve_vcc 1
		.amdhsa_reserve_flat_scratch 0
		.amdhsa_float_round_mode_32 0
		.amdhsa_float_round_mode_16_64 0
		.amdhsa_float_denorm_mode_32 3
		.amdhsa_float_denorm_mode_16_64 3
		.amdhsa_dx10_clamp 1
		.amdhsa_ieee_mode 1
		.amdhsa_fp16_overflow 0
		.amdhsa_exception_fp_ieee_invalid_op 0
		.amdhsa_exception_fp_denorm_src 0
		.amdhsa_exception_fp_ieee_div_zero 0
		.amdhsa_exception_fp_ieee_overflow 0
		.amdhsa_exception_fp_ieee_underflow 0
		.amdhsa_exception_fp_ieee_inexact 0
		.amdhsa_exception_int_div_zero 0
	.end_amdhsa_kernel
	.section	.text._ZL41rocblas_syrkx_herkx_small_restrict_kernelIidLi16ELb1ELb0ELc84ELc76EKddEviT_T0_PT6_S1_lS4_S1_lS2_PT7_S1_li,"axG",@progbits,_ZL41rocblas_syrkx_herkx_small_restrict_kernelIidLi16ELb1ELb0ELc84ELc76EKddEviT_T0_PT6_S1_lS4_S1_lS2_PT7_S1_li,comdat
.Lfunc_end115:
	.size	_ZL41rocblas_syrkx_herkx_small_restrict_kernelIidLi16ELb1ELb0ELc84ELc76EKddEviT_T0_PT6_S1_lS4_S1_lS2_PT7_S1_li, .Lfunc_end115-_ZL41rocblas_syrkx_herkx_small_restrict_kernelIidLi16ELb1ELb0ELc84ELc76EKddEviT_T0_PT6_S1_lS4_S1_lS2_PT7_S1_li
                                        ; -- End function
	.set _ZL41rocblas_syrkx_herkx_small_restrict_kernelIidLi16ELb1ELb0ELc84ELc76EKddEviT_T0_PT6_S1_lS4_S1_lS2_PT7_S1_li.num_vgpr, 20
	.set _ZL41rocblas_syrkx_herkx_small_restrict_kernelIidLi16ELb1ELb0ELc84ELc76EKddEviT_T0_PT6_S1_lS4_S1_lS2_PT7_S1_li.num_agpr, 0
	.set _ZL41rocblas_syrkx_herkx_small_restrict_kernelIidLi16ELb1ELb0ELc84ELc76EKddEviT_T0_PT6_S1_lS4_S1_lS2_PT7_S1_li.numbered_sgpr, 20
	.set _ZL41rocblas_syrkx_herkx_small_restrict_kernelIidLi16ELb1ELb0ELc84ELc76EKddEviT_T0_PT6_S1_lS4_S1_lS2_PT7_S1_li.num_named_barrier, 0
	.set _ZL41rocblas_syrkx_herkx_small_restrict_kernelIidLi16ELb1ELb0ELc84ELc76EKddEviT_T0_PT6_S1_lS4_S1_lS2_PT7_S1_li.private_seg_size, 0
	.set _ZL41rocblas_syrkx_herkx_small_restrict_kernelIidLi16ELb1ELb0ELc84ELc76EKddEviT_T0_PT6_S1_lS4_S1_lS2_PT7_S1_li.uses_vcc, 1
	.set _ZL41rocblas_syrkx_herkx_small_restrict_kernelIidLi16ELb1ELb0ELc84ELc76EKddEviT_T0_PT6_S1_lS4_S1_lS2_PT7_S1_li.uses_flat_scratch, 0
	.set _ZL41rocblas_syrkx_herkx_small_restrict_kernelIidLi16ELb1ELb0ELc84ELc76EKddEviT_T0_PT6_S1_lS4_S1_lS2_PT7_S1_li.has_dyn_sized_stack, 0
	.set _ZL41rocblas_syrkx_herkx_small_restrict_kernelIidLi16ELb1ELb0ELc84ELc76EKddEviT_T0_PT6_S1_lS4_S1_lS2_PT7_S1_li.has_recursion, 0
	.set _ZL41rocblas_syrkx_herkx_small_restrict_kernelIidLi16ELb1ELb0ELc84ELc76EKddEviT_T0_PT6_S1_lS4_S1_lS2_PT7_S1_li.has_indirect_call, 0
	.section	.AMDGPU.csdata,"",@progbits
; Kernel info:
; codeLenInByte = 800
; TotalNumSgprs: 24
; NumVgprs: 20
; ScratchSize: 0
; MemoryBound: 0
; FloatMode: 240
; IeeeMode: 1
; LDSByteSize: 4096 bytes/workgroup (compile time only)
; SGPRBlocks: 2
; VGPRBlocks: 4
; NumSGPRsForWavesPerEU: 24
; NumVGPRsForWavesPerEU: 20
; Occupancy: 10
; WaveLimiterHint : 0
; COMPUTE_PGM_RSRC2:SCRATCH_EN: 0
; COMPUTE_PGM_RSRC2:USER_SGPR: 6
; COMPUTE_PGM_RSRC2:TRAP_HANDLER: 0
; COMPUTE_PGM_RSRC2:TGID_X_EN: 1
; COMPUTE_PGM_RSRC2:TGID_Y_EN: 1
; COMPUTE_PGM_RSRC2:TGID_Z_EN: 1
; COMPUTE_PGM_RSRC2:TIDIG_COMP_CNT: 1
	.section	.text._ZL41rocblas_syrkx_herkx_small_restrict_kernelIidLi16ELb1ELb0ELc67ELc76EKddEviT_T0_PT6_S1_lS4_S1_lS2_PT7_S1_li,"axG",@progbits,_ZL41rocblas_syrkx_herkx_small_restrict_kernelIidLi16ELb1ELb0ELc67ELc76EKddEviT_T0_PT6_S1_lS4_S1_lS2_PT7_S1_li,comdat
	.globl	_ZL41rocblas_syrkx_herkx_small_restrict_kernelIidLi16ELb1ELb0ELc67ELc76EKddEviT_T0_PT6_S1_lS4_S1_lS2_PT7_S1_li ; -- Begin function _ZL41rocblas_syrkx_herkx_small_restrict_kernelIidLi16ELb1ELb0ELc67ELc76EKddEviT_T0_PT6_S1_lS4_S1_lS2_PT7_S1_li
	.p2align	8
	.type	_ZL41rocblas_syrkx_herkx_small_restrict_kernelIidLi16ELb1ELb0ELc67ELc76EKddEviT_T0_PT6_S1_lS4_S1_lS2_PT7_S1_li,@function
_ZL41rocblas_syrkx_herkx_small_restrict_kernelIidLi16ELb1ELb0ELc67ELc76EKddEviT_T0_PT6_S1_lS4_S1_lS2_PT7_S1_li: ; @_ZL41rocblas_syrkx_herkx_small_restrict_kernelIidLi16ELb1ELb0ELc67ELc76EKddEviT_T0_PT6_S1_lS4_S1_lS2_PT7_S1_li
; %bb.0:
	s_load_dword s2, s[4:5], 0x4
	s_load_dwordx4 s[12:15], s[4:5], 0x8
	s_mov_b32 s3, 0
	v_lshl_add_u32 v2, s6, 4, v0
	v_lshl_add_u32 v7, s7, 4, v1
	s_waitcnt lgkmcnt(0)
	s_cmp_lt_i32 s2, 1
	s_cbranch_scc1 .LBB116_6
; %bb.1:
	s_load_dword s9, s[4:5], 0x18
	s_load_dwordx4 s[16:19], s[4:5], 0x20
	s_load_dword s6, s[4:5], 0x30
	s_load_dwordx2 s[0:1], s[4:5], 0x38
	v_lshlrev_b32_e32 v5, 7, v1
	v_lshlrev_b32_e32 v8, 3, v0
	v_add_u32_e32 v9, v8, v5
	s_waitcnt lgkmcnt(0)
	v_mad_i64_i32 v[3:4], s[6:7], s6, v7, 0
	s_mul_i32 s1, s1, s8
	s_mul_hi_u32 s6, s0, s8
	v_lshlrev_b64 v[3:4], 3, v[3:4]
	s_add_i32 s1, s6, s1
	s_mul_i32 s0, s0, s8
	s_lshl_b64 s[0:1], s[0:1], 3
	v_add_u32_e32 v10, 0x800, v5
	v_mov_b32_e32 v0, s1
	v_add_co_u32_e32 v3, vcc, s0, v3
	v_mad_i64_i32 v[5:6], s[0:1], s9, v2, 0
	v_addc_co_u32_e32 v0, vcc, v4, v0, vcc
	v_add_co_u32_e32 v3, vcc, v3, v8
	v_addc_co_u32_e32 v0, vcc, 0, v0, vcc
	s_mul_i32 s0, s17, s8
	s_mul_hi_u32 s1, s16, s8
	v_mov_b32_e32 v4, s19
	v_add_co_u32_e32 v3, vcc, s18, v3
	v_lshlrev_b64 v[5:6], 3, v[5:6]
	s_add_i32 s1, s1, s0
	s_mul_i32 s0, s16, s8
	v_addc_co_u32_e32 v4, vcc, v4, v0, vcc
	s_lshl_b64 s[0:1], s[0:1], 3
	v_mov_b32_e32 v0, s1
	v_add_co_u32_e32 v5, vcc, s0, v5
	v_addc_co_u32_e32 v0, vcc, v6, v0, vcc
	v_lshlrev_b32_e32 v1, 3, v1
	v_add_co_u32_e32 v1, vcc, v5, v1
	v_addc_co_u32_e32 v12, vcc, 0, v0, vcc
	v_mov_b32_e32 v13, s15
	v_mov_b32_e32 v5, 0
	v_add_co_u32_e32 v0, vcc, s14, v1
	v_add_u32_e32 v11, v10, v8
	v_mov_b32_e32 v6, 0
	v_addc_co_u32_e32 v1, vcc, v13, v12, vcc
.LBB116_2:                              ; =>This Inner Loop Header: Depth=1
	global_load_dwordx2 v[12:13], v[0:1], off
	s_add_i32 s3, s3, 16
	s_cmp_lt_i32 s3, s2
	s_waitcnt vmcnt(0)
	ds_write_b64 v9, v[12:13]
	global_load_dwordx2 v[12:13], v[3:4], off
	v_add_co_u32_e32 v3, vcc, 0x80, v3
	s_mov_b64 s[0:1], vcc
	v_add_co_u32_e32 v0, vcc, 0x80, v0
	v_addc_co_u32_e64 v4, s[0:1], 0, v4, s[0:1]
	v_addc_co_u32_e32 v1, vcc, 0, v1, vcc
	s_waitcnt vmcnt(0)
	ds_write_b64 v11, v[12:13]
	s_waitcnt lgkmcnt(0)
	s_barrier
	ds_read2_b64 v[12:15], v8 offset1:16
	ds_read_b128 v[16:19], v10
	s_waitcnt lgkmcnt(0)
	v_fma_f64 v[5:6], v[12:13], v[16:17], v[5:6]
	v_fma_f64 v[5:6], v[14:15], v[18:19], v[5:6]
	ds_read_b128 v[12:15], v10 offset:16
	ds_read2_b64 v[16:19], v8 offset0:32 offset1:48
	s_waitcnt lgkmcnt(0)
	v_fma_f64 v[5:6], v[16:17], v[12:13], v[5:6]
	v_fma_f64 v[5:6], v[18:19], v[14:15], v[5:6]
	ds_read2_b64 v[12:15], v8 offset0:64 offset1:80
	ds_read_b128 v[16:19], v10 offset:32
	s_waitcnt lgkmcnt(0)
	v_fma_f64 v[5:6], v[12:13], v[16:17], v[5:6]
	v_fma_f64 v[5:6], v[14:15], v[18:19], v[5:6]
	ds_read_b128 v[12:15], v10 offset:48
	ds_read2_b64 v[16:19], v8 offset0:96 offset1:112
	s_waitcnt lgkmcnt(0)
	v_fma_f64 v[5:6], v[16:17], v[12:13], v[5:6]
	v_fma_f64 v[5:6], v[18:19], v[14:15], v[5:6]
	ds_read2_b64 v[12:15], v8 offset0:128 offset1:144
	ds_read_b128 v[16:19], v10 offset:64
	s_waitcnt lgkmcnt(0)
	v_fma_f64 v[5:6], v[12:13], v[16:17], v[5:6]
	v_fma_f64 v[5:6], v[14:15], v[18:19], v[5:6]
	ds_read_b128 v[12:15], v10 offset:80
	ds_read2_b64 v[16:19], v8 offset0:160 offset1:176
	s_waitcnt lgkmcnt(0)
	v_fma_f64 v[5:6], v[16:17], v[12:13], v[5:6]
	v_fma_f64 v[5:6], v[18:19], v[14:15], v[5:6]
	ds_read2_b64 v[12:15], v8 offset0:192 offset1:208
	ds_read_b128 v[16:19], v10 offset:96
	s_waitcnt lgkmcnt(0)
	v_fma_f64 v[5:6], v[12:13], v[16:17], v[5:6]
	v_fma_f64 v[5:6], v[14:15], v[18:19], v[5:6]
	ds_read_b128 v[12:15], v10 offset:112
	ds_read2_b64 v[16:19], v8 offset0:224 offset1:240
	s_waitcnt lgkmcnt(0)
	s_barrier
	v_fma_f64 v[5:6], v[16:17], v[12:13], v[5:6]
	v_fma_f64 v[5:6], v[18:19], v[14:15], v[5:6]
	s_cbranch_scc1 .LBB116_2
; %bb.3:
	v_cmp_le_i32_e32 vcc, v7, v2
	s_and_saveexec_b64 s[0:1], vcc
	s_cbranch_execz .LBB116_5
.LBB116_4:
	s_load_dwordx2 s[0:1], s[4:5], 0x58
	s_load_dwordx2 s[2:3], s[4:5], 0x48
	s_load_dword s6, s[4:5], 0x50
	v_mul_f64 v[4:5], s[12:13], v[5:6]
	v_ashrrev_i32_e32 v3, 31, v2
	s_waitcnt lgkmcnt(0)
	s_mul_i32 s1, s1, s8
	s_mul_hi_u32 s4, s0, s8
	s_add_i32 s1, s4, s1
	v_mad_i64_i32 v[0:1], s[4:5], s6, v7, 0
	s_mul_i32 s0, s0, s8
	s_lshl_b64 s[0:1], s[0:1], 3
	s_add_u32 s0, s2, s0
	v_lshlrev_b64 v[0:1], 3, v[0:1]
	s_addc_u32 s1, s3, s1
	v_mov_b32_e32 v6, s1
	v_add_co_u32_e32 v7, vcc, s0, v0
	v_addc_co_u32_e32 v6, vcc, v6, v1, vcc
	v_lshlrev_b64 v[0:1], 3, v[2:3]
	v_add_co_u32_e32 v0, vcc, v7, v0
	v_addc_co_u32_e32 v1, vcc, v6, v1, vcc
	global_store_dwordx2 v[0:1], v[4:5], off
.LBB116_5:
	s_endpgm
.LBB116_6:
	v_mov_b32_e32 v5, 0
	v_mov_b32_e32 v6, 0
	v_cmp_le_i32_e32 vcc, v7, v2
	s_and_saveexec_b64 s[0:1], vcc
	s_cbranch_execnz .LBB116_4
	s_branch .LBB116_5
	.section	.rodata,"a",@progbits
	.p2align	6, 0x0
	.amdhsa_kernel _ZL41rocblas_syrkx_herkx_small_restrict_kernelIidLi16ELb1ELb0ELc67ELc76EKddEviT_T0_PT6_S1_lS4_S1_lS2_PT7_S1_li
		.amdhsa_group_segment_fixed_size 4096
		.amdhsa_private_segment_fixed_size 0
		.amdhsa_kernarg_size 100
		.amdhsa_user_sgpr_count 6
		.amdhsa_user_sgpr_private_segment_buffer 1
		.amdhsa_user_sgpr_dispatch_ptr 0
		.amdhsa_user_sgpr_queue_ptr 0
		.amdhsa_user_sgpr_kernarg_segment_ptr 1
		.amdhsa_user_sgpr_dispatch_id 0
		.amdhsa_user_sgpr_flat_scratch_init 0
		.amdhsa_user_sgpr_private_segment_size 0
		.amdhsa_uses_dynamic_stack 0
		.amdhsa_system_sgpr_private_segment_wavefront_offset 0
		.amdhsa_system_sgpr_workgroup_id_x 1
		.amdhsa_system_sgpr_workgroup_id_y 1
		.amdhsa_system_sgpr_workgroup_id_z 1
		.amdhsa_system_sgpr_workgroup_info 0
		.amdhsa_system_vgpr_workitem_id 1
		.amdhsa_next_free_vgpr 20
		.amdhsa_next_free_sgpr 20
		.amdhsa_reserve_vcc 1
		.amdhsa_reserve_flat_scratch 0
		.amdhsa_float_round_mode_32 0
		.amdhsa_float_round_mode_16_64 0
		.amdhsa_float_denorm_mode_32 3
		.amdhsa_float_denorm_mode_16_64 3
		.amdhsa_dx10_clamp 1
		.amdhsa_ieee_mode 1
		.amdhsa_fp16_overflow 0
		.amdhsa_exception_fp_ieee_invalid_op 0
		.amdhsa_exception_fp_denorm_src 0
		.amdhsa_exception_fp_ieee_div_zero 0
		.amdhsa_exception_fp_ieee_overflow 0
		.amdhsa_exception_fp_ieee_underflow 0
		.amdhsa_exception_fp_ieee_inexact 0
		.amdhsa_exception_int_div_zero 0
	.end_amdhsa_kernel
	.section	.text._ZL41rocblas_syrkx_herkx_small_restrict_kernelIidLi16ELb1ELb0ELc67ELc76EKddEviT_T0_PT6_S1_lS4_S1_lS2_PT7_S1_li,"axG",@progbits,_ZL41rocblas_syrkx_herkx_small_restrict_kernelIidLi16ELb1ELb0ELc67ELc76EKddEviT_T0_PT6_S1_lS4_S1_lS2_PT7_S1_li,comdat
.Lfunc_end116:
	.size	_ZL41rocblas_syrkx_herkx_small_restrict_kernelIidLi16ELb1ELb0ELc67ELc76EKddEviT_T0_PT6_S1_lS4_S1_lS2_PT7_S1_li, .Lfunc_end116-_ZL41rocblas_syrkx_herkx_small_restrict_kernelIidLi16ELb1ELb0ELc67ELc76EKddEviT_T0_PT6_S1_lS4_S1_lS2_PT7_S1_li
                                        ; -- End function
	.set _ZL41rocblas_syrkx_herkx_small_restrict_kernelIidLi16ELb1ELb0ELc67ELc76EKddEviT_T0_PT6_S1_lS4_S1_lS2_PT7_S1_li.num_vgpr, 20
	.set _ZL41rocblas_syrkx_herkx_small_restrict_kernelIidLi16ELb1ELb0ELc67ELc76EKddEviT_T0_PT6_S1_lS4_S1_lS2_PT7_S1_li.num_agpr, 0
	.set _ZL41rocblas_syrkx_herkx_small_restrict_kernelIidLi16ELb1ELb0ELc67ELc76EKddEviT_T0_PT6_S1_lS4_S1_lS2_PT7_S1_li.numbered_sgpr, 20
	.set _ZL41rocblas_syrkx_herkx_small_restrict_kernelIidLi16ELb1ELb0ELc67ELc76EKddEviT_T0_PT6_S1_lS4_S1_lS2_PT7_S1_li.num_named_barrier, 0
	.set _ZL41rocblas_syrkx_herkx_small_restrict_kernelIidLi16ELb1ELb0ELc67ELc76EKddEviT_T0_PT6_S1_lS4_S1_lS2_PT7_S1_li.private_seg_size, 0
	.set _ZL41rocblas_syrkx_herkx_small_restrict_kernelIidLi16ELb1ELb0ELc67ELc76EKddEviT_T0_PT6_S1_lS4_S1_lS2_PT7_S1_li.uses_vcc, 1
	.set _ZL41rocblas_syrkx_herkx_small_restrict_kernelIidLi16ELb1ELb0ELc67ELc76EKddEviT_T0_PT6_S1_lS4_S1_lS2_PT7_S1_li.uses_flat_scratch, 0
	.set _ZL41rocblas_syrkx_herkx_small_restrict_kernelIidLi16ELb1ELb0ELc67ELc76EKddEviT_T0_PT6_S1_lS4_S1_lS2_PT7_S1_li.has_dyn_sized_stack, 0
	.set _ZL41rocblas_syrkx_herkx_small_restrict_kernelIidLi16ELb1ELb0ELc67ELc76EKddEviT_T0_PT6_S1_lS4_S1_lS2_PT7_S1_li.has_recursion, 0
	.set _ZL41rocblas_syrkx_herkx_small_restrict_kernelIidLi16ELb1ELb0ELc67ELc76EKddEviT_T0_PT6_S1_lS4_S1_lS2_PT7_S1_li.has_indirect_call, 0
	.section	.AMDGPU.csdata,"",@progbits
; Kernel info:
; codeLenInByte = 800
; TotalNumSgprs: 24
; NumVgprs: 20
; ScratchSize: 0
; MemoryBound: 0
; FloatMode: 240
; IeeeMode: 1
; LDSByteSize: 4096 bytes/workgroup (compile time only)
; SGPRBlocks: 2
; VGPRBlocks: 4
; NumSGPRsForWavesPerEU: 24
; NumVGPRsForWavesPerEU: 20
; Occupancy: 10
; WaveLimiterHint : 0
; COMPUTE_PGM_RSRC2:SCRATCH_EN: 0
; COMPUTE_PGM_RSRC2:USER_SGPR: 6
; COMPUTE_PGM_RSRC2:TRAP_HANDLER: 0
; COMPUTE_PGM_RSRC2:TGID_X_EN: 1
; COMPUTE_PGM_RSRC2:TGID_Y_EN: 1
; COMPUTE_PGM_RSRC2:TGID_Z_EN: 1
; COMPUTE_PGM_RSRC2:TIDIG_COMP_CNT: 1
	.section	.text._ZL41rocblas_syrkx_herkx_small_restrict_kernelIidLi16ELb1ELb0ELc78ELc76EKddEviT_T0_PT6_S1_lS4_S1_lS2_PT7_S1_li,"axG",@progbits,_ZL41rocblas_syrkx_herkx_small_restrict_kernelIidLi16ELb1ELb0ELc78ELc76EKddEviT_T0_PT6_S1_lS4_S1_lS2_PT7_S1_li,comdat
	.globl	_ZL41rocblas_syrkx_herkx_small_restrict_kernelIidLi16ELb1ELb0ELc78ELc76EKddEviT_T0_PT6_S1_lS4_S1_lS2_PT7_S1_li ; -- Begin function _ZL41rocblas_syrkx_herkx_small_restrict_kernelIidLi16ELb1ELb0ELc78ELc76EKddEviT_T0_PT6_S1_lS4_S1_lS2_PT7_S1_li
	.p2align	8
	.type	_ZL41rocblas_syrkx_herkx_small_restrict_kernelIidLi16ELb1ELb0ELc78ELc76EKddEviT_T0_PT6_S1_lS4_S1_lS2_PT7_S1_li,@function
_ZL41rocblas_syrkx_herkx_small_restrict_kernelIidLi16ELb1ELb0ELc78ELc76EKddEviT_T0_PT6_S1_lS4_S1_lS2_PT7_S1_li: ; @_ZL41rocblas_syrkx_herkx_small_restrict_kernelIidLi16ELb1ELb0ELc78ELc76EKddEviT_T0_PT6_S1_lS4_S1_lS2_PT7_S1_li
; %bb.0:
	s_load_dword s9, s[4:5], 0x4
	s_load_dwordx4 s[12:15], s[4:5], 0x8
	v_lshl_add_u32 v2, s6, 4, v0
	s_mov_b32 s10, 0
	v_lshl_add_u32 v4, s7, 4, v1
	s_waitcnt lgkmcnt(0)
	s_cmp_lt_i32 s9, 1
	v_ashrrev_i32_e32 v3, 31, v2
	s_cbranch_scc1 .LBB117_6
; %bb.1:
	s_load_dword s6, s[4:5], 0x18
	s_load_dword s16, s[4:5], 0x30
	s_load_dwordx2 s[18:19], s[4:5], 0x38
	s_load_dwordx4 s[0:3], s[4:5], 0x20
	v_lshlrev_b32_e32 v6, 7, v1
	v_lshlrev_b32_e32 v9, 3, v0
	v_add_u32_e32 v10, v9, v6
	v_add_u32_e32 v11, 0x800, v6
	s_waitcnt lgkmcnt(0)
	v_mad_i64_i32 v[6:7], s[20:21], s16, v0, 0
	s_mul_i32 s11, s19, s8
	s_mul_hi_u32 s19, s18, s8
	s_add_i32 s19, s19, s11
	s_mul_i32 s18, s18, s8
	v_lshlrev_b64 v[6:7], 3, v[6:7]
	v_ashrrev_i32_e32 v5, 31, v4
	s_lshl_b64 s[18:19], s[18:19], 3
	v_mov_b32_e32 v0, s19
	v_add_co_u32_e32 v8, vcc, s18, v6
	v_lshlrev_b64 v[5:6], 3, v[4:5]
	v_addc_co_u32_e32 v0, vcc, v0, v7, vcc
	v_add_co_u32_e32 v5, vcc, v8, v5
	v_addc_co_u32_e32 v0, vcc, v0, v6, vcc
	s_ashr_i32 s17, s16, 31
	v_mov_b32_e32 v6, s3
	v_add_co_u32_e32 v5, vcc, s2, v5
	v_addc_co_u32_e32 v6, vcc, v6, v0, vcc
	s_lshl_b64 s[2:3], s[16:17], 7
	v_mad_i64_i32 v[0:1], s[16:17], s6, v1, 0
	s_mul_i32 s1, s1, s8
	s_mul_hi_u32 s11, s0, s8
	s_add_i32 s1, s11, s1
	s_mul_i32 s0, s0, s8
	v_lshlrev_b64 v[0:1], 3, v[0:1]
	s_lshl_b64 s[0:1], s[0:1], 3
	v_mov_b32_e32 v7, s1
	v_add_co_u32_e32 v8, vcc, s0, v0
	v_addc_co_u32_e32 v7, vcc, v7, v1, vcc
	v_lshlrev_b64 v[0:1], 3, v[2:3]
	s_ashr_i32 s7, s6, 31
	v_add_co_u32_e32 v0, vcc, v8, v0
	v_addc_co_u32_e32 v1, vcc, v7, v1, vcc
	v_mov_b32_e32 v7, s15
	v_add_co_u32_e32 v0, vcc, s14, v0
	v_addc_co_u32_e32 v1, vcc, v7, v1, vcc
	s_lshl_b64 s[6:7], s[6:7], 7
	v_mov_b32_e32 v7, 0
	v_mov_b32_e32 v8, 0
	;; [unrolled: 1-line block ×4, first 2 shown]
.LBB117_2:                              ; =>This Inner Loop Header: Depth=1
	global_load_dwordx2 v[14:15], v[0:1], off
	global_load_dwordx2 v[16:17], v[5:6], off
	s_add_i32 s10, s10, 16
	v_add_co_u32_e32 v5, vcc, s2, v5
	v_add_co_u32_e64 v0, s[0:1], s6, v0
	v_addc_co_u32_e32 v6, vcc, v6, v12, vcc
	v_addc_co_u32_e64 v1, vcc, v1, v13, s[0:1]
	s_cmp_lt_i32 s10, s9
	s_waitcnt vmcnt(1)
	ds_write_b64 v10, v[14:15]
	v_add_u32_e32 v14, v11, v9
	s_waitcnt vmcnt(0)
	ds_write_b64 v14, v[16:17]
	s_waitcnt lgkmcnt(0)
	s_barrier
	ds_read2_b64 v[14:17], v9 offset1:16
	ds_read_b128 v[18:21], v11
	s_waitcnt lgkmcnt(0)
	v_fma_f64 v[7:8], v[14:15], v[18:19], v[7:8]
	v_fma_f64 v[7:8], v[16:17], v[20:21], v[7:8]
	ds_read_b128 v[14:17], v11 offset:16
	ds_read2_b64 v[18:21], v9 offset0:32 offset1:48
	s_waitcnt lgkmcnt(0)
	v_fma_f64 v[7:8], v[18:19], v[14:15], v[7:8]
	v_fma_f64 v[7:8], v[20:21], v[16:17], v[7:8]
	ds_read2_b64 v[14:17], v9 offset0:64 offset1:80
	ds_read_b128 v[18:21], v11 offset:32
	s_waitcnt lgkmcnt(0)
	v_fma_f64 v[7:8], v[14:15], v[18:19], v[7:8]
	v_fma_f64 v[7:8], v[16:17], v[20:21], v[7:8]
	ds_read_b128 v[14:17], v11 offset:48
	ds_read2_b64 v[18:21], v9 offset0:96 offset1:112
	s_waitcnt lgkmcnt(0)
	v_fma_f64 v[7:8], v[18:19], v[14:15], v[7:8]
	v_fma_f64 v[7:8], v[20:21], v[16:17], v[7:8]
	ds_read2_b64 v[14:17], v9 offset0:128 offset1:144
	ds_read_b128 v[18:21], v11 offset:64
	;; [unrolled: 10-line block ×3, first 2 shown]
	s_waitcnt lgkmcnt(0)
	v_fma_f64 v[7:8], v[14:15], v[18:19], v[7:8]
	v_fma_f64 v[7:8], v[16:17], v[20:21], v[7:8]
	ds_read_b128 v[14:17], v11 offset:112
	ds_read2_b64 v[18:21], v9 offset0:224 offset1:240
	s_waitcnt lgkmcnt(0)
	s_barrier
	v_fma_f64 v[7:8], v[18:19], v[14:15], v[7:8]
	v_fma_f64 v[7:8], v[20:21], v[16:17], v[7:8]
	s_cbranch_scc1 .LBB117_2
; %bb.3:
	v_cmp_le_i32_e32 vcc, v4, v2
	s_and_saveexec_b64 s[0:1], vcc
	s_cbranch_execz .LBB117_5
.LBB117_4:
	s_load_dwordx2 s[0:1], s[4:5], 0x58
	s_load_dwordx2 s[2:3], s[4:5], 0x48
	s_load_dword s6, s[4:5], 0x50
	s_waitcnt lgkmcnt(0)
	s_mul_i32 s1, s1, s8
	s_mul_hi_u32 s4, s0, s8
	s_add_i32 s1, s4, s1
	v_mad_i64_i32 v[0:1], s[4:5], s6, v4, 0
	s_mul_i32 s0, s0, s8
	s_lshl_b64 s[0:1], s[0:1], 3
	v_mul_f64 v[4:5], s[12:13], v[7:8]
	s_add_u32 s0, s2, s0
	v_lshlrev_b64 v[0:1], 3, v[0:1]
	s_addc_u32 s1, s3, s1
	v_mov_b32_e32 v6, s1
	v_add_co_u32_e32 v7, vcc, s0, v0
	v_addc_co_u32_e32 v6, vcc, v6, v1, vcc
	v_lshlrev_b64 v[0:1], 3, v[2:3]
	v_add_co_u32_e32 v0, vcc, v7, v0
	v_addc_co_u32_e32 v1, vcc, v6, v1, vcc
	global_store_dwordx2 v[0:1], v[4:5], off
.LBB117_5:
	s_endpgm
.LBB117_6:
	v_mov_b32_e32 v7, 0
	v_mov_b32_e32 v8, 0
	v_cmp_le_i32_e32 vcc, v4, v2
	s_and_saveexec_b64 s[0:1], vcc
	s_cbranch_execnz .LBB117_4
	s_branch .LBB117_5
	.section	.rodata,"a",@progbits
	.p2align	6, 0x0
	.amdhsa_kernel _ZL41rocblas_syrkx_herkx_small_restrict_kernelIidLi16ELb1ELb0ELc78ELc76EKddEviT_T0_PT6_S1_lS4_S1_lS2_PT7_S1_li
		.amdhsa_group_segment_fixed_size 4096
		.amdhsa_private_segment_fixed_size 0
		.amdhsa_kernarg_size 100
		.amdhsa_user_sgpr_count 6
		.amdhsa_user_sgpr_private_segment_buffer 1
		.amdhsa_user_sgpr_dispatch_ptr 0
		.amdhsa_user_sgpr_queue_ptr 0
		.amdhsa_user_sgpr_kernarg_segment_ptr 1
		.amdhsa_user_sgpr_dispatch_id 0
		.amdhsa_user_sgpr_flat_scratch_init 0
		.amdhsa_user_sgpr_private_segment_size 0
		.amdhsa_uses_dynamic_stack 0
		.amdhsa_system_sgpr_private_segment_wavefront_offset 0
		.amdhsa_system_sgpr_workgroup_id_x 1
		.amdhsa_system_sgpr_workgroup_id_y 1
		.amdhsa_system_sgpr_workgroup_id_z 1
		.amdhsa_system_sgpr_workgroup_info 0
		.amdhsa_system_vgpr_workitem_id 1
		.amdhsa_next_free_vgpr 22
		.amdhsa_next_free_sgpr 22
		.amdhsa_reserve_vcc 1
		.amdhsa_reserve_flat_scratch 0
		.amdhsa_float_round_mode_32 0
		.amdhsa_float_round_mode_16_64 0
		.amdhsa_float_denorm_mode_32 3
		.amdhsa_float_denorm_mode_16_64 3
		.amdhsa_dx10_clamp 1
		.amdhsa_ieee_mode 1
		.amdhsa_fp16_overflow 0
		.amdhsa_exception_fp_ieee_invalid_op 0
		.amdhsa_exception_fp_denorm_src 0
		.amdhsa_exception_fp_ieee_div_zero 0
		.amdhsa_exception_fp_ieee_overflow 0
		.amdhsa_exception_fp_ieee_underflow 0
		.amdhsa_exception_fp_ieee_inexact 0
		.amdhsa_exception_int_div_zero 0
	.end_amdhsa_kernel
	.section	.text._ZL41rocblas_syrkx_herkx_small_restrict_kernelIidLi16ELb1ELb0ELc78ELc76EKddEviT_T0_PT6_S1_lS4_S1_lS2_PT7_S1_li,"axG",@progbits,_ZL41rocblas_syrkx_herkx_small_restrict_kernelIidLi16ELb1ELb0ELc78ELc76EKddEviT_T0_PT6_S1_lS4_S1_lS2_PT7_S1_li,comdat
.Lfunc_end117:
	.size	_ZL41rocblas_syrkx_herkx_small_restrict_kernelIidLi16ELb1ELb0ELc78ELc76EKddEviT_T0_PT6_S1_lS4_S1_lS2_PT7_S1_li, .Lfunc_end117-_ZL41rocblas_syrkx_herkx_small_restrict_kernelIidLi16ELb1ELb0ELc78ELc76EKddEviT_T0_PT6_S1_lS4_S1_lS2_PT7_S1_li
                                        ; -- End function
	.set _ZL41rocblas_syrkx_herkx_small_restrict_kernelIidLi16ELb1ELb0ELc78ELc76EKddEviT_T0_PT6_S1_lS4_S1_lS2_PT7_S1_li.num_vgpr, 22
	.set _ZL41rocblas_syrkx_herkx_small_restrict_kernelIidLi16ELb1ELb0ELc78ELc76EKddEviT_T0_PT6_S1_lS4_S1_lS2_PT7_S1_li.num_agpr, 0
	.set _ZL41rocblas_syrkx_herkx_small_restrict_kernelIidLi16ELb1ELb0ELc78ELc76EKddEviT_T0_PT6_S1_lS4_S1_lS2_PT7_S1_li.numbered_sgpr, 22
	.set _ZL41rocblas_syrkx_herkx_small_restrict_kernelIidLi16ELb1ELb0ELc78ELc76EKddEviT_T0_PT6_S1_lS4_S1_lS2_PT7_S1_li.num_named_barrier, 0
	.set _ZL41rocblas_syrkx_herkx_small_restrict_kernelIidLi16ELb1ELb0ELc78ELc76EKddEviT_T0_PT6_S1_lS4_S1_lS2_PT7_S1_li.private_seg_size, 0
	.set _ZL41rocblas_syrkx_herkx_small_restrict_kernelIidLi16ELb1ELb0ELc78ELc76EKddEviT_T0_PT6_S1_lS4_S1_lS2_PT7_S1_li.uses_vcc, 1
	.set _ZL41rocblas_syrkx_herkx_small_restrict_kernelIidLi16ELb1ELb0ELc78ELc76EKddEviT_T0_PT6_S1_lS4_S1_lS2_PT7_S1_li.uses_flat_scratch, 0
	.set _ZL41rocblas_syrkx_herkx_small_restrict_kernelIidLi16ELb1ELb0ELc78ELc76EKddEviT_T0_PT6_S1_lS4_S1_lS2_PT7_S1_li.has_dyn_sized_stack, 0
	.set _ZL41rocblas_syrkx_herkx_small_restrict_kernelIidLi16ELb1ELb0ELc78ELc76EKddEviT_T0_PT6_S1_lS4_S1_lS2_PT7_S1_li.has_recursion, 0
	.set _ZL41rocblas_syrkx_herkx_small_restrict_kernelIidLi16ELb1ELb0ELc78ELc76EKddEviT_T0_PT6_S1_lS4_S1_lS2_PT7_S1_li.has_indirect_call, 0
	.section	.AMDGPU.csdata,"",@progbits
; Kernel info:
; codeLenInByte = 832
; TotalNumSgprs: 26
; NumVgprs: 22
; ScratchSize: 0
; MemoryBound: 0
; FloatMode: 240
; IeeeMode: 1
; LDSByteSize: 4096 bytes/workgroup (compile time only)
; SGPRBlocks: 3
; VGPRBlocks: 5
; NumSGPRsForWavesPerEU: 26
; NumVGPRsForWavesPerEU: 22
; Occupancy: 10
; WaveLimiterHint : 0
; COMPUTE_PGM_RSRC2:SCRATCH_EN: 0
; COMPUTE_PGM_RSRC2:USER_SGPR: 6
; COMPUTE_PGM_RSRC2:TRAP_HANDLER: 0
; COMPUTE_PGM_RSRC2:TGID_X_EN: 1
; COMPUTE_PGM_RSRC2:TGID_Y_EN: 1
; COMPUTE_PGM_RSRC2:TGID_Z_EN: 1
; COMPUTE_PGM_RSRC2:TIDIG_COMP_CNT: 1
	.section	.text._ZL41rocblas_syrkx_herkx_small_restrict_kernelIidLi16ELb1ELb0ELc84ELc85EKddEviT_T0_PT6_S1_lS4_S1_lS2_PT7_S1_li,"axG",@progbits,_ZL41rocblas_syrkx_herkx_small_restrict_kernelIidLi16ELb1ELb0ELc84ELc85EKddEviT_T0_PT6_S1_lS4_S1_lS2_PT7_S1_li,comdat
	.globl	_ZL41rocblas_syrkx_herkx_small_restrict_kernelIidLi16ELb1ELb0ELc84ELc85EKddEviT_T0_PT6_S1_lS4_S1_lS2_PT7_S1_li ; -- Begin function _ZL41rocblas_syrkx_herkx_small_restrict_kernelIidLi16ELb1ELb0ELc84ELc85EKddEviT_T0_PT6_S1_lS4_S1_lS2_PT7_S1_li
	.p2align	8
	.type	_ZL41rocblas_syrkx_herkx_small_restrict_kernelIidLi16ELb1ELb0ELc84ELc85EKddEviT_T0_PT6_S1_lS4_S1_lS2_PT7_S1_li,@function
_ZL41rocblas_syrkx_herkx_small_restrict_kernelIidLi16ELb1ELb0ELc84ELc85EKddEviT_T0_PT6_S1_lS4_S1_lS2_PT7_S1_li: ; @_ZL41rocblas_syrkx_herkx_small_restrict_kernelIidLi16ELb1ELb0ELc84ELc85EKddEviT_T0_PT6_S1_lS4_S1_lS2_PT7_S1_li
; %bb.0:
	s_load_dword s2, s[4:5], 0x4
	s_load_dwordx4 s[12:15], s[4:5], 0x8
	s_mov_b32 s3, 0
	v_lshl_add_u32 v2, s6, 4, v0
	v_lshl_add_u32 v7, s7, 4, v1
	s_waitcnt lgkmcnt(0)
	s_cmp_lt_i32 s2, 1
	s_cbranch_scc1 .LBB118_6
; %bb.1:
	s_load_dword s9, s[4:5], 0x18
	s_load_dwordx4 s[16:19], s[4:5], 0x20
	s_load_dword s6, s[4:5], 0x30
	s_load_dwordx2 s[0:1], s[4:5], 0x38
	v_lshlrev_b32_e32 v5, 7, v1
	v_lshlrev_b32_e32 v8, 3, v0
	v_add_u32_e32 v9, v8, v5
	s_waitcnt lgkmcnt(0)
	v_mad_i64_i32 v[3:4], s[6:7], s6, v7, 0
	s_mul_i32 s1, s1, s8
	s_mul_hi_u32 s6, s0, s8
	v_lshlrev_b64 v[3:4], 3, v[3:4]
	s_add_i32 s1, s6, s1
	s_mul_i32 s0, s0, s8
	s_lshl_b64 s[0:1], s[0:1], 3
	v_add_u32_e32 v10, 0x800, v5
	v_mov_b32_e32 v0, s1
	v_add_co_u32_e32 v3, vcc, s0, v3
	v_mad_i64_i32 v[5:6], s[0:1], s9, v2, 0
	v_addc_co_u32_e32 v0, vcc, v4, v0, vcc
	v_add_co_u32_e32 v3, vcc, v3, v8
	v_addc_co_u32_e32 v0, vcc, 0, v0, vcc
	s_mul_i32 s0, s17, s8
	s_mul_hi_u32 s1, s16, s8
	v_mov_b32_e32 v4, s19
	v_add_co_u32_e32 v3, vcc, s18, v3
	v_lshlrev_b64 v[5:6], 3, v[5:6]
	s_add_i32 s1, s1, s0
	s_mul_i32 s0, s16, s8
	v_addc_co_u32_e32 v4, vcc, v4, v0, vcc
	s_lshl_b64 s[0:1], s[0:1], 3
	v_mov_b32_e32 v0, s1
	v_add_co_u32_e32 v5, vcc, s0, v5
	v_addc_co_u32_e32 v0, vcc, v6, v0, vcc
	v_lshlrev_b32_e32 v1, 3, v1
	v_add_co_u32_e32 v1, vcc, v5, v1
	v_addc_co_u32_e32 v12, vcc, 0, v0, vcc
	v_mov_b32_e32 v13, s15
	v_mov_b32_e32 v5, 0
	v_add_co_u32_e32 v0, vcc, s14, v1
	v_add_u32_e32 v11, v10, v8
	v_mov_b32_e32 v6, 0
	v_addc_co_u32_e32 v1, vcc, v13, v12, vcc
.LBB118_2:                              ; =>This Inner Loop Header: Depth=1
	global_load_dwordx2 v[12:13], v[0:1], off
	s_add_i32 s3, s3, 16
	s_cmp_lt_i32 s3, s2
	s_waitcnt vmcnt(0)
	ds_write_b64 v9, v[12:13]
	global_load_dwordx2 v[12:13], v[3:4], off
	v_add_co_u32_e32 v3, vcc, 0x80, v3
	s_mov_b64 s[0:1], vcc
	v_add_co_u32_e32 v0, vcc, 0x80, v0
	v_addc_co_u32_e64 v4, s[0:1], 0, v4, s[0:1]
	v_addc_co_u32_e32 v1, vcc, 0, v1, vcc
	s_waitcnt vmcnt(0)
	ds_write_b64 v11, v[12:13]
	s_waitcnt lgkmcnt(0)
	s_barrier
	ds_read2_b64 v[12:15], v8 offset1:16
	ds_read_b128 v[16:19], v10
	s_waitcnt lgkmcnt(0)
	v_fma_f64 v[5:6], v[12:13], v[16:17], v[5:6]
	v_fma_f64 v[5:6], v[14:15], v[18:19], v[5:6]
	ds_read_b128 v[12:15], v10 offset:16
	ds_read2_b64 v[16:19], v8 offset0:32 offset1:48
	s_waitcnt lgkmcnt(0)
	v_fma_f64 v[5:6], v[16:17], v[12:13], v[5:6]
	v_fma_f64 v[5:6], v[18:19], v[14:15], v[5:6]
	ds_read2_b64 v[12:15], v8 offset0:64 offset1:80
	ds_read_b128 v[16:19], v10 offset:32
	s_waitcnt lgkmcnt(0)
	v_fma_f64 v[5:6], v[12:13], v[16:17], v[5:6]
	v_fma_f64 v[5:6], v[14:15], v[18:19], v[5:6]
	ds_read_b128 v[12:15], v10 offset:48
	ds_read2_b64 v[16:19], v8 offset0:96 offset1:112
	s_waitcnt lgkmcnt(0)
	v_fma_f64 v[5:6], v[16:17], v[12:13], v[5:6]
	v_fma_f64 v[5:6], v[18:19], v[14:15], v[5:6]
	ds_read2_b64 v[12:15], v8 offset0:128 offset1:144
	ds_read_b128 v[16:19], v10 offset:64
	;; [unrolled: 10-line block ×3, first 2 shown]
	s_waitcnt lgkmcnt(0)
	v_fma_f64 v[5:6], v[12:13], v[16:17], v[5:6]
	v_fma_f64 v[5:6], v[14:15], v[18:19], v[5:6]
	ds_read_b128 v[12:15], v10 offset:112
	ds_read2_b64 v[16:19], v8 offset0:224 offset1:240
	s_waitcnt lgkmcnt(0)
	s_barrier
	v_fma_f64 v[5:6], v[16:17], v[12:13], v[5:6]
	v_fma_f64 v[5:6], v[18:19], v[14:15], v[5:6]
	s_cbranch_scc1 .LBB118_2
; %bb.3:
	v_cmp_le_i32_e32 vcc, v2, v7
	s_and_saveexec_b64 s[0:1], vcc
	s_cbranch_execz .LBB118_5
.LBB118_4:
	s_load_dwordx2 s[0:1], s[4:5], 0x58
	s_load_dwordx2 s[2:3], s[4:5], 0x48
	s_load_dword s6, s[4:5], 0x50
	v_mul_f64 v[4:5], s[12:13], v[5:6]
	v_ashrrev_i32_e32 v3, 31, v2
	s_waitcnt lgkmcnt(0)
	s_mul_i32 s1, s1, s8
	s_mul_hi_u32 s4, s0, s8
	s_add_i32 s1, s4, s1
	v_mad_i64_i32 v[0:1], s[4:5], s6, v7, 0
	s_mul_i32 s0, s0, s8
	s_lshl_b64 s[0:1], s[0:1], 3
	s_add_u32 s0, s2, s0
	v_lshlrev_b64 v[0:1], 3, v[0:1]
	s_addc_u32 s1, s3, s1
	v_mov_b32_e32 v6, s1
	v_add_co_u32_e32 v7, vcc, s0, v0
	v_addc_co_u32_e32 v6, vcc, v6, v1, vcc
	v_lshlrev_b64 v[0:1], 3, v[2:3]
	v_add_co_u32_e32 v0, vcc, v7, v0
	v_addc_co_u32_e32 v1, vcc, v6, v1, vcc
	global_store_dwordx2 v[0:1], v[4:5], off
.LBB118_5:
	s_endpgm
.LBB118_6:
	v_mov_b32_e32 v5, 0
	v_mov_b32_e32 v6, 0
	v_cmp_le_i32_e32 vcc, v2, v7
	s_and_saveexec_b64 s[0:1], vcc
	s_cbranch_execnz .LBB118_4
	s_branch .LBB118_5
	.section	.rodata,"a",@progbits
	.p2align	6, 0x0
	.amdhsa_kernel _ZL41rocblas_syrkx_herkx_small_restrict_kernelIidLi16ELb1ELb0ELc84ELc85EKddEviT_T0_PT6_S1_lS4_S1_lS2_PT7_S1_li
		.amdhsa_group_segment_fixed_size 4096
		.amdhsa_private_segment_fixed_size 0
		.amdhsa_kernarg_size 100
		.amdhsa_user_sgpr_count 6
		.amdhsa_user_sgpr_private_segment_buffer 1
		.amdhsa_user_sgpr_dispatch_ptr 0
		.amdhsa_user_sgpr_queue_ptr 0
		.amdhsa_user_sgpr_kernarg_segment_ptr 1
		.amdhsa_user_sgpr_dispatch_id 0
		.amdhsa_user_sgpr_flat_scratch_init 0
		.amdhsa_user_sgpr_private_segment_size 0
		.amdhsa_uses_dynamic_stack 0
		.amdhsa_system_sgpr_private_segment_wavefront_offset 0
		.amdhsa_system_sgpr_workgroup_id_x 1
		.amdhsa_system_sgpr_workgroup_id_y 1
		.amdhsa_system_sgpr_workgroup_id_z 1
		.amdhsa_system_sgpr_workgroup_info 0
		.amdhsa_system_vgpr_workitem_id 1
		.amdhsa_next_free_vgpr 20
		.amdhsa_next_free_sgpr 20
		.amdhsa_reserve_vcc 1
		.amdhsa_reserve_flat_scratch 0
		.amdhsa_float_round_mode_32 0
		.amdhsa_float_round_mode_16_64 0
		.amdhsa_float_denorm_mode_32 3
		.amdhsa_float_denorm_mode_16_64 3
		.amdhsa_dx10_clamp 1
		.amdhsa_ieee_mode 1
		.amdhsa_fp16_overflow 0
		.amdhsa_exception_fp_ieee_invalid_op 0
		.amdhsa_exception_fp_denorm_src 0
		.amdhsa_exception_fp_ieee_div_zero 0
		.amdhsa_exception_fp_ieee_overflow 0
		.amdhsa_exception_fp_ieee_underflow 0
		.amdhsa_exception_fp_ieee_inexact 0
		.amdhsa_exception_int_div_zero 0
	.end_amdhsa_kernel
	.section	.text._ZL41rocblas_syrkx_herkx_small_restrict_kernelIidLi16ELb1ELb0ELc84ELc85EKddEviT_T0_PT6_S1_lS4_S1_lS2_PT7_S1_li,"axG",@progbits,_ZL41rocblas_syrkx_herkx_small_restrict_kernelIidLi16ELb1ELb0ELc84ELc85EKddEviT_T0_PT6_S1_lS4_S1_lS2_PT7_S1_li,comdat
.Lfunc_end118:
	.size	_ZL41rocblas_syrkx_herkx_small_restrict_kernelIidLi16ELb1ELb0ELc84ELc85EKddEviT_T0_PT6_S1_lS4_S1_lS2_PT7_S1_li, .Lfunc_end118-_ZL41rocblas_syrkx_herkx_small_restrict_kernelIidLi16ELb1ELb0ELc84ELc85EKddEviT_T0_PT6_S1_lS4_S1_lS2_PT7_S1_li
                                        ; -- End function
	.set _ZL41rocblas_syrkx_herkx_small_restrict_kernelIidLi16ELb1ELb0ELc84ELc85EKddEviT_T0_PT6_S1_lS4_S1_lS2_PT7_S1_li.num_vgpr, 20
	.set _ZL41rocblas_syrkx_herkx_small_restrict_kernelIidLi16ELb1ELb0ELc84ELc85EKddEviT_T0_PT6_S1_lS4_S1_lS2_PT7_S1_li.num_agpr, 0
	.set _ZL41rocblas_syrkx_herkx_small_restrict_kernelIidLi16ELb1ELb0ELc84ELc85EKddEviT_T0_PT6_S1_lS4_S1_lS2_PT7_S1_li.numbered_sgpr, 20
	.set _ZL41rocblas_syrkx_herkx_small_restrict_kernelIidLi16ELb1ELb0ELc84ELc85EKddEviT_T0_PT6_S1_lS4_S1_lS2_PT7_S1_li.num_named_barrier, 0
	.set _ZL41rocblas_syrkx_herkx_small_restrict_kernelIidLi16ELb1ELb0ELc84ELc85EKddEviT_T0_PT6_S1_lS4_S1_lS2_PT7_S1_li.private_seg_size, 0
	.set _ZL41rocblas_syrkx_herkx_small_restrict_kernelIidLi16ELb1ELb0ELc84ELc85EKddEviT_T0_PT6_S1_lS4_S1_lS2_PT7_S1_li.uses_vcc, 1
	.set _ZL41rocblas_syrkx_herkx_small_restrict_kernelIidLi16ELb1ELb0ELc84ELc85EKddEviT_T0_PT6_S1_lS4_S1_lS2_PT7_S1_li.uses_flat_scratch, 0
	.set _ZL41rocblas_syrkx_herkx_small_restrict_kernelIidLi16ELb1ELb0ELc84ELc85EKddEviT_T0_PT6_S1_lS4_S1_lS2_PT7_S1_li.has_dyn_sized_stack, 0
	.set _ZL41rocblas_syrkx_herkx_small_restrict_kernelIidLi16ELb1ELb0ELc84ELc85EKddEviT_T0_PT6_S1_lS4_S1_lS2_PT7_S1_li.has_recursion, 0
	.set _ZL41rocblas_syrkx_herkx_small_restrict_kernelIidLi16ELb1ELb0ELc84ELc85EKddEviT_T0_PT6_S1_lS4_S1_lS2_PT7_S1_li.has_indirect_call, 0
	.section	.AMDGPU.csdata,"",@progbits
; Kernel info:
; codeLenInByte = 800
; TotalNumSgprs: 24
; NumVgprs: 20
; ScratchSize: 0
; MemoryBound: 0
; FloatMode: 240
; IeeeMode: 1
; LDSByteSize: 4096 bytes/workgroup (compile time only)
; SGPRBlocks: 2
; VGPRBlocks: 4
; NumSGPRsForWavesPerEU: 24
; NumVGPRsForWavesPerEU: 20
; Occupancy: 10
; WaveLimiterHint : 0
; COMPUTE_PGM_RSRC2:SCRATCH_EN: 0
; COMPUTE_PGM_RSRC2:USER_SGPR: 6
; COMPUTE_PGM_RSRC2:TRAP_HANDLER: 0
; COMPUTE_PGM_RSRC2:TGID_X_EN: 1
; COMPUTE_PGM_RSRC2:TGID_Y_EN: 1
; COMPUTE_PGM_RSRC2:TGID_Z_EN: 1
; COMPUTE_PGM_RSRC2:TIDIG_COMP_CNT: 1
	.section	.text._ZL41rocblas_syrkx_herkx_small_restrict_kernelIidLi16ELb1ELb0ELc67ELc85EKddEviT_T0_PT6_S1_lS4_S1_lS2_PT7_S1_li,"axG",@progbits,_ZL41rocblas_syrkx_herkx_small_restrict_kernelIidLi16ELb1ELb0ELc67ELc85EKddEviT_T0_PT6_S1_lS4_S1_lS2_PT7_S1_li,comdat
	.globl	_ZL41rocblas_syrkx_herkx_small_restrict_kernelIidLi16ELb1ELb0ELc67ELc85EKddEviT_T0_PT6_S1_lS4_S1_lS2_PT7_S1_li ; -- Begin function _ZL41rocblas_syrkx_herkx_small_restrict_kernelIidLi16ELb1ELb0ELc67ELc85EKddEviT_T0_PT6_S1_lS4_S1_lS2_PT7_S1_li
	.p2align	8
	.type	_ZL41rocblas_syrkx_herkx_small_restrict_kernelIidLi16ELb1ELb0ELc67ELc85EKddEviT_T0_PT6_S1_lS4_S1_lS2_PT7_S1_li,@function
_ZL41rocblas_syrkx_herkx_small_restrict_kernelIidLi16ELb1ELb0ELc67ELc85EKddEviT_T0_PT6_S1_lS4_S1_lS2_PT7_S1_li: ; @_ZL41rocblas_syrkx_herkx_small_restrict_kernelIidLi16ELb1ELb0ELc67ELc85EKddEviT_T0_PT6_S1_lS4_S1_lS2_PT7_S1_li
; %bb.0:
	s_load_dword s2, s[4:5], 0x4
	s_load_dwordx4 s[12:15], s[4:5], 0x8
	s_mov_b32 s3, 0
	v_lshl_add_u32 v2, s6, 4, v0
	v_lshl_add_u32 v7, s7, 4, v1
	s_waitcnt lgkmcnt(0)
	s_cmp_lt_i32 s2, 1
	s_cbranch_scc1 .LBB119_6
; %bb.1:
	s_load_dword s9, s[4:5], 0x18
	s_load_dwordx4 s[16:19], s[4:5], 0x20
	s_load_dword s6, s[4:5], 0x30
	s_load_dwordx2 s[0:1], s[4:5], 0x38
	v_lshlrev_b32_e32 v5, 7, v1
	v_lshlrev_b32_e32 v8, 3, v0
	v_add_u32_e32 v9, v8, v5
	s_waitcnt lgkmcnt(0)
	v_mad_i64_i32 v[3:4], s[6:7], s6, v7, 0
	s_mul_i32 s1, s1, s8
	s_mul_hi_u32 s6, s0, s8
	v_lshlrev_b64 v[3:4], 3, v[3:4]
	s_add_i32 s1, s6, s1
	s_mul_i32 s0, s0, s8
	s_lshl_b64 s[0:1], s[0:1], 3
	v_add_u32_e32 v10, 0x800, v5
	v_mov_b32_e32 v0, s1
	v_add_co_u32_e32 v3, vcc, s0, v3
	v_mad_i64_i32 v[5:6], s[0:1], s9, v2, 0
	v_addc_co_u32_e32 v0, vcc, v4, v0, vcc
	v_add_co_u32_e32 v3, vcc, v3, v8
	v_addc_co_u32_e32 v0, vcc, 0, v0, vcc
	s_mul_i32 s0, s17, s8
	s_mul_hi_u32 s1, s16, s8
	v_mov_b32_e32 v4, s19
	v_add_co_u32_e32 v3, vcc, s18, v3
	v_lshlrev_b64 v[5:6], 3, v[5:6]
	s_add_i32 s1, s1, s0
	s_mul_i32 s0, s16, s8
	v_addc_co_u32_e32 v4, vcc, v4, v0, vcc
	s_lshl_b64 s[0:1], s[0:1], 3
	v_mov_b32_e32 v0, s1
	v_add_co_u32_e32 v5, vcc, s0, v5
	v_addc_co_u32_e32 v0, vcc, v6, v0, vcc
	v_lshlrev_b32_e32 v1, 3, v1
	v_add_co_u32_e32 v1, vcc, v5, v1
	v_addc_co_u32_e32 v12, vcc, 0, v0, vcc
	v_mov_b32_e32 v13, s15
	v_mov_b32_e32 v5, 0
	v_add_co_u32_e32 v0, vcc, s14, v1
	v_add_u32_e32 v11, v10, v8
	v_mov_b32_e32 v6, 0
	v_addc_co_u32_e32 v1, vcc, v13, v12, vcc
.LBB119_2:                              ; =>This Inner Loop Header: Depth=1
	global_load_dwordx2 v[12:13], v[0:1], off
	s_add_i32 s3, s3, 16
	s_cmp_lt_i32 s3, s2
	s_waitcnt vmcnt(0)
	ds_write_b64 v9, v[12:13]
	global_load_dwordx2 v[12:13], v[3:4], off
	v_add_co_u32_e32 v3, vcc, 0x80, v3
	s_mov_b64 s[0:1], vcc
	v_add_co_u32_e32 v0, vcc, 0x80, v0
	v_addc_co_u32_e64 v4, s[0:1], 0, v4, s[0:1]
	v_addc_co_u32_e32 v1, vcc, 0, v1, vcc
	s_waitcnt vmcnt(0)
	ds_write_b64 v11, v[12:13]
	s_waitcnt lgkmcnt(0)
	s_barrier
	ds_read2_b64 v[12:15], v8 offset1:16
	ds_read_b128 v[16:19], v10
	s_waitcnt lgkmcnt(0)
	v_fma_f64 v[5:6], v[12:13], v[16:17], v[5:6]
	v_fma_f64 v[5:6], v[14:15], v[18:19], v[5:6]
	ds_read_b128 v[12:15], v10 offset:16
	ds_read2_b64 v[16:19], v8 offset0:32 offset1:48
	s_waitcnt lgkmcnt(0)
	v_fma_f64 v[5:6], v[16:17], v[12:13], v[5:6]
	v_fma_f64 v[5:6], v[18:19], v[14:15], v[5:6]
	ds_read2_b64 v[12:15], v8 offset0:64 offset1:80
	ds_read_b128 v[16:19], v10 offset:32
	s_waitcnt lgkmcnt(0)
	v_fma_f64 v[5:6], v[12:13], v[16:17], v[5:6]
	v_fma_f64 v[5:6], v[14:15], v[18:19], v[5:6]
	ds_read_b128 v[12:15], v10 offset:48
	ds_read2_b64 v[16:19], v8 offset0:96 offset1:112
	s_waitcnt lgkmcnt(0)
	v_fma_f64 v[5:6], v[16:17], v[12:13], v[5:6]
	v_fma_f64 v[5:6], v[18:19], v[14:15], v[5:6]
	ds_read2_b64 v[12:15], v8 offset0:128 offset1:144
	ds_read_b128 v[16:19], v10 offset:64
	;; [unrolled: 10-line block ×3, first 2 shown]
	s_waitcnt lgkmcnt(0)
	v_fma_f64 v[5:6], v[12:13], v[16:17], v[5:6]
	v_fma_f64 v[5:6], v[14:15], v[18:19], v[5:6]
	ds_read_b128 v[12:15], v10 offset:112
	ds_read2_b64 v[16:19], v8 offset0:224 offset1:240
	s_waitcnt lgkmcnt(0)
	s_barrier
	v_fma_f64 v[5:6], v[16:17], v[12:13], v[5:6]
	v_fma_f64 v[5:6], v[18:19], v[14:15], v[5:6]
	s_cbranch_scc1 .LBB119_2
; %bb.3:
	v_cmp_le_i32_e32 vcc, v2, v7
	s_and_saveexec_b64 s[0:1], vcc
	s_cbranch_execz .LBB119_5
.LBB119_4:
	s_load_dwordx2 s[0:1], s[4:5], 0x58
	s_load_dwordx2 s[2:3], s[4:5], 0x48
	s_load_dword s6, s[4:5], 0x50
	v_mul_f64 v[4:5], s[12:13], v[5:6]
	v_ashrrev_i32_e32 v3, 31, v2
	s_waitcnt lgkmcnt(0)
	s_mul_i32 s1, s1, s8
	s_mul_hi_u32 s4, s0, s8
	s_add_i32 s1, s4, s1
	v_mad_i64_i32 v[0:1], s[4:5], s6, v7, 0
	s_mul_i32 s0, s0, s8
	s_lshl_b64 s[0:1], s[0:1], 3
	s_add_u32 s0, s2, s0
	v_lshlrev_b64 v[0:1], 3, v[0:1]
	s_addc_u32 s1, s3, s1
	v_mov_b32_e32 v6, s1
	v_add_co_u32_e32 v7, vcc, s0, v0
	v_addc_co_u32_e32 v6, vcc, v6, v1, vcc
	v_lshlrev_b64 v[0:1], 3, v[2:3]
	v_add_co_u32_e32 v0, vcc, v7, v0
	v_addc_co_u32_e32 v1, vcc, v6, v1, vcc
	global_store_dwordx2 v[0:1], v[4:5], off
.LBB119_5:
	s_endpgm
.LBB119_6:
	v_mov_b32_e32 v5, 0
	v_mov_b32_e32 v6, 0
	v_cmp_le_i32_e32 vcc, v2, v7
	s_and_saveexec_b64 s[0:1], vcc
	s_cbranch_execnz .LBB119_4
	s_branch .LBB119_5
	.section	.rodata,"a",@progbits
	.p2align	6, 0x0
	.amdhsa_kernel _ZL41rocblas_syrkx_herkx_small_restrict_kernelIidLi16ELb1ELb0ELc67ELc85EKddEviT_T0_PT6_S1_lS4_S1_lS2_PT7_S1_li
		.amdhsa_group_segment_fixed_size 4096
		.amdhsa_private_segment_fixed_size 0
		.amdhsa_kernarg_size 100
		.amdhsa_user_sgpr_count 6
		.amdhsa_user_sgpr_private_segment_buffer 1
		.amdhsa_user_sgpr_dispatch_ptr 0
		.amdhsa_user_sgpr_queue_ptr 0
		.amdhsa_user_sgpr_kernarg_segment_ptr 1
		.amdhsa_user_sgpr_dispatch_id 0
		.amdhsa_user_sgpr_flat_scratch_init 0
		.amdhsa_user_sgpr_private_segment_size 0
		.amdhsa_uses_dynamic_stack 0
		.amdhsa_system_sgpr_private_segment_wavefront_offset 0
		.amdhsa_system_sgpr_workgroup_id_x 1
		.amdhsa_system_sgpr_workgroup_id_y 1
		.amdhsa_system_sgpr_workgroup_id_z 1
		.amdhsa_system_sgpr_workgroup_info 0
		.amdhsa_system_vgpr_workitem_id 1
		.amdhsa_next_free_vgpr 20
		.amdhsa_next_free_sgpr 20
		.amdhsa_reserve_vcc 1
		.amdhsa_reserve_flat_scratch 0
		.amdhsa_float_round_mode_32 0
		.amdhsa_float_round_mode_16_64 0
		.amdhsa_float_denorm_mode_32 3
		.amdhsa_float_denorm_mode_16_64 3
		.amdhsa_dx10_clamp 1
		.amdhsa_ieee_mode 1
		.amdhsa_fp16_overflow 0
		.amdhsa_exception_fp_ieee_invalid_op 0
		.amdhsa_exception_fp_denorm_src 0
		.amdhsa_exception_fp_ieee_div_zero 0
		.amdhsa_exception_fp_ieee_overflow 0
		.amdhsa_exception_fp_ieee_underflow 0
		.amdhsa_exception_fp_ieee_inexact 0
		.amdhsa_exception_int_div_zero 0
	.end_amdhsa_kernel
	.section	.text._ZL41rocblas_syrkx_herkx_small_restrict_kernelIidLi16ELb1ELb0ELc67ELc85EKddEviT_T0_PT6_S1_lS4_S1_lS2_PT7_S1_li,"axG",@progbits,_ZL41rocblas_syrkx_herkx_small_restrict_kernelIidLi16ELb1ELb0ELc67ELc85EKddEviT_T0_PT6_S1_lS4_S1_lS2_PT7_S1_li,comdat
.Lfunc_end119:
	.size	_ZL41rocblas_syrkx_herkx_small_restrict_kernelIidLi16ELb1ELb0ELc67ELc85EKddEviT_T0_PT6_S1_lS4_S1_lS2_PT7_S1_li, .Lfunc_end119-_ZL41rocblas_syrkx_herkx_small_restrict_kernelIidLi16ELb1ELb0ELc67ELc85EKddEviT_T0_PT6_S1_lS4_S1_lS2_PT7_S1_li
                                        ; -- End function
	.set _ZL41rocblas_syrkx_herkx_small_restrict_kernelIidLi16ELb1ELb0ELc67ELc85EKddEviT_T0_PT6_S1_lS4_S1_lS2_PT7_S1_li.num_vgpr, 20
	.set _ZL41rocblas_syrkx_herkx_small_restrict_kernelIidLi16ELb1ELb0ELc67ELc85EKddEviT_T0_PT6_S1_lS4_S1_lS2_PT7_S1_li.num_agpr, 0
	.set _ZL41rocblas_syrkx_herkx_small_restrict_kernelIidLi16ELb1ELb0ELc67ELc85EKddEviT_T0_PT6_S1_lS4_S1_lS2_PT7_S1_li.numbered_sgpr, 20
	.set _ZL41rocblas_syrkx_herkx_small_restrict_kernelIidLi16ELb1ELb0ELc67ELc85EKddEviT_T0_PT6_S1_lS4_S1_lS2_PT7_S1_li.num_named_barrier, 0
	.set _ZL41rocblas_syrkx_herkx_small_restrict_kernelIidLi16ELb1ELb0ELc67ELc85EKddEviT_T0_PT6_S1_lS4_S1_lS2_PT7_S1_li.private_seg_size, 0
	.set _ZL41rocblas_syrkx_herkx_small_restrict_kernelIidLi16ELb1ELb0ELc67ELc85EKddEviT_T0_PT6_S1_lS4_S1_lS2_PT7_S1_li.uses_vcc, 1
	.set _ZL41rocblas_syrkx_herkx_small_restrict_kernelIidLi16ELb1ELb0ELc67ELc85EKddEviT_T0_PT6_S1_lS4_S1_lS2_PT7_S1_li.uses_flat_scratch, 0
	.set _ZL41rocblas_syrkx_herkx_small_restrict_kernelIidLi16ELb1ELb0ELc67ELc85EKddEviT_T0_PT6_S1_lS4_S1_lS2_PT7_S1_li.has_dyn_sized_stack, 0
	.set _ZL41rocblas_syrkx_herkx_small_restrict_kernelIidLi16ELb1ELb0ELc67ELc85EKddEviT_T0_PT6_S1_lS4_S1_lS2_PT7_S1_li.has_recursion, 0
	.set _ZL41rocblas_syrkx_herkx_small_restrict_kernelIidLi16ELb1ELb0ELc67ELc85EKddEviT_T0_PT6_S1_lS4_S1_lS2_PT7_S1_li.has_indirect_call, 0
	.section	.AMDGPU.csdata,"",@progbits
; Kernel info:
; codeLenInByte = 800
; TotalNumSgprs: 24
; NumVgprs: 20
; ScratchSize: 0
; MemoryBound: 0
; FloatMode: 240
; IeeeMode: 1
; LDSByteSize: 4096 bytes/workgroup (compile time only)
; SGPRBlocks: 2
; VGPRBlocks: 4
; NumSGPRsForWavesPerEU: 24
; NumVGPRsForWavesPerEU: 20
; Occupancy: 10
; WaveLimiterHint : 0
; COMPUTE_PGM_RSRC2:SCRATCH_EN: 0
; COMPUTE_PGM_RSRC2:USER_SGPR: 6
; COMPUTE_PGM_RSRC2:TRAP_HANDLER: 0
; COMPUTE_PGM_RSRC2:TGID_X_EN: 1
; COMPUTE_PGM_RSRC2:TGID_Y_EN: 1
; COMPUTE_PGM_RSRC2:TGID_Z_EN: 1
; COMPUTE_PGM_RSRC2:TIDIG_COMP_CNT: 1
	.section	.text._ZL41rocblas_syrkx_herkx_small_restrict_kernelIidLi16ELb1ELb0ELc78ELc85EKddEviT_T0_PT6_S1_lS4_S1_lS2_PT7_S1_li,"axG",@progbits,_ZL41rocblas_syrkx_herkx_small_restrict_kernelIidLi16ELb1ELb0ELc78ELc85EKddEviT_T0_PT6_S1_lS4_S1_lS2_PT7_S1_li,comdat
	.globl	_ZL41rocblas_syrkx_herkx_small_restrict_kernelIidLi16ELb1ELb0ELc78ELc85EKddEviT_T0_PT6_S1_lS4_S1_lS2_PT7_S1_li ; -- Begin function _ZL41rocblas_syrkx_herkx_small_restrict_kernelIidLi16ELb1ELb0ELc78ELc85EKddEviT_T0_PT6_S1_lS4_S1_lS2_PT7_S1_li
	.p2align	8
	.type	_ZL41rocblas_syrkx_herkx_small_restrict_kernelIidLi16ELb1ELb0ELc78ELc85EKddEviT_T0_PT6_S1_lS4_S1_lS2_PT7_S1_li,@function
_ZL41rocblas_syrkx_herkx_small_restrict_kernelIidLi16ELb1ELb0ELc78ELc85EKddEviT_T0_PT6_S1_lS4_S1_lS2_PT7_S1_li: ; @_ZL41rocblas_syrkx_herkx_small_restrict_kernelIidLi16ELb1ELb0ELc78ELc85EKddEviT_T0_PT6_S1_lS4_S1_lS2_PT7_S1_li
; %bb.0:
	s_load_dword s9, s[4:5], 0x4
	s_load_dwordx4 s[12:15], s[4:5], 0x8
	v_lshl_add_u32 v2, s6, 4, v0
	s_mov_b32 s10, 0
	v_lshl_add_u32 v4, s7, 4, v1
	s_waitcnt lgkmcnt(0)
	s_cmp_lt_i32 s9, 1
	v_ashrrev_i32_e32 v3, 31, v2
	s_cbranch_scc1 .LBB120_6
; %bb.1:
	s_load_dword s6, s[4:5], 0x18
	s_load_dword s16, s[4:5], 0x30
	s_load_dwordx2 s[18:19], s[4:5], 0x38
	s_load_dwordx4 s[0:3], s[4:5], 0x20
	v_lshlrev_b32_e32 v6, 7, v1
	v_lshlrev_b32_e32 v9, 3, v0
	v_add_u32_e32 v10, v9, v6
	v_add_u32_e32 v11, 0x800, v6
	s_waitcnt lgkmcnt(0)
	v_mad_i64_i32 v[6:7], s[20:21], s16, v0, 0
	s_mul_i32 s11, s19, s8
	s_mul_hi_u32 s19, s18, s8
	s_add_i32 s19, s19, s11
	s_mul_i32 s18, s18, s8
	v_lshlrev_b64 v[6:7], 3, v[6:7]
	v_ashrrev_i32_e32 v5, 31, v4
	s_lshl_b64 s[18:19], s[18:19], 3
	v_mov_b32_e32 v0, s19
	v_add_co_u32_e32 v8, vcc, s18, v6
	v_lshlrev_b64 v[5:6], 3, v[4:5]
	v_addc_co_u32_e32 v0, vcc, v0, v7, vcc
	v_add_co_u32_e32 v5, vcc, v8, v5
	v_addc_co_u32_e32 v0, vcc, v0, v6, vcc
	s_ashr_i32 s17, s16, 31
	v_mov_b32_e32 v6, s3
	v_add_co_u32_e32 v5, vcc, s2, v5
	v_addc_co_u32_e32 v6, vcc, v6, v0, vcc
	s_lshl_b64 s[2:3], s[16:17], 7
	v_mad_i64_i32 v[0:1], s[16:17], s6, v1, 0
	s_mul_i32 s1, s1, s8
	s_mul_hi_u32 s11, s0, s8
	s_add_i32 s1, s11, s1
	s_mul_i32 s0, s0, s8
	v_lshlrev_b64 v[0:1], 3, v[0:1]
	s_lshl_b64 s[0:1], s[0:1], 3
	v_mov_b32_e32 v7, s1
	v_add_co_u32_e32 v8, vcc, s0, v0
	v_addc_co_u32_e32 v7, vcc, v7, v1, vcc
	v_lshlrev_b64 v[0:1], 3, v[2:3]
	s_ashr_i32 s7, s6, 31
	v_add_co_u32_e32 v0, vcc, v8, v0
	v_addc_co_u32_e32 v1, vcc, v7, v1, vcc
	v_mov_b32_e32 v7, s15
	v_add_co_u32_e32 v0, vcc, s14, v0
	v_addc_co_u32_e32 v1, vcc, v7, v1, vcc
	s_lshl_b64 s[6:7], s[6:7], 7
	v_mov_b32_e32 v7, 0
	v_mov_b32_e32 v8, 0
	;; [unrolled: 1-line block ×4, first 2 shown]
.LBB120_2:                              ; =>This Inner Loop Header: Depth=1
	global_load_dwordx2 v[14:15], v[0:1], off
	global_load_dwordx2 v[16:17], v[5:6], off
	s_add_i32 s10, s10, 16
	v_add_co_u32_e32 v5, vcc, s2, v5
	v_add_co_u32_e64 v0, s[0:1], s6, v0
	v_addc_co_u32_e32 v6, vcc, v6, v12, vcc
	v_addc_co_u32_e64 v1, vcc, v1, v13, s[0:1]
	s_cmp_lt_i32 s10, s9
	s_waitcnt vmcnt(1)
	ds_write_b64 v10, v[14:15]
	v_add_u32_e32 v14, v11, v9
	s_waitcnt vmcnt(0)
	ds_write_b64 v14, v[16:17]
	s_waitcnt lgkmcnt(0)
	s_barrier
	ds_read2_b64 v[14:17], v9 offset1:16
	ds_read_b128 v[18:21], v11
	s_waitcnt lgkmcnt(0)
	v_fma_f64 v[7:8], v[14:15], v[18:19], v[7:8]
	v_fma_f64 v[7:8], v[16:17], v[20:21], v[7:8]
	ds_read_b128 v[14:17], v11 offset:16
	ds_read2_b64 v[18:21], v9 offset0:32 offset1:48
	s_waitcnt lgkmcnt(0)
	v_fma_f64 v[7:8], v[18:19], v[14:15], v[7:8]
	v_fma_f64 v[7:8], v[20:21], v[16:17], v[7:8]
	ds_read2_b64 v[14:17], v9 offset0:64 offset1:80
	ds_read_b128 v[18:21], v11 offset:32
	s_waitcnt lgkmcnt(0)
	v_fma_f64 v[7:8], v[14:15], v[18:19], v[7:8]
	v_fma_f64 v[7:8], v[16:17], v[20:21], v[7:8]
	ds_read_b128 v[14:17], v11 offset:48
	ds_read2_b64 v[18:21], v9 offset0:96 offset1:112
	s_waitcnt lgkmcnt(0)
	v_fma_f64 v[7:8], v[18:19], v[14:15], v[7:8]
	v_fma_f64 v[7:8], v[20:21], v[16:17], v[7:8]
	ds_read2_b64 v[14:17], v9 offset0:128 offset1:144
	ds_read_b128 v[18:21], v11 offset:64
	;; [unrolled: 10-line block ×3, first 2 shown]
	s_waitcnt lgkmcnt(0)
	v_fma_f64 v[7:8], v[14:15], v[18:19], v[7:8]
	v_fma_f64 v[7:8], v[16:17], v[20:21], v[7:8]
	ds_read_b128 v[14:17], v11 offset:112
	ds_read2_b64 v[18:21], v9 offset0:224 offset1:240
	s_waitcnt lgkmcnt(0)
	s_barrier
	v_fma_f64 v[7:8], v[18:19], v[14:15], v[7:8]
	v_fma_f64 v[7:8], v[20:21], v[16:17], v[7:8]
	s_cbranch_scc1 .LBB120_2
; %bb.3:
	v_cmp_le_i32_e32 vcc, v2, v4
	s_and_saveexec_b64 s[0:1], vcc
	s_cbranch_execz .LBB120_5
.LBB120_4:
	s_load_dwordx2 s[0:1], s[4:5], 0x58
	s_load_dwordx2 s[2:3], s[4:5], 0x48
	s_load_dword s6, s[4:5], 0x50
	s_waitcnt lgkmcnt(0)
	s_mul_i32 s1, s1, s8
	s_mul_hi_u32 s4, s0, s8
	s_add_i32 s1, s4, s1
	v_mad_i64_i32 v[0:1], s[4:5], s6, v4, 0
	s_mul_i32 s0, s0, s8
	s_lshl_b64 s[0:1], s[0:1], 3
	v_mul_f64 v[4:5], s[12:13], v[7:8]
	s_add_u32 s0, s2, s0
	v_lshlrev_b64 v[0:1], 3, v[0:1]
	s_addc_u32 s1, s3, s1
	v_mov_b32_e32 v6, s1
	v_add_co_u32_e32 v7, vcc, s0, v0
	v_addc_co_u32_e32 v6, vcc, v6, v1, vcc
	v_lshlrev_b64 v[0:1], 3, v[2:3]
	v_add_co_u32_e32 v0, vcc, v7, v0
	v_addc_co_u32_e32 v1, vcc, v6, v1, vcc
	global_store_dwordx2 v[0:1], v[4:5], off
.LBB120_5:
	s_endpgm
.LBB120_6:
	v_mov_b32_e32 v7, 0
	v_mov_b32_e32 v8, 0
	v_cmp_le_i32_e32 vcc, v2, v4
	s_and_saveexec_b64 s[0:1], vcc
	s_cbranch_execnz .LBB120_4
	s_branch .LBB120_5
	.section	.rodata,"a",@progbits
	.p2align	6, 0x0
	.amdhsa_kernel _ZL41rocblas_syrkx_herkx_small_restrict_kernelIidLi16ELb1ELb0ELc78ELc85EKddEviT_T0_PT6_S1_lS4_S1_lS2_PT7_S1_li
		.amdhsa_group_segment_fixed_size 4096
		.amdhsa_private_segment_fixed_size 0
		.amdhsa_kernarg_size 100
		.amdhsa_user_sgpr_count 6
		.amdhsa_user_sgpr_private_segment_buffer 1
		.amdhsa_user_sgpr_dispatch_ptr 0
		.amdhsa_user_sgpr_queue_ptr 0
		.amdhsa_user_sgpr_kernarg_segment_ptr 1
		.amdhsa_user_sgpr_dispatch_id 0
		.amdhsa_user_sgpr_flat_scratch_init 0
		.amdhsa_user_sgpr_private_segment_size 0
		.amdhsa_uses_dynamic_stack 0
		.amdhsa_system_sgpr_private_segment_wavefront_offset 0
		.amdhsa_system_sgpr_workgroup_id_x 1
		.amdhsa_system_sgpr_workgroup_id_y 1
		.amdhsa_system_sgpr_workgroup_id_z 1
		.amdhsa_system_sgpr_workgroup_info 0
		.amdhsa_system_vgpr_workitem_id 1
		.amdhsa_next_free_vgpr 22
		.amdhsa_next_free_sgpr 22
		.amdhsa_reserve_vcc 1
		.amdhsa_reserve_flat_scratch 0
		.amdhsa_float_round_mode_32 0
		.amdhsa_float_round_mode_16_64 0
		.amdhsa_float_denorm_mode_32 3
		.amdhsa_float_denorm_mode_16_64 3
		.amdhsa_dx10_clamp 1
		.amdhsa_ieee_mode 1
		.amdhsa_fp16_overflow 0
		.amdhsa_exception_fp_ieee_invalid_op 0
		.amdhsa_exception_fp_denorm_src 0
		.amdhsa_exception_fp_ieee_div_zero 0
		.amdhsa_exception_fp_ieee_overflow 0
		.amdhsa_exception_fp_ieee_underflow 0
		.amdhsa_exception_fp_ieee_inexact 0
		.amdhsa_exception_int_div_zero 0
	.end_amdhsa_kernel
	.section	.text._ZL41rocblas_syrkx_herkx_small_restrict_kernelIidLi16ELb1ELb0ELc78ELc85EKddEviT_T0_PT6_S1_lS4_S1_lS2_PT7_S1_li,"axG",@progbits,_ZL41rocblas_syrkx_herkx_small_restrict_kernelIidLi16ELb1ELb0ELc78ELc85EKddEviT_T0_PT6_S1_lS4_S1_lS2_PT7_S1_li,comdat
.Lfunc_end120:
	.size	_ZL41rocblas_syrkx_herkx_small_restrict_kernelIidLi16ELb1ELb0ELc78ELc85EKddEviT_T0_PT6_S1_lS4_S1_lS2_PT7_S1_li, .Lfunc_end120-_ZL41rocblas_syrkx_herkx_small_restrict_kernelIidLi16ELb1ELb0ELc78ELc85EKddEviT_T0_PT6_S1_lS4_S1_lS2_PT7_S1_li
                                        ; -- End function
	.set _ZL41rocblas_syrkx_herkx_small_restrict_kernelIidLi16ELb1ELb0ELc78ELc85EKddEviT_T0_PT6_S1_lS4_S1_lS2_PT7_S1_li.num_vgpr, 22
	.set _ZL41rocblas_syrkx_herkx_small_restrict_kernelIidLi16ELb1ELb0ELc78ELc85EKddEviT_T0_PT6_S1_lS4_S1_lS2_PT7_S1_li.num_agpr, 0
	.set _ZL41rocblas_syrkx_herkx_small_restrict_kernelIidLi16ELb1ELb0ELc78ELc85EKddEviT_T0_PT6_S1_lS4_S1_lS2_PT7_S1_li.numbered_sgpr, 22
	.set _ZL41rocblas_syrkx_herkx_small_restrict_kernelIidLi16ELb1ELb0ELc78ELc85EKddEviT_T0_PT6_S1_lS4_S1_lS2_PT7_S1_li.num_named_barrier, 0
	.set _ZL41rocblas_syrkx_herkx_small_restrict_kernelIidLi16ELb1ELb0ELc78ELc85EKddEviT_T0_PT6_S1_lS4_S1_lS2_PT7_S1_li.private_seg_size, 0
	.set _ZL41rocblas_syrkx_herkx_small_restrict_kernelIidLi16ELb1ELb0ELc78ELc85EKddEviT_T0_PT6_S1_lS4_S1_lS2_PT7_S1_li.uses_vcc, 1
	.set _ZL41rocblas_syrkx_herkx_small_restrict_kernelIidLi16ELb1ELb0ELc78ELc85EKddEviT_T0_PT6_S1_lS4_S1_lS2_PT7_S1_li.uses_flat_scratch, 0
	.set _ZL41rocblas_syrkx_herkx_small_restrict_kernelIidLi16ELb1ELb0ELc78ELc85EKddEviT_T0_PT6_S1_lS4_S1_lS2_PT7_S1_li.has_dyn_sized_stack, 0
	.set _ZL41rocblas_syrkx_herkx_small_restrict_kernelIidLi16ELb1ELb0ELc78ELc85EKddEviT_T0_PT6_S1_lS4_S1_lS2_PT7_S1_li.has_recursion, 0
	.set _ZL41rocblas_syrkx_herkx_small_restrict_kernelIidLi16ELb1ELb0ELc78ELc85EKddEviT_T0_PT6_S1_lS4_S1_lS2_PT7_S1_li.has_indirect_call, 0
	.section	.AMDGPU.csdata,"",@progbits
; Kernel info:
; codeLenInByte = 832
; TotalNumSgprs: 26
; NumVgprs: 22
; ScratchSize: 0
; MemoryBound: 0
; FloatMode: 240
; IeeeMode: 1
; LDSByteSize: 4096 bytes/workgroup (compile time only)
; SGPRBlocks: 3
; VGPRBlocks: 5
; NumSGPRsForWavesPerEU: 26
; NumVGPRsForWavesPerEU: 22
; Occupancy: 10
; WaveLimiterHint : 0
; COMPUTE_PGM_RSRC2:SCRATCH_EN: 0
; COMPUTE_PGM_RSRC2:USER_SGPR: 6
; COMPUTE_PGM_RSRC2:TRAP_HANDLER: 0
; COMPUTE_PGM_RSRC2:TGID_X_EN: 1
; COMPUTE_PGM_RSRC2:TGID_Y_EN: 1
; COMPUTE_PGM_RSRC2:TGID_Z_EN: 1
; COMPUTE_PGM_RSRC2:TIDIG_COMP_CNT: 1
	.section	.text._ZL41rocblas_syrkx_herkx_small_restrict_kernelIidLi16ELb0ELb0ELc84ELc76EKddEviT_T0_PT6_S1_lS4_S1_lS2_PT7_S1_li,"axG",@progbits,_ZL41rocblas_syrkx_herkx_small_restrict_kernelIidLi16ELb0ELb0ELc84ELc76EKddEviT_T0_PT6_S1_lS4_S1_lS2_PT7_S1_li,comdat
	.globl	_ZL41rocblas_syrkx_herkx_small_restrict_kernelIidLi16ELb0ELb0ELc84ELc76EKddEviT_T0_PT6_S1_lS4_S1_lS2_PT7_S1_li ; -- Begin function _ZL41rocblas_syrkx_herkx_small_restrict_kernelIidLi16ELb0ELb0ELc84ELc76EKddEviT_T0_PT6_S1_lS4_S1_lS2_PT7_S1_li
	.p2align	8
	.type	_ZL41rocblas_syrkx_herkx_small_restrict_kernelIidLi16ELb0ELb0ELc84ELc76EKddEviT_T0_PT6_S1_lS4_S1_lS2_PT7_S1_li,@function
_ZL41rocblas_syrkx_herkx_small_restrict_kernelIidLi16ELb0ELb0ELc84ELc76EKddEviT_T0_PT6_S1_lS4_S1_lS2_PT7_S1_li: ; @_ZL41rocblas_syrkx_herkx_small_restrict_kernelIidLi16ELb0ELb0ELc84ELc76EKddEviT_T0_PT6_S1_lS4_S1_lS2_PT7_S1_li
; %bb.0:
	s_load_dword s9, s[4:5], 0x4
	s_load_dwordx4 s[12:15], s[4:5], 0x8
	s_load_dwordx4 s[0:3], s[4:5], 0x38
	s_load_dwordx2 s[10:11], s[4:5], 0x48
	s_mov_b32 s16, 0
	v_lshl_add_u32 v2, s6, 4, v0
	s_waitcnt lgkmcnt(0)
	s_cmp_lt_i32 s9, 1
	v_lshl_add_u32 v7, s7, 4, v1
	s_cbranch_scc1 .LBB121_6
; %bb.1:
	s_load_dword s17, s[4:5], 0x18
	s_load_dword s6, s[4:5], 0x30
	s_load_dwordx4 s[20:23], s[4:5], 0x20
	s_mul_i32 s1, s1, s8
	v_lshlrev_b32_e32 v5, 7, v1
	v_lshlrev_b32_e32 v8, 3, v0
	s_waitcnt lgkmcnt(0)
	v_mad_i64_i32 v[3:4], s[6:7], s6, v7, 0
	s_mul_hi_u32 s6, s0, s8
	s_add_i32 s1, s6, s1
	v_lshlrev_b64 v[3:4], 3, v[3:4]
	s_mul_i32 s0, s0, s8
	s_lshl_b64 s[0:1], s[0:1], 3
	v_add_u32_e32 v9, v8, v5
	v_add_u32_e32 v10, 0x800, v5
	v_mov_b32_e32 v0, s1
	v_add_co_u32_e32 v3, vcc, s0, v3
	v_mad_i64_i32 v[5:6], s[0:1], s17, v2, 0
	v_addc_co_u32_e32 v0, vcc, v4, v0, vcc
	v_add_co_u32_e32 v3, vcc, v3, v8
	v_addc_co_u32_e32 v0, vcc, 0, v0, vcc
	s_mul_i32 s0, s21, s8
	s_mul_hi_u32 s1, s20, s8
	v_mov_b32_e32 v4, s23
	v_add_co_u32_e32 v3, vcc, s22, v3
	v_lshlrev_b64 v[5:6], 3, v[5:6]
	s_add_i32 s1, s1, s0
	s_mul_i32 s0, s20, s8
	v_addc_co_u32_e32 v4, vcc, v4, v0, vcc
	s_lshl_b64 s[0:1], s[0:1], 3
	v_mov_b32_e32 v0, s1
	v_add_co_u32_e32 v5, vcc, s0, v5
	v_addc_co_u32_e32 v0, vcc, v6, v0, vcc
	v_lshlrev_b32_e32 v1, 3, v1
	v_add_co_u32_e32 v1, vcc, v5, v1
	v_addc_co_u32_e32 v12, vcc, 0, v0, vcc
	v_mov_b32_e32 v13, s15
	v_mov_b32_e32 v5, 0
	v_add_co_u32_e32 v0, vcc, s14, v1
	v_add_u32_e32 v11, v10, v8
	v_mov_b32_e32 v6, 0
	v_addc_co_u32_e32 v1, vcc, v13, v12, vcc
.LBB121_2:                              ; =>This Inner Loop Header: Depth=1
	global_load_dwordx2 v[12:13], v[0:1], off
	s_add_i32 s16, s16, 16
	s_cmp_lt_i32 s16, s9
	s_waitcnt vmcnt(0)
	ds_write_b64 v9, v[12:13]
	global_load_dwordx2 v[12:13], v[3:4], off
	v_add_co_u32_e32 v3, vcc, 0x80, v3
	s_mov_b64 s[0:1], vcc
	v_add_co_u32_e32 v0, vcc, 0x80, v0
	v_addc_co_u32_e64 v4, s[0:1], 0, v4, s[0:1]
	v_addc_co_u32_e32 v1, vcc, 0, v1, vcc
	s_waitcnt vmcnt(0)
	ds_write_b64 v11, v[12:13]
	s_waitcnt lgkmcnt(0)
	s_barrier
	ds_read2_b64 v[12:15], v8 offset1:16
	ds_read_b128 v[16:19], v10
	s_waitcnt lgkmcnt(0)
	v_fma_f64 v[5:6], v[12:13], v[16:17], v[5:6]
	v_fma_f64 v[5:6], v[14:15], v[18:19], v[5:6]
	ds_read_b128 v[12:15], v10 offset:16
	ds_read2_b64 v[16:19], v8 offset0:32 offset1:48
	s_waitcnt lgkmcnt(0)
	v_fma_f64 v[5:6], v[16:17], v[12:13], v[5:6]
	v_fma_f64 v[5:6], v[18:19], v[14:15], v[5:6]
	ds_read2_b64 v[12:15], v8 offset0:64 offset1:80
	ds_read_b128 v[16:19], v10 offset:32
	s_waitcnt lgkmcnt(0)
	v_fma_f64 v[5:6], v[12:13], v[16:17], v[5:6]
	v_fma_f64 v[5:6], v[14:15], v[18:19], v[5:6]
	ds_read_b128 v[12:15], v10 offset:48
	ds_read2_b64 v[16:19], v8 offset0:96 offset1:112
	s_waitcnt lgkmcnt(0)
	v_fma_f64 v[5:6], v[16:17], v[12:13], v[5:6]
	v_fma_f64 v[5:6], v[18:19], v[14:15], v[5:6]
	ds_read2_b64 v[12:15], v8 offset0:128 offset1:144
	ds_read_b128 v[16:19], v10 offset:64
	s_waitcnt lgkmcnt(0)
	v_fma_f64 v[5:6], v[12:13], v[16:17], v[5:6]
	v_fma_f64 v[5:6], v[14:15], v[18:19], v[5:6]
	ds_read_b128 v[12:15], v10 offset:80
	ds_read2_b64 v[16:19], v8 offset0:160 offset1:176
	s_waitcnt lgkmcnt(0)
	v_fma_f64 v[5:6], v[16:17], v[12:13], v[5:6]
	v_fma_f64 v[5:6], v[18:19], v[14:15], v[5:6]
	ds_read2_b64 v[12:15], v8 offset0:192 offset1:208
	ds_read_b128 v[16:19], v10 offset:96
	s_waitcnt lgkmcnt(0)
	v_fma_f64 v[5:6], v[12:13], v[16:17], v[5:6]
	v_fma_f64 v[5:6], v[14:15], v[18:19], v[5:6]
	ds_read_b128 v[12:15], v10 offset:112
	ds_read2_b64 v[16:19], v8 offset0:224 offset1:240
	s_waitcnt lgkmcnt(0)
	s_barrier
	v_fma_f64 v[5:6], v[16:17], v[12:13], v[5:6]
	v_fma_f64 v[5:6], v[18:19], v[14:15], v[5:6]
	s_cbranch_scc1 .LBB121_2
; %bb.3:
	v_cmp_le_i32_e32 vcc, v7, v2
	s_and_saveexec_b64 s[0:1], vcc
	s_cbranch_execz .LBB121_5
.LBB121_4:
	s_load_dwordx2 s[0:1], s[4:5], 0x58
	s_load_dword s6, s[4:5], 0x50
	v_ashrrev_i32_e32 v3, 31, v2
	s_waitcnt lgkmcnt(0)
	s_mul_i32 s1, s1, s8
	s_mul_hi_u32 s4, s0, s8
	s_add_i32 s1, s4, s1
	v_mad_i64_i32 v[0:1], s[4:5], s6, v7, 0
	s_mul_i32 s0, s0, s8
	s_lshl_b64 s[0:1], s[0:1], 3
	s_add_u32 s0, s10, s0
	v_lshlrev_b64 v[0:1], 3, v[0:1]
	s_addc_u32 s1, s11, s1
	v_mov_b32_e32 v4, s1
	v_add_co_u32_e32 v7, vcc, s0, v0
	v_addc_co_u32_e32 v4, vcc, v4, v1, vcc
	v_lshlrev_b64 v[0:1], 3, v[2:3]
	v_add_co_u32_e32 v0, vcc, v7, v0
	v_addc_co_u32_e32 v1, vcc, v4, v1, vcc
	global_load_dwordx2 v[2:3], v[0:1], off
	s_waitcnt vmcnt(0)
	v_mul_f64 v[2:3], s[2:3], v[2:3]
	v_fma_f64 v[2:3], s[12:13], v[5:6], v[2:3]
	global_store_dwordx2 v[0:1], v[2:3], off
.LBB121_5:
	s_endpgm
.LBB121_6:
	v_mov_b32_e32 v5, 0
	v_mov_b32_e32 v6, 0
	v_cmp_le_i32_e32 vcc, v7, v2
	s_and_saveexec_b64 s[0:1], vcc
	s_cbranch_execnz .LBB121_4
	s_branch .LBB121_5
	.section	.rodata,"a",@progbits
	.p2align	6, 0x0
	.amdhsa_kernel _ZL41rocblas_syrkx_herkx_small_restrict_kernelIidLi16ELb0ELb0ELc84ELc76EKddEviT_T0_PT6_S1_lS4_S1_lS2_PT7_S1_li
		.amdhsa_group_segment_fixed_size 4096
		.amdhsa_private_segment_fixed_size 0
		.amdhsa_kernarg_size 100
		.amdhsa_user_sgpr_count 6
		.amdhsa_user_sgpr_private_segment_buffer 1
		.amdhsa_user_sgpr_dispatch_ptr 0
		.amdhsa_user_sgpr_queue_ptr 0
		.amdhsa_user_sgpr_kernarg_segment_ptr 1
		.amdhsa_user_sgpr_dispatch_id 0
		.amdhsa_user_sgpr_flat_scratch_init 0
		.amdhsa_user_sgpr_private_segment_size 0
		.amdhsa_uses_dynamic_stack 0
		.amdhsa_system_sgpr_private_segment_wavefront_offset 0
		.amdhsa_system_sgpr_workgroup_id_x 1
		.amdhsa_system_sgpr_workgroup_id_y 1
		.amdhsa_system_sgpr_workgroup_id_z 1
		.amdhsa_system_sgpr_workgroup_info 0
		.amdhsa_system_vgpr_workitem_id 1
		.amdhsa_next_free_vgpr 20
		.amdhsa_next_free_sgpr 24
		.amdhsa_reserve_vcc 1
		.amdhsa_reserve_flat_scratch 0
		.amdhsa_float_round_mode_32 0
		.amdhsa_float_round_mode_16_64 0
		.amdhsa_float_denorm_mode_32 3
		.amdhsa_float_denorm_mode_16_64 3
		.amdhsa_dx10_clamp 1
		.amdhsa_ieee_mode 1
		.amdhsa_fp16_overflow 0
		.amdhsa_exception_fp_ieee_invalid_op 0
		.amdhsa_exception_fp_denorm_src 0
		.amdhsa_exception_fp_ieee_div_zero 0
		.amdhsa_exception_fp_ieee_overflow 0
		.amdhsa_exception_fp_ieee_underflow 0
		.amdhsa_exception_fp_ieee_inexact 0
		.amdhsa_exception_int_div_zero 0
	.end_amdhsa_kernel
	.section	.text._ZL41rocblas_syrkx_herkx_small_restrict_kernelIidLi16ELb0ELb0ELc84ELc76EKddEviT_T0_PT6_S1_lS4_S1_lS2_PT7_S1_li,"axG",@progbits,_ZL41rocblas_syrkx_herkx_small_restrict_kernelIidLi16ELb0ELb0ELc84ELc76EKddEviT_T0_PT6_S1_lS4_S1_lS2_PT7_S1_li,comdat
.Lfunc_end121:
	.size	_ZL41rocblas_syrkx_herkx_small_restrict_kernelIidLi16ELb0ELb0ELc84ELc76EKddEviT_T0_PT6_S1_lS4_S1_lS2_PT7_S1_li, .Lfunc_end121-_ZL41rocblas_syrkx_herkx_small_restrict_kernelIidLi16ELb0ELb0ELc84ELc76EKddEviT_T0_PT6_S1_lS4_S1_lS2_PT7_S1_li
                                        ; -- End function
	.set _ZL41rocblas_syrkx_herkx_small_restrict_kernelIidLi16ELb0ELb0ELc84ELc76EKddEviT_T0_PT6_S1_lS4_S1_lS2_PT7_S1_li.num_vgpr, 20
	.set _ZL41rocblas_syrkx_herkx_small_restrict_kernelIidLi16ELb0ELb0ELc84ELc76EKddEviT_T0_PT6_S1_lS4_S1_lS2_PT7_S1_li.num_agpr, 0
	.set _ZL41rocblas_syrkx_herkx_small_restrict_kernelIidLi16ELb0ELb0ELc84ELc76EKddEviT_T0_PT6_S1_lS4_S1_lS2_PT7_S1_li.numbered_sgpr, 24
	.set _ZL41rocblas_syrkx_herkx_small_restrict_kernelIidLi16ELb0ELb0ELc84ELc76EKddEviT_T0_PT6_S1_lS4_S1_lS2_PT7_S1_li.num_named_barrier, 0
	.set _ZL41rocblas_syrkx_herkx_small_restrict_kernelIidLi16ELb0ELb0ELc84ELc76EKddEviT_T0_PT6_S1_lS4_S1_lS2_PT7_S1_li.private_seg_size, 0
	.set _ZL41rocblas_syrkx_herkx_small_restrict_kernelIidLi16ELb0ELb0ELc84ELc76EKddEviT_T0_PT6_S1_lS4_S1_lS2_PT7_S1_li.uses_vcc, 1
	.set _ZL41rocblas_syrkx_herkx_small_restrict_kernelIidLi16ELb0ELb0ELc84ELc76EKddEviT_T0_PT6_S1_lS4_S1_lS2_PT7_S1_li.uses_flat_scratch, 0
	.set _ZL41rocblas_syrkx_herkx_small_restrict_kernelIidLi16ELb0ELb0ELc84ELc76EKddEviT_T0_PT6_S1_lS4_S1_lS2_PT7_S1_li.has_dyn_sized_stack, 0
	.set _ZL41rocblas_syrkx_herkx_small_restrict_kernelIidLi16ELb0ELb0ELc84ELc76EKddEviT_T0_PT6_S1_lS4_S1_lS2_PT7_S1_li.has_recursion, 0
	.set _ZL41rocblas_syrkx_herkx_small_restrict_kernelIidLi16ELb0ELb0ELc84ELc76EKddEviT_T0_PT6_S1_lS4_S1_lS2_PT7_S1_li.has_indirect_call, 0
	.section	.AMDGPU.csdata,"",@progbits
; Kernel info:
; codeLenInByte = 820
; TotalNumSgprs: 28
; NumVgprs: 20
; ScratchSize: 0
; MemoryBound: 0
; FloatMode: 240
; IeeeMode: 1
; LDSByteSize: 4096 bytes/workgroup (compile time only)
; SGPRBlocks: 3
; VGPRBlocks: 4
; NumSGPRsForWavesPerEU: 28
; NumVGPRsForWavesPerEU: 20
; Occupancy: 10
; WaveLimiterHint : 0
; COMPUTE_PGM_RSRC2:SCRATCH_EN: 0
; COMPUTE_PGM_RSRC2:USER_SGPR: 6
; COMPUTE_PGM_RSRC2:TRAP_HANDLER: 0
; COMPUTE_PGM_RSRC2:TGID_X_EN: 1
; COMPUTE_PGM_RSRC2:TGID_Y_EN: 1
; COMPUTE_PGM_RSRC2:TGID_Z_EN: 1
; COMPUTE_PGM_RSRC2:TIDIG_COMP_CNT: 1
	.section	.text._ZL41rocblas_syrkx_herkx_small_restrict_kernelIidLi16ELb0ELb0ELc67ELc76EKddEviT_T0_PT6_S1_lS4_S1_lS2_PT7_S1_li,"axG",@progbits,_ZL41rocblas_syrkx_herkx_small_restrict_kernelIidLi16ELb0ELb0ELc67ELc76EKddEviT_T0_PT6_S1_lS4_S1_lS2_PT7_S1_li,comdat
	.globl	_ZL41rocblas_syrkx_herkx_small_restrict_kernelIidLi16ELb0ELb0ELc67ELc76EKddEviT_T0_PT6_S1_lS4_S1_lS2_PT7_S1_li ; -- Begin function _ZL41rocblas_syrkx_herkx_small_restrict_kernelIidLi16ELb0ELb0ELc67ELc76EKddEviT_T0_PT6_S1_lS4_S1_lS2_PT7_S1_li
	.p2align	8
	.type	_ZL41rocblas_syrkx_herkx_small_restrict_kernelIidLi16ELb0ELb0ELc67ELc76EKddEviT_T0_PT6_S1_lS4_S1_lS2_PT7_S1_li,@function
_ZL41rocblas_syrkx_herkx_small_restrict_kernelIidLi16ELb0ELb0ELc67ELc76EKddEviT_T0_PT6_S1_lS4_S1_lS2_PT7_S1_li: ; @_ZL41rocblas_syrkx_herkx_small_restrict_kernelIidLi16ELb0ELb0ELc67ELc76EKddEviT_T0_PT6_S1_lS4_S1_lS2_PT7_S1_li
; %bb.0:
	s_load_dword s9, s[4:5], 0x4
	s_load_dwordx4 s[12:15], s[4:5], 0x8
	s_load_dwordx4 s[0:3], s[4:5], 0x38
	s_load_dwordx2 s[10:11], s[4:5], 0x48
	s_mov_b32 s16, 0
	v_lshl_add_u32 v2, s6, 4, v0
	s_waitcnt lgkmcnt(0)
	s_cmp_lt_i32 s9, 1
	v_lshl_add_u32 v7, s7, 4, v1
	s_cbranch_scc1 .LBB122_6
; %bb.1:
	s_load_dword s17, s[4:5], 0x18
	s_load_dword s6, s[4:5], 0x30
	s_load_dwordx4 s[20:23], s[4:5], 0x20
	s_mul_i32 s1, s1, s8
	v_lshlrev_b32_e32 v5, 7, v1
	v_lshlrev_b32_e32 v8, 3, v0
	s_waitcnt lgkmcnt(0)
	v_mad_i64_i32 v[3:4], s[6:7], s6, v7, 0
	s_mul_hi_u32 s6, s0, s8
	s_add_i32 s1, s6, s1
	v_lshlrev_b64 v[3:4], 3, v[3:4]
	s_mul_i32 s0, s0, s8
	s_lshl_b64 s[0:1], s[0:1], 3
	v_add_u32_e32 v9, v8, v5
	v_add_u32_e32 v10, 0x800, v5
	v_mov_b32_e32 v0, s1
	v_add_co_u32_e32 v3, vcc, s0, v3
	v_mad_i64_i32 v[5:6], s[0:1], s17, v2, 0
	v_addc_co_u32_e32 v0, vcc, v4, v0, vcc
	v_add_co_u32_e32 v3, vcc, v3, v8
	v_addc_co_u32_e32 v0, vcc, 0, v0, vcc
	s_mul_i32 s0, s21, s8
	s_mul_hi_u32 s1, s20, s8
	v_mov_b32_e32 v4, s23
	v_add_co_u32_e32 v3, vcc, s22, v3
	v_lshlrev_b64 v[5:6], 3, v[5:6]
	s_add_i32 s1, s1, s0
	s_mul_i32 s0, s20, s8
	v_addc_co_u32_e32 v4, vcc, v4, v0, vcc
	s_lshl_b64 s[0:1], s[0:1], 3
	v_mov_b32_e32 v0, s1
	v_add_co_u32_e32 v5, vcc, s0, v5
	v_addc_co_u32_e32 v0, vcc, v6, v0, vcc
	v_lshlrev_b32_e32 v1, 3, v1
	v_add_co_u32_e32 v1, vcc, v5, v1
	v_addc_co_u32_e32 v12, vcc, 0, v0, vcc
	v_mov_b32_e32 v13, s15
	v_mov_b32_e32 v5, 0
	v_add_co_u32_e32 v0, vcc, s14, v1
	v_add_u32_e32 v11, v10, v8
	v_mov_b32_e32 v6, 0
	v_addc_co_u32_e32 v1, vcc, v13, v12, vcc
.LBB122_2:                              ; =>This Inner Loop Header: Depth=1
	global_load_dwordx2 v[12:13], v[0:1], off
	s_add_i32 s16, s16, 16
	s_cmp_lt_i32 s16, s9
	s_waitcnt vmcnt(0)
	ds_write_b64 v9, v[12:13]
	global_load_dwordx2 v[12:13], v[3:4], off
	v_add_co_u32_e32 v3, vcc, 0x80, v3
	s_mov_b64 s[0:1], vcc
	v_add_co_u32_e32 v0, vcc, 0x80, v0
	v_addc_co_u32_e64 v4, s[0:1], 0, v4, s[0:1]
	v_addc_co_u32_e32 v1, vcc, 0, v1, vcc
	s_waitcnt vmcnt(0)
	ds_write_b64 v11, v[12:13]
	s_waitcnt lgkmcnt(0)
	s_barrier
	ds_read2_b64 v[12:15], v8 offset1:16
	ds_read_b128 v[16:19], v10
	s_waitcnt lgkmcnt(0)
	v_fma_f64 v[5:6], v[12:13], v[16:17], v[5:6]
	v_fma_f64 v[5:6], v[14:15], v[18:19], v[5:6]
	ds_read_b128 v[12:15], v10 offset:16
	ds_read2_b64 v[16:19], v8 offset0:32 offset1:48
	s_waitcnt lgkmcnt(0)
	v_fma_f64 v[5:6], v[16:17], v[12:13], v[5:6]
	v_fma_f64 v[5:6], v[18:19], v[14:15], v[5:6]
	ds_read2_b64 v[12:15], v8 offset0:64 offset1:80
	ds_read_b128 v[16:19], v10 offset:32
	s_waitcnt lgkmcnt(0)
	v_fma_f64 v[5:6], v[12:13], v[16:17], v[5:6]
	v_fma_f64 v[5:6], v[14:15], v[18:19], v[5:6]
	ds_read_b128 v[12:15], v10 offset:48
	ds_read2_b64 v[16:19], v8 offset0:96 offset1:112
	s_waitcnt lgkmcnt(0)
	v_fma_f64 v[5:6], v[16:17], v[12:13], v[5:6]
	v_fma_f64 v[5:6], v[18:19], v[14:15], v[5:6]
	ds_read2_b64 v[12:15], v8 offset0:128 offset1:144
	ds_read_b128 v[16:19], v10 offset:64
	;; [unrolled: 10-line block ×3, first 2 shown]
	s_waitcnt lgkmcnt(0)
	v_fma_f64 v[5:6], v[12:13], v[16:17], v[5:6]
	v_fma_f64 v[5:6], v[14:15], v[18:19], v[5:6]
	ds_read_b128 v[12:15], v10 offset:112
	ds_read2_b64 v[16:19], v8 offset0:224 offset1:240
	s_waitcnt lgkmcnt(0)
	s_barrier
	v_fma_f64 v[5:6], v[16:17], v[12:13], v[5:6]
	v_fma_f64 v[5:6], v[18:19], v[14:15], v[5:6]
	s_cbranch_scc1 .LBB122_2
; %bb.3:
	v_cmp_le_i32_e32 vcc, v7, v2
	s_and_saveexec_b64 s[0:1], vcc
	s_cbranch_execz .LBB122_5
.LBB122_4:
	s_load_dwordx2 s[0:1], s[4:5], 0x58
	s_load_dword s6, s[4:5], 0x50
	v_ashrrev_i32_e32 v3, 31, v2
	s_waitcnt lgkmcnt(0)
	s_mul_i32 s1, s1, s8
	s_mul_hi_u32 s4, s0, s8
	s_add_i32 s1, s4, s1
	v_mad_i64_i32 v[0:1], s[4:5], s6, v7, 0
	s_mul_i32 s0, s0, s8
	s_lshl_b64 s[0:1], s[0:1], 3
	s_add_u32 s0, s10, s0
	v_lshlrev_b64 v[0:1], 3, v[0:1]
	s_addc_u32 s1, s11, s1
	v_mov_b32_e32 v4, s1
	v_add_co_u32_e32 v7, vcc, s0, v0
	v_addc_co_u32_e32 v4, vcc, v4, v1, vcc
	v_lshlrev_b64 v[0:1], 3, v[2:3]
	v_add_co_u32_e32 v0, vcc, v7, v0
	v_addc_co_u32_e32 v1, vcc, v4, v1, vcc
	global_load_dwordx2 v[2:3], v[0:1], off
	s_waitcnt vmcnt(0)
	v_mul_f64 v[2:3], s[2:3], v[2:3]
	v_fma_f64 v[2:3], s[12:13], v[5:6], v[2:3]
	global_store_dwordx2 v[0:1], v[2:3], off
.LBB122_5:
	s_endpgm
.LBB122_6:
	v_mov_b32_e32 v5, 0
	v_mov_b32_e32 v6, 0
	v_cmp_le_i32_e32 vcc, v7, v2
	s_and_saveexec_b64 s[0:1], vcc
	s_cbranch_execnz .LBB122_4
	s_branch .LBB122_5
	.section	.rodata,"a",@progbits
	.p2align	6, 0x0
	.amdhsa_kernel _ZL41rocblas_syrkx_herkx_small_restrict_kernelIidLi16ELb0ELb0ELc67ELc76EKddEviT_T0_PT6_S1_lS4_S1_lS2_PT7_S1_li
		.amdhsa_group_segment_fixed_size 4096
		.amdhsa_private_segment_fixed_size 0
		.amdhsa_kernarg_size 100
		.amdhsa_user_sgpr_count 6
		.amdhsa_user_sgpr_private_segment_buffer 1
		.amdhsa_user_sgpr_dispatch_ptr 0
		.amdhsa_user_sgpr_queue_ptr 0
		.amdhsa_user_sgpr_kernarg_segment_ptr 1
		.amdhsa_user_sgpr_dispatch_id 0
		.amdhsa_user_sgpr_flat_scratch_init 0
		.amdhsa_user_sgpr_private_segment_size 0
		.amdhsa_uses_dynamic_stack 0
		.amdhsa_system_sgpr_private_segment_wavefront_offset 0
		.amdhsa_system_sgpr_workgroup_id_x 1
		.amdhsa_system_sgpr_workgroup_id_y 1
		.amdhsa_system_sgpr_workgroup_id_z 1
		.amdhsa_system_sgpr_workgroup_info 0
		.amdhsa_system_vgpr_workitem_id 1
		.amdhsa_next_free_vgpr 20
		.amdhsa_next_free_sgpr 24
		.amdhsa_reserve_vcc 1
		.amdhsa_reserve_flat_scratch 0
		.amdhsa_float_round_mode_32 0
		.amdhsa_float_round_mode_16_64 0
		.amdhsa_float_denorm_mode_32 3
		.amdhsa_float_denorm_mode_16_64 3
		.amdhsa_dx10_clamp 1
		.amdhsa_ieee_mode 1
		.amdhsa_fp16_overflow 0
		.amdhsa_exception_fp_ieee_invalid_op 0
		.amdhsa_exception_fp_denorm_src 0
		.amdhsa_exception_fp_ieee_div_zero 0
		.amdhsa_exception_fp_ieee_overflow 0
		.amdhsa_exception_fp_ieee_underflow 0
		.amdhsa_exception_fp_ieee_inexact 0
		.amdhsa_exception_int_div_zero 0
	.end_amdhsa_kernel
	.section	.text._ZL41rocblas_syrkx_herkx_small_restrict_kernelIidLi16ELb0ELb0ELc67ELc76EKddEviT_T0_PT6_S1_lS4_S1_lS2_PT7_S1_li,"axG",@progbits,_ZL41rocblas_syrkx_herkx_small_restrict_kernelIidLi16ELb0ELb0ELc67ELc76EKddEviT_T0_PT6_S1_lS4_S1_lS2_PT7_S1_li,comdat
.Lfunc_end122:
	.size	_ZL41rocblas_syrkx_herkx_small_restrict_kernelIidLi16ELb0ELb0ELc67ELc76EKddEviT_T0_PT6_S1_lS4_S1_lS2_PT7_S1_li, .Lfunc_end122-_ZL41rocblas_syrkx_herkx_small_restrict_kernelIidLi16ELb0ELb0ELc67ELc76EKddEviT_T0_PT6_S1_lS4_S1_lS2_PT7_S1_li
                                        ; -- End function
	.set _ZL41rocblas_syrkx_herkx_small_restrict_kernelIidLi16ELb0ELb0ELc67ELc76EKddEviT_T0_PT6_S1_lS4_S1_lS2_PT7_S1_li.num_vgpr, 20
	.set _ZL41rocblas_syrkx_herkx_small_restrict_kernelIidLi16ELb0ELb0ELc67ELc76EKddEviT_T0_PT6_S1_lS4_S1_lS2_PT7_S1_li.num_agpr, 0
	.set _ZL41rocblas_syrkx_herkx_small_restrict_kernelIidLi16ELb0ELb0ELc67ELc76EKddEviT_T0_PT6_S1_lS4_S1_lS2_PT7_S1_li.numbered_sgpr, 24
	.set _ZL41rocblas_syrkx_herkx_small_restrict_kernelIidLi16ELb0ELb0ELc67ELc76EKddEviT_T0_PT6_S1_lS4_S1_lS2_PT7_S1_li.num_named_barrier, 0
	.set _ZL41rocblas_syrkx_herkx_small_restrict_kernelIidLi16ELb0ELb0ELc67ELc76EKddEviT_T0_PT6_S1_lS4_S1_lS2_PT7_S1_li.private_seg_size, 0
	.set _ZL41rocblas_syrkx_herkx_small_restrict_kernelIidLi16ELb0ELb0ELc67ELc76EKddEviT_T0_PT6_S1_lS4_S1_lS2_PT7_S1_li.uses_vcc, 1
	.set _ZL41rocblas_syrkx_herkx_small_restrict_kernelIidLi16ELb0ELb0ELc67ELc76EKddEviT_T0_PT6_S1_lS4_S1_lS2_PT7_S1_li.uses_flat_scratch, 0
	.set _ZL41rocblas_syrkx_herkx_small_restrict_kernelIidLi16ELb0ELb0ELc67ELc76EKddEviT_T0_PT6_S1_lS4_S1_lS2_PT7_S1_li.has_dyn_sized_stack, 0
	.set _ZL41rocblas_syrkx_herkx_small_restrict_kernelIidLi16ELb0ELb0ELc67ELc76EKddEviT_T0_PT6_S1_lS4_S1_lS2_PT7_S1_li.has_recursion, 0
	.set _ZL41rocblas_syrkx_herkx_small_restrict_kernelIidLi16ELb0ELb0ELc67ELc76EKddEviT_T0_PT6_S1_lS4_S1_lS2_PT7_S1_li.has_indirect_call, 0
	.section	.AMDGPU.csdata,"",@progbits
; Kernel info:
; codeLenInByte = 820
; TotalNumSgprs: 28
; NumVgprs: 20
; ScratchSize: 0
; MemoryBound: 0
; FloatMode: 240
; IeeeMode: 1
; LDSByteSize: 4096 bytes/workgroup (compile time only)
; SGPRBlocks: 3
; VGPRBlocks: 4
; NumSGPRsForWavesPerEU: 28
; NumVGPRsForWavesPerEU: 20
; Occupancy: 10
; WaveLimiterHint : 0
; COMPUTE_PGM_RSRC2:SCRATCH_EN: 0
; COMPUTE_PGM_RSRC2:USER_SGPR: 6
; COMPUTE_PGM_RSRC2:TRAP_HANDLER: 0
; COMPUTE_PGM_RSRC2:TGID_X_EN: 1
; COMPUTE_PGM_RSRC2:TGID_Y_EN: 1
; COMPUTE_PGM_RSRC2:TGID_Z_EN: 1
; COMPUTE_PGM_RSRC2:TIDIG_COMP_CNT: 1
	.section	.text._ZL41rocblas_syrkx_herkx_small_restrict_kernelIidLi16ELb0ELb0ELc78ELc76EKddEviT_T0_PT6_S1_lS4_S1_lS2_PT7_S1_li,"axG",@progbits,_ZL41rocblas_syrkx_herkx_small_restrict_kernelIidLi16ELb0ELb0ELc78ELc76EKddEviT_T0_PT6_S1_lS4_S1_lS2_PT7_S1_li,comdat
	.globl	_ZL41rocblas_syrkx_herkx_small_restrict_kernelIidLi16ELb0ELb0ELc78ELc76EKddEviT_T0_PT6_S1_lS4_S1_lS2_PT7_S1_li ; -- Begin function _ZL41rocblas_syrkx_herkx_small_restrict_kernelIidLi16ELb0ELb0ELc78ELc76EKddEviT_T0_PT6_S1_lS4_S1_lS2_PT7_S1_li
	.p2align	8
	.type	_ZL41rocblas_syrkx_herkx_small_restrict_kernelIidLi16ELb0ELb0ELc78ELc76EKddEviT_T0_PT6_S1_lS4_S1_lS2_PT7_S1_li,@function
_ZL41rocblas_syrkx_herkx_small_restrict_kernelIidLi16ELb0ELb0ELc78ELc76EKddEviT_T0_PT6_S1_lS4_S1_lS2_PT7_S1_li: ; @_ZL41rocblas_syrkx_herkx_small_restrict_kernelIidLi16ELb0ELb0ELc78ELc76EKddEviT_T0_PT6_S1_lS4_S1_lS2_PT7_S1_li
; %bb.0:
	s_load_dword s9, s[4:5], 0x4
	s_load_dwordx4 s[12:15], s[4:5], 0x8
	s_load_dwordx4 s[0:3], s[4:5], 0x38
	s_load_dwordx2 s[10:11], s[4:5], 0x48
	v_lshl_add_u32 v2, s6, 4, v0
	s_mov_b32 s20, 0
	v_lshl_add_u32 v4, s7, 4, v1
	s_waitcnt lgkmcnt(0)
	s_cmp_lt_i32 s9, 1
	v_ashrrev_i32_e32 v3, 31, v2
	s_cbranch_scc1 .LBB123_6
; %bb.1:
	s_load_dword s22, s[4:5], 0x18
	s_load_dword s6, s[4:5], 0x30
	s_load_dwordx4 s[16:19], s[4:5], 0x20
	v_lshlrev_b32_e32 v6, 7, v1
	v_lshlrev_b32_e32 v9, 3, v0
	v_add_u32_e32 v10, v9, v6
	v_add_u32_e32 v11, 0x800, v6
	s_waitcnt lgkmcnt(0)
	v_mad_i64_i32 v[6:7], s[24:25], s6, v0, 0
	s_mul_i32 s1, s1, s8
	s_mul_hi_u32 s21, s0, s8
	s_add_i32 s1, s21, s1
	s_mul_i32 s0, s0, s8
	v_lshlrev_b64 v[6:7], 3, v[6:7]
	v_ashrrev_i32_e32 v5, 31, v4
	s_lshl_b64 s[0:1], s[0:1], 3
	v_mov_b32_e32 v0, s1
	v_add_co_u32_e32 v8, vcc, s0, v6
	v_lshlrev_b64 v[5:6], 3, v[4:5]
	v_addc_co_u32_e32 v0, vcc, v0, v7, vcc
	v_add_co_u32_e32 v5, vcc, v8, v5
	v_addc_co_u32_e32 v0, vcc, v0, v6, vcc
	v_mov_b32_e32 v6, s19
	v_add_co_u32_e32 v5, vcc, s18, v5
	v_addc_co_u32_e32 v6, vcc, v6, v0, vcc
	v_mad_i64_i32 v[0:1], s[0:1], s22, v1, 0
	s_mul_i32 s17, s17, s8
	s_mul_hi_u32 s18, s16, s8
	s_add_i32 s1, s18, s17
	s_mul_i32 s0, s16, s8
	v_lshlrev_b64 v[0:1], 3, v[0:1]
	s_lshl_b64 s[0:1], s[0:1], 3
	v_mov_b32_e32 v7, s1
	v_add_co_u32_e32 v8, vcc, s0, v0
	v_addc_co_u32_e32 v7, vcc, v7, v1, vcc
	v_lshlrev_b64 v[0:1], 3, v[2:3]
	s_ashr_i32 s23, s22, 31
	v_add_co_u32_e32 v0, vcc, v8, v0
	v_addc_co_u32_e32 v1, vcc, v7, v1, vcc
	s_ashr_i32 s7, s6, 31
	v_mov_b32_e32 v7, s15
	v_add_co_u32_e32 v0, vcc, s14, v0
	s_lshl_b64 s[6:7], s[6:7], 7
	v_addc_co_u32_e32 v1, vcc, v7, v1, vcc
	s_lshl_b64 s[14:15], s[22:23], 7
	v_mov_b32_e32 v7, 0
	v_mov_b32_e32 v8, 0
	;; [unrolled: 1-line block ×4, first 2 shown]
.LBB123_2:                              ; =>This Inner Loop Header: Depth=1
	global_load_dwordx2 v[14:15], v[0:1], off
	global_load_dwordx2 v[16:17], v[5:6], off
	s_add_i32 s20, s20, 16
	v_add_co_u32_e32 v5, vcc, s6, v5
	v_add_co_u32_e64 v0, s[0:1], s14, v0
	v_addc_co_u32_e32 v6, vcc, v6, v12, vcc
	v_addc_co_u32_e64 v1, vcc, v1, v13, s[0:1]
	s_cmp_lt_i32 s20, s9
	s_waitcnt vmcnt(1)
	ds_write_b64 v10, v[14:15]
	v_add_u32_e32 v14, v11, v9
	s_waitcnt vmcnt(0)
	ds_write_b64 v14, v[16:17]
	s_waitcnt lgkmcnt(0)
	s_barrier
	ds_read2_b64 v[14:17], v9 offset1:16
	ds_read_b128 v[18:21], v11
	s_waitcnt lgkmcnt(0)
	v_fma_f64 v[7:8], v[14:15], v[18:19], v[7:8]
	v_fma_f64 v[7:8], v[16:17], v[20:21], v[7:8]
	ds_read_b128 v[14:17], v11 offset:16
	ds_read2_b64 v[18:21], v9 offset0:32 offset1:48
	s_waitcnt lgkmcnt(0)
	v_fma_f64 v[7:8], v[18:19], v[14:15], v[7:8]
	v_fma_f64 v[7:8], v[20:21], v[16:17], v[7:8]
	ds_read2_b64 v[14:17], v9 offset0:64 offset1:80
	ds_read_b128 v[18:21], v11 offset:32
	s_waitcnt lgkmcnt(0)
	v_fma_f64 v[7:8], v[14:15], v[18:19], v[7:8]
	v_fma_f64 v[7:8], v[16:17], v[20:21], v[7:8]
	ds_read_b128 v[14:17], v11 offset:48
	ds_read2_b64 v[18:21], v9 offset0:96 offset1:112
	s_waitcnt lgkmcnt(0)
	v_fma_f64 v[7:8], v[18:19], v[14:15], v[7:8]
	v_fma_f64 v[7:8], v[20:21], v[16:17], v[7:8]
	ds_read2_b64 v[14:17], v9 offset0:128 offset1:144
	ds_read_b128 v[18:21], v11 offset:64
	;; [unrolled: 10-line block ×3, first 2 shown]
	s_waitcnt lgkmcnt(0)
	v_fma_f64 v[7:8], v[14:15], v[18:19], v[7:8]
	v_fma_f64 v[7:8], v[16:17], v[20:21], v[7:8]
	ds_read_b128 v[14:17], v11 offset:112
	ds_read2_b64 v[18:21], v9 offset0:224 offset1:240
	s_waitcnt lgkmcnt(0)
	s_barrier
	v_fma_f64 v[7:8], v[18:19], v[14:15], v[7:8]
	v_fma_f64 v[7:8], v[20:21], v[16:17], v[7:8]
	s_cbranch_scc1 .LBB123_2
; %bb.3:
	v_cmp_le_i32_e32 vcc, v4, v2
	s_and_saveexec_b64 s[0:1], vcc
	s_cbranch_execz .LBB123_5
.LBB123_4:
	s_load_dwordx2 s[0:1], s[4:5], 0x58
	s_load_dword s6, s[4:5], 0x50
	s_waitcnt lgkmcnt(0)
	s_mul_i32 s1, s1, s8
	s_mul_hi_u32 s4, s0, s8
	s_add_i32 s1, s4, s1
	v_mad_i64_i32 v[0:1], s[4:5], s6, v4, 0
	s_mul_i32 s0, s0, s8
	s_lshl_b64 s[0:1], s[0:1], 3
	s_add_u32 s0, s10, s0
	v_lshlrev_b64 v[0:1], 3, v[0:1]
	s_addc_u32 s1, s11, s1
	v_mov_b32_e32 v4, s1
	v_add_co_u32_e32 v5, vcc, s0, v0
	v_addc_co_u32_e32 v4, vcc, v4, v1, vcc
	v_lshlrev_b64 v[0:1], 3, v[2:3]
	v_add_co_u32_e32 v0, vcc, v5, v0
	v_addc_co_u32_e32 v1, vcc, v4, v1, vcc
	global_load_dwordx2 v[2:3], v[0:1], off
	s_waitcnt vmcnt(0)
	v_mul_f64 v[2:3], s[2:3], v[2:3]
	v_fma_f64 v[2:3], s[12:13], v[7:8], v[2:3]
	global_store_dwordx2 v[0:1], v[2:3], off
.LBB123_5:
	s_endpgm
.LBB123_6:
	v_mov_b32_e32 v7, 0
	v_mov_b32_e32 v8, 0
	v_cmp_le_i32_e32 vcc, v4, v2
	s_and_saveexec_b64 s[0:1], vcc
	s_cbranch_execnz .LBB123_4
	s_branch .LBB123_5
	.section	.rodata,"a",@progbits
	.p2align	6, 0x0
	.amdhsa_kernel _ZL41rocblas_syrkx_herkx_small_restrict_kernelIidLi16ELb0ELb0ELc78ELc76EKddEviT_T0_PT6_S1_lS4_S1_lS2_PT7_S1_li
		.amdhsa_group_segment_fixed_size 4096
		.amdhsa_private_segment_fixed_size 0
		.amdhsa_kernarg_size 100
		.amdhsa_user_sgpr_count 6
		.amdhsa_user_sgpr_private_segment_buffer 1
		.amdhsa_user_sgpr_dispatch_ptr 0
		.amdhsa_user_sgpr_queue_ptr 0
		.amdhsa_user_sgpr_kernarg_segment_ptr 1
		.amdhsa_user_sgpr_dispatch_id 0
		.amdhsa_user_sgpr_flat_scratch_init 0
		.amdhsa_user_sgpr_private_segment_size 0
		.amdhsa_uses_dynamic_stack 0
		.amdhsa_system_sgpr_private_segment_wavefront_offset 0
		.amdhsa_system_sgpr_workgroup_id_x 1
		.amdhsa_system_sgpr_workgroup_id_y 1
		.amdhsa_system_sgpr_workgroup_id_z 1
		.amdhsa_system_sgpr_workgroup_info 0
		.amdhsa_system_vgpr_workitem_id 1
		.amdhsa_next_free_vgpr 22
		.amdhsa_next_free_sgpr 26
		.amdhsa_reserve_vcc 1
		.amdhsa_reserve_flat_scratch 0
		.amdhsa_float_round_mode_32 0
		.amdhsa_float_round_mode_16_64 0
		.amdhsa_float_denorm_mode_32 3
		.amdhsa_float_denorm_mode_16_64 3
		.amdhsa_dx10_clamp 1
		.amdhsa_ieee_mode 1
		.amdhsa_fp16_overflow 0
		.amdhsa_exception_fp_ieee_invalid_op 0
		.amdhsa_exception_fp_denorm_src 0
		.amdhsa_exception_fp_ieee_div_zero 0
		.amdhsa_exception_fp_ieee_overflow 0
		.amdhsa_exception_fp_ieee_underflow 0
		.amdhsa_exception_fp_ieee_inexact 0
		.amdhsa_exception_int_div_zero 0
	.end_amdhsa_kernel
	.section	.text._ZL41rocblas_syrkx_herkx_small_restrict_kernelIidLi16ELb0ELb0ELc78ELc76EKddEviT_T0_PT6_S1_lS4_S1_lS2_PT7_S1_li,"axG",@progbits,_ZL41rocblas_syrkx_herkx_small_restrict_kernelIidLi16ELb0ELb0ELc78ELc76EKddEviT_T0_PT6_S1_lS4_S1_lS2_PT7_S1_li,comdat
.Lfunc_end123:
	.size	_ZL41rocblas_syrkx_herkx_small_restrict_kernelIidLi16ELb0ELb0ELc78ELc76EKddEviT_T0_PT6_S1_lS4_S1_lS2_PT7_S1_li, .Lfunc_end123-_ZL41rocblas_syrkx_herkx_small_restrict_kernelIidLi16ELb0ELb0ELc78ELc76EKddEviT_T0_PT6_S1_lS4_S1_lS2_PT7_S1_li
                                        ; -- End function
	.set _ZL41rocblas_syrkx_herkx_small_restrict_kernelIidLi16ELb0ELb0ELc78ELc76EKddEviT_T0_PT6_S1_lS4_S1_lS2_PT7_S1_li.num_vgpr, 22
	.set _ZL41rocblas_syrkx_herkx_small_restrict_kernelIidLi16ELb0ELb0ELc78ELc76EKddEviT_T0_PT6_S1_lS4_S1_lS2_PT7_S1_li.num_agpr, 0
	.set _ZL41rocblas_syrkx_herkx_small_restrict_kernelIidLi16ELb0ELb0ELc78ELc76EKddEviT_T0_PT6_S1_lS4_S1_lS2_PT7_S1_li.numbered_sgpr, 26
	.set _ZL41rocblas_syrkx_herkx_small_restrict_kernelIidLi16ELb0ELb0ELc78ELc76EKddEviT_T0_PT6_S1_lS4_S1_lS2_PT7_S1_li.num_named_barrier, 0
	.set _ZL41rocblas_syrkx_herkx_small_restrict_kernelIidLi16ELb0ELb0ELc78ELc76EKddEviT_T0_PT6_S1_lS4_S1_lS2_PT7_S1_li.private_seg_size, 0
	.set _ZL41rocblas_syrkx_herkx_small_restrict_kernelIidLi16ELb0ELb0ELc78ELc76EKddEviT_T0_PT6_S1_lS4_S1_lS2_PT7_S1_li.uses_vcc, 1
	.set _ZL41rocblas_syrkx_herkx_small_restrict_kernelIidLi16ELb0ELb0ELc78ELc76EKddEviT_T0_PT6_S1_lS4_S1_lS2_PT7_S1_li.uses_flat_scratch, 0
	.set _ZL41rocblas_syrkx_herkx_small_restrict_kernelIidLi16ELb0ELb0ELc78ELc76EKddEviT_T0_PT6_S1_lS4_S1_lS2_PT7_S1_li.has_dyn_sized_stack, 0
	.set _ZL41rocblas_syrkx_herkx_small_restrict_kernelIidLi16ELb0ELb0ELc78ELc76EKddEviT_T0_PT6_S1_lS4_S1_lS2_PT7_S1_li.has_recursion, 0
	.set _ZL41rocblas_syrkx_herkx_small_restrict_kernelIidLi16ELb0ELb0ELc78ELc76EKddEviT_T0_PT6_S1_lS4_S1_lS2_PT7_S1_li.has_indirect_call, 0
	.section	.AMDGPU.csdata,"",@progbits
; Kernel info:
; codeLenInByte = 852
; TotalNumSgprs: 30
; NumVgprs: 22
; ScratchSize: 0
; MemoryBound: 0
; FloatMode: 240
; IeeeMode: 1
; LDSByteSize: 4096 bytes/workgroup (compile time only)
; SGPRBlocks: 3
; VGPRBlocks: 5
; NumSGPRsForWavesPerEU: 30
; NumVGPRsForWavesPerEU: 22
; Occupancy: 10
; WaveLimiterHint : 0
; COMPUTE_PGM_RSRC2:SCRATCH_EN: 0
; COMPUTE_PGM_RSRC2:USER_SGPR: 6
; COMPUTE_PGM_RSRC2:TRAP_HANDLER: 0
; COMPUTE_PGM_RSRC2:TGID_X_EN: 1
; COMPUTE_PGM_RSRC2:TGID_Y_EN: 1
; COMPUTE_PGM_RSRC2:TGID_Z_EN: 1
; COMPUTE_PGM_RSRC2:TIDIG_COMP_CNT: 1
	.section	.text._ZL41rocblas_syrkx_herkx_small_restrict_kernelIidLi16ELb0ELb0ELc84ELc85EKddEviT_T0_PT6_S1_lS4_S1_lS2_PT7_S1_li,"axG",@progbits,_ZL41rocblas_syrkx_herkx_small_restrict_kernelIidLi16ELb0ELb0ELc84ELc85EKddEviT_T0_PT6_S1_lS4_S1_lS2_PT7_S1_li,comdat
	.globl	_ZL41rocblas_syrkx_herkx_small_restrict_kernelIidLi16ELb0ELb0ELc84ELc85EKddEviT_T0_PT6_S1_lS4_S1_lS2_PT7_S1_li ; -- Begin function _ZL41rocblas_syrkx_herkx_small_restrict_kernelIidLi16ELb0ELb0ELc84ELc85EKddEviT_T0_PT6_S1_lS4_S1_lS2_PT7_S1_li
	.p2align	8
	.type	_ZL41rocblas_syrkx_herkx_small_restrict_kernelIidLi16ELb0ELb0ELc84ELc85EKddEviT_T0_PT6_S1_lS4_S1_lS2_PT7_S1_li,@function
_ZL41rocblas_syrkx_herkx_small_restrict_kernelIidLi16ELb0ELb0ELc84ELc85EKddEviT_T0_PT6_S1_lS4_S1_lS2_PT7_S1_li: ; @_ZL41rocblas_syrkx_herkx_small_restrict_kernelIidLi16ELb0ELb0ELc84ELc85EKddEviT_T0_PT6_S1_lS4_S1_lS2_PT7_S1_li
; %bb.0:
	s_load_dword s9, s[4:5], 0x4
	s_load_dwordx4 s[12:15], s[4:5], 0x8
	s_load_dwordx4 s[0:3], s[4:5], 0x38
	s_load_dwordx2 s[10:11], s[4:5], 0x48
	s_mov_b32 s16, 0
	v_lshl_add_u32 v2, s6, 4, v0
	s_waitcnt lgkmcnt(0)
	s_cmp_lt_i32 s9, 1
	v_lshl_add_u32 v7, s7, 4, v1
	s_cbranch_scc1 .LBB124_6
; %bb.1:
	s_load_dword s17, s[4:5], 0x18
	s_load_dword s6, s[4:5], 0x30
	s_load_dwordx4 s[20:23], s[4:5], 0x20
	s_mul_i32 s1, s1, s8
	v_lshlrev_b32_e32 v5, 7, v1
	v_lshlrev_b32_e32 v8, 3, v0
	s_waitcnt lgkmcnt(0)
	v_mad_i64_i32 v[3:4], s[6:7], s6, v7, 0
	s_mul_hi_u32 s6, s0, s8
	s_add_i32 s1, s6, s1
	v_lshlrev_b64 v[3:4], 3, v[3:4]
	s_mul_i32 s0, s0, s8
	s_lshl_b64 s[0:1], s[0:1], 3
	v_add_u32_e32 v9, v8, v5
	v_add_u32_e32 v10, 0x800, v5
	v_mov_b32_e32 v0, s1
	v_add_co_u32_e32 v3, vcc, s0, v3
	v_mad_i64_i32 v[5:6], s[0:1], s17, v2, 0
	v_addc_co_u32_e32 v0, vcc, v4, v0, vcc
	v_add_co_u32_e32 v3, vcc, v3, v8
	v_addc_co_u32_e32 v0, vcc, 0, v0, vcc
	s_mul_i32 s0, s21, s8
	s_mul_hi_u32 s1, s20, s8
	v_mov_b32_e32 v4, s23
	v_add_co_u32_e32 v3, vcc, s22, v3
	v_lshlrev_b64 v[5:6], 3, v[5:6]
	s_add_i32 s1, s1, s0
	s_mul_i32 s0, s20, s8
	v_addc_co_u32_e32 v4, vcc, v4, v0, vcc
	s_lshl_b64 s[0:1], s[0:1], 3
	v_mov_b32_e32 v0, s1
	v_add_co_u32_e32 v5, vcc, s0, v5
	v_addc_co_u32_e32 v0, vcc, v6, v0, vcc
	v_lshlrev_b32_e32 v1, 3, v1
	v_add_co_u32_e32 v1, vcc, v5, v1
	v_addc_co_u32_e32 v12, vcc, 0, v0, vcc
	v_mov_b32_e32 v13, s15
	v_mov_b32_e32 v5, 0
	v_add_co_u32_e32 v0, vcc, s14, v1
	v_add_u32_e32 v11, v10, v8
	v_mov_b32_e32 v6, 0
	v_addc_co_u32_e32 v1, vcc, v13, v12, vcc
.LBB124_2:                              ; =>This Inner Loop Header: Depth=1
	global_load_dwordx2 v[12:13], v[0:1], off
	s_add_i32 s16, s16, 16
	s_cmp_lt_i32 s16, s9
	s_waitcnt vmcnt(0)
	ds_write_b64 v9, v[12:13]
	global_load_dwordx2 v[12:13], v[3:4], off
	v_add_co_u32_e32 v3, vcc, 0x80, v3
	s_mov_b64 s[0:1], vcc
	v_add_co_u32_e32 v0, vcc, 0x80, v0
	v_addc_co_u32_e64 v4, s[0:1], 0, v4, s[0:1]
	v_addc_co_u32_e32 v1, vcc, 0, v1, vcc
	s_waitcnt vmcnt(0)
	ds_write_b64 v11, v[12:13]
	s_waitcnt lgkmcnt(0)
	s_barrier
	ds_read2_b64 v[12:15], v8 offset1:16
	ds_read_b128 v[16:19], v10
	s_waitcnt lgkmcnt(0)
	v_fma_f64 v[5:6], v[12:13], v[16:17], v[5:6]
	v_fma_f64 v[5:6], v[14:15], v[18:19], v[5:6]
	ds_read_b128 v[12:15], v10 offset:16
	ds_read2_b64 v[16:19], v8 offset0:32 offset1:48
	s_waitcnt lgkmcnt(0)
	v_fma_f64 v[5:6], v[16:17], v[12:13], v[5:6]
	v_fma_f64 v[5:6], v[18:19], v[14:15], v[5:6]
	ds_read2_b64 v[12:15], v8 offset0:64 offset1:80
	ds_read_b128 v[16:19], v10 offset:32
	s_waitcnt lgkmcnt(0)
	v_fma_f64 v[5:6], v[12:13], v[16:17], v[5:6]
	v_fma_f64 v[5:6], v[14:15], v[18:19], v[5:6]
	ds_read_b128 v[12:15], v10 offset:48
	ds_read2_b64 v[16:19], v8 offset0:96 offset1:112
	s_waitcnt lgkmcnt(0)
	v_fma_f64 v[5:6], v[16:17], v[12:13], v[5:6]
	v_fma_f64 v[5:6], v[18:19], v[14:15], v[5:6]
	ds_read2_b64 v[12:15], v8 offset0:128 offset1:144
	ds_read_b128 v[16:19], v10 offset:64
	;; [unrolled: 10-line block ×3, first 2 shown]
	s_waitcnt lgkmcnt(0)
	v_fma_f64 v[5:6], v[12:13], v[16:17], v[5:6]
	v_fma_f64 v[5:6], v[14:15], v[18:19], v[5:6]
	ds_read_b128 v[12:15], v10 offset:112
	ds_read2_b64 v[16:19], v8 offset0:224 offset1:240
	s_waitcnt lgkmcnt(0)
	s_barrier
	v_fma_f64 v[5:6], v[16:17], v[12:13], v[5:6]
	v_fma_f64 v[5:6], v[18:19], v[14:15], v[5:6]
	s_cbranch_scc1 .LBB124_2
; %bb.3:
	v_cmp_le_i32_e32 vcc, v2, v7
	s_and_saveexec_b64 s[0:1], vcc
	s_cbranch_execz .LBB124_5
.LBB124_4:
	s_load_dwordx2 s[0:1], s[4:5], 0x58
	s_load_dword s6, s[4:5], 0x50
	v_ashrrev_i32_e32 v3, 31, v2
	s_waitcnt lgkmcnt(0)
	s_mul_i32 s1, s1, s8
	s_mul_hi_u32 s4, s0, s8
	s_add_i32 s1, s4, s1
	v_mad_i64_i32 v[0:1], s[4:5], s6, v7, 0
	s_mul_i32 s0, s0, s8
	s_lshl_b64 s[0:1], s[0:1], 3
	s_add_u32 s0, s10, s0
	v_lshlrev_b64 v[0:1], 3, v[0:1]
	s_addc_u32 s1, s11, s1
	v_mov_b32_e32 v4, s1
	v_add_co_u32_e32 v7, vcc, s0, v0
	v_addc_co_u32_e32 v4, vcc, v4, v1, vcc
	v_lshlrev_b64 v[0:1], 3, v[2:3]
	v_add_co_u32_e32 v0, vcc, v7, v0
	v_addc_co_u32_e32 v1, vcc, v4, v1, vcc
	global_load_dwordx2 v[2:3], v[0:1], off
	s_waitcnt vmcnt(0)
	v_mul_f64 v[2:3], s[2:3], v[2:3]
	v_fma_f64 v[2:3], s[12:13], v[5:6], v[2:3]
	global_store_dwordx2 v[0:1], v[2:3], off
.LBB124_5:
	s_endpgm
.LBB124_6:
	v_mov_b32_e32 v5, 0
	v_mov_b32_e32 v6, 0
	v_cmp_le_i32_e32 vcc, v2, v7
	s_and_saveexec_b64 s[0:1], vcc
	s_cbranch_execnz .LBB124_4
	s_branch .LBB124_5
	.section	.rodata,"a",@progbits
	.p2align	6, 0x0
	.amdhsa_kernel _ZL41rocblas_syrkx_herkx_small_restrict_kernelIidLi16ELb0ELb0ELc84ELc85EKddEviT_T0_PT6_S1_lS4_S1_lS2_PT7_S1_li
		.amdhsa_group_segment_fixed_size 4096
		.amdhsa_private_segment_fixed_size 0
		.amdhsa_kernarg_size 100
		.amdhsa_user_sgpr_count 6
		.amdhsa_user_sgpr_private_segment_buffer 1
		.amdhsa_user_sgpr_dispatch_ptr 0
		.amdhsa_user_sgpr_queue_ptr 0
		.amdhsa_user_sgpr_kernarg_segment_ptr 1
		.amdhsa_user_sgpr_dispatch_id 0
		.amdhsa_user_sgpr_flat_scratch_init 0
		.amdhsa_user_sgpr_private_segment_size 0
		.amdhsa_uses_dynamic_stack 0
		.amdhsa_system_sgpr_private_segment_wavefront_offset 0
		.amdhsa_system_sgpr_workgroup_id_x 1
		.amdhsa_system_sgpr_workgroup_id_y 1
		.amdhsa_system_sgpr_workgroup_id_z 1
		.amdhsa_system_sgpr_workgroup_info 0
		.amdhsa_system_vgpr_workitem_id 1
		.amdhsa_next_free_vgpr 20
		.amdhsa_next_free_sgpr 24
		.amdhsa_reserve_vcc 1
		.amdhsa_reserve_flat_scratch 0
		.amdhsa_float_round_mode_32 0
		.amdhsa_float_round_mode_16_64 0
		.amdhsa_float_denorm_mode_32 3
		.amdhsa_float_denorm_mode_16_64 3
		.amdhsa_dx10_clamp 1
		.amdhsa_ieee_mode 1
		.amdhsa_fp16_overflow 0
		.amdhsa_exception_fp_ieee_invalid_op 0
		.amdhsa_exception_fp_denorm_src 0
		.amdhsa_exception_fp_ieee_div_zero 0
		.amdhsa_exception_fp_ieee_overflow 0
		.amdhsa_exception_fp_ieee_underflow 0
		.amdhsa_exception_fp_ieee_inexact 0
		.amdhsa_exception_int_div_zero 0
	.end_amdhsa_kernel
	.section	.text._ZL41rocblas_syrkx_herkx_small_restrict_kernelIidLi16ELb0ELb0ELc84ELc85EKddEviT_T0_PT6_S1_lS4_S1_lS2_PT7_S1_li,"axG",@progbits,_ZL41rocblas_syrkx_herkx_small_restrict_kernelIidLi16ELb0ELb0ELc84ELc85EKddEviT_T0_PT6_S1_lS4_S1_lS2_PT7_S1_li,comdat
.Lfunc_end124:
	.size	_ZL41rocblas_syrkx_herkx_small_restrict_kernelIidLi16ELb0ELb0ELc84ELc85EKddEviT_T0_PT6_S1_lS4_S1_lS2_PT7_S1_li, .Lfunc_end124-_ZL41rocblas_syrkx_herkx_small_restrict_kernelIidLi16ELb0ELb0ELc84ELc85EKddEviT_T0_PT6_S1_lS4_S1_lS2_PT7_S1_li
                                        ; -- End function
	.set _ZL41rocblas_syrkx_herkx_small_restrict_kernelIidLi16ELb0ELb0ELc84ELc85EKddEviT_T0_PT6_S1_lS4_S1_lS2_PT7_S1_li.num_vgpr, 20
	.set _ZL41rocblas_syrkx_herkx_small_restrict_kernelIidLi16ELb0ELb0ELc84ELc85EKddEviT_T0_PT6_S1_lS4_S1_lS2_PT7_S1_li.num_agpr, 0
	.set _ZL41rocblas_syrkx_herkx_small_restrict_kernelIidLi16ELb0ELb0ELc84ELc85EKddEviT_T0_PT6_S1_lS4_S1_lS2_PT7_S1_li.numbered_sgpr, 24
	.set _ZL41rocblas_syrkx_herkx_small_restrict_kernelIidLi16ELb0ELb0ELc84ELc85EKddEviT_T0_PT6_S1_lS4_S1_lS2_PT7_S1_li.num_named_barrier, 0
	.set _ZL41rocblas_syrkx_herkx_small_restrict_kernelIidLi16ELb0ELb0ELc84ELc85EKddEviT_T0_PT6_S1_lS4_S1_lS2_PT7_S1_li.private_seg_size, 0
	.set _ZL41rocblas_syrkx_herkx_small_restrict_kernelIidLi16ELb0ELb0ELc84ELc85EKddEviT_T0_PT6_S1_lS4_S1_lS2_PT7_S1_li.uses_vcc, 1
	.set _ZL41rocblas_syrkx_herkx_small_restrict_kernelIidLi16ELb0ELb0ELc84ELc85EKddEviT_T0_PT6_S1_lS4_S1_lS2_PT7_S1_li.uses_flat_scratch, 0
	.set _ZL41rocblas_syrkx_herkx_small_restrict_kernelIidLi16ELb0ELb0ELc84ELc85EKddEviT_T0_PT6_S1_lS4_S1_lS2_PT7_S1_li.has_dyn_sized_stack, 0
	.set _ZL41rocblas_syrkx_herkx_small_restrict_kernelIidLi16ELb0ELb0ELc84ELc85EKddEviT_T0_PT6_S1_lS4_S1_lS2_PT7_S1_li.has_recursion, 0
	.set _ZL41rocblas_syrkx_herkx_small_restrict_kernelIidLi16ELb0ELb0ELc84ELc85EKddEviT_T0_PT6_S1_lS4_S1_lS2_PT7_S1_li.has_indirect_call, 0
	.section	.AMDGPU.csdata,"",@progbits
; Kernel info:
; codeLenInByte = 820
; TotalNumSgprs: 28
; NumVgprs: 20
; ScratchSize: 0
; MemoryBound: 0
; FloatMode: 240
; IeeeMode: 1
; LDSByteSize: 4096 bytes/workgroup (compile time only)
; SGPRBlocks: 3
; VGPRBlocks: 4
; NumSGPRsForWavesPerEU: 28
; NumVGPRsForWavesPerEU: 20
; Occupancy: 10
; WaveLimiterHint : 0
; COMPUTE_PGM_RSRC2:SCRATCH_EN: 0
; COMPUTE_PGM_RSRC2:USER_SGPR: 6
; COMPUTE_PGM_RSRC2:TRAP_HANDLER: 0
; COMPUTE_PGM_RSRC2:TGID_X_EN: 1
; COMPUTE_PGM_RSRC2:TGID_Y_EN: 1
; COMPUTE_PGM_RSRC2:TGID_Z_EN: 1
; COMPUTE_PGM_RSRC2:TIDIG_COMP_CNT: 1
	.section	.text._ZL41rocblas_syrkx_herkx_small_restrict_kernelIidLi16ELb0ELb0ELc67ELc85EKddEviT_T0_PT6_S1_lS4_S1_lS2_PT7_S1_li,"axG",@progbits,_ZL41rocblas_syrkx_herkx_small_restrict_kernelIidLi16ELb0ELb0ELc67ELc85EKddEviT_T0_PT6_S1_lS4_S1_lS2_PT7_S1_li,comdat
	.globl	_ZL41rocblas_syrkx_herkx_small_restrict_kernelIidLi16ELb0ELb0ELc67ELc85EKddEviT_T0_PT6_S1_lS4_S1_lS2_PT7_S1_li ; -- Begin function _ZL41rocblas_syrkx_herkx_small_restrict_kernelIidLi16ELb0ELb0ELc67ELc85EKddEviT_T0_PT6_S1_lS4_S1_lS2_PT7_S1_li
	.p2align	8
	.type	_ZL41rocblas_syrkx_herkx_small_restrict_kernelIidLi16ELb0ELb0ELc67ELc85EKddEviT_T0_PT6_S1_lS4_S1_lS2_PT7_S1_li,@function
_ZL41rocblas_syrkx_herkx_small_restrict_kernelIidLi16ELb0ELb0ELc67ELc85EKddEviT_T0_PT6_S1_lS4_S1_lS2_PT7_S1_li: ; @_ZL41rocblas_syrkx_herkx_small_restrict_kernelIidLi16ELb0ELb0ELc67ELc85EKddEviT_T0_PT6_S1_lS4_S1_lS2_PT7_S1_li
; %bb.0:
	s_load_dword s9, s[4:5], 0x4
	s_load_dwordx4 s[12:15], s[4:5], 0x8
	s_load_dwordx4 s[0:3], s[4:5], 0x38
	s_load_dwordx2 s[10:11], s[4:5], 0x48
	s_mov_b32 s16, 0
	v_lshl_add_u32 v2, s6, 4, v0
	s_waitcnt lgkmcnt(0)
	s_cmp_lt_i32 s9, 1
	v_lshl_add_u32 v7, s7, 4, v1
	s_cbranch_scc1 .LBB125_6
; %bb.1:
	s_load_dword s17, s[4:5], 0x18
	s_load_dword s6, s[4:5], 0x30
	s_load_dwordx4 s[20:23], s[4:5], 0x20
	s_mul_i32 s1, s1, s8
	v_lshlrev_b32_e32 v5, 7, v1
	v_lshlrev_b32_e32 v8, 3, v0
	s_waitcnt lgkmcnt(0)
	v_mad_i64_i32 v[3:4], s[6:7], s6, v7, 0
	s_mul_hi_u32 s6, s0, s8
	s_add_i32 s1, s6, s1
	v_lshlrev_b64 v[3:4], 3, v[3:4]
	s_mul_i32 s0, s0, s8
	s_lshl_b64 s[0:1], s[0:1], 3
	v_add_u32_e32 v9, v8, v5
	v_add_u32_e32 v10, 0x800, v5
	v_mov_b32_e32 v0, s1
	v_add_co_u32_e32 v3, vcc, s0, v3
	v_mad_i64_i32 v[5:6], s[0:1], s17, v2, 0
	v_addc_co_u32_e32 v0, vcc, v4, v0, vcc
	v_add_co_u32_e32 v3, vcc, v3, v8
	v_addc_co_u32_e32 v0, vcc, 0, v0, vcc
	s_mul_i32 s0, s21, s8
	s_mul_hi_u32 s1, s20, s8
	v_mov_b32_e32 v4, s23
	v_add_co_u32_e32 v3, vcc, s22, v3
	v_lshlrev_b64 v[5:6], 3, v[5:6]
	s_add_i32 s1, s1, s0
	s_mul_i32 s0, s20, s8
	v_addc_co_u32_e32 v4, vcc, v4, v0, vcc
	s_lshl_b64 s[0:1], s[0:1], 3
	v_mov_b32_e32 v0, s1
	v_add_co_u32_e32 v5, vcc, s0, v5
	v_addc_co_u32_e32 v0, vcc, v6, v0, vcc
	v_lshlrev_b32_e32 v1, 3, v1
	v_add_co_u32_e32 v1, vcc, v5, v1
	v_addc_co_u32_e32 v12, vcc, 0, v0, vcc
	v_mov_b32_e32 v13, s15
	v_mov_b32_e32 v5, 0
	v_add_co_u32_e32 v0, vcc, s14, v1
	v_add_u32_e32 v11, v10, v8
	v_mov_b32_e32 v6, 0
	v_addc_co_u32_e32 v1, vcc, v13, v12, vcc
.LBB125_2:                              ; =>This Inner Loop Header: Depth=1
	global_load_dwordx2 v[12:13], v[0:1], off
	s_add_i32 s16, s16, 16
	s_cmp_lt_i32 s16, s9
	s_waitcnt vmcnt(0)
	ds_write_b64 v9, v[12:13]
	global_load_dwordx2 v[12:13], v[3:4], off
	v_add_co_u32_e32 v3, vcc, 0x80, v3
	s_mov_b64 s[0:1], vcc
	v_add_co_u32_e32 v0, vcc, 0x80, v0
	v_addc_co_u32_e64 v4, s[0:1], 0, v4, s[0:1]
	v_addc_co_u32_e32 v1, vcc, 0, v1, vcc
	s_waitcnt vmcnt(0)
	ds_write_b64 v11, v[12:13]
	s_waitcnt lgkmcnt(0)
	s_barrier
	ds_read2_b64 v[12:15], v8 offset1:16
	ds_read_b128 v[16:19], v10
	s_waitcnt lgkmcnt(0)
	v_fma_f64 v[5:6], v[12:13], v[16:17], v[5:6]
	v_fma_f64 v[5:6], v[14:15], v[18:19], v[5:6]
	ds_read_b128 v[12:15], v10 offset:16
	ds_read2_b64 v[16:19], v8 offset0:32 offset1:48
	s_waitcnt lgkmcnt(0)
	v_fma_f64 v[5:6], v[16:17], v[12:13], v[5:6]
	v_fma_f64 v[5:6], v[18:19], v[14:15], v[5:6]
	ds_read2_b64 v[12:15], v8 offset0:64 offset1:80
	ds_read_b128 v[16:19], v10 offset:32
	s_waitcnt lgkmcnt(0)
	v_fma_f64 v[5:6], v[12:13], v[16:17], v[5:6]
	v_fma_f64 v[5:6], v[14:15], v[18:19], v[5:6]
	ds_read_b128 v[12:15], v10 offset:48
	ds_read2_b64 v[16:19], v8 offset0:96 offset1:112
	s_waitcnt lgkmcnt(0)
	v_fma_f64 v[5:6], v[16:17], v[12:13], v[5:6]
	v_fma_f64 v[5:6], v[18:19], v[14:15], v[5:6]
	ds_read2_b64 v[12:15], v8 offset0:128 offset1:144
	ds_read_b128 v[16:19], v10 offset:64
	;; [unrolled: 10-line block ×3, first 2 shown]
	s_waitcnt lgkmcnt(0)
	v_fma_f64 v[5:6], v[12:13], v[16:17], v[5:6]
	v_fma_f64 v[5:6], v[14:15], v[18:19], v[5:6]
	ds_read_b128 v[12:15], v10 offset:112
	ds_read2_b64 v[16:19], v8 offset0:224 offset1:240
	s_waitcnt lgkmcnt(0)
	s_barrier
	v_fma_f64 v[5:6], v[16:17], v[12:13], v[5:6]
	v_fma_f64 v[5:6], v[18:19], v[14:15], v[5:6]
	s_cbranch_scc1 .LBB125_2
; %bb.3:
	v_cmp_le_i32_e32 vcc, v2, v7
	s_and_saveexec_b64 s[0:1], vcc
	s_cbranch_execz .LBB125_5
.LBB125_4:
	s_load_dwordx2 s[0:1], s[4:5], 0x58
	s_load_dword s6, s[4:5], 0x50
	v_ashrrev_i32_e32 v3, 31, v2
	s_waitcnt lgkmcnt(0)
	s_mul_i32 s1, s1, s8
	s_mul_hi_u32 s4, s0, s8
	s_add_i32 s1, s4, s1
	v_mad_i64_i32 v[0:1], s[4:5], s6, v7, 0
	s_mul_i32 s0, s0, s8
	s_lshl_b64 s[0:1], s[0:1], 3
	s_add_u32 s0, s10, s0
	v_lshlrev_b64 v[0:1], 3, v[0:1]
	s_addc_u32 s1, s11, s1
	v_mov_b32_e32 v4, s1
	v_add_co_u32_e32 v7, vcc, s0, v0
	v_addc_co_u32_e32 v4, vcc, v4, v1, vcc
	v_lshlrev_b64 v[0:1], 3, v[2:3]
	v_add_co_u32_e32 v0, vcc, v7, v0
	v_addc_co_u32_e32 v1, vcc, v4, v1, vcc
	global_load_dwordx2 v[2:3], v[0:1], off
	s_waitcnt vmcnt(0)
	v_mul_f64 v[2:3], s[2:3], v[2:3]
	v_fma_f64 v[2:3], s[12:13], v[5:6], v[2:3]
	global_store_dwordx2 v[0:1], v[2:3], off
.LBB125_5:
	s_endpgm
.LBB125_6:
	v_mov_b32_e32 v5, 0
	v_mov_b32_e32 v6, 0
	v_cmp_le_i32_e32 vcc, v2, v7
	s_and_saveexec_b64 s[0:1], vcc
	s_cbranch_execnz .LBB125_4
	s_branch .LBB125_5
	.section	.rodata,"a",@progbits
	.p2align	6, 0x0
	.amdhsa_kernel _ZL41rocblas_syrkx_herkx_small_restrict_kernelIidLi16ELb0ELb0ELc67ELc85EKddEviT_T0_PT6_S1_lS4_S1_lS2_PT7_S1_li
		.amdhsa_group_segment_fixed_size 4096
		.amdhsa_private_segment_fixed_size 0
		.amdhsa_kernarg_size 100
		.amdhsa_user_sgpr_count 6
		.amdhsa_user_sgpr_private_segment_buffer 1
		.amdhsa_user_sgpr_dispatch_ptr 0
		.amdhsa_user_sgpr_queue_ptr 0
		.amdhsa_user_sgpr_kernarg_segment_ptr 1
		.amdhsa_user_sgpr_dispatch_id 0
		.amdhsa_user_sgpr_flat_scratch_init 0
		.amdhsa_user_sgpr_private_segment_size 0
		.amdhsa_uses_dynamic_stack 0
		.amdhsa_system_sgpr_private_segment_wavefront_offset 0
		.amdhsa_system_sgpr_workgroup_id_x 1
		.amdhsa_system_sgpr_workgroup_id_y 1
		.amdhsa_system_sgpr_workgroup_id_z 1
		.amdhsa_system_sgpr_workgroup_info 0
		.amdhsa_system_vgpr_workitem_id 1
		.amdhsa_next_free_vgpr 20
		.amdhsa_next_free_sgpr 24
		.amdhsa_reserve_vcc 1
		.amdhsa_reserve_flat_scratch 0
		.amdhsa_float_round_mode_32 0
		.amdhsa_float_round_mode_16_64 0
		.amdhsa_float_denorm_mode_32 3
		.amdhsa_float_denorm_mode_16_64 3
		.amdhsa_dx10_clamp 1
		.amdhsa_ieee_mode 1
		.amdhsa_fp16_overflow 0
		.amdhsa_exception_fp_ieee_invalid_op 0
		.amdhsa_exception_fp_denorm_src 0
		.amdhsa_exception_fp_ieee_div_zero 0
		.amdhsa_exception_fp_ieee_overflow 0
		.amdhsa_exception_fp_ieee_underflow 0
		.amdhsa_exception_fp_ieee_inexact 0
		.amdhsa_exception_int_div_zero 0
	.end_amdhsa_kernel
	.section	.text._ZL41rocblas_syrkx_herkx_small_restrict_kernelIidLi16ELb0ELb0ELc67ELc85EKddEviT_T0_PT6_S1_lS4_S1_lS2_PT7_S1_li,"axG",@progbits,_ZL41rocblas_syrkx_herkx_small_restrict_kernelIidLi16ELb0ELb0ELc67ELc85EKddEviT_T0_PT6_S1_lS4_S1_lS2_PT7_S1_li,comdat
.Lfunc_end125:
	.size	_ZL41rocblas_syrkx_herkx_small_restrict_kernelIidLi16ELb0ELb0ELc67ELc85EKddEviT_T0_PT6_S1_lS4_S1_lS2_PT7_S1_li, .Lfunc_end125-_ZL41rocblas_syrkx_herkx_small_restrict_kernelIidLi16ELb0ELb0ELc67ELc85EKddEviT_T0_PT6_S1_lS4_S1_lS2_PT7_S1_li
                                        ; -- End function
	.set _ZL41rocblas_syrkx_herkx_small_restrict_kernelIidLi16ELb0ELb0ELc67ELc85EKddEviT_T0_PT6_S1_lS4_S1_lS2_PT7_S1_li.num_vgpr, 20
	.set _ZL41rocblas_syrkx_herkx_small_restrict_kernelIidLi16ELb0ELb0ELc67ELc85EKddEviT_T0_PT6_S1_lS4_S1_lS2_PT7_S1_li.num_agpr, 0
	.set _ZL41rocblas_syrkx_herkx_small_restrict_kernelIidLi16ELb0ELb0ELc67ELc85EKddEviT_T0_PT6_S1_lS4_S1_lS2_PT7_S1_li.numbered_sgpr, 24
	.set _ZL41rocblas_syrkx_herkx_small_restrict_kernelIidLi16ELb0ELb0ELc67ELc85EKddEviT_T0_PT6_S1_lS4_S1_lS2_PT7_S1_li.num_named_barrier, 0
	.set _ZL41rocblas_syrkx_herkx_small_restrict_kernelIidLi16ELb0ELb0ELc67ELc85EKddEviT_T0_PT6_S1_lS4_S1_lS2_PT7_S1_li.private_seg_size, 0
	.set _ZL41rocblas_syrkx_herkx_small_restrict_kernelIidLi16ELb0ELb0ELc67ELc85EKddEviT_T0_PT6_S1_lS4_S1_lS2_PT7_S1_li.uses_vcc, 1
	.set _ZL41rocblas_syrkx_herkx_small_restrict_kernelIidLi16ELb0ELb0ELc67ELc85EKddEviT_T0_PT6_S1_lS4_S1_lS2_PT7_S1_li.uses_flat_scratch, 0
	.set _ZL41rocblas_syrkx_herkx_small_restrict_kernelIidLi16ELb0ELb0ELc67ELc85EKddEviT_T0_PT6_S1_lS4_S1_lS2_PT7_S1_li.has_dyn_sized_stack, 0
	.set _ZL41rocblas_syrkx_herkx_small_restrict_kernelIidLi16ELb0ELb0ELc67ELc85EKddEviT_T0_PT6_S1_lS4_S1_lS2_PT7_S1_li.has_recursion, 0
	.set _ZL41rocblas_syrkx_herkx_small_restrict_kernelIidLi16ELb0ELb0ELc67ELc85EKddEviT_T0_PT6_S1_lS4_S1_lS2_PT7_S1_li.has_indirect_call, 0
	.section	.AMDGPU.csdata,"",@progbits
; Kernel info:
; codeLenInByte = 820
; TotalNumSgprs: 28
; NumVgprs: 20
; ScratchSize: 0
; MemoryBound: 0
; FloatMode: 240
; IeeeMode: 1
; LDSByteSize: 4096 bytes/workgroup (compile time only)
; SGPRBlocks: 3
; VGPRBlocks: 4
; NumSGPRsForWavesPerEU: 28
; NumVGPRsForWavesPerEU: 20
; Occupancy: 10
; WaveLimiterHint : 0
; COMPUTE_PGM_RSRC2:SCRATCH_EN: 0
; COMPUTE_PGM_RSRC2:USER_SGPR: 6
; COMPUTE_PGM_RSRC2:TRAP_HANDLER: 0
; COMPUTE_PGM_RSRC2:TGID_X_EN: 1
; COMPUTE_PGM_RSRC2:TGID_Y_EN: 1
; COMPUTE_PGM_RSRC2:TGID_Z_EN: 1
; COMPUTE_PGM_RSRC2:TIDIG_COMP_CNT: 1
	.section	.text._ZL41rocblas_syrkx_herkx_small_restrict_kernelIidLi16ELb0ELb0ELc78ELc85EKddEviT_T0_PT6_S1_lS4_S1_lS2_PT7_S1_li,"axG",@progbits,_ZL41rocblas_syrkx_herkx_small_restrict_kernelIidLi16ELb0ELb0ELc78ELc85EKddEviT_T0_PT6_S1_lS4_S1_lS2_PT7_S1_li,comdat
	.globl	_ZL41rocblas_syrkx_herkx_small_restrict_kernelIidLi16ELb0ELb0ELc78ELc85EKddEviT_T0_PT6_S1_lS4_S1_lS2_PT7_S1_li ; -- Begin function _ZL41rocblas_syrkx_herkx_small_restrict_kernelIidLi16ELb0ELb0ELc78ELc85EKddEviT_T0_PT6_S1_lS4_S1_lS2_PT7_S1_li
	.p2align	8
	.type	_ZL41rocblas_syrkx_herkx_small_restrict_kernelIidLi16ELb0ELb0ELc78ELc85EKddEviT_T0_PT6_S1_lS4_S1_lS2_PT7_S1_li,@function
_ZL41rocblas_syrkx_herkx_small_restrict_kernelIidLi16ELb0ELb0ELc78ELc85EKddEviT_T0_PT6_S1_lS4_S1_lS2_PT7_S1_li: ; @_ZL41rocblas_syrkx_herkx_small_restrict_kernelIidLi16ELb0ELb0ELc78ELc85EKddEviT_T0_PT6_S1_lS4_S1_lS2_PT7_S1_li
; %bb.0:
	s_load_dword s9, s[4:5], 0x4
	s_load_dwordx4 s[12:15], s[4:5], 0x8
	s_load_dwordx4 s[0:3], s[4:5], 0x38
	s_load_dwordx2 s[10:11], s[4:5], 0x48
	v_lshl_add_u32 v2, s6, 4, v0
	s_mov_b32 s20, 0
	v_lshl_add_u32 v4, s7, 4, v1
	s_waitcnt lgkmcnt(0)
	s_cmp_lt_i32 s9, 1
	v_ashrrev_i32_e32 v3, 31, v2
	s_cbranch_scc1 .LBB126_6
; %bb.1:
	s_load_dword s22, s[4:5], 0x18
	s_load_dword s6, s[4:5], 0x30
	s_load_dwordx4 s[16:19], s[4:5], 0x20
	v_lshlrev_b32_e32 v6, 7, v1
	v_lshlrev_b32_e32 v9, 3, v0
	v_add_u32_e32 v10, v9, v6
	v_add_u32_e32 v11, 0x800, v6
	s_waitcnt lgkmcnt(0)
	v_mad_i64_i32 v[6:7], s[24:25], s6, v0, 0
	s_mul_i32 s1, s1, s8
	s_mul_hi_u32 s21, s0, s8
	s_add_i32 s1, s21, s1
	s_mul_i32 s0, s0, s8
	v_lshlrev_b64 v[6:7], 3, v[6:7]
	v_ashrrev_i32_e32 v5, 31, v4
	s_lshl_b64 s[0:1], s[0:1], 3
	v_mov_b32_e32 v0, s1
	v_add_co_u32_e32 v8, vcc, s0, v6
	v_lshlrev_b64 v[5:6], 3, v[4:5]
	v_addc_co_u32_e32 v0, vcc, v0, v7, vcc
	v_add_co_u32_e32 v5, vcc, v8, v5
	v_addc_co_u32_e32 v0, vcc, v0, v6, vcc
	v_mov_b32_e32 v6, s19
	v_add_co_u32_e32 v5, vcc, s18, v5
	v_addc_co_u32_e32 v6, vcc, v6, v0, vcc
	v_mad_i64_i32 v[0:1], s[0:1], s22, v1, 0
	s_mul_i32 s17, s17, s8
	s_mul_hi_u32 s18, s16, s8
	s_add_i32 s1, s18, s17
	s_mul_i32 s0, s16, s8
	v_lshlrev_b64 v[0:1], 3, v[0:1]
	s_lshl_b64 s[0:1], s[0:1], 3
	v_mov_b32_e32 v7, s1
	v_add_co_u32_e32 v8, vcc, s0, v0
	v_addc_co_u32_e32 v7, vcc, v7, v1, vcc
	v_lshlrev_b64 v[0:1], 3, v[2:3]
	s_ashr_i32 s23, s22, 31
	v_add_co_u32_e32 v0, vcc, v8, v0
	v_addc_co_u32_e32 v1, vcc, v7, v1, vcc
	s_ashr_i32 s7, s6, 31
	v_mov_b32_e32 v7, s15
	v_add_co_u32_e32 v0, vcc, s14, v0
	s_lshl_b64 s[6:7], s[6:7], 7
	v_addc_co_u32_e32 v1, vcc, v7, v1, vcc
	s_lshl_b64 s[14:15], s[22:23], 7
	v_mov_b32_e32 v7, 0
	v_mov_b32_e32 v8, 0
	;; [unrolled: 1-line block ×4, first 2 shown]
.LBB126_2:                              ; =>This Inner Loop Header: Depth=1
	global_load_dwordx2 v[14:15], v[0:1], off
	global_load_dwordx2 v[16:17], v[5:6], off
	s_add_i32 s20, s20, 16
	v_add_co_u32_e32 v5, vcc, s6, v5
	v_add_co_u32_e64 v0, s[0:1], s14, v0
	v_addc_co_u32_e32 v6, vcc, v6, v12, vcc
	v_addc_co_u32_e64 v1, vcc, v1, v13, s[0:1]
	s_cmp_lt_i32 s20, s9
	s_waitcnt vmcnt(1)
	ds_write_b64 v10, v[14:15]
	v_add_u32_e32 v14, v11, v9
	s_waitcnt vmcnt(0)
	ds_write_b64 v14, v[16:17]
	s_waitcnt lgkmcnt(0)
	s_barrier
	ds_read2_b64 v[14:17], v9 offset1:16
	ds_read_b128 v[18:21], v11
	s_waitcnt lgkmcnt(0)
	v_fma_f64 v[7:8], v[14:15], v[18:19], v[7:8]
	v_fma_f64 v[7:8], v[16:17], v[20:21], v[7:8]
	ds_read_b128 v[14:17], v11 offset:16
	ds_read2_b64 v[18:21], v9 offset0:32 offset1:48
	s_waitcnt lgkmcnt(0)
	v_fma_f64 v[7:8], v[18:19], v[14:15], v[7:8]
	v_fma_f64 v[7:8], v[20:21], v[16:17], v[7:8]
	ds_read2_b64 v[14:17], v9 offset0:64 offset1:80
	ds_read_b128 v[18:21], v11 offset:32
	s_waitcnt lgkmcnt(0)
	v_fma_f64 v[7:8], v[14:15], v[18:19], v[7:8]
	v_fma_f64 v[7:8], v[16:17], v[20:21], v[7:8]
	ds_read_b128 v[14:17], v11 offset:48
	ds_read2_b64 v[18:21], v9 offset0:96 offset1:112
	s_waitcnt lgkmcnt(0)
	v_fma_f64 v[7:8], v[18:19], v[14:15], v[7:8]
	v_fma_f64 v[7:8], v[20:21], v[16:17], v[7:8]
	ds_read2_b64 v[14:17], v9 offset0:128 offset1:144
	ds_read_b128 v[18:21], v11 offset:64
	;; [unrolled: 10-line block ×3, first 2 shown]
	s_waitcnt lgkmcnt(0)
	v_fma_f64 v[7:8], v[14:15], v[18:19], v[7:8]
	v_fma_f64 v[7:8], v[16:17], v[20:21], v[7:8]
	ds_read_b128 v[14:17], v11 offset:112
	ds_read2_b64 v[18:21], v9 offset0:224 offset1:240
	s_waitcnt lgkmcnt(0)
	s_barrier
	v_fma_f64 v[7:8], v[18:19], v[14:15], v[7:8]
	v_fma_f64 v[7:8], v[20:21], v[16:17], v[7:8]
	s_cbranch_scc1 .LBB126_2
; %bb.3:
	v_cmp_le_i32_e32 vcc, v2, v4
	s_and_saveexec_b64 s[0:1], vcc
	s_cbranch_execz .LBB126_5
.LBB126_4:
	s_load_dwordx2 s[0:1], s[4:5], 0x58
	s_load_dword s6, s[4:5], 0x50
	s_waitcnt lgkmcnt(0)
	s_mul_i32 s1, s1, s8
	s_mul_hi_u32 s4, s0, s8
	s_add_i32 s1, s4, s1
	v_mad_i64_i32 v[0:1], s[4:5], s6, v4, 0
	s_mul_i32 s0, s0, s8
	s_lshl_b64 s[0:1], s[0:1], 3
	s_add_u32 s0, s10, s0
	v_lshlrev_b64 v[0:1], 3, v[0:1]
	s_addc_u32 s1, s11, s1
	v_mov_b32_e32 v4, s1
	v_add_co_u32_e32 v5, vcc, s0, v0
	v_addc_co_u32_e32 v4, vcc, v4, v1, vcc
	v_lshlrev_b64 v[0:1], 3, v[2:3]
	v_add_co_u32_e32 v0, vcc, v5, v0
	v_addc_co_u32_e32 v1, vcc, v4, v1, vcc
	global_load_dwordx2 v[2:3], v[0:1], off
	s_waitcnt vmcnt(0)
	v_mul_f64 v[2:3], s[2:3], v[2:3]
	v_fma_f64 v[2:3], s[12:13], v[7:8], v[2:3]
	global_store_dwordx2 v[0:1], v[2:3], off
.LBB126_5:
	s_endpgm
.LBB126_6:
	v_mov_b32_e32 v7, 0
	v_mov_b32_e32 v8, 0
	v_cmp_le_i32_e32 vcc, v2, v4
	s_and_saveexec_b64 s[0:1], vcc
	s_cbranch_execnz .LBB126_4
	s_branch .LBB126_5
	.section	.rodata,"a",@progbits
	.p2align	6, 0x0
	.amdhsa_kernel _ZL41rocblas_syrkx_herkx_small_restrict_kernelIidLi16ELb0ELb0ELc78ELc85EKddEviT_T0_PT6_S1_lS4_S1_lS2_PT7_S1_li
		.amdhsa_group_segment_fixed_size 4096
		.amdhsa_private_segment_fixed_size 0
		.amdhsa_kernarg_size 100
		.amdhsa_user_sgpr_count 6
		.amdhsa_user_sgpr_private_segment_buffer 1
		.amdhsa_user_sgpr_dispatch_ptr 0
		.amdhsa_user_sgpr_queue_ptr 0
		.amdhsa_user_sgpr_kernarg_segment_ptr 1
		.amdhsa_user_sgpr_dispatch_id 0
		.amdhsa_user_sgpr_flat_scratch_init 0
		.amdhsa_user_sgpr_private_segment_size 0
		.amdhsa_uses_dynamic_stack 0
		.amdhsa_system_sgpr_private_segment_wavefront_offset 0
		.amdhsa_system_sgpr_workgroup_id_x 1
		.amdhsa_system_sgpr_workgroup_id_y 1
		.amdhsa_system_sgpr_workgroup_id_z 1
		.amdhsa_system_sgpr_workgroup_info 0
		.amdhsa_system_vgpr_workitem_id 1
		.amdhsa_next_free_vgpr 22
		.amdhsa_next_free_sgpr 26
		.amdhsa_reserve_vcc 1
		.amdhsa_reserve_flat_scratch 0
		.amdhsa_float_round_mode_32 0
		.amdhsa_float_round_mode_16_64 0
		.amdhsa_float_denorm_mode_32 3
		.amdhsa_float_denorm_mode_16_64 3
		.amdhsa_dx10_clamp 1
		.amdhsa_ieee_mode 1
		.amdhsa_fp16_overflow 0
		.amdhsa_exception_fp_ieee_invalid_op 0
		.amdhsa_exception_fp_denorm_src 0
		.amdhsa_exception_fp_ieee_div_zero 0
		.amdhsa_exception_fp_ieee_overflow 0
		.amdhsa_exception_fp_ieee_underflow 0
		.amdhsa_exception_fp_ieee_inexact 0
		.amdhsa_exception_int_div_zero 0
	.end_amdhsa_kernel
	.section	.text._ZL41rocblas_syrkx_herkx_small_restrict_kernelIidLi16ELb0ELb0ELc78ELc85EKddEviT_T0_PT6_S1_lS4_S1_lS2_PT7_S1_li,"axG",@progbits,_ZL41rocblas_syrkx_herkx_small_restrict_kernelIidLi16ELb0ELb0ELc78ELc85EKddEviT_T0_PT6_S1_lS4_S1_lS2_PT7_S1_li,comdat
.Lfunc_end126:
	.size	_ZL41rocblas_syrkx_herkx_small_restrict_kernelIidLi16ELb0ELb0ELc78ELc85EKddEviT_T0_PT6_S1_lS4_S1_lS2_PT7_S1_li, .Lfunc_end126-_ZL41rocblas_syrkx_herkx_small_restrict_kernelIidLi16ELb0ELb0ELc78ELc85EKddEviT_T0_PT6_S1_lS4_S1_lS2_PT7_S1_li
                                        ; -- End function
	.set _ZL41rocblas_syrkx_herkx_small_restrict_kernelIidLi16ELb0ELb0ELc78ELc85EKddEviT_T0_PT6_S1_lS4_S1_lS2_PT7_S1_li.num_vgpr, 22
	.set _ZL41rocblas_syrkx_herkx_small_restrict_kernelIidLi16ELb0ELb0ELc78ELc85EKddEviT_T0_PT6_S1_lS4_S1_lS2_PT7_S1_li.num_agpr, 0
	.set _ZL41rocblas_syrkx_herkx_small_restrict_kernelIidLi16ELb0ELb0ELc78ELc85EKddEviT_T0_PT6_S1_lS4_S1_lS2_PT7_S1_li.numbered_sgpr, 26
	.set _ZL41rocblas_syrkx_herkx_small_restrict_kernelIidLi16ELb0ELb0ELc78ELc85EKddEviT_T0_PT6_S1_lS4_S1_lS2_PT7_S1_li.num_named_barrier, 0
	.set _ZL41rocblas_syrkx_herkx_small_restrict_kernelIidLi16ELb0ELb0ELc78ELc85EKddEviT_T0_PT6_S1_lS4_S1_lS2_PT7_S1_li.private_seg_size, 0
	.set _ZL41rocblas_syrkx_herkx_small_restrict_kernelIidLi16ELb0ELb0ELc78ELc85EKddEviT_T0_PT6_S1_lS4_S1_lS2_PT7_S1_li.uses_vcc, 1
	.set _ZL41rocblas_syrkx_herkx_small_restrict_kernelIidLi16ELb0ELb0ELc78ELc85EKddEviT_T0_PT6_S1_lS4_S1_lS2_PT7_S1_li.uses_flat_scratch, 0
	.set _ZL41rocblas_syrkx_herkx_small_restrict_kernelIidLi16ELb0ELb0ELc78ELc85EKddEviT_T0_PT6_S1_lS4_S1_lS2_PT7_S1_li.has_dyn_sized_stack, 0
	.set _ZL41rocblas_syrkx_herkx_small_restrict_kernelIidLi16ELb0ELb0ELc78ELc85EKddEviT_T0_PT6_S1_lS4_S1_lS2_PT7_S1_li.has_recursion, 0
	.set _ZL41rocblas_syrkx_herkx_small_restrict_kernelIidLi16ELb0ELb0ELc78ELc85EKddEviT_T0_PT6_S1_lS4_S1_lS2_PT7_S1_li.has_indirect_call, 0
	.section	.AMDGPU.csdata,"",@progbits
; Kernel info:
; codeLenInByte = 852
; TotalNumSgprs: 30
; NumVgprs: 22
; ScratchSize: 0
; MemoryBound: 0
; FloatMode: 240
; IeeeMode: 1
; LDSByteSize: 4096 bytes/workgroup (compile time only)
; SGPRBlocks: 3
; VGPRBlocks: 5
; NumSGPRsForWavesPerEU: 30
; NumVGPRsForWavesPerEU: 22
; Occupancy: 10
; WaveLimiterHint : 0
; COMPUTE_PGM_RSRC2:SCRATCH_EN: 0
; COMPUTE_PGM_RSRC2:USER_SGPR: 6
; COMPUTE_PGM_RSRC2:TRAP_HANDLER: 0
; COMPUTE_PGM_RSRC2:TGID_X_EN: 1
; COMPUTE_PGM_RSRC2:TGID_Y_EN: 1
; COMPUTE_PGM_RSRC2:TGID_Z_EN: 1
; COMPUTE_PGM_RSRC2:TIDIG_COMP_CNT: 1
	.section	.text._ZL32rocblas_syrkx_herkx_small_kernelIidLi16ELb1ELb0ELc84ELc76EKddEviT_T0_PT6_S1_lS4_S1_lS2_PT7_S1_li,"axG",@progbits,_ZL32rocblas_syrkx_herkx_small_kernelIidLi16ELb1ELb0ELc84ELc76EKddEviT_T0_PT6_S1_lS4_S1_lS2_PT7_S1_li,comdat
	.globl	_ZL32rocblas_syrkx_herkx_small_kernelIidLi16ELb1ELb0ELc84ELc76EKddEviT_T0_PT6_S1_lS4_S1_lS2_PT7_S1_li ; -- Begin function _ZL32rocblas_syrkx_herkx_small_kernelIidLi16ELb1ELb0ELc84ELc76EKddEviT_T0_PT6_S1_lS4_S1_lS2_PT7_S1_li
	.p2align	8
	.type	_ZL32rocblas_syrkx_herkx_small_kernelIidLi16ELb1ELb0ELc84ELc76EKddEviT_T0_PT6_S1_lS4_S1_lS2_PT7_S1_li,@function
_ZL32rocblas_syrkx_herkx_small_kernelIidLi16ELb1ELb0ELc84ELc76EKddEviT_T0_PT6_S1_lS4_S1_lS2_PT7_S1_li: ; @_ZL32rocblas_syrkx_herkx_small_kernelIidLi16ELb1ELb0ELc84ELc76EKddEviT_T0_PT6_S1_lS4_S1_lS2_PT7_S1_li
; %bb.0:
	s_load_dwordx2 s[10:11], s[4:5], 0x0
	s_load_dwordx4 s[12:15], s[4:5], 0x8
	v_lshl_add_u32 v2, s6, 4, v0
	s_mov_b32 s9, 0
	v_lshl_add_u32 v11, s7, 4, v1
	s_waitcnt lgkmcnt(0)
	s_cmp_lt_i32 s11, 1
	v_cmp_gt_i32_e64 s[0:1], s10, v2
	s_cbranch_scc1 .LBB127_7
; %bb.1:
	s_load_dword s20, s[4:5], 0x18
	s_load_dwordx4 s[16:19], s[4:5], 0x20
	s_load_dword s2, s[4:5], 0x30
	s_load_dwordx2 s[6:7], s[4:5], 0x38
	v_lshlrev_b32_e32 v5, 7, v1
	v_lshlrev_b32_e32 v12, 3, v0
	v_add_u32_e32 v13, v12, v5
	s_waitcnt lgkmcnt(0)
	v_mad_i64_i32 v[3:4], s[2:3], s2, v11, 0
	s_mul_i32 s7, s7, s8
	s_mul_hi_u32 s21, s6, s8
	v_lshlrev_b64 v[3:4], 3, v[3:4]
	s_add_i32 s7, s21, s7
	s_mul_i32 s6, s6, s8
	s_lshl_b64 s[6:7], s[6:7], 3
	v_add_u32_e32 v14, 0x800, v5
	v_mov_b32_e32 v5, s7
	v_add_co_u32_e32 v3, vcc, s6, v3
	v_addc_co_u32_e32 v4, vcc, v4, v5, vcc
	v_mad_i64_i32 v[5:6], s[6:7], s20, v2, 0
	v_add_co_u32_e32 v3, vcc, v3, v12
	v_addc_co_u32_e32 v4, vcc, 0, v4, vcc
	s_mul_i32 s6, s17, s8
	s_mul_hi_u32 s7, s16, s8
	v_mov_b32_e32 v7, s19
	v_add_co_u32_e32 v3, vcc, s18, v3
	v_lshlrev_b64 v[5:6], 3, v[5:6]
	s_add_i32 s7, s7, s6
	s_mul_i32 s6, s16, s8
	v_addc_co_u32_e32 v4, vcc, v7, v4, vcc
	s_lshl_b64 s[6:7], s[6:7], 3
	v_mov_b32_e32 v7, s7
	v_add_co_u32_e32 v5, vcc, s6, v5
	v_addc_co_u32_e32 v6, vcc, v6, v7, vcc
	v_lshlrev_b32_e32 v7, 3, v1
	v_add_co_u32_e32 v5, vcc, v5, v7
	v_addc_co_u32_e32 v6, vcc, 0, v6, vcc
	v_mov_b32_e32 v9, s15
	v_mov_b32_e32 v7, 0
	v_add_co_u32_e32 v5, vcc, s14, v5
	v_cmp_gt_i32_e64 s[2:3], s10, v11
	v_add_u32_e32 v15, v14, v12
	v_mov_b32_e32 v8, 0
	v_addc_co_u32_e32 v6, vcc, v9, v6, vcc
	s_branch .LBB127_3
.LBB127_2:                              ;   in Loop: Header=BB127_3 Depth=1
	s_or_b64 exec, exec, s[6:7]
	s_waitcnt vmcnt(0)
	ds_write_b64 v15, v[9:10]
	s_waitcnt lgkmcnt(0)
	s_barrier
	ds_read2_b64 v[16:19], v12 offset1:16
	ds_read_b128 v[20:23], v14
	v_add_co_u32_e32 v3, vcc, 0x80, v3
	v_addc_co_u32_e32 v4, vcc, 0, v4, vcc
	s_waitcnt lgkmcnt(0)
	v_fma_f64 v[7:8], v[16:17], v[20:21], v[7:8]
	s_add_i32 s9, s9, 16
	v_add_co_u32_e32 v5, vcc, 0x80, v5
	s_cmp_ge_i32 s9, s11
	v_addc_co_u32_e32 v6, vcc, 0, v6, vcc
	v_fma_f64 v[20:21], v[18:19], v[22:23], v[7:8]
	ds_read_b128 v[7:10], v14 offset:16
	ds_read2_b64 v[16:19], v12 offset0:32 offset1:48
	s_waitcnt lgkmcnt(0)
	v_fma_f64 v[7:8], v[16:17], v[7:8], v[20:21]
	v_fma_f64 v[20:21], v[18:19], v[9:10], v[7:8]
	ds_read2_b64 v[7:10], v12 offset0:64 offset1:80
	ds_read_b128 v[16:19], v14 offset:32
	s_waitcnt lgkmcnt(0)
	v_fma_f64 v[7:8], v[7:8], v[16:17], v[20:21]
	v_fma_f64 v[20:21], v[9:10], v[18:19], v[7:8]
	ds_read_b128 v[7:10], v14 offset:48
	ds_read2_b64 v[16:19], v12 offset0:96 offset1:112
	s_waitcnt lgkmcnt(0)
	v_fma_f64 v[7:8], v[16:17], v[7:8], v[20:21]
	v_fma_f64 v[20:21], v[18:19], v[9:10], v[7:8]
	ds_read2_b64 v[7:10], v12 offset0:128 offset1:144
	ds_read_b128 v[16:19], v14 offset:64
	s_waitcnt lgkmcnt(0)
	v_fma_f64 v[7:8], v[7:8], v[16:17], v[20:21]
	;; [unrolled: 10-line block ×3, first 2 shown]
	v_fma_f64 v[20:21], v[9:10], v[18:19], v[7:8]
	ds_read_b128 v[7:10], v14 offset:112
	ds_read2_b64 v[16:19], v12 offset0:224 offset1:240
	s_waitcnt lgkmcnt(0)
	s_barrier
	v_fma_f64 v[7:8], v[16:17], v[7:8], v[20:21]
	v_fma_f64 v[7:8], v[18:19], v[9:10], v[7:8]
	s_cbranch_scc1 .LBB127_8
.LBB127_3:                              ; =>This Inner Loop Header: Depth=1
	v_add_u32_e32 v9, s9, v1
	v_cmp_gt_i32_e32 vcc, s11, v9
	v_mov_b32_e32 v9, 0
	v_mov_b32_e32 v10, 0
	s_and_b64 s[14:15], s[0:1], vcc
	s_and_saveexec_b64 s[6:7], s[14:15]
	s_cbranch_execz .LBB127_5
; %bb.4:                                ;   in Loop: Header=BB127_3 Depth=1
	global_load_dwordx2 v[9:10], v[5:6], off
.LBB127_5:                              ;   in Loop: Header=BB127_3 Depth=1
	s_or_b64 exec, exec, s[6:7]
	s_waitcnt vmcnt(0)
	ds_write_b64 v13, v[9:10]
	v_add_u32_e32 v9, s9, v0
	v_cmp_gt_i32_e32 vcc, s11, v9
	v_mov_b32_e32 v9, 0
	v_mov_b32_e32 v10, 0
	s_and_b64 s[14:15], s[2:3], vcc
	s_and_saveexec_b64 s[6:7], s[14:15]
	s_cbranch_execz .LBB127_2
; %bb.6:                                ;   in Loop: Header=BB127_3 Depth=1
	global_load_dwordx2 v[9:10], v[3:4], off
	s_branch .LBB127_2
.LBB127_7:
	v_mov_b32_e32 v7, 0
	v_mov_b32_e32 v8, 0
.LBB127_8:
	v_cmp_le_i32_e32 vcc, v11, v2
	v_cmp_gt_i32_e64 s[0:1], s10, v2
	s_and_b64 s[0:1], vcc, s[0:1]
	s_and_saveexec_b64 s[2:3], s[0:1]
	s_cbranch_execz .LBB127_10
; %bb.9:
	s_load_dwordx2 s[0:1], s[4:5], 0x58
	s_load_dwordx2 s[2:3], s[4:5], 0x48
	s_load_dword s6, s[4:5], 0x50
	v_mul_f64 v[4:5], s[12:13], v[7:8]
	v_ashrrev_i32_e32 v3, 31, v2
	s_waitcnt lgkmcnt(0)
	s_mul_i32 s1, s1, s8
	s_mul_hi_u32 s4, s0, s8
	s_add_i32 s1, s4, s1
	v_mad_i64_i32 v[0:1], s[4:5], s6, v11, 0
	s_mul_i32 s0, s0, s8
	s_lshl_b64 s[0:1], s[0:1], 3
	s_add_u32 s0, s2, s0
	v_lshlrev_b64 v[0:1], 3, v[0:1]
	s_addc_u32 s1, s3, s1
	v_mov_b32_e32 v6, s1
	v_add_co_u32_e32 v7, vcc, s0, v0
	v_addc_co_u32_e32 v6, vcc, v6, v1, vcc
	v_lshlrev_b64 v[0:1], 3, v[2:3]
	v_add_co_u32_e32 v0, vcc, v7, v0
	v_addc_co_u32_e32 v1, vcc, v6, v1, vcc
	global_store_dwordx2 v[0:1], v[4:5], off
.LBB127_10:
	s_endpgm
	.section	.rodata,"a",@progbits
	.p2align	6, 0x0
	.amdhsa_kernel _ZL32rocblas_syrkx_herkx_small_kernelIidLi16ELb1ELb0ELc84ELc76EKddEviT_T0_PT6_S1_lS4_S1_lS2_PT7_S1_li
		.amdhsa_group_segment_fixed_size 4096
		.amdhsa_private_segment_fixed_size 0
		.amdhsa_kernarg_size 100
		.amdhsa_user_sgpr_count 6
		.amdhsa_user_sgpr_private_segment_buffer 1
		.amdhsa_user_sgpr_dispatch_ptr 0
		.amdhsa_user_sgpr_queue_ptr 0
		.amdhsa_user_sgpr_kernarg_segment_ptr 1
		.amdhsa_user_sgpr_dispatch_id 0
		.amdhsa_user_sgpr_flat_scratch_init 0
		.amdhsa_user_sgpr_private_segment_size 0
		.amdhsa_uses_dynamic_stack 0
		.amdhsa_system_sgpr_private_segment_wavefront_offset 0
		.amdhsa_system_sgpr_workgroup_id_x 1
		.amdhsa_system_sgpr_workgroup_id_y 1
		.amdhsa_system_sgpr_workgroup_id_z 1
		.amdhsa_system_sgpr_workgroup_info 0
		.amdhsa_system_vgpr_workitem_id 1
		.amdhsa_next_free_vgpr 24
		.amdhsa_next_free_sgpr 22
		.amdhsa_reserve_vcc 1
		.amdhsa_reserve_flat_scratch 0
		.amdhsa_float_round_mode_32 0
		.amdhsa_float_round_mode_16_64 0
		.amdhsa_float_denorm_mode_32 3
		.amdhsa_float_denorm_mode_16_64 3
		.amdhsa_dx10_clamp 1
		.amdhsa_ieee_mode 1
		.amdhsa_fp16_overflow 0
		.amdhsa_exception_fp_ieee_invalid_op 0
		.amdhsa_exception_fp_denorm_src 0
		.amdhsa_exception_fp_ieee_div_zero 0
		.amdhsa_exception_fp_ieee_overflow 0
		.amdhsa_exception_fp_ieee_underflow 0
		.amdhsa_exception_fp_ieee_inexact 0
		.amdhsa_exception_int_div_zero 0
	.end_amdhsa_kernel
	.section	.text._ZL32rocblas_syrkx_herkx_small_kernelIidLi16ELb1ELb0ELc84ELc76EKddEviT_T0_PT6_S1_lS4_S1_lS2_PT7_S1_li,"axG",@progbits,_ZL32rocblas_syrkx_herkx_small_kernelIidLi16ELb1ELb0ELc84ELc76EKddEviT_T0_PT6_S1_lS4_S1_lS2_PT7_S1_li,comdat
.Lfunc_end127:
	.size	_ZL32rocblas_syrkx_herkx_small_kernelIidLi16ELb1ELb0ELc84ELc76EKddEviT_T0_PT6_S1_lS4_S1_lS2_PT7_S1_li, .Lfunc_end127-_ZL32rocblas_syrkx_herkx_small_kernelIidLi16ELb1ELb0ELc84ELc76EKddEviT_T0_PT6_S1_lS4_S1_lS2_PT7_S1_li
                                        ; -- End function
	.set _ZL32rocblas_syrkx_herkx_small_kernelIidLi16ELb1ELb0ELc84ELc76EKddEviT_T0_PT6_S1_lS4_S1_lS2_PT7_S1_li.num_vgpr, 24
	.set _ZL32rocblas_syrkx_herkx_small_kernelIidLi16ELb1ELb0ELc84ELc76EKddEviT_T0_PT6_S1_lS4_S1_lS2_PT7_S1_li.num_agpr, 0
	.set _ZL32rocblas_syrkx_herkx_small_kernelIidLi16ELb1ELb0ELc84ELc76EKddEviT_T0_PT6_S1_lS4_S1_lS2_PT7_S1_li.numbered_sgpr, 22
	.set _ZL32rocblas_syrkx_herkx_small_kernelIidLi16ELb1ELb0ELc84ELc76EKddEviT_T0_PT6_S1_lS4_S1_lS2_PT7_S1_li.num_named_barrier, 0
	.set _ZL32rocblas_syrkx_herkx_small_kernelIidLi16ELb1ELb0ELc84ELc76EKddEviT_T0_PT6_S1_lS4_S1_lS2_PT7_S1_li.private_seg_size, 0
	.set _ZL32rocblas_syrkx_herkx_small_kernelIidLi16ELb1ELb0ELc84ELc76EKddEviT_T0_PT6_S1_lS4_S1_lS2_PT7_S1_li.uses_vcc, 1
	.set _ZL32rocblas_syrkx_herkx_small_kernelIidLi16ELb1ELb0ELc84ELc76EKddEviT_T0_PT6_S1_lS4_S1_lS2_PT7_S1_li.uses_flat_scratch, 0
	.set _ZL32rocblas_syrkx_herkx_small_kernelIidLi16ELb1ELb0ELc84ELc76EKddEviT_T0_PT6_S1_lS4_S1_lS2_PT7_S1_li.has_dyn_sized_stack, 0
	.set _ZL32rocblas_syrkx_herkx_small_kernelIidLi16ELb1ELb0ELc84ELc76EKddEviT_T0_PT6_S1_lS4_S1_lS2_PT7_S1_li.has_recursion, 0
	.set _ZL32rocblas_syrkx_herkx_small_kernelIidLi16ELb1ELb0ELc84ELc76EKddEviT_T0_PT6_S1_lS4_S1_lS2_PT7_S1_li.has_indirect_call, 0
	.section	.AMDGPU.csdata,"",@progbits
; Kernel info:
; codeLenInByte = 876
; TotalNumSgprs: 26
; NumVgprs: 24
; ScratchSize: 0
; MemoryBound: 0
; FloatMode: 240
; IeeeMode: 1
; LDSByteSize: 4096 bytes/workgroup (compile time only)
; SGPRBlocks: 3
; VGPRBlocks: 5
; NumSGPRsForWavesPerEU: 26
; NumVGPRsForWavesPerEU: 24
; Occupancy: 10
; WaveLimiterHint : 0
; COMPUTE_PGM_RSRC2:SCRATCH_EN: 0
; COMPUTE_PGM_RSRC2:USER_SGPR: 6
; COMPUTE_PGM_RSRC2:TRAP_HANDLER: 0
; COMPUTE_PGM_RSRC2:TGID_X_EN: 1
; COMPUTE_PGM_RSRC2:TGID_Y_EN: 1
; COMPUTE_PGM_RSRC2:TGID_Z_EN: 1
; COMPUTE_PGM_RSRC2:TIDIG_COMP_CNT: 1
	.section	.text._ZL32rocblas_syrkx_herkx_small_kernelIidLi16ELb1ELb0ELc67ELc76EKddEviT_T0_PT6_S1_lS4_S1_lS2_PT7_S1_li,"axG",@progbits,_ZL32rocblas_syrkx_herkx_small_kernelIidLi16ELb1ELb0ELc67ELc76EKddEviT_T0_PT6_S1_lS4_S1_lS2_PT7_S1_li,comdat
	.globl	_ZL32rocblas_syrkx_herkx_small_kernelIidLi16ELb1ELb0ELc67ELc76EKddEviT_T0_PT6_S1_lS4_S1_lS2_PT7_S1_li ; -- Begin function _ZL32rocblas_syrkx_herkx_small_kernelIidLi16ELb1ELb0ELc67ELc76EKddEviT_T0_PT6_S1_lS4_S1_lS2_PT7_S1_li
	.p2align	8
	.type	_ZL32rocblas_syrkx_herkx_small_kernelIidLi16ELb1ELb0ELc67ELc76EKddEviT_T0_PT6_S1_lS4_S1_lS2_PT7_S1_li,@function
_ZL32rocblas_syrkx_herkx_small_kernelIidLi16ELb1ELb0ELc67ELc76EKddEviT_T0_PT6_S1_lS4_S1_lS2_PT7_S1_li: ; @_ZL32rocblas_syrkx_herkx_small_kernelIidLi16ELb1ELb0ELc67ELc76EKddEviT_T0_PT6_S1_lS4_S1_lS2_PT7_S1_li
; %bb.0:
	s_load_dwordx2 s[10:11], s[4:5], 0x0
	s_load_dwordx4 s[12:15], s[4:5], 0x8
	v_lshl_add_u32 v2, s6, 4, v0
	s_mov_b32 s9, 0
	v_lshl_add_u32 v11, s7, 4, v1
	s_waitcnt lgkmcnt(0)
	s_cmp_lt_i32 s11, 1
	v_cmp_gt_i32_e64 s[0:1], s10, v2
	s_cbranch_scc1 .LBB128_7
; %bb.1:
	s_load_dword s20, s[4:5], 0x18
	s_load_dwordx4 s[16:19], s[4:5], 0x20
	s_load_dword s2, s[4:5], 0x30
	s_load_dwordx2 s[6:7], s[4:5], 0x38
	v_lshlrev_b32_e32 v5, 7, v1
	v_lshlrev_b32_e32 v12, 3, v0
	v_add_u32_e32 v13, v12, v5
	s_waitcnt lgkmcnt(0)
	v_mad_i64_i32 v[3:4], s[2:3], s2, v11, 0
	s_mul_i32 s7, s7, s8
	s_mul_hi_u32 s21, s6, s8
	v_lshlrev_b64 v[3:4], 3, v[3:4]
	s_add_i32 s7, s21, s7
	s_mul_i32 s6, s6, s8
	s_lshl_b64 s[6:7], s[6:7], 3
	v_add_u32_e32 v14, 0x800, v5
	v_mov_b32_e32 v5, s7
	v_add_co_u32_e32 v3, vcc, s6, v3
	v_addc_co_u32_e32 v4, vcc, v4, v5, vcc
	v_mad_i64_i32 v[5:6], s[6:7], s20, v2, 0
	v_add_co_u32_e32 v3, vcc, v3, v12
	v_addc_co_u32_e32 v4, vcc, 0, v4, vcc
	s_mul_i32 s6, s17, s8
	s_mul_hi_u32 s7, s16, s8
	v_mov_b32_e32 v7, s19
	v_add_co_u32_e32 v3, vcc, s18, v3
	v_lshlrev_b64 v[5:6], 3, v[5:6]
	s_add_i32 s7, s7, s6
	s_mul_i32 s6, s16, s8
	v_addc_co_u32_e32 v4, vcc, v7, v4, vcc
	s_lshl_b64 s[6:7], s[6:7], 3
	v_mov_b32_e32 v7, s7
	v_add_co_u32_e32 v5, vcc, s6, v5
	v_addc_co_u32_e32 v6, vcc, v6, v7, vcc
	v_lshlrev_b32_e32 v7, 3, v1
	v_add_co_u32_e32 v5, vcc, v5, v7
	v_addc_co_u32_e32 v6, vcc, 0, v6, vcc
	v_mov_b32_e32 v9, s15
	v_mov_b32_e32 v7, 0
	v_add_co_u32_e32 v5, vcc, s14, v5
	v_cmp_gt_i32_e64 s[2:3], s10, v11
	v_add_u32_e32 v15, v14, v12
	v_mov_b32_e32 v8, 0
	v_addc_co_u32_e32 v6, vcc, v9, v6, vcc
	s_branch .LBB128_3
.LBB128_2:                              ;   in Loop: Header=BB128_3 Depth=1
	s_or_b64 exec, exec, s[6:7]
	s_waitcnt vmcnt(0)
	ds_write_b64 v15, v[9:10]
	s_waitcnt lgkmcnt(0)
	s_barrier
	ds_read2_b64 v[16:19], v12 offset1:16
	ds_read_b128 v[20:23], v14
	v_add_co_u32_e32 v3, vcc, 0x80, v3
	v_addc_co_u32_e32 v4, vcc, 0, v4, vcc
	s_waitcnt lgkmcnt(0)
	v_fma_f64 v[7:8], v[16:17], v[20:21], v[7:8]
	s_add_i32 s9, s9, 16
	v_add_co_u32_e32 v5, vcc, 0x80, v5
	s_cmp_ge_i32 s9, s11
	v_addc_co_u32_e32 v6, vcc, 0, v6, vcc
	v_fma_f64 v[20:21], v[18:19], v[22:23], v[7:8]
	ds_read_b128 v[7:10], v14 offset:16
	ds_read2_b64 v[16:19], v12 offset0:32 offset1:48
	s_waitcnt lgkmcnt(0)
	v_fma_f64 v[7:8], v[16:17], v[7:8], v[20:21]
	v_fma_f64 v[20:21], v[18:19], v[9:10], v[7:8]
	ds_read2_b64 v[7:10], v12 offset0:64 offset1:80
	ds_read_b128 v[16:19], v14 offset:32
	s_waitcnt lgkmcnt(0)
	v_fma_f64 v[7:8], v[7:8], v[16:17], v[20:21]
	v_fma_f64 v[20:21], v[9:10], v[18:19], v[7:8]
	ds_read_b128 v[7:10], v14 offset:48
	ds_read2_b64 v[16:19], v12 offset0:96 offset1:112
	s_waitcnt lgkmcnt(0)
	v_fma_f64 v[7:8], v[16:17], v[7:8], v[20:21]
	v_fma_f64 v[20:21], v[18:19], v[9:10], v[7:8]
	ds_read2_b64 v[7:10], v12 offset0:128 offset1:144
	ds_read_b128 v[16:19], v14 offset:64
	s_waitcnt lgkmcnt(0)
	v_fma_f64 v[7:8], v[7:8], v[16:17], v[20:21]
	;; [unrolled: 10-line block ×3, first 2 shown]
	v_fma_f64 v[20:21], v[9:10], v[18:19], v[7:8]
	ds_read_b128 v[7:10], v14 offset:112
	ds_read2_b64 v[16:19], v12 offset0:224 offset1:240
	s_waitcnt lgkmcnt(0)
	s_barrier
	v_fma_f64 v[7:8], v[16:17], v[7:8], v[20:21]
	v_fma_f64 v[7:8], v[18:19], v[9:10], v[7:8]
	s_cbranch_scc1 .LBB128_8
.LBB128_3:                              ; =>This Inner Loop Header: Depth=1
	v_add_u32_e32 v9, s9, v1
	v_cmp_gt_i32_e32 vcc, s11, v9
	v_mov_b32_e32 v9, 0
	v_mov_b32_e32 v10, 0
	s_and_b64 s[14:15], s[0:1], vcc
	s_and_saveexec_b64 s[6:7], s[14:15]
	s_cbranch_execz .LBB128_5
; %bb.4:                                ;   in Loop: Header=BB128_3 Depth=1
	global_load_dwordx2 v[9:10], v[5:6], off
.LBB128_5:                              ;   in Loop: Header=BB128_3 Depth=1
	s_or_b64 exec, exec, s[6:7]
	s_waitcnt vmcnt(0)
	ds_write_b64 v13, v[9:10]
	v_add_u32_e32 v9, s9, v0
	v_cmp_gt_i32_e32 vcc, s11, v9
	v_mov_b32_e32 v9, 0
	v_mov_b32_e32 v10, 0
	s_and_b64 s[14:15], s[2:3], vcc
	s_and_saveexec_b64 s[6:7], s[14:15]
	s_cbranch_execz .LBB128_2
; %bb.6:                                ;   in Loop: Header=BB128_3 Depth=1
	global_load_dwordx2 v[9:10], v[3:4], off
	s_branch .LBB128_2
.LBB128_7:
	v_mov_b32_e32 v7, 0
	v_mov_b32_e32 v8, 0
.LBB128_8:
	v_cmp_le_i32_e32 vcc, v11, v2
	v_cmp_gt_i32_e64 s[0:1], s10, v2
	s_and_b64 s[0:1], vcc, s[0:1]
	s_and_saveexec_b64 s[2:3], s[0:1]
	s_cbranch_execz .LBB128_10
; %bb.9:
	s_load_dwordx2 s[0:1], s[4:5], 0x58
	s_load_dwordx2 s[2:3], s[4:5], 0x48
	s_load_dword s6, s[4:5], 0x50
	v_mul_f64 v[4:5], s[12:13], v[7:8]
	v_ashrrev_i32_e32 v3, 31, v2
	s_waitcnt lgkmcnt(0)
	s_mul_i32 s1, s1, s8
	s_mul_hi_u32 s4, s0, s8
	s_add_i32 s1, s4, s1
	v_mad_i64_i32 v[0:1], s[4:5], s6, v11, 0
	s_mul_i32 s0, s0, s8
	s_lshl_b64 s[0:1], s[0:1], 3
	s_add_u32 s0, s2, s0
	v_lshlrev_b64 v[0:1], 3, v[0:1]
	s_addc_u32 s1, s3, s1
	v_mov_b32_e32 v6, s1
	v_add_co_u32_e32 v7, vcc, s0, v0
	v_addc_co_u32_e32 v6, vcc, v6, v1, vcc
	v_lshlrev_b64 v[0:1], 3, v[2:3]
	v_add_co_u32_e32 v0, vcc, v7, v0
	v_addc_co_u32_e32 v1, vcc, v6, v1, vcc
	global_store_dwordx2 v[0:1], v[4:5], off
.LBB128_10:
	s_endpgm
	.section	.rodata,"a",@progbits
	.p2align	6, 0x0
	.amdhsa_kernel _ZL32rocblas_syrkx_herkx_small_kernelIidLi16ELb1ELb0ELc67ELc76EKddEviT_T0_PT6_S1_lS4_S1_lS2_PT7_S1_li
		.amdhsa_group_segment_fixed_size 4096
		.amdhsa_private_segment_fixed_size 0
		.amdhsa_kernarg_size 100
		.amdhsa_user_sgpr_count 6
		.amdhsa_user_sgpr_private_segment_buffer 1
		.amdhsa_user_sgpr_dispatch_ptr 0
		.amdhsa_user_sgpr_queue_ptr 0
		.amdhsa_user_sgpr_kernarg_segment_ptr 1
		.amdhsa_user_sgpr_dispatch_id 0
		.amdhsa_user_sgpr_flat_scratch_init 0
		.amdhsa_user_sgpr_private_segment_size 0
		.amdhsa_uses_dynamic_stack 0
		.amdhsa_system_sgpr_private_segment_wavefront_offset 0
		.amdhsa_system_sgpr_workgroup_id_x 1
		.amdhsa_system_sgpr_workgroup_id_y 1
		.amdhsa_system_sgpr_workgroup_id_z 1
		.amdhsa_system_sgpr_workgroup_info 0
		.amdhsa_system_vgpr_workitem_id 1
		.amdhsa_next_free_vgpr 24
		.amdhsa_next_free_sgpr 22
		.amdhsa_reserve_vcc 1
		.amdhsa_reserve_flat_scratch 0
		.amdhsa_float_round_mode_32 0
		.amdhsa_float_round_mode_16_64 0
		.amdhsa_float_denorm_mode_32 3
		.amdhsa_float_denorm_mode_16_64 3
		.amdhsa_dx10_clamp 1
		.amdhsa_ieee_mode 1
		.amdhsa_fp16_overflow 0
		.amdhsa_exception_fp_ieee_invalid_op 0
		.amdhsa_exception_fp_denorm_src 0
		.amdhsa_exception_fp_ieee_div_zero 0
		.amdhsa_exception_fp_ieee_overflow 0
		.amdhsa_exception_fp_ieee_underflow 0
		.amdhsa_exception_fp_ieee_inexact 0
		.amdhsa_exception_int_div_zero 0
	.end_amdhsa_kernel
	.section	.text._ZL32rocblas_syrkx_herkx_small_kernelIidLi16ELb1ELb0ELc67ELc76EKddEviT_T0_PT6_S1_lS4_S1_lS2_PT7_S1_li,"axG",@progbits,_ZL32rocblas_syrkx_herkx_small_kernelIidLi16ELb1ELb0ELc67ELc76EKddEviT_T0_PT6_S1_lS4_S1_lS2_PT7_S1_li,comdat
.Lfunc_end128:
	.size	_ZL32rocblas_syrkx_herkx_small_kernelIidLi16ELb1ELb0ELc67ELc76EKddEviT_T0_PT6_S1_lS4_S1_lS2_PT7_S1_li, .Lfunc_end128-_ZL32rocblas_syrkx_herkx_small_kernelIidLi16ELb1ELb0ELc67ELc76EKddEviT_T0_PT6_S1_lS4_S1_lS2_PT7_S1_li
                                        ; -- End function
	.set _ZL32rocblas_syrkx_herkx_small_kernelIidLi16ELb1ELb0ELc67ELc76EKddEviT_T0_PT6_S1_lS4_S1_lS2_PT7_S1_li.num_vgpr, 24
	.set _ZL32rocblas_syrkx_herkx_small_kernelIidLi16ELb1ELb0ELc67ELc76EKddEviT_T0_PT6_S1_lS4_S1_lS2_PT7_S1_li.num_agpr, 0
	.set _ZL32rocblas_syrkx_herkx_small_kernelIidLi16ELb1ELb0ELc67ELc76EKddEviT_T0_PT6_S1_lS4_S1_lS2_PT7_S1_li.numbered_sgpr, 22
	.set _ZL32rocblas_syrkx_herkx_small_kernelIidLi16ELb1ELb0ELc67ELc76EKddEviT_T0_PT6_S1_lS4_S1_lS2_PT7_S1_li.num_named_barrier, 0
	.set _ZL32rocblas_syrkx_herkx_small_kernelIidLi16ELb1ELb0ELc67ELc76EKddEviT_T0_PT6_S1_lS4_S1_lS2_PT7_S1_li.private_seg_size, 0
	.set _ZL32rocblas_syrkx_herkx_small_kernelIidLi16ELb1ELb0ELc67ELc76EKddEviT_T0_PT6_S1_lS4_S1_lS2_PT7_S1_li.uses_vcc, 1
	.set _ZL32rocblas_syrkx_herkx_small_kernelIidLi16ELb1ELb0ELc67ELc76EKddEviT_T0_PT6_S1_lS4_S1_lS2_PT7_S1_li.uses_flat_scratch, 0
	.set _ZL32rocblas_syrkx_herkx_small_kernelIidLi16ELb1ELb0ELc67ELc76EKddEviT_T0_PT6_S1_lS4_S1_lS2_PT7_S1_li.has_dyn_sized_stack, 0
	.set _ZL32rocblas_syrkx_herkx_small_kernelIidLi16ELb1ELb0ELc67ELc76EKddEviT_T0_PT6_S1_lS4_S1_lS2_PT7_S1_li.has_recursion, 0
	.set _ZL32rocblas_syrkx_herkx_small_kernelIidLi16ELb1ELb0ELc67ELc76EKddEviT_T0_PT6_S1_lS4_S1_lS2_PT7_S1_li.has_indirect_call, 0
	.section	.AMDGPU.csdata,"",@progbits
; Kernel info:
; codeLenInByte = 876
; TotalNumSgprs: 26
; NumVgprs: 24
; ScratchSize: 0
; MemoryBound: 0
; FloatMode: 240
; IeeeMode: 1
; LDSByteSize: 4096 bytes/workgroup (compile time only)
; SGPRBlocks: 3
; VGPRBlocks: 5
; NumSGPRsForWavesPerEU: 26
; NumVGPRsForWavesPerEU: 24
; Occupancy: 10
; WaveLimiterHint : 0
; COMPUTE_PGM_RSRC2:SCRATCH_EN: 0
; COMPUTE_PGM_RSRC2:USER_SGPR: 6
; COMPUTE_PGM_RSRC2:TRAP_HANDLER: 0
; COMPUTE_PGM_RSRC2:TGID_X_EN: 1
; COMPUTE_PGM_RSRC2:TGID_Y_EN: 1
; COMPUTE_PGM_RSRC2:TGID_Z_EN: 1
; COMPUTE_PGM_RSRC2:TIDIG_COMP_CNT: 1
	.section	.text._ZL32rocblas_syrkx_herkx_small_kernelIidLi16ELb1ELb0ELc78ELc76EKddEviT_T0_PT6_S1_lS4_S1_lS2_PT7_S1_li,"axG",@progbits,_ZL32rocblas_syrkx_herkx_small_kernelIidLi16ELb1ELb0ELc78ELc76EKddEviT_T0_PT6_S1_lS4_S1_lS2_PT7_S1_li,comdat
	.globl	_ZL32rocblas_syrkx_herkx_small_kernelIidLi16ELb1ELb0ELc78ELc76EKddEviT_T0_PT6_S1_lS4_S1_lS2_PT7_S1_li ; -- Begin function _ZL32rocblas_syrkx_herkx_small_kernelIidLi16ELb1ELb0ELc78ELc76EKddEviT_T0_PT6_S1_lS4_S1_lS2_PT7_S1_li
	.p2align	8
	.type	_ZL32rocblas_syrkx_herkx_small_kernelIidLi16ELb1ELb0ELc78ELc76EKddEviT_T0_PT6_S1_lS4_S1_lS2_PT7_S1_li,@function
_ZL32rocblas_syrkx_herkx_small_kernelIidLi16ELb1ELb0ELc78ELc76EKddEviT_T0_PT6_S1_lS4_S1_lS2_PT7_S1_li: ; @_ZL32rocblas_syrkx_herkx_small_kernelIidLi16ELb1ELb0ELc78ELc76EKddEviT_T0_PT6_S1_lS4_S1_lS2_PT7_S1_li
; %bb.0:
	s_load_dwordx2 s[10:11], s[4:5], 0x0
	s_load_dwordx4 s[12:15], s[4:5], 0x8
	v_lshl_add_u32 v2, s6, 4, v0
	s_mov_b32 s9, 0
	v_lshl_add_u32 v4, s7, 4, v1
	s_waitcnt lgkmcnt(0)
	s_cmp_lt_i32 s11, 1
	v_cmp_gt_i32_e32 vcc, s10, v2
	v_ashrrev_i32_e32 v3, 31, v2
	s_cbranch_scc1 .LBB129_7
; %bb.1:
	s_load_dword s20, s[4:5], 0x18
	s_load_dword s6, s[4:5], 0x30
	s_load_dwordx4 s[16:19], s[4:5], 0x20
	s_load_dwordx2 s[2:3], s[4:5], 0x38
	v_lshlrev_b32_e32 v5, 7, v1
	v_lshlrev_b32_e32 v13, 3, v0
	s_waitcnt lgkmcnt(0)
	v_mad_i64_i32 v[6:7], s[22:23], s6, v0, 0
	s_mul_i32 s3, s3, s8
	s_mul_hi_u32 s24, s2, s8
	s_add_i32 s3, s24, s3
	s_mul_i32 s2, s2, s8
	v_lshlrev_b64 v[6:7], 3, v[6:7]
	v_add_u32_e32 v14, v13, v5
	v_add_u32_e32 v15, 0x800, v5
	v_ashrrev_i32_e32 v5, 31, v4
	s_lshl_b64 s[2:3], s[2:3], 3
	v_mov_b32_e32 v8, s3
	v_add_co_u32_e64 v9, s[2:3], s2, v6
	v_lshlrev_b64 v[5:6], 3, v[4:5]
	v_addc_co_u32_e64 v7, s[2:3], v8, v7, s[2:3]
	v_add_co_u32_e64 v5, s[2:3], v9, v5
	v_addc_co_u32_e64 v6, s[2:3], v7, v6, s[2:3]
	v_mov_b32_e32 v7, s19
	v_add_co_u32_e64 v5, s[2:3], s18, v5
	v_addc_co_u32_e64 v6, s[2:3], v7, v6, s[2:3]
	v_mad_i64_i32 v[7:8], s[2:3], s20, v1, 0
	s_mul_i32 s17, s17, s8
	s_mul_hi_u32 s18, s16, s8
	s_add_i32 s3, s18, s17
	s_mul_i32 s2, s16, s8
	v_lshlrev_b64 v[7:8], 3, v[7:8]
	s_lshl_b64 s[2:3], s[2:3], 3
	v_mov_b32_e32 v9, s3
	v_add_co_u32_e64 v10, s[2:3], s2, v7
	v_addc_co_u32_e64 v9, s[2:3], v9, v8, s[2:3]
	v_lshlrev_b64 v[7:8], 3, v[2:3]
	s_ashr_i32 s21, s20, 31
	v_add_co_u32_e64 v7, s[2:3], v10, v7
	v_addc_co_u32_e64 v8, s[2:3], v9, v8, s[2:3]
	s_ashr_i32 s7, s6, 31
	v_mov_b32_e32 v9, s15
	v_add_co_u32_e64 v7, s[2:3], s14, v7
	s_lshl_b64 s[6:7], s[6:7], 7
	v_addc_co_u32_e64 v8, s[2:3], v9, v8, s[2:3]
	s_lshl_b64 s[14:15], s[20:21], 7
	v_mov_b32_e32 v9, 0
	v_cmp_gt_i32_e64 s[0:1], s10, v4
	v_add_u32_e32 v16, v15, v13
	v_mov_b32_e32 v10, 0
	v_mov_b32_e32 v17, s7
	;; [unrolled: 1-line block ×3, first 2 shown]
	s_branch .LBB129_3
.LBB129_2:                              ;   in Loop: Header=BB129_3 Depth=1
	s_or_b64 exec, exec, s[2:3]
	s_waitcnt vmcnt(0)
	ds_write_b64 v16, v[11:12]
	s_waitcnt lgkmcnt(0)
	s_barrier
	ds_read2_b64 v[19:22], v13 offset1:16
	ds_read_b128 v[23:26], v15
	v_add_co_u32_e64 v5, s[2:3], s6, v5
	v_addc_co_u32_e64 v6, s[2:3], v6, v17, s[2:3]
	s_waitcnt lgkmcnt(0)
	v_fma_f64 v[9:10], v[19:20], v[23:24], v[9:10]
	s_add_i32 s9, s9, 16
	v_add_co_u32_e64 v7, s[2:3], s14, v7
	s_cmp_ge_i32 s9, s11
	v_addc_co_u32_e64 v8, s[2:3], v8, v18, s[2:3]
	v_fma_f64 v[23:24], v[21:22], v[25:26], v[9:10]
	ds_read_b128 v[9:12], v15 offset:16
	ds_read2_b64 v[19:22], v13 offset0:32 offset1:48
	s_waitcnt lgkmcnt(0)
	v_fma_f64 v[9:10], v[19:20], v[9:10], v[23:24]
	v_fma_f64 v[23:24], v[21:22], v[11:12], v[9:10]
	ds_read2_b64 v[9:12], v13 offset0:64 offset1:80
	ds_read_b128 v[19:22], v15 offset:32
	s_waitcnt lgkmcnt(0)
	v_fma_f64 v[9:10], v[9:10], v[19:20], v[23:24]
	v_fma_f64 v[23:24], v[11:12], v[21:22], v[9:10]
	ds_read_b128 v[9:12], v15 offset:48
	ds_read2_b64 v[19:22], v13 offset0:96 offset1:112
	s_waitcnt lgkmcnt(0)
	v_fma_f64 v[9:10], v[19:20], v[9:10], v[23:24]
	v_fma_f64 v[23:24], v[21:22], v[11:12], v[9:10]
	ds_read2_b64 v[9:12], v13 offset0:128 offset1:144
	ds_read_b128 v[19:22], v15 offset:64
	s_waitcnt lgkmcnt(0)
	v_fma_f64 v[9:10], v[9:10], v[19:20], v[23:24]
	;; [unrolled: 10-line block ×3, first 2 shown]
	v_fma_f64 v[23:24], v[11:12], v[21:22], v[9:10]
	ds_read_b128 v[9:12], v15 offset:112
	ds_read2_b64 v[19:22], v13 offset0:224 offset1:240
	s_waitcnt lgkmcnt(0)
	s_barrier
	v_fma_f64 v[9:10], v[19:20], v[9:10], v[23:24]
	v_fma_f64 v[9:10], v[21:22], v[11:12], v[9:10]
	s_cbranch_scc1 .LBB129_8
.LBB129_3:                              ; =>This Inner Loop Header: Depth=1
	v_add_u32_e32 v11, s9, v1
	v_cmp_gt_i32_e64 s[2:3], s11, v11
	v_mov_b32_e32 v11, 0
	v_mov_b32_e32 v12, 0
	s_and_b64 s[16:17], vcc, s[2:3]
	s_and_saveexec_b64 s[2:3], s[16:17]
	s_cbranch_execz .LBB129_5
; %bb.4:                                ;   in Loop: Header=BB129_3 Depth=1
	global_load_dwordx2 v[11:12], v[7:8], off
.LBB129_5:                              ;   in Loop: Header=BB129_3 Depth=1
	s_or_b64 exec, exec, s[2:3]
	s_waitcnt vmcnt(0)
	ds_write_b64 v14, v[11:12]
	v_add_u32_e32 v11, s9, v0
	v_cmp_gt_i32_e64 s[2:3], s11, v11
	v_mov_b32_e32 v11, 0
	v_mov_b32_e32 v12, 0
	s_and_b64 s[16:17], s[0:1], s[2:3]
	s_and_saveexec_b64 s[2:3], s[16:17]
	s_cbranch_execz .LBB129_2
; %bb.6:                                ;   in Loop: Header=BB129_3 Depth=1
	global_load_dwordx2 v[11:12], v[5:6], off
	s_branch .LBB129_2
.LBB129_7:
	v_mov_b32_e32 v9, 0
	v_mov_b32_e32 v10, 0
.LBB129_8:
	v_cmp_le_i32_e32 vcc, v4, v2
	v_cmp_gt_i32_e64 s[0:1], s10, v2
	s_and_b64 s[0:1], vcc, s[0:1]
	s_and_saveexec_b64 s[2:3], s[0:1]
	s_cbranch_execz .LBB129_10
; %bb.9:
	s_load_dwordx2 s[0:1], s[4:5], 0x58
	s_load_dwordx2 s[2:3], s[4:5], 0x48
	s_load_dword s6, s[4:5], 0x50
	s_waitcnt lgkmcnt(0)
	s_mul_i32 s1, s1, s8
	s_mul_hi_u32 s4, s0, s8
	s_add_i32 s1, s4, s1
	v_mad_i64_i32 v[0:1], s[4:5], s6, v4, 0
	s_mul_i32 s0, s0, s8
	s_lshl_b64 s[0:1], s[0:1], 3
	v_mul_f64 v[4:5], s[12:13], v[9:10]
	s_add_u32 s0, s2, s0
	v_lshlrev_b64 v[0:1], 3, v[0:1]
	s_addc_u32 s1, s3, s1
	v_mov_b32_e32 v6, s1
	v_add_co_u32_e32 v7, vcc, s0, v0
	v_addc_co_u32_e32 v6, vcc, v6, v1, vcc
	v_lshlrev_b64 v[0:1], 3, v[2:3]
	v_add_co_u32_e32 v0, vcc, v7, v0
	v_addc_co_u32_e32 v1, vcc, v6, v1, vcc
	global_store_dwordx2 v[0:1], v[4:5], off
.LBB129_10:
	s_endpgm
	.section	.rodata,"a",@progbits
	.p2align	6, 0x0
	.amdhsa_kernel _ZL32rocblas_syrkx_herkx_small_kernelIidLi16ELb1ELb0ELc78ELc76EKddEviT_T0_PT6_S1_lS4_S1_lS2_PT7_S1_li
		.amdhsa_group_segment_fixed_size 4096
		.amdhsa_private_segment_fixed_size 0
		.amdhsa_kernarg_size 100
		.amdhsa_user_sgpr_count 6
		.amdhsa_user_sgpr_private_segment_buffer 1
		.amdhsa_user_sgpr_dispatch_ptr 0
		.amdhsa_user_sgpr_queue_ptr 0
		.amdhsa_user_sgpr_kernarg_segment_ptr 1
		.amdhsa_user_sgpr_dispatch_id 0
		.amdhsa_user_sgpr_flat_scratch_init 0
		.amdhsa_user_sgpr_private_segment_size 0
		.amdhsa_uses_dynamic_stack 0
		.amdhsa_system_sgpr_private_segment_wavefront_offset 0
		.amdhsa_system_sgpr_workgroup_id_x 1
		.amdhsa_system_sgpr_workgroup_id_y 1
		.amdhsa_system_sgpr_workgroup_id_z 1
		.amdhsa_system_sgpr_workgroup_info 0
		.amdhsa_system_vgpr_workitem_id 1
		.amdhsa_next_free_vgpr 27
		.amdhsa_next_free_sgpr 25
		.amdhsa_reserve_vcc 1
		.amdhsa_reserve_flat_scratch 0
		.amdhsa_float_round_mode_32 0
		.amdhsa_float_round_mode_16_64 0
		.amdhsa_float_denorm_mode_32 3
		.amdhsa_float_denorm_mode_16_64 3
		.amdhsa_dx10_clamp 1
		.amdhsa_ieee_mode 1
		.amdhsa_fp16_overflow 0
		.amdhsa_exception_fp_ieee_invalid_op 0
		.amdhsa_exception_fp_denorm_src 0
		.amdhsa_exception_fp_ieee_div_zero 0
		.amdhsa_exception_fp_ieee_overflow 0
		.amdhsa_exception_fp_ieee_underflow 0
		.amdhsa_exception_fp_ieee_inexact 0
		.amdhsa_exception_int_div_zero 0
	.end_amdhsa_kernel
	.section	.text._ZL32rocblas_syrkx_herkx_small_kernelIidLi16ELb1ELb0ELc78ELc76EKddEviT_T0_PT6_S1_lS4_S1_lS2_PT7_S1_li,"axG",@progbits,_ZL32rocblas_syrkx_herkx_small_kernelIidLi16ELb1ELb0ELc78ELc76EKddEviT_T0_PT6_S1_lS4_S1_lS2_PT7_S1_li,comdat
.Lfunc_end129:
	.size	_ZL32rocblas_syrkx_herkx_small_kernelIidLi16ELb1ELb0ELc78ELc76EKddEviT_T0_PT6_S1_lS4_S1_lS2_PT7_S1_li, .Lfunc_end129-_ZL32rocblas_syrkx_herkx_small_kernelIidLi16ELb1ELb0ELc78ELc76EKddEviT_T0_PT6_S1_lS4_S1_lS2_PT7_S1_li
                                        ; -- End function
	.set _ZL32rocblas_syrkx_herkx_small_kernelIidLi16ELb1ELb0ELc78ELc76EKddEviT_T0_PT6_S1_lS4_S1_lS2_PT7_S1_li.num_vgpr, 27
	.set _ZL32rocblas_syrkx_herkx_small_kernelIidLi16ELb1ELb0ELc78ELc76EKddEviT_T0_PT6_S1_lS4_S1_lS2_PT7_S1_li.num_agpr, 0
	.set _ZL32rocblas_syrkx_herkx_small_kernelIidLi16ELb1ELb0ELc78ELc76EKddEviT_T0_PT6_S1_lS4_S1_lS2_PT7_S1_li.numbered_sgpr, 25
	.set _ZL32rocblas_syrkx_herkx_small_kernelIidLi16ELb1ELb0ELc78ELc76EKddEviT_T0_PT6_S1_lS4_S1_lS2_PT7_S1_li.num_named_barrier, 0
	.set _ZL32rocblas_syrkx_herkx_small_kernelIidLi16ELb1ELb0ELc78ELc76EKddEviT_T0_PT6_S1_lS4_S1_lS2_PT7_S1_li.private_seg_size, 0
	.set _ZL32rocblas_syrkx_herkx_small_kernelIidLi16ELb1ELb0ELc78ELc76EKddEviT_T0_PT6_S1_lS4_S1_lS2_PT7_S1_li.uses_vcc, 1
	.set _ZL32rocblas_syrkx_herkx_small_kernelIidLi16ELb1ELb0ELc78ELc76EKddEviT_T0_PT6_S1_lS4_S1_lS2_PT7_S1_li.uses_flat_scratch, 0
	.set _ZL32rocblas_syrkx_herkx_small_kernelIidLi16ELb1ELb0ELc78ELc76EKddEviT_T0_PT6_S1_lS4_S1_lS2_PT7_S1_li.has_dyn_sized_stack, 0
	.set _ZL32rocblas_syrkx_herkx_small_kernelIidLi16ELb1ELb0ELc78ELc76EKddEviT_T0_PT6_S1_lS4_S1_lS2_PT7_S1_li.has_recursion, 0
	.set _ZL32rocblas_syrkx_herkx_small_kernelIidLi16ELb1ELb0ELc78ELc76EKddEviT_T0_PT6_S1_lS4_S1_lS2_PT7_S1_li.has_indirect_call, 0
	.section	.AMDGPU.csdata,"",@progbits
; Kernel info:
; codeLenInByte = 976
; TotalNumSgprs: 29
; NumVgprs: 27
; ScratchSize: 0
; MemoryBound: 0
; FloatMode: 240
; IeeeMode: 1
; LDSByteSize: 4096 bytes/workgroup (compile time only)
; SGPRBlocks: 3
; VGPRBlocks: 6
; NumSGPRsForWavesPerEU: 29
; NumVGPRsForWavesPerEU: 27
; Occupancy: 9
; WaveLimiterHint : 0
; COMPUTE_PGM_RSRC2:SCRATCH_EN: 0
; COMPUTE_PGM_RSRC2:USER_SGPR: 6
; COMPUTE_PGM_RSRC2:TRAP_HANDLER: 0
; COMPUTE_PGM_RSRC2:TGID_X_EN: 1
; COMPUTE_PGM_RSRC2:TGID_Y_EN: 1
; COMPUTE_PGM_RSRC2:TGID_Z_EN: 1
; COMPUTE_PGM_RSRC2:TIDIG_COMP_CNT: 1
	.section	.text._ZL32rocblas_syrkx_herkx_small_kernelIidLi16ELb1ELb0ELc84ELc85EKddEviT_T0_PT6_S1_lS4_S1_lS2_PT7_S1_li,"axG",@progbits,_ZL32rocblas_syrkx_herkx_small_kernelIidLi16ELb1ELb0ELc84ELc85EKddEviT_T0_PT6_S1_lS4_S1_lS2_PT7_S1_li,comdat
	.globl	_ZL32rocblas_syrkx_herkx_small_kernelIidLi16ELb1ELb0ELc84ELc85EKddEviT_T0_PT6_S1_lS4_S1_lS2_PT7_S1_li ; -- Begin function _ZL32rocblas_syrkx_herkx_small_kernelIidLi16ELb1ELb0ELc84ELc85EKddEviT_T0_PT6_S1_lS4_S1_lS2_PT7_S1_li
	.p2align	8
	.type	_ZL32rocblas_syrkx_herkx_small_kernelIidLi16ELb1ELb0ELc84ELc85EKddEviT_T0_PT6_S1_lS4_S1_lS2_PT7_S1_li,@function
_ZL32rocblas_syrkx_herkx_small_kernelIidLi16ELb1ELb0ELc84ELc85EKddEviT_T0_PT6_S1_lS4_S1_lS2_PT7_S1_li: ; @_ZL32rocblas_syrkx_herkx_small_kernelIidLi16ELb1ELb0ELc84ELc85EKddEviT_T0_PT6_S1_lS4_S1_lS2_PT7_S1_li
; %bb.0:
	s_load_dwordx2 s[10:11], s[4:5], 0x0
	s_load_dwordx4 s[12:15], s[4:5], 0x8
	v_lshl_add_u32 v11, s7, 4, v1
	s_mov_b32 s9, 0
	v_lshl_add_u32 v2, s6, 4, v0
	s_waitcnt lgkmcnt(0)
	s_cmp_lt_i32 s11, 1
	v_cmp_gt_i32_e64 s[0:1], s10, v11
	s_cbranch_scc1 .LBB130_7
; %bb.1:
	s_load_dword s22, s[4:5], 0x18
	s_load_dwordx4 s[16:19], s[4:5], 0x20
	s_load_dword s20, s[4:5], 0x30
	s_load_dwordx2 s[6:7], s[4:5], 0x38
	v_lshlrev_b32_e32 v5, 7, v1
	v_lshlrev_b32_e32 v12, 3, v0
	v_add_u32_e32 v13, v12, v5
	s_waitcnt lgkmcnt(0)
	v_mad_i64_i32 v[3:4], s[20:21], s20, v11, 0
	s_mul_i32 s7, s7, s8
	s_mul_hi_u32 s20, s6, s8
	v_lshlrev_b64 v[3:4], 3, v[3:4]
	s_add_i32 s7, s20, s7
	s_mul_i32 s6, s6, s8
	s_lshl_b64 s[6:7], s[6:7], 3
	v_add_u32_e32 v14, 0x800, v5
	v_mov_b32_e32 v5, s7
	v_add_co_u32_e32 v3, vcc, s6, v3
	v_addc_co_u32_e32 v4, vcc, v4, v5, vcc
	v_mad_i64_i32 v[5:6], s[6:7], s22, v2, 0
	v_add_co_u32_e32 v3, vcc, v3, v12
	v_addc_co_u32_e32 v4, vcc, 0, v4, vcc
	s_mul_i32 s6, s17, s8
	s_mul_hi_u32 s7, s16, s8
	v_mov_b32_e32 v7, s19
	v_add_co_u32_e32 v3, vcc, s18, v3
	v_lshlrev_b64 v[5:6], 3, v[5:6]
	s_add_i32 s7, s7, s6
	s_mul_i32 s6, s16, s8
	v_addc_co_u32_e32 v4, vcc, v7, v4, vcc
	s_lshl_b64 s[6:7], s[6:7], 3
	v_mov_b32_e32 v7, s7
	v_add_co_u32_e32 v5, vcc, s6, v5
	v_addc_co_u32_e32 v6, vcc, v6, v7, vcc
	v_lshlrev_b32_e32 v7, 3, v1
	v_add_co_u32_e32 v5, vcc, v5, v7
	v_addc_co_u32_e32 v6, vcc, 0, v6, vcc
	v_mov_b32_e32 v9, s15
	v_mov_b32_e32 v7, 0
	v_add_co_u32_e32 v5, vcc, s14, v5
	v_cmp_gt_i32_e64 s[2:3], s10, v2
	v_add_u32_e32 v15, v14, v12
	v_mov_b32_e32 v8, 0
	v_addc_co_u32_e32 v6, vcc, v9, v6, vcc
	s_branch .LBB130_3
.LBB130_2:                              ;   in Loop: Header=BB130_3 Depth=1
	s_or_b64 exec, exec, s[6:7]
	s_waitcnt vmcnt(0)
	ds_write_b64 v15, v[9:10]
	s_waitcnt lgkmcnt(0)
	s_barrier
	ds_read2_b64 v[16:19], v12 offset1:16
	ds_read_b128 v[20:23], v14
	v_add_co_u32_e32 v3, vcc, 0x80, v3
	v_addc_co_u32_e32 v4, vcc, 0, v4, vcc
	s_waitcnt lgkmcnt(0)
	v_fma_f64 v[7:8], v[16:17], v[20:21], v[7:8]
	s_add_i32 s9, s9, 16
	v_add_co_u32_e32 v5, vcc, 0x80, v5
	s_cmp_ge_i32 s9, s11
	v_addc_co_u32_e32 v6, vcc, 0, v6, vcc
	v_fma_f64 v[20:21], v[18:19], v[22:23], v[7:8]
	ds_read_b128 v[7:10], v14 offset:16
	ds_read2_b64 v[16:19], v12 offset0:32 offset1:48
	s_waitcnt lgkmcnt(0)
	v_fma_f64 v[7:8], v[16:17], v[7:8], v[20:21]
	v_fma_f64 v[20:21], v[18:19], v[9:10], v[7:8]
	ds_read2_b64 v[7:10], v12 offset0:64 offset1:80
	ds_read_b128 v[16:19], v14 offset:32
	s_waitcnt lgkmcnt(0)
	v_fma_f64 v[7:8], v[7:8], v[16:17], v[20:21]
	v_fma_f64 v[20:21], v[9:10], v[18:19], v[7:8]
	ds_read_b128 v[7:10], v14 offset:48
	ds_read2_b64 v[16:19], v12 offset0:96 offset1:112
	s_waitcnt lgkmcnt(0)
	v_fma_f64 v[7:8], v[16:17], v[7:8], v[20:21]
	v_fma_f64 v[20:21], v[18:19], v[9:10], v[7:8]
	ds_read2_b64 v[7:10], v12 offset0:128 offset1:144
	ds_read_b128 v[16:19], v14 offset:64
	s_waitcnt lgkmcnt(0)
	v_fma_f64 v[7:8], v[7:8], v[16:17], v[20:21]
	;; [unrolled: 10-line block ×3, first 2 shown]
	v_fma_f64 v[20:21], v[9:10], v[18:19], v[7:8]
	ds_read_b128 v[7:10], v14 offset:112
	ds_read2_b64 v[16:19], v12 offset0:224 offset1:240
	s_waitcnt lgkmcnt(0)
	s_barrier
	v_fma_f64 v[7:8], v[16:17], v[7:8], v[20:21]
	v_fma_f64 v[7:8], v[18:19], v[9:10], v[7:8]
	s_cbranch_scc1 .LBB130_8
.LBB130_3:                              ; =>This Inner Loop Header: Depth=1
	v_add_u32_e32 v9, s9, v1
	v_cmp_gt_i32_e32 vcc, s11, v9
	v_mov_b32_e32 v9, 0
	v_mov_b32_e32 v10, 0
	s_and_b64 s[14:15], s[2:3], vcc
	s_and_saveexec_b64 s[6:7], s[14:15]
	s_cbranch_execz .LBB130_5
; %bb.4:                                ;   in Loop: Header=BB130_3 Depth=1
	global_load_dwordx2 v[9:10], v[5:6], off
.LBB130_5:                              ;   in Loop: Header=BB130_3 Depth=1
	s_or_b64 exec, exec, s[6:7]
	s_waitcnt vmcnt(0)
	ds_write_b64 v13, v[9:10]
	v_add_u32_e32 v9, s9, v0
	v_cmp_gt_i32_e32 vcc, s11, v9
	v_mov_b32_e32 v9, 0
	v_mov_b32_e32 v10, 0
	s_and_b64 s[14:15], s[0:1], vcc
	s_and_saveexec_b64 s[6:7], s[14:15]
	s_cbranch_execz .LBB130_2
; %bb.6:                                ;   in Loop: Header=BB130_3 Depth=1
	global_load_dwordx2 v[9:10], v[3:4], off
	s_branch .LBB130_2
.LBB130_7:
	v_mov_b32_e32 v7, 0
	v_mov_b32_e32 v8, 0
.LBB130_8:
	v_cmp_le_i32_e32 vcc, v2, v11
	v_cmp_gt_i32_e64 s[0:1], s10, v11
	s_and_b64 s[0:1], vcc, s[0:1]
	s_and_saveexec_b64 s[2:3], s[0:1]
	s_cbranch_execz .LBB130_10
; %bb.9:
	s_load_dwordx2 s[0:1], s[4:5], 0x58
	s_load_dwordx2 s[2:3], s[4:5], 0x48
	s_load_dword s6, s[4:5], 0x50
	v_mul_f64 v[4:5], s[12:13], v[7:8]
	v_ashrrev_i32_e32 v3, 31, v2
	s_waitcnt lgkmcnt(0)
	s_mul_i32 s1, s1, s8
	s_mul_hi_u32 s4, s0, s8
	s_add_i32 s1, s4, s1
	v_mad_i64_i32 v[0:1], s[4:5], s6, v11, 0
	s_mul_i32 s0, s0, s8
	s_lshl_b64 s[0:1], s[0:1], 3
	s_add_u32 s0, s2, s0
	v_lshlrev_b64 v[0:1], 3, v[0:1]
	s_addc_u32 s1, s3, s1
	v_mov_b32_e32 v6, s1
	v_add_co_u32_e32 v7, vcc, s0, v0
	v_addc_co_u32_e32 v6, vcc, v6, v1, vcc
	v_lshlrev_b64 v[0:1], 3, v[2:3]
	v_add_co_u32_e32 v0, vcc, v7, v0
	v_addc_co_u32_e32 v1, vcc, v6, v1, vcc
	global_store_dwordx2 v[0:1], v[4:5], off
.LBB130_10:
	s_endpgm
	.section	.rodata,"a",@progbits
	.p2align	6, 0x0
	.amdhsa_kernel _ZL32rocblas_syrkx_herkx_small_kernelIidLi16ELb1ELb0ELc84ELc85EKddEviT_T0_PT6_S1_lS4_S1_lS2_PT7_S1_li
		.amdhsa_group_segment_fixed_size 4096
		.amdhsa_private_segment_fixed_size 0
		.amdhsa_kernarg_size 100
		.amdhsa_user_sgpr_count 6
		.amdhsa_user_sgpr_private_segment_buffer 1
		.amdhsa_user_sgpr_dispatch_ptr 0
		.amdhsa_user_sgpr_queue_ptr 0
		.amdhsa_user_sgpr_kernarg_segment_ptr 1
		.amdhsa_user_sgpr_dispatch_id 0
		.amdhsa_user_sgpr_flat_scratch_init 0
		.amdhsa_user_sgpr_private_segment_size 0
		.amdhsa_uses_dynamic_stack 0
		.amdhsa_system_sgpr_private_segment_wavefront_offset 0
		.amdhsa_system_sgpr_workgroup_id_x 1
		.amdhsa_system_sgpr_workgroup_id_y 1
		.amdhsa_system_sgpr_workgroup_id_z 1
		.amdhsa_system_sgpr_workgroup_info 0
		.amdhsa_system_vgpr_workitem_id 1
		.amdhsa_next_free_vgpr 24
		.amdhsa_next_free_sgpr 23
		.amdhsa_reserve_vcc 1
		.amdhsa_reserve_flat_scratch 0
		.amdhsa_float_round_mode_32 0
		.amdhsa_float_round_mode_16_64 0
		.amdhsa_float_denorm_mode_32 3
		.amdhsa_float_denorm_mode_16_64 3
		.amdhsa_dx10_clamp 1
		.amdhsa_ieee_mode 1
		.amdhsa_fp16_overflow 0
		.amdhsa_exception_fp_ieee_invalid_op 0
		.amdhsa_exception_fp_denorm_src 0
		.amdhsa_exception_fp_ieee_div_zero 0
		.amdhsa_exception_fp_ieee_overflow 0
		.amdhsa_exception_fp_ieee_underflow 0
		.amdhsa_exception_fp_ieee_inexact 0
		.amdhsa_exception_int_div_zero 0
	.end_amdhsa_kernel
	.section	.text._ZL32rocblas_syrkx_herkx_small_kernelIidLi16ELb1ELb0ELc84ELc85EKddEviT_T0_PT6_S1_lS4_S1_lS2_PT7_S1_li,"axG",@progbits,_ZL32rocblas_syrkx_herkx_small_kernelIidLi16ELb1ELb0ELc84ELc85EKddEviT_T0_PT6_S1_lS4_S1_lS2_PT7_S1_li,comdat
.Lfunc_end130:
	.size	_ZL32rocblas_syrkx_herkx_small_kernelIidLi16ELb1ELb0ELc84ELc85EKddEviT_T0_PT6_S1_lS4_S1_lS2_PT7_S1_li, .Lfunc_end130-_ZL32rocblas_syrkx_herkx_small_kernelIidLi16ELb1ELb0ELc84ELc85EKddEviT_T0_PT6_S1_lS4_S1_lS2_PT7_S1_li
                                        ; -- End function
	.set _ZL32rocblas_syrkx_herkx_small_kernelIidLi16ELb1ELb0ELc84ELc85EKddEviT_T0_PT6_S1_lS4_S1_lS2_PT7_S1_li.num_vgpr, 24
	.set _ZL32rocblas_syrkx_herkx_small_kernelIidLi16ELb1ELb0ELc84ELc85EKddEviT_T0_PT6_S1_lS4_S1_lS2_PT7_S1_li.num_agpr, 0
	.set _ZL32rocblas_syrkx_herkx_small_kernelIidLi16ELb1ELb0ELc84ELc85EKddEviT_T0_PT6_S1_lS4_S1_lS2_PT7_S1_li.numbered_sgpr, 23
	.set _ZL32rocblas_syrkx_herkx_small_kernelIidLi16ELb1ELb0ELc84ELc85EKddEviT_T0_PT6_S1_lS4_S1_lS2_PT7_S1_li.num_named_barrier, 0
	.set _ZL32rocblas_syrkx_herkx_small_kernelIidLi16ELb1ELb0ELc84ELc85EKddEviT_T0_PT6_S1_lS4_S1_lS2_PT7_S1_li.private_seg_size, 0
	.set _ZL32rocblas_syrkx_herkx_small_kernelIidLi16ELb1ELb0ELc84ELc85EKddEviT_T0_PT6_S1_lS4_S1_lS2_PT7_S1_li.uses_vcc, 1
	.set _ZL32rocblas_syrkx_herkx_small_kernelIidLi16ELb1ELb0ELc84ELc85EKddEviT_T0_PT6_S1_lS4_S1_lS2_PT7_S1_li.uses_flat_scratch, 0
	.set _ZL32rocblas_syrkx_herkx_small_kernelIidLi16ELb1ELb0ELc84ELc85EKddEviT_T0_PT6_S1_lS4_S1_lS2_PT7_S1_li.has_dyn_sized_stack, 0
	.set _ZL32rocblas_syrkx_herkx_small_kernelIidLi16ELb1ELb0ELc84ELc85EKddEviT_T0_PT6_S1_lS4_S1_lS2_PT7_S1_li.has_recursion, 0
	.set _ZL32rocblas_syrkx_herkx_small_kernelIidLi16ELb1ELb0ELc84ELc85EKddEviT_T0_PT6_S1_lS4_S1_lS2_PT7_S1_li.has_indirect_call, 0
	.section	.AMDGPU.csdata,"",@progbits
; Kernel info:
; codeLenInByte = 876
; TotalNumSgprs: 27
; NumVgprs: 24
; ScratchSize: 0
; MemoryBound: 0
; FloatMode: 240
; IeeeMode: 1
; LDSByteSize: 4096 bytes/workgroup (compile time only)
; SGPRBlocks: 3
; VGPRBlocks: 5
; NumSGPRsForWavesPerEU: 27
; NumVGPRsForWavesPerEU: 24
; Occupancy: 10
; WaveLimiterHint : 0
; COMPUTE_PGM_RSRC2:SCRATCH_EN: 0
; COMPUTE_PGM_RSRC2:USER_SGPR: 6
; COMPUTE_PGM_RSRC2:TRAP_HANDLER: 0
; COMPUTE_PGM_RSRC2:TGID_X_EN: 1
; COMPUTE_PGM_RSRC2:TGID_Y_EN: 1
; COMPUTE_PGM_RSRC2:TGID_Z_EN: 1
; COMPUTE_PGM_RSRC2:TIDIG_COMP_CNT: 1
	.section	.text._ZL32rocblas_syrkx_herkx_small_kernelIidLi16ELb1ELb0ELc67ELc85EKddEviT_T0_PT6_S1_lS4_S1_lS2_PT7_S1_li,"axG",@progbits,_ZL32rocblas_syrkx_herkx_small_kernelIidLi16ELb1ELb0ELc67ELc85EKddEviT_T0_PT6_S1_lS4_S1_lS2_PT7_S1_li,comdat
	.globl	_ZL32rocblas_syrkx_herkx_small_kernelIidLi16ELb1ELb0ELc67ELc85EKddEviT_T0_PT6_S1_lS4_S1_lS2_PT7_S1_li ; -- Begin function _ZL32rocblas_syrkx_herkx_small_kernelIidLi16ELb1ELb0ELc67ELc85EKddEviT_T0_PT6_S1_lS4_S1_lS2_PT7_S1_li
	.p2align	8
	.type	_ZL32rocblas_syrkx_herkx_small_kernelIidLi16ELb1ELb0ELc67ELc85EKddEviT_T0_PT6_S1_lS4_S1_lS2_PT7_S1_li,@function
_ZL32rocblas_syrkx_herkx_small_kernelIidLi16ELb1ELb0ELc67ELc85EKddEviT_T0_PT6_S1_lS4_S1_lS2_PT7_S1_li: ; @_ZL32rocblas_syrkx_herkx_small_kernelIidLi16ELb1ELb0ELc67ELc85EKddEviT_T0_PT6_S1_lS4_S1_lS2_PT7_S1_li
; %bb.0:
	s_load_dwordx2 s[10:11], s[4:5], 0x0
	s_load_dwordx4 s[12:15], s[4:5], 0x8
	v_lshl_add_u32 v11, s7, 4, v1
	s_mov_b32 s9, 0
	v_lshl_add_u32 v2, s6, 4, v0
	s_waitcnt lgkmcnt(0)
	s_cmp_lt_i32 s11, 1
	v_cmp_gt_i32_e64 s[0:1], s10, v11
	s_cbranch_scc1 .LBB131_7
; %bb.1:
	s_load_dword s22, s[4:5], 0x18
	s_load_dwordx4 s[16:19], s[4:5], 0x20
	s_load_dword s20, s[4:5], 0x30
	s_load_dwordx2 s[6:7], s[4:5], 0x38
	v_lshlrev_b32_e32 v5, 7, v1
	v_lshlrev_b32_e32 v12, 3, v0
	v_add_u32_e32 v13, v12, v5
	s_waitcnt lgkmcnt(0)
	v_mad_i64_i32 v[3:4], s[20:21], s20, v11, 0
	s_mul_i32 s7, s7, s8
	s_mul_hi_u32 s20, s6, s8
	v_lshlrev_b64 v[3:4], 3, v[3:4]
	s_add_i32 s7, s20, s7
	s_mul_i32 s6, s6, s8
	s_lshl_b64 s[6:7], s[6:7], 3
	v_add_u32_e32 v14, 0x800, v5
	v_mov_b32_e32 v5, s7
	v_add_co_u32_e32 v3, vcc, s6, v3
	v_addc_co_u32_e32 v4, vcc, v4, v5, vcc
	v_mad_i64_i32 v[5:6], s[6:7], s22, v2, 0
	v_add_co_u32_e32 v3, vcc, v3, v12
	v_addc_co_u32_e32 v4, vcc, 0, v4, vcc
	s_mul_i32 s6, s17, s8
	s_mul_hi_u32 s7, s16, s8
	v_mov_b32_e32 v7, s19
	v_add_co_u32_e32 v3, vcc, s18, v3
	v_lshlrev_b64 v[5:6], 3, v[5:6]
	s_add_i32 s7, s7, s6
	s_mul_i32 s6, s16, s8
	v_addc_co_u32_e32 v4, vcc, v7, v4, vcc
	s_lshl_b64 s[6:7], s[6:7], 3
	v_mov_b32_e32 v7, s7
	v_add_co_u32_e32 v5, vcc, s6, v5
	v_addc_co_u32_e32 v6, vcc, v6, v7, vcc
	v_lshlrev_b32_e32 v7, 3, v1
	v_add_co_u32_e32 v5, vcc, v5, v7
	v_addc_co_u32_e32 v6, vcc, 0, v6, vcc
	v_mov_b32_e32 v9, s15
	v_mov_b32_e32 v7, 0
	v_add_co_u32_e32 v5, vcc, s14, v5
	v_cmp_gt_i32_e64 s[2:3], s10, v2
	v_add_u32_e32 v15, v14, v12
	v_mov_b32_e32 v8, 0
	v_addc_co_u32_e32 v6, vcc, v9, v6, vcc
	s_branch .LBB131_3
.LBB131_2:                              ;   in Loop: Header=BB131_3 Depth=1
	s_or_b64 exec, exec, s[6:7]
	s_waitcnt vmcnt(0)
	ds_write_b64 v15, v[9:10]
	s_waitcnt lgkmcnt(0)
	s_barrier
	ds_read2_b64 v[16:19], v12 offset1:16
	ds_read_b128 v[20:23], v14
	v_add_co_u32_e32 v3, vcc, 0x80, v3
	v_addc_co_u32_e32 v4, vcc, 0, v4, vcc
	s_waitcnt lgkmcnt(0)
	v_fma_f64 v[7:8], v[16:17], v[20:21], v[7:8]
	s_add_i32 s9, s9, 16
	v_add_co_u32_e32 v5, vcc, 0x80, v5
	s_cmp_ge_i32 s9, s11
	v_addc_co_u32_e32 v6, vcc, 0, v6, vcc
	v_fma_f64 v[20:21], v[18:19], v[22:23], v[7:8]
	ds_read_b128 v[7:10], v14 offset:16
	ds_read2_b64 v[16:19], v12 offset0:32 offset1:48
	s_waitcnt lgkmcnt(0)
	v_fma_f64 v[7:8], v[16:17], v[7:8], v[20:21]
	v_fma_f64 v[20:21], v[18:19], v[9:10], v[7:8]
	ds_read2_b64 v[7:10], v12 offset0:64 offset1:80
	ds_read_b128 v[16:19], v14 offset:32
	s_waitcnt lgkmcnt(0)
	v_fma_f64 v[7:8], v[7:8], v[16:17], v[20:21]
	v_fma_f64 v[20:21], v[9:10], v[18:19], v[7:8]
	ds_read_b128 v[7:10], v14 offset:48
	ds_read2_b64 v[16:19], v12 offset0:96 offset1:112
	s_waitcnt lgkmcnt(0)
	v_fma_f64 v[7:8], v[16:17], v[7:8], v[20:21]
	v_fma_f64 v[20:21], v[18:19], v[9:10], v[7:8]
	ds_read2_b64 v[7:10], v12 offset0:128 offset1:144
	ds_read_b128 v[16:19], v14 offset:64
	s_waitcnt lgkmcnt(0)
	v_fma_f64 v[7:8], v[7:8], v[16:17], v[20:21]
	;; [unrolled: 10-line block ×3, first 2 shown]
	v_fma_f64 v[20:21], v[9:10], v[18:19], v[7:8]
	ds_read_b128 v[7:10], v14 offset:112
	ds_read2_b64 v[16:19], v12 offset0:224 offset1:240
	s_waitcnt lgkmcnt(0)
	s_barrier
	v_fma_f64 v[7:8], v[16:17], v[7:8], v[20:21]
	v_fma_f64 v[7:8], v[18:19], v[9:10], v[7:8]
	s_cbranch_scc1 .LBB131_8
.LBB131_3:                              ; =>This Inner Loop Header: Depth=1
	v_add_u32_e32 v9, s9, v1
	v_cmp_gt_i32_e32 vcc, s11, v9
	v_mov_b32_e32 v9, 0
	v_mov_b32_e32 v10, 0
	s_and_b64 s[14:15], s[2:3], vcc
	s_and_saveexec_b64 s[6:7], s[14:15]
	s_cbranch_execz .LBB131_5
; %bb.4:                                ;   in Loop: Header=BB131_3 Depth=1
	global_load_dwordx2 v[9:10], v[5:6], off
.LBB131_5:                              ;   in Loop: Header=BB131_3 Depth=1
	s_or_b64 exec, exec, s[6:7]
	s_waitcnt vmcnt(0)
	ds_write_b64 v13, v[9:10]
	v_add_u32_e32 v9, s9, v0
	v_cmp_gt_i32_e32 vcc, s11, v9
	v_mov_b32_e32 v9, 0
	v_mov_b32_e32 v10, 0
	s_and_b64 s[14:15], s[0:1], vcc
	s_and_saveexec_b64 s[6:7], s[14:15]
	s_cbranch_execz .LBB131_2
; %bb.6:                                ;   in Loop: Header=BB131_3 Depth=1
	global_load_dwordx2 v[9:10], v[3:4], off
	s_branch .LBB131_2
.LBB131_7:
	v_mov_b32_e32 v7, 0
	v_mov_b32_e32 v8, 0
.LBB131_8:
	v_cmp_le_i32_e32 vcc, v2, v11
	v_cmp_gt_i32_e64 s[0:1], s10, v11
	s_and_b64 s[0:1], vcc, s[0:1]
	s_and_saveexec_b64 s[2:3], s[0:1]
	s_cbranch_execz .LBB131_10
; %bb.9:
	s_load_dwordx2 s[0:1], s[4:5], 0x58
	s_load_dwordx2 s[2:3], s[4:5], 0x48
	s_load_dword s6, s[4:5], 0x50
	v_mul_f64 v[4:5], s[12:13], v[7:8]
	v_ashrrev_i32_e32 v3, 31, v2
	s_waitcnt lgkmcnt(0)
	s_mul_i32 s1, s1, s8
	s_mul_hi_u32 s4, s0, s8
	s_add_i32 s1, s4, s1
	v_mad_i64_i32 v[0:1], s[4:5], s6, v11, 0
	s_mul_i32 s0, s0, s8
	s_lshl_b64 s[0:1], s[0:1], 3
	s_add_u32 s0, s2, s0
	v_lshlrev_b64 v[0:1], 3, v[0:1]
	s_addc_u32 s1, s3, s1
	v_mov_b32_e32 v6, s1
	v_add_co_u32_e32 v7, vcc, s0, v0
	v_addc_co_u32_e32 v6, vcc, v6, v1, vcc
	v_lshlrev_b64 v[0:1], 3, v[2:3]
	v_add_co_u32_e32 v0, vcc, v7, v0
	v_addc_co_u32_e32 v1, vcc, v6, v1, vcc
	global_store_dwordx2 v[0:1], v[4:5], off
.LBB131_10:
	s_endpgm
	.section	.rodata,"a",@progbits
	.p2align	6, 0x0
	.amdhsa_kernel _ZL32rocblas_syrkx_herkx_small_kernelIidLi16ELb1ELb0ELc67ELc85EKddEviT_T0_PT6_S1_lS4_S1_lS2_PT7_S1_li
		.amdhsa_group_segment_fixed_size 4096
		.amdhsa_private_segment_fixed_size 0
		.amdhsa_kernarg_size 100
		.amdhsa_user_sgpr_count 6
		.amdhsa_user_sgpr_private_segment_buffer 1
		.amdhsa_user_sgpr_dispatch_ptr 0
		.amdhsa_user_sgpr_queue_ptr 0
		.amdhsa_user_sgpr_kernarg_segment_ptr 1
		.amdhsa_user_sgpr_dispatch_id 0
		.amdhsa_user_sgpr_flat_scratch_init 0
		.amdhsa_user_sgpr_private_segment_size 0
		.amdhsa_uses_dynamic_stack 0
		.amdhsa_system_sgpr_private_segment_wavefront_offset 0
		.amdhsa_system_sgpr_workgroup_id_x 1
		.amdhsa_system_sgpr_workgroup_id_y 1
		.amdhsa_system_sgpr_workgroup_id_z 1
		.amdhsa_system_sgpr_workgroup_info 0
		.amdhsa_system_vgpr_workitem_id 1
		.amdhsa_next_free_vgpr 24
		.amdhsa_next_free_sgpr 23
		.amdhsa_reserve_vcc 1
		.amdhsa_reserve_flat_scratch 0
		.amdhsa_float_round_mode_32 0
		.amdhsa_float_round_mode_16_64 0
		.amdhsa_float_denorm_mode_32 3
		.amdhsa_float_denorm_mode_16_64 3
		.amdhsa_dx10_clamp 1
		.amdhsa_ieee_mode 1
		.amdhsa_fp16_overflow 0
		.amdhsa_exception_fp_ieee_invalid_op 0
		.amdhsa_exception_fp_denorm_src 0
		.amdhsa_exception_fp_ieee_div_zero 0
		.amdhsa_exception_fp_ieee_overflow 0
		.amdhsa_exception_fp_ieee_underflow 0
		.amdhsa_exception_fp_ieee_inexact 0
		.amdhsa_exception_int_div_zero 0
	.end_amdhsa_kernel
	.section	.text._ZL32rocblas_syrkx_herkx_small_kernelIidLi16ELb1ELb0ELc67ELc85EKddEviT_T0_PT6_S1_lS4_S1_lS2_PT7_S1_li,"axG",@progbits,_ZL32rocblas_syrkx_herkx_small_kernelIidLi16ELb1ELb0ELc67ELc85EKddEviT_T0_PT6_S1_lS4_S1_lS2_PT7_S1_li,comdat
.Lfunc_end131:
	.size	_ZL32rocblas_syrkx_herkx_small_kernelIidLi16ELb1ELb0ELc67ELc85EKddEviT_T0_PT6_S1_lS4_S1_lS2_PT7_S1_li, .Lfunc_end131-_ZL32rocblas_syrkx_herkx_small_kernelIidLi16ELb1ELb0ELc67ELc85EKddEviT_T0_PT6_S1_lS4_S1_lS2_PT7_S1_li
                                        ; -- End function
	.set _ZL32rocblas_syrkx_herkx_small_kernelIidLi16ELb1ELb0ELc67ELc85EKddEviT_T0_PT6_S1_lS4_S1_lS2_PT7_S1_li.num_vgpr, 24
	.set _ZL32rocblas_syrkx_herkx_small_kernelIidLi16ELb1ELb0ELc67ELc85EKddEviT_T0_PT6_S1_lS4_S1_lS2_PT7_S1_li.num_agpr, 0
	.set _ZL32rocblas_syrkx_herkx_small_kernelIidLi16ELb1ELb0ELc67ELc85EKddEviT_T0_PT6_S1_lS4_S1_lS2_PT7_S1_li.numbered_sgpr, 23
	.set _ZL32rocblas_syrkx_herkx_small_kernelIidLi16ELb1ELb0ELc67ELc85EKddEviT_T0_PT6_S1_lS4_S1_lS2_PT7_S1_li.num_named_barrier, 0
	.set _ZL32rocblas_syrkx_herkx_small_kernelIidLi16ELb1ELb0ELc67ELc85EKddEviT_T0_PT6_S1_lS4_S1_lS2_PT7_S1_li.private_seg_size, 0
	.set _ZL32rocblas_syrkx_herkx_small_kernelIidLi16ELb1ELb0ELc67ELc85EKddEviT_T0_PT6_S1_lS4_S1_lS2_PT7_S1_li.uses_vcc, 1
	.set _ZL32rocblas_syrkx_herkx_small_kernelIidLi16ELb1ELb0ELc67ELc85EKddEviT_T0_PT6_S1_lS4_S1_lS2_PT7_S1_li.uses_flat_scratch, 0
	.set _ZL32rocblas_syrkx_herkx_small_kernelIidLi16ELb1ELb0ELc67ELc85EKddEviT_T0_PT6_S1_lS4_S1_lS2_PT7_S1_li.has_dyn_sized_stack, 0
	.set _ZL32rocblas_syrkx_herkx_small_kernelIidLi16ELb1ELb0ELc67ELc85EKddEviT_T0_PT6_S1_lS4_S1_lS2_PT7_S1_li.has_recursion, 0
	.set _ZL32rocblas_syrkx_herkx_small_kernelIidLi16ELb1ELb0ELc67ELc85EKddEviT_T0_PT6_S1_lS4_S1_lS2_PT7_S1_li.has_indirect_call, 0
	.section	.AMDGPU.csdata,"",@progbits
; Kernel info:
; codeLenInByte = 876
; TotalNumSgprs: 27
; NumVgprs: 24
; ScratchSize: 0
; MemoryBound: 0
; FloatMode: 240
; IeeeMode: 1
; LDSByteSize: 4096 bytes/workgroup (compile time only)
; SGPRBlocks: 3
; VGPRBlocks: 5
; NumSGPRsForWavesPerEU: 27
; NumVGPRsForWavesPerEU: 24
; Occupancy: 10
; WaveLimiterHint : 0
; COMPUTE_PGM_RSRC2:SCRATCH_EN: 0
; COMPUTE_PGM_RSRC2:USER_SGPR: 6
; COMPUTE_PGM_RSRC2:TRAP_HANDLER: 0
; COMPUTE_PGM_RSRC2:TGID_X_EN: 1
; COMPUTE_PGM_RSRC2:TGID_Y_EN: 1
; COMPUTE_PGM_RSRC2:TGID_Z_EN: 1
; COMPUTE_PGM_RSRC2:TIDIG_COMP_CNT: 1
	.section	.text._ZL32rocblas_syrkx_herkx_small_kernelIidLi16ELb1ELb0ELc78ELc85EKddEviT_T0_PT6_S1_lS4_S1_lS2_PT7_S1_li,"axG",@progbits,_ZL32rocblas_syrkx_herkx_small_kernelIidLi16ELb1ELb0ELc78ELc85EKddEviT_T0_PT6_S1_lS4_S1_lS2_PT7_S1_li,comdat
	.globl	_ZL32rocblas_syrkx_herkx_small_kernelIidLi16ELb1ELb0ELc78ELc85EKddEviT_T0_PT6_S1_lS4_S1_lS2_PT7_S1_li ; -- Begin function _ZL32rocblas_syrkx_herkx_small_kernelIidLi16ELb1ELb0ELc78ELc85EKddEviT_T0_PT6_S1_lS4_S1_lS2_PT7_S1_li
	.p2align	8
	.type	_ZL32rocblas_syrkx_herkx_small_kernelIidLi16ELb1ELb0ELc78ELc85EKddEviT_T0_PT6_S1_lS4_S1_lS2_PT7_S1_li,@function
_ZL32rocblas_syrkx_herkx_small_kernelIidLi16ELb1ELb0ELc78ELc85EKddEviT_T0_PT6_S1_lS4_S1_lS2_PT7_S1_li: ; @_ZL32rocblas_syrkx_herkx_small_kernelIidLi16ELb1ELb0ELc78ELc85EKddEviT_T0_PT6_S1_lS4_S1_lS2_PT7_S1_li
; %bb.0:
	s_load_dwordx2 s[10:11], s[4:5], 0x0
	s_load_dwordx4 s[12:15], s[4:5], 0x8
	v_lshl_add_u32 v2, s6, 4, v0
	v_lshl_add_u32 v4, s7, 4, v1
	s_mov_b32 s9, 0
	s_waitcnt lgkmcnt(0)
	s_cmp_lt_i32 s11, 1
	v_ashrrev_i32_e32 v3, 31, v2
	v_cmp_gt_i32_e32 vcc, s10, v4
	s_cbranch_scc1 .LBB132_7
; %bb.1:
	s_load_dword s20, s[4:5], 0x18
	s_load_dword s6, s[4:5], 0x30
	s_load_dwordx4 s[16:19], s[4:5], 0x20
	s_load_dwordx2 s[2:3], s[4:5], 0x38
	v_lshlrev_b32_e32 v5, 7, v1
	v_lshlrev_b32_e32 v13, 3, v0
	s_waitcnt lgkmcnt(0)
	v_mad_i64_i32 v[6:7], s[22:23], s6, v0, 0
	s_mul_i32 s3, s3, s8
	s_mul_hi_u32 s24, s2, s8
	s_add_i32 s3, s24, s3
	s_mul_i32 s2, s2, s8
	v_lshlrev_b64 v[6:7], 3, v[6:7]
	v_add_u32_e32 v14, v13, v5
	v_add_u32_e32 v15, 0x800, v5
	v_ashrrev_i32_e32 v5, 31, v4
	s_lshl_b64 s[2:3], s[2:3], 3
	v_mov_b32_e32 v8, s3
	v_add_co_u32_e64 v9, s[2:3], s2, v6
	v_lshlrev_b64 v[5:6], 3, v[4:5]
	v_addc_co_u32_e64 v7, s[2:3], v8, v7, s[2:3]
	v_add_co_u32_e64 v5, s[2:3], v9, v5
	v_addc_co_u32_e64 v6, s[2:3], v7, v6, s[2:3]
	v_mov_b32_e32 v7, s19
	v_add_co_u32_e64 v5, s[2:3], s18, v5
	v_addc_co_u32_e64 v6, s[2:3], v7, v6, s[2:3]
	v_mad_i64_i32 v[7:8], s[2:3], s20, v1, 0
	s_mul_i32 s17, s17, s8
	s_mul_hi_u32 s18, s16, s8
	s_add_i32 s3, s18, s17
	s_mul_i32 s2, s16, s8
	v_lshlrev_b64 v[7:8], 3, v[7:8]
	s_lshl_b64 s[2:3], s[2:3], 3
	v_mov_b32_e32 v9, s3
	v_add_co_u32_e64 v10, s[2:3], s2, v7
	v_addc_co_u32_e64 v9, s[2:3], v9, v8, s[2:3]
	v_lshlrev_b64 v[7:8], 3, v[2:3]
	s_ashr_i32 s21, s20, 31
	v_add_co_u32_e64 v7, s[2:3], v10, v7
	v_addc_co_u32_e64 v8, s[2:3], v9, v8, s[2:3]
	s_ashr_i32 s7, s6, 31
	v_mov_b32_e32 v9, s15
	v_add_co_u32_e64 v7, s[2:3], s14, v7
	s_lshl_b64 s[6:7], s[6:7], 7
	v_addc_co_u32_e64 v8, s[2:3], v9, v8, s[2:3]
	s_lshl_b64 s[14:15], s[20:21], 7
	v_mov_b32_e32 v9, 0
	v_cmp_gt_i32_e64 s[0:1], s10, v2
	v_add_u32_e32 v16, v15, v13
	v_mov_b32_e32 v10, 0
	v_mov_b32_e32 v17, s7
	v_mov_b32_e32 v18, s15
	s_branch .LBB132_3
.LBB132_2:                              ;   in Loop: Header=BB132_3 Depth=1
	s_or_b64 exec, exec, s[2:3]
	s_waitcnt vmcnt(0)
	ds_write_b64 v16, v[11:12]
	s_waitcnt lgkmcnt(0)
	s_barrier
	ds_read2_b64 v[19:22], v13 offset1:16
	ds_read_b128 v[23:26], v15
	v_add_co_u32_e64 v5, s[2:3], s6, v5
	v_addc_co_u32_e64 v6, s[2:3], v6, v17, s[2:3]
	s_waitcnt lgkmcnt(0)
	v_fma_f64 v[9:10], v[19:20], v[23:24], v[9:10]
	s_add_i32 s9, s9, 16
	v_add_co_u32_e64 v7, s[2:3], s14, v7
	s_cmp_ge_i32 s9, s11
	v_addc_co_u32_e64 v8, s[2:3], v8, v18, s[2:3]
	v_fma_f64 v[23:24], v[21:22], v[25:26], v[9:10]
	ds_read_b128 v[9:12], v15 offset:16
	ds_read2_b64 v[19:22], v13 offset0:32 offset1:48
	s_waitcnt lgkmcnt(0)
	v_fma_f64 v[9:10], v[19:20], v[9:10], v[23:24]
	v_fma_f64 v[23:24], v[21:22], v[11:12], v[9:10]
	ds_read2_b64 v[9:12], v13 offset0:64 offset1:80
	ds_read_b128 v[19:22], v15 offset:32
	s_waitcnt lgkmcnt(0)
	v_fma_f64 v[9:10], v[9:10], v[19:20], v[23:24]
	v_fma_f64 v[23:24], v[11:12], v[21:22], v[9:10]
	ds_read_b128 v[9:12], v15 offset:48
	ds_read2_b64 v[19:22], v13 offset0:96 offset1:112
	s_waitcnt lgkmcnt(0)
	v_fma_f64 v[9:10], v[19:20], v[9:10], v[23:24]
	v_fma_f64 v[23:24], v[21:22], v[11:12], v[9:10]
	ds_read2_b64 v[9:12], v13 offset0:128 offset1:144
	ds_read_b128 v[19:22], v15 offset:64
	s_waitcnt lgkmcnt(0)
	v_fma_f64 v[9:10], v[9:10], v[19:20], v[23:24]
	;; [unrolled: 10-line block ×3, first 2 shown]
	v_fma_f64 v[23:24], v[11:12], v[21:22], v[9:10]
	ds_read_b128 v[9:12], v15 offset:112
	ds_read2_b64 v[19:22], v13 offset0:224 offset1:240
	s_waitcnt lgkmcnt(0)
	s_barrier
	v_fma_f64 v[9:10], v[19:20], v[9:10], v[23:24]
	v_fma_f64 v[9:10], v[21:22], v[11:12], v[9:10]
	s_cbranch_scc1 .LBB132_8
.LBB132_3:                              ; =>This Inner Loop Header: Depth=1
	v_add_u32_e32 v11, s9, v1
	v_cmp_gt_i32_e64 s[2:3], s11, v11
	v_mov_b32_e32 v11, 0
	v_mov_b32_e32 v12, 0
	s_and_b64 s[16:17], s[0:1], s[2:3]
	s_and_saveexec_b64 s[2:3], s[16:17]
	s_cbranch_execz .LBB132_5
; %bb.4:                                ;   in Loop: Header=BB132_3 Depth=1
	global_load_dwordx2 v[11:12], v[7:8], off
.LBB132_5:                              ;   in Loop: Header=BB132_3 Depth=1
	s_or_b64 exec, exec, s[2:3]
	s_waitcnt vmcnt(0)
	ds_write_b64 v14, v[11:12]
	v_add_u32_e32 v11, s9, v0
	v_cmp_gt_i32_e64 s[2:3], s11, v11
	v_mov_b32_e32 v11, 0
	v_mov_b32_e32 v12, 0
	s_and_b64 s[16:17], vcc, s[2:3]
	s_and_saveexec_b64 s[2:3], s[16:17]
	s_cbranch_execz .LBB132_2
; %bb.6:                                ;   in Loop: Header=BB132_3 Depth=1
	global_load_dwordx2 v[11:12], v[5:6], off
	s_branch .LBB132_2
.LBB132_7:
	v_mov_b32_e32 v9, 0
	v_mov_b32_e32 v10, 0
.LBB132_8:
	v_cmp_le_i32_e32 vcc, v2, v4
	v_cmp_gt_i32_e64 s[0:1], s10, v4
	s_and_b64 s[0:1], vcc, s[0:1]
	s_and_saveexec_b64 s[2:3], s[0:1]
	s_cbranch_execz .LBB132_10
; %bb.9:
	s_load_dwordx2 s[0:1], s[4:5], 0x58
	s_load_dwordx2 s[2:3], s[4:5], 0x48
	s_load_dword s6, s[4:5], 0x50
	s_waitcnt lgkmcnt(0)
	s_mul_i32 s1, s1, s8
	s_mul_hi_u32 s4, s0, s8
	s_add_i32 s1, s4, s1
	v_mad_i64_i32 v[0:1], s[4:5], s6, v4, 0
	s_mul_i32 s0, s0, s8
	s_lshl_b64 s[0:1], s[0:1], 3
	v_mul_f64 v[4:5], s[12:13], v[9:10]
	s_add_u32 s0, s2, s0
	v_lshlrev_b64 v[0:1], 3, v[0:1]
	s_addc_u32 s1, s3, s1
	v_mov_b32_e32 v6, s1
	v_add_co_u32_e32 v7, vcc, s0, v0
	v_addc_co_u32_e32 v6, vcc, v6, v1, vcc
	v_lshlrev_b64 v[0:1], 3, v[2:3]
	v_add_co_u32_e32 v0, vcc, v7, v0
	v_addc_co_u32_e32 v1, vcc, v6, v1, vcc
	global_store_dwordx2 v[0:1], v[4:5], off
.LBB132_10:
	s_endpgm
	.section	.rodata,"a",@progbits
	.p2align	6, 0x0
	.amdhsa_kernel _ZL32rocblas_syrkx_herkx_small_kernelIidLi16ELb1ELb0ELc78ELc85EKddEviT_T0_PT6_S1_lS4_S1_lS2_PT7_S1_li
		.amdhsa_group_segment_fixed_size 4096
		.amdhsa_private_segment_fixed_size 0
		.amdhsa_kernarg_size 100
		.amdhsa_user_sgpr_count 6
		.amdhsa_user_sgpr_private_segment_buffer 1
		.amdhsa_user_sgpr_dispatch_ptr 0
		.amdhsa_user_sgpr_queue_ptr 0
		.amdhsa_user_sgpr_kernarg_segment_ptr 1
		.amdhsa_user_sgpr_dispatch_id 0
		.amdhsa_user_sgpr_flat_scratch_init 0
		.amdhsa_user_sgpr_private_segment_size 0
		.amdhsa_uses_dynamic_stack 0
		.amdhsa_system_sgpr_private_segment_wavefront_offset 0
		.amdhsa_system_sgpr_workgroup_id_x 1
		.amdhsa_system_sgpr_workgroup_id_y 1
		.amdhsa_system_sgpr_workgroup_id_z 1
		.amdhsa_system_sgpr_workgroup_info 0
		.amdhsa_system_vgpr_workitem_id 1
		.amdhsa_next_free_vgpr 27
		.amdhsa_next_free_sgpr 25
		.amdhsa_reserve_vcc 1
		.amdhsa_reserve_flat_scratch 0
		.amdhsa_float_round_mode_32 0
		.amdhsa_float_round_mode_16_64 0
		.amdhsa_float_denorm_mode_32 3
		.amdhsa_float_denorm_mode_16_64 3
		.amdhsa_dx10_clamp 1
		.amdhsa_ieee_mode 1
		.amdhsa_fp16_overflow 0
		.amdhsa_exception_fp_ieee_invalid_op 0
		.amdhsa_exception_fp_denorm_src 0
		.amdhsa_exception_fp_ieee_div_zero 0
		.amdhsa_exception_fp_ieee_overflow 0
		.amdhsa_exception_fp_ieee_underflow 0
		.amdhsa_exception_fp_ieee_inexact 0
		.amdhsa_exception_int_div_zero 0
	.end_amdhsa_kernel
	.section	.text._ZL32rocblas_syrkx_herkx_small_kernelIidLi16ELb1ELb0ELc78ELc85EKddEviT_T0_PT6_S1_lS4_S1_lS2_PT7_S1_li,"axG",@progbits,_ZL32rocblas_syrkx_herkx_small_kernelIidLi16ELb1ELb0ELc78ELc85EKddEviT_T0_PT6_S1_lS4_S1_lS2_PT7_S1_li,comdat
.Lfunc_end132:
	.size	_ZL32rocblas_syrkx_herkx_small_kernelIidLi16ELb1ELb0ELc78ELc85EKddEviT_T0_PT6_S1_lS4_S1_lS2_PT7_S1_li, .Lfunc_end132-_ZL32rocblas_syrkx_herkx_small_kernelIidLi16ELb1ELb0ELc78ELc85EKddEviT_T0_PT6_S1_lS4_S1_lS2_PT7_S1_li
                                        ; -- End function
	.set _ZL32rocblas_syrkx_herkx_small_kernelIidLi16ELb1ELb0ELc78ELc85EKddEviT_T0_PT6_S1_lS4_S1_lS2_PT7_S1_li.num_vgpr, 27
	.set _ZL32rocblas_syrkx_herkx_small_kernelIidLi16ELb1ELb0ELc78ELc85EKddEviT_T0_PT6_S1_lS4_S1_lS2_PT7_S1_li.num_agpr, 0
	.set _ZL32rocblas_syrkx_herkx_small_kernelIidLi16ELb1ELb0ELc78ELc85EKddEviT_T0_PT6_S1_lS4_S1_lS2_PT7_S1_li.numbered_sgpr, 25
	.set _ZL32rocblas_syrkx_herkx_small_kernelIidLi16ELb1ELb0ELc78ELc85EKddEviT_T0_PT6_S1_lS4_S1_lS2_PT7_S1_li.num_named_barrier, 0
	.set _ZL32rocblas_syrkx_herkx_small_kernelIidLi16ELb1ELb0ELc78ELc85EKddEviT_T0_PT6_S1_lS4_S1_lS2_PT7_S1_li.private_seg_size, 0
	.set _ZL32rocblas_syrkx_herkx_small_kernelIidLi16ELb1ELb0ELc78ELc85EKddEviT_T0_PT6_S1_lS4_S1_lS2_PT7_S1_li.uses_vcc, 1
	.set _ZL32rocblas_syrkx_herkx_small_kernelIidLi16ELb1ELb0ELc78ELc85EKddEviT_T0_PT6_S1_lS4_S1_lS2_PT7_S1_li.uses_flat_scratch, 0
	.set _ZL32rocblas_syrkx_herkx_small_kernelIidLi16ELb1ELb0ELc78ELc85EKddEviT_T0_PT6_S1_lS4_S1_lS2_PT7_S1_li.has_dyn_sized_stack, 0
	.set _ZL32rocblas_syrkx_herkx_small_kernelIidLi16ELb1ELb0ELc78ELc85EKddEviT_T0_PT6_S1_lS4_S1_lS2_PT7_S1_li.has_recursion, 0
	.set _ZL32rocblas_syrkx_herkx_small_kernelIidLi16ELb1ELb0ELc78ELc85EKddEviT_T0_PT6_S1_lS4_S1_lS2_PT7_S1_li.has_indirect_call, 0
	.section	.AMDGPU.csdata,"",@progbits
; Kernel info:
; codeLenInByte = 976
; TotalNumSgprs: 29
; NumVgprs: 27
; ScratchSize: 0
; MemoryBound: 0
; FloatMode: 240
; IeeeMode: 1
; LDSByteSize: 4096 bytes/workgroup (compile time only)
; SGPRBlocks: 3
; VGPRBlocks: 6
; NumSGPRsForWavesPerEU: 29
; NumVGPRsForWavesPerEU: 27
; Occupancy: 9
; WaveLimiterHint : 0
; COMPUTE_PGM_RSRC2:SCRATCH_EN: 0
; COMPUTE_PGM_RSRC2:USER_SGPR: 6
; COMPUTE_PGM_RSRC2:TRAP_HANDLER: 0
; COMPUTE_PGM_RSRC2:TGID_X_EN: 1
; COMPUTE_PGM_RSRC2:TGID_Y_EN: 1
; COMPUTE_PGM_RSRC2:TGID_Z_EN: 1
; COMPUTE_PGM_RSRC2:TIDIG_COMP_CNT: 1
	.section	.text._ZL32rocblas_syrkx_herkx_small_kernelIidLi16ELb0ELb0ELc84ELc76EKddEviT_T0_PT6_S1_lS4_S1_lS2_PT7_S1_li,"axG",@progbits,_ZL32rocblas_syrkx_herkx_small_kernelIidLi16ELb0ELb0ELc84ELc76EKddEviT_T0_PT6_S1_lS4_S1_lS2_PT7_S1_li,comdat
	.globl	_ZL32rocblas_syrkx_herkx_small_kernelIidLi16ELb0ELb0ELc84ELc76EKddEviT_T0_PT6_S1_lS4_S1_lS2_PT7_S1_li ; -- Begin function _ZL32rocblas_syrkx_herkx_small_kernelIidLi16ELb0ELb0ELc84ELc76EKddEviT_T0_PT6_S1_lS4_S1_lS2_PT7_S1_li
	.p2align	8
	.type	_ZL32rocblas_syrkx_herkx_small_kernelIidLi16ELb0ELb0ELc84ELc76EKddEviT_T0_PT6_S1_lS4_S1_lS2_PT7_S1_li,@function
_ZL32rocblas_syrkx_herkx_small_kernelIidLi16ELb0ELb0ELc84ELc76EKddEviT_T0_PT6_S1_lS4_S1_lS2_PT7_S1_li: ; @_ZL32rocblas_syrkx_herkx_small_kernelIidLi16ELb0ELb0ELc84ELc76EKddEviT_T0_PT6_S1_lS4_S1_lS2_PT7_S1_li
; %bb.0:
	s_load_dwordx2 s[20:21], s[4:5], 0x0
	s_load_dwordx4 s[12:15], s[4:5], 0x8
	s_load_dwordx4 s[16:19], s[4:5], 0x38
	s_load_dwordx2 s[10:11], s[4:5], 0x48
	v_lshl_add_u32 v2, s6, 4, v0
	s_mov_b32 s9, 0
	v_lshl_add_u32 v11, s7, 4, v1
	s_waitcnt lgkmcnt(0)
	s_cmp_lt_i32 s21, 1
	v_cmp_gt_i32_e64 s[0:1], s20, v2
	s_cbranch_scc1 .LBB133_7
; %bb.1:
	s_load_dword s22, s[4:5], 0x18
	s_load_dwordx4 s[24:27], s[4:5], 0x20
	s_load_dword s2, s[4:5], 0x30
	s_mul_i32 s6, s17, s8
	s_mul_hi_u32 s7, s16, s8
	s_add_i32 s7, s7, s6
	s_mul_i32 s6, s16, s8
	s_waitcnt lgkmcnt(0)
	v_mad_i64_i32 v[3:4], s[2:3], s2, v11, 0
	v_lshlrev_b32_e32 v5, 7, v1
	v_lshlrev_b32_e32 v12, 3, v0
	v_lshlrev_b64 v[3:4], 3, v[3:4]
	s_lshl_b64 s[6:7], s[6:7], 3
	v_add_u32_e32 v13, v12, v5
	v_add_u32_e32 v14, 0x800, v5
	v_mov_b32_e32 v5, s7
	v_add_co_u32_e32 v3, vcc, s6, v3
	v_addc_co_u32_e32 v4, vcc, v4, v5, vcc
	v_mad_i64_i32 v[5:6], s[6:7], s22, v2, 0
	v_add_co_u32_e32 v3, vcc, v3, v12
	v_addc_co_u32_e32 v4, vcc, 0, v4, vcc
	s_mul_i32 s6, s25, s8
	s_mul_hi_u32 s7, s24, s8
	v_mov_b32_e32 v7, s27
	v_add_co_u32_e32 v3, vcc, s26, v3
	v_lshlrev_b64 v[5:6], 3, v[5:6]
	s_add_i32 s7, s7, s6
	s_mul_i32 s6, s24, s8
	v_addc_co_u32_e32 v4, vcc, v7, v4, vcc
	s_lshl_b64 s[6:7], s[6:7], 3
	v_mov_b32_e32 v7, s7
	v_add_co_u32_e32 v5, vcc, s6, v5
	v_addc_co_u32_e32 v6, vcc, v6, v7, vcc
	v_lshlrev_b32_e32 v7, 3, v1
	v_add_co_u32_e32 v5, vcc, v5, v7
	v_addc_co_u32_e32 v6, vcc, 0, v6, vcc
	v_mov_b32_e32 v9, s15
	v_mov_b32_e32 v7, 0
	v_add_co_u32_e32 v5, vcc, s14, v5
	v_cmp_gt_i32_e64 s[2:3], s20, v11
	v_add_u32_e32 v15, v14, v12
	v_mov_b32_e32 v8, 0
	v_addc_co_u32_e32 v6, vcc, v9, v6, vcc
	s_branch .LBB133_3
.LBB133_2:                              ;   in Loop: Header=BB133_3 Depth=1
	s_or_b64 exec, exec, s[6:7]
	s_waitcnt vmcnt(0)
	ds_write_b64 v15, v[9:10]
	s_waitcnt lgkmcnt(0)
	s_barrier
	ds_read2_b64 v[16:19], v12 offset1:16
	ds_read_b128 v[20:23], v14
	v_add_co_u32_e32 v3, vcc, 0x80, v3
	v_addc_co_u32_e32 v4, vcc, 0, v4, vcc
	s_waitcnt lgkmcnt(0)
	v_fma_f64 v[7:8], v[16:17], v[20:21], v[7:8]
	s_add_i32 s9, s9, 16
	v_add_co_u32_e32 v5, vcc, 0x80, v5
	s_cmp_ge_i32 s9, s21
	v_addc_co_u32_e32 v6, vcc, 0, v6, vcc
	v_fma_f64 v[20:21], v[18:19], v[22:23], v[7:8]
	ds_read_b128 v[7:10], v14 offset:16
	ds_read2_b64 v[16:19], v12 offset0:32 offset1:48
	s_waitcnt lgkmcnt(0)
	v_fma_f64 v[7:8], v[16:17], v[7:8], v[20:21]
	v_fma_f64 v[20:21], v[18:19], v[9:10], v[7:8]
	ds_read2_b64 v[7:10], v12 offset0:64 offset1:80
	ds_read_b128 v[16:19], v14 offset:32
	s_waitcnt lgkmcnt(0)
	v_fma_f64 v[7:8], v[7:8], v[16:17], v[20:21]
	v_fma_f64 v[20:21], v[9:10], v[18:19], v[7:8]
	ds_read_b128 v[7:10], v14 offset:48
	ds_read2_b64 v[16:19], v12 offset0:96 offset1:112
	s_waitcnt lgkmcnt(0)
	v_fma_f64 v[7:8], v[16:17], v[7:8], v[20:21]
	v_fma_f64 v[20:21], v[18:19], v[9:10], v[7:8]
	ds_read2_b64 v[7:10], v12 offset0:128 offset1:144
	ds_read_b128 v[16:19], v14 offset:64
	s_waitcnt lgkmcnt(0)
	v_fma_f64 v[7:8], v[7:8], v[16:17], v[20:21]
	;; [unrolled: 10-line block ×3, first 2 shown]
	v_fma_f64 v[20:21], v[9:10], v[18:19], v[7:8]
	ds_read_b128 v[7:10], v14 offset:112
	ds_read2_b64 v[16:19], v12 offset0:224 offset1:240
	s_waitcnt lgkmcnt(0)
	s_barrier
	v_fma_f64 v[7:8], v[16:17], v[7:8], v[20:21]
	v_fma_f64 v[7:8], v[18:19], v[9:10], v[7:8]
	s_cbranch_scc1 .LBB133_8
.LBB133_3:                              ; =>This Inner Loop Header: Depth=1
	v_add_u32_e32 v9, s9, v1
	v_cmp_gt_i32_e32 vcc, s21, v9
	v_mov_b32_e32 v9, 0
	v_mov_b32_e32 v10, 0
	s_and_b64 s[14:15], s[0:1], vcc
	s_and_saveexec_b64 s[6:7], s[14:15]
	s_cbranch_execz .LBB133_5
; %bb.4:                                ;   in Loop: Header=BB133_3 Depth=1
	global_load_dwordx2 v[9:10], v[5:6], off
.LBB133_5:                              ;   in Loop: Header=BB133_3 Depth=1
	s_or_b64 exec, exec, s[6:7]
	s_waitcnt vmcnt(0)
	ds_write_b64 v13, v[9:10]
	v_add_u32_e32 v9, s9, v0
	v_cmp_gt_i32_e32 vcc, s21, v9
	v_mov_b32_e32 v9, 0
	v_mov_b32_e32 v10, 0
	s_and_b64 s[14:15], s[2:3], vcc
	s_and_saveexec_b64 s[6:7], s[14:15]
	s_cbranch_execz .LBB133_2
; %bb.6:                                ;   in Loop: Header=BB133_3 Depth=1
	global_load_dwordx2 v[9:10], v[3:4], off
	s_branch .LBB133_2
.LBB133_7:
	v_mov_b32_e32 v7, 0
	v_mov_b32_e32 v8, 0
.LBB133_8:
	v_cmp_le_i32_e32 vcc, v11, v2
	v_cmp_gt_i32_e64 s[0:1], s20, v2
	s_and_b64 s[0:1], vcc, s[0:1]
	s_and_saveexec_b64 s[2:3], s[0:1]
	s_cbranch_execz .LBB133_10
; %bb.9:
	s_load_dwordx2 s[0:1], s[4:5], 0x58
	s_load_dword s2, s[4:5], 0x50
	v_ashrrev_i32_e32 v3, 31, v2
	s_waitcnt lgkmcnt(0)
	s_mul_i32 s1, s1, s8
	s_mul_hi_u32 s3, s0, s8
	s_add_i32 s1, s3, s1
	v_mad_i64_i32 v[0:1], s[2:3], s2, v11, 0
	s_mul_i32 s0, s0, s8
	s_lshl_b64 s[0:1], s[0:1], 3
	s_add_u32 s0, s10, s0
	v_lshlrev_b64 v[0:1], 3, v[0:1]
	s_addc_u32 s1, s11, s1
	v_mov_b32_e32 v4, s1
	v_add_co_u32_e32 v5, vcc, s0, v0
	v_addc_co_u32_e32 v4, vcc, v4, v1, vcc
	v_lshlrev_b64 v[0:1], 3, v[2:3]
	v_add_co_u32_e32 v0, vcc, v5, v0
	v_addc_co_u32_e32 v1, vcc, v4, v1, vcc
	global_load_dwordx2 v[2:3], v[0:1], off
	s_waitcnt vmcnt(0)
	v_mul_f64 v[2:3], s[18:19], v[2:3]
	v_fma_f64 v[2:3], s[12:13], v[7:8], v[2:3]
	global_store_dwordx2 v[0:1], v[2:3], off
.LBB133_10:
	s_endpgm
	.section	.rodata,"a",@progbits
	.p2align	6, 0x0
	.amdhsa_kernel _ZL32rocblas_syrkx_herkx_small_kernelIidLi16ELb0ELb0ELc84ELc76EKddEviT_T0_PT6_S1_lS4_S1_lS2_PT7_S1_li
		.amdhsa_group_segment_fixed_size 4096
		.amdhsa_private_segment_fixed_size 0
		.amdhsa_kernarg_size 100
		.amdhsa_user_sgpr_count 6
		.amdhsa_user_sgpr_private_segment_buffer 1
		.amdhsa_user_sgpr_dispatch_ptr 0
		.amdhsa_user_sgpr_queue_ptr 0
		.amdhsa_user_sgpr_kernarg_segment_ptr 1
		.amdhsa_user_sgpr_dispatch_id 0
		.amdhsa_user_sgpr_flat_scratch_init 0
		.amdhsa_user_sgpr_private_segment_size 0
		.amdhsa_uses_dynamic_stack 0
		.amdhsa_system_sgpr_private_segment_wavefront_offset 0
		.amdhsa_system_sgpr_workgroup_id_x 1
		.amdhsa_system_sgpr_workgroup_id_y 1
		.amdhsa_system_sgpr_workgroup_id_z 1
		.amdhsa_system_sgpr_workgroup_info 0
		.amdhsa_system_vgpr_workitem_id 1
		.amdhsa_next_free_vgpr 24
		.amdhsa_next_free_sgpr 28
		.amdhsa_reserve_vcc 1
		.amdhsa_reserve_flat_scratch 0
		.amdhsa_float_round_mode_32 0
		.amdhsa_float_round_mode_16_64 0
		.amdhsa_float_denorm_mode_32 3
		.amdhsa_float_denorm_mode_16_64 3
		.amdhsa_dx10_clamp 1
		.amdhsa_ieee_mode 1
		.amdhsa_fp16_overflow 0
		.amdhsa_exception_fp_ieee_invalid_op 0
		.amdhsa_exception_fp_denorm_src 0
		.amdhsa_exception_fp_ieee_div_zero 0
		.amdhsa_exception_fp_ieee_overflow 0
		.amdhsa_exception_fp_ieee_underflow 0
		.amdhsa_exception_fp_ieee_inexact 0
		.amdhsa_exception_int_div_zero 0
	.end_amdhsa_kernel
	.section	.text._ZL32rocblas_syrkx_herkx_small_kernelIidLi16ELb0ELb0ELc84ELc76EKddEviT_T0_PT6_S1_lS4_S1_lS2_PT7_S1_li,"axG",@progbits,_ZL32rocblas_syrkx_herkx_small_kernelIidLi16ELb0ELb0ELc84ELc76EKddEviT_T0_PT6_S1_lS4_S1_lS2_PT7_S1_li,comdat
.Lfunc_end133:
	.size	_ZL32rocblas_syrkx_herkx_small_kernelIidLi16ELb0ELb0ELc84ELc76EKddEviT_T0_PT6_S1_lS4_S1_lS2_PT7_S1_li, .Lfunc_end133-_ZL32rocblas_syrkx_herkx_small_kernelIidLi16ELb0ELb0ELc84ELc76EKddEviT_T0_PT6_S1_lS4_S1_lS2_PT7_S1_li
                                        ; -- End function
	.set _ZL32rocblas_syrkx_herkx_small_kernelIidLi16ELb0ELb0ELc84ELc76EKddEviT_T0_PT6_S1_lS4_S1_lS2_PT7_S1_li.num_vgpr, 24
	.set _ZL32rocblas_syrkx_herkx_small_kernelIidLi16ELb0ELb0ELc84ELc76EKddEviT_T0_PT6_S1_lS4_S1_lS2_PT7_S1_li.num_agpr, 0
	.set _ZL32rocblas_syrkx_herkx_small_kernelIidLi16ELb0ELb0ELc84ELc76EKddEviT_T0_PT6_S1_lS4_S1_lS2_PT7_S1_li.numbered_sgpr, 28
	.set _ZL32rocblas_syrkx_herkx_small_kernelIidLi16ELb0ELb0ELc84ELc76EKddEviT_T0_PT6_S1_lS4_S1_lS2_PT7_S1_li.num_named_barrier, 0
	.set _ZL32rocblas_syrkx_herkx_small_kernelIidLi16ELb0ELb0ELc84ELc76EKddEviT_T0_PT6_S1_lS4_S1_lS2_PT7_S1_li.private_seg_size, 0
	.set _ZL32rocblas_syrkx_herkx_small_kernelIidLi16ELb0ELb0ELc84ELc76EKddEviT_T0_PT6_S1_lS4_S1_lS2_PT7_S1_li.uses_vcc, 1
	.set _ZL32rocblas_syrkx_herkx_small_kernelIidLi16ELb0ELb0ELc84ELc76EKddEviT_T0_PT6_S1_lS4_S1_lS2_PT7_S1_li.uses_flat_scratch, 0
	.set _ZL32rocblas_syrkx_herkx_small_kernelIidLi16ELb0ELb0ELc84ELc76EKddEviT_T0_PT6_S1_lS4_S1_lS2_PT7_S1_li.has_dyn_sized_stack, 0
	.set _ZL32rocblas_syrkx_herkx_small_kernelIidLi16ELb0ELb0ELc84ELc76EKddEviT_T0_PT6_S1_lS4_S1_lS2_PT7_S1_li.has_recursion, 0
	.set _ZL32rocblas_syrkx_herkx_small_kernelIidLi16ELb0ELb0ELc84ELc76EKddEviT_T0_PT6_S1_lS4_S1_lS2_PT7_S1_li.has_indirect_call, 0
	.section	.AMDGPU.csdata,"",@progbits
; Kernel info:
; codeLenInByte = 896
; TotalNumSgprs: 32
; NumVgprs: 24
; ScratchSize: 0
; MemoryBound: 0
; FloatMode: 240
; IeeeMode: 1
; LDSByteSize: 4096 bytes/workgroup (compile time only)
; SGPRBlocks: 3
; VGPRBlocks: 5
; NumSGPRsForWavesPerEU: 32
; NumVGPRsForWavesPerEU: 24
; Occupancy: 10
; WaveLimiterHint : 0
; COMPUTE_PGM_RSRC2:SCRATCH_EN: 0
; COMPUTE_PGM_RSRC2:USER_SGPR: 6
; COMPUTE_PGM_RSRC2:TRAP_HANDLER: 0
; COMPUTE_PGM_RSRC2:TGID_X_EN: 1
; COMPUTE_PGM_RSRC2:TGID_Y_EN: 1
; COMPUTE_PGM_RSRC2:TGID_Z_EN: 1
; COMPUTE_PGM_RSRC2:TIDIG_COMP_CNT: 1
	.section	.text._ZL32rocblas_syrkx_herkx_small_kernelIidLi16ELb0ELb0ELc67ELc76EKddEviT_T0_PT6_S1_lS4_S1_lS2_PT7_S1_li,"axG",@progbits,_ZL32rocblas_syrkx_herkx_small_kernelIidLi16ELb0ELb0ELc67ELc76EKddEviT_T0_PT6_S1_lS4_S1_lS2_PT7_S1_li,comdat
	.globl	_ZL32rocblas_syrkx_herkx_small_kernelIidLi16ELb0ELb0ELc67ELc76EKddEviT_T0_PT6_S1_lS4_S1_lS2_PT7_S1_li ; -- Begin function _ZL32rocblas_syrkx_herkx_small_kernelIidLi16ELb0ELb0ELc67ELc76EKddEviT_T0_PT6_S1_lS4_S1_lS2_PT7_S1_li
	.p2align	8
	.type	_ZL32rocblas_syrkx_herkx_small_kernelIidLi16ELb0ELb0ELc67ELc76EKddEviT_T0_PT6_S1_lS4_S1_lS2_PT7_S1_li,@function
_ZL32rocblas_syrkx_herkx_small_kernelIidLi16ELb0ELb0ELc67ELc76EKddEviT_T0_PT6_S1_lS4_S1_lS2_PT7_S1_li: ; @_ZL32rocblas_syrkx_herkx_small_kernelIidLi16ELb0ELb0ELc67ELc76EKddEviT_T0_PT6_S1_lS4_S1_lS2_PT7_S1_li
; %bb.0:
	s_load_dwordx2 s[20:21], s[4:5], 0x0
	s_load_dwordx4 s[12:15], s[4:5], 0x8
	s_load_dwordx4 s[16:19], s[4:5], 0x38
	s_load_dwordx2 s[10:11], s[4:5], 0x48
	v_lshl_add_u32 v2, s6, 4, v0
	s_mov_b32 s9, 0
	v_lshl_add_u32 v11, s7, 4, v1
	s_waitcnt lgkmcnt(0)
	s_cmp_lt_i32 s21, 1
	v_cmp_gt_i32_e64 s[0:1], s20, v2
	s_cbranch_scc1 .LBB134_7
; %bb.1:
	s_load_dword s22, s[4:5], 0x18
	s_load_dwordx4 s[24:27], s[4:5], 0x20
	s_load_dword s2, s[4:5], 0x30
	s_mul_i32 s6, s17, s8
	s_mul_hi_u32 s7, s16, s8
	s_add_i32 s7, s7, s6
	s_mul_i32 s6, s16, s8
	s_waitcnt lgkmcnt(0)
	v_mad_i64_i32 v[3:4], s[2:3], s2, v11, 0
	v_lshlrev_b32_e32 v5, 7, v1
	v_lshlrev_b32_e32 v12, 3, v0
	v_lshlrev_b64 v[3:4], 3, v[3:4]
	s_lshl_b64 s[6:7], s[6:7], 3
	v_add_u32_e32 v13, v12, v5
	v_add_u32_e32 v14, 0x800, v5
	v_mov_b32_e32 v5, s7
	v_add_co_u32_e32 v3, vcc, s6, v3
	v_addc_co_u32_e32 v4, vcc, v4, v5, vcc
	v_mad_i64_i32 v[5:6], s[6:7], s22, v2, 0
	v_add_co_u32_e32 v3, vcc, v3, v12
	v_addc_co_u32_e32 v4, vcc, 0, v4, vcc
	s_mul_i32 s6, s25, s8
	s_mul_hi_u32 s7, s24, s8
	v_mov_b32_e32 v7, s27
	v_add_co_u32_e32 v3, vcc, s26, v3
	v_lshlrev_b64 v[5:6], 3, v[5:6]
	s_add_i32 s7, s7, s6
	s_mul_i32 s6, s24, s8
	v_addc_co_u32_e32 v4, vcc, v7, v4, vcc
	s_lshl_b64 s[6:7], s[6:7], 3
	v_mov_b32_e32 v7, s7
	v_add_co_u32_e32 v5, vcc, s6, v5
	v_addc_co_u32_e32 v6, vcc, v6, v7, vcc
	v_lshlrev_b32_e32 v7, 3, v1
	v_add_co_u32_e32 v5, vcc, v5, v7
	v_addc_co_u32_e32 v6, vcc, 0, v6, vcc
	v_mov_b32_e32 v9, s15
	v_mov_b32_e32 v7, 0
	v_add_co_u32_e32 v5, vcc, s14, v5
	v_cmp_gt_i32_e64 s[2:3], s20, v11
	v_add_u32_e32 v15, v14, v12
	v_mov_b32_e32 v8, 0
	v_addc_co_u32_e32 v6, vcc, v9, v6, vcc
	s_branch .LBB134_3
.LBB134_2:                              ;   in Loop: Header=BB134_3 Depth=1
	s_or_b64 exec, exec, s[6:7]
	s_waitcnt vmcnt(0)
	ds_write_b64 v15, v[9:10]
	s_waitcnt lgkmcnt(0)
	s_barrier
	ds_read2_b64 v[16:19], v12 offset1:16
	ds_read_b128 v[20:23], v14
	v_add_co_u32_e32 v3, vcc, 0x80, v3
	v_addc_co_u32_e32 v4, vcc, 0, v4, vcc
	s_waitcnt lgkmcnt(0)
	v_fma_f64 v[7:8], v[16:17], v[20:21], v[7:8]
	s_add_i32 s9, s9, 16
	v_add_co_u32_e32 v5, vcc, 0x80, v5
	s_cmp_ge_i32 s9, s21
	v_addc_co_u32_e32 v6, vcc, 0, v6, vcc
	v_fma_f64 v[20:21], v[18:19], v[22:23], v[7:8]
	ds_read_b128 v[7:10], v14 offset:16
	ds_read2_b64 v[16:19], v12 offset0:32 offset1:48
	s_waitcnt lgkmcnt(0)
	v_fma_f64 v[7:8], v[16:17], v[7:8], v[20:21]
	v_fma_f64 v[20:21], v[18:19], v[9:10], v[7:8]
	ds_read2_b64 v[7:10], v12 offset0:64 offset1:80
	ds_read_b128 v[16:19], v14 offset:32
	s_waitcnt lgkmcnt(0)
	v_fma_f64 v[7:8], v[7:8], v[16:17], v[20:21]
	v_fma_f64 v[20:21], v[9:10], v[18:19], v[7:8]
	ds_read_b128 v[7:10], v14 offset:48
	ds_read2_b64 v[16:19], v12 offset0:96 offset1:112
	s_waitcnt lgkmcnt(0)
	v_fma_f64 v[7:8], v[16:17], v[7:8], v[20:21]
	v_fma_f64 v[20:21], v[18:19], v[9:10], v[7:8]
	ds_read2_b64 v[7:10], v12 offset0:128 offset1:144
	ds_read_b128 v[16:19], v14 offset:64
	s_waitcnt lgkmcnt(0)
	v_fma_f64 v[7:8], v[7:8], v[16:17], v[20:21]
	;; [unrolled: 10-line block ×3, first 2 shown]
	v_fma_f64 v[20:21], v[9:10], v[18:19], v[7:8]
	ds_read_b128 v[7:10], v14 offset:112
	ds_read2_b64 v[16:19], v12 offset0:224 offset1:240
	s_waitcnt lgkmcnt(0)
	s_barrier
	v_fma_f64 v[7:8], v[16:17], v[7:8], v[20:21]
	v_fma_f64 v[7:8], v[18:19], v[9:10], v[7:8]
	s_cbranch_scc1 .LBB134_8
.LBB134_3:                              ; =>This Inner Loop Header: Depth=1
	v_add_u32_e32 v9, s9, v1
	v_cmp_gt_i32_e32 vcc, s21, v9
	v_mov_b32_e32 v9, 0
	v_mov_b32_e32 v10, 0
	s_and_b64 s[14:15], s[0:1], vcc
	s_and_saveexec_b64 s[6:7], s[14:15]
	s_cbranch_execz .LBB134_5
; %bb.4:                                ;   in Loop: Header=BB134_3 Depth=1
	global_load_dwordx2 v[9:10], v[5:6], off
.LBB134_5:                              ;   in Loop: Header=BB134_3 Depth=1
	s_or_b64 exec, exec, s[6:7]
	s_waitcnt vmcnt(0)
	ds_write_b64 v13, v[9:10]
	v_add_u32_e32 v9, s9, v0
	v_cmp_gt_i32_e32 vcc, s21, v9
	v_mov_b32_e32 v9, 0
	v_mov_b32_e32 v10, 0
	s_and_b64 s[14:15], s[2:3], vcc
	s_and_saveexec_b64 s[6:7], s[14:15]
	s_cbranch_execz .LBB134_2
; %bb.6:                                ;   in Loop: Header=BB134_3 Depth=1
	global_load_dwordx2 v[9:10], v[3:4], off
	s_branch .LBB134_2
.LBB134_7:
	v_mov_b32_e32 v7, 0
	v_mov_b32_e32 v8, 0
.LBB134_8:
	v_cmp_le_i32_e32 vcc, v11, v2
	v_cmp_gt_i32_e64 s[0:1], s20, v2
	s_and_b64 s[0:1], vcc, s[0:1]
	s_and_saveexec_b64 s[2:3], s[0:1]
	s_cbranch_execz .LBB134_10
; %bb.9:
	s_load_dwordx2 s[0:1], s[4:5], 0x58
	s_load_dword s2, s[4:5], 0x50
	v_ashrrev_i32_e32 v3, 31, v2
	s_waitcnt lgkmcnt(0)
	s_mul_i32 s1, s1, s8
	s_mul_hi_u32 s3, s0, s8
	s_add_i32 s1, s3, s1
	v_mad_i64_i32 v[0:1], s[2:3], s2, v11, 0
	s_mul_i32 s0, s0, s8
	s_lshl_b64 s[0:1], s[0:1], 3
	s_add_u32 s0, s10, s0
	v_lshlrev_b64 v[0:1], 3, v[0:1]
	s_addc_u32 s1, s11, s1
	v_mov_b32_e32 v4, s1
	v_add_co_u32_e32 v5, vcc, s0, v0
	v_addc_co_u32_e32 v4, vcc, v4, v1, vcc
	v_lshlrev_b64 v[0:1], 3, v[2:3]
	v_add_co_u32_e32 v0, vcc, v5, v0
	v_addc_co_u32_e32 v1, vcc, v4, v1, vcc
	global_load_dwordx2 v[2:3], v[0:1], off
	s_waitcnt vmcnt(0)
	v_mul_f64 v[2:3], s[18:19], v[2:3]
	v_fma_f64 v[2:3], s[12:13], v[7:8], v[2:3]
	global_store_dwordx2 v[0:1], v[2:3], off
.LBB134_10:
	s_endpgm
	.section	.rodata,"a",@progbits
	.p2align	6, 0x0
	.amdhsa_kernel _ZL32rocblas_syrkx_herkx_small_kernelIidLi16ELb0ELb0ELc67ELc76EKddEviT_T0_PT6_S1_lS4_S1_lS2_PT7_S1_li
		.amdhsa_group_segment_fixed_size 4096
		.amdhsa_private_segment_fixed_size 0
		.amdhsa_kernarg_size 100
		.amdhsa_user_sgpr_count 6
		.amdhsa_user_sgpr_private_segment_buffer 1
		.amdhsa_user_sgpr_dispatch_ptr 0
		.amdhsa_user_sgpr_queue_ptr 0
		.amdhsa_user_sgpr_kernarg_segment_ptr 1
		.amdhsa_user_sgpr_dispatch_id 0
		.amdhsa_user_sgpr_flat_scratch_init 0
		.amdhsa_user_sgpr_private_segment_size 0
		.amdhsa_uses_dynamic_stack 0
		.amdhsa_system_sgpr_private_segment_wavefront_offset 0
		.amdhsa_system_sgpr_workgroup_id_x 1
		.amdhsa_system_sgpr_workgroup_id_y 1
		.amdhsa_system_sgpr_workgroup_id_z 1
		.amdhsa_system_sgpr_workgroup_info 0
		.amdhsa_system_vgpr_workitem_id 1
		.amdhsa_next_free_vgpr 24
		.amdhsa_next_free_sgpr 28
		.amdhsa_reserve_vcc 1
		.amdhsa_reserve_flat_scratch 0
		.amdhsa_float_round_mode_32 0
		.amdhsa_float_round_mode_16_64 0
		.amdhsa_float_denorm_mode_32 3
		.amdhsa_float_denorm_mode_16_64 3
		.amdhsa_dx10_clamp 1
		.amdhsa_ieee_mode 1
		.amdhsa_fp16_overflow 0
		.amdhsa_exception_fp_ieee_invalid_op 0
		.amdhsa_exception_fp_denorm_src 0
		.amdhsa_exception_fp_ieee_div_zero 0
		.amdhsa_exception_fp_ieee_overflow 0
		.amdhsa_exception_fp_ieee_underflow 0
		.amdhsa_exception_fp_ieee_inexact 0
		.amdhsa_exception_int_div_zero 0
	.end_amdhsa_kernel
	.section	.text._ZL32rocblas_syrkx_herkx_small_kernelIidLi16ELb0ELb0ELc67ELc76EKddEviT_T0_PT6_S1_lS4_S1_lS2_PT7_S1_li,"axG",@progbits,_ZL32rocblas_syrkx_herkx_small_kernelIidLi16ELb0ELb0ELc67ELc76EKddEviT_T0_PT6_S1_lS4_S1_lS2_PT7_S1_li,comdat
.Lfunc_end134:
	.size	_ZL32rocblas_syrkx_herkx_small_kernelIidLi16ELb0ELb0ELc67ELc76EKddEviT_T0_PT6_S1_lS4_S1_lS2_PT7_S1_li, .Lfunc_end134-_ZL32rocblas_syrkx_herkx_small_kernelIidLi16ELb0ELb0ELc67ELc76EKddEviT_T0_PT6_S1_lS4_S1_lS2_PT7_S1_li
                                        ; -- End function
	.set _ZL32rocblas_syrkx_herkx_small_kernelIidLi16ELb0ELb0ELc67ELc76EKddEviT_T0_PT6_S1_lS4_S1_lS2_PT7_S1_li.num_vgpr, 24
	.set _ZL32rocblas_syrkx_herkx_small_kernelIidLi16ELb0ELb0ELc67ELc76EKddEviT_T0_PT6_S1_lS4_S1_lS2_PT7_S1_li.num_agpr, 0
	.set _ZL32rocblas_syrkx_herkx_small_kernelIidLi16ELb0ELb0ELc67ELc76EKddEviT_T0_PT6_S1_lS4_S1_lS2_PT7_S1_li.numbered_sgpr, 28
	.set _ZL32rocblas_syrkx_herkx_small_kernelIidLi16ELb0ELb0ELc67ELc76EKddEviT_T0_PT6_S1_lS4_S1_lS2_PT7_S1_li.num_named_barrier, 0
	.set _ZL32rocblas_syrkx_herkx_small_kernelIidLi16ELb0ELb0ELc67ELc76EKddEviT_T0_PT6_S1_lS4_S1_lS2_PT7_S1_li.private_seg_size, 0
	.set _ZL32rocblas_syrkx_herkx_small_kernelIidLi16ELb0ELb0ELc67ELc76EKddEviT_T0_PT6_S1_lS4_S1_lS2_PT7_S1_li.uses_vcc, 1
	.set _ZL32rocblas_syrkx_herkx_small_kernelIidLi16ELb0ELb0ELc67ELc76EKddEviT_T0_PT6_S1_lS4_S1_lS2_PT7_S1_li.uses_flat_scratch, 0
	.set _ZL32rocblas_syrkx_herkx_small_kernelIidLi16ELb0ELb0ELc67ELc76EKddEviT_T0_PT6_S1_lS4_S1_lS2_PT7_S1_li.has_dyn_sized_stack, 0
	.set _ZL32rocblas_syrkx_herkx_small_kernelIidLi16ELb0ELb0ELc67ELc76EKddEviT_T0_PT6_S1_lS4_S1_lS2_PT7_S1_li.has_recursion, 0
	.set _ZL32rocblas_syrkx_herkx_small_kernelIidLi16ELb0ELb0ELc67ELc76EKddEviT_T0_PT6_S1_lS4_S1_lS2_PT7_S1_li.has_indirect_call, 0
	.section	.AMDGPU.csdata,"",@progbits
; Kernel info:
; codeLenInByte = 896
; TotalNumSgprs: 32
; NumVgprs: 24
; ScratchSize: 0
; MemoryBound: 0
; FloatMode: 240
; IeeeMode: 1
; LDSByteSize: 4096 bytes/workgroup (compile time only)
; SGPRBlocks: 3
; VGPRBlocks: 5
; NumSGPRsForWavesPerEU: 32
; NumVGPRsForWavesPerEU: 24
; Occupancy: 10
; WaveLimiterHint : 0
; COMPUTE_PGM_RSRC2:SCRATCH_EN: 0
; COMPUTE_PGM_RSRC2:USER_SGPR: 6
; COMPUTE_PGM_RSRC2:TRAP_HANDLER: 0
; COMPUTE_PGM_RSRC2:TGID_X_EN: 1
; COMPUTE_PGM_RSRC2:TGID_Y_EN: 1
; COMPUTE_PGM_RSRC2:TGID_Z_EN: 1
; COMPUTE_PGM_RSRC2:TIDIG_COMP_CNT: 1
	.section	.text._ZL32rocblas_syrkx_herkx_small_kernelIidLi16ELb0ELb0ELc78ELc76EKddEviT_T0_PT6_S1_lS4_S1_lS2_PT7_S1_li,"axG",@progbits,_ZL32rocblas_syrkx_herkx_small_kernelIidLi16ELb0ELb0ELc78ELc76EKddEviT_T0_PT6_S1_lS4_S1_lS2_PT7_S1_li,comdat
	.globl	_ZL32rocblas_syrkx_herkx_small_kernelIidLi16ELb0ELb0ELc78ELc76EKddEviT_T0_PT6_S1_lS4_S1_lS2_PT7_S1_li ; -- Begin function _ZL32rocblas_syrkx_herkx_small_kernelIidLi16ELb0ELb0ELc78ELc76EKddEviT_T0_PT6_S1_lS4_S1_lS2_PT7_S1_li
	.p2align	8
	.type	_ZL32rocblas_syrkx_herkx_small_kernelIidLi16ELb0ELb0ELc78ELc76EKddEviT_T0_PT6_S1_lS4_S1_lS2_PT7_S1_li,@function
_ZL32rocblas_syrkx_herkx_small_kernelIidLi16ELb0ELb0ELc78ELc76EKddEviT_T0_PT6_S1_lS4_S1_lS2_PT7_S1_li: ; @_ZL32rocblas_syrkx_herkx_small_kernelIidLi16ELb0ELb0ELc78ELc76EKddEviT_T0_PT6_S1_lS4_S1_lS2_PT7_S1_li
; %bb.0:
	s_load_dwordx2 s[24:25], s[4:5], 0x0
	s_load_dwordx4 s[12:15], s[4:5], 0x8
	s_load_dwordx4 s[16:19], s[4:5], 0x38
	s_load_dwordx2 s[10:11], s[4:5], 0x48
	v_lshl_add_u32 v2, s6, 4, v0
	s_mov_b32 s9, 0
	v_lshl_add_u32 v4, s7, 4, v1
	s_waitcnt lgkmcnt(0)
	s_cmp_lt_i32 s25, 1
	v_cmp_gt_i32_e32 vcc, s24, v2
	v_ashrrev_i32_e32 v3, 31, v2
	s_cbranch_scc1 .LBB135_7
; %bb.1:
	s_load_dword s26, s[4:5], 0x18
	s_load_dword s6, s[4:5], 0x30
	s_load_dwordx4 s[20:23], s[4:5], 0x20
	s_mul_i32 s17, s17, s8
	s_mul_hi_u32 s28, s16, s8
	v_lshlrev_b32_e32 v5, 7, v1
	s_waitcnt lgkmcnt(0)
	v_mad_i64_i32 v[6:7], s[2:3], s6, v0, 0
	v_lshlrev_b32_e32 v13, 3, v0
	s_add_i32 s3, s28, s17
	s_mul_i32 s2, s16, s8
	v_lshlrev_b64 v[6:7], 3, v[6:7]
	v_add_u32_e32 v14, v13, v5
	v_add_u32_e32 v15, 0x800, v5
	v_ashrrev_i32_e32 v5, 31, v4
	s_lshl_b64 s[2:3], s[2:3], 3
	v_mov_b32_e32 v8, s3
	v_add_co_u32_e64 v9, s[2:3], s2, v6
	v_lshlrev_b64 v[5:6], 3, v[4:5]
	v_addc_co_u32_e64 v7, s[2:3], v8, v7, s[2:3]
	v_add_co_u32_e64 v5, s[2:3], v9, v5
	v_addc_co_u32_e64 v6, s[2:3], v7, v6, s[2:3]
	v_mov_b32_e32 v7, s23
	v_add_co_u32_e64 v5, s[2:3], s22, v5
	v_addc_co_u32_e64 v6, s[2:3], v7, v6, s[2:3]
	v_mad_i64_i32 v[7:8], s[2:3], s26, v1, 0
	s_mul_i32 s16, s21, s8
	s_mul_hi_u32 s17, s20, s8
	s_add_i32 s3, s17, s16
	s_mul_i32 s2, s20, s8
	v_lshlrev_b64 v[7:8], 3, v[7:8]
	s_lshl_b64 s[2:3], s[2:3], 3
	v_mov_b32_e32 v9, s3
	v_add_co_u32_e64 v10, s[2:3], s2, v7
	v_addc_co_u32_e64 v9, s[2:3], v9, v8, s[2:3]
	v_lshlrev_b64 v[7:8], 3, v[2:3]
	s_ashr_i32 s27, s26, 31
	v_add_co_u32_e64 v7, s[2:3], v10, v7
	v_addc_co_u32_e64 v8, s[2:3], v9, v8, s[2:3]
	s_ashr_i32 s7, s6, 31
	v_mov_b32_e32 v9, s15
	v_add_co_u32_e64 v7, s[2:3], s14, v7
	s_lshl_b64 s[6:7], s[6:7], 7
	v_addc_co_u32_e64 v8, s[2:3], v9, v8, s[2:3]
	s_lshl_b64 s[14:15], s[26:27], 7
	v_mov_b32_e32 v9, 0
	v_cmp_gt_i32_e64 s[0:1], s24, v4
	v_add_u32_e32 v16, v15, v13
	v_mov_b32_e32 v10, 0
	v_mov_b32_e32 v17, s7
	;; [unrolled: 1-line block ×3, first 2 shown]
	s_branch .LBB135_3
.LBB135_2:                              ;   in Loop: Header=BB135_3 Depth=1
	s_or_b64 exec, exec, s[2:3]
	s_waitcnt vmcnt(0)
	ds_write_b64 v16, v[11:12]
	s_waitcnt lgkmcnt(0)
	s_barrier
	ds_read2_b64 v[19:22], v13 offset1:16
	ds_read_b128 v[23:26], v15
	v_add_co_u32_e64 v5, s[2:3], s6, v5
	v_addc_co_u32_e64 v6, s[2:3], v6, v17, s[2:3]
	s_waitcnt lgkmcnt(0)
	v_fma_f64 v[9:10], v[19:20], v[23:24], v[9:10]
	s_add_i32 s9, s9, 16
	v_add_co_u32_e64 v7, s[2:3], s14, v7
	s_cmp_ge_i32 s9, s25
	v_addc_co_u32_e64 v8, s[2:3], v8, v18, s[2:3]
	v_fma_f64 v[23:24], v[21:22], v[25:26], v[9:10]
	ds_read_b128 v[9:12], v15 offset:16
	ds_read2_b64 v[19:22], v13 offset0:32 offset1:48
	s_waitcnt lgkmcnt(0)
	v_fma_f64 v[9:10], v[19:20], v[9:10], v[23:24]
	v_fma_f64 v[23:24], v[21:22], v[11:12], v[9:10]
	ds_read2_b64 v[9:12], v13 offset0:64 offset1:80
	ds_read_b128 v[19:22], v15 offset:32
	s_waitcnt lgkmcnt(0)
	v_fma_f64 v[9:10], v[9:10], v[19:20], v[23:24]
	v_fma_f64 v[23:24], v[11:12], v[21:22], v[9:10]
	ds_read_b128 v[9:12], v15 offset:48
	ds_read2_b64 v[19:22], v13 offset0:96 offset1:112
	s_waitcnt lgkmcnt(0)
	v_fma_f64 v[9:10], v[19:20], v[9:10], v[23:24]
	v_fma_f64 v[23:24], v[21:22], v[11:12], v[9:10]
	ds_read2_b64 v[9:12], v13 offset0:128 offset1:144
	ds_read_b128 v[19:22], v15 offset:64
	s_waitcnt lgkmcnt(0)
	v_fma_f64 v[9:10], v[9:10], v[19:20], v[23:24]
	;; [unrolled: 10-line block ×3, first 2 shown]
	v_fma_f64 v[23:24], v[11:12], v[21:22], v[9:10]
	ds_read_b128 v[9:12], v15 offset:112
	ds_read2_b64 v[19:22], v13 offset0:224 offset1:240
	s_waitcnt lgkmcnt(0)
	s_barrier
	v_fma_f64 v[9:10], v[19:20], v[9:10], v[23:24]
	v_fma_f64 v[9:10], v[21:22], v[11:12], v[9:10]
	s_cbranch_scc1 .LBB135_8
.LBB135_3:                              ; =>This Inner Loop Header: Depth=1
	v_add_u32_e32 v11, s9, v1
	v_cmp_gt_i32_e64 s[2:3], s25, v11
	v_mov_b32_e32 v11, 0
	v_mov_b32_e32 v12, 0
	s_and_b64 s[16:17], vcc, s[2:3]
	s_and_saveexec_b64 s[2:3], s[16:17]
	s_cbranch_execz .LBB135_5
; %bb.4:                                ;   in Loop: Header=BB135_3 Depth=1
	global_load_dwordx2 v[11:12], v[7:8], off
.LBB135_5:                              ;   in Loop: Header=BB135_3 Depth=1
	s_or_b64 exec, exec, s[2:3]
	s_waitcnt vmcnt(0)
	ds_write_b64 v14, v[11:12]
	v_add_u32_e32 v11, s9, v0
	v_cmp_gt_i32_e64 s[2:3], s25, v11
	v_mov_b32_e32 v11, 0
	v_mov_b32_e32 v12, 0
	s_and_b64 s[16:17], s[0:1], s[2:3]
	s_and_saveexec_b64 s[2:3], s[16:17]
	s_cbranch_execz .LBB135_2
; %bb.6:                                ;   in Loop: Header=BB135_3 Depth=1
	global_load_dwordx2 v[11:12], v[5:6], off
	s_branch .LBB135_2
.LBB135_7:
	v_mov_b32_e32 v9, 0
	v_mov_b32_e32 v10, 0
.LBB135_8:
	v_cmp_le_i32_e32 vcc, v4, v2
	v_cmp_gt_i32_e64 s[0:1], s24, v2
	s_and_b64 s[0:1], vcc, s[0:1]
	s_and_saveexec_b64 s[2:3], s[0:1]
	s_cbranch_execz .LBB135_10
; %bb.9:
	s_load_dwordx2 s[0:1], s[4:5], 0x58
	s_load_dword s2, s[4:5], 0x50
	s_waitcnt lgkmcnt(0)
	s_mul_i32 s1, s1, s8
	s_mul_hi_u32 s3, s0, s8
	s_add_i32 s1, s3, s1
	v_mad_i64_i32 v[0:1], s[2:3], s2, v4, 0
	s_mul_i32 s0, s0, s8
	s_lshl_b64 s[0:1], s[0:1], 3
	s_add_u32 s0, s10, s0
	v_lshlrev_b64 v[0:1], 3, v[0:1]
	s_addc_u32 s1, s11, s1
	v_mov_b32_e32 v4, s1
	v_add_co_u32_e32 v5, vcc, s0, v0
	v_addc_co_u32_e32 v4, vcc, v4, v1, vcc
	v_lshlrev_b64 v[0:1], 3, v[2:3]
	v_add_co_u32_e32 v0, vcc, v5, v0
	v_addc_co_u32_e32 v1, vcc, v4, v1, vcc
	global_load_dwordx2 v[2:3], v[0:1], off
	s_waitcnt vmcnt(0)
	v_mul_f64 v[2:3], s[18:19], v[2:3]
	v_fma_f64 v[2:3], s[12:13], v[9:10], v[2:3]
	global_store_dwordx2 v[0:1], v[2:3], off
.LBB135_10:
	s_endpgm
	.section	.rodata,"a",@progbits
	.p2align	6, 0x0
	.amdhsa_kernel _ZL32rocblas_syrkx_herkx_small_kernelIidLi16ELb0ELb0ELc78ELc76EKddEviT_T0_PT6_S1_lS4_S1_lS2_PT7_S1_li
		.amdhsa_group_segment_fixed_size 4096
		.amdhsa_private_segment_fixed_size 0
		.amdhsa_kernarg_size 100
		.amdhsa_user_sgpr_count 6
		.amdhsa_user_sgpr_private_segment_buffer 1
		.amdhsa_user_sgpr_dispatch_ptr 0
		.amdhsa_user_sgpr_queue_ptr 0
		.amdhsa_user_sgpr_kernarg_segment_ptr 1
		.amdhsa_user_sgpr_dispatch_id 0
		.amdhsa_user_sgpr_flat_scratch_init 0
		.amdhsa_user_sgpr_private_segment_size 0
		.amdhsa_uses_dynamic_stack 0
		.amdhsa_system_sgpr_private_segment_wavefront_offset 0
		.amdhsa_system_sgpr_workgroup_id_x 1
		.amdhsa_system_sgpr_workgroup_id_y 1
		.amdhsa_system_sgpr_workgroup_id_z 1
		.amdhsa_system_sgpr_workgroup_info 0
		.amdhsa_system_vgpr_workitem_id 1
		.amdhsa_next_free_vgpr 27
		.amdhsa_next_free_sgpr 29
		.amdhsa_reserve_vcc 1
		.amdhsa_reserve_flat_scratch 0
		.amdhsa_float_round_mode_32 0
		.amdhsa_float_round_mode_16_64 0
		.amdhsa_float_denorm_mode_32 3
		.amdhsa_float_denorm_mode_16_64 3
		.amdhsa_dx10_clamp 1
		.amdhsa_ieee_mode 1
		.amdhsa_fp16_overflow 0
		.amdhsa_exception_fp_ieee_invalid_op 0
		.amdhsa_exception_fp_denorm_src 0
		.amdhsa_exception_fp_ieee_div_zero 0
		.amdhsa_exception_fp_ieee_overflow 0
		.amdhsa_exception_fp_ieee_underflow 0
		.amdhsa_exception_fp_ieee_inexact 0
		.amdhsa_exception_int_div_zero 0
	.end_amdhsa_kernel
	.section	.text._ZL32rocblas_syrkx_herkx_small_kernelIidLi16ELb0ELb0ELc78ELc76EKddEviT_T0_PT6_S1_lS4_S1_lS2_PT7_S1_li,"axG",@progbits,_ZL32rocblas_syrkx_herkx_small_kernelIidLi16ELb0ELb0ELc78ELc76EKddEviT_T0_PT6_S1_lS4_S1_lS2_PT7_S1_li,comdat
.Lfunc_end135:
	.size	_ZL32rocblas_syrkx_herkx_small_kernelIidLi16ELb0ELb0ELc78ELc76EKddEviT_T0_PT6_S1_lS4_S1_lS2_PT7_S1_li, .Lfunc_end135-_ZL32rocblas_syrkx_herkx_small_kernelIidLi16ELb0ELb0ELc78ELc76EKddEviT_T0_PT6_S1_lS4_S1_lS2_PT7_S1_li
                                        ; -- End function
	.set _ZL32rocblas_syrkx_herkx_small_kernelIidLi16ELb0ELb0ELc78ELc76EKddEviT_T0_PT6_S1_lS4_S1_lS2_PT7_S1_li.num_vgpr, 27
	.set _ZL32rocblas_syrkx_herkx_small_kernelIidLi16ELb0ELb0ELc78ELc76EKddEviT_T0_PT6_S1_lS4_S1_lS2_PT7_S1_li.num_agpr, 0
	.set _ZL32rocblas_syrkx_herkx_small_kernelIidLi16ELb0ELb0ELc78ELc76EKddEviT_T0_PT6_S1_lS4_S1_lS2_PT7_S1_li.numbered_sgpr, 29
	.set _ZL32rocblas_syrkx_herkx_small_kernelIidLi16ELb0ELb0ELc78ELc76EKddEviT_T0_PT6_S1_lS4_S1_lS2_PT7_S1_li.num_named_barrier, 0
	.set _ZL32rocblas_syrkx_herkx_small_kernelIidLi16ELb0ELb0ELc78ELc76EKddEviT_T0_PT6_S1_lS4_S1_lS2_PT7_S1_li.private_seg_size, 0
	.set _ZL32rocblas_syrkx_herkx_small_kernelIidLi16ELb0ELb0ELc78ELc76EKddEviT_T0_PT6_S1_lS4_S1_lS2_PT7_S1_li.uses_vcc, 1
	.set _ZL32rocblas_syrkx_herkx_small_kernelIidLi16ELb0ELb0ELc78ELc76EKddEviT_T0_PT6_S1_lS4_S1_lS2_PT7_S1_li.uses_flat_scratch, 0
	.set _ZL32rocblas_syrkx_herkx_small_kernelIidLi16ELb0ELb0ELc78ELc76EKddEviT_T0_PT6_S1_lS4_S1_lS2_PT7_S1_li.has_dyn_sized_stack, 0
	.set _ZL32rocblas_syrkx_herkx_small_kernelIidLi16ELb0ELb0ELc78ELc76EKddEviT_T0_PT6_S1_lS4_S1_lS2_PT7_S1_li.has_recursion, 0
	.set _ZL32rocblas_syrkx_herkx_small_kernelIidLi16ELb0ELb0ELc78ELc76EKddEviT_T0_PT6_S1_lS4_S1_lS2_PT7_S1_li.has_indirect_call, 0
	.section	.AMDGPU.csdata,"",@progbits
; Kernel info:
; codeLenInByte = 996
; TotalNumSgprs: 33
; NumVgprs: 27
; ScratchSize: 0
; MemoryBound: 0
; FloatMode: 240
; IeeeMode: 1
; LDSByteSize: 4096 bytes/workgroup (compile time only)
; SGPRBlocks: 4
; VGPRBlocks: 6
; NumSGPRsForWavesPerEU: 33
; NumVGPRsForWavesPerEU: 27
; Occupancy: 9
; WaveLimiterHint : 0
; COMPUTE_PGM_RSRC2:SCRATCH_EN: 0
; COMPUTE_PGM_RSRC2:USER_SGPR: 6
; COMPUTE_PGM_RSRC2:TRAP_HANDLER: 0
; COMPUTE_PGM_RSRC2:TGID_X_EN: 1
; COMPUTE_PGM_RSRC2:TGID_Y_EN: 1
; COMPUTE_PGM_RSRC2:TGID_Z_EN: 1
; COMPUTE_PGM_RSRC2:TIDIG_COMP_CNT: 1
	.section	.text._ZL32rocblas_syrkx_herkx_small_kernelIidLi16ELb0ELb0ELc84ELc85EKddEviT_T0_PT6_S1_lS4_S1_lS2_PT7_S1_li,"axG",@progbits,_ZL32rocblas_syrkx_herkx_small_kernelIidLi16ELb0ELb0ELc84ELc85EKddEviT_T0_PT6_S1_lS4_S1_lS2_PT7_S1_li,comdat
	.globl	_ZL32rocblas_syrkx_herkx_small_kernelIidLi16ELb0ELb0ELc84ELc85EKddEviT_T0_PT6_S1_lS4_S1_lS2_PT7_S1_li ; -- Begin function _ZL32rocblas_syrkx_herkx_small_kernelIidLi16ELb0ELb0ELc84ELc85EKddEviT_T0_PT6_S1_lS4_S1_lS2_PT7_S1_li
	.p2align	8
	.type	_ZL32rocblas_syrkx_herkx_small_kernelIidLi16ELb0ELb0ELc84ELc85EKddEviT_T0_PT6_S1_lS4_S1_lS2_PT7_S1_li,@function
_ZL32rocblas_syrkx_herkx_small_kernelIidLi16ELb0ELb0ELc84ELc85EKddEviT_T0_PT6_S1_lS4_S1_lS2_PT7_S1_li: ; @_ZL32rocblas_syrkx_herkx_small_kernelIidLi16ELb0ELb0ELc84ELc85EKddEviT_T0_PT6_S1_lS4_S1_lS2_PT7_S1_li
; %bb.0:
	s_load_dwordx2 s[20:21], s[4:5], 0x0
	s_load_dwordx4 s[12:15], s[4:5], 0x8
	s_load_dwordx4 s[16:19], s[4:5], 0x38
	s_load_dwordx2 s[10:11], s[4:5], 0x48
	v_lshl_add_u32 v11, s7, 4, v1
	s_mov_b32 s9, 0
	v_lshl_add_u32 v2, s6, 4, v0
	s_waitcnt lgkmcnt(0)
	s_cmp_lt_i32 s21, 1
	v_cmp_gt_i32_e64 s[0:1], s20, v11
	s_cbranch_scc1 .LBB136_7
; %bb.1:
	s_load_dword s22, s[4:5], 0x18
	s_load_dwordx4 s[24:27], s[4:5], 0x20
	s_load_dword s6, s[4:5], 0x30
	v_lshlrev_b32_e32 v5, 7, v1
	v_lshlrev_b32_e32 v12, 3, v0
	v_add_u32_e32 v13, v12, v5
	v_add_u32_e32 v14, 0x800, v5
	s_waitcnt lgkmcnt(0)
	v_mad_i64_i32 v[3:4], s[6:7], s6, v11, 0
	s_mul_i32 s6, s17, s8
	s_mul_hi_u32 s7, s16, s8
	v_lshlrev_b64 v[3:4], 3, v[3:4]
	s_add_i32 s7, s7, s6
	s_mul_i32 s6, s16, s8
	s_lshl_b64 s[6:7], s[6:7], 3
	v_mov_b32_e32 v5, s7
	v_add_co_u32_e32 v3, vcc, s6, v3
	v_addc_co_u32_e32 v4, vcc, v4, v5, vcc
	v_mad_i64_i32 v[5:6], s[6:7], s22, v2, 0
	v_add_co_u32_e32 v3, vcc, v3, v12
	v_addc_co_u32_e32 v4, vcc, 0, v4, vcc
	s_mul_i32 s6, s25, s8
	s_mul_hi_u32 s7, s24, s8
	v_mov_b32_e32 v7, s27
	v_add_co_u32_e32 v3, vcc, s26, v3
	v_lshlrev_b64 v[5:6], 3, v[5:6]
	s_add_i32 s7, s7, s6
	s_mul_i32 s6, s24, s8
	v_addc_co_u32_e32 v4, vcc, v7, v4, vcc
	s_lshl_b64 s[6:7], s[6:7], 3
	v_mov_b32_e32 v7, s7
	v_add_co_u32_e32 v5, vcc, s6, v5
	v_addc_co_u32_e32 v6, vcc, v6, v7, vcc
	v_lshlrev_b32_e32 v7, 3, v1
	v_add_co_u32_e32 v5, vcc, v5, v7
	v_addc_co_u32_e32 v6, vcc, 0, v6, vcc
	v_mov_b32_e32 v9, s15
	v_mov_b32_e32 v7, 0
	v_add_co_u32_e32 v5, vcc, s14, v5
	v_cmp_gt_i32_e64 s[2:3], s20, v2
	v_add_u32_e32 v15, v14, v12
	v_mov_b32_e32 v8, 0
	v_addc_co_u32_e32 v6, vcc, v9, v6, vcc
	s_branch .LBB136_3
.LBB136_2:                              ;   in Loop: Header=BB136_3 Depth=1
	s_or_b64 exec, exec, s[6:7]
	s_waitcnt vmcnt(0)
	ds_write_b64 v15, v[9:10]
	s_waitcnt lgkmcnt(0)
	s_barrier
	ds_read2_b64 v[16:19], v12 offset1:16
	ds_read_b128 v[20:23], v14
	v_add_co_u32_e32 v3, vcc, 0x80, v3
	v_addc_co_u32_e32 v4, vcc, 0, v4, vcc
	s_waitcnt lgkmcnt(0)
	v_fma_f64 v[7:8], v[16:17], v[20:21], v[7:8]
	s_add_i32 s9, s9, 16
	v_add_co_u32_e32 v5, vcc, 0x80, v5
	s_cmp_ge_i32 s9, s21
	v_addc_co_u32_e32 v6, vcc, 0, v6, vcc
	v_fma_f64 v[20:21], v[18:19], v[22:23], v[7:8]
	ds_read_b128 v[7:10], v14 offset:16
	ds_read2_b64 v[16:19], v12 offset0:32 offset1:48
	s_waitcnt lgkmcnt(0)
	v_fma_f64 v[7:8], v[16:17], v[7:8], v[20:21]
	v_fma_f64 v[20:21], v[18:19], v[9:10], v[7:8]
	ds_read2_b64 v[7:10], v12 offset0:64 offset1:80
	ds_read_b128 v[16:19], v14 offset:32
	s_waitcnt lgkmcnt(0)
	v_fma_f64 v[7:8], v[7:8], v[16:17], v[20:21]
	v_fma_f64 v[20:21], v[9:10], v[18:19], v[7:8]
	ds_read_b128 v[7:10], v14 offset:48
	ds_read2_b64 v[16:19], v12 offset0:96 offset1:112
	s_waitcnt lgkmcnt(0)
	v_fma_f64 v[7:8], v[16:17], v[7:8], v[20:21]
	v_fma_f64 v[20:21], v[18:19], v[9:10], v[7:8]
	ds_read2_b64 v[7:10], v12 offset0:128 offset1:144
	ds_read_b128 v[16:19], v14 offset:64
	s_waitcnt lgkmcnt(0)
	v_fma_f64 v[7:8], v[7:8], v[16:17], v[20:21]
	v_fma_f64 v[20:21], v[9:10], v[18:19], v[7:8]
	ds_read_b128 v[7:10], v14 offset:80
	ds_read2_b64 v[16:19], v12 offset0:160 offset1:176
	s_waitcnt lgkmcnt(0)
	v_fma_f64 v[7:8], v[16:17], v[7:8], v[20:21]
	v_fma_f64 v[20:21], v[18:19], v[9:10], v[7:8]
	ds_read2_b64 v[7:10], v12 offset0:192 offset1:208
	ds_read_b128 v[16:19], v14 offset:96
	s_waitcnt lgkmcnt(0)
	v_fma_f64 v[7:8], v[7:8], v[16:17], v[20:21]
	v_fma_f64 v[20:21], v[9:10], v[18:19], v[7:8]
	ds_read_b128 v[7:10], v14 offset:112
	ds_read2_b64 v[16:19], v12 offset0:224 offset1:240
	s_waitcnt lgkmcnt(0)
	s_barrier
	v_fma_f64 v[7:8], v[16:17], v[7:8], v[20:21]
	v_fma_f64 v[7:8], v[18:19], v[9:10], v[7:8]
	s_cbranch_scc1 .LBB136_8
.LBB136_3:                              ; =>This Inner Loop Header: Depth=1
	v_add_u32_e32 v9, s9, v1
	v_cmp_gt_i32_e32 vcc, s21, v9
	v_mov_b32_e32 v9, 0
	v_mov_b32_e32 v10, 0
	s_and_b64 s[14:15], s[2:3], vcc
	s_and_saveexec_b64 s[6:7], s[14:15]
	s_cbranch_execz .LBB136_5
; %bb.4:                                ;   in Loop: Header=BB136_3 Depth=1
	global_load_dwordx2 v[9:10], v[5:6], off
.LBB136_5:                              ;   in Loop: Header=BB136_3 Depth=1
	s_or_b64 exec, exec, s[6:7]
	s_waitcnt vmcnt(0)
	ds_write_b64 v13, v[9:10]
	v_add_u32_e32 v9, s9, v0
	v_cmp_gt_i32_e32 vcc, s21, v9
	v_mov_b32_e32 v9, 0
	v_mov_b32_e32 v10, 0
	s_and_b64 s[14:15], s[0:1], vcc
	s_and_saveexec_b64 s[6:7], s[14:15]
	s_cbranch_execz .LBB136_2
; %bb.6:                                ;   in Loop: Header=BB136_3 Depth=1
	global_load_dwordx2 v[9:10], v[3:4], off
	s_branch .LBB136_2
.LBB136_7:
	v_mov_b32_e32 v7, 0
	v_mov_b32_e32 v8, 0
.LBB136_8:
	v_cmp_le_i32_e32 vcc, v2, v11
	v_cmp_gt_i32_e64 s[0:1], s20, v11
	s_and_b64 s[0:1], vcc, s[0:1]
	s_and_saveexec_b64 s[2:3], s[0:1]
	s_cbranch_execz .LBB136_10
; %bb.9:
	s_load_dwordx2 s[0:1], s[4:5], 0x58
	s_load_dword s2, s[4:5], 0x50
	v_ashrrev_i32_e32 v3, 31, v2
	s_waitcnt lgkmcnt(0)
	s_mul_i32 s1, s1, s8
	s_mul_hi_u32 s3, s0, s8
	s_add_i32 s1, s3, s1
	v_mad_i64_i32 v[0:1], s[2:3], s2, v11, 0
	s_mul_i32 s0, s0, s8
	s_lshl_b64 s[0:1], s[0:1], 3
	s_add_u32 s0, s10, s0
	v_lshlrev_b64 v[0:1], 3, v[0:1]
	s_addc_u32 s1, s11, s1
	v_mov_b32_e32 v4, s1
	v_add_co_u32_e32 v5, vcc, s0, v0
	v_addc_co_u32_e32 v4, vcc, v4, v1, vcc
	v_lshlrev_b64 v[0:1], 3, v[2:3]
	v_add_co_u32_e32 v0, vcc, v5, v0
	v_addc_co_u32_e32 v1, vcc, v4, v1, vcc
	global_load_dwordx2 v[2:3], v[0:1], off
	s_waitcnt vmcnt(0)
	v_mul_f64 v[2:3], s[18:19], v[2:3]
	v_fma_f64 v[2:3], s[12:13], v[7:8], v[2:3]
	global_store_dwordx2 v[0:1], v[2:3], off
.LBB136_10:
	s_endpgm
	.section	.rodata,"a",@progbits
	.p2align	6, 0x0
	.amdhsa_kernel _ZL32rocblas_syrkx_herkx_small_kernelIidLi16ELb0ELb0ELc84ELc85EKddEviT_T0_PT6_S1_lS4_S1_lS2_PT7_S1_li
		.amdhsa_group_segment_fixed_size 4096
		.amdhsa_private_segment_fixed_size 0
		.amdhsa_kernarg_size 100
		.amdhsa_user_sgpr_count 6
		.amdhsa_user_sgpr_private_segment_buffer 1
		.amdhsa_user_sgpr_dispatch_ptr 0
		.amdhsa_user_sgpr_queue_ptr 0
		.amdhsa_user_sgpr_kernarg_segment_ptr 1
		.amdhsa_user_sgpr_dispatch_id 0
		.amdhsa_user_sgpr_flat_scratch_init 0
		.amdhsa_user_sgpr_private_segment_size 0
		.amdhsa_uses_dynamic_stack 0
		.amdhsa_system_sgpr_private_segment_wavefront_offset 0
		.amdhsa_system_sgpr_workgroup_id_x 1
		.amdhsa_system_sgpr_workgroup_id_y 1
		.amdhsa_system_sgpr_workgroup_id_z 1
		.amdhsa_system_sgpr_workgroup_info 0
		.amdhsa_system_vgpr_workitem_id 1
		.amdhsa_next_free_vgpr 24
		.amdhsa_next_free_sgpr 28
		.amdhsa_reserve_vcc 1
		.amdhsa_reserve_flat_scratch 0
		.amdhsa_float_round_mode_32 0
		.amdhsa_float_round_mode_16_64 0
		.amdhsa_float_denorm_mode_32 3
		.amdhsa_float_denorm_mode_16_64 3
		.amdhsa_dx10_clamp 1
		.amdhsa_ieee_mode 1
		.amdhsa_fp16_overflow 0
		.amdhsa_exception_fp_ieee_invalid_op 0
		.amdhsa_exception_fp_denorm_src 0
		.amdhsa_exception_fp_ieee_div_zero 0
		.amdhsa_exception_fp_ieee_overflow 0
		.amdhsa_exception_fp_ieee_underflow 0
		.amdhsa_exception_fp_ieee_inexact 0
		.amdhsa_exception_int_div_zero 0
	.end_amdhsa_kernel
	.section	.text._ZL32rocblas_syrkx_herkx_small_kernelIidLi16ELb0ELb0ELc84ELc85EKddEviT_T0_PT6_S1_lS4_S1_lS2_PT7_S1_li,"axG",@progbits,_ZL32rocblas_syrkx_herkx_small_kernelIidLi16ELb0ELb0ELc84ELc85EKddEviT_T0_PT6_S1_lS4_S1_lS2_PT7_S1_li,comdat
.Lfunc_end136:
	.size	_ZL32rocblas_syrkx_herkx_small_kernelIidLi16ELb0ELb0ELc84ELc85EKddEviT_T0_PT6_S1_lS4_S1_lS2_PT7_S1_li, .Lfunc_end136-_ZL32rocblas_syrkx_herkx_small_kernelIidLi16ELb0ELb0ELc84ELc85EKddEviT_T0_PT6_S1_lS4_S1_lS2_PT7_S1_li
                                        ; -- End function
	.set _ZL32rocblas_syrkx_herkx_small_kernelIidLi16ELb0ELb0ELc84ELc85EKddEviT_T0_PT6_S1_lS4_S1_lS2_PT7_S1_li.num_vgpr, 24
	.set _ZL32rocblas_syrkx_herkx_small_kernelIidLi16ELb0ELb0ELc84ELc85EKddEviT_T0_PT6_S1_lS4_S1_lS2_PT7_S1_li.num_agpr, 0
	.set _ZL32rocblas_syrkx_herkx_small_kernelIidLi16ELb0ELb0ELc84ELc85EKddEviT_T0_PT6_S1_lS4_S1_lS2_PT7_S1_li.numbered_sgpr, 28
	.set _ZL32rocblas_syrkx_herkx_small_kernelIidLi16ELb0ELb0ELc84ELc85EKddEviT_T0_PT6_S1_lS4_S1_lS2_PT7_S1_li.num_named_barrier, 0
	.set _ZL32rocblas_syrkx_herkx_small_kernelIidLi16ELb0ELb0ELc84ELc85EKddEviT_T0_PT6_S1_lS4_S1_lS2_PT7_S1_li.private_seg_size, 0
	.set _ZL32rocblas_syrkx_herkx_small_kernelIidLi16ELb0ELb0ELc84ELc85EKddEviT_T0_PT6_S1_lS4_S1_lS2_PT7_S1_li.uses_vcc, 1
	.set _ZL32rocblas_syrkx_herkx_small_kernelIidLi16ELb0ELb0ELc84ELc85EKddEviT_T0_PT6_S1_lS4_S1_lS2_PT7_S1_li.uses_flat_scratch, 0
	.set _ZL32rocblas_syrkx_herkx_small_kernelIidLi16ELb0ELb0ELc84ELc85EKddEviT_T0_PT6_S1_lS4_S1_lS2_PT7_S1_li.has_dyn_sized_stack, 0
	.set _ZL32rocblas_syrkx_herkx_small_kernelIidLi16ELb0ELb0ELc84ELc85EKddEviT_T0_PT6_S1_lS4_S1_lS2_PT7_S1_li.has_recursion, 0
	.set _ZL32rocblas_syrkx_herkx_small_kernelIidLi16ELb0ELb0ELc84ELc85EKddEviT_T0_PT6_S1_lS4_S1_lS2_PT7_S1_li.has_indirect_call, 0
	.section	.AMDGPU.csdata,"",@progbits
; Kernel info:
; codeLenInByte = 896
; TotalNumSgprs: 32
; NumVgprs: 24
; ScratchSize: 0
; MemoryBound: 0
; FloatMode: 240
; IeeeMode: 1
; LDSByteSize: 4096 bytes/workgroup (compile time only)
; SGPRBlocks: 3
; VGPRBlocks: 5
; NumSGPRsForWavesPerEU: 32
; NumVGPRsForWavesPerEU: 24
; Occupancy: 10
; WaveLimiterHint : 0
; COMPUTE_PGM_RSRC2:SCRATCH_EN: 0
; COMPUTE_PGM_RSRC2:USER_SGPR: 6
; COMPUTE_PGM_RSRC2:TRAP_HANDLER: 0
; COMPUTE_PGM_RSRC2:TGID_X_EN: 1
; COMPUTE_PGM_RSRC2:TGID_Y_EN: 1
; COMPUTE_PGM_RSRC2:TGID_Z_EN: 1
; COMPUTE_PGM_RSRC2:TIDIG_COMP_CNT: 1
	.section	.text._ZL32rocblas_syrkx_herkx_small_kernelIidLi16ELb0ELb0ELc67ELc85EKddEviT_T0_PT6_S1_lS4_S1_lS2_PT7_S1_li,"axG",@progbits,_ZL32rocblas_syrkx_herkx_small_kernelIidLi16ELb0ELb0ELc67ELc85EKddEviT_T0_PT6_S1_lS4_S1_lS2_PT7_S1_li,comdat
	.globl	_ZL32rocblas_syrkx_herkx_small_kernelIidLi16ELb0ELb0ELc67ELc85EKddEviT_T0_PT6_S1_lS4_S1_lS2_PT7_S1_li ; -- Begin function _ZL32rocblas_syrkx_herkx_small_kernelIidLi16ELb0ELb0ELc67ELc85EKddEviT_T0_PT6_S1_lS4_S1_lS2_PT7_S1_li
	.p2align	8
	.type	_ZL32rocblas_syrkx_herkx_small_kernelIidLi16ELb0ELb0ELc67ELc85EKddEviT_T0_PT6_S1_lS4_S1_lS2_PT7_S1_li,@function
_ZL32rocblas_syrkx_herkx_small_kernelIidLi16ELb0ELb0ELc67ELc85EKddEviT_T0_PT6_S1_lS4_S1_lS2_PT7_S1_li: ; @_ZL32rocblas_syrkx_herkx_small_kernelIidLi16ELb0ELb0ELc67ELc85EKddEviT_T0_PT6_S1_lS4_S1_lS2_PT7_S1_li
; %bb.0:
	s_load_dwordx2 s[20:21], s[4:5], 0x0
	s_load_dwordx4 s[12:15], s[4:5], 0x8
	s_load_dwordx4 s[16:19], s[4:5], 0x38
	s_load_dwordx2 s[10:11], s[4:5], 0x48
	v_lshl_add_u32 v11, s7, 4, v1
	s_mov_b32 s9, 0
	v_lshl_add_u32 v2, s6, 4, v0
	s_waitcnt lgkmcnt(0)
	s_cmp_lt_i32 s21, 1
	v_cmp_gt_i32_e64 s[0:1], s20, v11
	s_cbranch_scc1 .LBB137_7
; %bb.1:
	s_load_dword s22, s[4:5], 0x18
	s_load_dwordx4 s[24:27], s[4:5], 0x20
	s_load_dword s6, s[4:5], 0x30
	v_lshlrev_b32_e32 v5, 7, v1
	v_lshlrev_b32_e32 v12, 3, v0
	v_add_u32_e32 v13, v12, v5
	v_add_u32_e32 v14, 0x800, v5
	s_waitcnt lgkmcnt(0)
	v_mad_i64_i32 v[3:4], s[6:7], s6, v11, 0
	s_mul_i32 s6, s17, s8
	s_mul_hi_u32 s7, s16, s8
	v_lshlrev_b64 v[3:4], 3, v[3:4]
	s_add_i32 s7, s7, s6
	s_mul_i32 s6, s16, s8
	s_lshl_b64 s[6:7], s[6:7], 3
	v_mov_b32_e32 v5, s7
	v_add_co_u32_e32 v3, vcc, s6, v3
	v_addc_co_u32_e32 v4, vcc, v4, v5, vcc
	v_mad_i64_i32 v[5:6], s[6:7], s22, v2, 0
	v_add_co_u32_e32 v3, vcc, v3, v12
	v_addc_co_u32_e32 v4, vcc, 0, v4, vcc
	s_mul_i32 s6, s25, s8
	s_mul_hi_u32 s7, s24, s8
	v_mov_b32_e32 v7, s27
	v_add_co_u32_e32 v3, vcc, s26, v3
	v_lshlrev_b64 v[5:6], 3, v[5:6]
	s_add_i32 s7, s7, s6
	s_mul_i32 s6, s24, s8
	v_addc_co_u32_e32 v4, vcc, v7, v4, vcc
	s_lshl_b64 s[6:7], s[6:7], 3
	v_mov_b32_e32 v7, s7
	v_add_co_u32_e32 v5, vcc, s6, v5
	v_addc_co_u32_e32 v6, vcc, v6, v7, vcc
	v_lshlrev_b32_e32 v7, 3, v1
	v_add_co_u32_e32 v5, vcc, v5, v7
	v_addc_co_u32_e32 v6, vcc, 0, v6, vcc
	v_mov_b32_e32 v9, s15
	v_mov_b32_e32 v7, 0
	v_add_co_u32_e32 v5, vcc, s14, v5
	v_cmp_gt_i32_e64 s[2:3], s20, v2
	v_add_u32_e32 v15, v14, v12
	v_mov_b32_e32 v8, 0
	v_addc_co_u32_e32 v6, vcc, v9, v6, vcc
	s_branch .LBB137_3
.LBB137_2:                              ;   in Loop: Header=BB137_3 Depth=1
	s_or_b64 exec, exec, s[6:7]
	s_waitcnt vmcnt(0)
	ds_write_b64 v15, v[9:10]
	s_waitcnt lgkmcnt(0)
	s_barrier
	ds_read2_b64 v[16:19], v12 offset1:16
	ds_read_b128 v[20:23], v14
	v_add_co_u32_e32 v3, vcc, 0x80, v3
	v_addc_co_u32_e32 v4, vcc, 0, v4, vcc
	s_waitcnt lgkmcnt(0)
	v_fma_f64 v[7:8], v[16:17], v[20:21], v[7:8]
	s_add_i32 s9, s9, 16
	v_add_co_u32_e32 v5, vcc, 0x80, v5
	s_cmp_ge_i32 s9, s21
	v_addc_co_u32_e32 v6, vcc, 0, v6, vcc
	v_fma_f64 v[20:21], v[18:19], v[22:23], v[7:8]
	ds_read_b128 v[7:10], v14 offset:16
	ds_read2_b64 v[16:19], v12 offset0:32 offset1:48
	s_waitcnt lgkmcnt(0)
	v_fma_f64 v[7:8], v[16:17], v[7:8], v[20:21]
	v_fma_f64 v[20:21], v[18:19], v[9:10], v[7:8]
	ds_read2_b64 v[7:10], v12 offset0:64 offset1:80
	ds_read_b128 v[16:19], v14 offset:32
	s_waitcnt lgkmcnt(0)
	v_fma_f64 v[7:8], v[7:8], v[16:17], v[20:21]
	v_fma_f64 v[20:21], v[9:10], v[18:19], v[7:8]
	ds_read_b128 v[7:10], v14 offset:48
	ds_read2_b64 v[16:19], v12 offset0:96 offset1:112
	s_waitcnt lgkmcnt(0)
	v_fma_f64 v[7:8], v[16:17], v[7:8], v[20:21]
	v_fma_f64 v[20:21], v[18:19], v[9:10], v[7:8]
	ds_read2_b64 v[7:10], v12 offset0:128 offset1:144
	ds_read_b128 v[16:19], v14 offset:64
	s_waitcnt lgkmcnt(0)
	v_fma_f64 v[7:8], v[7:8], v[16:17], v[20:21]
	;; [unrolled: 10-line block ×3, first 2 shown]
	v_fma_f64 v[20:21], v[9:10], v[18:19], v[7:8]
	ds_read_b128 v[7:10], v14 offset:112
	ds_read2_b64 v[16:19], v12 offset0:224 offset1:240
	s_waitcnt lgkmcnt(0)
	s_barrier
	v_fma_f64 v[7:8], v[16:17], v[7:8], v[20:21]
	v_fma_f64 v[7:8], v[18:19], v[9:10], v[7:8]
	s_cbranch_scc1 .LBB137_8
.LBB137_3:                              ; =>This Inner Loop Header: Depth=1
	v_add_u32_e32 v9, s9, v1
	v_cmp_gt_i32_e32 vcc, s21, v9
	v_mov_b32_e32 v9, 0
	v_mov_b32_e32 v10, 0
	s_and_b64 s[14:15], s[2:3], vcc
	s_and_saveexec_b64 s[6:7], s[14:15]
	s_cbranch_execz .LBB137_5
; %bb.4:                                ;   in Loop: Header=BB137_3 Depth=1
	global_load_dwordx2 v[9:10], v[5:6], off
.LBB137_5:                              ;   in Loop: Header=BB137_3 Depth=1
	s_or_b64 exec, exec, s[6:7]
	s_waitcnt vmcnt(0)
	ds_write_b64 v13, v[9:10]
	v_add_u32_e32 v9, s9, v0
	v_cmp_gt_i32_e32 vcc, s21, v9
	v_mov_b32_e32 v9, 0
	v_mov_b32_e32 v10, 0
	s_and_b64 s[14:15], s[0:1], vcc
	s_and_saveexec_b64 s[6:7], s[14:15]
	s_cbranch_execz .LBB137_2
; %bb.6:                                ;   in Loop: Header=BB137_3 Depth=1
	global_load_dwordx2 v[9:10], v[3:4], off
	s_branch .LBB137_2
.LBB137_7:
	v_mov_b32_e32 v7, 0
	v_mov_b32_e32 v8, 0
.LBB137_8:
	v_cmp_le_i32_e32 vcc, v2, v11
	v_cmp_gt_i32_e64 s[0:1], s20, v11
	s_and_b64 s[0:1], vcc, s[0:1]
	s_and_saveexec_b64 s[2:3], s[0:1]
	s_cbranch_execz .LBB137_10
; %bb.9:
	s_load_dwordx2 s[0:1], s[4:5], 0x58
	s_load_dword s2, s[4:5], 0x50
	v_ashrrev_i32_e32 v3, 31, v2
	s_waitcnt lgkmcnt(0)
	s_mul_i32 s1, s1, s8
	s_mul_hi_u32 s3, s0, s8
	s_add_i32 s1, s3, s1
	v_mad_i64_i32 v[0:1], s[2:3], s2, v11, 0
	s_mul_i32 s0, s0, s8
	s_lshl_b64 s[0:1], s[0:1], 3
	s_add_u32 s0, s10, s0
	v_lshlrev_b64 v[0:1], 3, v[0:1]
	s_addc_u32 s1, s11, s1
	v_mov_b32_e32 v4, s1
	v_add_co_u32_e32 v5, vcc, s0, v0
	v_addc_co_u32_e32 v4, vcc, v4, v1, vcc
	v_lshlrev_b64 v[0:1], 3, v[2:3]
	v_add_co_u32_e32 v0, vcc, v5, v0
	v_addc_co_u32_e32 v1, vcc, v4, v1, vcc
	global_load_dwordx2 v[2:3], v[0:1], off
	s_waitcnt vmcnt(0)
	v_mul_f64 v[2:3], s[18:19], v[2:3]
	v_fma_f64 v[2:3], s[12:13], v[7:8], v[2:3]
	global_store_dwordx2 v[0:1], v[2:3], off
.LBB137_10:
	s_endpgm
	.section	.rodata,"a",@progbits
	.p2align	6, 0x0
	.amdhsa_kernel _ZL32rocblas_syrkx_herkx_small_kernelIidLi16ELb0ELb0ELc67ELc85EKddEviT_T0_PT6_S1_lS4_S1_lS2_PT7_S1_li
		.amdhsa_group_segment_fixed_size 4096
		.amdhsa_private_segment_fixed_size 0
		.amdhsa_kernarg_size 100
		.amdhsa_user_sgpr_count 6
		.amdhsa_user_sgpr_private_segment_buffer 1
		.amdhsa_user_sgpr_dispatch_ptr 0
		.amdhsa_user_sgpr_queue_ptr 0
		.amdhsa_user_sgpr_kernarg_segment_ptr 1
		.amdhsa_user_sgpr_dispatch_id 0
		.amdhsa_user_sgpr_flat_scratch_init 0
		.amdhsa_user_sgpr_private_segment_size 0
		.amdhsa_uses_dynamic_stack 0
		.amdhsa_system_sgpr_private_segment_wavefront_offset 0
		.amdhsa_system_sgpr_workgroup_id_x 1
		.amdhsa_system_sgpr_workgroup_id_y 1
		.amdhsa_system_sgpr_workgroup_id_z 1
		.amdhsa_system_sgpr_workgroup_info 0
		.amdhsa_system_vgpr_workitem_id 1
		.amdhsa_next_free_vgpr 24
		.amdhsa_next_free_sgpr 28
		.amdhsa_reserve_vcc 1
		.amdhsa_reserve_flat_scratch 0
		.amdhsa_float_round_mode_32 0
		.amdhsa_float_round_mode_16_64 0
		.amdhsa_float_denorm_mode_32 3
		.amdhsa_float_denorm_mode_16_64 3
		.amdhsa_dx10_clamp 1
		.amdhsa_ieee_mode 1
		.amdhsa_fp16_overflow 0
		.amdhsa_exception_fp_ieee_invalid_op 0
		.amdhsa_exception_fp_denorm_src 0
		.amdhsa_exception_fp_ieee_div_zero 0
		.amdhsa_exception_fp_ieee_overflow 0
		.amdhsa_exception_fp_ieee_underflow 0
		.amdhsa_exception_fp_ieee_inexact 0
		.amdhsa_exception_int_div_zero 0
	.end_amdhsa_kernel
	.section	.text._ZL32rocblas_syrkx_herkx_small_kernelIidLi16ELb0ELb0ELc67ELc85EKddEviT_T0_PT6_S1_lS4_S1_lS2_PT7_S1_li,"axG",@progbits,_ZL32rocblas_syrkx_herkx_small_kernelIidLi16ELb0ELb0ELc67ELc85EKddEviT_T0_PT6_S1_lS4_S1_lS2_PT7_S1_li,comdat
.Lfunc_end137:
	.size	_ZL32rocblas_syrkx_herkx_small_kernelIidLi16ELb0ELb0ELc67ELc85EKddEviT_T0_PT6_S1_lS4_S1_lS2_PT7_S1_li, .Lfunc_end137-_ZL32rocblas_syrkx_herkx_small_kernelIidLi16ELb0ELb0ELc67ELc85EKddEviT_T0_PT6_S1_lS4_S1_lS2_PT7_S1_li
                                        ; -- End function
	.set _ZL32rocblas_syrkx_herkx_small_kernelIidLi16ELb0ELb0ELc67ELc85EKddEviT_T0_PT6_S1_lS4_S1_lS2_PT7_S1_li.num_vgpr, 24
	.set _ZL32rocblas_syrkx_herkx_small_kernelIidLi16ELb0ELb0ELc67ELc85EKddEviT_T0_PT6_S1_lS4_S1_lS2_PT7_S1_li.num_agpr, 0
	.set _ZL32rocblas_syrkx_herkx_small_kernelIidLi16ELb0ELb0ELc67ELc85EKddEviT_T0_PT6_S1_lS4_S1_lS2_PT7_S1_li.numbered_sgpr, 28
	.set _ZL32rocblas_syrkx_herkx_small_kernelIidLi16ELb0ELb0ELc67ELc85EKddEviT_T0_PT6_S1_lS4_S1_lS2_PT7_S1_li.num_named_barrier, 0
	.set _ZL32rocblas_syrkx_herkx_small_kernelIidLi16ELb0ELb0ELc67ELc85EKddEviT_T0_PT6_S1_lS4_S1_lS2_PT7_S1_li.private_seg_size, 0
	.set _ZL32rocblas_syrkx_herkx_small_kernelIidLi16ELb0ELb0ELc67ELc85EKddEviT_T0_PT6_S1_lS4_S1_lS2_PT7_S1_li.uses_vcc, 1
	.set _ZL32rocblas_syrkx_herkx_small_kernelIidLi16ELb0ELb0ELc67ELc85EKddEviT_T0_PT6_S1_lS4_S1_lS2_PT7_S1_li.uses_flat_scratch, 0
	.set _ZL32rocblas_syrkx_herkx_small_kernelIidLi16ELb0ELb0ELc67ELc85EKddEviT_T0_PT6_S1_lS4_S1_lS2_PT7_S1_li.has_dyn_sized_stack, 0
	.set _ZL32rocblas_syrkx_herkx_small_kernelIidLi16ELb0ELb0ELc67ELc85EKddEviT_T0_PT6_S1_lS4_S1_lS2_PT7_S1_li.has_recursion, 0
	.set _ZL32rocblas_syrkx_herkx_small_kernelIidLi16ELb0ELb0ELc67ELc85EKddEviT_T0_PT6_S1_lS4_S1_lS2_PT7_S1_li.has_indirect_call, 0
	.section	.AMDGPU.csdata,"",@progbits
; Kernel info:
; codeLenInByte = 896
; TotalNumSgprs: 32
; NumVgprs: 24
; ScratchSize: 0
; MemoryBound: 0
; FloatMode: 240
; IeeeMode: 1
; LDSByteSize: 4096 bytes/workgroup (compile time only)
; SGPRBlocks: 3
; VGPRBlocks: 5
; NumSGPRsForWavesPerEU: 32
; NumVGPRsForWavesPerEU: 24
; Occupancy: 10
; WaveLimiterHint : 0
; COMPUTE_PGM_RSRC2:SCRATCH_EN: 0
; COMPUTE_PGM_RSRC2:USER_SGPR: 6
; COMPUTE_PGM_RSRC2:TRAP_HANDLER: 0
; COMPUTE_PGM_RSRC2:TGID_X_EN: 1
; COMPUTE_PGM_RSRC2:TGID_Y_EN: 1
; COMPUTE_PGM_RSRC2:TGID_Z_EN: 1
; COMPUTE_PGM_RSRC2:TIDIG_COMP_CNT: 1
	.section	.text._ZL32rocblas_syrkx_herkx_small_kernelIidLi16ELb0ELb0ELc78ELc85EKddEviT_T0_PT6_S1_lS4_S1_lS2_PT7_S1_li,"axG",@progbits,_ZL32rocblas_syrkx_herkx_small_kernelIidLi16ELb0ELb0ELc78ELc85EKddEviT_T0_PT6_S1_lS4_S1_lS2_PT7_S1_li,comdat
	.globl	_ZL32rocblas_syrkx_herkx_small_kernelIidLi16ELb0ELb0ELc78ELc85EKddEviT_T0_PT6_S1_lS4_S1_lS2_PT7_S1_li ; -- Begin function _ZL32rocblas_syrkx_herkx_small_kernelIidLi16ELb0ELb0ELc78ELc85EKddEviT_T0_PT6_S1_lS4_S1_lS2_PT7_S1_li
	.p2align	8
	.type	_ZL32rocblas_syrkx_herkx_small_kernelIidLi16ELb0ELb0ELc78ELc85EKddEviT_T0_PT6_S1_lS4_S1_lS2_PT7_S1_li,@function
_ZL32rocblas_syrkx_herkx_small_kernelIidLi16ELb0ELb0ELc78ELc85EKddEviT_T0_PT6_S1_lS4_S1_lS2_PT7_S1_li: ; @_ZL32rocblas_syrkx_herkx_small_kernelIidLi16ELb0ELb0ELc78ELc85EKddEviT_T0_PT6_S1_lS4_S1_lS2_PT7_S1_li
; %bb.0:
	s_load_dwordx2 s[24:25], s[4:5], 0x0
	s_load_dwordx4 s[12:15], s[4:5], 0x8
	s_load_dwordx4 s[16:19], s[4:5], 0x38
	s_load_dwordx2 s[10:11], s[4:5], 0x48
	v_lshl_add_u32 v2, s6, 4, v0
	v_lshl_add_u32 v4, s7, 4, v1
	s_mov_b32 s9, 0
	s_waitcnt lgkmcnt(0)
	s_cmp_lt_i32 s25, 1
	v_ashrrev_i32_e32 v3, 31, v2
	v_cmp_gt_i32_e32 vcc, s24, v4
	s_cbranch_scc1 .LBB138_7
; %bb.1:
	s_load_dword s26, s[4:5], 0x18
	s_load_dword s6, s[4:5], 0x30
	s_load_dwordx4 s[20:23], s[4:5], 0x20
	s_mul_i32 s17, s17, s8
	s_mul_hi_u32 s28, s16, s8
	v_lshlrev_b32_e32 v5, 7, v1
	s_waitcnt lgkmcnt(0)
	v_mad_i64_i32 v[6:7], s[2:3], s6, v0, 0
	v_lshlrev_b32_e32 v13, 3, v0
	s_add_i32 s3, s28, s17
	s_mul_i32 s2, s16, s8
	v_lshlrev_b64 v[6:7], 3, v[6:7]
	v_add_u32_e32 v14, v13, v5
	v_add_u32_e32 v15, 0x800, v5
	v_ashrrev_i32_e32 v5, 31, v4
	s_lshl_b64 s[2:3], s[2:3], 3
	v_mov_b32_e32 v8, s3
	v_add_co_u32_e64 v9, s[2:3], s2, v6
	v_lshlrev_b64 v[5:6], 3, v[4:5]
	v_addc_co_u32_e64 v7, s[2:3], v8, v7, s[2:3]
	v_add_co_u32_e64 v5, s[2:3], v9, v5
	v_addc_co_u32_e64 v6, s[2:3], v7, v6, s[2:3]
	v_mov_b32_e32 v7, s23
	v_add_co_u32_e64 v5, s[2:3], s22, v5
	v_addc_co_u32_e64 v6, s[2:3], v7, v6, s[2:3]
	v_mad_i64_i32 v[7:8], s[2:3], s26, v1, 0
	s_mul_i32 s16, s21, s8
	s_mul_hi_u32 s17, s20, s8
	s_add_i32 s3, s17, s16
	s_mul_i32 s2, s20, s8
	v_lshlrev_b64 v[7:8], 3, v[7:8]
	s_lshl_b64 s[2:3], s[2:3], 3
	v_mov_b32_e32 v9, s3
	v_add_co_u32_e64 v10, s[2:3], s2, v7
	v_addc_co_u32_e64 v9, s[2:3], v9, v8, s[2:3]
	v_lshlrev_b64 v[7:8], 3, v[2:3]
	s_ashr_i32 s27, s26, 31
	v_add_co_u32_e64 v7, s[2:3], v10, v7
	v_addc_co_u32_e64 v8, s[2:3], v9, v8, s[2:3]
	s_ashr_i32 s7, s6, 31
	v_mov_b32_e32 v9, s15
	v_add_co_u32_e64 v7, s[2:3], s14, v7
	s_lshl_b64 s[6:7], s[6:7], 7
	v_addc_co_u32_e64 v8, s[2:3], v9, v8, s[2:3]
	s_lshl_b64 s[14:15], s[26:27], 7
	v_mov_b32_e32 v9, 0
	v_cmp_gt_i32_e64 s[0:1], s24, v2
	v_add_u32_e32 v16, v15, v13
	v_mov_b32_e32 v10, 0
	v_mov_b32_e32 v17, s7
	v_mov_b32_e32 v18, s15
	s_branch .LBB138_3
.LBB138_2:                              ;   in Loop: Header=BB138_3 Depth=1
	s_or_b64 exec, exec, s[2:3]
	s_waitcnt vmcnt(0)
	ds_write_b64 v16, v[11:12]
	s_waitcnt lgkmcnt(0)
	s_barrier
	ds_read2_b64 v[19:22], v13 offset1:16
	ds_read_b128 v[23:26], v15
	v_add_co_u32_e64 v5, s[2:3], s6, v5
	v_addc_co_u32_e64 v6, s[2:3], v6, v17, s[2:3]
	s_waitcnt lgkmcnt(0)
	v_fma_f64 v[9:10], v[19:20], v[23:24], v[9:10]
	s_add_i32 s9, s9, 16
	v_add_co_u32_e64 v7, s[2:3], s14, v7
	s_cmp_ge_i32 s9, s25
	v_addc_co_u32_e64 v8, s[2:3], v8, v18, s[2:3]
	v_fma_f64 v[23:24], v[21:22], v[25:26], v[9:10]
	ds_read_b128 v[9:12], v15 offset:16
	ds_read2_b64 v[19:22], v13 offset0:32 offset1:48
	s_waitcnt lgkmcnt(0)
	v_fma_f64 v[9:10], v[19:20], v[9:10], v[23:24]
	v_fma_f64 v[23:24], v[21:22], v[11:12], v[9:10]
	ds_read2_b64 v[9:12], v13 offset0:64 offset1:80
	ds_read_b128 v[19:22], v15 offset:32
	s_waitcnt lgkmcnt(0)
	v_fma_f64 v[9:10], v[9:10], v[19:20], v[23:24]
	v_fma_f64 v[23:24], v[11:12], v[21:22], v[9:10]
	ds_read_b128 v[9:12], v15 offset:48
	ds_read2_b64 v[19:22], v13 offset0:96 offset1:112
	s_waitcnt lgkmcnt(0)
	v_fma_f64 v[9:10], v[19:20], v[9:10], v[23:24]
	v_fma_f64 v[23:24], v[21:22], v[11:12], v[9:10]
	ds_read2_b64 v[9:12], v13 offset0:128 offset1:144
	ds_read_b128 v[19:22], v15 offset:64
	s_waitcnt lgkmcnt(0)
	v_fma_f64 v[9:10], v[9:10], v[19:20], v[23:24]
	;; [unrolled: 10-line block ×3, first 2 shown]
	v_fma_f64 v[23:24], v[11:12], v[21:22], v[9:10]
	ds_read_b128 v[9:12], v15 offset:112
	ds_read2_b64 v[19:22], v13 offset0:224 offset1:240
	s_waitcnt lgkmcnt(0)
	s_barrier
	v_fma_f64 v[9:10], v[19:20], v[9:10], v[23:24]
	v_fma_f64 v[9:10], v[21:22], v[11:12], v[9:10]
	s_cbranch_scc1 .LBB138_8
.LBB138_3:                              ; =>This Inner Loop Header: Depth=1
	v_add_u32_e32 v11, s9, v1
	v_cmp_gt_i32_e64 s[2:3], s25, v11
	v_mov_b32_e32 v11, 0
	v_mov_b32_e32 v12, 0
	s_and_b64 s[16:17], s[0:1], s[2:3]
	s_and_saveexec_b64 s[2:3], s[16:17]
	s_cbranch_execz .LBB138_5
; %bb.4:                                ;   in Loop: Header=BB138_3 Depth=1
	global_load_dwordx2 v[11:12], v[7:8], off
.LBB138_5:                              ;   in Loop: Header=BB138_3 Depth=1
	s_or_b64 exec, exec, s[2:3]
	s_waitcnt vmcnt(0)
	ds_write_b64 v14, v[11:12]
	v_add_u32_e32 v11, s9, v0
	v_cmp_gt_i32_e64 s[2:3], s25, v11
	v_mov_b32_e32 v11, 0
	v_mov_b32_e32 v12, 0
	s_and_b64 s[16:17], vcc, s[2:3]
	s_and_saveexec_b64 s[2:3], s[16:17]
	s_cbranch_execz .LBB138_2
; %bb.6:                                ;   in Loop: Header=BB138_3 Depth=1
	global_load_dwordx2 v[11:12], v[5:6], off
	s_branch .LBB138_2
.LBB138_7:
	v_mov_b32_e32 v9, 0
	v_mov_b32_e32 v10, 0
.LBB138_8:
	v_cmp_le_i32_e32 vcc, v2, v4
	v_cmp_gt_i32_e64 s[0:1], s24, v4
	s_and_b64 s[0:1], vcc, s[0:1]
	s_and_saveexec_b64 s[2:3], s[0:1]
	s_cbranch_execz .LBB138_10
; %bb.9:
	s_load_dwordx2 s[0:1], s[4:5], 0x58
	s_load_dword s2, s[4:5], 0x50
	s_waitcnt lgkmcnt(0)
	s_mul_i32 s1, s1, s8
	s_mul_hi_u32 s3, s0, s8
	s_add_i32 s1, s3, s1
	v_mad_i64_i32 v[0:1], s[2:3], s2, v4, 0
	s_mul_i32 s0, s0, s8
	s_lshl_b64 s[0:1], s[0:1], 3
	s_add_u32 s0, s10, s0
	v_lshlrev_b64 v[0:1], 3, v[0:1]
	s_addc_u32 s1, s11, s1
	v_mov_b32_e32 v4, s1
	v_add_co_u32_e32 v5, vcc, s0, v0
	v_addc_co_u32_e32 v4, vcc, v4, v1, vcc
	v_lshlrev_b64 v[0:1], 3, v[2:3]
	v_add_co_u32_e32 v0, vcc, v5, v0
	v_addc_co_u32_e32 v1, vcc, v4, v1, vcc
	global_load_dwordx2 v[2:3], v[0:1], off
	s_waitcnt vmcnt(0)
	v_mul_f64 v[2:3], s[18:19], v[2:3]
	v_fma_f64 v[2:3], s[12:13], v[9:10], v[2:3]
	global_store_dwordx2 v[0:1], v[2:3], off
.LBB138_10:
	s_endpgm
	.section	.rodata,"a",@progbits
	.p2align	6, 0x0
	.amdhsa_kernel _ZL32rocblas_syrkx_herkx_small_kernelIidLi16ELb0ELb0ELc78ELc85EKddEviT_T0_PT6_S1_lS4_S1_lS2_PT7_S1_li
		.amdhsa_group_segment_fixed_size 4096
		.amdhsa_private_segment_fixed_size 0
		.amdhsa_kernarg_size 100
		.amdhsa_user_sgpr_count 6
		.amdhsa_user_sgpr_private_segment_buffer 1
		.amdhsa_user_sgpr_dispatch_ptr 0
		.amdhsa_user_sgpr_queue_ptr 0
		.amdhsa_user_sgpr_kernarg_segment_ptr 1
		.amdhsa_user_sgpr_dispatch_id 0
		.amdhsa_user_sgpr_flat_scratch_init 0
		.amdhsa_user_sgpr_private_segment_size 0
		.amdhsa_uses_dynamic_stack 0
		.amdhsa_system_sgpr_private_segment_wavefront_offset 0
		.amdhsa_system_sgpr_workgroup_id_x 1
		.amdhsa_system_sgpr_workgroup_id_y 1
		.amdhsa_system_sgpr_workgroup_id_z 1
		.amdhsa_system_sgpr_workgroup_info 0
		.amdhsa_system_vgpr_workitem_id 1
		.amdhsa_next_free_vgpr 27
		.amdhsa_next_free_sgpr 29
		.amdhsa_reserve_vcc 1
		.amdhsa_reserve_flat_scratch 0
		.amdhsa_float_round_mode_32 0
		.amdhsa_float_round_mode_16_64 0
		.amdhsa_float_denorm_mode_32 3
		.amdhsa_float_denorm_mode_16_64 3
		.amdhsa_dx10_clamp 1
		.amdhsa_ieee_mode 1
		.amdhsa_fp16_overflow 0
		.amdhsa_exception_fp_ieee_invalid_op 0
		.amdhsa_exception_fp_denorm_src 0
		.amdhsa_exception_fp_ieee_div_zero 0
		.amdhsa_exception_fp_ieee_overflow 0
		.amdhsa_exception_fp_ieee_underflow 0
		.amdhsa_exception_fp_ieee_inexact 0
		.amdhsa_exception_int_div_zero 0
	.end_amdhsa_kernel
	.section	.text._ZL32rocblas_syrkx_herkx_small_kernelIidLi16ELb0ELb0ELc78ELc85EKddEviT_T0_PT6_S1_lS4_S1_lS2_PT7_S1_li,"axG",@progbits,_ZL32rocblas_syrkx_herkx_small_kernelIidLi16ELb0ELb0ELc78ELc85EKddEviT_T0_PT6_S1_lS4_S1_lS2_PT7_S1_li,comdat
.Lfunc_end138:
	.size	_ZL32rocblas_syrkx_herkx_small_kernelIidLi16ELb0ELb0ELc78ELc85EKddEviT_T0_PT6_S1_lS4_S1_lS2_PT7_S1_li, .Lfunc_end138-_ZL32rocblas_syrkx_herkx_small_kernelIidLi16ELb0ELb0ELc78ELc85EKddEviT_T0_PT6_S1_lS4_S1_lS2_PT7_S1_li
                                        ; -- End function
	.set _ZL32rocblas_syrkx_herkx_small_kernelIidLi16ELb0ELb0ELc78ELc85EKddEviT_T0_PT6_S1_lS4_S1_lS2_PT7_S1_li.num_vgpr, 27
	.set _ZL32rocblas_syrkx_herkx_small_kernelIidLi16ELb0ELb0ELc78ELc85EKddEviT_T0_PT6_S1_lS4_S1_lS2_PT7_S1_li.num_agpr, 0
	.set _ZL32rocblas_syrkx_herkx_small_kernelIidLi16ELb0ELb0ELc78ELc85EKddEviT_T0_PT6_S1_lS4_S1_lS2_PT7_S1_li.numbered_sgpr, 29
	.set _ZL32rocblas_syrkx_herkx_small_kernelIidLi16ELb0ELb0ELc78ELc85EKddEviT_T0_PT6_S1_lS4_S1_lS2_PT7_S1_li.num_named_barrier, 0
	.set _ZL32rocblas_syrkx_herkx_small_kernelIidLi16ELb0ELb0ELc78ELc85EKddEviT_T0_PT6_S1_lS4_S1_lS2_PT7_S1_li.private_seg_size, 0
	.set _ZL32rocblas_syrkx_herkx_small_kernelIidLi16ELb0ELb0ELc78ELc85EKddEviT_T0_PT6_S1_lS4_S1_lS2_PT7_S1_li.uses_vcc, 1
	.set _ZL32rocblas_syrkx_herkx_small_kernelIidLi16ELb0ELb0ELc78ELc85EKddEviT_T0_PT6_S1_lS4_S1_lS2_PT7_S1_li.uses_flat_scratch, 0
	.set _ZL32rocblas_syrkx_herkx_small_kernelIidLi16ELb0ELb0ELc78ELc85EKddEviT_T0_PT6_S1_lS4_S1_lS2_PT7_S1_li.has_dyn_sized_stack, 0
	.set _ZL32rocblas_syrkx_herkx_small_kernelIidLi16ELb0ELb0ELc78ELc85EKddEviT_T0_PT6_S1_lS4_S1_lS2_PT7_S1_li.has_recursion, 0
	.set _ZL32rocblas_syrkx_herkx_small_kernelIidLi16ELb0ELb0ELc78ELc85EKddEviT_T0_PT6_S1_lS4_S1_lS2_PT7_S1_li.has_indirect_call, 0
	.section	.AMDGPU.csdata,"",@progbits
; Kernel info:
; codeLenInByte = 996
; TotalNumSgprs: 33
; NumVgprs: 27
; ScratchSize: 0
; MemoryBound: 0
; FloatMode: 240
; IeeeMode: 1
; LDSByteSize: 4096 bytes/workgroup (compile time only)
; SGPRBlocks: 4
; VGPRBlocks: 6
; NumSGPRsForWavesPerEU: 33
; NumVGPRsForWavesPerEU: 27
; Occupancy: 9
; WaveLimiterHint : 0
; COMPUTE_PGM_RSRC2:SCRATCH_EN: 0
; COMPUTE_PGM_RSRC2:USER_SGPR: 6
; COMPUTE_PGM_RSRC2:TRAP_HANDLER: 0
; COMPUTE_PGM_RSRC2:TGID_X_EN: 1
; COMPUTE_PGM_RSRC2:TGID_Y_EN: 1
; COMPUTE_PGM_RSRC2:TGID_Z_EN: 1
; COMPUTE_PGM_RSRC2:TIDIG_COMP_CNT: 1
	.section	.text._ZL34rocblas_syrkx_herkx_general_kernelIidLi16ELi32ELi8ELb1ELb0ELc84ELc76EKddEviT_T0_PT8_S1_lS4_S1_lS2_PT9_S1_li,"axG",@progbits,_ZL34rocblas_syrkx_herkx_general_kernelIidLi16ELi32ELi8ELb1ELb0ELc84ELc76EKddEviT_T0_PT8_S1_lS4_S1_lS2_PT9_S1_li,comdat
	.globl	_ZL34rocblas_syrkx_herkx_general_kernelIidLi16ELi32ELi8ELb1ELb0ELc84ELc76EKddEviT_T0_PT8_S1_lS4_S1_lS2_PT9_S1_li ; -- Begin function _ZL34rocblas_syrkx_herkx_general_kernelIidLi16ELi32ELi8ELb1ELb0ELc84ELc76EKddEviT_T0_PT8_S1_lS4_S1_lS2_PT9_S1_li
	.p2align	8
	.type	_ZL34rocblas_syrkx_herkx_general_kernelIidLi16ELi32ELi8ELb1ELb0ELc84ELc76EKddEviT_T0_PT8_S1_lS4_S1_lS2_PT9_S1_li,@function
_ZL34rocblas_syrkx_herkx_general_kernelIidLi16ELi32ELi8ELb1ELb0ELc84ELc76EKddEviT_T0_PT8_S1_lS4_S1_lS2_PT9_S1_li: ; @_ZL34rocblas_syrkx_herkx_general_kernelIidLi16ELi32ELi8ELb1ELb0ELc84ELc76EKddEviT_T0_PT8_S1_lS4_S1_lS2_PT9_S1_li
; %bb.0:
	s_load_dwordx2 s[10:11], s[4:5], 0x0
	s_load_dwordx4 s[12:15], s[4:5], 0x8
	s_lshl_b32 s6, s6, 5
	s_lshl_b32 s7, s7, 5
	s_mov_b32 s9, 0
	s_waitcnt lgkmcnt(0)
	s_cmp_lt_i32 s11, 1
	s_cbranch_scc1 .LBB139_7
; %bb.1:
	v_lshl_add_u32 v2, v1, 4, v0
	v_lshrrev_b32_e32 v17, 5, v2
	v_lshrrev_b32_e32 v3, 3, v2
	v_and_b32_e32 v2, 31, v2
	s_load_dword s2, s[4:5], 0x18
	s_load_dwordx4 s[16:19], s[4:5], 0x20
	s_load_dword s22, s[4:5], 0x30
	s_load_dwordx2 s[20:21], s[4:5], 0x38
	v_and_b32_e32 v16, 7, v0
	v_or_b32_e32 v5, s6, v2
	v_cmp_gt_i32_e32 vcc, s10, v5
	v_lshlrev_b32_e32 v5, 3, v2
	v_lshlrev_b32_e32 v6, 3, v16
	v_add_u32_e32 v2, s6, v2
	v_add_u32_e32 v4, s7, v3
	v_lshl_or_b32 v18, v17, 8, v5
	v_lshl_or_b32 v5, v3, 6, v6
	s_waitcnt lgkmcnt(0)
	v_mad_i64_i32 v[2:3], s[2:3], s2, v2, 0
	s_mul_i32 s2, s17, s8
	s_mul_hi_u32 s3, s16, s8
	v_lshlrev_b64 v[2:3], 3, v[2:3]
	s_add_i32 s3, s3, s2
	s_mul_i32 s2, s16, s8
	s_lshl_b64 s[2:3], s[2:3], 3
	v_add_u32_e32 v19, 0x800, v5
	v_mov_b32_e32 v5, s3
	v_add_co_u32_e64 v2, s[2:3], s2, v2
	v_addc_co_u32_e64 v3, s[2:3], v3, v5, s[2:3]
	v_lshlrev_b32_e32 v5, 3, v17
	v_add_co_u32_e64 v2, s[2:3], v2, v5
	v_cmp_gt_i32_e64 s[0:1], s10, v4
	v_addc_co_u32_e64 v3, s[2:3], 0, v3, s[2:3]
	v_mad_i64_i32 v[4:5], s[2:3], s22, v4, 0
	v_mov_b32_e32 v7, s15
	v_add_co_u32_e64 v2, s[2:3], s14, v2
	v_addc_co_u32_e64 v3, s[2:3], v7, v3, s[2:3]
	s_mul_i32 s2, s21, s8
	s_mul_hi_u32 s3, s20, s8
	v_lshlrev_b64 v[4:5], 3, v[4:5]
	s_add_i32 s3, s3, s2
	s_mul_i32 s2, s20, s8
	s_lshl_b64 s[2:3], s[2:3], 3
	v_mov_b32_e32 v7, s3
	v_add_co_u32_e64 v4, s[2:3], s2, v4
	v_addc_co_u32_e64 v5, s[2:3], v5, v7, s[2:3]
	v_add_co_u32_e64 v4, s[2:3], v4, v6
	v_addc_co_u32_e64 v5, s[2:3], 0, v5, s[2:3]
	v_mov_b32_e32 v6, s19
	v_add_co_u32_e64 v4, s[2:3], s18, v4
	v_mov_b32_e32 v14, 0x800
	v_addc_co_u32_e64 v5, s[2:3], v6, v5, s[2:3]
	v_mov_b32_e32 v6, 0
	v_mov_b32_e32 v8, 0
	v_mov_b32_e32 v10, 0
	v_mov_b32_e32 v12, 0
	v_lshlrev_b32_e32 v20, 3, v0
	v_mov_b32_e32 v7, 0
	v_mov_b32_e32 v9, 0
	v_mov_b32_e32 v11, 0
	v_mov_b32_e32 v13, 0
	v_lshl_add_u32 v21, v1, 6, v14
	s_branch .LBB139_3
.LBB139_2:                              ;   in Loop: Header=BB139_3 Depth=1
	s_or_b64 exec, exec, s[2:3]
	s_waitcnt vmcnt(0)
	ds_write_b64 v19, v[14:15]
	s_waitcnt lgkmcnt(0)
	s_barrier
	ds_read2_b64 v[22:25], v20 offset1:16
	ds_read_b128 v[26:29], v21
	v_add_co_u32_e64 v2, s[2:3], 64, v2
	v_addc_co_u32_e64 v3, s[2:3], 0, v3, s[2:3]
	s_waitcnt lgkmcnt(0)
	v_fma_f64 v[14:15], v[22:23], v[26:27], v[12:13]
	v_fma_f64 v[26:27], v[24:25], v[26:27], v[10:11]
	ds_read_b128 v[10:13], v21 offset:1024
	s_add_i32 s9, s9, 8
	v_add_co_u32_e64 v4, s[2:3], 64, v4
	s_cmp_ge_i32 s9, s11
	s_waitcnt lgkmcnt(0)
	v_fma_f64 v[22:23], v[22:23], v[10:11], v[8:9]
	v_fma_f64 v[10:11], v[24:25], v[10:11], v[6:7]
	ds_read2_b64 v[6:9], v20 offset0:32 offset1:48
	v_addc_co_u32_e64 v5, s[2:3], 0, v5, s[2:3]
	s_waitcnt lgkmcnt(0)
	v_fma_f64 v[14:15], v[6:7], v[28:29], v[14:15]
	v_fma_f64 v[24:25], v[8:9], v[28:29], v[26:27]
	;; [unrolled: 1-line block ×4, first 2 shown]
	ds_read_b128 v[6:9], v21 offset:16
	ds_read2_b64 v[10:13], v20 offset0:64 offset1:80
	s_waitcnt lgkmcnt(0)
	v_fma_f64 v[14:15], v[10:11], v[6:7], v[14:15]
	v_fma_f64 v[6:7], v[12:13], v[6:7], v[24:25]
	ds_read_b128 v[22:25], v21 offset:1040
	s_waitcnt lgkmcnt(0)
	v_fma_f64 v[26:27], v[10:11], v[22:23], v[26:27]
	v_fma_f64 v[22:23], v[12:13], v[22:23], v[28:29]
	ds_read2_b64 v[10:13], v20 offset0:96 offset1:112
	s_waitcnt lgkmcnt(0)
	v_fma_f64 v[14:15], v[10:11], v[8:9], v[14:15]
	v_fma_f64 v[28:29], v[12:13], v[8:9], v[6:7]
	;; [unrolled: 1-line block ×4, first 2 shown]
	ds_read2_b64 v[6:9], v20 offset0:128 offset1:144
	ds_read_b128 v[10:13], v21 offset:32
	ds_read_b128 v[22:25], v21 offset:1056
	s_waitcnt lgkmcnt(1)
	v_fma_f64 v[14:15], v[6:7], v[10:11], v[14:15]
	v_fma_f64 v[10:11], v[8:9], v[10:11], v[28:29]
	s_waitcnt lgkmcnt(0)
	v_fma_f64 v[26:27], v[6:7], v[22:23], v[26:27]
	v_fma_f64 v[22:23], v[8:9], v[22:23], v[30:31]
	ds_read2_b64 v[6:9], v20 offset0:160 offset1:176
	s_waitcnt lgkmcnt(0)
	v_fma_f64 v[14:15], v[6:7], v[12:13], v[14:15]
	v_fma_f64 v[28:29], v[8:9], v[12:13], v[10:11]
	;; [unrolled: 1-line block ×4, first 2 shown]
	ds_read_b128 v[6:9], v21 offset:48
	ds_read2_b64 v[10:13], v20 offset0:192 offset1:208
	ds_read_b128 v[22:25], v21 offset:1072
	s_waitcnt lgkmcnt(1)
	v_fma_f64 v[14:15], v[10:11], v[6:7], v[14:15]
	v_fma_f64 v[6:7], v[12:13], v[6:7], v[28:29]
	s_waitcnt lgkmcnt(0)
	v_fma_f64 v[32:33], v[10:11], v[22:23], v[26:27]
	v_fma_f64 v[22:23], v[12:13], v[22:23], v[30:31]
	ds_read2_b64 v[26:29], v20 offset0:224 offset1:240
	s_waitcnt lgkmcnt(0)
	s_barrier
	v_fma_f64 v[12:13], v[26:27], v[8:9], v[14:15]
	v_fma_f64 v[10:11], v[28:29], v[8:9], v[6:7]
	;; [unrolled: 1-line block ×4, first 2 shown]
	s_cbranch_scc1 .LBB139_8
.LBB139_3:                              ; =>This Inner Loop Header: Depth=1
	v_add_u32_e32 v14, s9, v17
	v_cmp_gt_i32_e64 s[2:3], s11, v14
	v_mov_b32_e32 v14, 0
	v_mov_b32_e32 v15, 0
	s_and_b64 s[14:15], vcc, s[2:3]
	s_and_saveexec_b64 s[2:3], s[14:15]
	s_cbranch_execz .LBB139_5
; %bb.4:                                ;   in Loop: Header=BB139_3 Depth=1
	global_load_dwordx2 v[14:15], v[2:3], off
.LBB139_5:                              ;   in Loop: Header=BB139_3 Depth=1
	s_or_b64 exec, exec, s[2:3]
	s_waitcnt vmcnt(0)
	ds_write_b64 v18, v[14:15]
	v_add_u32_e32 v14, s9, v16
	v_cmp_gt_i32_e64 s[2:3], s11, v14
	v_mov_b32_e32 v14, 0
	v_mov_b32_e32 v15, 0
	s_and_b64 s[14:15], s[2:3], s[0:1]
	s_and_saveexec_b64 s[2:3], s[14:15]
	s_cbranch_execz .LBB139_2
; %bb.6:                                ;   in Loop: Header=BB139_3 Depth=1
	global_load_dwordx2 v[14:15], v[4:5], off
	s_branch .LBB139_2
.LBB139_7:
	v_mov_b32_e32 v12, 0
	v_mov_b32_e32 v10, 0
	v_mov_b32_e32 v8, 0
	v_mov_b32_e32 v6, 0
	v_mov_b32_e32 v13, 0
	v_mov_b32_e32 v11, 0
	v_mov_b32_e32 v9, 0
	v_mov_b32_e32 v7, 0
.LBB139_8:
	s_load_dwordx2 s[0:1], s[4:5], 0x58
	s_load_dwordx2 s[2:3], s[4:5], 0x48
	s_load_dword s9, s[4:5], 0x50
	v_add_u32_e32 v4, s7, v1
	v_add_u32_e32 v0, s6, v0
	s_waitcnt lgkmcnt(0)
	s_mul_i32 s1, s1, s8
	s_mul_hi_u32 s4, s0, s8
	s_add_i32 s1, s4, s1
	v_mad_i64_i32 v[1:2], s[4:5], v4, s9, 0
	s_mul_i32 s0, s0, s8
	s_lshl_b64 s[0:1], s[0:1], 3
	s_add_u32 s7, s2, s0
	v_lshlrev_b64 v[1:2], 3, v[1:2]
	s_addc_u32 s8, s3, s1
	v_mov_b32_e32 v3, s8
	v_add_co_u32_e32 v5, vcc, s7, v1
	v_addc_co_u32_e32 v14, vcc, v3, v2, vcc
	v_cmp_le_i32_e64 s[0:1], v4, v0
	v_cmp_gt_i32_e32 vcc, s10, v0
	s_and_b64 s[0:1], s[0:1], vcc
	s_and_saveexec_b64 s[2:3], s[0:1]
	s_cbranch_execz .LBB139_10
; %bb.9:
	v_mul_f64 v[2:3], s[12:13], v[12:13]
	v_ashrrev_i32_e32 v1, 31, v0
	v_lshlrev_b64 v[12:13], 3, v[0:1]
	v_add_co_u32_e64 v12, s[0:1], v5, v12
	v_addc_co_u32_e64 v13, s[0:1], v14, v13, s[0:1]
	global_store_dwordx2 v[12:13], v[2:3], off
.LBB139_10:
	s_or_b64 exec, exec, s[2:3]
	v_add_u32_e32 v2, 16, v0
	v_cmp_le_i32_e64 s[2:3], v4, v2
	v_cmp_gt_i32_e64 s[0:1], s10, v2
	s_and_b64 s[2:3], s[2:3], s[0:1]
	s_and_saveexec_b64 s[4:5], s[2:3]
	s_cbranch_execz .LBB139_12
; %bb.11:
	v_mul_f64 v[10:11], s[12:13], v[10:11]
	v_ashrrev_i32_e32 v3, 31, v2
	v_lshlrev_b64 v[12:13], 3, v[2:3]
	v_add_co_u32_e64 v12, s[2:3], v5, v12
	v_addc_co_u32_e64 v13, s[2:3], v14, v13, s[2:3]
	global_store_dwordx2 v[12:13], v[10:11], off
.LBB139_12:
	s_or_b64 exec, exec, s[4:5]
	v_add_u32_e32 v3, 16, v4
	v_mad_i64_i32 v[4:5], s[2:3], v3, s9, 0
	v_mov_b32_e32 v1, s8
	v_lshlrev_b64 v[4:5], 3, v[4:5]
	v_add_co_u32_e64 v4, s[2:3], s7, v4
	v_addc_co_u32_e64 v5, s[2:3], v1, v5, s[2:3]
	v_cmp_le_i32_e64 s[2:3], v3, v0
	s_and_b64 s[4:5], s[2:3], vcc
	s_and_saveexec_b64 s[2:3], s[4:5]
	s_cbranch_execz .LBB139_14
; %bb.13:
	v_mul_f64 v[8:9], s[12:13], v[8:9]
	v_ashrrev_i32_e32 v1, 31, v0
	v_lshlrev_b64 v[0:1], 3, v[0:1]
	v_add_co_u32_e32 v0, vcc, v4, v0
	v_addc_co_u32_e32 v1, vcc, v5, v1, vcc
	global_store_dwordx2 v[0:1], v[8:9], off
.LBB139_14:
	s_or_b64 exec, exec, s[2:3]
	v_cmp_le_i32_e32 vcc, v3, v2
	s_and_b64 s[0:1], vcc, s[0:1]
	s_and_saveexec_b64 s[2:3], s[0:1]
	s_cbranch_execz .LBB139_16
; %bb.15:
	v_mul_f64 v[0:1], s[12:13], v[6:7]
	v_ashrrev_i32_e32 v3, 31, v2
	v_lshlrev_b64 v[2:3], 3, v[2:3]
	v_add_co_u32_e32 v2, vcc, v4, v2
	v_addc_co_u32_e32 v3, vcc, v5, v3, vcc
	global_store_dwordx2 v[2:3], v[0:1], off
.LBB139_16:
	s_endpgm
	.section	.rodata,"a",@progbits
	.p2align	6, 0x0
	.amdhsa_kernel _ZL34rocblas_syrkx_herkx_general_kernelIidLi16ELi32ELi8ELb1ELb0ELc84ELc76EKddEviT_T0_PT8_S1_lS4_S1_lS2_PT9_S1_li
		.amdhsa_group_segment_fixed_size 4096
		.amdhsa_private_segment_fixed_size 0
		.amdhsa_kernarg_size 100
		.amdhsa_user_sgpr_count 6
		.amdhsa_user_sgpr_private_segment_buffer 1
		.amdhsa_user_sgpr_dispatch_ptr 0
		.amdhsa_user_sgpr_queue_ptr 0
		.amdhsa_user_sgpr_kernarg_segment_ptr 1
		.amdhsa_user_sgpr_dispatch_id 0
		.amdhsa_user_sgpr_flat_scratch_init 0
		.amdhsa_user_sgpr_private_segment_size 0
		.amdhsa_uses_dynamic_stack 0
		.amdhsa_system_sgpr_private_segment_wavefront_offset 0
		.amdhsa_system_sgpr_workgroup_id_x 1
		.amdhsa_system_sgpr_workgroup_id_y 1
		.amdhsa_system_sgpr_workgroup_id_z 1
		.amdhsa_system_sgpr_workgroup_info 0
		.amdhsa_system_vgpr_workitem_id 1
		.amdhsa_next_free_vgpr 34
		.amdhsa_next_free_sgpr 23
		.amdhsa_reserve_vcc 1
		.amdhsa_reserve_flat_scratch 0
		.amdhsa_float_round_mode_32 0
		.amdhsa_float_round_mode_16_64 0
		.amdhsa_float_denorm_mode_32 3
		.amdhsa_float_denorm_mode_16_64 3
		.amdhsa_dx10_clamp 1
		.amdhsa_ieee_mode 1
		.amdhsa_fp16_overflow 0
		.amdhsa_exception_fp_ieee_invalid_op 0
		.amdhsa_exception_fp_denorm_src 0
		.amdhsa_exception_fp_ieee_div_zero 0
		.amdhsa_exception_fp_ieee_overflow 0
		.amdhsa_exception_fp_ieee_underflow 0
		.amdhsa_exception_fp_ieee_inexact 0
		.amdhsa_exception_int_div_zero 0
	.end_amdhsa_kernel
	.section	.text._ZL34rocblas_syrkx_herkx_general_kernelIidLi16ELi32ELi8ELb1ELb0ELc84ELc76EKddEviT_T0_PT8_S1_lS4_S1_lS2_PT9_S1_li,"axG",@progbits,_ZL34rocblas_syrkx_herkx_general_kernelIidLi16ELi32ELi8ELb1ELb0ELc84ELc76EKddEviT_T0_PT8_S1_lS4_S1_lS2_PT9_S1_li,comdat
.Lfunc_end139:
	.size	_ZL34rocblas_syrkx_herkx_general_kernelIidLi16ELi32ELi8ELb1ELb0ELc84ELc76EKddEviT_T0_PT8_S1_lS4_S1_lS2_PT9_S1_li, .Lfunc_end139-_ZL34rocblas_syrkx_herkx_general_kernelIidLi16ELi32ELi8ELb1ELb0ELc84ELc76EKddEviT_T0_PT8_S1_lS4_S1_lS2_PT9_S1_li
                                        ; -- End function
	.set _ZL34rocblas_syrkx_herkx_general_kernelIidLi16ELi32ELi8ELb1ELb0ELc84ELc76EKddEviT_T0_PT8_S1_lS4_S1_lS2_PT9_S1_li.num_vgpr, 34
	.set _ZL34rocblas_syrkx_herkx_general_kernelIidLi16ELi32ELi8ELb1ELb0ELc84ELc76EKddEviT_T0_PT8_S1_lS4_S1_lS2_PT9_S1_li.num_agpr, 0
	.set _ZL34rocblas_syrkx_herkx_general_kernelIidLi16ELi32ELi8ELb1ELb0ELc84ELc76EKddEviT_T0_PT8_S1_lS4_S1_lS2_PT9_S1_li.numbered_sgpr, 23
	.set _ZL34rocblas_syrkx_herkx_general_kernelIidLi16ELi32ELi8ELb1ELb0ELc84ELc76EKddEviT_T0_PT8_S1_lS4_S1_lS2_PT9_S1_li.num_named_barrier, 0
	.set _ZL34rocblas_syrkx_herkx_general_kernelIidLi16ELi32ELi8ELb1ELb0ELc84ELc76EKddEviT_T0_PT8_S1_lS4_S1_lS2_PT9_S1_li.private_seg_size, 0
	.set _ZL34rocblas_syrkx_herkx_general_kernelIidLi16ELi32ELi8ELb1ELb0ELc84ELc76EKddEviT_T0_PT8_S1_lS4_S1_lS2_PT9_S1_li.uses_vcc, 1
	.set _ZL34rocblas_syrkx_herkx_general_kernelIidLi16ELi32ELi8ELb1ELb0ELc84ELc76EKddEviT_T0_PT8_S1_lS4_S1_lS2_PT9_S1_li.uses_flat_scratch, 0
	.set _ZL34rocblas_syrkx_herkx_general_kernelIidLi16ELi32ELi8ELb1ELb0ELc84ELc76EKddEviT_T0_PT8_S1_lS4_S1_lS2_PT9_S1_li.has_dyn_sized_stack, 0
	.set _ZL34rocblas_syrkx_herkx_general_kernelIidLi16ELi32ELi8ELb1ELb0ELc84ELc76EKddEviT_T0_PT8_S1_lS4_S1_lS2_PT9_S1_li.has_recursion, 0
	.set _ZL34rocblas_syrkx_herkx_general_kernelIidLi16ELi32ELi8ELb1ELb0ELc84ELc76EKddEviT_T0_PT8_S1_lS4_S1_lS2_PT9_S1_li.has_indirect_call, 0
	.section	.AMDGPU.csdata,"",@progbits
; Kernel info:
; codeLenInByte = 1436
; TotalNumSgprs: 27
; NumVgprs: 34
; ScratchSize: 0
; MemoryBound: 0
; FloatMode: 240
; IeeeMode: 1
; LDSByteSize: 4096 bytes/workgroup (compile time only)
; SGPRBlocks: 3
; VGPRBlocks: 8
; NumSGPRsForWavesPerEU: 27
; NumVGPRsForWavesPerEU: 34
; Occupancy: 7
; WaveLimiterHint : 0
; COMPUTE_PGM_RSRC2:SCRATCH_EN: 0
; COMPUTE_PGM_RSRC2:USER_SGPR: 6
; COMPUTE_PGM_RSRC2:TRAP_HANDLER: 0
; COMPUTE_PGM_RSRC2:TGID_X_EN: 1
; COMPUTE_PGM_RSRC2:TGID_Y_EN: 1
; COMPUTE_PGM_RSRC2:TGID_Z_EN: 1
; COMPUTE_PGM_RSRC2:TIDIG_COMP_CNT: 1
	.section	.text._ZL34rocblas_syrkx_herkx_general_kernelIidLi16ELi32ELi8ELb1ELb0ELc67ELc76EKddEviT_T0_PT8_S1_lS4_S1_lS2_PT9_S1_li,"axG",@progbits,_ZL34rocblas_syrkx_herkx_general_kernelIidLi16ELi32ELi8ELb1ELb0ELc67ELc76EKddEviT_T0_PT8_S1_lS4_S1_lS2_PT9_S1_li,comdat
	.globl	_ZL34rocblas_syrkx_herkx_general_kernelIidLi16ELi32ELi8ELb1ELb0ELc67ELc76EKddEviT_T0_PT8_S1_lS4_S1_lS2_PT9_S1_li ; -- Begin function _ZL34rocblas_syrkx_herkx_general_kernelIidLi16ELi32ELi8ELb1ELb0ELc67ELc76EKddEviT_T0_PT8_S1_lS4_S1_lS2_PT9_S1_li
	.p2align	8
	.type	_ZL34rocblas_syrkx_herkx_general_kernelIidLi16ELi32ELi8ELb1ELb0ELc67ELc76EKddEviT_T0_PT8_S1_lS4_S1_lS2_PT9_S1_li,@function
_ZL34rocblas_syrkx_herkx_general_kernelIidLi16ELi32ELi8ELb1ELb0ELc67ELc76EKddEviT_T0_PT8_S1_lS4_S1_lS2_PT9_S1_li: ; @_ZL34rocblas_syrkx_herkx_general_kernelIidLi16ELi32ELi8ELb1ELb0ELc67ELc76EKddEviT_T0_PT8_S1_lS4_S1_lS2_PT9_S1_li
; %bb.0:
	s_load_dwordx2 s[10:11], s[4:5], 0x0
	s_load_dwordx4 s[12:15], s[4:5], 0x8
	s_lshl_b32 s6, s6, 5
	s_lshl_b32 s7, s7, 5
	s_mov_b32 s9, 0
	s_waitcnt lgkmcnt(0)
	s_cmp_lt_i32 s11, 1
	s_cbranch_scc1 .LBB140_7
; %bb.1:
	v_lshl_add_u32 v2, v1, 4, v0
	v_lshrrev_b32_e32 v17, 5, v2
	v_lshrrev_b32_e32 v3, 3, v2
	v_and_b32_e32 v2, 31, v2
	s_load_dword s2, s[4:5], 0x18
	s_load_dwordx4 s[16:19], s[4:5], 0x20
	s_load_dword s22, s[4:5], 0x30
	s_load_dwordx2 s[20:21], s[4:5], 0x38
	v_and_b32_e32 v16, 7, v0
	v_or_b32_e32 v5, s6, v2
	v_cmp_gt_i32_e32 vcc, s10, v5
	v_lshlrev_b32_e32 v5, 3, v2
	v_lshlrev_b32_e32 v6, 3, v16
	v_add_u32_e32 v2, s6, v2
	v_add_u32_e32 v4, s7, v3
	v_lshl_or_b32 v18, v17, 8, v5
	v_lshl_or_b32 v5, v3, 6, v6
	s_waitcnt lgkmcnt(0)
	v_mad_i64_i32 v[2:3], s[2:3], s2, v2, 0
	s_mul_i32 s2, s17, s8
	s_mul_hi_u32 s3, s16, s8
	v_lshlrev_b64 v[2:3], 3, v[2:3]
	s_add_i32 s3, s3, s2
	s_mul_i32 s2, s16, s8
	s_lshl_b64 s[2:3], s[2:3], 3
	v_add_u32_e32 v19, 0x800, v5
	v_mov_b32_e32 v5, s3
	v_add_co_u32_e64 v2, s[2:3], s2, v2
	v_addc_co_u32_e64 v3, s[2:3], v3, v5, s[2:3]
	v_lshlrev_b32_e32 v5, 3, v17
	v_add_co_u32_e64 v2, s[2:3], v2, v5
	v_cmp_gt_i32_e64 s[0:1], s10, v4
	v_addc_co_u32_e64 v3, s[2:3], 0, v3, s[2:3]
	v_mad_i64_i32 v[4:5], s[2:3], s22, v4, 0
	v_mov_b32_e32 v7, s15
	v_add_co_u32_e64 v2, s[2:3], s14, v2
	v_addc_co_u32_e64 v3, s[2:3], v7, v3, s[2:3]
	s_mul_i32 s2, s21, s8
	s_mul_hi_u32 s3, s20, s8
	v_lshlrev_b64 v[4:5], 3, v[4:5]
	s_add_i32 s3, s3, s2
	s_mul_i32 s2, s20, s8
	s_lshl_b64 s[2:3], s[2:3], 3
	v_mov_b32_e32 v7, s3
	v_add_co_u32_e64 v4, s[2:3], s2, v4
	v_addc_co_u32_e64 v5, s[2:3], v5, v7, s[2:3]
	v_add_co_u32_e64 v4, s[2:3], v4, v6
	v_addc_co_u32_e64 v5, s[2:3], 0, v5, s[2:3]
	v_mov_b32_e32 v6, s19
	v_add_co_u32_e64 v4, s[2:3], s18, v4
	v_mov_b32_e32 v14, 0x800
	v_addc_co_u32_e64 v5, s[2:3], v6, v5, s[2:3]
	v_mov_b32_e32 v6, 0
	v_mov_b32_e32 v8, 0
	;; [unrolled: 1-line block ×4, first 2 shown]
	v_lshlrev_b32_e32 v20, 3, v0
	v_mov_b32_e32 v7, 0
	v_mov_b32_e32 v9, 0
	;; [unrolled: 1-line block ×4, first 2 shown]
	v_lshl_add_u32 v21, v1, 6, v14
	s_branch .LBB140_3
.LBB140_2:                              ;   in Loop: Header=BB140_3 Depth=1
	s_or_b64 exec, exec, s[2:3]
	s_waitcnt vmcnt(0)
	ds_write_b64 v19, v[14:15]
	s_waitcnt lgkmcnt(0)
	s_barrier
	ds_read2_b64 v[22:25], v20 offset1:16
	ds_read_b128 v[26:29], v21
	v_add_co_u32_e64 v2, s[2:3], 64, v2
	v_addc_co_u32_e64 v3, s[2:3], 0, v3, s[2:3]
	s_waitcnt lgkmcnt(0)
	v_fma_f64 v[14:15], v[22:23], v[26:27], v[12:13]
	v_fma_f64 v[26:27], v[24:25], v[26:27], v[10:11]
	ds_read_b128 v[10:13], v21 offset:1024
	s_add_i32 s9, s9, 8
	v_add_co_u32_e64 v4, s[2:3], 64, v4
	s_cmp_ge_i32 s9, s11
	s_waitcnt lgkmcnt(0)
	v_fma_f64 v[22:23], v[22:23], v[10:11], v[8:9]
	v_fma_f64 v[10:11], v[24:25], v[10:11], v[6:7]
	ds_read2_b64 v[6:9], v20 offset0:32 offset1:48
	v_addc_co_u32_e64 v5, s[2:3], 0, v5, s[2:3]
	s_waitcnt lgkmcnt(0)
	v_fma_f64 v[14:15], v[6:7], v[28:29], v[14:15]
	v_fma_f64 v[24:25], v[8:9], v[28:29], v[26:27]
	;; [unrolled: 1-line block ×4, first 2 shown]
	ds_read_b128 v[6:9], v21 offset:16
	ds_read2_b64 v[10:13], v20 offset0:64 offset1:80
	s_waitcnt lgkmcnt(0)
	v_fma_f64 v[14:15], v[10:11], v[6:7], v[14:15]
	v_fma_f64 v[6:7], v[12:13], v[6:7], v[24:25]
	ds_read_b128 v[22:25], v21 offset:1040
	s_waitcnt lgkmcnt(0)
	v_fma_f64 v[26:27], v[10:11], v[22:23], v[26:27]
	v_fma_f64 v[22:23], v[12:13], v[22:23], v[28:29]
	ds_read2_b64 v[10:13], v20 offset0:96 offset1:112
	s_waitcnt lgkmcnt(0)
	v_fma_f64 v[14:15], v[10:11], v[8:9], v[14:15]
	v_fma_f64 v[28:29], v[12:13], v[8:9], v[6:7]
	;; [unrolled: 1-line block ×4, first 2 shown]
	ds_read2_b64 v[6:9], v20 offset0:128 offset1:144
	ds_read_b128 v[10:13], v21 offset:32
	ds_read_b128 v[22:25], v21 offset:1056
	s_waitcnt lgkmcnt(1)
	v_fma_f64 v[14:15], v[6:7], v[10:11], v[14:15]
	v_fma_f64 v[10:11], v[8:9], v[10:11], v[28:29]
	s_waitcnt lgkmcnt(0)
	v_fma_f64 v[26:27], v[6:7], v[22:23], v[26:27]
	v_fma_f64 v[22:23], v[8:9], v[22:23], v[30:31]
	ds_read2_b64 v[6:9], v20 offset0:160 offset1:176
	s_waitcnt lgkmcnt(0)
	v_fma_f64 v[14:15], v[6:7], v[12:13], v[14:15]
	v_fma_f64 v[28:29], v[8:9], v[12:13], v[10:11]
	;; [unrolled: 1-line block ×4, first 2 shown]
	ds_read_b128 v[6:9], v21 offset:48
	ds_read2_b64 v[10:13], v20 offset0:192 offset1:208
	ds_read_b128 v[22:25], v21 offset:1072
	s_waitcnt lgkmcnt(1)
	v_fma_f64 v[14:15], v[10:11], v[6:7], v[14:15]
	v_fma_f64 v[6:7], v[12:13], v[6:7], v[28:29]
	s_waitcnt lgkmcnt(0)
	v_fma_f64 v[32:33], v[10:11], v[22:23], v[26:27]
	v_fma_f64 v[22:23], v[12:13], v[22:23], v[30:31]
	ds_read2_b64 v[26:29], v20 offset0:224 offset1:240
	s_waitcnt lgkmcnt(0)
	s_barrier
	v_fma_f64 v[12:13], v[26:27], v[8:9], v[14:15]
	v_fma_f64 v[10:11], v[28:29], v[8:9], v[6:7]
	;; [unrolled: 1-line block ×4, first 2 shown]
	s_cbranch_scc1 .LBB140_8
.LBB140_3:                              ; =>This Inner Loop Header: Depth=1
	v_add_u32_e32 v14, s9, v17
	v_cmp_gt_i32_e64 s[2:3], s11, v14
	v_mov_b32_e32 v14, 0
	v_mov_b32_e32 v15, 0
	s_and_b64 s[14:15], vcc, s[2:3]
	s_and_saveexec_b64 s[2:3], s[14:15]
	s_cbranch_execz .LBB140_5
; %bb.4:                                ;   in Loop: Header=BB140_3 Depth=1
	global_load_dwordx2 v[14:15], v[2:3], off
.LBB140_5:                              ;   in Loop: Header=BB140_3 Depth=1
	s_or_b64 exec, exec, s[2:3]
	s_waitcnt vmcnt(0)
	ds_write_b64 v18, v[14:15]
	v_add_u32_e32 v14, s9, v16
	v_cmp_gt_i32_e64 s[2:3], s11, v14
	v_mov_b32_e32 v14, 0
	v_mov_b32_e32 v15, 0
	s_and_b64 s[14:15], s[2:3], s[0:1]
	s_and_saveexec_b64 s[2:3], s[14:15]
	s_cbranch_execz .LBB140_2
; %bb.6:                                ;   in Loop: Header=BB140_3 Depth=1
	global_load_dwordx2 v[14:15], v[4:5], off
	s_branch .LBB140_2
.LBB140_7:
	v_mov_b32_e32 v12, 0
	v_mov_b32_e32 v10, 0
	;; [unrolled: 1-line block ×8, first 2 shown]
.LBB140_8:
	s_load_dwordx2 s[0:1], s[4:5], 0x58
	s_load_dwordx2 s[2:3], s[4:5], 0x48
	s_load_dword s9, s[4:5], 0x50
	v_add_u32_e32 v4, s7, v1
	v_add_u32_e32 v0, s6, v0
	s_waitcnt lgkmcnt(0)
	s_mul_i32 s1, s1, s8
	s_mul_hi_u32 s4, s0, s8
	s_add_i32 s1, s4, s1
	v_mad_i64_i32 v[1:2], s[4:5], v4, s9, 0
	s_mul_i32 s0, s0, s8
	s_lshl_b64 s[0:1], s[0:1], 3
	s_add_u32 s7, s2, s0
	v_lshlrev_b64 v[1:2], 3, v[1:2]
	s_addc_u32 s8, s3, s1
	v_mov_b32_e32 v3, s8
	v_add_co_u32_e32 v5, vcc, s7, v1
	v_addc_co_u32_e32 v14, vcc, v3, v2, vcc
	v_cmp_le_i32_e64 s[0:1], v4, v0
	v_cmp_gt_i32_e32 vcc, s10, v0
	s_and_b64 s[0:1], s[0:1], vcc
	s_and_saveexec_b64 s[2:3], s[0:1]
	s_cbranch_execz .LBB140_10
; %bb.9:
	v_mul_f64 v[2:3], s[12:13], v[12:13]
	v_ashrrev_i32_e32 v1, 31, v0
	v_lshlrev_b64 v[12:13], 3, v[0:1]
	v_add_co_u32_e64 v12, s[0:1], v5, v12
	v_addc_co_u32_e64 v13, s[0:1], v14, v13, s[0:1]
	global_store_dwordx2 v[12:13], v[2:3], off
.LBB140_10:
	s_or_b64 exec, exec, s[2:3]
	v_add_u32_e32 v2, 16, v0
	v_cmp_le_i32_e64 s[2:3], v4, v2
	v_cmp_gt_i32_e64 s[0:1], s10, v2
	s_and_b64 s[2:3], s[2:3], s[0:1]
	s_and_saveexec_b64 s[4:5], s[2:3]
	s_cbranch_execz .LBB140_12
; %bb.11:
	v_mul_f64 v[10:11], s[12:13], v[10:11]
	v_ashrrev_i32_e32 v3, 31, v2
	v_lshlrev_b64 v[12:13], 3, v[2:3]
	v_add_co_u32_e64 v12, s[2:3], v5, v12
	v_addc_co_u32_e64 v13, s[2:3], v14, v13, s[2:3]
	global_store_dwordx2 v[12:13], v[10:11], off
.LBB140_12:
	s_or_b64 exec, exec, s[4:5]
	v_add_u32_e32 v3, 16, v4
	v_mad_i64_i32 v[4:5], s[2:3], v3, s9, 0
	v_mov_b32_e32 v1, s8
	v_lshlrev_b64 v[4:5], 3, v[4:5]
	v_add_co_u32_e64 v4, s[2:3], s7, v4
	v_addc_co_u32_e64 v5, s[2:3], v1, v5, s[2:3]
	v_cmp_le_i32_e64 s[2:3], v3, v0
	s_and_b64 s[4:5], s[2:3], vcc
	s_and_saveexec_b64 s[2:3], s[4:5]
	s_cbranch_execz .LBB140_14
; %bb.13:
	v_mul_f64 v[8:9], s[12:13], v[8:9]
	v_ashrrev_i32_e32 v1, 31, v0
	v_lshlrev_b64 v[0:1], 3, v[0:1]
	v_add_co_u32_e32 v0, vcc, v4, v0
	v_addc_co_u32_e32 v1, vcc, v5, v1, vcc
	global_store_dwordx2 v[0:1], v[8:9], off
.LBB140_14:
	s_or_b64 exec, exec, s[2:3]
	v_cmp_le_i32_e32 vcc, v3, v2
	s_and_b64 s[0:1], vcc, s[0:1]
	s_and_saveexec_b64 s[2:3], s[0:1]
	s_cbranch_execz .LBB140_16
; %bb.15:
	v_mul_f64 v[0:1], s[12:13], v[6:7]
	v_ashrrev_i32_e32 v3, 31, v2
	v_lshlrev_b64 v[2:3], 3, v[2:3]
	v_add_co_u32_e32 v2, vcc, v4, v2
	v_addc_co_u32_e32 v3, vcc, v5, v3, vcc
	global_store_dwordx2 v[2:3], v[0:1], off
.LBB140_16:
	s_endpgm
	.section	.rodata,"a",@progbits
	.p2align	6, 0x0
	.amdhsa_kernel _ZL34rocblas_syrkx_herkx_general_kernelIidLi16ELi32ELi8ELb1ELb0ELc67ELc76EKddEviT_T0_PT8_S1_lS4_S1_lS2_PT9_S1_li
		.amdhsa_group_segment_fixed_size 4096
		.amdhsa_private_segment_fixed_size 0
		.amdhsa_kernarg_size 100
		.amdhsa_user_sgpr_count 6
		.amdhsa_user_sgpr_private_segment_buffer 1
		.amdhsa_user_sgpr_dispatch_ptr 0
		.amdhsa_user_sgpr_queue_ptr 0
		.amdhsa_user_sgpr_kernarg_segment_ptr 1
		.amdhsa_user_sgpr_dispatch_id 0
		.amdhsa_user_sgpr_flat_scratch_init 0
		.amdhsa_user_sgpr_private_segment_size 0
		.amdhsa_uses_dynamic_stack 0
		.amdhsa_system_sgpr_private_segment_wavefront_offset 0
		.amdhsa_system_sgpr_workgroup_id_x 1
		.amdhsa_system_sgpr_workgroup_id_y 1
		.amdhsa_system_sgpr_workgroup_id_z 1
		.amdhsa_system_sgpr_workgroup_info 0
		.amdhsa_system_vgpr_workitem_id 1
		.amdhsa_next_free_vgpr 34
		.amdhsa_next_free_sgpr 23
		.amdhsa_reserve_vcc 1
		.amdhsa_reserve_flat_scratch 0
		.amdhsa_float_round_mode_32 0
		.amdhsa_float_round_mode_16_64 0
		.amdhsa_float_denorm_mode_32 3
		.amdhsa_float_denorm_mode_16_64 3
		.amdhsa_dx10_clamp 1
		.amdhsa_ieee_mode 1
		.amdhsa_fp16_overflow 0
		.amdhsa_exception_fp_ieee_invalid_op 0
		.amdhsa_exception_fp_denorm_src 0
		.amdhsa_exception_fp_ieee_div_zero 0
		.amdhsa_exception_fp_ieee_overflow 0
		.amdhsa_exception_fp_ieee_underflow 0
		.amdhsa_exception_fp_ieee_inexact 0
		.amdhsa_exception_int_div_zero 0
	.end_amdhsa_kernel
	.section	.text._ZL34rocblas_syrkx_herkx_general_kernelIidLi16ELi32ELi8ELb1ELb0ELc67ELc76EKddEviT_T0_PT8_S1_lS4_S1_lS2_PT9_S1_li,"axG",@progbits,_ZL34rocblas_syrkx_herkx_general_kernelIidLi16ELi32ELi8ELb1ELb0ELc67ELc76EKddEviT_T0_PT8_S1_lS4_S1_lS2_PT9_S1_li,comdat
.Lfunc_end140:
	.size	_ZL34rocblas_syrkx_herkx_general_kernelIidLi16ELi32ELi8ELb1ELb0ELc67ELc76EKddEviT_T0_PT8_S1_lS4_S1_lS2_PT9_S1_li, .Lfunc_end140-_ZL34rocblas_syrkx_herkx_general_kernelIidLi16ELi32ELi8ELb1ELb0ELc67ELc76EKddEviT_T0_PT8_S1_lS4_S1_lS2_PT9_S1_li
                                        ; -- End function
	.set _ZL34rocblas_syrkx_herkx_general_kernelIidLi16ELi32ELi8ELb1ELb0ELc67ELc76EKddEviT_T0_PT8_S1_lS4_S1_lS2_PT9_S1_li.num_vgpr, 34
	.set _ZL34rocblas_syrkx_herkx_general_kernelIidLi16ELi32ELi8ELb1ELb0ELc67ELc76EKddEviT_T0_PT8_S1_lS4_S1_lS2_PT9_S1_li.num_agpr, 0
	.set _ZL34rocblas_syrkx_herkx_general_kernelIidLi16ELi32ELi8ELb1ELb0ELc67ELc76EKddEviT_T0_PT8_S1_lS4_S1_lS2_PT9_S1_li.numbered_sgpr, 23
	.set _ZL34rocblas_syrkx_herkx_general_kernelIidLi16ELi32ELi8ELb1ELb0ELc67ELc76EKddEviT_T0_PT8_S1_lS4_S1_lS2_PT9_S1_li.num_named_barrier, 0
	.set _ZL34rocblas_syrkx_herkx_general_kernelIidLi16ELi32ELi8ELb1ELb0ELc67ELc76EKddEviT_T0_PT8_S1_lS4_S1_lS2_PT9_S1_li.private_seg_size, 0
	.set _ZL34rocblas_syrkx_herkx_general_kernelIidLi16ELi32ELi8ELb1ELb0ELc67ELc76EKddEviT_T0_PT8_S1_lS4_S1_lS2_PT9_S1_li.uses_vcc, 1
	.set _ZL34rocblas_syrkx_herkx_general_kernelIidLi16ELi32ELi8ELb1ELb0ELc67ELc76EKddEviT_T0_PT8_S1_lS4_S1_lS2_PT9_S1_li.uses_flat_scratch, 0
	.set _ZL34rocblas_syrkx_herkx_general_kernelIidLi16ELi32ELi8ELb1ELb0ELc67ELc76EKddEviT_T0_PT8_S1_lS4_S1_lS2_PT9_S1_li.has_dyn_sized_stack, 0
	.set _ZL34rocblas_syrkx_herkx_general_kernelIidLi16ELi32ELi8ELb1ELb0ELc67ELc76EKddEviT_T0_PT8_S1_lS4_S1_lS2_PT9_S1_li.has_recursion, 0
	.set _ZL34rocblas_syrkx_herkx_general_kernelIidLi16ELi32ELi8ELb1ELb0ELc67ELc76EKddEviT_T0_PT8_S1_lS4_S1_lS2_PT9_S1_li.has_indirect_call, 0
	.section	.AMDGPU.csdata,"",@progbits
; Kernel info:
; codeLenInByte = 1436
; TotalNumSgprs: 27
; NumVgprs: 34
; ScratchSize: 0
; MemoryBound: 0
; FloatMode: 240
; IeeeMode: 1
; LDSByteSize: 4096 bytes/workgroup (compile time only)
; SGPRBlocks: 3
; VGPRBlocks: 8
; NumSGPRsForWavesPerEU: 27
; NumVGPRsForWavesPerEU: 34
; Occupancy: 7
; WaveLimiterHint : 0
; COMPUTE_PGM_RSRC2:SCRATCH_EN: 0
; COMPUTE_PGM_RSRC2:USER_SGPR: 6
; COMPUTE_PGM_RSRC2:TRAP_HANDLER: 0
; COMPUTE_PGM_RSRC2:TGID_X_EN: 1
; COMPUTE_PGM_RSRC2:TGID_Y_EN: 1
; COMPUTE_PGM_RSRC2:TGID_Z_EN: 1
; COMPUTE_PGM_RSRC2:TIDIG_COMP_CNT: 1
	.section	.text._ZL34rocblas_syrkx_herkx_general_kernelIidLi16ELi32ELi8ELb1ELb0ELc78ELc76EKddEviT_T0_PT8_S1_lS4_S1_lS2_PT9_S1_li,"axG",@progbits,_ZL34rocblas_syrkx_herkx_general_kernelIidLi16ELi32ELi8ELb1ELb0ELc78ELc76EKddEviT_T0_PT8_S1_lS4_S1_lS2_PT9_S1_li,comdat
	.globl	_ZL34rocblas_syrkx_herkx_general_kernelIidLi16ELi32ELi8ELb1ELb0ELc78ELc76EKddEviT_T0_PT8_S1_lS4_S1_lS2_PT9_S1_li ; -- Begin function _ZL34rocblas_syrkx_herkx_general_kernelIidLi16ELi32ELi8ELb1ELb0ELc78ELc76EKddEviT_T0_PT8_S1_lS4_S1_lS2_PT9_S1_li
	.p2align	8
	.type	_ZL34rocblas_syrkx_herkx_general_kernelIidLi16ELi32ELi8ELb1ELb0ELc78ELc76EKddEviT_T0_PT8_S1_lS4_S1_lS2_PT9_S1_li,@function
_ZL34rocblas_syrkx_herkx_general_kernelIidLi16ELi32ELi8ELb1ELb0ELc78ELc76EKddEviT_T0_PT8_S1_lS4_S1_lS2_PT9_S1_li: ; @_ZL34rocblas_syrkx_herkx_general_kernelIidLi16ELi32ELi8ELb1ELb0ELc78ELc76EKddEviT_T0_PT8_S1_lS4_S1_lS2_PT9_S1_li
; %bb.0:
	s_load_dwordx2 s[10:11], s[4:5], 0x0
	s_load_dwordx4 s[12:15], s[4:5], 0x8
	s_lshl_b32 s9, s6, 5
	s_lshl_b32 s20, s7, 5
	s_mov_b32 s21, 0
	s_waitcnt lgkmcnt(0)
	s_cmp_lt_i32 s11, 1
	s_cbranch_scc1 .LBB141_7
; %bb.1:
	v_lshl_add_u32 v2, v1, 4, v0
	v_and_b32_e32 v6, 31, v2
	v_lshrrev_b32_e32 v17, 5, v2
	v_lshrrev_b32_e32 v3, 3, v2
	v_or_b32_e32 v2, s9, v6
	v_and_b32_e32 v16, 7, v0
	v_cmp_gt_i32_e32 vcc, s10, v2
	v_lshlrev_b32_e32 v2, 3, v6
	s_load_dword s6, s[4:5], 0x18
	s_load_dword s22, s[4:5], 0x30
	s_load_dwordx2 s[24:25], s[4:5], 0x38
	s_load_dwordx4 s[16:19], s[4:5], 0x20
	v_lshl_or_b32 v18, v17, 8, v2
	v_lshlrev_b32_e32 v2, 3, v16
	v_lshl_or_b32 v2, v3, 6, v2
	v_add_u32_e32 v4, s20, v3
	v_add_u32_e32 v19, 0x800, v2
	s_waitcnt lgkmcnt(0)
	v_mad_i64_i32 v[2:3], s[2:3], v17, s6, 0
	s_mul_i32 s2, s17, s8
	s_mul_hi_u32 s3, s16, s8
	v_lshlrev_b64 v[2:3], 3, v[2:3]
	s_add_i32 s3, s3, s2
	s_mul_i32 s2, s16, s8
	v_mov_b32_e32 v7, 0x800
	s_lshl_b64 s[2:3], s[2:3], 3
	v_lshl_add_u32 v21, v1, 6, v7
	v_mov_b32_e32 v7, s3
	v_add_co_u32_e64 v8, s[2:3], s2, v2
	v_add_u32_e32 v2, s9, v6
	v_addc_co_u32_e64 v7, s[2:3], v3, v7, s[2:3]
	v_ashrrev_i32_e32 v3, 31, v2
	v_lshlrev_b64 v[2:3], 3, v[2:3]
	v_mov_b32_e32 v6, s15
	v_add_co_u32_e64 v2, s[2:3], v8, v2
	v_addc_co_u32_e64 v3, s[2:3], v7, v3, s[2:3]
	v_add_co_u32_e64 v2, s[2:3], s14, v2
	v_addc_co_u32_e64 v3, s[2:3], v6, v3, s[2:3]
	v_mad_i64_i32 v[6:7], s[2:3], s22, v16, 0
	s_mul_i32 s14, s25, s8
	s_mul_hi_u32 s15, s24, s8
	s_add_i32 s3, s15, s14
	s_mul_i32 s2, s24, s8
	v_lshlrev_b64 v[6:7], 3, v[6:7]
	v_ashrrev_i32_e32 v5, 31, v4
	s_lshl_b64 s[2:3], s[2:3], 3
	v_cmp_gt_i32_e64 s[0:1], s10, v4
	v_mov_b32_e32 v8, s3
	v_add_co_u32_e64 v6, s[2:3], s2, v6
	v_lshlrev_b64 v[4:5], 3, v[4:5]
	v_addc_co_u32_e64 v7, s[2:3], v8, v7, s[2:3]
	v_add_co_u32_e64 v4, s[2:3], v6, v4
	v_addc_co_u32_e64 v5, s[2:3], v7, v5, s[2:3]
	s_ashr_i32 s7, s6, 31
	s_ashr_i32 s23, s22, 31
	v_mov_b32_e32 v6, s19
	v_add_co_u32_e64 v4, s[2:3], s18, v4
	s_lshl_b64 s[6:7], s[6:7], 6
	v_addc_co_u32_e64 v5, s[2:3], v6, v5, s[2:3]
	s_lshl_b64 s[14:15], s[22:23], 6
	v_mov_b32_e32 v6, 0
	v_mov_b32_e32 v8, 0
	;; [unrolled: 1-line block ×4, first 2 shown]
	v_lshlrev_b32_e32 v20, 3, v0
	v_mov_b32_e32 v7, 0
	v_mov_b32_e32 v22, s7
	;; [unrolled: 1-line block ×6, first 2 shown]
	s_branch .LBB141_3
.LBB141_2:                              ;   in Loop: Header=BB141_3 Depth=1
	s_or_b64 exec, exec, s[2:3]
	s_waitcnt vmcnt(0)
	ds_write_b64 v19, v[14:15]
	s_waitcnt lgkmcnt(0)
	s_barrier
	ds_read2_b64 v[24:27], v20 offset1:16
	ds_read_b128 v[28:31], v21
	ds_read_b128 v[32:35], v21 offset:1024
	v_add_co_u32_e64 v2, s[2:3], s6, v2
	v_addc_co_u32_e64 v3, s[2:3], v3, v22, s[2:3]
	s_waitcnt lgkmcnt(1)
	v_fma_f64 v[12:13], v[24:25], v[28:29], v[12:13]
	v_fma_f64 v[10:11], v[26:27], v[28:29], v[10:11]
	s_waitcnt lgkmcnt(0)
	v_fma_f64 v[14:15], v[24:25], v[32:33], v[8:9]
	v_fma_f64 v[24:25], v[26:27], v[32:33], v[6:7]
	ds_read2_b64 v[6:9], v20 offset0:32 offset1:48
	s_add_i32 s21, s21, 8
	v_add_co_u32_e64 v4, s[2:3], s14, v4
	s_cmp_ge_i32 s21, s11
	s_waitcnt lgkmcnt(0)
	v_fma_f64 v[28:29], v[6:7], v[30:31], v[12:13]
	v_fma_f64 v[30:31], v[8:9], v[30:31], v[10:11]
	;; [unrolled: 1-line block ×4, first 2 shown]
	ds_read_b128 v[10:13], v21 offset:16
	ds_read2_b64 v[6:9], v20 offset0:64 offset1:80
	ds_read_b128 v[24:27], v21 offset:1040
	v_addc_co_u32_e64 v5, s[2:3], v5, v23, s[2:3]
	s_waitcnt lgkmcnt(1)
	v_fma_f64 v[28:29], v[6:7], v[10:11], v[28:29]
	v_fma_f64 v[10:11], v[8:9], v[10:11], v[30:31]
	s_waitcnt lgkmcnt(0)
	v_fma_f64 v[14:15], v[6:7], v[24:25], v[14:15]
	v_fma_f64 v[24:25], v[8:9], v[24:25], v[32:33]
	ds_read2_b64 v[6:9], v20 offset0:96 offset1:112
	s_waitcnt lgkmcnt(0)
	v_fma_f64 v[28:29], v[6:7], v[12:13], v[28:29]
	v_fma_f64 v[30:31], v[8:9], v[12:13], v[10:11]
	;; [unrolled: 1-line block ×4, first 2 shown]
	ds_read2_b64 v[10:13], v20 offset0:128 offset1:144
	ds_read_b128 v[6:9], v21 offset:32
	ds_read_b128 v[24:27], v21 offset:1056
	s_waitcnt lgkmcnt(1)
	v_fma_f64 v[28:29], v[10:11], v[6:7], v[28:29]
	v_fma_f64 v[6:7], v[12:13], v[6:7], v[30:31]
	s_waitcnt lgkmcnt(0)
	v_fma_f64 v[14:15], v[10:11], v[24:25], v[14:15]
	v_fma_f64 v[24:25], v[12:13], v[24:25], v[32:33]
	ds_read2_b64 v[10:13], v20 offset0:160 offset1:176
	s_waitcnt lgkmcnt(0)
	v_fma_f64 v[28:29], v[10:11], v[8:9], v[28:29]
	v_fma_f64 v[30:31], v[12:13], v[8:9], v[6:7]
	;; [unrolled: 1-line block ×4, first 2 shown]
	ds_read_b128 v[6:9], v21 offset:48
	ds_read2_b64 v[10:13], v20 offset0:192 offset1:208
	ds_read_b128 v[24:27], v21 offset:1072
	s_waitcnt lgkmcnt(1)
	v_fma_f64 v[34:35], v[10:11], v[6:7], v[28:29]
	v_fma_f64 v[6:7], v[12:13], v[6:7], v[30:31]
	s_waitcnt lgkmcnt(0)
	v_fma_f64 v[14:15], v[10:11], v[24:25], v[14:15]
	v_fma_f64 v[24:25], v[12:13], v[24:25], v[32:33]
	ds_read2_b64 v[28:31], v20 offset0:224 offset1:240
	s_waitcnt lgkmcnt(0)
	s_barrier
	v_fma_f64 v[12:13], v[28:29], v[8:9], v[34:35]
	v_fma_f64 v[10:11], v[30:31], v[8:9], v[6:7]
	;; [unrolled: 1-line block ×4, first 2 shown]
	s_cbranch_scc1 .LBB141_8
.LBB141_3:                              ; =>This Inner Loop Header: Depth=1
	v_add_u32_e32 v14, s21, v17
	v_cmp_gt_i32_e64 s[2:3], s11, v14
	v_mov_b32_e32 v14, 0
	v_mov_b32_e32 v15, 0
	s_and_b64 s[16:17], vcc, s[2:3]
	s_and_saveexec_b64 s[2:3], s[16:17]
	s_cbranch_execz .LBB141_5
; %bb.4:                                ;   in Loop: Header=BB141_3 Depth=1
	global_load_dwordx2 v[14:15], v[2:3], off
.LBB141_5:                              ;   in Loop: Header=BB141_3 Depth=1
	s_or_b64 exec, exec, s[2:3]
	s_waitcnt vmcnt(0)
	ds_write_b64 v18, v[14:15]
	v_add_u32_e32 v14, s21, v16
	v_cmp_gt_i32_e64 s[2:3], s11, v14
	v_mov_b32_e32 v14, 0
	v_mov_b32_e32 v15, 0
	s_and_b64 s[16:17], s[2:3], s[0:1]
	s_and_saveexec_b64 s[2:3], s[16:17]
	s_cbranch_execz .LBB141_2
; %bb.6:                                ;   in Loop: Header=BB141_3 Depth=1
	global_load_dwordx2 v[14:15], v[4:5], off
	s_branch .LBB141_2
.LBB141_7:
	v_mov_b32_e32 v12, 0
	v_mov_b32_e32 v10, 0
	;; [unrolled: 1-line block ×8, first 2 shown]
.LBB141_8:
	s_load_dwordx2 s[0:1], s[4:5], 0x58
	s_load_dwordx2 s[2:3], s[4:5], 0x48
	s_load_dword s6, s[4:5], 0x50
	v_add_u32_e32 v4, s20, v1
	v_add_u32_e32 v0, s9, v0
	s_waitcnt lgkmcnt(0)
	s_mul_i32 s1, s1, s8
	s_mul_hi_u32 s4, s0, s8
	s_add_i32 s1, s4, s1
	v_mad_i64_i32 v[1:2], s[4:5], v4, s6, 0
	s_mul_i32 s0, s0, s8
	s_lshl_b64 s[0:1], s[0:1], 3
	s_add_u32 s7, s2, s0
	v_lshlrev_b64 v[1:2], 3, v[1:2]
	s_addc_u32 s8, s3, s1
	v_mov_b32_e32 v3, s8
	v_add_co_u32_e32 v5, vcc, s7, v1
	v_addc_co_u32_e32 v14, vcc, v3, v2, vcc
	v_cmp_le_i32_e64 s[0:1], v4, v0
	v_cmp_gt_i32_e32 vcc, s10, v0
	s_and_b64 s[0:1], s[0:1], vcc
	s_and_saveexec_b64 s[2:3], s[0:1]
	s_cbranch_execz .LBB141_10
; %bb.9:
	v_mul_f64 v[2:3], s[12:13], v[12:13]
	v_ashrrev_i32_e32 v1, 31, v0
	v_lshlrev_b64 v[12:13], 3, v[0:1]
	v_add_co_u32_e64 v12, s[0:1], v5, v12
	v_addc_co_u32_e64 v13, s[0:1], v14, v13, s[0:1]
	global_store_dwordx2 v[12:13], v[2:3], off
.LBB141_10:
	s_or_b64 exec, exec, s[2:3]
	v_add_u32_e32 v2, 16, v0
	v_cmp_le_i32_e64 s[2:3], v4, v2
	v_cmp_gt_i32_e64 s[0:1], s10, v2
	s_and_b64 s[2:3], s[2:3], s[0:1]
	s_and_saveexec_b64 s[4:5], s[2:3]
	s_cbranch_execz .LBB141_12
; %bb.11:
	v_mul_f64 v[10:11], s[12:13], v[10:11]
	v_ashrrev_i32_e32 v3, 31, v2
	v_lshlrev_b64 v[12:13], 3, v[2:3]
	v_add_co_u32_e64 v12, s[2:3], v5, v12
	v_addc_co_u32_e64 v13, s[2:3], v14, v13, s[2:3]
	global_store_dwordx2 v[12:13], v[10:11], off
.LBB141_12:
	s_or_b64 exec, exec, s[4:5]
	v_add_u32_e32 v3, 16, v4
	v_mad_i64_i32 v[4:5], s[2:3], v3, s6, 0
	v_mov_b32_e32 v1, s8
	v_lshlrev_b64 v[4:5], 3, v[4:5]
	v_add_co_u32_e64 v4, s[2:3], s7, v4
	v_addc_co_u32_e64 v5, s[2:3], v1, v5, s[2:3]
	v_cmp_le_i32_e64 s[2:3], v3, v0
	s_and_b64 s[4:5], s[2:3], vcc
	s_and_saveexec_b64 s[2:3], s[4:5]
	s_cbranch_execz .LBB141_14
; %bb.13:
	v_mul_f64 v[8:9], s[12:13], v[8:9]
	v_ashrrev_i32_e32 v1, 31, v0
	v_lshlrev_b64 v[0:1], 3, v[0:1]
	v_add_co_u32_e32 v0, vcc, v4, v0
	v_addc_co_u32_e32 v1, vcc, v5, v1, vcc
	global_store_dwordx2 v[0:1], v[8:9], off
.LBB141_14:
	s_or_b64 exec, exec, s[2:3]
	v_cmp_le_i32_e32 vcc, v3, v2
	s_and_b64 s[0:1], vcc, s[0:1]
	s_and_saveexec_b64 s[2:3], s[0:1]
	s_cbranch_execz .LBB141_16
; %bb.15:
	v_mul_f64 v[0:1], s[12:13], v[6:7]
	v_ashrrev_i32_e32 v3, 31, v2
	v_lshlrev_b64 v[2:3], 3, v[2:3]
	v_add_co_u32_e32 v2, vcc, v4, v2
	v_addc_co_u32_e32 v3, vcc, v5, v3, vcc
	global_store_dwordx2 v[2:3], v[0:1], off
.LBB141_16:
	s_endpgm
	.section	.rodata,"a",@progbits
	.p2align	6, 0x0
	.amdhsa_kernel _ZL34rocblas_syrkx_herkx_general_kernelIidLi16ELi32ELi8ELb1ELb0ELc78ELc76EKddEviT_T0_PT8_S1_lS4_S1_lS2_PT9_S1_li
		.amdhsa_group_segment_fixed_size 4096
		.amdhsa_private_segment_fixed_size 0
		.amdhsa_kernarg_size 100
		.amdhsa_user_sgpr_count 6
		.amdhsa_user_sgpr_private_segment_buffer 1
		.amdhsa_user_sgpr_dispatch_ptr 0
		.amdhsa_user_sgpr_queue_ptr 0
		.amdhsa_user_sgpr_kernarg_segment_ptr 1
		.amdhsa_user_sgpr_dispatch_id 0
		.amdhsa_user_sgpr_flat_scratch_init 0
		.amdhsa_user_sgpr_private_segment_size 0
		.amdhsa_uses_dynamic_stack 0
		.amdhsa_system_sgpr_private_segment_wavefront_offset 0
		.amdhsa_system_sgpr_workgroup_id_x 1
		.amdhsa_system_sgpr_workgroup_id_y 1
		.amdhsa_system_sgpr_workgroup_id_z 1
		.amdhsa_system_sgpr_workgroup_info 0
		.amdhsa_system_vgpr_workitem_id 1
		.amdhsa_next_free_vgpr 36
		.amdhsa_next_free_sgpr 26
		.amdhsa_reserve_vcc 1
		.amdhsa_reserve_flat_scratch 0
		.amdhsa_float_round_mode_32 0
		.amdhsa_float_round_mode_16_64 0
		.amdhsa_float_denorm_mode_32 3
		.amdhsa_float_denorm_mode_16_64 3
		.amdhsa_dx10_clamp 1
		.amdhsa_ieee_mode 1
		.amdhsa_fp16_overflow 0
		.amdhsa_exception_fp_ieee_invalid_op 0
		.amdhsa_exception_fp_denorm_src 0
		.amdhsa_exception_fp_ieee_div_zero 0
		.amdhsa_exception_fp_ieee_overflow 0
		.amdhsa_exception_fp_ieee_underflow 0
		.amdhsa_exception_fp_ieee_inexact 0
		.amdhsa_exception_int_div_zero 0
	.end_amdhsa_kernel
	.section	.text._ZL34rocblas_syrkx_herkx_general_kernelIidLi16ELi32ELi8ELb1ELb0ELc78ELc76EKddEviT_T0_PT8_S1_lS4_S1_lS2_PT9_S1_li,"axG",@progbits,_ZL34rocblas_syrkx_herkx_general_kernelIidLi16ELi32ELi8ELb1ELb0ELc78ELc76EKddEviT_T0_PT8_S1_lS4_S1_lS2_PT9_S1_li,comdat
.Lfunc_end141:
	.size	_ZL34rocblas_syrkx_herkx_general_kernelIidLi16ELi32ELi8ELb1ELb0ELc78ELc76EKddEviT_T0_PT8_S1_lS4_S1_lS2_PT9_S1_li, .Lfunc_end141-_ZL34rocblas_syrkx_herkx_general_kernelIidLi16ELi32ELi8ELb1ELb0ELc78ELc76EKddEviT_T0_PT8_S1_lS4_S1_lS2_PT9_S1_li
                                        ; -- End function
	.set _ZL34rocblas_syrkx_herkx_general_kernelIidLi16ELi32ELi8ELb1ELb0ELc78ELc76EKddEviT_T0_PT8_S1_lS4_S1_lS2_PT9_S1_li.num_vgpr, 36
	.set _ZL34rocblas_syrkx_herkx_general_kernelIidLi16ELi32ELi8ELb1ELb0ELc78ELc76EKddEviT_T0_PT8_S1_lS4_S1_lS2_PT9_S1_li.num_agpr, 0
	.set _ZL34rocblas_syrkx_herkx_general_kernelIidLi16ELi32ELi8ELb1ELb0ELc78ELc76EKddEviT_T0_PT8_S1_lS4_S1_lS2_PT9_S1_li.numbered_sgpr, 26
	.set _ZL34rocblas_syrkx_herkx_general_kernelIidLi16ELi32ELi8ELb1ELb0ELc78ELc76EKddEviT_T0_PT8_S1_lS4_S1_lS2_PT9_S1_li.num_named_barrier, 0
	.set _ZL34rocblas_syrkx_herkx_general_kernelIidLi16ELi32ELi8ELb1ELb0ELc78ELc76EKddEviT_T0_PT8_S1_lS4_S1_lS2_PT9_S1_li.private_seg_size, 0
	.set _ZL34rocblas_syrkx_herkx_general_kernelIidLi16ELi32ELi8ELb1ELb0ELc78ELc76EKddEviT_T0_PT8_S1_lS4_S1_lS2_PT9_S1_li.uses_vcc, 1
	.set _ZL34rocblas_syrkx_herkx_general_kernelIidLi16ELi32ELi8ELb1ELb0ELc78ELc76EKddEviT_T0_PT8_S1_lS4_S1_lS2_PT9_S1_li.uses_flat_scratch, 0
	.set _ZL34rocblas_syrkx_herkx_general_kernelIidLi16ELi32ELi8ELb1ELb0ELc78ELc76EKddEviT_T0_PT8_S1_lS4_S1_lS2_PT9_S1_li.has_dyn_sized_stack, 0
	.set _ZL34rocblas_syrkx_herkx_general_kernelIidLi16ELi32ELi8ELb1ELb0ELc78ELc76EKddEviT_T0_PT8_S1_lS4_S1_lS2_PT9_S1_li.has_recursion, 0
	.set _ZL34rocblas_syrkx_herkx_general_kernelIidLi16ELi32ELi8ELb1ELb0ELc78ELc76EKddEviT_T0_PT8_S1_lS4_S1_lS2_PT9_S1_li.has_indirect_call, 0
	.section	.AMDGPU.csdata,"",@progbits
; Kernel info:
; codeLenInByte = 1480
; TotalNumSgprs: 30
; NumVgprs: 36
; ScratchSize: 0
; MemoryBound: 0
; FloatMode: 240
; IeeeMode: 1
; LDSByteSize: 4096 bytes/workgroup (compile time only)
; SGPRBlocks: 3
; VGPRBlocks: 8
; NumSGPRsForWavesPerEU: 30
; NumVGPRsForWavesPerEU: 36
; Occupancy: 7
; WaveLimiterHint : 0
; COMPUTE_PGM_RSRC2:SCRATCH_EN: 0
; COMPUTE_PGM_RSRC2:USER_SGPR: 6
; COMPUTE_PGM_RSRC2:TRAP_HANDLER: 0
; COMPUTE_PGM_RSRC2:TGID_X_EN: 1
; COMPUTE_PGM_RSRC2:TGID_Y_EN: 1
; COMPUTE_PGM_RSRC2:TGID_Z_EN: 1
; COMPUTE_PGM_RSRC2:TIDIG_COMP_CNT: 1
	.section	.text._ZL34rocblas_syrkx_herkx_general_kernelIidLi16ELi32ELi8ELb1ELb0ELc84ELc85EKddEviT_T0_PT8_S1_lS4_S1_lS2_PT9_S1_li,"axG",@progbits,_ZL34rocblas_syrkx_herkx_general_kernelIidLi16ELi32ELi8ELb1ELb0ELc84ELc85EKddEviT_T0_PT8_S1_lS4_S1_lS2_PT9_S1_li,comdat
	.globl	_ZL34rocblas_syrkx_herkx_general_kernelIidLi16ELi32ELi8ELb1ELb0ELc84ELc85EKddEviT_T0_PT8_S1_lS4_S1_lS2_PT9_S1_li ; -- Begin function _ZL34rocblas_syrkx_herkx_general_kernelIidLi16ELi32ELi8ELb1ELb0ELc84ELc85EKddEviT_T0_PT8_S1_lS4_S1_lS2_PT9_S1_li
	.p2align	8
	.type	_ZL34rocblas_syrkx_herkx_general_kernelIidLi16ELi32ELi8ELb1ELb0ELc84ELc85EKddEviT_T0_PT8_S1_lS4_S1_lS2_PT9_S1_li,@function
_ZL34rocblas_syrkx_herkx_general_kernelIidLi16ELi32ELi8ELb1ELb0ELc84ELc85EKddEviT_T0_PT8_S1_lS4_S1_lS2_PT9_S1_li: ; @_ZL34rocblas_syrkx_herkx_general_kernelIidLi16ELi32ELi8ELb1ELb0ELc84ELc85EKddEviT_T0_PT8_S1_lS4_S1_lS2_PT9_S1_li
; %bb.0:
	s_load_dwordx2 s[10:11], s[4:5], 0x0
	s_load_dwordx4 s[12:15], s[4:5], 0x8
	s_lshl_b32 s6, s6, 5
	s_lshl_b32 s7, s7, 5
	s_mov_b32 s9, 0
	s_waitcnt lgkmcnt(0)
	s_cmp_lt_i32 s11, 1
	s_cbranch_scc1 .LBB142_7
; %bb.1:
	v_lshl_add_u32 v2, v1, 4, v0
	v_lshrrev_b32_e32 v17, 5, v2
	v_lshrrev_b32_e32 v3, 3, v2
	v_and_b32_e32 v2, 31, v2
	s_load_dword s2, s[4:5], 0x18
	s_load_dwordx4 s[16:19], s[4:5], 0x20
	s_load_dword s22, s[4:5], 0x30
	s_load_dwordx2 s[20:21], s[4:5], 0x38
	v_and_b32_e32 v16, 7, v0
	v_or_b32_e32 v5, s6, v2
	v_cmp_gt_i32_e32 vcc, s10, v5
	v_lshlrev_b32_e32 v5, 3, v2
	v_lshlrev_b32_e32 v6, 3, v16
	v_add_u32_e32 v2, s6, v2
	v_add_u32_e32 v4, s7, v3
	v_lshl_or_b32 v18, v17, 8, v5
	v_lshl_or_b32 v5, v3, 6, v6
	s_waitcnt lgkmcnt(0)
	v_mad_i64_i32 v[2:3], s[2:3], s2, v2, 0
	s_mul_i32 s2, s17, s8
	s_mul_hi_u32 s3, s16, s8
	v_lshlrev_b64 v[2:3], 3, v[2:3]
	s_add_i32 s3, s3, s2
	s_mul_i32 s2, s16, s8
	s_lshl_b64 s[2:3], s[2:3], 3
	v_add_u32_e32 v19, 0x800, v5
	v_mov_b32_e32 v5, s3
	v_add_co_u32_e64 v2, s[2:3], s2, v2
	v_addc_co_u32_e64 v3, s[2:3], v3, v5, s[2:3]
	v_lshlrev_b32_e32 v5, 3, v17
	v_add_co_u32_e64 v2, s[2:3], v2, v5
	v_cmp_gt_i32_e64 s[0:1], s10, v4
	v_addc_co_u32_e64 v3, s[2:3], 0, v3, s[2:3]
	v_mad_i64_i32 v[4:5], s[2:3], s22, v4, 0
	v_mov_b32_e32 v7, s15
	v_add_co_u32_e64 v2, s[2:3], s14, v2
	v_addc_co_u32_e64 v3, s[2:3], v7, v3, s[2:3]
	s_mul_i32 s2, s21, s8
	s_mul_hi_u32 s3, s20, s8
	v_lshlrev_b64 v[4:5], 3, v[4:5]
	s_add_i32 s3, s3, s2
	s_mul_i32 s2, s20, s8
	s_lshl_b64 s[2:3], s[2:3], 3
	v_mov_b32_e32 v7, s3
	v_add_co_u32_e64 v4, s[2:3], s2, v4
	v_addc_co_u32_e64 v5, s[2:3], v5, v7, s[2:3]
	v_add_co_u32_e64 v4, s[2:3], v4, v6
	v_addc_co_u32_e64 v5, s[2:3], 0, v5, s[2:3]
	v_mov_b32_e32 v6, s19
	v_add_co_u32_e64 v4, s[2:3], s18, v4
	v_mov_b32_e32 v14, 0x800
	v_addc_co_u32_e64 v5, s[2:3], v6, v5, s[2:3]
	v_mov_b32_e32 v6, 0
	v_mov_b32_e32 v8, 0
	;; [unrolled: 1-line block ×4, first 2 shown]
	v_lshlrev_b32_e32 v20, 3, v0
	v_mov_b32_e32 v7, 0
	v_mov_b32_e32 v9, 0
	;; [unrolled: 1-line block ×4, first 2 shown]
	v_lshl_add_u32 v21, v1, 6, v14
	s_branch .LBB142_3
.LBB142_2:                              ;   in Loop: Header=BB142_3 Depth=1
	s_or_b64 exec, exec, s[2:3]
	s_waitcnt vmcnt(0)
	ds_write_b64 v19, v[14:15]
	s_waitcnt lgkmcnt(0)
	s_barrier
	ds_read2_b64 v[22:25], v20 offset1:16
	ds_read_b128 v[26:29], v21
	v_add_co_u32_e64 v2, s[2:3], 64, v2
	v_addc_co_u32_e64 v3, s[2:3], 0, v3, s[2:3]
	s_waitcnt lgkmcnt(0)
	v_fma_f64 v[14:15], v[22:23], v[26:27], v[12:13]
	v_fma_f64 v[26:27], v[24:25], v[26:27], v[10:11]
	ds_read_b128 v[10:13], v21 offset:1024
	s_add_i32 s9, s9, 8
	v_add_co_u32_e64 v4, s[2:3], 64, v4
	s_cmp_ge_i32 s9, s11
	s_waitcnt lgkmcnt(0)
	v_fma_f64 v[22:23], v[22:23], v[10:11], v[8:9]
	v_fma_f64 v[10:11], v[24:25], v[10:11], v[6:7]
	ds_read2_b64 v[6:9], v20 offset0:32 offset1:48
	v_addc_co_u32_e64 v5, s[2:3], 0, v5, s[2:3]
	s_waitcnt lgkmcnt(0)
	v_fma_f64 v[14:15], v[6:7], v[28:29], v[14:15]
	v_fma_f64 v[24:25], v[8:9], v[28:29], v[26:27]
	;; [unrolled: 1-line block ×4, first 2 shown]
	ds_read_b128 v[6:9], v21 offset:16
	ds_read2_b64 v[10:13], v20 offset0:64 offset1:80
	s_waitcnt lgkmcnt(0)
	v_fma_f64 v[14:15], v[10:11], v[6:7], v[14:15]
	v_fma_f64 v[6:7], v[12:13], v[6:7], v[24:25]
	ds_read_b128 v[22:25], v21 offset:1040
	s_waitcnt lgkmcnt(0)
	v_fma_f64 v[26:27], v[10:11], v[22:23], v[26:27]
	v_fma_f64 v[22:23], v[12:13], v[22:23], v[28:29]
	ds_read2_b64 v[10:13], v20 offset0:96 offset1:112
	s_waitcnt lgkmcnt(0)
	v_fma_f64 v[14:15], v[10:11], v[8:9], v[14:15]
	v_fma_f64 v[28:29], v[12:13], v[8:9], v[6:7]
	;; [unrolled: 1-line block ×4, first 2 shown]
	ds_read2_b64 v[6:9], v20 offset0:128 offset1:144
	ds_read_b128 v[10:13], v21 offset:32
	ds_read_b128 v[22:25], v21 offset:1056
	s_waitcnt lgkmcnt(1)
	v_fma_f64 v[14:15], v[6:7], v[10:11], v[14:15]
	v_fma_f64 v[10:11], v[8:9], v[10:11], v[28:29]
	s_waitcnt lgkmcnt(0)
	v_fma_f64 v[26:27], v[6:7], v[22:23], v[26:27]
	v_fma_f64 v[22:23], v[8:9], v[22:23], v[30:31]
	ds_read2_b64 v[6:9], v20 offset0:160 offset1:176
	s_waitcnt lgkmcnt(0)
	v_fma_f64 v[14:15], v[6:7], v[12:13], v[14:15]
	v_fma_f64 v[28:29], v[8:9], v[12:13], v[10:11]
	;; [unrolled: 1-line block ×4, first 2 shown]
	ds_read_b128 v[6:9], v21 offset:48
	ds_read2_b64 v[10:13], v20 offset0:192 offset1:208
	ds_read_b128 v[22:25], v21 offset:1072
	s_waitcnt lgkmcnt(1)
	v_fma_f64 v[14:15], v[10:11], v[6:7], v[14:15]
	v_fma_f64 v[6:7], v[12:13], v[6:7], v[28:29]
	s_waitcnt lgkmcnt(0)
	v_fma_f64 v[32:33], v[10:11], v[22:23], v[26:27]
	v_fma_f64 v[22:23], v[12:13], v[22:23], v[30:31]
	ds_read2_b64 v[26:29], v20 offset0:224 offset1:240
	s_waitcnt lgkmcnt(0)
	s_barrier
	v_fma_f64 v[12:13], v[26:27], v[8:9], v[14:15]
	v_fma_f64 v[10:11], v[28:29], v[8:9], v[6:7]
	;; [unrolled: 1-line block ×4, first 2 shown]
	s_cbranch_scc1 .LBB142_8
.LBB142_3:                              ; =>This Inner Loop Header: Depth=1
	v_add_u32_e32 v14, s9, v17
	v_cmp_gt_i32_e64 s[2:3], s11, v14
	v_mov_b32_e32 v14, 0
	v_mov_b32_e32 v15, 0
	s_and_b64 s[14:15], vcc, s[2:3]
	s_and_saveexec_b64 s[2:3], s[14:15]
	s_cbranch_execz .LBB142_5
; %bb.4:                                ;   in Loop: Header=BB142_3 Depth=1
	global_load_dwordx2 v[14:15], v[2:3], off
.LBB142_5:                              ;   in Loop: Header=BB142_3 Depth=1
	s_or_b64 exec, exec, s[2:3]
	s_waitcnt vmcnt(0)
	ds_write_b64 v18, v[14:15]
	v_add_u32_e32 v14, s9, v16
	v_cmp_gt_i32_e64 s[2:3], s11, v14
	v_mov_b32_e32 v14, 0
	v_mov_b32_e32 v15, 0
	s_and_b64 s[14:15], s[2:3], s[0:1]
	s_and_saveexec_b64 s[2:3], s[14:15]
	s_cbranch_execz .LBB142_2
; %bb.6:                                ;   in Loop: Header=BB142_3 Depth=1
	global_load_dwordx2 v[14:15], v[4:5], off
	s_branch .LBB142_2
.LBB142_7:
	v_mov_b32_e32 v12, 0
	v_mov_b32_e32 v10, 0
	;; [unrolled: 1-line block ×8, first 2 shown]
.LBB142_8:
	s_load_dwordx2 s[0:1], s[4:5], 0x58
	s_load_dwordx2 s[2:3], s[4:5], 0x48
	s_load_dword s9, s[4:5], 0x50
	v_add_u32_e32 v4, s7, v1
	v_add_u32_e32 v0, s6, v0
	s_waitcnt lgkmcnt(0)
	s_mul_i32 s1, s1, s8
	s_mul_hi_u32 s4, s0, s8
	v_mad_i64_i32 v[1:2], s[14:15], v4, s9, 0
	s_mul_i32 s0, s0, s8
	s_add_i32 s1, s4, s1
	s_lshl_b64 s[0:1], s[0:1], 3
	s_add_u32 s4, s2, s0
	v_lshlrev_b64 v[1:2], 3, v[1:2]
	s_addc_u32 s5, s3, s1
	v_mov_b32_e32 v3, s5
	v_add_co_u32_e64 v5, s[0:1], s4, v1
	v_addc_co_u32_e64 v14, s[0:1], v3, v2, s[0:1]
	v_cmp_gt_i32_e32 vcc, s10, v4
	v_cmp_le_i32_e64 s[0:1], v0, v4
	s_and_b64 s[0:1], vcc, s[0:1]
	s_and_saveexec_b64 s[2:3], s[0:1]
	s_cbranch_execz .LBB142_10
; %bb.9:
	v_mul_f64 v[2:3], s[12:13], v[12:13]
	v_ashrrev_i32_e32 v1, 31, v0
	v_lshlrev_b64 v[12:13], 3, v[0:1]
	v_add_co_u32_e64 v12, s[0:1], v5, v12
	v_addc_co_u32_e64 v13, s[0:1], v14, v13, s[0:1]
	global_store_dwordx2 v[12:13], v[2:3], off
.LBB142_10:
	s_or_b64 exec, exec, s[2:3]
	v_add_u32_e32 v2, 16, v0
	v_cmp_le_i32_e64 s[0:1], v2, v4
	s_and_b64 s[2:3], vcc, s[0:1]
	s_and_saveexec_b64 s[0:1], s[2:3]
	s_cbranch_execz .LBB142_12
; %bb.11:
	v_mul_f64 v[10:11], s[12:13], v[10:11]
	v_ashrrev_i32_e32 v3, 31, v2
	v_lshlrev_b64 v[12:13], 3, v[2:3]
	v_add_co_u32_e32 v12, vcc, v5, v12
	v_addc_co_u32_e32 v13, vcc, v14, v13, vcc
	global_store_dwordx2 v[12:13], v[10:11], off
.LBB142_12:
	s_or_b64 exec, exec, s[0:1]
	v_add_u32_e32 v3, 16, v4
	v_mad_i64_i32 v[4:5], s[0:1], v3, s9, 0
	v_mov_b32_e32 v1, s5
	v_cmp_gt_i32_e32 vcc, s10, v3
	v_lshlrev_b64 v[4:5], 3, v[4:5]
	v_add_co_u32_e64 v4, s[0:1], s4, v4
	v_addc_co_u32_e64 v5, s[0:1], v1, v5, s[0:1]
	v_cmp_le_i32_e64 s[0:1], v0, v3
	s_and_b64 s[0:1], vcc, s[0:1]
	s_and_saveexec_b64 s[2:3], s[0:1]
	s_cbranch_execz .LBB142_14
; %bb.13:
	v_mul_f64 v[8:9], s[12:13], v[8:9]
	v_ashrrev_i32_e32 v1, 31, v0
	v_lshlrev_b64 v[0:1], 3, v[0:1]
	v_add_co_u32_e64 v0, s[0:1], v4, v0
	v_addc_co_u32_e64 v1, s[0:1], v5, v1, s[0:1]
	global_store_dwordx2 v[0:1], v[8:9], off
.LBB142_14:
	s_or_b64 exec, exec, s[2:3]
	v_cmp_le_i32_e64 s[0:1], v2, v3
	s_and_b64 s[0:1], vcc, s[0:1]
	s_and_saveexec_b64 s[2:3], s[0:1]
	s_cbranch_execz .LBB142_16
; %bb.15:
	v_mul_f64 v[0:1], s[12:13], v[6:7]
	v_ashrrev_i32_e32 v3, 31, v2
	v_lshlrev_b64 v[2:3], 3, v[2:3]
	v_add_co_u32_e32 v2, vcc, v4, v2
	v_addc_co_u32_e32 v3, vcc, v5, v3, vcc
	global_store_dwordx2 v[2:3], v[0:1], off
.LBB142_16:
	s_endpgm
	.section	.rodata,"a",@progbits
	.p2align	6, 0x0
	.amdhsa_kernel _ZL34rocblas_syrkx_herkx_general_kernelIidLi16ELi32ELi8ELb1ELb0ELc84ELc85EKddEviT_T0_PT8_S1_lS4_S1_lS2_PT9_S1_li
		.amdhsa_group_segment_fixed_size 4096
		.amdhsa_private_segment_fixed_size 0
		.amdhsa_kernarg_size 100
		.amdhsa_user_sgpr_count 6
		.amdhsa_user_sgpr_private_segment_buffer 1
		.amdhsa_user_sgpr_dispatch_ptr 0
		.amdhsa_user_sgpr_queue_ptr 0
		.amdhsa_user_sgpr_kernarg_segment_ptr 1
		.amdhsa_user_sgpr_dispatch_id 0
		.amdhsa_user_sgpr_flat_scratch_init 0
		.amdhsa_user_sgpr_private_segment_size 0
		.amdhsa_uses_dynamic_stack 0
		.amdhsa_system_sgpr_private_segment_wavefront_offset 0
		.amdhsa_system_sgpr_workgroup_id_x 1
		.amdhsa_system_sgpr_workgroup_id_y 1
		.amdhsa_system_sgpr_workgroup_id_z 1
		.amdhsa_system_sgpr_workgroup_info 0
		.amdhsa_system_vgpr_workitem_id 1
		.amdhsa_next_free_vgpr 34
		.amdhsa_next_free_sgpr 23
		.amdhsa_reserve_vcc 1
		.amdhsa_reserve_flat_scratch 0
		.amdhsa_float_round_mode_32 0
		.amdhsa_float_round_mode_16_64 0
		.amdhsa_float_denorm_mode_32 3
		.amdhsa_float_denorm_mode_16_64 3
		.amdhsa_dx10_clamp 1
		.amdhsa_ieee_mode 1
		.amdhsa_fp16_overflow 0
		.amdhsa_exception_fp_ieee_invalid_op 0
		.amdhsa_exception_fp_denorm_src 0
		.amdhsa_exception_fp_ieee_div_zero 0
		.amdhsa_exception_fp_ieee_overflow 0
		.amdhsa_exception_fp_ieee_underflow 0
		.amdhsa_exception_fp_ieee_inexact 0
		.amdhsa_exception_int_div_zero 0
	.end_amdhsa_kernel
	.section	.text._ZL34rocblas_syrkx_herkx_general_kernelIidLi16ELi32ELi8ELb1ELb0ELc84ELc85EKddEviT_T0_PT8_S1_lS4_S1_lS2_PT9_S1_li,"axG",@progbits,_ZL34rocblas_syrkx_herkx_general_kernelIidLi16ELi32ELi8ELb1ELb0ELc84ELc85EKddEviT_T0_PT8_S1_lS4_S1_lS2_PT9_S1_li,comdat
.Lfunc_end142:
	.size	_ZL34rocblas_syrkx_herkx_general_kernelIidLi16ELi32ELi8ELb1ELb0ELc84ELc85EKddEviT_T0_PT8_S1_lS4_S1_lS2_PT9_S1_li, .Lfunc_end142-_ZL34rocblas_syrkx_herkx_general_kernelIidLi16ELi32ELi8ELb1ELb0ELc84ELc85EKddEviT_T0_PT8_S1_lS4_S1_lS2_PT9_S1_li
                                        ; -- End function
	.set _ZL34rocblas_syrkx_herkx_general_kernelIidLi16ELi32ELi8ELb1ELb0ELc84ELc85EKddEviT_T0_PT8_S1_lS4_S1_lS2_PT9_S1_li.num_vgpr, 34
	.set _ZL34rocblas_syrkx_herkx_general_kernelIidLi16ELi32ELi8ELb1ELb0ELc84ELc85EKddEviT_T0_PT8_S1_lS4_S1_lS2_PT9_S1_li.num_agpr, 0
	.set _ZL34rocblas_syrkx_herkx_general_kernelIidLi16ELi32ELi8ELb1ELb0ELc84ELc85EKddEviT_T0_PT8_S1_lS4_S1_lS2_PT9_S1_li.numbered_sgpr, 23
	.set _ZL34rocblas_syrkx_herkx_general_kernelIidLi16ELi32ELi8ELb1ELb0ELc84ELc85EKddEviT_T0_PT8_S1_lS4_S1_lS2_PT9_S1_li.num_named_barrier, 0
	.set _ZL34rocblas_syrkx_herkx_general_kernelIidLi16ELi32ELi8ELb1ELb0ELc84ELc85EKddEviT_T0_PT8_S1_lS4_S1_lS2_PT9_S1_li.private_seg_size, 0
	.set _ZL34rocblas_syrkx_herkx_general_kernelIidLi16ELi32ELi8ELb1ELb0ELc84ELc85EKddEviT_T0_PT8_S1_lS4_S1_lS2_PT9_S1_li.uses_vcc, 1
	.set _ZL34rocblas_syrkx_herkx_general_kernelIidLi16ELi32ELi8ELb1ELb0ELc84ELc85EKddEviT_T0_PT8_S1_lS4_S1_lS2_PT9_S1_li.uses_flat_scratch, 0
	.set _ZL34rocblas_syrkx_herkx_general_kernelIidLi16ELi32ELi8ELb1ELb0ELc84ELc85EKddEviT_T0_PT8_S1_lS4_S1_lS2_PT9_S1_li.has_dyn_sized_stack, 0
	.set _ZL34rocblas_syrkx_herkx_general_kernelIidLi16ELi32ELi8ELb1ELb0ELc84ELc85EKddEviT_T0_PT8_S1_lS4_S1_lS2_PT9_S1_li.has_recursion, 0
	.set _ZL34rocblas_syrkx_herkx_general_kernelIidLi16ELi32ELi8ELb1ELb0ELc84ELc85EKddEviT_T0_PT8_S1_lS4_S1_lS2_PT9_S1_li.has_indirect_call, 0
	.section	.AMDGPU.csdata,"",@progbits
; Kernel info:
; codeLenInByte = 1444
; TotalNumSgprs: 27
; NumVgprs: 34
; ScratchSize: 0
; MemoryBound: 0
; FloatMode: 240
; IeeeMode: 1
; LDSByteSize: 4096 bytes/workgroup (compile time only)
; SGPRBlocks: 3
; VGPRBlocks: 8
; NumSGPRsForWavesPerEU: 27
; NumVGPRsForWavesPerEU: 34
; Occupancy: 7
; WaveLimiterHint : 0
; COMPUTE_PGM_RSRC2:SCRATCH_EN: 0
; COMPUTE_PGM_RSRC2:USER_SGPR: 6
; COMPUTE_PGM_RSRC2:TRAP_HANDLER: 0
; COMPUTE_PGM_RSRC2:TGID_X_EN: 1
; COMPUTE_PGM_RSRC2:TGID_Y_EN: 1
; COMPUTE_PGM_RSRC2:TGID_Z_EN: 1
; COMPUTE_PGM_RSRC2:TIDIG_COMP_CNT: 1
	.section	.text._ZL34rocblas_syrkx_herkx_general_kernelIidLi16ELi32ELi8ELb1ELb0ELc67ELc85EKddEviT_T0_PT8_S1_lS4_S1_lS2_PT9_S1_li,"axG",@progbits,_ZL34rocblas_syrkx_herkx_general_kernelIidLi16ELi32ELi8ELb1ELb0ELc67ELc85EKddEviT_T0_PT8_S1_lS4_S1_lS2_PT9_S1_li,comdat
	.globl	_ZL34rocblas_syrkx_herkx_general_kernelIidLi16ELi32ELi8ELb1ELb0ELc67ELc85EKddEviT_T0_PT8_S1_lS4_S1_lS2_PT9_S1_li ; -- Begin function _ZL34rocblas_syrkx_herkx_general_kernelIidLi16ELi32ELi8ELb1ELb0ELc67ELc85EKddEviT_T0_PT8_S1_lS4_S1_lS2_PT9_S1_li
	.p2align	8
	.type	_ZL34rocblas_syrkx_herkx_general_kernelIidLi16ELi32ELi8ELb1ELb0ELc67ELc85EKddEviT_T0_PT8_S1_lS4_S1_lS2_PT9_S1_li,@function
_ZL34rocblas_syrkx_herkx_general_kernelIidLi16ELi32ELi8ELb1ELb0ELc67ELc85EKddEviT_T0_PT8_S1_lS4_S1_lS2_PT9_S1_li: ; @_ZL34rocblas_syrkx_herkx_general_kernelIidLi16ELi32ELi8ELb1ELb0ELc67ELc85EKddEviT_T0_PT8_S1_lS4_S1_lS2_PT9_S1_li
; %bb.0:
	s_load_dwordx2 s[10:11], s[4:5], 0x0
	s_load_dwordx4 s[12:15], s[4:5], 0x8
	s_lshl_b32 s6, s6, 5
	s_lshl_b32 s7, s7, 5
	s_mov_b32 s9, 0
	s_waitcnt lgkmcnt(0)
	s_cmp_lt_i32 s11, 1
	s_cbranch_scc1 .LBB143_7
; %bb.1:
	v_lshl_add_u32 v2, v1, 4, v0
	v_lshrrev_b32_e32 v17, 5, v2
	v_lshrrev_b32_e32 v3, 3, v2
	v_and_b32_e32 v2, 31, v2
	s_load_dword s2, s[4:5], 0x18
	s_load_dwordx4 s[16:19], s[4:5], 0x20
	s_load_dword s22, s[4:5], 0x30
	s_load_dwordx2 s[20:21], s[4:5], 0x38
	v_and_b32_e32 v16, 7, v0
	v_or_b32_e32 v5, s6, v2
	v_cmp_gt_i32_e32 vcc, s10, v5
	v_lshlrev_b32_e32 v5, 3, v2
	v_lshlrev_b32_e32 v6, 3, v16
	v_add_u32_e32 v2, s6, v2
	v_add_u32_e32 v4, s7, v3
	v_lshl_or_b32 v18, v17, 8, v5
	v_lshl_or_b32 v5, v3, 6, v6
	s_waitcnt lgkmcnt(0)
	v_mad_i64_i32 v[2:3], s[2:3], s2, v2, 0
	s_mul_i32 s2, s17, s8
	s_mul_hi_u32 s3, s16, s8
	v_lshlrev_b64 v[2:3], 3, v[2:3]
	s_add_i32 s3, s3, s2
	s_mul_i32 s2, s16, s8
	s_lshl_b64 s[2:3], s[2:3], 3
	v_add_u32_e32 v19, 0x800, v5
	v_mov_b32_e32 v5, s3
	v_add_co_u32_e64 v2, s[2:3], s2, v2
	v_addc_co_u32_e64 v3, s[2:3], v3, v5, s[2:3]
	v_lshlrev_b32_e32 v5, 3, v17
	v_add_co_u32_e64 v2, s[2:3], v2, v5
	v_cmp_gt_i32_e64 s[0:1], s10, v4
	v_addc_co_u32_e64 v3, s[2:3], 0, v3, s[2:3]
	v_mad_i64_i32 v[4:5], s[2:3], s22, v4, 0
	v_mov_b32_e32 v7, s15
	v_add_co_u32_e64 v2, s[2:3], s14, v2
	v_addc_co_u32_e64 v3, s[2:3], v7, v3, s[2:3]
	s_mul_i32 s2, s21, s8
	s_mul_hi_u32 s3, s20, s8
	v_lshlrev_b64 v[4:5], 3, v[4:5]
	s_add_i32 s3, s3, s2
	s_mul_i32 s2, s20, s8
	s_lshl_b64 s[2:3], s[2:3], 3
	v_mov_b32_e32 v7, s3
	v_add_co_u32_e64 v4, s[2:3], s2, v4
	v_addc_co_u32_e64 v5, s[2:3], v5, v7, s[2:3]
	v_add_co_u32_e64 v4, s[2:3], v4, v6
	v_addc_co_u32_e64 v5, s[2:3], 0, v5, s[2:3]
	v_mov_b32_e32 v6, s19
	v_add_co_u32_e64 v4, s[2:3], s18, v4
	v_mov_b32_e32 v14, 0x800
	v_addc_co_u32_e64 v5, s[2:3], v6, v5, s[2:3]
	v_mov_b32_e32 v6, 0
	v_mov_b32_e32 v8, 0
	v_mov_b32_e32 v10, 0
	v_mov_b32_e32 v12, 0
	v_lshlrev_b32_e32 v20, 3, v0
	v_mov_b32_e32 v7, 0
	v_mov_b32_e32 v9, 0
	;; [unrolled: 1-line block ×4, first 2 shown]
	v_lshl_add_u32 v21, v1, 6, v14
	s_branch .LBB143_3
.LBB143_2:                              ;   in Loop: Header=BB143_3 Depth=1
	s_or_b64 exec, exec, s[2:3]
	s_waitcnt vmcnt(0)
	ds_write_b64 v19, v[14:15]
	s_waitcnt lgkmcnt(0)
	s_barrier
	ds_read2_b64 v[22:25], v20 offset1:16
	ds_read_b128 v[26:29], v21
	v_add_co_u32_e64 v2, s[2:3], 64, v2
	v_addc_co_u32_e64 v3, s[2:3], 0, v3, s[2:3]
	s_waitcnt lgkmcnt(0)
	v_fma_f64 v[14:15], v[22:23], v[26:27], v[12:13]
	v_fma_f64 v[26:27], v[24:25], v[26:27], v[10:11]
	ds_read_b128 v[10:13], v21 offset:1024
	s_add_i32 s9, s9, 8
	v_add_co_u32_e64 v4, s[2:3], 64, v4
	s_cmp_ge_i32 s9, s11
	s_waitcnt lgkmcnt(0)
	v_fma_f64 v[22:23], v[22:23], v[10:11], v[8:9]
	v_fma_f64 v[10:11], v[24:25], v[10:11], v[6:7]
	ds_read2_b64 v[6:9], v20 offset0:32 offset1:48
	v_addc_co_u32_e64 v5, s[2:3], 0, v5, s[2:3]
	s_waitcnt lgkmcnt(0)
	v_fma_f64 v[14:15], v[6:7], v[28:29], v[14:15]
	v_fma_f64 v[24:25], v[8:9], v[28:29], v[26:27]
	;; [unrolled: 1-line block ×4, first 2 shown]
	ds_read_b128 v[6:9], v21 offset:16
	ds_read2_b64 v[10:13], v20 offset0:64 offset1:80
	s_waitcnt lgkmcnt(0)
	v_fma_f64 v[14:15], v[10:11], v[6:7], v[14:15]
	v_fma_f64 v[6:7], v[12:13], v[6:7], v[24:25]
	ds_read_b128 v[22:25], v21 offset:1040
	s_waitcnt lgkmcnt(0)
	v_fma_f64 v[26:27], v[10:11], v[22:23], v[26:27]
	v_fma_f64 v[22:23], v[12:13], v[22:23], v[28:29]
	ds_read2_b64 v[10:13], v20 offset0:96 offset1:112
	s_waitcnt lgkmcnt(0)
	v_fma_f64 v[14:15], v[10:11], v[8:9], v[14:15]
	v_fma_f64 v[28:29], v[12:13], v[8:9], v[6:7]
	;; [unrolled: 1-line block ×4, first 2 shown]
	ds_read2_b64 v[6:9], v20 offset0:128 offset1:144
	ds_read_b128 v[10:13], v21 offset:32
	ds_read_b128 v[22:25], v21 offset:1056
	s_waitcnt lgkmcnt(1)
	v_fma_f64 v[14:15], v[6:7], v[10:11], v[14:15]
	v_fma_f64 v[10:11], v[8:9], v[10:11], v[28:29]
	s_waitcnt lgkmcnt(0)
	v_fma_f64 v[26:27], v[6:7], v[22:23], v[26:27]
	v_fma_f64 v[22:23], v[8:9], v[22:23], v[30:31]
	ds_read2_b64 v[6:9], v20 offset0:160 offset1:176
	s_waitcnt lgkmcnt(0)
	v_fma_f64 v[14:15], v[6:7], v[12:13], v[14:15]
	v_fma_f64 v[28:29], v[8:9], v[12:13], v[10:11]
	;; [unrolled: 1-line block ×4, first 2 shown]
	ds_read_b128 v[6:9], v21 offset:48
	ds_read2_b64 v[10:13], v20 offset0:192 offset1:208
	ds_read_b128 v[22:25], v21 offset:1072
	s_waitcnt lgkmcnt(1)
	v_fma_f64 v[14:15], v[10:11], v[6:7], v[14:15]
	v_fma_f64 v[6:7], v[12:13], v[6:7], v[28:29]
	s_waitcnt lgkmcnt(0)
	v_fma_f64 v[32:33], v[10:11], v[22:23], v[26:27]
	v_fma_f64 v[22:23], v[12:13], v[22:23], v[30:31]
	ds_read2_b64 v[26:29], v20 offset0:224 offset1:240
	s_waitcnt lgkmcnt(0)
	s_barrier
	v_fma_f64 v[12:13], v[26:27], v[8:9], v[14:15]
	v_fma_f64 v[10:11], v[28:29], v[8:9], v[6:7]
	;; [unrolled: 1-line block ×4, first 2 shown]
	s_cbranch_scc1 .LBB143_8
.LBB143_3:                              ; =>This Inner Loop Header: Depth=1
	v_add_u32_e32 v14, s9, v17
	v_cmp_gt_i32_e64 s[2:3], s11, v14
	v_mov_b32_e32 v14, 0
	v_mov_b32_e32 v15, 0
	s_and_b64 s[14:15], vcc, s[2:3]
	s_and_saveexec_b64 s[2:3], s[14:15]
	s_cbranch_execz .LBB143_5
; %bb.4:                                ;   in Loop: Header=BB143_3 Depth=1
	global_load_dwordx2 v[14:15], v[2:3], off
.LBB143_5:                              ;   in Loop: Header=BB143_3 Depth=1
	s_or_b64 exec, exec, s[2:3]
	s_waitcnt vmcnt(0)
	ds_write_b64 v18, v[14:15]
	v_add_u32_e32 v14, s9, v16
	v_cmp_gt_i32_e64 s[2:3], s11, v14
	v_mov_b32_e32 v14, 0
	v_mov_b32_e32 v15, 0
	s_and_b64 s[14:15], s[2:3], s[0:1]
	s_and_saveexec_b64 s[2:3], s[14:15]
	s_cbranch_execz .LBB143_2
; %bb.6:                                ;   in Loop: Header=BB143_3 Depth=1
	global_load_dwordx2 v[14:15], v[4:5], off
	s_branch .LBB143_2
.LBB143_7:
	v_mov_b32_e32 v12, 0
	v_mov_b32_e32 v10, 0
	;; [unrolled: 1-line block ×8, first 2 shown]
.LBB143_8:
	s_load_dwordx2 s[0:1], s[4:5], 0x58
	s_load_dwordx2 s[2:3], s[4:5], 0x48
	s_load_dword s9, s[4:5], 0x50
	v_add_u32_e32 v4, s7, v1
	v_add_u32_e32 v0, s6, v0
	s_waitcnt lgkmcnt(0)
	s_mul_i32 s1, s1, s8
	s_mul_hi_u32 s4, s0, s8
	v_mad_i64_i32 v[1:2], s[14:15], v4, s9, 0
	s_mul_i32 s0, s0, s8
	s_add_i32 s1, s4, s1
	s_lshl_b64 s[0:1], s[0:1], 3
	s_add_u32 s4, s2, s0
	v_lshlrev_b64 v[1:2], 3, v[1:2]
	s_addc_u32 s5, s3, s1
	v_mov_b32_e32 v3, s5
	v_add_co_u32_e64 v5, s[0:1], s4, v1
	v_addc_co_u32_e64 v14, s[0:1], v3, v2, s[0:1]
	v_cmp_gt_i32_e32 vcc, s10, v4
	v_cmp_le_i32_e64 s[0:1], v0, v4
	s_and_b64 s[0:1], vcc, s[0:1]
	s_and_saveexec_b64 s[2:3], s[0:1]
	s_cbranch_execz .LBB143_10
; %bb.9:
	v_mul_f64 v[2:3], s[12:13], v[12:13]
	v_ashrrev_i32_e32 v1, 31, v0
	v_lshlrev_b64 v[12:13], 3, v[0:1]
	v_add_co_u32_e64 v12, s[0:1], v5, v12
	v_addc_co_u32_e64 v13, s[0:1], v14, v13, s[0:1]
	global_store_dwordx2 v[12:13], v[2:3], off
.LBB143_10:
	s_or_b64 exec, exec, s[2:3]
	v_add_u32_e32 v2, 16, v0
	v_cmp_le_i32_e64 s[0:1], v2, v4
	s_and_b64 s[2:3], vcc, s[0:1]
	s_and_saveexec_b64 s[0:1], s[2:3]
	s_cbranch_execz .LBB143_12
; %bb.11:
	v_mul_f64 v[10:11], s[12:13], v[10:11]
	v_ashrrev_i32_e32 v3, 31, v2
	v_lshlrev_b64 v[12:13], 3, v[2:3]
	v_add_co_u32_e32 v12, vcc, v5, v12
	v_addc_co_u32_e32 v13, vcc, v14, v13, vcc
	global_store_dwordx2 v[12:13], v[10:11], off
.LBB143_12:
	s_or_b64 exec, exec, s[0:1]
	v_add_u32_e32 v3, 16, v4
	v_mad_i64_i32 v[4:5], s[0:1], v3, s9, 0
	v_mov_b32_e32 v1, s5
	v_cmp_gt_i32_e32 vcc, s10, v3
	v_lshlrev_b64 v[4:5], 3, v[4:5]
	v_add_co_u32_e64 v4, s[0:1], s4, v4
	v_addc_co_u32_e64 v5, s[0:1], v1, v5, s[0:1]
	v_cmp_le_i32_e64 s[0:1], v0, v3
	s_and_b64 s[0:1], vcc, s[0:1]
	s_and_saveexec_b64 s[2:3], s[0:1]
	s_cbranch_execz .LBB143_14
; %bb.13:
	v_mul_f64 v[8:9], s[12:13], v[8:9]
	v_ashrrev_i32_e32 v1, 31, v0
	v_lshlrev_b64 v[0:1], 3, v[0:1]
	v_add_co_u32_e64 v0, s[0:1], v4, v0
	v_addc_co_u32_e64 v1, s[0:1], v5, v1, s[0:1]
	global_store_dwordx2 v[0:1], v[8:9], off
.LBB143_14:
	s_or_b64 exec, exec, s[2:3]
	v_cmp_le_i32_e64 s[0:1], v2, v3
	s_and_b64 s[0:1], vcc, s[0:1]
	s_and_saveexec_b64 s[2:3], s[0:1]
	s_cbranch_execz .LBB143_16
; %bb.15:
	v_mul_f64 v[0:1], s[12:13], v[6:7]
	v_ashrrev_i32_e32 v3, 31, v2
	v_lshlrev_b64 v[2:3], 3, v[2:3]
	v_add_co_u32_e32 v2, vcc, v4, v2
	v_addc_co_u32_e32 v3, vcc, v5, v3, vcc
	global_store_dwordx2 v[2:3], v[0:1], off
.LBB143_16:
	s_endpgm
	.section	.rodata,"a",@progbits
	.p2align	6, 0x0
	.amdhsa_kernel _ZL34rocblas_syrkx_herkx_general_kernelIidLi16ELi32ELi8ELb1ELb0ELc67ELc85EKddEviT_T0_PT8_S1_lS4_S1_lS2_PT9_S1_li
		.amdhsa_group_segment_fixed_size 4096
		.amdhsa_private_segment_fixed_size 0
		.amdhsa_kernarg_size 100
		.amdhsa_user_sgpr_count 6
		.amdhsa_user_sgpr_private_segment_buffer 1
		.amdhsa_user_sgpr_dispatch_ptr 0
		.amdhsa_user_sgpr_queue_ptr 0
		.amdhsa_user_sgpr_kernarg_segment_ptr 1
		.amdhsa_user_sgpr_dispatch_id 0
		.amdhsa_user_sgpr_flat_scratch_init 0
		.amdhsa_user_sgpr_private_segment_size 0
		.amdhsa_uses_dynamic_stack 0
		.amdhsa_system_sgpr_private_segment_wavefront_offset 0
		.amdhsa_system_sgpr_workgroup_id_x 1
		.amdhsa_system_sgpr_workgroup_id_y 1
		.amdhsa_system_sgpr_workgroup_id_z 1
		.amdhsa_system_sgpr_workgroup_info 0
		.amdhsa_system_vgpr_workitem_id 1
		.amdhsa_next_free_vgpr 34
		.amdhsa_next_free_sgpr 23
		.amdhsa_reserve_vcc 1
		.amdhsa_reserve_flat_scratch 0
		.amdhsa_float_round_mode_32 0
		.amdhsa_float_round_mode_16_64 0
		.amdhsa_float_denorm_mode_32 3
		.amdhsa_float_denorm_mode_16_64 3
		.amdhsa_dx10_clamp 1
		.amdhsa_ieee_mode 1
		.amdhsa_fp16_overflow 0
		.amdhsa_exception_fp_ieee_invalid_op 0
		.amdhsa_exception_fp_denorm_src 0
		.amdhsa_exception_fp_ieee_div_zero 0
		.amdhsa_exception_fp_ieee_overflow 0
		.amdhsa_exception_fp_ieee_underflow 0
		.amdhsa_exception_fp_ieee_inexact 0
		.amdhsa_exception_int_div_zero 0
	.end_amdhsa_kernel
	.section	.text._ZL34rocblas_syrkx_herkx_general_kernelIidLi16ELi32ELi8ELb1ELb0ELc67ELc85EKddEviT_T0_PT8_S1_lS4_S1_lS2_PT9_S1_li,"axG",@progbits,_ZL34rocblas_syrkx_herkx_general_kernelIidLi16ELi32ELi8ELb1ELb0ELc67ELc85EKddEviT_T0_PT8_S1_lS4_S1_lS2_PT9_S1_li,comdat
.Lfunc_end143:
	.size	_ZL34rocblas_syrkx_herkx_general_kernelIidLi16ELi32ELi8ELb1ELb0ELc67ELc85EKddEviT_T0_PT8_S1_lS4_S1_lS2_PT9_S1_li, .Lfunc_end143-_ZL34rocblas_syrkx_herkx_general_kernelIidLi16ELi32ELi8ELb1ELb0ELc67ELc85EKddEviT_T0_PT8_S1_lS4_S1_lS2_PT9_S1_li
                                        ; -- End function
	.set _ZL34rocblas_syrkx_herkx_general_kernelIidLi16ELi32ELi8ELb1ELb0ELc67ELc85EKddEviT_T0_PT8_S1_lS4_S1_lS2_PT9_S1_li.num_vgpr, 34
	.set _ZL34rocblas_syrkx_herkx_general_kernelIidLi16ELi32ELi8ELb1ELb0ELc67ELc85EKddEviT_T0_PT8_S1_lS4_S1_lS2_PT9_S1_li.num_agpr, 0
	.set _ZL34rocblas_syrkx_herkx_general_kernelIidLi16ELi32ELi8ELb1ELb0ELc67ELc85EKddEviT_T0_PT8_S1_lS4_S1_lS2_PT9_S1_li.numbered_sgpr, 23
	.set _ZL34rocblas_syrkx_herkx_general_kernelIidLi16ELi32ELi8ELb1ELb0ELc67ELc85EKddEviT_T0_PT8_S1_lS4_S1_lS2_PT9_S1_li.num_named_barrier, 0
	.set _ZL34rocblas_syrkx_herkx_general_kernelIidLi16ELi32ELi8ELb1ELb0ELc67ELc85EKddEviT_T0_PT8_S1_lS4_S1_lS2_PT9_S1_li.private_seg_size, 0
	.set _ZL34rocblas_syrkx_herkx_general_kernelIidLi16ELi32ELi8ELb1ELb0ELc67ELc85EKddEviT_T0_PT8_S1_lS4_S1_lS2_PT9_S1_li.uses_vcc, 1
	.set _ZL34rocblas_syrkx_herkx_general_kernelIidLi16ELi32ELi8ELb1ELb0ELc67ELc85EKddEviT_T0_PT8_S1_lS4_S1_lS2_PT9_S1_li.uses_flat_scratch, 0
	.set _ZL34rocblas_syrkx_herkx_general_kernelIidLi16ELi32ELi8ELb1ELb0ELc67ELc85EKddEviT_T0_PT8_S1_lS4_S1_lS2_PT9_S1_li.has_dyn_sized_stack, 0
	.set _ZL34rocblas_syrkx_herkx_general_kernelIidLi16ELi32ELi8ELb1ELb0ELc67ELc85EKddEviT_T0_PT8_S1_lS4_S1_lS2_PT9_S1_li.has_recursion, 0
	.set _ZL34rocblas_syrkx_herkx_general_kernelIidLi16ELi32ELi8ELb1ELb0ELc67ELc85EKddEviT_T0_PT8_S1_lS4_S1_lS2_PT9_S1_li.has_indirect_call, 0
	.section	.AMDGPU.csdata,"",@progbits
; Kernel info:
; codeLenInByte = 1444
; TotalNumSgprs: 27
; NumVgprs: 34
; ScratchSize: 0
; MemoryBound: 0
; FloatMode: 240
; IeeeMode: 1
; LDSByteSize: 4096 bytes/workgroup (compile time only)
; SGPRBlocks: 3
; VGPRBlocks: 8
; NumSGPRsForWavesPerEU: 27
; NumVGPRsForWavesPerEU: 34
; Occupancy: 7
; WaveLimiterHint : 0
; COMPUTE_PGM_RSRC2:SCRATCH_EN: 0
; COMPUTE_PGM_RSRC2:USER_SGPR: 6
; COMPUTE_PGM_RSRC2:TRAP_HANDLER: 0
; COMPUTE_PGM_RSRC2:TGID_X_EN: 1
; COMPUTE_PGM_RSRC2:TGID_Y_EN: 1
; COMPUTE_PGM_RSRC2:TGID_Z_EN: 1
; COMPUTE_PGM_RSRC2:TIDIG_COMP_CNT: 1
	.section	.text._ZL34rocblas_syrkx_herkx_general_kernelIidLi16ELi32ELi8ELb1ELb0ELc78ELc85EKddEviT_T0_PT8_S1_lS4_S1_lS2_PT9_S1_li,"axG",@progbits,_ZL34rocblas_syrkx_herkx_general_kernelIidLi16ELi32ELi8ELb1ELb0ELc78ELc85EKddEviT_T0_PT8_S1_lS4_S1_lS2_PT9_S1_li,comdat
	.globl	_ZL34rocblas_syrkx_herkx_general_kernelIidLi16ELi32ELi8ELb1ELb0ELc78ELc85EKddEviT_T0_PT8_S1_lS4_S1_lS2_PT9_S1_li ; -- Begin function _ZL34rocblas_syrkx_herkx_general_kernelIidLi16ELi32ELi8ELb1ELb0ELc78ELc85EKddEviT_T0_PT8_S1_lS4_S1_lS2_PT9_S1_li
	.p2align	8
	.type	_ZL34rocblas_syrkx_herkx_general_kernelIidLi16ELi32ELi8ELb1ELb0ELc78ELc85EKddEviT_T0_PT8_S1_lS4_S1_lS2_PT9_S1_li,@function
_ZL34rocblas_syrkx_herkx_general_kernelIidLi16ELi32ELi8ELb1ELb0ELc78ELc85EKddEviT_T0_PT8_S1_lS4_S1_lS2_PT9_S1_li: ; @_ZL34rocblas_syrkx_herkx_general_kernelIidLi16ELi32ELi8ELb1ELb0ELc78ELc85EKddEviT_T0_PT8_S1_lS4_S1_lS2_PT9_S1_li
; %bb.0:
	s_load_dwordx2 s[10:11], s[4:5], 0x0
	s_load_dwordx4 s[12:15], s[4:5], 0x8
	s_lshl_b32 s9, s6, 5
	s_lshl_b32 s20, s7, 5
	s_mov_b32 s21, 0
	s_waitcnt lgkmcnt(0)
	s_cmp_lt_i32 s11, 1
	s_cbranch_scc1 .LBB144_7
; %bb.1:
	v_lshl_add_u32 v2, v1, 4, v0
	v_and_b32_e32 v6, 31, v2
	v_lshrrev_b32_e32 v17, 5, v2
	v_lshrrev_b32_e32 v3, 3, v2
	v_or_b32_e32 v2, s9, v6
	v_and_b32_e32 v16, 7, v0
	v_cmp_gt_i32_e32 vcc, s10, v2
	v_lshlrev_b32_e32 v2, 3, v6
	s_load_dword s6, s[4:5], 0x18
	s_load_dword s22, s[4:5], 0x30
	s_load_dwordx2 s[24:25], s[4:5], 0x38
	s_load_dwordx4 s[16:19], s[4:5], 0x20
	v_lshl_or_b32 v18, v17, 8, v2
	v_lshlrev_b32_e32 v2, 3, v16
	v_lshl_or_b32 v2, v3, 6, v2
	v_add_u32_e32 v4, s20, v3
	v_add_u32_e32 v19, 0x800, v2
	s_waitcnt lgkmcnt(0)
	v_mad_i64_i32 v[2:3], s[2:3], v17, s6, 0
	s_mul_i32 s2, s17, s8
	s_mul_hi_u32 s3, s16, s8
	v_lshlrev_b64 v[2:3], 3, v[2:3]
	s_add_i32 s3, s3, s2
	s_mul_i32 s2, s16, s8
	v_mov_b32_e32 v7, 0x800
	s_lshl_b64 s[2:3], s[2:3], 3
	v_lshl_add_u32 v21, v1, 6, v7
	v_mov_b32_e32 v7, s3
	v_add_co_u32_e64 v8, s[2:3], s2, v2
	v_add_u32_e32 v2, s9, v6
	v_addc_co_u32_e64 v7, s[2:3], v3, v7, s[2:3]
	v_ashrrev_i32_e32 v3, 31, v2
	v_lshlrev_b64 v[2:3], 3, v[2:3]
	v_mov_b32_e32 v6, s15
	v_add_co_u32_e64 v2, s[2:3], v8, v2
	v_addc_co_u32_e64 v3, s[2:3], v7, v3, s[2:3]
	v_add_co_u32_e64 v2, s[2:3], s14, v2
	v_addc_co_u32_e64 v3, s[2:3], v6, v3, s[2:3]
	v_mad_i64_i32 v[6:7], s[2:3], s22, v16, 0
	s_mul_i32 s14, s25, s8
	s_mul_hi_u32 s15, s24, s8
	s_add_i32 s3, s15, s14
	s_mul_i32 s2, s24, s8
	v_lshlrev_b64 v[6:7], 3, v[6:7]
	v_ashrrev_i32_e32 v5, 31, v4
	s_lshl_b64 s[2:3], s[2:3], 3
	v_cmp_gt_i32_e64 s[0:1], s10, v4
	v_mov_b32_e32 v8, s3
	v_add_co_u32_e64 v6, s[2:3], s2, v6
	v_lshlrev_b64 v[4:5], 3, v[4:5]
	v_addc_co_u32_e64 v7, s[2:3], v8, v7, s[2:3]
	v_add_co_u32_e64 v4, s[2:3], v6, v4
	v_addc_co_u32_e64 v5, s[2:3], v7, v5, s[2:3]
	s_ashr_i32 s7, s6, 31
	s_ashr_i32 s23, s22, 31
	v_mov_b32_e32 v6, s19
	v_add_co_u32_e64 v4, s[2:3], s18, v4
	s_lshl_b64 s[6:7], s[6:7], 6
	v_addc_co_u32_e64 v5, s[2:3], v6, v5, s[2:3]
	s_lshl_b64 s[14:15], s[22:23], 6
	v_mov_b32_e32 v6, 0
	v_mov_b32_e32 v8, 0
	;; [unrolled: 1-line block ×4, first 2 shown]
	v_lshlrev_b32_e32 v20, 3, v0
	v_mov_b32_e32 v7, 0
	v_mov_b32_e32 v22, s7
	;; [unrolled: 1-line block ×6, first 2 shown]
	s_branch .LBB144_3
.LBB144_2:                              ;   in Loop: Header=BB144_3 Depth=1
	s_or_b64 exec, exec, s[2:3]
	s_waitcnt vmcnt(0)
	ds_write_b64 v19, v[14:15]
	s_waitcnt lgkmcnt(0)
	s_barrier
	ds_read2_b64 v[24:27], v20 offset1:16
	ds_read_b128 v[28:31], v21
	ds_read_b128 v[32:35], v21 offset:1024
	v_add_co_u32_e64 v2, s[2:3], s6, v2
	v_addc_co_u32_e64 v3, s[2:3], v3, v22, s[2:3]
	s_waitcnt lgkmcnt(1)
	v_fma_f64 v[12:13], v[24:25], v[28:29], v[12:13]
	v_fma_f64 v[10:11], v[26:27], v[28:29], v[10:11]
	s_waitcnt lgkmcnt(0)
	v_fma_f64 v[14:15], v[24:25], v[32:33], v[8:9]
	v_fma_f64 v[24:25], v[26:27], v[32:33], v[6:7]
	ds_read2_b64 v[6:9], v20 offset0:32 offset1:48
	s_add_i32 s21, s21, 8
	v_add_co_u32_e64 v4, s[2:3], s14, v4
	s_cmp_ge_i32 s21, s11
	s_waitcnt lgkmcnt(0)
	v_fma_f64 v[28:29], v[6:7], v[30:31], v[12:13]
	v_fma_f64 v[30:31], v[8:9], v[30:31], v[10:11]
	;; [unrolled: 1-line block ×4, first 2 shown]
	ds_read_b128 v[10:13], v21 offset:16
	ds_read2_b64 v[6:9], v20 offset0:64 offset1:80
	ds_read_b128 v[24:27], v21 offset:1040
	v_addc_co_u32_e64 v5, s[2:3], v5, v23, s[2:3]
	s_waitcnt lgkmcnt(1)
	v_fma_f64 v[28:29], v[6:7], v[10:11], v[28:29]
	v_fma_f64 v[10:11], v[8:9], v[10:11], v[30:31]
	s_waitcnt lgkmcnt(0)
	v_fma_f64 v[14:15], v[6:7], v[24:25], v[14:15]
	v_fma_f64 v[24:25], v[8:9], v[24:25], v[32:33]
	ds_read2_b64 v[6:9], v20 offset0:96 offset1:112
	s_waitcnt lgkmcnt(0)
	v_fma_f64 v[28:29], v[6:7], v[12:13], v[28:29]
	v_fma_f64 v[30:31], v[8:9], v[12:13], v[10:11]
	;; [unrolled: 1-line block ×4, first 2 shown]
	ds_read2_b64 v[10:13], v20 offset0:128 offset1:144
	ds_read_b128 v[6:9], v21 offset:32
	ds_read_b128 v[24:27], v21 offset:1056
	s_waitcnt lgkmcnt(1)
	v_fma_f64 v[28:29], v[10:11], v[6:7], v[28:29]
	v_fma_f64 v[6:7], v[12:13], v[6:7], v[30:31]
	s_waitcnt lgkmcnt(0)
	v_fma_f64 v[14:15], v[10:11], v[24:25], v[14:15]
	v_fma_f64 v[24:25], v[12:13], v[24:25], v[32:33]
	ds_read2_b64 v[10:13], v20 offset0:160 offset1:176
	s_waitcnt lgkmcnt(0)
	v_fma_f64 v[28:29], v[10:11], v[8:9], v[28:29]
	v_fma_f64 v[30:31], v[12:13], v[8:9], v[6:7]
	v_fma_f64 v[14:15], v[10:11], v[26:27], v[14:15]
	v_fma_f64 v[32:33], v[12:13], v[26:27], v[24:25]
	ds_read_b128 v[6:9], v21 offset:48
	ds_read2_b64 v[10:13], v20 offset0:192 offset1:208
	ds_read_b128 v[24:27], v21 offset:1072
	s_waitcnt lgkmcnt(1)
	v_fma_f64 v[34:35], v[10:11], v[6:7], v[28:29]
	v_fma_f64 v[6:7], v[12:13], v[6:7], v[30:31]
	s_waitcnt lgkmcnt(0)
	v_fma_f64 v[14:15], v[10:11], v[24:25], v[14:15]
	v_fma_f64 v[24:25], v[12:13], v[24:25], v[32:33]
	ds_read2_b64 v[28:31], v20 offset0:224 offset1:240
	s_waitcnt lgkmcnt(0)
	s_barrier
	v_fma_f64 v[12:13], v[28:29], v[8:9], v[34:35]
	v_fma_f64 v[10:11], v[30:31], v[8:9], v[6:7]
	;; [unrolled: 1-line block ×4, first 2 shown]
	s_cbranch_scc1 .LBB144_8
.LBB144_3:                              ; =>This Inner Loop Header: Depth=1
	v_add_u32_e32 v14, s21, v17
	v_cmp_gt_i32_e64 s[2:3], s11, v14
	v_mov_b32_e32 v14, 0
	v_mov_b32_e32 v15, 0
	s_and_b64 s[16:17], vcc, s[2:3]
	s_and_saveexec_b64 s[2:3], s[16:17]
	s_cbranch_execz .LBB144_5
; %bb.4:                                ;   in Loop: Header=BB144_3 Depth=1
	global_load_dwordx2 v[14:15], v[2:3], off
.LBB144_5:                              ;   in Loop: Header=BB144_3 Depth=1
	s_or_b64 exec, exec, s[2:3]
	s_waitcnt vmcnt(0)
	ds_write_b64 v18, v[14:15]
	v_add_u32_e32 v14, s21, v16
	v_cmp_gt_i32_e64 s[2:3], s11, v14
	v_mov_b32_e32 v14, 0
	v_mov_b32_e32 v15, 0
	s_and_b64 s[16:17], s[2:3], s[0:1]
	s_and_saveexec_b64 s[2:3], s[16:17]
	s_cbranch_execz .LBB144_2
; %bb.6:                                ;   in Loop: Header=BB144_3 Depth=1
	global_load_dwordx2 v[14:15], v[4:5], off
	s_branch .LBB144_2
.LBB144_7:
	v_mov_b32_e32 v12, 0
	v_mov_b32_e32 v10, 0
	;; [unrolled: 1-line block ×8, first 2 shown]
.LBB144_8:
	s_load_dwordx2 s[0:1], s[4:5], 0x58
	s_load_dwordx2 s[2:3], s[4:5], 0x48
	s_load_dword s6, s[4:5], 0x50
	v_add_u32_e32 v4, s20, v1
	v_add_u32_e32 v0, s9, v0
	s_waitcnt lgkmcnt(0)
	s_mul_i32 s1, s1, s8
	s_mul_hi_u32 s4, s0, s8
	v_mad_i64_i32 v[1:2], s[14:15], v4, s6, 0
	s_mul_i32 s0, s0, s8
	s_add_i32 s1, s4, s1
	s_lshl_b64 s[0:1], s[0:1], 3
	s_add_u32 s4, s2, s0
	v_lshlrev_b64 v[1:2], 3, v[1:2]
	s_addc_u32 s5, s3, s1
	v_mov_b32_e32 v3, s5
	v_add_co_u32_e64 v5, s[0:1], s4, v1
	v_addc_co_u32_e64 v14, s[0:1], v3, v2, s[0:1]
	v_cmp_gt_i32_e32 vcc, s10, v4
	v_cmp_le_i32_e64 s[0:1], v0, v4
	s_and_b64 s[0:1], vcc, s[0:1]
	s_and_saveexec_b64 s[2:3], s[0:1]
	s_cbranch_execz .LBB144_10
; %bb.9:
	v_mul_f64 v[2:3], s[12:13], v[12:13]
	v_ashrrev_i32_e32 v1, 31, v0
	v_lshlrev_b64 v[12:13], 3, v[0:1]
	v_add_co_u32_e64 v12, s[0:1], v5, v12
	v_addc_co_u32_e64 v13, s[0:1], v14, v13, s[0:1]
	global_store_dwordx2 v[12:13], v[2:3], off
.LBB144_10:
	s_or_b64 exec, exec, s[2:3]
	v_add_u32_e32 v2, 16, v0
	v_cmp_le_i32_e64 s[0:1], v2, v4
	s_and_b64 s[2:3], vcc, s[0:1]
	s_and_saveexec_b64 s[0:1], s[2:3]
	s_cbranch_execz .LBB144_12
; %bb.11:
	v_mul_f64 v[10:11], s[12:13], v[10:11]
	v_ashrrev_i32_e32 v3, 31, v2
	v_lshlrev_b64 v[12:13], 3, v[2:3]
	v_add_co_u32_e32 v12, vcc, v5, v12
	v_addc_co_u32_e32 v13, vcc, v14, v13, vcc
	global_store_dwordx2 v[12:13], v[10:11], off
.LBB144_12:
	s_or_b64 exec, exec, s[0:1]
	v_add_u32_e32 v3, 16, v4
	v_mad_i64_i32 v[4:5], s[0:1], v3, s6, 0
	v_mov_b32_e32 v1, s5
	v_cmp_gt_i32_e32 vcc, s10, v3
	v_lshlrev_b64 v[4:5], 3, v[4:5]
	v_add_co_u32_e64 v4, s[0:1], s4, v4
	v_addc_co_u32_e64 v5, s[0:1], v1, v5, s[0:1]
	v_cmp_le_i32_e64 s[0:1], v0, v3
	s_and_b64 s[0:1], vcc, s[0:1]
	s_and_saveexec_b64 s[2:3], s[0:1]
	s_cbranch_execz .LBB144_14
; %bb.13:
	v_mul_f64 v[8:9], s[12:13], v[8:9]
	v_ashrrev_i32_e32 v1, 31, v0
	v_lshlrev_b64 v[0:1], 3, v[0:1]
	v_add_co_u32_e64 v0, s[0:1], v4, v0
	v_addc_co_u32_e64 v1, s[0:1], v5, v1, s[0:1]
	global_store_dwordx2 v[0:1], v[8:9], off
.LBB144_14:
	s_or_b64 exec, exec, s[2:3]
	v_cmp_le_i32_e64 s[0:1], v2, v3
	s_and_b64 s[0:1], vcc, s[0:1]
	s_and_saveexec_b64 s[2:3], s[0:1]
	s_cbranch_execz .LBB144_16
; %bb.15:
	v_mul_f64 v[0:1], s[12:13], v[6:7]
	v_ashrrev_i32_e32 v3, 31, v2
	v_lshlrev_b64 v[2:3], 3, v[2:3]
	v_add_co_u32_e32 v2, vcc, v4, v2
	v_addc_co_u32_e32 v3, vcc, v5, v3, vcc
	global_store_dwordx2 v[2:3], v[0:1], off
.LBB144_16:
	s_endpgm
	.section	.rodata,"a",@progbits
	.p2align	6, 0x0
	.amdhsa_kernel _ZL34rocblas_syrkx_herkx_general_kernelIidLi16ELi32ELi8ELb1ELb0ELc78ELc85EKddEviT_T0_PT8_S1_lS4_S1_lS2_PT9_S1_li
		.amdhsa_group_segment_fixed_size 4096
		.amdhsa_private_segment_fixed_size 0
		.amdhsa_kernarg_size 100
		.amdhsa_user_sgpr_count 6
		.amdhsa_user_sgpr_private_segment_buffer 1
		.amdhsa_user_sgpr_dispatch_ptr 0
		.amdhsa_user_sgpr_queue_ptr 0
		.amdhsa_user_sgpr_kernarg_segment_ptr 1
		.amdhsa_user_sgpr_dispatch_id 0
		.amdhsa_user_sgpr_flat_scratch_init 0
		.amdhsa_user_sgpr_private_segment_size 0
		.amdhsa_uses_dynamic_stack 0
		.amdhsa_system_sgpr_private_segment_wavefront_offset 0
		.amdhsa_system_sgpr_workgroup_id_x 1
		.amdhsa_system_sgpr_workgroup_id_y 1
		.amdhsa_system_sgpr_workgroup_id_z 1
		.amdhsa_system_sgpr_workgroup_info 0
		.amdhsa_system_vgpr_workitem_id 1
		.amdhsa_next_free_vgpr 36
		.amdhsa_next_free_sgpr 26
		.amdhsa_reserve_vcc 1
		.amdhsa_reserve_flat_scratch 0
		.amdhsa_float_round_mode_32 0
		.amdhsa_float_round_mode_16_64 0
		.amdhsa_float_denorm_mode_32 3
		.amdhsa_float_denorm_mode_16_64 3
		.amdhsa_dx10_clamp 1
		.amdhsa_ieee_mode 1
		.amdhsa_fp16_overflow 0
		.amdhsa_exception_fp_ieee_invalid_op 0
		.amdhsa_exception_fp_denorm_src 0
		.amdhsa_exception_fp_ieee_div_zero 0
		.amdhsa_exception_fp_ieee_overflow 0
		.amdhsa_exception_fp_ieee_underflow 0
		.amdhsa_exception_fp_ieee_inexact 0
		.amdhsa_exception_int_div_zero 0
	.end_amdhsa_kernel
	.section	.text._ZL34rocblas_syrkx_herkx_general_kernelIidLi16ELi32ELi8ELb1ELb0ELc78ELc85EKddEviT_T0_PT8_S1_lS4_S1_lS2_PT9_S1_li,"axG",@progbits,_ZL34rocblas_syrkx_herkx_general_kernelIidLi16ELi32ELi8ELb1ELb0ELc78ELc85EKddEviT_T0_PT8_S1_lS4_S1_lS2_PT9_S1_li,comdat
.Lfunc_end144:
	.size	_ZL34rocblas_syrkx_herkx_general_kernelIidLi16ELi32ELi8ELb1ELb0ELc78ELc85EKddEviT_T0_PT8_S1_lS4_S1_lS2_PT9_S1_li, .Lfunc_end144-_ZL34rocblas_syrkx_herkx_general_kernelIidLi16ELi32ELi8ELb1ELb0ELc78ELc85EKddEviT_T0_PT8_S1_lS4_S1_lS2_PT9_S1_li
                                        ; -- End function
	.set _ZL34rocblas_syrkx_herkx_general_kernelIidLi16ELi32ELi8ELb1ELb0ELc78ELc85EKddEviT_T0_PT8_S1_lS4_S1_lS2_PT9_S1_li.num_vgpr, 36
	.set _ZL34rocblas_syrkx_herkx_general_kernelIidLi16ELi32ELi8ELb1ELb0ELc78ELc85EKddEviT_T0_PT8_S1_lS4_S1_lS2_PT9_S1_li.num_agpr, 0
	.set _ZL34rocblas_syrkx_herkx_general_kernelIidLi16ELi32ELi8ELb1ELb0ELc78ELc85EKddEviT_T0_PT8_S1_lS4_S1_lS2_PT9_S1_li.numbered_sgpr, 26
	.set _ZL34rocblas_syrkx_herkx_general_kernelIidLi16ELi32ELi8ELb1ELb0ELc78ELc85EKddEviT_T0_PT8_S1_lS4_S1_lS2_PT9_S1_li.num_named_barrier, 0
	.set _ZL34rocblas_syrkx_herkx_general_kernelIidLi16ELi32ELi8ELb1ELb0ELc78ELc85EKddEviT_T0_PT8_S1_lS4_S1_lS2_PT9_S1_li.private_seg_size, 0
	.set _ZL34rocblas_syrkx_herkx_general_kernelIidLi16ELi32ELi8ELb1ELb0ELc78ELc85EKddEviT_T0_PT8_S1_lS4_S1_lS2_PT9_S1_li.uses_vcc, 1
	.set _ZL34rocblas_syrkx_herkx_general_kernelIidLi16ELi32ELi8ELb1ELb0ELc78ELc85EKddEviT_T0_PT8_S1_lS4_S1_lS2_PT9_S1_li.uses_flat_scratch, 0
	.set _ZL34rocblas_syrkx_herkx_general_kernelIidLi16ELi32ELi8ELb1ELb0ELc78ELc85EKddEviT_T0_PT8_S1_lS4_S1_lS2_PT9_S1_li.has_dyn_sized_stack, 0
	.set _ZL34rocblas_syrkx_herkx_general_kernelIidLi16ELi32ELi8ELb1ELb0ELc78ELc85EKddEviT_T0_PT8_S1_lS4_S1_lS2_PT9_S1_li.has_recursion, 0
	.set _ZL34rocblas_syrkx_herkx_general_kernelIidLi16ELi32ELi8ELb1ELb0ELc78ELc85EKddEviT_T0_PT8_S1_lS4_S1_lS2_PT9_S1_li.has_indirect_call, 0
	.section	.AMDGPU.csdata,"",@progbits
; Kernel info:
; codeLenInByte = 1488
; TotalNumSgprs: 30
; NumVgprs: 36
; ScratchSize: 0
; MemoryBound: 0
; FloatMode: 240
; IeeeMode: 1
; LDSByteSize: 4096 bytes/workgroup (compile time only)
; SGPRBlocks: 3
; VGPRBlocks: 8
; NumSGPRsForWavesPerEU: 30
; NumVGPRsForWavesPerEU: 36
; Occupancy: 7
; WaveLimiterHint : 0
; COMPUTE_PGM_RSRC2:SCRATCH_EN: 0
; COMPUTE_PGM_RSRC2:USER_SGPR: 6
; COMPUTE_PGM_RSRC2:TRAP_HANDLER: 0
; COMPUTE_PGM_RSRC2:TGID_X_EN: 1
; COMPUTE_PGM_RSRC2:TGID_Y_EN: 1
; COMPUTE_PGM_RSRC2:TGID_Z_EN: 1
; COMPUTE_PGM_RSRC2:TIDIG_COMP_CNT: 1
	.section	.text._ZL34rocblas_syrkx_herkx_general_kernelIidLi16ELi32ELi8ELb0ELb0ELc84ELc76EKddEviT_T0_PT8_S1_lS4_S1_lS2_PT9_S1_li,"axG",@progbits,_ZL34rocblas_syrkx_herkx_general_kernelIidLi16ELi32ELi8ELb0ELb0ELc84ELc76EKddEviT_T0_PT8_S1_lS4_S1_lS2_PT9_S1_li,comdat
	.globl	_ZL34rocblas_syrkx_herkx_general_kernelIidLi16ELi32ELi8ELb0ELb0ELc84ELc76EKddEviT_T0_PT8_S1_lS4_S1_lS2_PT9_S1_li ; -- Begin function _ZL34rocblas_syrkx_herkx_general_kernelIidLi16ELi32ELi8ELb0ELb0ELc84ELc76EKddEviT_T0_PT8_S1_lS4_S1_lS2_PT9_S1_li
	.p2align	8
	.type	_ZL34rocblas_syrkx_herkx_general_kernelIidLi16ELi32ELi8ELb0ELb0ELc84ELc76EKddEviT_T0_PT8_S1_lS4_S1_lS2_PT9_S1_li,@function
_ZL34rocblas_syrkx_herkx_general_kernelIidLi16ELi32ELi8ELb0ELb0ELc84ELc76EKddEviT_T0_PT8_S1_lS4_S1_lS2_PT9_S1_li: ; @_ZL34rocblas_syrkx_herkx_general_kernelIidLi16ELi32ELi8ELb0ELb0ELc84ELc76EKddEviT_T0_PT8_S1_lS4_S1_lS2_PT9_S1_li
; %bb.0:
	s_load_dwordx2 s[10:11], s[4:5], 0x0
	s_load_dwordx4 s[12:15], s[4:5], 0x8
	s_load_dwordx4 s[16:19], s[4:5], 0x38
	s_load_dwordx2 s[24:25], s[4:5], 0x48
	s_lshl_b32 s6, s6, 5
	s_lshl_b32 s7, s7, 5
	s_waitcnt lgkmcnt(0)
	s_cmp_lt_i32 s11, 1
	s_mov_b32 s9, 0
	s_cbranch_scc1 .LBB145_7
; %bb.1:
	v_lshl_add_u32 v2, v1, 4, v0
	s_load_dword s2, s[4:5], 0x18
	s_load_dwordx4 s[20:23], s[4:5], 0x20
	s_load_dword s26, s[4:5], 0x30
	v_lshrrev_b32_e32 v17, 5, v2
	v_lshrrev_b32_e32 v3, 3, v2
	v_and_b32_e32 v2, 31, v2
	v_and_b32_e32 v16, 7, v0
	v_or_b32_e32 v5, s6, v2
	v_cmp_gt_i32_e32 vcc, s10, v5
	v_lshlrev_b32_e32 v5, 3, v2
	v_lshlrev_b32_e32 v6, 3, v16
	v_add_u32_e32 v2, s6, v2
	v_add_u32_e32 v4, s7, v3
	v_lshl_or_b32 v18, v17, 8, v5
	v_lshl_or_b32 v5, v3, 6, v6
	s_waitcnt lgkmcnt(0)
	v_mad_i64_i32 v[2:3], s[2:3], s2, v2, 0
	s_mul_i32 s2, s21, s8
	s_mul_hi_u32 s3, s20, s8
	v_lshlrev_b64 v[2:3], 3, v[2:3]
	s_add_i32 s3, s3, s2
	s_mul_i32 s2, s20, s8
	s_lshl_b64 s[2:3], s[2:3], 3
	v_add_u32_e32 v19, 0x800, v5
	v_mov_b32_e32 v5, s3
	v_add_co_u32_e64 v2, s[2:3], s2, v2
	v_addc_co_u32_e64 v3, s[2:3], v3, v5, s[2:3]
	v_lshlrev_b32_e32 v5, 3, v17
	v_add_co_u32_e64 v2, s[2:3], v2, v5
	v_cmp_gt_i32_e64 s[0:1], s10, v4
	v_addc_co_u32_e64 v3, s[2:3], 0, v3, s[2:3]
	v_mad_i64_i32 v[4:5], s[2:3], s26, v4, 0
	v_mov_b32_e32 v7, s15
	v_add_co_u32_e64 v2, s[2:3], s14, v2
	v_addc_co_u32_e64 v3, s[2:3], v7, v3, s[2:3]
	s_mul_i32 s2, s17, s8
	s_mul_hi_u32 s3, s16, s8
	v_lshlrev_b64 v[4:5], 3, v[4:5]
	s_add_i32 s3, s3, s2
	s_mul_i32 s2, s16, s8
	s_lshl_b64 s[2:3], s[2:3], 3
	v_mov_b32_e32 v7, s3
	v_add_co_u32_e64 v4, s[2:3], s2, v4
	v_addc_co_u32_e64 v5, s[2:3], v5, v7, s[2:3]
	v_add_co_u32_e64 v4, s[2:3], v4, v6
	v_addc_co_u32_e64 v5, s[2:3], 0, v5, s[2:3]
	v_mov_b32_e32 v6, s23
	v_add_co_u32_e64 v4, s[2:3], s22, v4
	v_mov_b32_e32 v14, 0x800
	v_addc_co_u32_e64 v5, s[2:3], v6, v5, s[2:3]
	v_mov_b32_e32 v6, 0
	v_mov_b32_e32 v8, 0
	v_mov_b32_e32 v10, 0
	v_mov_b32_e32 v12, 0
	v_lshlrev_b32_e32 v20, 3, v0
	v_mov_b32_e32 v7, 0
	v_mov_b32_e32 v9, 0
	v_mov_b32_e32 v11, 0
	v_mov_b32_e32 v13, 0
	v_lshl_add_u32 v21, v1, 6, v14
	s_branch .LBB145_3
.LBB145_2:                              ;   in Loop: Header=BB145_3 Depth=1
	s_or_b64 exec, exec, s[2:3]
	s_waitcnt vmcnt(0)
	ds_write_b64 v19, v[14:15]
	s_waitcnt lgkmcnt(0)
	s_barrier
	ds_read2_b64 v[22:25], v20 offset1:16
	ds_read_b128 v[26:29], v21
	v_add_co_u32_e64 v2, s[2:3], 64, v2
	v_addc_co_u32_e64 v3, s[2:3], 0, v3, s[2:3]
	s_waitcnt lgkmcnt(0)
	v_fma_f64 v[14:15], v[22:23], v[26:27], v[12:13]
	v_fma_f64 v[26:27], v[24:25], v[26:27], v[10:11]
	ds_read_b128 v[10:13], v21 offset:1024
	s_add_i32 s9, s9, 8
	v_add_co_u32_e64 v4, s[2:3], 64, v4
	s_cmp_ge_i32 s9, s11
	s_waitcnt lgkmcnt(0)
	v_fma_f64 v[22:23], v[22:23], v[10:11], v[8:9]
	v_fma_f64 v[10:11], v[24:25], v[10:11], v[6:7]
	ds_read2_b64 v[6:9], v20 offset0:32 offset1:48
	v_addc_co_u32_e64 v5, s[2:3], 0, v5, s[2:3]
	s_waitcnt lgkmcnt(0)
	v_fma_f64 v[14:15], v[6:7], v[28:29], v[14:15]
	v_fma_f64 v[24:25], v[8:9], v[28:29], v[26:27]
	;; [unrolled: 1-line block ×4, first 2 shown]
	ds_read_b128 v[6:9], v21 offset:16
	ds_read2_b64 v[10:13], v20 offset0:64 offset1:80
	s_waitcnt lgkmcnt(0)
	v_fma_f64 v[14:15], v[10:11], v[6:7], v[14:15]
	v_fma_f64 v[6:7], v[12:13], v[6:7], v[24:25]
	ds_read_b128 v[22:25], v21 offset:1040
	s_waitcnt lgkmcnt(0)
	v_fma_f64 v[26:27], v[10:11], v[22:23], v[26:27]
	v_fma_f64 v[22:23], v[12:13], v[22:23], v[28:29]
	ds_read2_b64 v[10:13], v20 offset0:96 offset1:112
	s_waitcnt lgkmcnt(0)
	v_fma_f64 v[14:15], v[10:11], v[8:9], v[14:15]
	v_fma_f64 v[28:29], v[12:13], v[8:9], v[6:7]
	;; [unrolled: 1-line block ×4, first 2 shown]
	ds_read2_b64 v[6:9], v20 offset0:128 offset1:144
	ds_read_b128 v[10:13], v21 offset:32
	ds_read_b128 v[22:25], v21 offset:1056
	s_waitcnt lgkmcnt(1)
	v_fma_f64 v[14:15], v[6:7], v[10:11], v[14:15]
	v_fma_f64 v[10:11], v[8:9], v[10:11], v[28:29]
	s_waitcnt lgkmcnt(0)
	v_fma_f64 v[26:27], v[6:7], v[22:23], v[26:27]
	v_fma_f64 v[22:23], v[8:9], v[22:23], v[30:31]
	ds_read2_b64 v[6:9], v20 offset0:160 offset1:176
	s_waitcnt lgkmcnt(0)
	v_fma_f64 v[14:15], v[6:7], v[12:13], v[14:15]
	v_fma_f64 v[28:29], v[8:9], v[12:13], v[10:11]
	v_fma_f64 v[26:27], v[6:7], v[24:25], v[26:27]
	v_fma_f64 v[30:31], v[8:9], v[24:25], v[22:23]
	ds_read_b128 v[6:9], v21 offset:48
	ds_read2_b64 v[10:13], v20 offset0:192 offset1:208
	ds_read_b128 v[22:25], v21 offset:1072
	s_waitcnt lgkmcnt(1)
	v_fma_f64 v[14:15], v[10:11], v[6:7], v[14:15]
	v_fma_f64 v[6:7], v[12:13], v[6:7], v[28:29]
	s_waitcnt lgkmcnt(0)
	v_fma_f64 v[32:33], v[10:11], v[22:23], v[26:27]
	v_fma_f64 v[22:23], v[12:13], v[22:23], v[30:31]
	ds_read2_b64 v[26:29], v20 offset0:224 offset1:240
	s_waitcnt lgkmcnt(0)
	s_barrier
	v_fma_f64 v[12:13], v[26:27], v[8:9], v[14:15]
	v_fma_f64 v[10:11], v[28:29], v[8:9], v[6:7]
	v_fma_f64 v[8:9], v[26:27], v[24:25], v[32:33]
	v_fma_f64 v[6:7], v[28:29], v[24:25], v[22:23]
	s_cbranch_scc1 .LBB145_8
.LBB145_3:                              ; =>This Inner Loop Header: Depth=1
	v_add_u32_e32 v14, s9, v17
	v_cmp_gt_i32_e64 s[2:3], s11, v14
	v_mov_b32_e32 v14, 0
	v_mov_b32_e32 v15, 0
	s_and_b64 s[14:15], vcc, s[2:3]
	s_and_saveexec_b64 s[2:3], s[14:15]
	s_cbranch_execz .LBB145_5
; %bb.4:                                ;   in Loop: Header=BB145_3 Depth=1
	global_load_dwordx2 v[14:15], v[2:3], off
.LBB145_5:                              ;   in Loop: Header=BB145_3 Depth=1
	s_or_b64 exec, exec, s[2:3]
	s_waitcnt vmcnt(0)
	ds_write_b64 v18, v[14:15]
	v_add_u32_e32 v14, s9, v16
	v_cmp_gt_i32_e64 s[2:3], s11, v14
	v_mov_b32_e32 v14, 0
	v_mov_b32_e32 v15, 0
	s_and_b64 s[14:15], s[2:3], s[0:1]
	s_and_saveexec_b64 s[2:3], s[14:15]
	s_cbranch_execz .LBB145_2
; %bb.6:                                ;   in Loop: Header=BB145_3 Depth=1
	global_load_dwordx2 v[14:15], v[4:5], off
	s_branch .LBB145_2
.LBB145_7:
	v_mov_b32_e32 v12, 0
	v_mov_b32_e32 v10, 0
	;; [unrolled: 1-line block ×8, first 2 shown]
.LBB145_8:
	s_load_dwordx2 s[0:1], s[4:5], 0x58
	s_load_dword s9, s[4:5], 0x50
	v_add_u32_e32 v4, s7, v1
	v_add_u32_e32 v0, s6, v0
	s_waitcnt lgkmcnt(0)
	s_mul_i32 s1, s1, s8
	s_mul_hi_u32 s2, s0, s8
	s_add_i32 s1, s2, s1
	v_mad_i64_i32 v[1:2], s[2:3], v4, s9, 0
	s_mul_i32 s0, s0, s8
	s_lshl_b64 s[0:1], s[0:1], 3
	s_add_u32 s7, s24, s0
	v_lshlrev_b64 v[1:2], 3, v[1:2]
	s_addc_u32 s8, s25, s1
	v_mov_b32_e32 v3, s8
	v_add_co_u32_e32 v5, vcc, s7, v1
	v_addc_co_u32_e32 v14, vcc, v3, v2, vcc
	v_cmp_le_i32_e64 s[0:1], v4, v0
	v_cmp_gt_i32_e32 vcc, s10, v0
	s_and_b64 s[0:1], s[0:1], vcc
	s_and_saveexec_b64 s[2:3], s[0:1]
	s_cbranch_execz .LBB145_10
; %bb.9:
	v_ashrrev_i32_e32 v1, 31, v0
	v_lshlrev_b64 v[1:2], 3, v[0:1]
	v_add_co_u32_e64 v1, s[0:1], v5, v1
	v_addc_co_u32_e64 v2, s[0:1], v14, v2, s[0:1]
	global_load_dwordx2 v[15:16], v[1:2], off
	s_waitcnt vmcnt(0)
	v_mul_f64 v[15:16], s[18:19], v[15:16]
	v_fma_f64 v[12:13], s[12:13], v[12:13], v[15:16]
	global_store_dwordx2 v[1:2], v[12:13], off
.LBB145_10:
	s_or_b64 exec, exec, s[2:3]
	v_add_u32_e32 v2, 16, v0
	v_cmp_le_i32_e64 s[2:3], v4, v2
	v_cmp_gt_i32_e64 s[0:1], s10, v2
	s_and_b64 s[2:3], s[2:3], s[0:1]
	s_and_saveexec_b64 s[4:5], s[2:3]
	s_cbranch_execz .LBB145_12
; %bb.11:
	v_ashrrev_i32_e32 v3, 31, v2
	v_lshlrev_b64 v[12:13], 3, v[2:3]
	v_add_co_u32_e64 v12, s[2:3], v5, v12
	v_addc_co_u32_e64 v13, s[2:3], v14, v13, s[2:3]
	global_load_dwordx2 v[14:15], v[12:13], off
	s_waitcnt vmcnt(0)
	v_mul_f64 v[14:15], s[18:19], v[14:15]
	v_fma_f64 v[10:11], s[12:13], v[10:11], v[14:15]
	global_store_dwordx2 v[12:13], v[10:11], off
.LBB145_12:
	s_or_b64 exec, exec, s[4:5]
	v_add_u32_e32 v3, 16, v4
	v_mad_i64_i32 v[4:5], s[2:3], v3, s9, 0
	v_mov_b32_e32 v1, s8
	v_lshlrev_b64 v[4:5], 3, v[4:5]
	v_add_co_u32_e64 v4, s[2:3], s7, v4
	v_addc_co_u32_e64 v5, s[2:3], v1, v5, s[2:3]
	v_cmp_le_i32_e64 s[2:3], v3, v0
	s_and_b64 s[4:5], s[2:3], vcc
	s_and_saveexec_b64 s[2:3], s[4:5]
	s_cbranch_execz .LBB145_14
; %bb.13:
	v_ashrrev_i32_e32 v1, 31, v0
	v_lshlrev_b64 v[0:1], 3, v[0:1]
	v_add_co_u32_e32 v0, vcc, v4, v0
	v_addc_co_u32_e32 v1, vcc, v5, v1, vcc
	global_load_dwordx2 v[10:11], v[0:1], off
	s_waitcnt vmcnt(0)
	v_mul_f64 v[10:11], s[18:19], v[10:11]
	v_fma_f64 v[8:9], s[12:13], v[8:9], v[10:11]
	global_store_dwordx2 v[0:1], v[8:9], off
.LBB145_14:
	s_or_b64 exec, exec, s[2:3]
	v_cmp_le_i32_e32 vcc, v3, v2
	s_and_b64 s[0:1], vcc, s[0:1]
	s_and_saveexec_b64 s[2:3], s[0:1]
	s_cbranch_execz .LBB145_16
; %bb.15:
	v_ashrrev_i32_e32 v3, 31, v2
	v_lshlrev_b64 v[0:1], 3, v[2:3]
	v_add_co_u32_e32 v0, vcc, v4, v0
	v_addc_co_u32_e32 v1, vcc, v5, v1, vcc
	global_load_dwordx2 v[2:3], v[0:1], off
	s_waitcnt vmcnt(0)
	v_mul_f64 v[2:3], s[18:19], v[2:3]
	v_fma_f64 v[2:3], s[12:13], v[6:7], v[2:3]
	global_store_dwordx2 v[0:1], v[2:3], off
.LBB145_16:
	s_endpgm
	.section	.rodata,"a",@progbits
	.p2align	6, 0x0
	.amdhsa_kernel _ZL34rocblas_syrkx_herkx_general_kernelIidLi16ELi32ELi8ELb0ELb0ELc84ELc76EKddEviT_T0_PT8_S1_lS4_S1_lS2_PT9_S1_li
		.amdhsa_group_segment_fixed_size 4096
		.amdhsa_private_segment_fixed_size 0
		.amdhsa_kernarg_size 100
		.amdhsa_user_sgpr_count 6
		.amdhsa_user_sgpr_private_segment_buffer 1
		.amdhsa_user_sgpr_dispatch_ptr 0
		.amdhsa_user_sgpr_queue_ptr 0
		.amdhsa_user_sgpr_kernarg_segment_ptr 1
		.amdhsa_user_sgpr_dispatch_id 0
		.amdhsa_user_sgpr_flat_scratch_init 0
		.amdhsa_user_sgpr_private_segment_size 0
		.amdhsa_uses_dynamic_stack 0
		.amdhsa_system_sgpr_private_segment_wavefront_offset 0
		.amdhsa_system_sgpr_workgroup_id_x 1
		.amdhsa_system_sgpr_workgroup_id_y 1
		.amdhsa_system_sgpr_workgroup_id_z 1
		.amdhsa_system_sgpr_workgroup_info 0
		.amdhsa_system_vgpr_workitem_id 1
		.amdhsa_next_free_vgpr 34
		.amdhsa_next_free_sgpr 27
		.amdhsa_reserve_vcc 1
		.amdhsa_reserve_flat_scratch 0
		.amdhsa_float_round_mode_32 0
		.amdhsa_float_round_mode_16_64 0
		.amdhsa_float_denorm_mode_32 3
		.amdhsa_float_denorm_mode_16_64 3
		.amdhsa_dx10_clamp 1
		.amdhsa_ieee_mode 1
		.amdhsa_fp16_overflow 0
		.amdhsa_exception_fp_ieee_invalid_op 0
		.amdhsa_exception_fp_denorm_src 0
		.amdhsa_exception_fp_ieee_div_zero 0
		.amdhsa_exception_fp_ieee_overflow 0
		.amdhsa_exception_fp_ieee_underflow 0
		.amdhsa_exception_fp_ieee_inexact 0
		.amdhsa_exception_int_div_zero 0
	.end_amdhsa_kernel
	.section	.text._ZL34rocblas_syrkx_herkx_general_kernelIidLi16ELi32ELi8ELb0ELb0ELc84ELc76EKddEviT_T0_PT8_S1_lS4_S1_lS2_PT9_S1_li,"axG",@progbits,_ZL34rocblas_syrkx_herkx_general_kernelIidLi16ELi32ELi8ELb0ELb0ELc84ELc76EKddEviT_T0_PT8_S1_lS4_S1_lS2_PT9_S1_li,comdat
.Lfunc_end145:
	.size	_ZL34rocblas_syrkx_herkx_general_kernelIidLi16ELi32ELi8ELb0ELb0ELc84ELc76EKddEviT_T0_PT8_S1_lS4_S1_lS2_PT9_S1_li, .Lfunc_end145-_ZL34rocblas_syrkx_herkx_general_kernelIidLi16ELi32ELi8ELb0ELb0ELc84ELc76EKddEviT_T0_PT8_S1_lS4_S1_lS2_PT9_S1_li
                                        ; -- End function
	.set _ZL34rocblas_syrkx_herkx_general_kernelIidLi16ELi32ELi8ELb0ELb0ELc84ELc76EKddEviT_T0_PT8_S1_lS4_S1_lS2_PT9_S1_li.num_vgpr, 34
	.set _ZL34rocblas_syrkx_herkx_general_kernelIidLi16ELi32ELi8ELb0ELb0ELc84ELc76EKddEviT_T0_PT8_S1_lS4_S1_lS2_PT9_S1_li.num_agpr, 0
	.set _ZL34rocblas_syrkx_herkx_general_kernelIidLi16ELi32ELi8ELb0ELb0ELc84ELc76EKddEviT_T0_PT8_S1_lS4_S1_lS2_PT9_S1_li.numbered_sgpr, 27
	.set _ZL34rocblas_syrkx_herkx_general_kernelIidLi16ELi32ELi8ELb0ELb0ELc84ELc76EKddEviT_T0_PT8_S1_lS4_S1_lS2_PT9_S1_li.num_named_barrier, 0
	.set _ZL34rocblas_syrkx_herkx_general_kernelIidLi16ELi32ELi8ELb0ELb0ELc84ELc76EKddEviT_T0_PT8_S1_lS4_S1_lS2_PT9_S1_li.private_seg_size, 0
	.set _ZL34rocblas_syrkx_herkx_general_kernelIidLi16ELi32ELi8ELb0ELb0ELc84ELc76EKddEviT_T0_PT8_S1_lS4_S1_lS2_PT9_S1_li.uses_vcc, 1
	.set _ZL34rocblas_syrkx_herkx_general_kernelIidLi16ELi32ELi8ELb0ELb0ELc84ELc76EKddEviT_T0_PT8_S1_lS4_S1_lS2_PT9_S1_li.uses_flat_scratch, 0
	.set _ZL34rocblas_syrkx_herkx_general_kernelIidLi16ELi32ELi8ELb0ELb0ELc84ELc76EKddEviT_T0_PT8_S1_lS4_S1_lS2_PT9_S1_li.has_dyn_sized_stack, 0
	.set _ZL34rocblas_syrkx_herkx_general_kernelIidLi16ELi32ELi8ELb0ELb0ELc84ELc76EKddEviT_T0_PT8_S1_lS4_S1_lS2_PT9_S1_li.has_recursion, 0
	.set _ZL34rocblas_syrkx_herkx_general_kernelIidLi16ELi32ELi8ELb0ELb0ELc84ELc76EKddEviT_T0_PT8_S1_lS4_S1_lS2_PT9_S1_li.has_indirect_call, 0
	.section	.AMDGPU.csdata,"",@progbits
; Kernel info:
; codeLenInByte = 1516
; TotalNumSgprs: 31
; NumVgprs: 34
; ScratchSize: 0
; MemoryBound: 0
; FloatMode: 240
; IeeeMode: 1
; LDSByteSize: 4096 bytes/workgroup (compile time only)
; SGPRBlocks: 3
; VGPRBlocks: 8
; NumSGPRsForWavesPerEU: 31
; NumVGPRsForWavesPerEU: 34
; Occupancy: 7
; WaveLimiterHint : 0
; COMPUTE_PGM_RSRC2:SCRATCH_EN: 0
; COMPUTE_PGM_RSRC2:USER_SGPR: 6
; COMPUTE_PGM_RSRC2:TRAP_HANDLER: 0
; COMPUTE_PGM_RSRC2:TGID_X_EN: 1
; COMPUTE_PGM_RSRC2:TGID_Y_EN: 1
; COMPUTE_PGM_RSRC2:TGID_Z_EN: 1
; COMPUTE_PGM_RSRC2:TIDIG_COMP_CNT: 1
	.section	.text._ZL34rocblas_syrkx_herkx_general_kernelIidLi16ELi32ELi8ELb0ELb0ELc67ELc76EKddEviT_T0_PT8_S1_lS4_S1_lS2_PT9_S1_li,"axG",@progbits,_ZL34rocblas_syrkx_herkx_general_kernelIidLi16ELi32ELi8ELb0ELb0ELc67ELc76EKddEviT_T0_PT8_S1_lS4_S1_lS2_PT9_S1_li,comdat
	.globl	_ZL34rocblas_syrkx_herkx_general_kernelIidLi16ELi32ELi8ELb0ELb0ELc67ELc76EKddEviT_T0_PT8_S1_lS4_S1_lS2_PT9_S1_li ; -- Begin function _ZL34rocblas_syrkx_herkx_general_kernelIidLi16ELi32ELi8ELb0ELb0ELc67ELc76EKddEviT_T0_PT8_S1_lS4_S1_lS2_PT9_S1_li
	.p2align	8
	.type	_ZL34rocblas_syrkx_herkx_general_kernelIidLi16ELi32ELi8ELb0ELb0ELc67ELc76EKddEviT_T0_PT8_S1_lS4_S1_lS2_PT9_S1_li,@function
_ZL34rocblas_syrkx_herkx_general_kernelIidLi16ELi32ELi8ELb0ELb0ELc67ELc76EKddEviT_T0_PT8_S1_lS4_S1_lS2_PT9_S1_li: ; @_ZL34rocblas_syrkx_herkx_general_kernelIidLi16ELi32ELi8ELb0ELb0ELc67ELc76EKddEviT_T0_PT8_S1_lS4_S1_lS2_PT9_S1_li
; %bb.0:
	s_load_dwordx2 s[10:11], s[4:5], 0x0
	s_load_dwordx4 s[12:15], s[4:5], 0x8
	s_load_dwordx4 s[16:19], s[4:5], 0x38
	s_load_dwordx2 s[24:25], s[4:5], 0x48
	s_lshl_b32 s6, s6, 5
	s_lshl_b32 s7, s7, 5
	s_waitcnt lgkmcnt(0)
	s_cmp_lt_i32 s11, 1
	s_mov_b32 s9, 0
	s_cbranch_scc1 .LBB146_7
; %bb.1:
	v_lshl_add_u32 v2, v1, 4, v0
	s_load_dword s2, s[4:5], 0x18
	s_load_dwordx4 s[20:23], s[4:5], 0x20
	s_load_dword s26, s[4:5], 0x30
	v_lshrrev_b32_e32 v17, 5, v2
	v_lshrrev_b32_e32 v3, 3, v2
	v_and_b32_e32 v2, 31, v2
	v_and_b32_e32 v16, 7, v0
	v_or_b32_e32 v5, s6, v2
	v_cmp_gt_i32_e32 vcc, s10, v5
	v_lshlrev_b32_e32 v5, 3, v2
	v_lshlrev_b32_e32 v6, 3, v16
	v_add_u32_e32 v2, s6, v2
	v_add_u32_e32 v4, s7, v3
	v_lshl_or_b32 v18, v17, 8, v5
	v_lshl_or_b32 v5, v3, 6, v6
	s_waitcnt lgkmcnt(0)
	v_mad_i64_i32 v[2:3], s[2:3], s2, v2, 0
	s_mul_i32 s2, s21, s8
	s_mul_hi_u32 s3, s20, s8
	v_lshlrev_b64 v[2:3], 3, v[2:3]
	s_add_i32 s3, s3, s2
	s_mul_i32 s2, s20, s8
	s_lshl_b64 s[2:3], s[2:3], 3
	v_add_u32_e32 v19, 0x800, v5
	v_mov_b32_e32 v5, s3
	v_add_co_u32_e64 v2, s[2:3], s2, v2
	v_addc_co_u32_e64 v3, s[2:3], v3, v5, s[2:3]
	v_lshlrev_b32_e32 v5, 3, v17
	v_add_co_u32_e64 v2, s[2:3], v2, v5
	v_cmp_gt_i32_e64 s[0:1], s10, v4
	v_addc_co_u32_e64 v3, s[2:3], 0, v3, s[2:3]
	v_mad_i64_i32 v[4:5], s[2:3], s26, v4, 0
	v_mov_b32_e32 v7, s15
	v_add_co_u32_e64 v2, s[2:3], s14, v2
	v_addc_co_u32_e64 v3, s[2:3], v7, v3, s[2:3]
	s_mul_i32 s2, s17, s8
	s_mul_hi_u32 s3, s16, s8
	v_lshlrev_b64 v[4:5], 3, v[4:5]
	s_add_i32 s3, s3, s2
	s_mul_i32 s2, s16, s8
	s_lshl_b64 s[2:3], s[2:3], 3
	v_mov_b32_e32 v7, s3
	v_add_co_u32_e64 v4, s[2:3], s2, v4
	v_addc_co_u32_e64 v5, s[2:3], v5, v7, s[2:3]
	v_add_co_u32_e64 v4, s[2:3], v4, v6
	v_addc_co_u32_e64 v5, s[2:3], 0, v5, s[2:3]
	v_mov_b32_e32 v6, s23
	v_add_co_u32_e64 v4, s[2:3], s22, v4
	v_mov_b32_e32 v14, 0x800
	v_addc_co_u32_e64 v5, s[2:3], v6, v5, s[2:3]
	v_mov_b32_e32 v6, 0
	v_mov_b32_e32 v8, 0
	v_mov_b32_e32 v10, 0
	v_mov_b32_e32 v12, 0
	v_lshlrev_b32_e32 v20, 3, v0
	v_mov_b32_e32 v7, 0
	v_mov_b32_e32 v9, 0
	;; [unrolled: 1-line block ×4, first 2 shown]
	v_lshl_add_u32 v21, v1, 6, v14
	s_branch .LBB146_3
.LBB146_2:                              ;   in Loop: Header=BB146_3 Depth=1
	s_or_b64 exec, exec, s[2:3]
	s_waitcnt vmcnt(0)
	ds_write_b64 v19, v[14:15]
	s_waitcnt lgkmcnt(0)
	s_barrier
	ds_read2_b64 v[22:25], v20 offset1:16
	ds_read_b128 v[26:29], v21
	v_add_co_u32_e64 v2, s[2:3], 64, v2
	v_addc_co_u32_e64 v3, s[2:3], 0, v3, s[2:3]
	s_waitcnt lgkmcnt(0)
	v_fma_f64 v[14:15], v[22:23], v[26:27], v[12:13]
	v_fma_f64 v[26:27], v[24:25], v[26:27], v[10:11]
	ds_read_b128 v[10:13], v21 offset:1024
	s_add_i32 s9, s9, 8
	v_add_co_u32_e64 v4, s[2:3], 64, v4
	s_cmp_ge_i32 s9, s11
	s_waitcnt lgkmcnt(0)
	v_fma_f64 v[22:23], v[22:23], v[10:11], v[8:9]
	v_fma_f64 v[10:11], v[24:25], v[10:11], v[6:7]
	ds_read2_b64 v[6:9], v20 offset0:32 offset1:48
	v_addc_co_u32_e64 v5, s[2:3], 0, v5, s[2:3]
	s_waitcnt lgkmcnt(0)
	v_fma_f64 v[14:15], v[6:7], v[28:29], v[14:15]
	v_fma_f64 v[24:25], v[8:9], v[28:29], v[26:27]
	;; [unrolled: 1-line block ×4, first 2 shown]
	ds_read_b128 v[6:9], v21 offset:16
	ds_read2_b64 v[10:13], v20 offset0:64 offset1:80
	s_waitcnt lgkmcnt(0)
	v_fma_f64 v[14:15], v[10:11], v[6:7], v[14:15]
	v_fma_f64 v[6:7], v[12:13], v[6:7], v[24:25]
	ds_read_b128 v[22:25], v21 offset:1040
	s_waitcnt lgkmcnt(0)
	v_fma_f64 v[26:27], v[10:11], v[22:23], v[26:27]
	v_fma_f64 v[22:23], v[12:13], v[22:23], v[28:29]
	ds_read2_b64 v[10:13], v20 offset0:96 offset1:112
	s_waitcnt lgkmcnt(0)
	v_fma_f64 v[14:15], v[10:11], v[8:9], v[14:15]
	v_fma_f64 v[28:29], v[12:13], v[8:9], v[6:7]
	;; [unrolled: 1-line block ×4, first 2 shown]
	ds_read2_b64 v[6:9], v20 offset0:128 offset1:144
	ds_read_b128 v[10:13], v21 offset:32
	ds_read_b128 v[22:25], v21 offset:1056
	s_waitcnt lgkmcnt(1)
	v_fma_f64 v[14:15], v[6:7], v[10:11], v[14:15]
	v_fma_f64 v[10:11], v[8:9], v[10:11], v[28:29]
	s_waitcnt lgkmcnt(0)
	v_fma_f64 v[26:27], v[6:7], v[22:23], v[26:27]
	v_fma_f64 v[22:23], v[8:9], v[22:23], v[30:31]
	ds_read2_b64 v[6:9], v20 offset0:160 offset1:176
	s_waitcnt lgkmcnt(0)
	v_fma_f64 v[14:15], v[6:7], v[12:13], v[14:15]
	v_fma_f64 v[28:29], v[8:9], v[12:13], v[10:11]
	;; [unrolled: 1-line block ×4, first 2 shown]
	ds_read_b128 v[6:9], v21 offset:48
	ds_read2_b64 v[10:13], v20 offset0:192 offset1:208
	ds_read_b128 v[22:25], v21 offset:1072
	s_waitcnt lgkmcnt(1)
	v_fma_f64 v[14:15], v[10:11], v[6:7], v[14:15]
	v_fma_f64 v[6:7], v[12:13], v[6:7], v[28:29]
	s_waitcnt lgkmcnt(0)
	v_fma_f64 v[32:33], v[10:11], v[22:23], v[26:27]
	v_fma_f64 v[22:23], v[12:13], v[22:23], v[30:31]
	ds_read2_b64 v[26:29], v20 offset0:224 offset1:240
	s_waitcnt lgkmcnt(0)
	s_barrier
	v_fma_f64 v[12:13], v[26:27], v[8:9], v[14:15]
	v_fma_f64 v[10:11], v[28:29], v[8:9], v[6:7]
	;; [unrolled: 1-line block ×4, first 2 shown]
	s_cbranch_scc1 .LBB146_8
.LBB146_3:                              ; =>This Inner Loop Header: Depth=1
	v_add_u32_e32 v14, s9, v17
	v_cmp_gt_i32_e64 s[2:3], s11, v14
	v_mov_b32_e32 v14, 0
	v_mov_b32_e32 v15, 0
	s_and_b64 s[14:15], vcc, s[2:3]
	s_and_saveexec_b64 s[2:3], s[14:15]
	s_cbranch_execz .LBB146_5
; %bb.4:                                ;   in Loop: Header=BB146_3 Depth=1
	global_load_dwordx2 v[14:15], v[2:3], off
.LBB146_5:                              ;   in Loop: Header=BB146_3 Depth=1
	s_or_b64 exec, exec, s[2:3]
	s_waitcnt vmcnt(0)
	ds_write_b64 v18, v[14:15]
	v_add_u32_e32 v14, s9, v16
	v_cmp_gt_i32_e64 s[2:3], s11, v14
	v_mov_b32_e32 v14, 0
	v_mov_b32_e32 v15, 0
	s_and_b64 s[14:15], s[2:3], s[0:1]
	s_and_saveexec_b64 s[2:3], s[14:15]
	s_cbranch_execz .LBB146_2
; %bb.6:                                ;   in Loop: Header=BB146_3 Depth=1
	global_load_dwordx2 v[14:15], v[4:5], off
	s_branch .LBB146_2
.LBB146_7:
	v_mov_b32_e32 v12, 0
	v_mov_b32_e32 v10, 0
	;; [unrolled: 1-line block ×8, first 2 shown]
.LBB146_8:
	s_load_dwordx2 s[0:1], s[4:5], 0x58
	s_load_dword s9, s[4:5], 0x50
	v_add_u32_e32 v4, s7, v1
	v_add_u32_e32 v0, s6, v0
	s_waitcnt lgkmcnt(0)
	s_mul_i32 s1, s1, s8
	s_mul_hi_u32 s2, s0, s8
	s_add_i32 s1, s2, s1
	v_mad_i64_i32 v[1:2], s[2:3], v4, s9, 0
	s_mul_i32 s0, s0, s8
	s_lshl_b64 s[0:1], s[0:1], 3
	s_add_u32 s7, s24, s0
	v_lshlrev_b64 v[1:2], 3, v[1:2]
	s_addc_u32 s8, s25, s1
	v_mov_b32_e32 v3, s8
	v_add_co_u32_e32 v5, vcc, s7, v1
	v_addc_co_u32_e32 v14, vcc, v3, v2, vcc
	v_cmp_le_i32_e64 s[0:1], v4, v0
	v_cmp_gt_i32_e32 vcc, s10, v0
	s_and_b64 s[0:1], s[0:1], vcc
	s_and_saveexec_b64 s[2:3], s[0:1]
	s_cbranch_execz .LBB146_10
; %bb.9:
	v_ashrrev_i32_e32 v1, 31, v0
	v_lshlrev_b64 v[1:2], 3, v[0:1]
	v_add_co_u32_e64 v1, s[0:1], v5, v1
	v_addc_co_u32_e64 v2, s[0:1], v14, v2, s[0:1]
	global_load_dwordx2 v[15:16], v[1:2], off
	s_waitcnt vmcnt(0)
	v_mul_f64 v[15:16], s[18:19], v[15:16]
	v_fma_f64 v[12:13], s[12:13], v[12:13], v[15:16]
	global_store_dwordx2 v[1:2], v[12:13], off
.LBB146_10:
	s_or_b64 exec, exec, s[2:3]
	v_add_u32_e32 v2, 16, v0
	v_cmp_le_i32_e64 s[2:3], v4, v2
	v_cmp_gt_i32_e64 s[0:1], s10, v2
	s_and_b64 s[2:3], s[2:3], s[0:1]
	s_and_saveexec_b64 s[4:5], s[2:3]
	s_cbranch_execz .LBB146_12
; %bb.11:
	v_ashrrev_i32_e32 v3, 31, v2
	v_lshlrev_b64 v[12:13], 3, v[2:3]
	v_add_co_u32_e64 v12, s[2:3], v5, v12
	v_addc_co_u32_e64 v13, s[2:3], v14, v13, s[2:3]
	global_load_dwordx2 v[14:15], v[12:13], off
	s_waitcnt vmcnt(0)
	v_mul_f64 v[14:15], s[18:19], v[14:15]
	v_fma_f64 v[10:11], s[12:13], v[10:11], v[14:15]
	global_store_dwordx2 v[12:13], v[10:11], off
.LBB146_12:
	s_or_b64 exec, exec, s[4:5]
	v_add_u32_e32 v3, 16, v4
	v_mad_i64_i32 v[4:5], s[2:3], v3, s9, 0
	v_mov_b32_e32 v1, s8
	v_lshlrev_b64 v[4:5], 3, v[4:5]
	v_add_co_u32_e64 v4, s[2:3], s7, v4
	v_addc_co_u32_e64 v5, s[2:3], v1, v5, s[2:3]
	v_cmp_le_i32_e64 s[2:3], v3, v0
	s_and_b64 s[4:5], s[2:3], vcc
	s_and_saveexec_b64 s[2:3], s[4:5]
	s_cbranch_execz .LBB146_14
; %bb.13:
	v_ashrrev_i32_e32 v1, 31, v0
	v_lshlrev_b64 v[0:1], 3, v[0:1]
	v_add_co_u32_e32 v0, vcc, v4, v0
	v_addc_co_u32_e32 v1, vcc, v5, v1, vcc
	global_load_dwordx2 v[10:11], v[0:1], off
	s_waitcnt vmcnt(0)
	v_mul_f64 v[10:11], s[18:19], v[10:11]
	v_fma_f64 v[8:9], s[12:13], v[8:9], v[10:11]
	global_store_dwordx2 v[0:1], v[8:9], off
.LBB146_14:
	s_or_b64 exec, exec, s[2:3]
	v_cmp_le_i32_e32 vcc, v3, v2
	s_and_b64 s[0:1], vcc, s[0:1]
	s_and_saveexec_b64 s[2:3], s[0:1]
	s_cbranch_execz .LBB146_16
; %bb.15:
	v_ashrrev_i32_e32 v3, 31, v2
	v_lshlrev_b64 v[0:1], 3, v[2:3]
	v_add_co_u32_e32 v0, vcc, v4, v0
	v_addc_co_u32_e32 v1, vcc, v5, v1, vcc
	global_load_dwordx2 v[2:3], v[0:1], off
	s_waitcnt vmcnt(0)
	v_mul_f64 v[2:3], s[18:19], v[2:3]
	v_fma_f64 v[2:3], s[12:13], v[6:7], v[2:3]
	global_store_dwordx2 v[0:1], v[2:3], off
.LBB146_16:
	s_endpgm
	.section	.rodata,"a",@progbits
	.p2align	6, 0x0
	.amdhsa_kernel _ZL34rocblas_syrkx_herkx_general_kernelIidLi16ELi32ELi8ELb0ELb0ELc67ELc76EKddEviT_T0_PT8_S1_lS4_S1_lS2_PT9_S1_li
		.amdhsa_group_segment_fixed_size 4096
		.amdhsa_private_segment_fixed_size 0
		.amdhsa_kernarg_size 100
		.amdhsa_user_sgpr_count 6
		.amdhsa_user_sgpr_private_segment_buffer 1
		.amdhsa_user_sgpr_dispatch_ptr 0
		.amdhsa_user_sgpr_queue_ptr 0
		.amdhsa_user_sgpr_kernarg_segment_ptr 1
		.amdhsa_user_sgpr_dispatch_id 0
		.amdhsa_user_sgpr_flat_scratch_init 0
		.amdhsa_user_sgpr_private_segment_size 0
		.amdhsa_uses_dynamic_stack 0
		.amdhsa_system_sgpr_private_segment_wavefront_offset 0
		.amdhsa_system_sgpr_workgroup_id_x 1
		.amdhsa_system_sgpr_workgroup_id_y 1
		.amdhsa_system_sgpr_workgroup_id_z 1
		.amdhsa_system_sgpr_workgroup_info 0
		.amdhsa_system_vgpr_workitem_id 1
		.amdhsa_next_free_vgpr 34
		.amdhsa_next_free_sgpr 27
		.amdhsa_reserve_vcc 1
		.amdhsa_reserve_flat_scratch 0
		.amdhsa_float_round_mode_32 0
		.amdhsa_float_round_mode_16_64 0
		.amdhsa_float_denorm_mode_32 3
		.amdhsa_float_denorm_mode_16_64 3
		.amdhsa_dx10_clamp 1
		.amdhsa_ieee_mode 1
		.amdhsa_fp16_overflow 0
		.amdhsa_exception_fp_ieee_invalid_op 0
		.amdhsa_exception_fp_denorm_src 0
		.amdhsa_exception_fp_ieee_div_zero 0
		.amdhsa_exception_fp_ieee_overflow 0
		.amdhsa_exception_fp_ieee_underflow 0
		.amdhsa_exception_fp_ieee_inexact 0
		.amdhsa_exception_int_div_zero 0
	.end_amdhsa_kernel
	.section	.text._ZL34rocblas_syrkx_herkx_general_kernelIidLi16ELi32ELi8ELb0ELb0ELc67ELc76EKddEviT_T0_PT8_S1_lS4_S1_lS2_PT9_S1_li,"axG",@progbits,_ZL34rocblas_syrkx_herkx_general_kernelIidLi16ELi32ELi8ELb0ELb0ELc67ELc76EKddEviT_T0_PT8_S1_lS4_S1_lS2_PT9_S1_li,comdat
.Lfunc_end146:
	.size	_ZL34rocblas_syrkx_herkx_general_kernelIidLi16ELi32ELi8ELb0ELb0ELc67ELc76EKddEviT_T0_PT8_S1_lS4_S1_lS2_PT9_S1_li, .Lfunc_end146-_ZL34rocblas_syrkx_herkx_general_kernelIidLi16ELi32ELi8ELb0ELb0ELc67ELc76EKddEviT_T0_PT8_S1_lS4_S1_lS2_PT9_S1_li
                                        ; -- End function
	.set _ZL34rocblas_syrkx_herkx_general_kernelIidLi16ELi32ELi8ELb0ELb0ELc67ELc76EKddEviT_T0_PT8_S1_lS4_S1_lS2_PT9_S1_li.num_vgpr, 34
	.set _ZL34rocblas_syrkx_herkx_general_kernelIidLi16ELi32ELi8ELb0ELb0ELc67ELc76EKddEviT_T0_PT8_S1_lS4_S1_lS2_PT9_S1_li.num_agpr, 0
	.set _ZL34rocblas_syrkx_herkx_general_kernelIidLi16ELi32ELi8ELb0ELb0ELc67ELc76EKddEviT_T0_PT8_S1_lS4_S1_lS2_PT9_S1_li.numbered_sgpr, 27
	.set _ZL34rocblas_syrkx_herkx_general_kernelIidLi16ELi32ELi8ELb0ELb0ELc67ELc76EKddEviT_T0_PT8_S1_lS4_S1_lS2_PT9_S1_li.num_named_barrier, 0
	.set _ZL34rocblas_syrkx_herkx_general_kernelIidLi16ELi32ELi8ELb0ELb0ELc67ELc76EKddEviT_T0_PT8_S1_lS4_S1_lS2_PT9_S1_li.private_seg_size, 0
	.set _ZL34rocblas_syrkx_herkx_general_kernelIidLi16ELi32ELi8ELb0ELb0ELc67ELc76EKddEviT_T0_PT8_S1_lS4_S1_lS2_PT9_S1_li.uses_vcc, 1
	.set _ZL34rocblas_syrkx_herkx_general_kernelIidLi16ELi32ELi8ELb0ELb0ELc67ELc76EKddEviT_T0_PT8_S1_lS4_S1_lS2_PT9_S1_li.uses_flat_scratch, 0
	.set _ZL34rocblas_syrkx_herkx_general_kernelIidLi16ELi32ELi8ELb0ELb0ELc67ELc76EKddEviT_T0_PT8_S1_lS4_S1_lS2_PT9_S1_li.has_dyn_sized_stack, 0
	.set _ZL34rocblas_syrkx_herkx_general_kernelIidLi16ELi32ELi8ELb0ELb0ELc67ELc76EKddEviT_T0_PT8_S1_lS4_S1_lS2_PT9_S1_li.has_recursion, 0
	.set _ZL34rocblas_syrkx_herkx_general_kernelIidLi16ELi32ELi8ELb0ELb0ELc67ELc76EKddEviT_T0_PT8_S1_lS4_S1_lS2_PT9_S1_li.has_indirect_call, 0
	.section	.AMDGPU.csdata,"",@progbits
; Kernel info:
; codeLenInByte = 1516
; TotalNumSgprs: 31
; NumVgprs: 34
; ScratchSize: 0
; MemoryBound: 0
; FloatMode: 240
; IeeeMode: 1
; LDSByteSize: 4096 bytes/workgroup (compile time only)
; SGPRBlocks: 3
; VGPRBlocks: 8
; NumSGPRsForWavesPerEU: 31
; NumVGPRsForWavesPerEU: 34
; Occupancy: 7
; WaveLimiterHint : 0
; COMPUTE_PGM_RSRC2:SCRATCH_EN: 0
; COMPUTE_PGM_RSRC2:USER_SGPR: 6
; COMPUTE_PGM_RSRC2:TRAP_HANDLER: 0
; COMPUTE_PGM_RSRC2:TGID_X_EN: 1
; COMPUTE_PGM_RSRC2:TGID_Y_EN: 1
; COMPUTE_PGM_RSRC2:TGID_Z_EN: 1
; COMPUTE_PGM_RSRC2:TIDIG_COMP_CNT: 1
	.section	.text._ZL34rocblas_syrkx_herkx_general_kernelIidLi16ELi32ELi8ELb0ELb0ELc78ELc76EKddEviT_T0_PT8_S1_lS4_S1_lS2_PT9_S1_li,"axG",@progbits,_ZL34rocblas_syrkx_herkx_general_kernelIidLi16ELi32ELi8ELb0ELb0ELc78ELc76EKddEviT_T0_PT8_S1_lS4_S1_lS2_PT9_S1_li,comdat
	.globl	_ZL34rocblas_syrkx_herkx_general_kernelIidLi16ELi32ELi8ELb0ELb0ELc78ELc76EKddEviT_T0_PT8_S1_lS4_S1_lS2_PT9_S1_li ; -- Begin function _ZL34rocblas_syrkx_herkx_general_kernelIidLi16ELi32ELi8ELb0ELb0ELc78ELc76EKddEviT_T0_PT8_S1_lS4_S1_lS2_PT9_S1_li
	.p2align	8
	.type	_ZL34rocblas_syrkx_herkx_general_kernelIidLi16ELi32ELi8ELb0ELb0ELc78ELc76EKddEviT_T0_PT8_S1_lS4_S1_lS2_PT9_S1_li,@function
_ZL34rocblas_syrkx_herkx_general_kernelIidLi16ELi32ELi8ELb0ELb0ELc78ELc76EKddEviT_T0_PT8_S1_lS4_S1_lS2_PT9_S1_li: ; @_ZL34rocblas_syrkx_herkx_general_kernelIidLi16ELi32ELi8ELb0ELb0ELc78ELc76EKddEviT_T0_PT8_S1_lS4_S1_lS2_PT9_S1_li
; %bb.0:
	s_load_dwordx2 s[10:11], s[4:5], 0x0
	s_load_dwordx4 s[12:15], s[4:5], 0x8
	s_load_dwordx4 s[16:19], s[4:5], 0x38
	s_load_dwordx2 s[24:25], s[4:5], 0x48
	s_lshl_b32 s9, s6, 5
	s_lshl_b32 s26, s7, 5
	s_waitcnt lgkmcnt(0)
	s_cmp_lt_i32 s11, 1
	s_mov_b32 s27, 0
	s_cbranch_scc1 .LBB147_7
; %bb.1:
	v_lshl_add_u32 v2, v1, 4, v0
	v_and_b32_e32 v6, 31, v2
	v_lshrrev_b32_e32 v17, 5, v2
	v_lshrrev_b32_e32 v3, 3, v2
	v_or_b32_e32 v2, s9, v6
	s_load_dword s6, s[4:5], 0x18
	s_load_dword s28, s[4:5], 0x30
	s_load_dwordx4 s[20:23], s[4:5], 0x20
	v_and_b32_e32 v16, 7, v0
	v_cmp_gt_i32_e32 vcc, s10, v2
	v_lshlrev_b32_e32 v2, 3, v6
	v_lshl_or_b32 v18, v17, 8, v2
	v_lshlrev_b32_e32 v2, 3, v16
	v_lshl_or_b32 v2, v3, 6, v2
	v_add_u32_e32 v4, s26, v3
	v_add_u32_e32 v19, 0x800, v2
	s_waitcnt lgkmcnt(0)
	v_mad_i64_i32 v[2:3], s[2:3], v17, s6, 0
	s_mul_i32 s2, s21, s8
	s_mul_hi_u32 s3, s20, s8
	v_lshlrev_b64 v[2:3], 3, v[2:3]
	s_add_i32 s3, s3, s2
	s_mul_i32 s2, s20, s8
	v_mov_b32_e32 v7, 0x800
	s_lshl_b64 s[2:3], s[2:3], 3
	v_lshl_add_u32 v21, v1, 6, v7
	v_mov_b32_e32 v7, s3
	v_add_co_u32_e64 v8, s[2:3], s2, v2
	v_add_u32_e32 v2, s9, v6
	v_addc_co_u32_e64 v7, s[2:3], v3, v7, s[2:3]
	v_ashrrev_i32_e32 v3, 31, v2
	v_lshlrev_b64 v[2:3], 3, v[2:3]
	v_mov_b32_e32 v6, s15
	v_add_co_u32_e64 v2, s[2:3], v8, v2
	v_addc_co_u32_e64 v3, s[2:3], v7, v3, s[2:3]
	v_add_co_u32_e64 v2, s[2:3], s14, v2
	v_addc_co_u32_e64 v3, s[2:3], v6, v3, s[2:3]
	v_mad_i64_i32 v[6:7], s[2:3], s28, v16, 0
	s_mul_i32 s14, s17, s8
	s_mul_hi_u32 s15, s16, s8
	s_add_i32 s3, s15, s14
	s_mul_i32 s2, s16, s8
	v_lshlrev_b64 v[6:7], 3, v[6:7]
	v_ashrrev_i32_e32 v5, 31, v4
	s_lshl_b64 s[2:3], s[2:3], 3
	v_cmp_gt_i32_e64 s[0:1], s10, v4
	v_mov_b32_e32 v8, s3
	v_add_co_u32_e64 v6, s[2:3], s2, v6
	v_lshlrev_b64 v[4:5], 3, v[4:5]
	v_addc_co_u32_e64 v7, s[2:3], v8, v7, s[2:3]
	v_add_co_u32_e64 v4, s[2:3], v6, v4
	v_addc_co_u32_e64 v5, s[2:3], v7, v5, s[2:3]
	s_ashr_i32 s7, s6, 31
	s_ashr_i32 s29, s28, 31
	v_mov_b32_e32 v6, s23
	v_add_co_u32_e64 v4, s[2:3], s22, v4
	s_lshl_b64 s[6:7], s[6:7], 6
	v_addc_co_u32_e64 v5, s[2:3], v6, v5, s[2:3]
	s_lshl_b64 s[14:15], s[28:29], 6
	v_mov_b32_e32 v6, 0
	v_mov_b32_e32 v8, 0
	;; [unrolled: 1-line block ×4, first 2 shown]
	v_lshlrev_b32_e32 v20, 3, v0
	v_mov_b32_e32 v7, 0
	v_mov_b32_e32 v22, s7
	;; [unrolled: 1-line block ×6, first 2 shown]
	s_branch .LBB147_3
.LBB147_2:                              ;   in Loop: Header=BB147_3 Depth=1
	s_or_b64 exec, exec, s[2:3]
	s_waitcnt vmcnt(0)
	ds_write_b64 v19, v[14:15]
	s_waitcnt lgkmcnt(0)
	s_barrier
	ds_read2_b64 v[24:27], v20 offset1:16
	ds_read_b128 v[28:31], v21
	ds_read_b128 v[32:35], v21 offset:1024
	v_add_co_u32_e64 v2, s[2:3], s6, v2
	v_addc_co_u32_e64 v3, s[2:3], v3, v22, s[2:3]
	s_waitcnt lgkmcnt(1)
	v_fma_f64 v[12:13], v[24:25], v[28:29], v[12:13]
	v_fma_f64 v[10:11], v[26:27], v[28:29], v[10:11]
	s_waitcnt lgkmcnt(0)
	v_fma_f64 v[14:15], v[24:25], v[32:33], v[8:9]
	v_fma_f64 v[24:25], v[26:27], v[32:33], v[6:7]
	ds_read2_b64 v[6:9], v20 offset0:32 offset1:48
	s_add_i32 s27, s27, 8
	v_add_co_u32_e64 v4, s[2:3], s14, v4
	s_cmp_ge_i32 s27, s11
	s_waitcnt lgkmcnt(0)
	v_fma_f64 v[28:29], v[6:7], v[30:31], v[12:13]
	v_fma_f64 v[30:31], v[8:9], v[30:31], v[10:11]
	;; [unrolled: 1-line block ×4, first 2 shown]
	ds_read_b128 v[10:13], v21 offset:16
	ds_read2_b64 v[6:9], v20 offset0:64 offset1:80
	ds_read_b128 v[24:27], v21 offset:1040
	v_addc_co_u32_e64 v5, s[2:3], v5, v23, s[2:3]
	s_waitcnt lgkmcnt(1)
	v_fma_f64 v[28:29], v[6:7], v[10:11], v[28:29]
	v_fma_f64 v[10:11], v[8:9], v[10:11], v[30:31]
	s_waitcnt lgkmcnt(0)
	v_fma_f64 v[14:15], v[6:7], v[24:25], v[14:15]
	v_fma_f64 v[24:25], v[8:9], v[24:25], v[32:33]
	ds_read2_b64 v[6:9], v20 offset0:96 offset1:112
	s_waitcnt lgkmcnt(0)
	v_fma_f64 v[28:29], v[6:7], v[12:13], v[28:29]
	v_fma_f64 v[30:31], v[8:9], v[12:13], v[10:11]
	;; [unrolled: 1-line block ×4, first 2 shown]
	ds_read2_b64 v[10:13], v20 offset0:128 offset1:144
	ds_read_b128 v[6:9], v21 offset:32
	ds_read_b128 v[24:27], v21 offset:1056
	s_waitcnt lgkmcnt(1)
	v_fma_f64 v[28:29], v[10:11], v[6:7], v[28:29]
	v_fma_f64 v[6:7], v[12:13], v[6:7], v[30:31]
	s_waitcnt lgkmcnt(0)
	v_fma_f64 v[14:15], v[10:11], v[24:25], v[14:15]
	v_fma_f64 v[24:25], v[12:13], v[24:25], v[32:33]
	ds_read2_b64 v[10:13], v20 offset0:160 offset1:176
	s_waitcnt lgkmcnt(0)
	v_fma_f64 v[28:29], v[10:11], v[8:9], v[28:29]
	v_fma_f64 v[30:31], v[12:13], v[8:9], v[6:7]
	;; [unrolled: 1-line block ×4, first 2 shown]
	ds_read_b128 v[6:9], v21 offset:48
	ds_read2_b64 v[10:13], v20 offset0:192 offset1:208
	ds_read_b128 v[24:27], v21 offset:1072
	s_waitcnt lgkmcnt(1)
	v_fma_f64 v[34:35], v[10:11], v[6:7], v[28:29]
	v_fma_f64 v[6:7], v[12:13], v[6:7], v[30:31]
	s_waitcnt lgkmcnt(0)
	v_fma_f64 v[14:15], v[10:11], v[24:25], v[14:15]
	v_fma_f64 v[24:25], v[12:13], v[24:25], v[32:33]
	ds_read2_b64 v[28:31], v20 offset0:224 offset1:240
	s_waitcnt lgkmcnt(0)
	s_barrier
	v_fma_f64 v[12:13], v[28:29], v[8:9], v[34:35]
	v_fma_f64 v[10:11], v[30:31], v[8:9], v[6:7]
	;; [unrolled: 1-line block ×4, first 2 shown]
	s_cbranch_scc1 .LBB147_8
.LBB147_3:                              ; =>This Inner Loop Header: Depth=1
	v_add_u32_e32 v14, s27, v17
	v_cmp_gt_i32_e64 s[2:3], s11, v14
	v_mov_b32_e32 v14, 0
	v_mov_b32_e32 v15, 0
	s_and_b64 s[16:17], vcc, s[2:3]
	s_and_saveexec_b64 s[2:3], s[16:17]
	s_cbranch_execz .LBB147_5
; %bb.4:                                ;   in Loop: Header=BB147_3 Depth=1
	global_load_dwordx2 v[14:15], v[2:3], off
.LBB147_5:                              ;   in Loop: Header=BB147_3 Depth=1
	s_or_b64 exec, exec, s[2:3]
	s_waitcnt vmcnt(0)
	ds_write_b64 v18, v[14:15]
	v_add_u32_e32 v14, s27, v16
	v_cmp_gt_i32_e64 s[2:3], s11, v14
	v_mov_b32_e32 v14, 0
	v_mov_b32_e32 v15, 0
	s_and_b64 s[16:17], s[2:3], s[0:1]
	s_and_saveexec_b64 s[2:3], s[16:17]
	s_cbranch_execz .LBB147_2
; %bb.6:                                ;   in Loop: Header=BB147_3 Depth=1
	global_load_dwordx2 v[14:15], v[4:5], off
	s_branch .LBB147_2
.LBB147_7:
	v_mov_b32_e32 v12, 0
	v_mov_b32_e32 v10, 0
	;; [unrolled: 1-line block ×8, first 2 shown]
.LBB147_8:
	s_load_dwordx2 s[0:1], s[4:5], 0x58
	s_load_dword s6, s[4:5], 0x50
	v_add_u32_e32 v4, s26, v1
	v_add_u32_e32 v0, s9, v0
	s_waitcnt lgkmcnt(0)
	s_mul_i32 s1, s1, s8
	s_mul_hi_u32 s2, s0, s8
	s_add_i32 s1, s2, s1
	v_mad_i64_i32 v[1:2], s[2:3], v4, s6, 0
	s_mul_i32 s0, s0, s8
	s_lshl_b64 s[0:1], s[0:1], 3
	s_add_u32 s7, s24, s0
	v_lshlrev_b64 v[1:2], 3, v[1:2]
	s_addc_u32 s8, s25, s1
	v_mov_b32_e32 v3, s8
	v_add_co_u32_e32 v5, vcc, s7, v1
	v_addc_co_u32_e32 v14, vcc, v3, v2, vcc
	v_cmp_le_i32_e64 s[0:1], v4, v0
	v_cmp_gt_i32_e32 vcc, s10, v0
	s_and_b64 s[0:1], s[0:1], vcc
	s_and_saveexec_b64 s[2:3], s[0:1]
	s_cbranch_execz .LBB147_10
; %bb.9:
	v_ashrrev_i32_e32 v1, 31, v0
	v_lshlrev_b64 v[1:2], 3, v[0:1]
	v_add_co_u32_e64 v1, s[0:1], v5, v1
	v_addc_co_u32_e64 v2, s[0:1], v14, v2, s[0:1]
	global_load_dwordx2 v[15:16], v[1:2], off
	s_waitcnt vmcnt(0)
	v_mul_f64 v[15:16], s[18:19], v[15:16]
	v_fma_f64 v[12:13], s[12:13], v[12:13], v[15:16]
	global_store_dwordx2 v[1:2], v[12:13], off
.LBB147_10:
	s_or_b64 exec, exec, s[2:3]
	v_add_u32_e32 v2, 16, v0
	v_cmp_le_i32_e64 s[2:3], v4, v2
	v_cmp_gt_i32_e64 s[0:1], s10, v2
	s_and_b64 s[2:3], s[2:3], s[0:1]
	s_and_saveexec_b64 s[4:5], s[2:3]
	s_cbranch_execz .LBB147_12
; %bb.11:
	v_ashrrev_i32_e32 v3, 31, v2
	v_lshlrev_b64 v[12:13], 3, v[2:3]
	v_add_co_u32_e64 v12, s[2:3], v5, v12
	v_addc_co_u32_e64 v13, s[2:3], v14, v13, s[2:3]
	global_load_dwordx2 v[14:15], v[12:13], off
	s_waitcnt vmcnt(0)
	v_mul_f64 v[14:15], s[18:19], v[14:15]
	v_fma_f64 v[10:11], s[12:13], v[10:11], v[14:15]
	global_store_dwordx2 v[12:13], v[10:11], off
.LBB147_12:
	s_or_b64 exec, exec, s[4:5]
	v_add_u32_e32 v3, 16, v4
	v_mad_i64_i32 v[4:5], s[2:3], v3, s6, 0
	v_mov_b32_e32 v1, s8
	v_lshlrev_b64 v[4:5], 3, v[4:5]
	v_add_co_u32_e64 v4, s[2:3], s7, v4
	v_addc_co_u32_e64 v5, s[2:3], v1, v5, s[2:3]
	v_cmp_le_i32_e64 s[2:3], v3, v0
	s_and_b64 s[4:5], s[2:3], vcc
	s_and_saveexec_b64 s[2:3], s[4:5]
	s_cbranch_execz .LBB147_14
; %bb.13:
	v_ashrrev_i32_e32 v1, 31, v0
	v_lshlrev_b64 v[0:1], 3, v[0:1]
	v_add_co_u32_e32 v0, vcc, v4, v0
	v_addc_co_u32_e32 v1, vcc, v5, v1, vcc
	global_load_dwordx2 v[10:11], v[0:1], off
	s_waitcnt vmcnt(0)
	v_mul_f64 v[10:11], s[18:19], v[10:11]
	v_fma_f64 v[8:9], s[12:13], v[8:9], v[10:11]
	global_store_dwordx2 v[0:1], v[8:9], off
.LBB147_14:
	s_or_b64 exec, exec, s[2:3]
	v_cmp_le_i32_e32 vcc, v3, v2
	s_and_b64 s[0:1], vcc, s[0:1]
	s_and_saveexec_b64 s[2:3], s[0:1]
	s_cbranch_execz .LBB147_16
; %bb.15:
	v_ashrrev_i32_e32 v3, 31, v2
	v_lshlrev_b64 v[0:1], 3, v[2:3]
	v_add_co_u32_e32 v0, vcc, v4, v0
	v_addc_co_u32_e32 v1, vcc, v5, v1, vcc
	global_load_dwordx2 v[2:3], v[0:1], off
	s_waitcnt vmcnt(0)
	v_mul_f64 v[2:3], s[18:19], v[2:3]
	v_fma_f64 v[2:3], s[12:13], v[6:7], v[2:3]
	global_store_dwordx2 v[0:1], v[2:3], off
.LBB147_16:
	s_endpgm
	.section	.rodata,"a",@progbits
	.p2align	6, 0x0
	.amdhsa_kernel _ZL34rocblas_syrkx_herkx_general_kernelIidLi16ELi32ELi8ELb0ELb0ELc78ELc76EKddEviT_T0_PT8_S1_lS4_S1_lS2_PT9_S1_li
		.amdhsa_group_segment_fixed_size 4096
		.amdhsa_private_segment_fixed_size 0
		.amdhsa_kernarg_size 100
		.amdhsa_user_sgpr_count 6
		.amdhsa_user_sgpr_private_segment_buffer 1
		.amdhsa_user_sgpr_dispatch_ptr 0
		.amdhsa_user_sgpr_queue_ptr 0
		.amdhsa_user_sgpr_kernarg_segment_ptr 1
		.amdhsa_user_sgpr_dispatch_id 0
		.amdhsa_user_sgpr_flat_scratch_init 0
		.amdhsa_user_sgpr_private_segment_size 0
		.amdhsa_uses_dynamic_stack 0
		.amdhsa_system_sgpr_private_segment_wavefront_offset 0
		.amdhsa_system_sgpr_workgroup_id_x 1
		.amdhsa_system_sgpr_workgroup_id_y 1
		.amdhsa_system_sgpr_workgroup_id_z 1
		.amdhsa_system_sgpr_workgroup_info 0
		.amdhsa_system_vgpr_workitem_id 1
		.amdhsa_next_free_vgpr 36
		.amdhsa_next_free_sgpr 30
		.amdhsa_reserve_vcc 1
		.amdhsa_reserve_flat_scratch 0
		.amdhsa_float_round_mode_32 0
		.amdhsa_float_round_mode_16_64 0
		.amdhsa_float_denorm_mode_32 3
		.amdhsa_float_denorm_mode_16_64 3
		.amdhsa_dx10_clamp 1
		.amdhsa_ieee_mode 1
		.amdhsa_fp16_overflow 0
		.amdhsa_exception_fp_ieee_invalid_op 0
		.amdhsa_exception_fp_denorm_src 0
		.amdhsa_exception_fp_ieee_div_zero 0
		.amdhsa_exception_fp_ieee_overflow 0
		.amdhsa_exception_fp_ieee_underflow 0
		.amdhsa_exception_fp_ieee_inexact 0
		.amdhsa_exception_int_div_zero 0
	.end_amdhsa_kernel
	.section	.text._ZL34rocblas_syrkx_herkx_general_kernelIidLi16ELi32ELi8ELb0ELb0ELc78ELc76EKddEviT_T0_PT8_S1_lS4_S1_lS2_PT9_S1_li,"axG",@progbits,_ZL34rocblas_syrkx_herkx_general_kernelIidLi16ELi32ELi8ELb0ELb0ELc78ELc76EKddEviT_T0_PT8_S1_lS4_S1_lS2_PT9_S1_li,comdat
.Lfunc_end147:
	.size	_ZL34rocblas_syrkx_herkx_general_kernelIidLi16ELi32ELi8ELb0ELb0ELc78ELc76EKddEviT_T0_PT8_S1_lS4_S1_lS2_PT9_S1_li, .Lfunc_end147-_ZL34rocblas_syrkx_herkx_general_kernelIidLi16ELi32ELi8ELb0ELb0ELc78ELc76EKddEviT_T0_PT8_S1_lS4_S1_lS2_PT9_S1_li
                                        ; -- End function
	.set _ZL34rocblas_syrkx_herkx_general_kernelIidLi16ELi32ELi8ELb0ELb0ELc78ELc76EKddEviT_T0_PT8_S1_lS4_S1_lS2_PT9_S1_li.num_vgpr, 36
	.set _ZL34rocblas_syrkx_herkx_general_kernelIidLi16ELi32ELi8ELb0ELb0ELc78ELc76EKddEviT_T0_PT8_S1_lS4_S1_lS2_PT9_S1_li.num_agpr, 0
	.set _ZL34rocblas_syrkx_herkx_general_kernelIidLi16ELi32ELi8ELb0ELb0ELc78ELc76EKddEviT_T0_PT8_S1_lS4_S1_lS2_PT9_S1_li.numbered_sgpr, 30
	.set _ZL34rocblas_syrkx_herkx_general_kernelIidLi16ELi32ELi8ELb0ELb0ELc78ELc76EKddEviT_T0_PT8_S1_lS4_S1_lS2_PT9_S1_li.num_named_barrier, 0
	.set _ZL34rocblas_syrkx_herkx_general_kernelIidLi16ELi32ELi8ELb0ELb0ELc78ELc76EKddEviT_T0_PT8_S1_lS4_S1_lS2_PT9_S1_li.private_seg_size, 0
	.set _ZL34rocblas_syrkx_herkx_general_kernelIidLi16ELi32ELi8ELb0ELb0ELc78ELc76EKddEviT_T0_PT8_S1_lS4_S1_lS2_PT9_S1_li.uses_vcc, 1
	.set _ZL34rocblas_syrkx_herkx_general_kernelIidLi16ELi32ELi8ELb0ELb0ELc78ELc76EKddEviT_T0_PT8_S1_lS4_S1_lS2_PT9_S1_li.uses_flat_scratch, 0
	.set _ZL34rocblas_syrkx_herkx_general_kernelIidLi16ELi32ELi8ELb0ELb0ELc78ELc76EKddEviT_T0_PT8_S1_lS4_S1_lS2_PT9_S1_li.has_dyn_sized_stack, 0
	.set _ZL34rocblas_syrkx_herkx_general_kernelIidLi16ELi32ELi8ELb0ELb0ELc78ELc76EKddEviT_T0_PT8_S1_lS4_S1_lS2_PT9_S1_li.has_recursion, 0
	.set _ZL34rocblas_syrkx_herkx_general_kernelIidLi16ELi32ELi8ELb0ELb0ELc78ELc76EKddEviT_T0_PT8_S1_lS4_S1_lS2_PT9_S1_li.has_indirect_call, 0
	.section	.AMDGPU.csdata,"",@progbits
; Kernel info:
; codeLenInByte = 1560
; TotalNumSgprs: 34
; NumVgprs: 36
; ScratchSize: 0
; MemoryBound: 0
; FloatMode: 240
; IeeeMode: 1
; LDSByteSize: 4096 bytes/workgroup (compile time only)
; SGPRBlocks: 4
; VGPRBlocks: 8
; NumSGPRsForWavesPerEU: 34
; NumVGPRsForWavesPerEU: 36
; Occupancy: 7
; WaveLimiterHint : 0
; COMPUTE_PGM_RSRC2:SCRATCH_EN: 0
; COMPUTE_PGM_RSRC2:USER_SGPR: 6
; COMPUTE_PGM_RSRC2:TRAP_HANDLER: 0
; COMPUTE_PGM_RSRC2:TGID_X_EN: 1
; COMPUTE_PGM_RSRC2:TGID_Y_EN: 1
; COMPUTE_PGM_RSRC2:TGID_Z_EN: 1
; COMPUTE_PGM_RSRC2:TIDIG_COMP_CNT: 1
	.section	.text._ZL34rocblas_syrkx_herkx_general_kernelIidLi16ELi32ELi8ELb0ELb0ELc84ELc85EKddEviT_T0_PT8_S1_lS4_S1_lS2_PT9_S1_li,"axG",@progbits,_ZL34rocblas_syrkx_herkx_general_kernelIidLi16ELi32ELi8ELb0ELb0ELc84ELc85EKddEviT_T0_PT8_S1_lS4_S1_lS2_PT9_S1_li,comdat
	.globl	_ZL34rocblas_syrkx_herkx_general_kernelIidLi16ELi32ELi8ELb0ELb0ELc84ELc85EKddEviT_T0_PT8_S1_lS4_S1_lS2_PT9_S1_li ; -- Begin function _ZL34rocblas_syrkx_herkx_general_kernelIidLi16ELi32ELi8ELb0ELb0ELc84ELc85EKddEviT_T0_PT8_S1_lS4_S1_lS2_PT9_S1_li
	.p2align	8
	.type	_ZL34rocblas_syrkx_herkx_general_kernelIidLi16ELi32ELi8ELb0ELb0ELc84ELc85EKddEviT_T0_PT8_S1_lS4_S1_lS2_PT9_S1_li,@function
_ZL34rocblas_syrkx_herkx_general_kernelIidLi16ELi32ELi8ELb0ELb0ELc84ELc85EKddEviT_T0_PT8_S1_lS4_S1_lS2_PT9_S1_li: ; @_ZL34rocblas_syrkx_herkx_general_kernelIidLi16ELi32ELi8ELb0ELb0ELc84ELc85EKddEviT_T0_PT8_S1_lS4_S1_lS2_PT9_S1_li
; %bb.0:
	s_load_dwordx2 s[10:11], s[4:5], 0x0
	s_load_dwordx4 s[12:15], s[4:5], 0x8
	s_load_dwordx4 s[16:19], s[4:5], 0x38
	s_load_dwordx2 s[24:25], s[4:5], 0x48
	s_lshl_b32 s6, s6, 5
	s_lshl_b32 s7, s7, 5
	s_waitcnt lgkmcnt(0)
	s_cmp_lt_i32 s11, 1
	s_mov_b32 s9, 0
	s_cbranch_scc1 .LBB148_7
; %bb.1:
	v_lshl_add_u32 v2, v1, 4, v0
	s_load_dword s2, s[4:5], 0x18
	s_load_dwordx4 s[20:23], s[4:5], 0x20
	s_load_dword s26, s[4:5], 0x30
	v_lshrrev_b32_e32 v17, 5, v2
	v_lshrrev_b32_e32 v3, 3, v2
	v_and_b32_e32 v2, 31, v2
	v_and_b32_e32 v16, 7, v0
	v_or_b32_e32 v5, s6, v2
	v_cmp_gt_i32_e32 vcc, s10, v5
	v_lshlrev_b32_e32 v5, 3, v2
	v_lshlrev_b32_e32 v6, 3, v16
	v_add_u32_e32 v2, s6, v2
	v_add_u32_e32 v4, s7, v3
	v_lshl_or_b32 v18, v17, 8, v5
	v_lshl_or_b32 v5, v3, 6, v6
	s_waitcnt lgkmcnt(0)
	v_mad_i64_i32 v[2:3], s[2:3], s2, v2, 0
	s_mul_i32 s2, s21, s8
	s_mul_hi_u32 s3, s20, s8
	v_lshlrev_b64 v[2:3], 3, v[2:3]
	s_add_i32 s3, s3, s2
	s_mul_i32 s2, s20, s8
	s_lshl_b64 s[2:3], s[2:3], 3
	v_add_u32_e32 v19, 0x800, v5
	v_mov_b32_e32 v5, s3
	v_add_co_u32_e64 v2, s[2:3], s2, v2
	v_addc_co_u32_e64 v3, s[2:3], v3, v5, s[2:3]
	v_lshlrev_b32_e32 v5, 3, v17
	v_add_co_u32_e64 v2, s[2:3], v2, v5
	v_cmp_gt_i32_e64 s[0:1], s10, v4
	v_addc_co_u32_e64 v3, s[2:3], 0, v3, s[2:3]
	v_mad_i64_i32 v[4:5], s[2:3], s26, v4, 0
	v_mov_b32_e32 v7, s15
	v_add_co_u32_e64 v2, s[2:3], s14, v2
	v_addc_co_u32_e64 v3, s[2:3], v7, v3, s[2:3]
	s_mul_i32 s2, s17, s8
	s_mul_hi_u32 s3, s16, s8
	v_lshlrev_b64 v[4:5], 3, v[4:5]
	s_add_i32 s3, s3, s2
	s_mul_i32 s2, s16, s8
	s_lshl_b64 s[2:3], s[2:3], 3
	v_mov_b32_e32 v7, s3
	v_add_co_u32_e64 v4, s[2:3], s2, v4
	v_addc_co_u32_e64 v5, s[2:3], v5, v7, s[2:3]
	v_add_co_u32_e64 v4, s[2:3], v4, v6
	v_addc_co_u32_e64 v5, s[2:3], 0, v5, s[2:3]
	v_mov_b32_e32 v6, s23
	v_add_co_u32_e64 v4, s[2:3], s22, v4
	v_mov_b32_e32 v14, 0x800
	v_addc_co_u32_e64 v5, s[2:3], v6, v5, s[2:3]
	v_mov_b32_e32 v6, 0
	v_mov_b32_e32 v8, 0
	;; [unrolled: 1-line block ×4, first 2 shown]
	v_lshlrev_b32_e32 v20, 3, v0
	v_mov_b32_e32 v7, 0
	v_mov_b32_e32 v9, 0
	;; [unrolled: 1-line block ×4, first 2 shown]
	v_lshl_add_u32 v21, v1, 6, v14
	s_branch .LBB148_3
.LBB148_2:                              ;   in Loop: Header=BB148_3 Depth=1
	s_or_b64 exec, exec, s[2:3]
	s_waitcnt vmcnt(0)
	ds_write_b64 v19, v[14:15]
	s_waitcnt lgkmcnt(0)
	s_barrier
	ds_read2_b64 v[22:25], v20 offset1:16
	ds_read_b128 v[26:29], v21
	v_add_co_u32_e64 v2, s[2:3], 64, v2
	v_addc_co_u32_e64 v3, s[2:3], 0, v3, s[2:3]
	s_waitcnt lgkmcnt(0)
	v_fma_f64 v[14:15], v[22:23], v[26:27], v[12:13]
	v_fma_f64 v[26:27], v[24:25], v[26:27], v[10:11]
	ds_read_b128 v[10:13], v21 offset:1024
	s_add_i32 s9, s9, 8
	v_add_co_u32_e64 v4, s[2:3], 64, v4
	s_cmp_ge_i32 s9, s11
	s_waitcnt lgkmcnt(0)
	v_fma_f64 v[22:23], v[22:23], v[10:11], v[8:9]
	v_fma_f64 v[10:11], v[24:25], v[10:11], v[6:7]
	ds_read2_b64 v[6:9], v20 offset0:32 offset1:48
	v_addc_co_u32_e64 v5, s[2:3], 0, v5, s[2:3]
	s_waitcnt lgkmcnt(0)
	v_fma_f64 v[14:15], v[6:7], v[28:29], v[14:15]
	v_fma_f64 v[24:25], v[8:9], v[28:29], v[26:27]
	;; [unrolled: 1-line block ×4, first 2 shown]
	ds_read_b128 v[6:9], v21 offset:16
	ds_read2_b64 v[10:13], v20 offset0:64 offset1:80
	s_waitcnt lgkmcnt(0)
	v_fma_f64 v[14:15], v[10:11], v[6:7], v[14:15]
	v_fma_f64 v[6:7], v[12:13], v[6:7], v[24:25]
	ds_read_b128 v[22:25], v21 offset:1040
	s_waitcnt lgkmcnt(0)
	v_fma_f64 v[26:27], v[10:11], v[22:23], v[26:27]
	v_fma_f64 v[22:23], v[12:13], v[22:23], v[28:29]
	ds_read2_b64 v[10:13], v20 offset0:96 offset1:112
	s_waitcnt lgkmcnt(0)
	v_fma_f64 v[14:15], v[10:11], v[8:9], v[14:15]
	v_fma_f64 v[28:29], v[12:13], v[8:9], v[6:7]
	;; [unrolled: 1-line block ×4, first 2 shown]
	ds_read2_b64 v[6:9], v20 offset0:128 offset1:144
	ds_read_b128 v[10:13], v21 offset:32
	ds_read_b128 v[22:25], v21 offset:1056
	s_waitcnt lgkmcnt(1)
	v_fma_f64 v[14:15], v[6:7], v[10:11], v[14:15]
	v_fma_f64 v[10:11], v[8:9], v[10:11], v[28:29]
	s_waitcnt lgkmcnt(0)
	v_fma_f64 v[26:27], v[6:7], v[22:23], v[26:27]
	v_fma_f64 v[22:23], v[8:9], v[22:23], v[30:31]
	ds_read2_b64 v[6:9], v20 offset0:160 offset1:176
	s_waitcnt lgkmcnt(0)
	v_fma_f64 v[14:15], v[6:7], v[12:13], v[14:15]
	v_fma_f64 v[28:29], v[8:9], v[12:13], v[10:11]
	;; [unrolled: 1-line block ×4, first 2 shown]
	ds_read_b128 v[6:9], v21 offset:48
	ds_read2_b64 v[10:13], v20 offset0:192 offset1:208
	ds_read_b128 v[22:25], v21 offset:1072
	s_waitcnt lgkmcnt(1)
	v_fma_f64 v[14:15], v[10:11], v[6:7], v[14:15]
	v_fma_f64 v[6:7], v[12:13], v[6:7], v[28:29]
	s_waitcnt lgkmcnt(0)
	v_fma_f64 v[32:33], v[10:11], v[22:23], v[26:27]
	v_fma_f64 v[22:23], v[12:13], v[22:23], v[30:31]
	ds_read2_b64 v[26:29], v20 offset0:224 offset1:240
	s_waitcnt lgkmcnt(0)
	s_barrier
	v_fma_f64 v[12:13], v[26:27], v[8:9], v[14:15]
	v_fma_f64 v[10:11], v[28:29], v[8:9], v[6:7]
	;; [unrolled: 1-line block ×4, first 2 shown]
	s_cbranch_scc1 .LBB148_8
.LBB148_3:                              ; =>This Inner Loop Header: Depth=1
	v_add_u32_e32 v14, s9, v17
	v_cmp_gt_i32_e64 s[2:3], s11, v14
	v_mov_b32_e32 v14, 0
	v_mov_b32_e32 v15, 0
	s_and_b64 s[14:15], vcc, s[2:3]
	s_and_saveexec_b64 s[2:3], s[14:15]
	s_cbranch_execz .LBB148_5
; %bb.4:                                ;   in Loop: Header=BB148_3 Depth=1
	global_load_dwordx2 v[14:15], v[2:3], off
.LBB148_5:                              ;   in Loop: Header=BB148_3 Depth=1
	s_or_b64 exec, exec, s[2:3]
	s_waitcnt vmcnt(0)
	ds_write_b64 v18, v[14:15]
	v_add_u32_e32 v14, s9, v16
	v_cmp_gt_i32_e64 s[2:3], s11, v14
	v_mov_b32_e32 v14, 0
	v_mov_b32_e32 v15, 0
	s_and_b64 s[14:15], s[2:3], s[0:1]
	s_and_saveexec_b64 s[2:3], s[14:15]
	s_cbranch_execz .LBB148_2
; %bb.6:                                ;   in Loop: Header=BB148_3 Depth=1
	global_load_dwordx2 v[14:15], v[4:5], off
	s_branch .LBB148_2
.LBB148_7:
	v_mov_b32_e32 v12, 0
	v_mov_b32_e32 v10, 0
	v_mov_b32_e32 v8, 0
	v_mov_b32_e32 v6, 0
	v_mov_b32_e32 v13, 0
	v_mov_b32_e32 v11, 0
	v_mov_b32_e32 v9, 0
	v_mov_b32_e32 v7, 0
.LBB148_8:
	s_load_dwordx2 s[0:1], s[4:5], 0x58
	s_load_dword s9, s[4:5], 0x50
	v_add_u32_e32 v4, s7, v1
	v_add_u32_e32 v0, s6, v0
	v_cmp_gt_i32_e32 vcc, s10, v4
	s_waitcnt lgkmcnt(0)
	s_mul_i32 s1, s1, s8
	s_mul_hi_u32 s2, s0, s8
	s_add_i32 s1, s2, s1
	v_mad_i64_i32 v[1:2], s[2:3], v4, s9, 0
	s_mul_i32 s0, s0, s8
	s_lshl_b64 s[0:1], s[0:1], 3
	s_add_u32 s4, s24, s0
	v_lshlrev_b64 v[1:2], 3, v[1:2]
	s_addc_u32 s5, s25, s1
	v_mov_b32_e32 v3, s5
	v_add_co_u32_e64 v5, s[0:1], s4, v1
	v_addc_co_u32_e64 v14, s[0:1], v3, v2, s[0:1]
	v_cmp_le_i32_e64 s[0:1], v0, v4
	s_and_b64 s[0:1], vcc, s[0:1]
	s_and_saveexec_b64 s[2:3], s[0:1]
	s_cbranch_execz .LBB148_10
; %bb.9:
	v_ashrrev_i32_e32 v1, 31, v0
	v_lshlrev_b64 v[1:2], 3, v[0:1]
	v_add_co_u32_e64 v1, s[0:1], v5, v1
	v_addc_co_u32_e64 v2, s[0:1], v14, v2, s[0:1]
	global_load_dwordx2 v[15:16], v[1:2], off
	s_waitcnt vmcnt(0)
	v_mul_f64 v[15:16], s[18:19], v[15:16]
	v_fma_f64 v[12:13], s[12:13], v[12:13], v[15:16]
	global_store_dwordx2 v[1:2], v[12:13], off
.LBB148_10:
	s_or_b64 exec, exec, s[2:3]
	v_add_u32_e32 v2, 16, v0
	v_cmp_le_i32_e64 s[0:1], v2, v4
	s_and_b64 s[2:3], vcc, s[0:1]
	s_and_saveexec_b64 s[0:1], s[2:3]
	s_cbranch_execz .LBB148_12
; %bb.11:
	v_ashrrev_i32_e32 v3, 31, v2
	v_lshlrev_b64 v[12:13], 3, v[2:3]
	v_add_co_u32_e32 v12, vcc, v5, v12
	v_addc_co_u32_e32 v13, vcc, v14, v13, vcc
	global_load_dwordx2 v[14:15], v[12:13], off
	s_waitcnt vmcnt(0)
	v_mul_f64 v[14:15], s[18:19], v[14:15]
	v_fma_f64 v[10:11], s[12:13], v[10:11], v[14:15]
	global_store_dwordx2 v[12:13], v[10:11], off
.LBB148_12:
	s_or_b64 exec, exec, s[0:1]
	v_add_u32_e32 v3, 16, v4
	v_mad_i64_i32 v[4:5], s[0:1], v3, s9, 0
	v_mov_b32_e32 v1, s5
	v_cmp_gt_i32_e32 vcc, s10, v3
	v_lshlrev_b64 v[4:5], 3, v[4:5]
	v_add_co_u32_e64 v4, s[0:1], s4, v4
	v_addc_co_u32_e64 v5, s[0:1], v1, v5, s[0:1]
	v_cmp_le_i32_e64 s[0:1], v0, v3
	s_and_b64 s[0:1], vcc, s[0:1]
	s_and_saveexec_b64 s[2:3], s[0:1]
	s_cbranch_execz .LBB148_14
; %bb.13:
	v_ashrrev_i32_e32 v1, 31, v0
	v_lshlrev_b64 v[0:1], 3, v[0:1]
	v_add_co_u32_e64 v0, s[0:1], v4, v0
	v_addc_co_u32_e64 v1, s[0:1], v5, v1, s[0:1]
	global_load_dwordx2 v[10:11], v[0:1], off
	s_waitcnt vmcnt(0)
	v_mul_f64 v[10:11], s[18:19], v[10:11]
	v_fma_f64 v[8:9], s[12:13], v[8:9], v[10:11]
	global_store_dwordx2 v[0:1], v[8:9], off
.LBB148_14:
	s_or_b64 exec, exec, s[2:3]
	v_cmp_le_i32_e64 s[0:1], v2, v3
	s_and_b64 s[0:1], vcc, s[0:1]
	s_and_saveexec_b64 s[2:3], s[0:1]
	s_cbranch_execz .LBB148_16
; %bb.15:
	v_ashrrev_i32_e32 v3, 31, v2
	v_lshlrev_b64 v[0:1], 3, v[2:3]
	v_add_co_u32_e32 v0, vcc, v4, v0
	v_addc_co_u32_e32 v1, vcc, v5, v1, vcc
	global_load_dwordx2 v[2:3], v[0:1], off
	s_waitcnt vmcnt(0)
	v_mul_f64 v[2:3], s[18:19], v[2:3]
	v_fma_f64 v[2:3], s[12:13], v[6:7], v[2:3]
	global_store_dwordx2 v[0:1], v[2:3], off
.LBB148_16:
	s_endpgm
	.section	.rodata,"a",@progbits
	.p2align	6, 0x0
	.amdhsa_kernel _ZL34rocblas_syrkx_herkx_general_kernelIidLi16ELi32ELi8ELb0ELb0ELc84ELc85EKddEviT_T0_PT8_S1_lS4_S1_lS2_PT9_S1_li
		.amdhsa_group_segment_fixed_size 4096
		.amdhsa_private_segment_fixed_size 0
		.amdhsa_kernarg_size 100
		.amdhsa_user_sgpr_count 6
		.amdhsa_user_sgpr_private_segment_buffer 1
		.amdhsa_user_sgpr_dispatch_ptr 0
		.amdhsa_user_sgpr_queue_ptr 0
		.amdhsa_user_sgpr_kernarg_segment_ptr 1
		.amdhsa_user_sgpr_dispatch_id 0
		.amdhsa_user_sgpr_flat_scratch_init 0
		.amdhsa_user_sgpr_private_segment_size 0
		.amdhsa_uses_dynamic_stack 0
		.amdhsa_system_sgpr_private_segment_wavefront_offset 0
		.amdhsa_system_sgpr_workgroup_id_x 1
		.amdhsa_system_sgpr_workgroup_id_y 1
		.amdhsa_system_sgpr_workgroup_id_z 1
		.amdhsa_system_sgpr_workgroup_info 0
		.amdhsa_system_vgpr_workitem_id 1
		.amdhsa_next_free_vgpr 34
		.amdhsa_next_free_sgpr 27
		.amdhsa_reserve_vcc 1
		.amdhsa_reserve_flat_scratch 0
		.amdhsa_float_round_mode_32 0
		.amdhsa_float_round_mode_16_64 0
		.amdhsa_float_denorm_mode_32 3
		.amdhsa_float_denorm_mode_16_64 3
		.amdhsa_dx10_clamp 1
		.amdhsa_ieee_mode 1
		.amdhsa_fp16_overflow 0
		.amdhsa_exception_fp_ieee_invalid_op 0
		.amdhsa_exception_fp_denorm_src 0
		.amdhsa_exception_fp_ieee_div_zero 0
		.amdhsa_exception_fp_ieee_overflow 0
		.amdhsa_exception_fp_ieee_underflow 0
		.amdhsa_exception_fp_ieee_inexact 0
		.amdhsa_exception_int_div_zero 0
	.end_amdhsa_kernel
	.section	.text._ZL34rocblas_syrkx_herkx_general_kernelIidLi16ELi32ELi8ELb0ELb0ELc84ELc85EKddEviT_T0_PT8_S1_lS4_S1_lS2_PT9_S1_li,"axG",@progbits,_ZL34rocblas_syrkx_herkx_general_kernelIidLi16ELi32ELi8ELb0ELb0ELc84ELc85EKddEviT_T0_PT8_S1_lS4_S1_lS2_PT9_S1_li,comdat
.Lfunc_end148:
	.size	_ZL34rocblas_syrkx_herkx_general_kernelIidLi16ELi32ELi8ELb0ELb0ELc84ELc85EKddEviT_T0_PT8_S1_lS4_S1_lS2_PT9_S1_li, .Lfunc_end148-_ZL34rocblas_syrkx_herkx_general_kernelIidLi16ELi32ELi8ELb0ELb0ELc84ELc85EKddEviT_T0_PT8_S1_lS4_S1_lS2_PT9_S1_li
                                        ; -- End function
	.set _ZL34rocblas_syrkx_herkx_general_kernelIidLi16ELi32ELi8ELb0ELb0ELc84ELc85EKddEviT_T0_PT8_S1_lS4_S1_lS2_PT9_S1_li.num_vgpr, 34
	.set _ZL34rocblas_syrkx_herkx_general_kernelIidLi16ELi32ELi8ELb0ELb0ELc84ELc85EKddEviT_T0_PT8_S1_lS4_S1_lS2_PT9_S1_li.num_agpr, 0
	.set _ZL34rocblas_syrkx_herkx_general_kernelIidLi16ELi32ELi8ELb0ELb0ELc84ELc85EKddEviT_T0_PT8_S1_lS4_S1_lS2_PT9_S1_li.numbered_sgpr, 27
	.set _ZL34rocblas_syrkx_herkx_general_kernelIidLi16ELi32ELi8ELb0ELb0ELc84ELc85EKddEviT_T0_PT8_S1_lS4_S1_lS2_PT9_S1_li.num_named_barrier, 0
	.set _ZL34rocblas_syrkx_herkx_general_kernelIidLi16ELi32ELi8ELb0ELb0ELc84ELc85EKddEviT_T0_PT8_S1_lS4_S1_lS2_PT9_S1_li.private_seg_size, 0
	.set _ZL34rocblas_syrkx_herkx_general_kernelIidLi16ELi32ELi8ELb0ELb0ELc84ELc85EKddEviT_T0_PT8_S1_lS4_S1_lS2_PT9_S1_li.uses_vcc, 1
	.set _ZL34rocblas_syrkx_herkx_general_kernelIidLi16ELi32ELi8ELb0ELb0ELc84ELc85EKddEviT_T0_PT8_S1_lS4_S1_lS2_PT9_S1_li.uses_flat_scratch, 0
	.set _ZL34rocblas_syrkx_herkx_general_kernelIidLi16ELi32ELi8ELb0ELb0ELc84ELc85EKddEviT_T0_PT8_S1_lS4_S1_lS2_PT9_S1_li.has_dyn_sized_stack, 0
	.set _ZL34rocblas_syrkx_herkx_general_kernelIidLi16ELi32ELi8ELb0ELb0ELc84ELc85EKddEviT_T0_PT8_S1_lS4_S1_lS2_PT9_S1_li.has_recursion, 0
	.set _ZL34rocblas_syrkx_herkx_general_kernelIidLi16ELi32ELi8ELb0ELb0ELc84ELc85EKddEviT_T0_PT8_S1_lS4_S1_lS2_PT9_S1_li.has_indirect_call, 0
	.section	.AMDGPU.csdata,"",@progbits
; Kernel info:
; codeLenInByte = 1524
; TotalNumSgprs: 31
; NumVgprs: 34
; ScratchSize: 0
; MemoryBound: 0
; FloatMode: 240
; IeeeMode: 1
; LDSByteSize: 4096 bytes/workgroup (compile time only)
; SGPRBlocks: 3
; VGPRBlocks: 8
; NumSGPRsForWavesPerEU: 31
; NumVGPRsForWavesPerEU: 34
; Occupancy: 7
; WaveLimiterHint : 0
; COMPUTE_PGM_RSRC2:SCRATCH_EN: 0
; COMPUTE_PGM_RSRC2:USER_SGPR: 6
; COMPUTE_PGM_RSRC2:TRAP_HANDLER: 0
; COMPUTE_PGM_RSRC2:TGID_X_EN: 1
; COMPUTE_PGM_RSRC2:TGID_Y_EN: 1
; COMPUTE_PGM_RSRC2:TGID_Z_EN: 1
; COMPUTE_PGM_RSRC2:TIDIG_COMP_CNT: 1
	.section	.text._ZL34rocblas_syrkx_herkx_general_kernelIidLi16ELi32ELi8ELb0ELb0ELc67ELc85EKddEviT_T0_PT8_S1_lS4_S1_lS2_PT9_S1_li,"axG",@progbits,_ZL34rocblas_syrkx_herkx_general_kernelIidLi16ELi32ELi8ELb0ELb0ELc67ELc85EKddEviT_T0_PT8_S1_lS4_S1_lS2_PT9_S1_li,comdat
	.globl	_ZL34rocblas_syrkx_herkx_general_kernelIidLi16ELi32ELi8ELb0ELb0ELc67ELc85EKddEviT_T0_PT8_S1_lS4_S1_lS2_PT9_S1_li ; -- Begin function _ZL34rocblas_syrkx_herkx_general_kernelIidLi16ELi32ELi8ELb0ELb0ELc67ELc85EKddEviT_T0_PT8_S1_lS4_S1_lS2_PT9_S1_li
	.p2align	8
	.type	_ZL34rocblas_syrkx_herkx_general_kernelIidLi16ELi32ELi8ELb0ELb0ELc67ELc85EKddEviT_T0_PT8_S1_lS4_S1_lS2_PT9_S1_li,@function
_ZL34rocblas_syrkx_herkx_general_kernelIidLi16ELi32ELi8ELb0ELb0ELc67ELc85EKddEviT_T0_PT8_S1_lS4_S1_lS2_PT9_S1_li: ; @_ZL34rocblas_syrkx_herkx_general_kernelIidLi16ELi32ELi8ELb0ELb0ELc67ELc85EKddEviT_T0_PT8_S1_lS4_S1_lS2_PT9_S1_li
; %bb.0:
	s_load_dwordx2 s[10:11], s[4:5], 0x0
	s_load_dwordx4 s[12:15], s[4:5], 0x8
	s_load_dwordx4 s[16:19], s[4:5], 0x38
	s_load_dwordx2 s[24:25], s[4:5], 0x48
	s_lshl_b32 s6, s6, 5
	s_lshl_b32 s7, s7, 5
	s_waitcnt lgkmcnt(0)
	s_cmp_lt_i32 s11, 1
	s_mov_b32 s9, 0
	s_cbranch_scc1 .LBB149_7
; %bb.1:
	v_lshl_add_u32 v2, v1, 4, v0
	s_load_dword s2, s[4:5], 0x18
	s_load_dwordx4 s[20:23], s[4:5], 0x20
	s_load_dword s26, s[4:5], 0x30
	v_lshrrev_b32_e32 v17, 5, v2
	v_lshrrev_b32_e32 v3, 3, v2
	v_and_b32_e32 v2, 31, v2
	v_and_b32_e32 v16, 7, v0
	v_or_b32_e32 v5, s6, v2
	v_cmp_gt_i32_e32 vcc, s10, v5
	v_lshlrev_b32_e32 v5, 3, v2
	v_lshlrev_b32_e32 v6, 3, v16
	v_add_u32_e32 v2, s6, v2
	v_add_u32_e32 v4, s7, v3
	v_lshl_or_b32 v18, v17, 8, v5
	v_lshl_or_b32 v5, v3, 6, v6
	s_waitcnt lgkmcnt(0)
	v_mad_i64_i32 v[2:3], s[2:3], s2, v2, 0
	s_mul_i32 s2, s21, s8
	s_mul_hi_u32 s3, s20, s8
	v_lshlrev_b64 v[2:3], 3, v[2:3]
	s_add_i32 s3, s3, s2
	s_mul_i32 s2, s20, s8
	s_lshl_b64 s[2:3], s[2:3], 3
	v_add_u32_e32 v19, 0x800, v5
	v_mov_b32_e32 v5, s3
	v_add_co_u32_e64 v2, s[2:3], s2, v2
	v_addc_co_u32_e64 v3, s[2:3], v3, v5, s[2:3]
	v_lshlrev_b32_e32 v5, 3, v17
	v_add_co_u32_e64 v2, s[2:3], v2, v5
	v_cmp_gt_i32_e64 s[0:1], s10, v4
	v_addc_co_u32_e64 v3, s[2:3], 0, v3, s[2:3]
	v_mad_i64_i32 v[4:5], s[2:3], s26, v4, 0
	v_mov_b32_e32 v7, s15
	v_add_co_u32_e64 v2, s[2:3], s14, v2
	v_addc_co_u32_e64 v3, s[2:3], v7, v3, s[2:3]
	s_mul_i32 s2, s17, s8
	s_mul_hi_u32 s3, s16, s8
	v_lshlrev_b64 v[4:5], 3, v[4:5]
	s_add_i32 s3, s3, s2
	s_mul_i32 s2, s16, s8
	s_lshl_b64 s[2:3], s[2:3], 3
	v_mov_b32_e32 v7, s3
	v_add_co_u32_e64 v4, s[2:3], s2, v4
	v_addc_co_u32_e64 v5, s[2:3], v5, v7, s[2:3]
	v_add_co_u32_e64 v4, s[2:3], v4, v6
	v_addc_co_u32_e64 v5, s[2:3], 0, v5, s[2:3]
	v_mov_b32_e32 v6, s23
	v_add_co_u32_e64 v4, s[2:3], s22, v4
	v_mov_b32_e32 v14, 0x800
	v_addc_co_u32_e64 v5, s[2:3], v6, v5, s[2:3]
	v_mov_b32_e32 v6, 0
	v_mov_b32_e32 v8, 0
	;; [unrolled: 1-line block ×4, first 2 shown]
	v_lshlrev_b32_e32 v20, 3, v0
	v_mov_b32_e32 v7, 0
	v_mov_b32_e32 v9, 0
	;; [unrolled: 1-line block ×4, first 2 shown]
	v_lshl_add_u32 v21, v1, 6, v14
	s_branch .LBB149_3
.LBB149_2:                              ;   in Loop: Header=BB149_3 Depth=1
	s_or_b64 exec, exec, s[2:3]
	s_waitcnt vmcnt(0)
	ds_write_b64 v19, v[14:15]
	s_waitcnt lgkmcnt(0)
	s_barrier
	ds_read2_b64 v[22:25], v20 offset1:16
	ds_read_b128 v[26:29], v21
	v_add_co_u32_e64 v2, s[2:3], 64, v2
	v_addc_co_u32_e64 v3, s[2:3], 0, v3, s[2:3]
	s_waitcnt lgkmcnt(0)
	v_fma_f64 v[14:15], v[22:23], v[26:27], v[12:13]
	v_fma_f64 v[26:27], v[24:25], v[26:27], v[10:11]
	ds_read_b128 v[10:13], v21 offset:1024
	s_add_i32 s9, s9, 8
	v_add_co_u32_e64 v4, s[2:3], 64, v4
	s_cmp_ge_i32 s9, s11
	s_waitcnt lgkmcnt(0)
	v_fma_f64 v[22:23], v[22:23], v[10:11], v[8:9]
	v_fma_f64 v[10:11], v[24:25], v[10:11], v[6:7]
	ds_read2_b64 v[6:9], v20 offset0:32 offset1:48
	v_addc_co_u32_e64 v5, s[2:3], 0, v5, s[2:3]
	s_waitcnt lgkmcnt(0)
	v_fma_f64 v[14:15], v[6:7], v[28:29], v[14:15]
	v_fma_f64 v[24:25], v[8:9], v[28:29], v[26:27]
	;; [unrolled: 1-line block ×4, first 2 shown]
	ds_read_b128 v[6:9], v21 offset:16
	ds_read2_b64 v[10:13], v20 offset0:64 offset1:80
	s_waitcnt lgkmcnt(0)
	v_fma_f64 v[14:15], v[10:11], v[6:7], v[14:15]
	v_fma_f64 v[6:7], v[12:13], v[6:7], v[24:25]
	ds_read_b128 v[22:25], v21 offset:1040
	s_waitcnt lgkmcnt(0)
	v_fma_f64 v[26:27], v[10:11], v[22:23], v[26:27]
	v_fma_f64 v[22:23], v[12:13], v[22:23], v[28:29]
	ds_read2_b64 v[10:13], v20 offset0:96 offset1:112
	s_waitcnt lgkmcnt(0)
	v_fma_f64 v[14:15], v[10:11], v[8:9], v[14:15]
	v_fma_f64 v[28:29], v[12:13], v[8:9], v[6:7]
	;; [unrolled: 1-line block ×4, first 2 shown]
	ds_read2_b64 v[6:9], v20 offset0:128 offset1:144
	ds_read_b128 v[10:13], v21 offset:32
	ds_read_b128 v[22:25], v21 offset:1056
	s_waitcnt lgkmcnt(1)
	v_fma_f64 v[14:15], v[6:7], v[10:11], v[14:15]
	v_fma_f64 v[10:11], v[8:9], v[10:11], v[28:29]
	s_waitcnt lgkmcnt(0)
	v_fma_f64 v[26:27], v[6:7], v[22:23], v[26:27]
	v_fma_f64 v[22:23], v[8:9], v[22:23], v[30:31]
	ds_read2_b64 v[6:9], v20 offset0:160 offset1:176
	s_waitcnt lgkmcnt(0)
	v_fma_f64 v[14:15], v[6:7], v[12:13], v[14:15]
	v_fma_f64 v[28:29], v[8:9], v[12:13], v[10:11]
	;; [unrolled: 1-line block ×4, first 2 shown]
	ds_read_b128 v[6:9], v21 offset:48
	ds_read2_b64 v[10:13], v20 offset0:192 offset1:208
	ds_read_b128 v[22:25], v21 offset:1072
	s_waitcnt lgkmcnt(1)
	v_fma_f64 v[14:15], v[10:11], v[6:7], v[14:15]
	v_fma_f64 v[6:7], v[12:13], v[6:7], v[28:29]
	s_waitcnt lgkmcnt(0)
	v_fma_f64 v[32:33], v[10:11], v[22:23], v[26:27]
	v_fma_f64 v[22:23], v[12:13], v[22:23], v[30:31]
	ds_read2_b64 v[26:29], v20 offset0:224 offset1:240
	s_waitcnt lgkmcnt(0)
	s_barrier
	v_fma_f64 v[12:13], v[26:27], v[8:9], v[14:15]
	v_fma_f64 v[10:11], v[28:29], v[8:9], v[6:7]
	;; [unrolled: 1-line block ×4, first 2 shown]
	s_cbranch_scc1 .LBB149_8
.LBB149_3:                              ; =>This Inner Loop Header: Depth=1
	v_add_u32_e32 v14, s9, v17
	v_cmp_gt_i32_e64 s[2:3], s11, v14
	v_mov_b32_e32 v14, 0
	v_mov_b32_e32 v15, 0
	s_and_b64 s[14:15], vcc, s[2:3]
	s_and_saveexec_b64 s[2:3], s[14:15]
	s_cbranch_execz .LBB149_5
; %bb.4:                                ;   in Loop: Header=BB149_3 Depth=1
	global_load_dwordx2 v[14:15], v[2:3], off
.LBB149_5:                              ;   in Loop: Header=BB149_3 Depth=1
	s_or_b64 exec, exec, s[2:3]
	s_waitcnt vmcnt(0)
	ds_write_b64 v18, v[14:15]
	v_add_u32_e32 v14, s9, v16
	v_cmp_gt_i32_e64 s[2:3], s11, v14
	v_mov_b32_e32 v14, 0
	v_mov_b32_e32 v15, 0
	s_and_b64 s[14:15], s[2:3], s[0:1]
	s_and_saveexec_b64 s[2:3], s[14:15]
	s_cbranch_execz .LBB149_2
; %bb.6:                                ;   in Loop: Header=BB149_3 Depth=1
	global_load_dwordx2 v[14:15], v[4:5], off
	s_branch .LBB149_2
.LBB149_7:
	v_mov_b32_e32 v12, 0
	v_mov_b32_e32 v10, 0
	;; [unrolled: 1-line block ×8, first 2 shown]
.LBB149_8:
	s_load_dwordx2 s[0:1], s[4:5], 0x58
	s_load_dword s9, s[4:5], 0x50
	v_add_u32_e32 v4, s7, v1
	v_add_u32_e32 v0, s6, v0
	v_cmp_gt_i32_e32 vcc, s10, v4
	s_waitcnt lgkmcnt(0)
	s_mul_i32 s1, s1, s8
	s_mul_hi_u32 s2, s0, s8
	s_add_i32 s1, s2, s1
	v_mad_i64_i32 v[1:2], s[2:3], v4, s9, 0
	s_mul_i32 s0, s0, s8
	s_lshl_b64 s[0:1], s[0:1], 3
	s_add_u32 s4, s24, s0
	v_lshlrev_b64 v[1:2], 3, v[1:2]
	s_addc_u32 s5, s25, s1
	v_mov_b32_e32 v3, s5
	v_add_co_u32_e64 v5, s[0:1], s4, v1
	v_addc_co_u32_e64 v14, s[0:1], v3, v2, s[0:1]
	v_cmp_le_i32_e64 s[0:1], v0, v4
	s_and_b64 s[0:1], vcc, s[0:1]
	s_and_saveexec_b64 s[2:3], s[0:1]
	s_cbranch_execz .LBB149_10
; %bb.9:
	v_ashrrev_i32_e32 v1, 31, v0
	v_lshlrev_b64 v[1:2], 3, v[0:1]
	v_add_co_u32_e64 v1, s[0:1], v5, v1
	v_addc_co_u32_e64 v2, s[0:1], v14, v2, s[0:1]
	global_load_dwordx2 v[15:16], v[1:2], off
	s_waitcnt vmcnt(0)
	v_mul_f64 v[15:16], s[18:19], v[15:16]
	v_fma_f64 v[12:13], s[12:13], v[12:13], v[15:16]
	global_store_dwordx2 v[1:2], v[12:13], off
.LBB149_10:
	s_or_b64 exec, exec, s[2:3]
	v_add_u32_e32 v2, 16, v0
	v_cmp_le_i32_e64 s[0:1], v2, v4
	s_and_b64 s[2:3], vcc, s[0:1]
	s_and_saveexec_b64 s[0:1], s[2:3]
	s_cbranch_execz .LBB149_12
; %bb.11:
	v_ashrrev_i32_e32 v3, 31, v2
	v_lshlrev_b64 v[12:13], 3, v[2:3]
	v_add_co_u32_e32 v12, vcc, v5, v12
	v_addc_co_u32_e32 v13, vcc, v14, v13, vcc
	global_load_dwordx2 v[14:15], v[12:13], off
	s_waitcnt vmcnt(0)
	v_mul_f64 v[14:15], s[18:19], v[14:15]
	v_fma_f64 v[10:11], s[12:13], v[10:11], v[14:15]
	global_store_dwordx2 v[12:13], v[10:11], off
.LBB149_12:
	s_or_b64 exec, exec, s[0:1]
	v_add_u32_e32 v3, 16, v4
	v_mad_i64_i32 v[4:5], s[0:1], v3, s9, 0
	v_mov_b32_e32 v1, s5
	v_cmp_gt_i32_e32 vcc, s10, v3
	v_lshlrev_b64 v[4:5], 3, v[4:5]
	v_add_co_u32_e64 v4, s[0:1], s4, v4
	v_addc_co_u32_e64 v5, s[0:1], v1, v5, s[0:1]
	v_cmp_le_i32_e64 s[0:1], v0, v3
	s_and_b64 s[0:1], vcc, s[0:1]
	s_and_saveexec_b64 s[2:3], s[0:1]
	s_cbranch_execz .LBB149_14
; %bb.13:
	v_ashrrev_i32_e32 v1, 31, v0
	v_lshlrev_b64 v[0:1], 3, v[0:1]
	v_add_co_u32_e64 v0, s[0:1], v4, v0
	v_addc_co_u32_e64 v1, s[0:1], v5, v1, s[0:1]
	global_load_dwordx2 v[10:11], v[0:1], off
	s_waitcnt vmcnt(0)
	v_mul_f64 v[10:11], s[18:19], v[10:11]
	v_fma_f64 v[8:9], s[12:13], v[8:9], v[10:11]
	global_store_dwordx2 v[0:1], v[8:9], off
.LBB149_14:
	s_or_b64 exec, exec, s[2:3]
	v_cmp_le_i32_e64 s[0:1], v2, v3
	s_and_b64 s[0:1], vcc, s[0:1]
	s_and_saveexec_b64 s[2:3], s[0:1]
	s_cbranch_execz .LBB149_16
; %bb.15:
	v_ashrrev_i32_e32 v3, 31, v2
	v_lshlrev_b64 v[0:1], 3, v[2:3]
	v_add_co_u32_e32 v0, vcc, v4, v0
	v_addc_co_u32_e32 v1, vcc, v5, v1, vcc
	global_load_dwordx2 v[2:3], v[0:1], off
	s_waitcnt vmcnt(0)
	v_mul_f64 v[2:3], s[18:19], v[2:3]
	v_fma_f64 v[2:3], s[12:13], v[6:7], v[2:3]
	global_store_dwordx2 v[0:1], v[2:3], off
.LBB149_16:
	s_endpgm
	.section	.rodata,"a",@progbits
	.p2align	6, 0x0
	.amdhsa_kernel _ZL34rocblas_syrkx_herkx_general_kernelIidLi16ELi32ELi8ELb0ELb0ELc67ELc85EKddEviT_T0_PT8_S1_lS4_S1_lS2_PT9_S1_li
		.amdhsa_group_segment_fixed_size 4096
		.amdhsa_private_segment_fixed_size 0
		.amdhsa_kernarg_size 100
		.amdhsa_user_sgpr_count 6
		.amdhsa_user_sgpr_private_segment_buffer 1
		.amdhsa_user_sgpr_dispatch_ptr 0
		.amdhsa_user_sgpr_queue_ptr 0
		.amdhsa_user_sgpr_kernarg_segment_ptr 1
		.amdhsa_user_sgpr_dispatch_id 0
		.amdhsa_user_sgpr_flat_scratch_init 0
		.amdhsa_user_sgpr_private_segment_size 0
		.amdhsa_uses_dynamic_stack 0
		.amdhsa_system_sgpr_private_segment_wavefront_offset 0
		.amdhsa_system_sgpr_workgroup_id_x 1
		.amdhsa_system_sgpr_workgroup_id_y 1
		.amdhsa_system_sgpr_workgroup_id_z 1
		.amdhsa_system_sgpr_workgroup_info 0
		.amdhsa_system_vgpr_workitem_id 1
		.amdhsa_next_free_vgpr 34
		.amdhsa_next_free_sgpr 27
		.amdhsa_reserve_vcc 1
		.amdhsa_reserve_flat_scratch 0
		.amdhsa_float_round_mode_32 0
		.amdhsa_float_round_mode_16_64 0
		.amdhsa_float_denorm_mode_32 3
		.amdhsa_float_denorm_mode_16_64 3
		.amdhsa_dx10_clamp 1
		.amdhsa_ieee_mode 1
		.amdhsa_fp16_overflow 0
		.amdhsa_exception_fp_ieee_invalid_op 0
		.amdhsa_exception_fp_denorm_src 0
		.amdhsa_exception_fp_ieee_div_zero 0
		.amdhsa_exception_fp_ieee_overflow 0
		.amdhsa_exception_fp_ieee_underflow 0
		.amdhsa_exception_fp_ieee_inexact 0
		.amdhsa_exception_int_div_zero 0
	.end_amdhsa_kernel
	.section	.text._ZL34rocblas_syrkx_herkx_general_kernelIidLi16ELi32ELi8ELb0ELb0ELc67ELc85EKddEviT_T0_PT8_S1_lS4_S1_lS2_PT9_S1_li,"axG",@progbits,_ZL34rocblas_syrkx_herkx_general_kernelIidLi16ELi32ELi8ELb0ELb0ELc67ELc85EKddEviT_T0_PT8_S1_lS4_S1_lS2_PT9_S1_li,comdat
.Lfunc_end149:
	.size	_ZL34rocblas_syrkx_herkx_general_kernelIidLi16ELi32ELi8ELb0ELb0ELc67ELc85EKddEviT_T0_PT8_S1_lS4_S1_lS2_PT9_S1_li, .Lfunc_end149-_ZL34rocblas_syrkx_herkx_general_kernelIidLi16ELi32ELi8ELb0ELb0ELc67ELc85EKddEviT_T0_PT8_S1_lS4_S1_lS2_PT9_S1_li
                                        ; -- End function
	.set _ZL34rocblas_syrkx_herkx_general_kernelIidLi16ELi32ELi8ELb0ELb0ELc67ELc85EKddEviT_T0_PT8_S1_lS4_S1_lS2_PT9_S1_li.num_vgpr, 34
	.set _ZL34rocblas_syrkx_herkx_general_kernelIidLi16ELi32ELi8ELb0ELb0ELc67ELc85EKddEviT_T0_PT8_S1_lS4_S1_lS2_PT9_S1_li.num_agpr, 0
	.set _ZL34rocblas_syrkx_herkx_general_kernelIidLi16ELi32ELi8ELb0ELb0ELc67ELc85EKddEviT_T0_PT8_S1_lS4_S1_lS2_PT9_S1_li.numbered_sgpr, 27
	.set _ZL34rocblas_syrkx_herkx_general_kernelIidLi16ELi32ELi8ELb0ELb0ELc67ELc85EKddEviT_T0_PT8_S1_lS4_S1_lS2_PT9_S1_li.num_named_barrier, 0
	.set _ZL34rocblas_syrkx_herkx_general_kernelIidLi16ELi32ELi8ELb0ELb0ELc67ELc85EKddEviT_T0_PT8_S1_lS4_S1_lS2_PT9_S1_li.private_seg_size, 0
	.set _ZL34rocblas_syrkx_herkx_general_kernelIidLi16ELi32ELi8ELb0ELb0ELc67ELc85EKddEviT_T0_PT8_S1_lS4_S1_lS2_PT9_S1_li.uses_vcc, 1
	.set _ZL34rocblas_syrkx_herkx_general_kernelIidLi16ELi32ELi8ELb0ELb0ELc67ELc85EKddEviT_T0_PT8_S1_lS4_S1_lS2_PT9_S1_li.uses_flat_scratch, 0
	.set _ZL34rocblas_syrkx_herkx_general_kernelIidLi16ELi32ELi8ELb0ELb0ELc67ELc85EKddEviT_T0_PT8_S1_lS4_S1_lS2_PT9_S1_li.has_dyn_sized_stack, 0
	.set _ZL34rocblas_syrkx_herkx_general_kernelIidLi16ELi32ELi8ELb0ELb0ELc67ELc85EKddEviT_T0_PT8_S1_lS4_S1_lS2_PT9_S1_li.has_recursion, 0
	.set _ZL34rocblas_syrkx_herkx_general_kernelIidLi16ELi32ELi8ELb0ELb0ELc67ELc85EKddEviT_T0_PT8_S1_lS4_S1_lS2_PT9_S1_li.has_indirect_call, 0
	.section	.AMDGPU.csdata,"",@progbits
; Kernel info:
; codeLenInByte = 1524
; TotalNumSgprs: 31
; NumVgprs: 34
; ScratchSize: 0
; MemoryBound: 0
; FloatMode: 240
; IeeeMode: 1
; LDSByteSize: 4096 bytes/workgroup (compile time only)
; SGPRBlocks: 3
; VGPRBlocks: 8
; NumSGPRsForWavesPerEU: 31
; NumVGPRsForWavesPerEU: 34
; Occupancy: 7
; WaveLimiterHint : 0
; COMPUTE_PGM_RSRC2:SCRATCH_EN: 0
; COMPUTE_PGM_RSRC2:USER_SGPR: 6
; COMPUTE_PGM_RSRC2:TRAP_HANDLER: 0
; COMPUTE_PGM_RSRC2:TGID_X_EN: 1
; COMPUTE_PGM_RSRC2:TGID_Y_EN: 1
; COMPUTE_PGM_RSRC2:TGID_Z_EN: 1
; COMPUTE_PGM_RSRC2:TIDIG_COMP_CNT: 1
	.section	.text._ZL34rocblas_syrkx_herkx_general_kernelIidLi16ELi32ELi8ELb0ELb0ELc78ELc85EKddEviT_T0_PT8_S1_lS4_S1_lS2_PT9_S1_li,"axG",@progbits,_ZL34rocblas_syrkx_herkx_general_kernelIidLi16ELi32ELi8ELb0ELb0ELc78ELc85EKddEviT_T0_PT8_S1_lS4_S1_lS2_PT9_S1_li,comdat
	.globl	_ZL34rocblas_syrkx_herkx_general_kernelIidLi16ELi32ELi8ELb0ELb0ELc78ELc85EKddEviT_T0_PT8_S1_lS4_S1_lS2_PT9_S1_li ; -- Begin function _ZL34rocblas_syrkx_herkx_general_kernelIidLi16ELi32ELi8ELb0ELb0ELc78ELc85EKddEviT_T0_PT8_S1_lS4_S1_lS2_PT9_S1_li
	.p2align	8
	.type	_ZL34rocblas_syrkx_herkx_general_kernelIidLi16ELi32ELi8ELb0ELb0ELc78ELc85EKddEviT_T0_PT8_S1_lS4_S1_lS2_PT9_S1_li,@function
_ZL34rocblas_syrkx_herkx_general_kernelIidLi16ELi32ELi8ELb0ELb0ELc78ELc85EKddEviT_T0_PT8_S1_lS4_S1_lS2_PT9_S1_li: ; @_ZL34rocblas_syrkx_herkx_general_kernelIidLi16ELi32ELi8ELb0ELb0ELc78ELc85EKddEviT_T0_PT8_S1_lS4_S1_lS2_PT9_S1_li
; %bb.0:
	s_load_dwordx2 s[10:11], s[4:5], 0x0
	s_load_dwordx4 s[12:15], s[4:5], 0x8
	s_load_dwordx4 s[16:19], s[4:5], 0x38
	s_load_dwordx2 s[24:25], s[4:5], 0x48
	s_lshl_b32 s9, s6, 5
	s_lshl_b32 s26, s7, 5
	s_waitcnt lgkmcnt(0)
	s_cmp_lt_i32 s11, 1
	s_mov_b32 s27, 0
	s_cbranch_scc1 .LBB150_7
; %bb.1:
	v_lshl_add_u32 v2, v1, 4, v0
	v_and_b32_e32 v6, 31, v2
	v_lshrrev_b32_e32 v17, 5, v2
	v_lshrrev_b32_e32 v3, 3, v2
	v_or_b32_e32 v2, s9, v6
	s_load_dword s6, s[4:5], 0x18
	s_load_dword s28, s[4:5], 0x30
	s_load_dwordx4 s[20:23], s[4:5], 0x20
	v_and_b32_e32 v16, 7, v0
	v_cmp_gt_i32_e32 vcc, s10, v2
	v_lshlrev_b32_e32 v2, 3, v6
	v_lshl_or_b32 v18, v17, 8, v2
	v_lshlrev_b32_e32 v2, 3, v16
	v_lshl_or_b32 v2, v3, 6, v2
	v_add_u32_e32 v4, s26, v3
	v_add_u32_e32 v19, 0x800, v2
	s_waitcnt lgkmcnt(0)
	v_mad_i64_i32 v[2:3], s[2:3], v17, s6, 0
	s_mul_i32 s2, s21, s8
	s_mul_hi_u32 s3, s20, s8
	v_lshlrev_b64 v[2:3], 3, v[2:3]
	s_add_i32 s3, s3, s2
	s_mul_i32 s2, s20, s8
	v_mov_b32_e32 v7, 0x800
	s_lshl_b64 s[2:3], s[2:3], 3
	v_lshl_add_u32 v21, v1, 6, v7
	v_mov_b32_e32 v7, s3
	v_add_co_u32_e64 v8, s[2:3], s2, v2
	v_add_u32_e32 v2, s9, v6
	v_addc_co_u32_e64 v7, s[2:3], v3, v7, s[2:3]
	v_ashrrev_i32_e32 v3, 31, v2
	v_lshlrev_b64 v[2:3], 3, v[2:3]
	v_mov_b32_e32 v6, s15
	v_add_co_u32_e64 v2, s[2:3], v8, v2
	v_addc_co_u32_e64 v3, s[2:3], v7, v3, s[2:3]
	v_add_co_u32_e64 v2, s[2:3], s14, v2
	v_addc_co_u32_e64 v3, s[2:3], v6, v3, s[2:3]
	v_mad_i64_i32 v[6:7], s[2:3], s28, v16, 0
	s_mul_i32 s14, s17, s8
	s_mul_hi_u32 s15, s16, s8
	s_add_i32 s3, s15, s14
	s_mul_i32 s2, s16, s8
	v_lshlrev_b64 v[6:7], 3, v[6:7]
	v_ashrrev_i32_e32 v5, 31, v4
	s_lshl_b64 s[2:3], s[2:3], 3
	v_cmp_gt_i32_e64 s[0:1], s10, v4
	v_mov_b32_e32 v8, s3
	v_add_co_u32_e64 v6, s[2:3], s2, v6
	v_lshlrev_b64 v[4:5], 3, v[4:5]
	v_addc_co_u32_e64 v7, s[2:3], v8, v7, s[2:3]
	v_add_co_u32_e64 v4, s[2:3], v6, v4
	v_addc_co_u32_e64 v5, s[2:3], v7, v5, s[2:3]
	s_ashr_i32 s7, s6, 31
	s_ashr_i32 s29, s28, 31
	v_mov_b32_e32 v6, s23
	v_add_co_u32_e64 v4, s[2:3], s22, v4
	s_lshl_b64 s[6:7], s[6:7], 6
	v_addc_co_u32_e64 v5, s[2:3], v6, v5, s[2:3]
	s_lshl_b64 s[14:15], s[28:29], 6
	v_mov_b32_e32 v6, 0
	v_mov_b32_e32 v8, 0
	;; [unrolled: 1-line block ×4, first 2 shown]
	v_lshlrev_b32_e32 v20, 3, v0
	v_mov_b32_e32 v7, 0
	v_mov_b32_e32 v22, s7
	;; [unrolled: 1-line block ×6, first 2 shown]
	s_branch .LBB150_3
.LBB150_2:                              ;   in Loop: Header=BB150_3 Depth=1
	s_or_b64 exec, exec, s[2:3]
	s_waitcnt vmcnt(0)
	ds_write_b64 v19, v[14:15]
	s_waitcnt lgkmcnt(0)
	s_barrier
	ds_read2_b64 v[24:27], v20 offset1:16
	ds_read_b128 v[28:31], v21
	ds_read_b128 v[32:35], v21 offset:1024
	v_add_co_u32_e64 v2, s[2:3], s6, v2
	v_addc_co_u32_e64 v3, s[2:3], v3, v22, s[2:3]
	s_waitcnt lgkmcnt(1)
	v_fma_f64 v[12:13], v[24:25], v[28:29], v[12:13]
	v_fma_f64 v[10:11], v[26:27], v[28:29], v[10:11]
	s_waitcnt lgkmcnt(0)
	v_fma_f64 v[14:15], v[24:25], v[32:33], v[8:9]
	v_fma_f64 v[24:25], v[26:27], v[32:33], v[6:7]
	ds_read2_b64 v[6:9], v20 offset0:32 offset1:48
	s_add_i32 s27, s27, 8
	v_add_co_u32_e64 v4, s[2:3], s14, v4
	s_cmp_ge_i32 s27, s11
	s_waitcnt lgkmcnt(0)
	v_fma_f64 v[28:29], v[6:7], v[30:31], v[12:13]
	v_fma_f64 v[30:31], v[8:9], v[30:31], v[10:11]
	;; [unrolled: 1-line block ×4, first 2 shown]
	ds_read_b128 v[10:13], v21 offset:16
	ds_read2_b64 v[6:9], v20 offset0:64 offset1:80
	ds_read_b128 v[24:27], v21 offset:1040
	v_addc_co_u32_e64 v5, s[2:3], v5, v23, s[2:3]
	s_waitcnt lgkmcnt(1)
	v_fma_f64 v[28:29], v[6:7], v[10:11], v[28:29]
	v_fma_f64 v[10:11], v[8:9], v[10:11], v[30:31]
	s_waitcnt lgkmcnt(0)
	v_fma_f64 v[14:15], v[6:7], v[24:25], v[14:15]
	v_fma_f64 v[24:25], v[8:9], v[24:25], v[32:33]
	ds_read2_b64 v[6:9], v20 offset0:96 offset1:112
	s_waitcnt lgkmcnt(0)
	v_fma_f64 v[28:29], v[6:7], v[12:13], v[28:29]
	v_fma_f64 v[30:31], v[8:9], v[12:13], v[10:11]
	;; [unrolled: 1-line block ×4, first 2 shown]
	ds_read2_b64 v[10:13], v20 offset0:128 offset1:144
	ds_read_b128 v[6:9], v21 offset:32
	ds_read_b128 v[24:27], v21 offset:1056
	s_waitcnt lgkmcnt(1)
	v_fma_f64 v[28:29], v[10:11], v[6:7], v[28:29]
	v_fma_f64 v[6:7], v[12:13], v[6:7], v[30:31]
	s_waitcnt lgkmcnt(0)
	v_fma_f64 v[14:15], v[10:11], v[24:25], v[14:15]
	v_fma_f64 v[24:25], v[12:13], v[24:25], v[32:33]
	ds_read2_b64 v[10:13], v20 offset0:160 offset1:176
	s_waitcnt lgkmcnt(0)
	v_fma_f64 v[28:29], v[10:11], v[8:9], v[28:29]
	v_fma_f64 v[30:31], v[12:13], v[8:9], v[6:7]
	;; [unrolled: 1-line block ×4, first 2 shown]
	ds_read_b128 v[6:9], v21 offset:48
	ds_read2_b64 v[10:13], v20 offset0:192 offset1:208
	ds_read_b128 v[24:27], v21 offset:1072
	s_waitcnt lgkmcnt(1)
	v_fma_f64 v[34:35], v[10:11], v[6:7], v[28:29]
	v_fma_f64 v[6:7], v[12:13], v[6:7], v[30:31]
	s_waitcnt lgkmcnt(0)
	v_fma_f64 v[14:15], v[10:11], v[24:25], v[14:15]
	v_fma_f64 v[24:25], v[12:13], v[24:25], v[32:33]
	ds_read2_b64 v[28:31], v20 offset0:224 offset1:240
	s_waitcnt lgkmcnt(0)
	s_barrier
	v_fma_f64 v[12:13], v[28:29], v[8:9], v[34:35]
	v_fma_f64 v[10:11], v[30:31], v[8:9], v[6:7]
	;; [unrolled: 1-line block ×4, first 2 shown]
	s_cbranch_scc1 .LBB150_8
.LBB150_3:                              ; =>This Inner Loop Header: Depth=1
	v_add_u32_e32 v14, s27, v17
	v_cmp_gt_i32_e64 s[2:3], s11, v14
	v_mov_b32_e32 v14, 0
	v_mov_b32_e32 v15, 0
	s_and_b64 s[16:17], vcc, s[2:3]
	s_and_saveexec_b64 s[2:3], s[16:17]
	s_cbranch_execz .LBB150_5
; %bb.4:                                ;   in Loop: Header=BB150_3 Depth=1
	global_load_dwordx2 v[14:15], v[2:3], off
.LBB150_5:                              ;   in Loop: Header=BB150_3 Depth=1
	s_or_b64 exec, exec, s[2:3]
	s_waitcnt vmcnt(0)
	ds_write_b64 v18, v[14:15]
	v_add_u32_e32 v14, s27, v16
	v_cmp_gt_i32_e64 s[2:3], s11, v14
	v_mov_b32_e32 v14, 0
	v_mov_b32_e32 v15, 0
	s_and_b64 s[16:17], s[2:3], s[0:1]
	s_and_saveexec_b64 s[2:3], s[16:17]
	s_cbranch_execz .LBB150_2
; %bb.6:                                ;   in Loop: Header=BB150_3 Depth=1
	global_load_dwordx2 v[14:15], v[4:5], off
	s_branch .LBB150_2
.LBB150_7:
	v_mov_b32_e32 v12, 0
	v_mov_b32_e32 v10, 0
	v_mov_b32_e32 v8, 0
	v_mov_b32_e32 v6, 0
	v_mov_b32_e32 v13, 0
	v_mov_b32_e32 v11, 0
	v_mov_b32_e32 v9, 0
	v_mov_b32_e32 v7, 0
.LBB150_8:
	s_load_dwordx2 s[0:1], s[4:5], 0x58
	s_load_dword s6, s[4:5], 0x50
	v_add_u32_e32 v4, s26, v1
	v_add_u32_e32 v0, s9, v0
	v_cmp_gt_i32_e32 vcc, s10, v4
	s_waitcnt lgkmcnt(0)
	s_mul_i32 s1, s1, s8
	s_mul_hi_u32 s2, s0, s8
	s_add_i32 s1, s2, s1
	v_mad_i64_i32 v[1:2], s[2:3], v4, s6, 0
	s_mul_i32 s0, s0, s8
	s_lshl_b64 s[0:1], s[0:1], 3
	s_add_u32 s4, s24, s0
	v_lshlrev_b64 v[1:2], 3, v[1:2]
	s_addc_u32 s5, s25, s1
	v_mov_b32_e32 v3, s5
	v_add_co_u32_e64 v5, s[0:1], s4, v1
	v_addc_co_u32_e64 v14, s[0:1], v3, v2, s[0:1]
	v_cmp_le_i32_e64 s[0:1], v0, v4
	s_and_b64 s[0:1], vcc, s[0:1]
	s_and_saveexec_b64 s[2:3], s[0:1]
	s_cbranch_execz .LBB150_10
; %bb.9:
	v_ashrrev_i32_e32 v1, 31, v0
	v_lshlrev_b64 v[1:2], 3, v[0:1]
	v_add_co_u32_e64 v1, s[0:1], v5, v1
	v_addc_co_u32_e64 v2, s[0:1], v14, v2, s[0:1]
	global_load_dwordx2 v[15:16], v[1:2], off
	s_waitcnt vmcnt(0)
	v_mul_f64 v[15:16], s[18:19], v[15:16]
	v_fma_f64 v[12:13], s[12:13], v[12:13], v[15:16]
	global_store_dwordx2 v[1:2], v[12:13], off
.LBB150_10:
	s_or_b64 exec, exec, s[2:3]
	v_add_u32_e32 v2, 16, v0
	v_cmp_le_i32_e64 s[0:1], v2, v4
	s_and_b64 s[2:3], vcc, s[0:1]
	s_and_saveexec_b64 s[0:1], s[2:3]
	s_cbranch_execz .LBB150_12
; %bb.11:
	v_ashrrev_i32_e32 v3, 31, v2
	v_lshlrev_b64 v[12:13], 3, v[2:3]
	v_add_co_u32_e32 v12, vcc, v5, v12
	v_addc_co_u32_e32 v13, vcc, v14, v13, vcc
	global_load_dwordx2 v[14:15], v[12:13], off
	s_waitcnt vmcnt(0)
	v_mul_f64 v[14:15], s[18:19], v[14:15]
	v_fma_f64 v[10:11], s[12:13], v[10:11], v[14:15]
	global_store_dwordx2 v[12:13], v[10:11], off
.LBB150_12:
	s_or_b64 exec, exec, s[0:1]
	v_add_u32_e32 v3, 16, v4
	v_mad_i64_i32 v[4:5], s[0:1], v3, s6, 0
	v_mov_b32_e32 v1, s5
	v_cmp_gt_i32_e32 vcc, s10, v3
	v_lshlrev_b64 v[4:5], 3, v[4:5]
	v_add_co_u32_e64 v4, s[0:1], s4, v4
	v_addc_co_u32_e64 v5, s[0:1], v1, v5, s[0:1]
	v_cmp_le_i32_e64 s[0:1], v0, v3
	s_and_b64 s[0:1], vcc, s[0:1]
	s_and_saveexec_b64 s[2:3], s[0:1]
	s_cbranch_execz .LBB150_14
; %bb.13:
	v_ashrrev_i32_e32 v1, 31, v0
	v_lshlrev_b64 v[0:1], 3, v[0:1]
	v_add_co_u32_e64 v0, s[0:1], v4, v0
	v_addc_co_u32_e64 v1, s[0:1], v5, v1, s[0:1]
	global_load_dwordx2 v[10:11], v[0:1], off
	s_waitcnt vmcnt(0)
	v_mul_f64 v[10:11], s[18:19], v[10:11]
	v_fma_f64 v[8:9], s[12:13], v[8:9], v[10:11]
	global_store_dwordx2 v[0:1], v[8:9], off
.LBB150_14:
	s_or_b64 exec, exec, s[2:3]
	v_cmp_le_i32_e64 s[0:1], v2, v3
	s_and_b64 s[0:1], vcc, s[0:1]
	s_and_saveexec_b64 s[2:3], s[0:1]
	s_cbranch_execz .LBB150_16
; %bb.15:
	v_ashrrev_i32_e32 v3, 31, v2
	v_lshlrev_b64 v[0:1], 3, v[2:3]
	v_add_co_u32_e32 v0, vcc, v4, v0
	v_addc_co_u32_e32 v1, vcc, v5, v1, vcc
	global_load_dwordx2 v[2:3], v[0:1], off
	s_waitcnt vmcnt(0)
	v_mul_f64 v[2:3], s[18:19], v[2:3]
	v_fma_f64 v[2:3], s[12:13], v[6:7], v[2:3]
	global_store_dwordx2 v[0:1], v[2:3], off
.LBB150_16:
	s_endpgm
	.section	.rodata,"a",@progbits
	.p2align	6, 0x0
	.amdhsa_kernel _ZL34rocblas_syrkx_herkx_general_kernelIidLi16ELi32ELi8ELb0ELb0ELc78ELc85EKddEviT_T0_PT8_S1_lS4_S1_lS2_PT9_S1_li
		.amdhsa_group_segment_fixed_size 4096
		.amdhsa_private_segment_fixed_size 0
		.amdhsa_kernarg_size 100
		.amdhsa_user_sgpr_count 6
		.amdhsa_user_sgpr_private_segment_buffer 1
		.amdhsa_user_sgpr_dispatch_ptr 0
		.amdhsa_user_sgpr_queue_ptr 0
		.amdhsa_user_sgpr_kernarg_segment_ptr 1
		.amdhsa_user_sgpr_dispatch_id 0
		.amdhsa_user_sgpr_flat_scratch_init 0
		.amdhsa_user_sgpr_private_segment_size 0
		.amdhsa_uses_dynamic_stack 0
		.amdhsa_system_sgpr_private_segment_wavefront_offset 0
		.amdhsa_system_sgpr_workgroup_id_x 1
		.amdhsa_system_sgpr_workgroup_id_y 1
		.amdhsa_system_sgpr_workgroup_id_z 1
		.amdhsa_system_sgpr_workgroup_info 0
		.amdhsa_system_vgpr_workitem_id 1
		.amdhsa_next_free_vgpr 36
		.amdhsa_next_free_sgpr 30
		.amdhsa_reserve_vcc 1
		.amdhsa_reserve_flat_scratch 0
		.amdhsa_float_round_mode_32 0
		.amdhsa_float_round_mode_16_64 0
		.amdhsa_float_denorm_mode_32 3
		.amdhsa_float_denorm_mode_16_64 3
		.amdhsa_dx10_clamp 1
		.amdhsa_ieee_mode 1
		.amdhsa_fp16_overflow 0
		.amdhsa_exception_fp_ieee_invalid_op 0
		.amdhsa_exception_fp_denorm_src 0
		.amdhsa_exception_fp_ieee_div_zero 0
		.amdhsa_exception_fp_ieee_overflow 0
		.amdhsa_exception_fp_ieee_underflow 0
		.amdhsa_exception_fp_ieee_inexact 0
		.amdhsa_exception_int_div_zero 0
	.end_amdhsa_kernel
	.section	.text._ZL34rocblas_syrkx_herkx_general_kernelIidLi16ELi32ELi8ELb0ELb0ELc78ELc85EKddEviT_T0_PT8_S1_lS4_S1_lS2_PT9_S1_li,"axG",@progbits,_ZL34rocblas_syrkx_herkx_general_kernelIidLi16ELi32ELi8ELb0ELb0ELc78ELc85EKddEviT_T0_PT8_S1_lS4_S1_lS2_PT9_S1_li,comdat
.Lfunc_end150:
	.size	_ZL34rocblas_syrkx_herkx_general_kernelIidLi16ELi32ELi8ELb0ELb0ELc78ELc85EKddEviT_T0_PT8_S1_lS4_S1_lS2_PT9_S1_li, .Lfunc_end150-_ZL34rocblas_syrkx_herkx_general_kernelIidLi16ELi32ELi8ELb0ELb0ELc78ELc85EKddEviT_T0_PT8_S1_lS4_S1_lS2_PT9_S1_li
                                        ; -- End function
	.set _ZL34rocblas_syrkx_herkx_general_kernelIidLi16ELi32ELi8ELb0ELb0ELc78ELc85EKddEviT_T0_PT8_S1_lS4_S1_lS2_PT9_S1_li.num_vgpr, 36
	.set _ZL34rocblas_syrkx_herkx_general_kernelIidLi16ELi32ELi8ELb0ELb0ELc78ELc85EKddEviT_T0_PT8_S1_lS4_S1_lS2_PT9_S1_li.num_agpr, 0
	.set _ZL34rocblas_syrkx_herkx_general_kernelIidLi16ELi32ELi8ELb0ELb0ELc78ELc85EKddEviT_T0_PT8_S1_lS4_S1_lS2_PT9_S1_li.numbered_sgpr, 30
	.set _ZL34rocblas_syrkx_herkx_general_kernelIidLi16ELi32ELi8ELb0ELb0ELc78ELc85EKddEviT_T0_PT8_S1_lS4_S1_lS2_PT9_S1_li.num_named_barrier, 0
	.set _ZL34rocblas_syrkx_herkx_general_kernelIidLi16ELi32ELi8ELb0ELb0ELc78ELc85EKddEviT_T0_PT8_S1_lS4_S1_lS2_PT9_S1_li.private_seg_size, 0
	.set _ZL34rocblas_syrkx_herkx_general_kernelIidLi16ELi32ELi8ELb0ELb0ELc78ELc85EKddEviT_T0_PT8_S1_lS4_S1_lS2_PT9_S1_li.uses_vcc, 1
	.set _ZL34rocblas_syrkx_herkx_general_kernelIidLi16ELi32ELi8ELb0ELb0ELc78ELc85EKddEviT_T0_PT8_S1_lS4_S1_lS2_PT9_S1_li.uses_flat_scratch, 0
	.set _ZL34rocblas_syrkx_herkx_general_kernelIidLi16ELi32ELi8ELb0ELb0ELc78ELc85EKddEviT_T0_PT8_S1_lS4_S1_lS2_PT9_S1_li.has_dyn_sized_stack, 0
	.set _ZL34rocblas_syrkx_herkx_general_kernelIidLi16ELi32ELi8ELb0ELb0ELc78ELc85EKddEviT_T0_PT8_S1_lS4_S1_lS2_PT9_S1_li.has_recursion, 0
	.set _ZL34rocblas_syrkx_herkx_general_kernelIidLi16ELi32ELi8ELb0ELb0ELc78ELc85EKddEviT_T0_PT8_S1_lS4_S1_lS2_PT9_S1_li.has_indirect_call, 0
	.section	.AMDGPU.csdata,"",@progbits
; Kernel info:
; codeLenInByte = 1568
; TotalNumSgprs: 34
; NumVgprs: 36
; ScratchSize: 0
; MemoryBound: 0
; FloatMode: 240
; IeeeMode: 1
; LDSByteSize: 4096 bytes/workgroup (compile time only)
; SGPRBlocks: 4
; VGPRBlocks: 8
; NumSGPRsForWavesPerEU: 34
; NumVGPRsForWavesPerEU: 36
; Occupancy: 7
; WaveLimiterHint : 0
; COMPUTE_PGM_RSRC2:SCRATCH_EN: 0
; COMPUTE_PGM_RSRC2:USER_SGPR: 6
; COMPUTE_PGM_RSRC2:TRAP_HANDLER: 0
; COMPUTE_PGM_RSRC2:TGID_X_EN: 1
; COMPUTE_PGM_RSRC2:TGID_Y_EN: 1
; COMPUTE_PGM_RSRC2:TGID_Z_EN: 1
; COMPUTE_PGM_RSRC2:TIDIG_COMP_CNT: 1
	.section	.text._ZL26rocblas_syr2k_scale_kernelIiLi128ELi8ELb0EddPdEvbiT_T3_T4_T5_S1_li,"axG",@progbits,_ZL26rocblas_syr2k_scale_kernelIiLi128ELi8ELb0EddPdEvbiT_T3_T4_T5_S1_li,comdat
	.globl	_ZL26rocblas_syr2k_scale_kernelIiLi128ELi8ELb0EddPdEvbiT_T3_T4_T5_S1_li ; -- Begin function _ZL26rocblas_syr2k_scale_kernelIiLi128ELi8ELb0EddPdEvbiT_T3_T4_T5_S1_li
	.p2align	8
	.type	_ZL26rocblas_syr2k_scale_kernelIiLi128ELi8ELb0EddPdEvbiT_T3_T4_T5_S1_li,@function
_ZL26rocblas_syr2k_scale_kernelIiLi128ELi8ELb0EddPdEvbiT_T3_T4_T5_S1_li: ; @_ZL26rocblas_syr2k_scale_kernelIiLi128ELi8ELb0EddPdEvbiT_T3_T4_T5_S1_li
; %bb.0:
	s_load_dwordx4 s[12:15], s[4:5], 0x18
	s_waitcnt lgkmcnt(0)
	v_cmp_eq_f64_e64 s[0:1], s[12:13], 1.0
	s_and_b64 vcc, exec, s[0:1]
	s_cbranch_vccnz .LBB151_5
; %bb.1:
	s_load_dwordx2 s[0:1], s[4:5], 0x0
	s_load_dword s2, s[4:5], 0x4c
	s_waitcnt lgkmcnt(0)
	s_bitcmp1_b32 s0, 0
	s_cselect_b64 vcc, -1, 0
	s_lshr_b32 s0, s2, 16
	s_and_b32 s2, s2, 0xffff
	s_mul_i32 s6, s6, s2
	s_mul_i32 s7, s7, s0
	v_add_u32_e32 v0, s6, v0
	v_add_u32_e32 v1, s7, v1
	v_cndmask_b32_e32 v2, v1, v0, vcc
	v_cndmask_b32_e32 v3, v0, v1, vcc
	v_max_u32_e32 v4, v0, v1
	v_cmp_gt_u32_e32 vcc, s1, v4
	v_cmp_le_i32_e64 s[0:1], v2, v3
	s_and_b64 s[0:1], vcc, s[0:1]
	s_and_saveexec_b64 s[2:3], s[0:1]
	s_cbranch_execz .LBB151_5
; %bb.2:
	s_load_dword s2, s[4:5], 0x28
	s_load_dwordx2 s[0:1], s[4:5], 0x30
	s_waitcnt lgkmcnt(0)
	s_ashr_i32 s4, s2, 31
	v_mad_u64_u32 v[2:3], s[2:3], v1, s2, 0
	s_mul_i32 s1, s1, s8
	s_mul_hi_u32 s2, s0, s8
	s_mul_i32 s0, s0, s8
	s_add_i32 s1, s2, s1
	v_mad_u64_u32 v[3:4], s[2:3], v1, s4, v[3:4]
	s_lshl_b64 s[0:1], s[0:1], 3
	s_add_u32 s2, s14, s0
	s_addc_u32 s0, s15, s1
	v_mov_b32_e32 v4, s0
	v_cmp_eq_f64_e64 s[0:1], s[12:13], 0
	v_lshlrev_b64 v[2:3], 3, v[2:3]
	v_mov_b32_e32 v1, 0
	v_add_co_u32_e32 v2, vcc, s2, v2
	v_lshlrev_b64 v[0:1], 3, v[0:1]
	v_addc_co_u32_e32 v3, vcc, v4, v3, vcc
	v_add_co_u32_e32 v0, vcc, v2, v0
	v_addc_co_u32_e32 v1, vcc, v3, v1, vcc
	v_mov_b32_e32 v2, 0
	v_mov_b32_e32 v3, 0
	s_and_b64 vcc, exec, s[0:1]
	s_cbranch_vccnz .LBB151_4
; %bb.3:
	global_load_dwordx2 v[2:3], v[0:1], off
	s_waitcnt vmcnt(0)
	v_mul_f64 v[2:3], s[12:13], v[2:3]
.LBB151_4:
	global_store_dwordx2 v[0:1], v[2:3], off
.LBB151_5:
	s_endpgm
	.section	.rodata,"a",@progbits
	.p2align	6, 0x0
	.amdhsa_kernel _ZL26rocblas_syr2k_scale_kernelIiLi128ELi8ELb0EddPdEvbiT_T3_T4_T5_S1_li
		.amdhsa_group_segment_fixed_size 0
		.amdhsa_private_segment_fixed_size 0
		.amdhsa_kernarg_size 320
		.amdhsa_user_sgpr_count 6
		.amdhsa_user_sgpr_private_segment_buffer 1
		.amdhsa_user_sgpr_dispatch_ptr 0
		.amdhsa_user_sgpr_queue_ptr 0
		.amdhsa_user_sgpr_kernarg_segment_ptr 1
		.amdhsa_user_sgpr_dispatch_id 0
		.amdhsa_user_sgpr_flat_scratch_init 0
		.amdhsa_user_sgpr_private_segment_size 0
		.amdhsa_uses_dynamic_stack 0
		.amdhsa_system_sgpr_private_segment_wavefront_offset 0
		.amdhsa_system_sgpr_workgroup_id_x 1
		.amdhsa_system_sgpr_workgroup_id_y 1
		.amdhsa_system_sgpr_workgroup_id_z 1
		.amdhsa_system_sgpr_workgroup_info 0
		.amdhsa_system_vgpr_workitem_id 1
		.amdhsa_next_free_vgpr 5
		.amdhsa_next_free_sgpr 16
		.amdhsa_reserve_vcc 1
		.amdhsa_reserve_flat_scratch 0
		.amdhsa_float_round_mode_32 0
		.amdhsa_float_round_mode_16_64 0
		.amdhsa_float_denorm_mode_32 3
		.amdhsa_float_denorm_mode_16_64 3
		.amdhsa_dx10_clamp 1
		.amdhsa_ieee_mode 1
		.amdhsa_fp16_overflow 0
		.amdhsa_exception_fp_ieee_invalid_op 0
		.amdhsa_exception_fp_denorm_src 0
		.amdhsa_exception_fp_ieee_div_zero 0
		.amdhsa_exception_fp_ieee_overflow 0
		.amdhsa_exception_fp_ieee_underflow 0
		.amdhsa_exception_fp_ieee_inexact 0
		.amdhsa_exception_int_div_zero 0
	.end_amdhsa_kernel
	.section	.text._ZL26rocblas_syr2k_scale_kernelIiLi128ELi8ELb0EddPdEvbiT_T3_T4_T5_S1_li,"axG",@progbits,_ZL26rocblas_syr2k_scale_kernelIiLi128ELi8ELb0EddPdEvbiT_T3_T4_T5_S1_li,comdat
.Lfunc_end151:
	.size	_ZL26rocblas_syr2k_scale_kernelIiLi128ELi8ELb0EddPdEvbiT_T3_T4_T5_S1_li, .Lfunc_end151-_ZL26rocblas_syr2k_scale_kernelIiLi128ELi8ELb0EddPdEvbiT_T3_T4_T5_S1_li
                                        ; -- End function
	.set _ZL26rocblas_syr2k_scale_kernelIiLi128ELi8ELb0EddPdEvbiT_T3_T4_T5_S1_li.num_vgpr, 5
	.set _ZL26rocblas_syr2k_scale_kernelIiLi128ELi8ELb0EddPdEvbiT_T3_T4_T5_S1_li.num_agpr, 0
	.set _ZL26rocblas_syr2k_scale_kernelIiLi128ELi8ELb0EddPdEvbiT_T3_T4_T5_S1_li.numbered_sgpr, 16
	.set _ZL26rocblas_syr2k_scale_kernelIiLi128ELi8ELb0EddPdEvbiT_T3_T4_T5_S1_li.num_named_barrier, 0
	.set _ZL26rocblas_syr2k_scale_kernelIiLi128ELi8ELb0EddPdEvbiT_T3_T4_T5_S1_li.private_seg_size, 0
	.set _ZL26rocblas_syr2k_scale_kernelIiLi128ELi8ELb0EddPdEvbiT_T3_T4_T5_S1_li.uses_vcc, 1
	.set _ZL26rocblas_syr2k_scale_kernelIiLi128ELi8ELb0EddPdEvbiT_T3_T4_T5_S1_li.uses_flat_scratch, 0
	.set _ZL26rocblas_syr2k_scale_kernelIiLi128ELi8ELb0EddPdEvbiT_T3_T4_T5_S1_li.has_dyn_sized_stack, 0
	.set _ZL26rocblas_syr2k_scale_kernelIiLi128ELi8ELb0EddPdEvbiT_T3_T4_T5_S1_li.has_recursion, 0
	.set _ZL26rocblas_syr2k_scale_kernelIiLi128ELi8ELb0EddPdEvbiT_T3_T4_T5_S1_li.has_indirect_call, 0
	.section	.AMDGPU.csdata,"",@progbits
; Kernel info:
; codeLenInByte = 284
; TotalNumSgprs: 20
; NumVgprs: 5
; ScratchSize: 0
; MemoryBound: 1
; FloatMode: 240
; IeeeMode: 1
; LDSByteSize: 0 bytes/workgroup (compile time only)
; SGPRBlocks: 2
; VGPRBlocks: 1
; NumSGPRsForWavesPerEU: 20
; NumVGPRsForWavesPerEU: 5
; Occupancy: 10
; WaveLimiterHint : 0
; COMPUTE_PGM_RSRC2:SCRATCH_EN: 0
; COMPUTE_PGM_RSRC2:USER_SGPR: 6
; COMPUTE_PGM_RSRC2:TRAP_HANDLER: 0
; COMPUTE_PGM_RSRC2:TGID_X_EN: 1
; COMPUTE_PGM_RSRC2:TGID_Y_EN: 1
; COMPUTE_PGM_RSRC2:TGID_Z_EN: 1
; COMPUTE_PGM_RSRC2:TIDIG_COMP_CNT: 1
	.section	.text._ZL26rocblas_syr2k_her2k_kernelIiLb0ELb0ELb0ELi32EPKdS1_PdEvbiT_T4_T5_S3_lS5_S3_lT6_S3_li,"axG",@progbits,_ZL26rocblas_syr2k_her2k_kernelIiLb0ELb0ELb0ELi32EPKdS1_PdEvbiT_T4_T5_S3_lS5_S3_lT6_S3_li,comdat
	.globl	_ZL26rocblas_syr2k_her2k_kernelIiLb0ELb0ELb0ELi32EPKdS1_PdEvbiT_T4_T5_S3_lS5_S3_lT6_S3_li ; -- Begin function _ZL26rocblas_syr2k_her2k_kernelIiLb0ELb0ELb0ELi32EPKdS1_PdEvbiT_T4_T5_S3_lS5_S3_lT6_S3_li
	.p2align	8
	.type	_ZL26rocblas_syr2k_her2k_kernelIiLb0ELb0ELb0ELi32EPKdS1_PdEvbiT_T4_T5_S3_lS5_S3_lT6_S3_li,@function
_ZL26rocblas_syr2k_her2k_kernelIiLb0ELb0ELb0ELi32EPKdS1_PdEvbiT_T4_T5_S3_lS5_S3_lT6_S3_li: ; @_ZL26rocblas_syr2k_her2k_kernelIiLb0ELb0ELb0ELi32EPKdS1_PdEvbiT_T4_T5_S3_lS5_S3_lT6_S3_li
; %bb.0:
	s_load_dwordx4 s[0:3], s[4:5], 0x10
	s_waitcnt lgkmcnt(0)
	s_load_dwordx2 s[10:11], s[0:1], 0x0
	s_waitcnt lgkmcnt(0)
	v_cmp_eq_f64_e64 s[0:1], s[10:11], 0
	s_and_b64 vcc, exec, s[0:1]
	s_cbranch_vccnz .LBB152_11
; %bb.1:
	s_load_dwordx4 s[12:15], s[4:5], 0x0
	s_lshl_b32 s0, s7, 5
	s_lshl_b32 s1, s6, 5
	s_waitcnt lgkmcnt(0)
	s_and_b32 s6, 1, s12
	s_cmp_eq_u32 s6, 1
	s_cselect_b64 vcc, -1, 0
	s_and_b64 s[6:7], vcc, exec
	s_cselect_b32 s6, s1, s0
	s_cselect_b32 s7, s0, s1
	s_cmp_gt_i32 s6, s7
	s_cbranch_scc1 .LBB152_11
; %bb.2:
	s_cmp_lt_i32 s14, 1
	s_cbranch_scc1 .LBB152_11
; %bb.3:
	s_load_dword s9, s[4:5], 0x20
	s_load_dwordx4 s[16:19], s[4:5], 0x28
	s_load_dword s12, s[4:5], 0x38
	s_load_dwordx4 s[20:23], s[4:5], 0x40
	s_load_dword s15, s[4:5], 0x50
	s_load_dwordx2 s[6:7], s[4:5], 0x58
	s_waitcnt lgkmcnt(0)
	s_mul_i32 s4, s17, s8
	s_mul_hi_u32 s5, s16, s8
	s_add_i32 s5, s5, s4
	s_mul_i32 s4, s16, s8
	s_lshl_b64 s[4:5], s[4:5], 3
	s_add_u32 s4, s2, s4
	s_addc_u32 s5, s3, s5
	s_mul_i32 s2, s21, s8
	s_mul_hi_u32 s3, s20, s8
	v_add_u32_e32 v3, s1, v0
	s_add_i32 s3, s3, s2
	s_mul_i32 s2, s20, s8
	v_ashrrev_i32_e32 v4, 31, v3
	s_lshl_b64 s[2:3], s[2:3], 3
	v_lshlrev_b64 v[4:5], 3, v[3:4]
	s_add_u32 s16, s18, s2
	v_add_u32_e32 v2, s0, v1
	s_addc_u32 s17, s19, s3
	s_mul_i32 s2, s7, s8
	s_mul_hi_u32 s3, s6, s8
	v_cndmask_b32_e32 v16, v3, v2, vcc
	v_cndmask_b32_e32 v17, v2, v3, vcc
	v_cmp_gt_i32_e32 vcc, s13, v3
	v_mov_b32_e32 v3, s5
	v_add_co_u32_e64 v8, s[0:1], s4, v4
	s_add_i32 s3, s3, s2
	s_mul_i32 s2, s6, s8
	v_addc_co_u32_e64 v9, s[0:1], v3, v5, s[0:1]
	v_ashrrev_i32_e32 v3, 31, v2
	s_lshl_b64 s[2:3], s[2:3], 3
	v_lshlrev_b64 v[6:7], 3, v[2:3]
	s_add_u32 s6, s22, s2
	s_addc_u32 s7, s23, s3
	v_mov_b32_e32 v3, s17
	v_add_co_u32_e64 v12, s[2:3], s16, v6
	v_cmp_gt_i32_e64 s[0:1], s13, v2
	v_addc_co_u32_e64 v13, s[2:3], v3, v7, s[2:3]
	v_mad_i64_i32 v[2:3], s[2:3], s15, v2, 0
	v_cmp_le_i32_e64 s[2:3], v17, v16
	s_and_b64 s[4:5], s[0:1], vcc
	v_lshlrev_b64 v[2:3], 3, v[2:3]
	s_and_b64 s[4:5], s[4:5], s[2:3]
	v_mov_b32_e32 v6, s7
	v_add_co_u32_e64 v2, s[2:3], s6, v2
	v_lshlrev_b32_e32 v10, 8, v0
	v_lshlrev_b32_e32 v14, 3, v1
	v_addc_co_u32_e64 v3, s[2:3], v6, v3, s[2:3]
	v_add_u32_e32 v11, v10, v14
	v_or_b32_e32 v14, 0x2000, v14
	v_add_co_u32_e64 v2, s[2:3], v2, v4
	v_add_u32_e32 v15, v14, v10
	v_addc_co_u32_e64 v3, s[2:3], v3, v5, s[2:3]
	s_mov_b32 s8, 0
	v_add_u32_e32 v16, 0x800, v14
	v_add_u32_e32 v17, 0x1000, v14
	;; [unrolled: 1-line block ×3, first 2 shown]
	s_branch .LBB152_5
.LBB152_4:                              ;   in Loop: Header=BB152_5 Depth=1
	s_or_b64 exec, exec, s[2:3]
	s_add_i32 s8, s8, 32
	s_cmp_lt_i32 s8, s14
	s_waitcnt vmcnt(0)
	s_barrier
	s_cbranch_scc0 .LBB152_11
.LBB152_5:                              ; =>This Inner Loop Header: Depth=1
	v_add_u32_e32 v19, s8, v1
	v_cmp_gt_i32_e64 s[2:3], s14, v19
	v_mov_b32_e32 v4, 0
	v_mov_b32_e32 v6, 0
	;; [unrolled: 1-line block ×4, first 2 shown]
	s_and_b64 s[2:3], vcc, s[2:3]
	s_and_saveexec_b64 s[6:7], s[2:3]
	s_cbranch_execz .LBB152_7
; %bb.6:                                ;   in Loop: Header=BB152_5 Depth=1
	v_mad_i64_i32 v[6:7], s[2:3], v19, s9, 0
	v_lshlrev_b64 v[6:7], 3, v[6:7]
	v_add_co_u32_e64 v6, s[2:3], v8, v6
	v_addc_co_u32_e64 v7, s[2:3], v9, v7, s[2:3]
	global_load_dwordx2 v[6:7], v[6:7], off
.LBB152_7:                              ;   in Loop: Header=BB152_5 Depth=1
	s_or_b64 exec, exec, s[6:7]
	s_waitcnt vmcnt(0)
	ds_write_b64 v11, v[6:7]
	v_add_u32_e32 v6, s8, v0
	v_cmp_gt_i32_e64 s[2:3], s14, v6
	s_and_b64 s[2:3], s[0:1], s[2:3]
	s_and_saveexec_b64 s[6:7], s[2:3]
	s_cbranch_execz .LBB152_9
; %bb.8:                                ;   in Loop: Header=BB152_5 Depth=1
	v_mad_i64_i32 v[4:5], s[2:3], v6, s12, 0
	v_lshlrev_b64 v[4:5], 3, v[4:5]
	v_add_co_u32_e64 v4, s[2:3], v12, v4
	v_addc_co_u32_e64 v5, s[2:3], v13, v5, s[2:3]
	global_load_dwordx2 v[4:5], v[4:5], off
.LBB152_9:                              ;   in Loop: Header=BB152_5 Depth=1
	s_or_b64 exec, exec, s[6:7]
	s_waitcnt vmcnt(0)
	ds_write_b64 v15, v[4:5]
	s_waitcnt lgkmcnt(0)
	s_barrier
	s_and_saveexec_b64 s[2:3], s[4:5]
	s_cbranch_execz .LBB152_4
; %bb.10:                               ;   in Loop: Header=BB152_5 Depth=1
	ds_read2_b64 v[4:7], v14 offset1:32
	ds_read_b128 v[19:22], v10
	s_waitcnt lgkmcnt(0)
	v_fma_f64 v[4:5], v[19:20], v[4:5], 0
	v_fma_f64 v[23:24], v[21:22], v[6:7], v[4:5]
	ds_read_b128 v[4:7], v10 offset:16
	ds_read2_b64 v[19:22], v14 offset0:64 offset1:96
	s_waitcnt lgkmcnt(0)
	v_fma_f64 v[4:5], v[4:5], v[19:20], v[23:24]
	v_fma_f64 v[23:24], v[6:7], v[21:22], v[4:5]
	ds_read2_b64 v[4:7], v14 offset0:128 offset1:160
	ds_read_b128 v[19:22], v10 offset:32
	s_waitcnt lgkmcnt(0)
	v_fma_f64 v[4:5], v[19:20], v[4:5], v[23:24]
	v_fma_f64 v[23:24], v[21:22], v[6:7], v[4:5]
	ds_read_b128 v[4:7], v10 offset:48
	ds_read2_b64 v[19:22], v14 offset0:192 offset1:224
	s_waitcnt lgkmcnt(0)
	v_fma_f64 v[4:5], v[4:5], v[19:20], v[23:24]
	v_fma_f64 v[23:24], v[6:7], v[21:22], v[4:5]
	ds_read2_b64 v[4:7], v16 offset1:32
	ds_read_b128 v[19:22], v10 offset:64
	s_waitcnt lgkmcnt(0)
	v_fma_f64 v[4:5], v[19:20], v[4:5], v[23:24]
	v_fma_f64 v[23:24], v[21:22], v[6:7], v[4:5]
	ds_read_b128 v[4:7], v10 offset:80
	ds_read2_b64 v[19:22], v16 offset0:64 offset1:96
	s_waitcnt lgkmcnt(0)
	v_fma_f64 v[4:5], v[4:5], v[19:20], v[23:24]
	v_fma_f64 v[23:24], v[6:7], v[21:22], v[4:5]
	ds_read2_b64 v[4:7], v16 offset0:128 offset1:160
	ds_read_b128 v[19:22], v10 offset:96
	s_waitcnt lgkmcnt(0)
	v_fma_f64 v[4:5], v[19:20], v[4:5], v[23:24]
	v_fma_f64 v[23:24], v[21:22], v[6:7], v[4:5]
	ds_read_b128 v[4:7], v10 offset:112
	ds_read2_b64 v[19:22], v16 offset0:192 offset1:224
	s_waitcnt lgkmcnt(0)
	v_fma_f64 v[4:5], v[4:5], v[19:20], v[23:24]
	v_fma_f64 v[23:24], v[6:7], v[21:22], v[4:5]
	ds_read2_b64 v[4:7], v17 offset1:32
	ds_read_b128 v[19:22], v10 offset:128
	s_waitcnt lgkmcnt(0)
	v_fma_f64 v[4:5], v[19:20], v[4:5], v[23:24]
	v_fma_f64 v[23:24], v[21:22], v[6:7], v[4:5]
	ds_read_b128 v[4:7], v10 offset:144
	ds_read2_b64 v[19:22], v17 offset0:64 offset1:96
	s_waitcnt lgkmcnt(0)
	v_fma_f64 v[4:5], v[4:5], v[19:20], v[23:24]
	v_fma_f64 v[23:24], v[6:7], v[21:22], v[4:5]
	ds_read2_b64 v[4:7], v17 offset0:128 offset1:160
	ds_read_b128 v[19:22], v10 offset:160
	s_waitcnt lgkmcnt(0)
	v_fma_f64 v[4:5], v[19:20], v[4:5], v[23:24]
	v_fma_f64 v[23:24], v[21:22], v[6:7], v[4:5]
	ds_read_b128 v[4:7], v10 offset:176
	ds_read2_b64 v[19:22], v17 offset0:192 offset1:224
	s_waitcnt lgkmcnt(0)
	v_fma_f64 v[4:5], v[4:5], v[19:20], v[23:24]
	global_load_dwordx2 v[23:24], v[2:3], off
	v_fma_f64 v[25:26], v[6:7], v[21:22], v[4:5]
	ds_read2_b64 v[4:7], v18 offset1:32
	ds_read_b128 v[19:22], v10 offset:192
	s_waitcnt lgkmcnt(0)
	v_fma_f64 v[4:5], v[19:20], v[4:5], v[25:26]
	v_fma_f64 v[25:26], v[21:22], v[6:7], v[4:5]
	ds_read_b128 v[4:7], v10 offset:208
	ds_read2_b64 v[19:22], v18 offset0:64 offset1:96
	s_waitcnt lgkmcnt(0)
	v_fma_f64 v[4:5], v[4:5], v[19:20], v[25:26]
	v_fma_f64 v[25:26], v[6:7], v[21:22], v[4:5]
	ds_read2_b64 v[4:7], v18 offset0:128 offset1:160
	ds_read_b128 v[19:22], v10 offset:224
	s_waitcnt lgkmcnt(0)
	v_fma_f64 v[4:5], v[19:20], v[4:5], v[25:26]
	v_fma_f64 v[25:26], v[21:22], v[6:7], v[4:5]
	ds_read_b128 v[4:7], v10 offset:240
	ds_read2_b64 v[19:22], v18 offset0:192 offset1:224
	s_waitcnt lgkmcnt(0)
	v_fma_f64 v[4:5], v[4:5], v[19:20], v[25:26]
	v_fma_f64 v[4:5], v[6:7], v[21:22], v[4:5]
	s_waitcnt vmcnt(0)
	v_fma_f64 v[4:5], s[10:11], v[4:5], v[23:24]
	global_store_dwordx2 v[2:3], v[4:5], off
	s_branch .LBB152_4
.LBB152_11:
	s_endpgm
	.section	.rodata,"a",@progbits
	.p2align	6, 0x0
	.amdhsa_kernel _ZL26rocblas_syr2k_her2k_kernelIiLb0ELb0ELb0ELi32EPKdS1_PdEvbiT_T4_T5_S3_lS5_S3_lT6_S3_li
		.amdhsa_group_segment_fixed_size 16384
		.amdhsa_private_segment_fixed_size 0
		.amdhsa_kernarg_size 100
		.amdhsa_user_sgpr_count 6
		.amdhsa_user_sgpr_private_segment_buffer 1
		.amdhsa_user_sgpr_dispatch_ptr 0
		.amdhsa_user_sgpr_queue_ptr 0
		.amdhsa_user_sgpr_kernarg_segment_ptr 1
		.amdhsa_user_sgpr_dispatch_id 0
		.amdhsa_user_sgpr_flat_scratch_init 0
		.amdhsa_user_sgpr_private_segment_size 0
		.amdhsa_uses_dynamic_stack 0
		.amdhsa_system_sgpr_private_segment_wavefront_offset 0
		.amdhsa_system_sgpr_workgroup_id_x 1
		.amdhsa_system_sgpr_workgroup_id_y 1
		.amdhsa_system_sgpr_workgroup_id_z 1
		.amdhsa_system_sgpr_workgroup_info 0
		.amdhsa_system_vgpr_workitem_id 1
		.amdhsa_next_free_vgpr 29
		.amdhsa_next_free_sgpr 61
		.amdhsa_reserve_vcc 1
		.amdhsa_reserve_flat_scratch 0
		.amdhsa_float_round_mode_32 0
		.amdhsa_float_round_mode_16_64 0
		.amdhsa_float_denorm_mode_32 3
		.amdhsa_float_denorm_mode_16_64 3
		.amdhsa_dx10_clamp 1
		.amdhsa_ieee_mode 1
		.amdhsa_fp16_overflow 0
		.amdhsa_exception_fp_ieee_invalid_op 0
		.amdhsa_exception_fp_denorm_src 0
		.amdhsa_exception_fp_ieee_div_zero 0
		.amdhsa_exception_fp_ieee_overflow 0
		.amdhsa_exception_fp_ieee_underflow 0
		.amdhsa_exception_fp_ieee_inexact 0
		.amdhsa_exception_int_div_zero 0
	.end_amdhsa_kernel
	.section	.text._ZL26rocblas_syr2k_her2k_kernelIiLb0ELb0ELb0ELi32EPKdS1_PdEvbiT_T4_T5_S3_lS5_S3_lT6_S3_li,"axG",@progbits,_ZL26rocblas_syr2k_her2k_kernelIiLb0ELb0ELb0ELi32EPKdS1_PdEvbiT_T4_T5_S3_lS5_S3_lT6_S3_li,comdat
.Lfunc_end152:
	.size	_ZL26rocblas_syr2k_her2k_kernelIiLb0ELb0ELb0ELi32EPKdS1_PdEvbiT_T4_T5_S3_lS5_S3_lT6_S3_li, .Lfunc_end152-_ZL26rocblas_syr2k_her2k_kernelIiLb0ELb0ELb0ELi32EPKdS1_PdEvbiT_T4_T5_S3_lS5_S3_lT6_S3_li
                                        ; -- End function
	.set _ZL26rocblas_syr2k_her2k_kernelIiLb0ELb0ELb0ELi32EPKdS1_PdEvbiT_T4_T5_S3_lS5_S3_lT6_S3_li.num_vgpr, 27
	.set _ZL26rocblas_syr2k_her2k_kernelIiLb0ELb0ELb0ELi32EPKdS1_PdEvbiT_T4_T5_S3_lS5_S3_lT6_S3_li.num_agpr, 0
	.set _ZL26rocblas_syr2k_her2k_kernelIiLb0ELb0ELb0ELi32EPKdS1_PdEvbiT_T4_T5_S3_lS5_S3_lT6_S3_li.numbered_sgpr, 24
	.set _ZL26rocblas_syr2k_her2k_kernelIiLb0ELb0ELb0ELi32EPKdS1_PdEvbiT_T4_T5_S3_lS5_S3_lT6_S3_li.num_named_barrier, 0
	.set _ZL26rocblas_syr2k_her2k_kernelIiLb0ELb0ELb0ELi32EPKdS1_PdEvbiT_T4_T5_S3_lS5_S3_lT6_S3_li.private_seg_size, 0
	.set _ZL26rocblas_syr2k_her2k_kernelIiLb0ELb0ELb0ELi32EPKdS1_PdEvbiT_T4_T5_S3_lS5_S3_lT6_S3_li.uses_vcc, 1
	.set _ZL26rocblas_syr2k_her2k_kernelIiLb0ELb0ELb0ELi32EPKdS1_PdEvbiT_T4_T5_S3_lS5_S3_lT6_S3_li.uses_flat_scratch, 0
	.set _ZL26rocblas_syr2k_her2k_kernelIiLb0ELb0ELb0ELi32EPKdS1_PdEvbiT_T4_T5_S3_lS5_S3_lT6_S3_li.has_dyn_sized_stack, 0
	.set _ZL26rocblas_syr2k_her2k_kernelIiLb0ELb0ELb0ELi32EPKdS1_PdEvbiT_T4_T5_S3_lS5_S3_lT6_S3_li.has_recursion, 0
	.set _ZL26rocblas_syr2k_her2k_kernelIiLb0ELb0ELb0ELi32EPKdS1_PdEvbiT_T4_T5_S3_lS5_S3_lT6_S3_li.has_indirect_call, 0
	.section	.AMDGPU.csdata,"",@progbits
; Kernel info:
; codeLenInByte = 1280
; TotalNumSgprs: 28
; NumVgprs: 27
; ScratchSize: 0
; MemoryBound: 0
; FloatMode: 240
; IeeeMode: 1
; LDSByteSize: 16384 bytes/workgroup (compile time only)
; SGPRBlocks: 8
; VGPRBlocks: 7
; NumSGPRsForWavesPerEU: 65
; NumVGPRsForWavesPerEU: 29
; Occupancy: 8
; WaveLimiterHint : 0
; COMPUTE_PGM_RSRC2:SCRATCH_EN: 0
; COMPUTE_PGM_RSRC2:USER_SGPR: 6
; COMPUTE_PGM_RSRC2:TRAP_HANDLER: 0
; COMPUTE_PGM_RSRC2:TGID_X_EN: 1
; COMPUTE_PGM_RSRC2:TGID_Y_EN: 1
; COMPUTE_PGM_RSRC2:TGID_Z_EN: 1
; COMPUTE_PGM_RSRC2:TIDIG_COMP_CNT: 1
	.section	.text._ZL26rocblas_syr2k_her2k_kernelIiLb0ELb0ELb1ELi32EPKdS1_PdEvbiT_T4_T5_S3_lS5_S3_lT6_S3_li,"axG",@progbits,_ZL26rocblas_syr2k_her2k_kernelIiLb0ELb0ELb1ELi32EPKdS1_PdEvbiT_T4_T5_S3_lS5_S3_lT6_S3_li,comdat
	.globl	_ZL26rocblas_syr2k_her2k_kernelIiLb0ELb0ELb1ELi32EPKdS1_PdEvbiT_T4_T5_S3_lS5_S3_lT6_S3_li ; -- Begin function _ZL26rocblas_syr2k_her2k_kernelIiLb0ELb0ELb1ELi32EPKdS1_PdEvbiT_T4_T5_S3_lS5_S3_lT6_S3_li
	.p2align	8
	.type	_ZL26rocblas_syr2k_her2k_kernelIiLb0ELb0ELb1ELi32EPKdS1_PdEvbiT_T4_T5_S3_lS5_S3_lT6_S3_li,@function
_ZL26rocblas_syr2k_her2k_kernelIiLb0ELb0ELb1ELi32EPKdS1_PdEvbiT_T4_T5_S3_lS5_S3_lT6_S3_li: ; @_ZL26rocblas_syr2k_her2k_kernelIiLb0ELb0ELb1ELi32EPKdS1_PdEvbiT_T4_T5_S3_lS5_S3_lT6_S3_li
; %bb.0:
	s_load_dwordx4 s[0:3], s[4:5], 0x10
	s_waitcnt lgkmcnt(0)
	s_load_dwordx2 s[10:11], s[0:1], 0x0
	s_waitcnt lgkmcnt(0)
	v_cmp_eq_f64_e64 s[0:1], s[10:11], 0
	s_and_b64 vcc, exec, s[0:1]
	s_cbranch_vccnz .LBB153_11
; %bb.1:
	s_load_dwordx4 s[12:15], s[4:5], 0x0
	s_lshl_b32 s0, s7, 5
	s_lshl_b32 s1, s6, 5
	s_waitcnt lgkmcnt(0)
	s_and_b32 s6, 1, s12
	s_cmp_eq_u32 s6, 1
	s_cselect_b64 vcc, -1, 0
	s_and_b64 s[6:7], vcc, exec
	s_cselect_b32 s6, s1, s0
	s_cselect_b32 s7, s0, s1
	s_cmp_gt_i32 s6, s7
	s_cbranch_scc1 .LBB153_11
; %bb.2:
	s_cmp_lt_i32 s14, 1
	s_cbranch_scc1 .LBB153_11
; %bb.3:
	v_add_u32_e32 v2, s1, v0
	s_load_dword s9, s[4:5], 0x20
	s_load_dwordx4 s[16:19], s[4:5], 0x28
	s_load_dword s12, s[4:5], 0x38
	s_load_dwordx4 s[20:23], s[4:5], 0x40
	s_load_dword s15, s[4:5], 0x50
	s_load_dwordx2 s[6:7], s[4:5], 0x58
	v_add_u32_e32 v6, s0, v1
	s_waitcnt lgkmcnt(0)
	v_mad_i64_i32 v[4:5], s[0:1], s9, v2, 0
	s_mul_i32 s4, s17, s8
	s_mul_hi_u32 s5, s16, s8
	s_add_i32 s5, s5, s4
	s_mul_i32 s4, s16, s8
	s_lshl_b64 s[4:5], s[4:5], 3
	s_add_u32 s4, s2, s4
	v_lshlrev_b64 v[4:5], 3, v[4:5]
	s_addc_u32 s5, s3, s5
	s_mul_i32 s2, s21, s8
	s_mul_hi_u32 s3, s20, s8
	s_add_i32 s3, s3, s2
	s_mul_i32 s2, s20, s8
	v_mov_b32_e32 v10, s5
	v_add_co_u32_e64 v9, s[0:1], s4, v4
	s_lshl_b64 s[2:3], s[2:3], 3
	v_addc_co_u32_e64 v10, s[0:1], v10, v5, s[0:1]
	v_mad_i64_i32 v[4:5], s[0:1], s12, v6, 0
	s_add_u32 s16, s18, s2
	s_addc_u32 s17, s19, s3
	s_mul_i32 s2, s7, s8
	s_mul_hi_u32 s3, s6, s8
	s_add_i32 s3, s3, s2
	s_mul_i32 s2, s6, s8
	s_lshl_b64 s[2:3], s[2:3], 3
	v_lshlrev_b64 v[4:5], 3, v[4:5]
	s_add_u32 s6, s22, s2
	s_addc_u32 s7, s23, s3
	v_mov_b32_e32 v14, s17
	v_add_co_u32_e64 v13, s[2:3], s16, v4
	v_addc_co_u32_e64 v14, s[2:3], v14, v5, s[2:3]
	v_mad_i64_i32 v[4:5], s[2:3], s15, v6, 0
	v_cndmask_b32_e32 v7, v2, v6, vcc
	v_cndmask_b32_e32 v8, v6, v2, vcc
	v_cmp_gt_i32_e32 vcc, s13, v2
	v_cmp_gt_i32_e64 s[0:1], s13, v6
	v_lshlrev_b64 v[4:5], 3, v[4:5]
	v_ashrrev_i32_e32 v3, 31, v2
	v_cmp_le_i32_e64 s[2:3], v8, v7
	s_and_b64 s[4:5], s[0:1], vcc
	s_and_b64 s[4:5], s[4:5], s[2:3]
	v_mov_b32_e32 v6, s7
	v_add_co_u32_e64 v4, s[2:3], s6, v4
	v_lshlrev_b64 v[2:3], 3, v[2:3]
	v_lshlrev_b32_e32 v11, 8, v0
	v_lshlrev_b32_e32 v15, 3, v1
	v_addc_co_u32_e64 v5, s[2:3], v6, v5, s[2:3]
	v_add_u32_e32 v12, v11, v15
	v_or_b32_e32 v15, 0x2000, v15
	v_add_co_u32_e64 v2, s[2:3], v4, v2
	v_add_u32_e32 v16, v15, v11
	v_addc_co_u32_e64 v3, s[2:3], v5, v3, s[2:3]
	s_mov_b32 s8, 0
	v_add_u32_e32 v17, 0x800, v15
	v_add_u32_e32 v18, 0x1000, v15
	;; [unrolled: 1-line block ×3, first 2 shown]
	s_branch .LBB153_5
.LBB153_4:                              ;   in Loop: Header=BB153_5 Depth=1
	s_or_b64 exec, exec, s[2:3]
	s_add_i32 s8, s8, 32
	s_cmp_lt_i32 s8, s14
	s_waitcnt vmcnt(0)
	s_barrier
	s_cbranch_scc0 .LBB153_11
.LBB153_5:                              ; =>This Inner Loop Header: Depth=1
	v_add_u32_e32 v6, s8, v1
	v_cmp_gt_i32_e64 s[2:3], s14, v6
	v_mov_b32_e32 v4, 0
	v_mov_b32_e32 v7, 0
	;; [unrolled: 1-line block ×4, first 2 shown]
	s_and_b64 s[2:3], vcc, s[2:3]
	s_and_saveexec_b64 s[6:7], s[2:3]
	s_cbranch_execz .LBB153_7
; %bb.6:                                ;   in Loop: Header=BB153_5 Depth=1
	v_ashrrev_i32_e32 v7, 31, v6
	v_lshlrev_b64 v[6:7], 3, v[6:7]
	v_add_co_u32_e64 v6, s[2:3], v9, v6
	v_addc_co_u32_e64 v7, s[2:3], v10, v7, s[2:3]
	global_load_dwordx2 v[7:8], v[6:7], off
.LBB153_7:                              ;   in Loop: Header=BB153_5 Depth=1
	s_or_b64 exec, exec, s[6:7]
	v_add_u32_e32 v6, s8, v0
	v_cmp_gt_i32_e64 s[2:3], s14, v6
	s_and_b64 s[2:3], s[0:1], s[2:3]
	s_waitcnt vmcnt(0)
	ds_write_b64 v12, v[7:8]
	s_and_saveexec_b64 s[6:7], s[2:3]
	s_cbranch_execz .LBB153_9
; %bb.8:                                ;   in Loop: Header=BB153_5 Depth=1
	v_ashrrev_i32_e32 v7, 31, v6
	v_lshlrev_b64 v[4:5], 3, v[6:7]
	v_add_co_u32_e64 v4, s[2:3], v13, v4
	v_addc_co_u32_e64 v5, s[2:3], v14, v5, s[2:3]
	global_load_dwordx2 v[4:5], v[4:5], off
.LBB153_9:                              ;   in Loop: Header=BB153_5 Depth=1
	s_or_b64 exec, exec, s[6:7]
	s_waitcnt vmcnt(0)
	ds_write_b64 v16, v[4:5]
	s_waitcnt lgkmcnt(0)
	s_barrier
	s_and_saveexec_b64 s[2:3], s[4:5]
	s_cbranch_execz .LBB153_4
; %bb.10:                               ;   in Loop: Header=BB153_5 Depth=1
	ds_read2_b64 v[4:7], v15 offset1:32
	ds_read_b128 v[20:23], v11
	s_waitcnt lgkmcnt(0)
	v_fma_f64 v[4:5], v[20:21], v[4:5], 0
	v_fma_f64 v[24:25], v[22:23], v[6:7], v[4:5]
	ds_read_b128 v[4:7], v11 offset:16
	ds_read2_b64 v[20:23], v15 offset0:64 offset1:96
	s_waitcnt lgkmcnt(0)
	v_fma_f64 v[4:5], v[4:5], v[20:21], v[24:25]
	v_fma_f64 v[24:25], v[6:7], v[22:23], v[4:5]
	ds_read2_b64 v[4:7], v15 offset0:128 offset1:160
	ds_read_b128 v[20:23], v11 offset:32
	s_waitcnt lgkmcnt(0)
	v_fma_f64 v[4:5], v[20:21], v[4:5], v[24:25]
	v_fma_f64 v[24:25], v[22:23], v[6:7], v[4:5]
	ds_read_b128 v[4:7], v11 offset:48
	ds_read2_b64 v[20:23], v15 offset0:192 offset1:224
	s_waitcnt lgkmcnt(0)
	v_fma_f64 v[4:5], v[4:5], v[20:21], v[24:25]
	v_fma_f64 v[24:25], v[6:7], v[22:23], v[4:5]
	ds_read2_b64 v[4:7], v17 offset1:32
	ds_read_b128 v[20:23], v11 offset:64
	s_waitcnt lgkmcnt(0)
	v_fma_f64 v[4:5], v[20:21], v[4:5], v[24:25]
	v_fma_f64 v[24:25], v[22:23], v[6:7], v[4:5]
	ds_read_b128 v[4:7], v11 offset:80
	ds_read2_b64 v[20:23], v17 offset0:64 offset1:96
	s_waitcnt lgkmcnt(0)
	v_fma_f64 v[4:5], v[4:5], v[20:21], v[24:25]
	v_fma_f64 v[24:25], v[6:7], v[22:23], v[4:5]
	ds_read2_b64 v[4:7], v17 offset0:128 offset1:160
	ds_read_b128 v[20:23], v11 offset:96
	s_waitcnt lgkmcnt(0)
	v_fma_f64 v[4:5], v[20:21], v[4:5], v[24:25]
	v_fma_f64 v[24:25], v[22:23], v[6:7], v[4:5]
	ds_read_b128 v[4:7], v11 offset:112
	ds_read2_b64 v[20:23], v17 offset0:192 offset1:224
	s_waitcnt lgkmcnt(0)
	v_fma_f64 v[4:5], v[4:5], v[20:21], v[24:25]
	v_fma_f64 v[24:25], v[6:7], v[22:23], v[4:5]
	ds_read2_b64 v[4:7], v18 offset1:32
	ds_read_b128 v[20:23], v11 offset:128
	s_waitcnt lgkmcnt(0)
	v_fma_f64 v[4:5], v[20:21], v[4:5], v[24:25]
	v_fma_f64 v[24:25], v[22:23], v[6:7], v[4:5]
	ds_read_b128 v[4:7], v11 offset:144
	ds_read2_b64 v[20:23], v18 offset0:64 offset1:96
	s_waitcnt lgkmcnt(0)
	v_fma_f64 v[4:5], v[4:5], v[20:21], v[24:25]
	v_fma_f64 v[24:25], v[6:7], v[22:23], v[4:5]
	ds_read2_b64 v[4:7], v18 offset0:128 offset1:160
	ds_read_b128 v[20:23], v11 offset:160
	s_waitcnt lgkmcnt(0)
	v_fma_f64 v[4:5], v[20:21], v[4:5], v[24:25]
	v_fma_f64 v[24:25], v[22:23], v[6:7], v[4:5]
	ds_read_b128 v[4:7], v11 offset:176
	ds_read2_b64 v[20:23], v18 offset0:192 offset1:224
	s_waitcnt lgkmcnt(0)
	v_fma_f64 v[4:5], v[4:5], v[20:21], v[24:25]
	global_load_dwordx2 v[24:25], v[2:3], off
	v_fma_f64 v[26:27], v[6:7], v[22:23], v[4:5]
	ds_read2_b64 v[4:7], v19 offset1:32
	ds_read_b128 v[20:23], v11 offset:192
	s_waitcnt lgkmcnt(0)
	v_fma_f64 v[4:5], v[20:21], v[4:5], v[26:27]
	v_fma_f64 v[26:27], v[22:23], v[6:7], v[4:5]
	ds_read_b128 v[4:7], v11 offset:208
	ds_read2_b64 v[20:23], v19 offset0:64 offset1:96
	s_waitcnt lgkmcnt(0)
	v_fma_f64 v[4:5], v[4:5], v[20:21], v[26:27]
	v_fma_f64 v[26:27], v[6:7], v[22:23], v[4:5]
	ds_read2_b64 v[4:7], v19 offset0:128 offset1:160
	ds_read_b128 v[20:23], v11 offset:224
	s_waitcnt lgkmcnt(0)
	v_fma_f64 v[4:5], v[20:21], v[4:5], v[26:27]
	v_fma_f64 v[26:27], v[22:23], v[6:7], v[4:5]
	ds_read_b128 v[4:7], v11 offset:240
	ds_read2_b64 v[20:23], v19 offset0:192 offset1:224
	s_waitcnt lgkmcnt(0)
	v_fma_f64 v[4:5], v[4:5], v[20:21], v[26:27]
	v_fma_f64 v[4:5], v[6:7], v[22:23], v[4:5]
	s_waitcnt vmcnt(0)
	v_fma_f64 v[4:5], s[10:11], v[4:5], v[24:25]
	global_store_dwordx2 v[2:3], v[4:5], off
	s_branch .LBB153_4
.LBB153_11:
	s_endpgm
	.section	.rodata,"a",@progbits
	.p2align	6, 0x0
	.amdhsa_kernel _ZL26rocblas_syr2k_her2k_kernelIiLb0ELb0ELb1ELi32EPKdS1_PdEvbiT_T4_T5_S3_lS5_S3_lT6_S3_li
		.amdhsa_group_segment_fixed_size 16384
		.amdhsa_private_segment_fixed_size 0
		.amdhsa_kernarg_size 100
		.amdhsa_user_sgpr_count 6
		.amdhsa_user_sgpr_private_segment_buffer 1
		.amdhsa_user_sgpr_dispatch_ptr 0
		.amdhsa_user_sgpr_queue_ptr 0
		.amdhsa_user_sgpr_kernarg_segment_ptr 1
		.amdhsa_user_sgpr_dispatch_id 0
		.amdhsa_user_sgpr_flat_scratch_init 0
		.amdhsa_user_sgpr_private_segment_size 0
		.amdhsa_uses_dynamic_stack 0
		.amdhsa_system_sgpr_private_segment_wavefront_offset 0
		.amdhsa_system_sgpr_workgroup_id_x 1
		.amdhsa_system_sgpr_workgroup_id_y 1
		.amdhsa_system_sgpr_workgroup_id_z 1
		.amdhsa_system_sgpr_workgroup_info 0
		.amdhsa_system_vgpr_workitem_id 1
		.amdhsa_next_free_vgpr 29
		.amdhsa_next_free_sgpr 61
		.amdhsa_reserve_vcc 1
		.amdhsa_reserve_flat_scratch 0
		.amdhsa_float_round_mode_32 0
		.amdhsa_float_round_mode_16_64 0
		.amdhsa_float_denorm_mode_32 3
		.amdhsa_float_denorm_mode_16_64 3
		.amdhsa_dx10_clamp 1
		.amdhsa_ieee_mode 1
		.amdhsa_fp16_overflow 0
		.amdhsa_exception_fp_ieee_invalid_op 0
		.amdhsa_exception_fp_denorm_src 0
		.amdhsa_exception_fp_ieee_div_zero 0
		.amdhsa_exception_fp_ieee_overflow 0
		.amdhsa_exception_fp_ieee_underflow 0
		.amdhsa_exception_fp_ieee_inexact 0
		.amdhsa_exception_int_div_zero 0
	.end_amdhsa_kernel
	.section	.text._ZL26rocblas_syr2k_her2k_kernelIiLb0ELb0ELb1ELi32EPKdS1_PdEvbiT_T4_T5_S3_lS5_S3_lT6_S3_li,"axG",@progbits,_ZL26rocblas_syr2k_her2k_kernelIiLb0ELb0ELb1ELi32EPKdS1_PdEvbiT_T4_T5_S3_lS5_S3_lT6_S3_li,comdat
.Lfunc_end153:
	.size	_ZL26rocblas_syr2k_her2k_kernelIiLb0ELb0ELb1ELi32EPKdS1_PdEvbiT_T4_T5_S3_lS5_S3_lT6_S3_li, .Lfunc_end153-_ZL26rocblas_syr2k_her2k_kernelIiLb0ELb0ELb1ELi32EPKdS1_PdEvbiT_T4_T5_S3_lS5_S3_lT6_S3_li
                                        ; -- End function
	.set _ZL26rocblas_syr2k_her2k_kernelIiLb0ELb0ELb1ELi32EPKdS1_PdEvbiT_T4_T5_S3_lS5_S3_lT6_S3_li.num_vgpr, 28
	.set _ZL26rocblas_syr2k_her2k_kernelIiLb0ELb0ELb1ELi32EPKdS1_PdEvbiT_T4_T5_S3_lS5_S3_lT6_S3_li.num_agpr, 0
	.set _ZL26rocblas_syr2k_her2k_kernelIiLb0ELb0ELb1ELi32EPKdS1_PdEvbiT_T4_T5_S3_lS5_S3_lT6_S3_li.numbered_sgpr, 24
	.set _ZL26rocblas_syr2k_her2k_kernelIiLb0ELb0ELb1ELi32EPKdS1_PdEvbiT_T4_T5_S3_lS5_S3_lT6_S3_li.num_named_barrier, 0
	.set _ZL26rocblas_syr2k_her2k_kernelIiLb0ELb0ELb1ELi32EPKdS1_PdEvbiT_T4_T5_S3_lS5_S3_lT6_S3_li.private_seg_size, 0
	.set _ZL26rocblas_syr2k_her2k_kernelIiLb0ELb0ELb1ELi32EPKdS1_PdEvbiT_T4_T5_S3_lS5_S3_lT6_S3_li.uses_vcc, 1
	.set _ZL26rocblas_syr2k_her2k_kernelIiLb0ELb0ELb1ELi32EPKdS1_PdEvbiT_T4_T5_S3_lS5_S3_lT6_S3_li.uses_flat_scratch, 0
	.set _ZL26rocblas_syr2k_her2k_kernelIiLb0ELb0ELb1ELi32EPKdS1_PdEvbiT_T4_T5_S3_lS5_S3_lT6_S3_li.has_dyn_sized_stack, 0
	.set _ZL26rocblas_syr2k_her2k_kernelIiLb0ELb0ELb1ELi32EPKdS1_PdEvbiT_T4_T5_S3_lS5_S3_lT6_S3_li.has_recursion, 0
	.set _ZL26rocblas_syr2k_her2k_kernelIiLb0ELb0ELb1ELi32EPKdS1_PdEvbiT_T4_T5_S3_lS5_S3_lT6_S3_li.has_indirect_call, 0
	.section	.AMDGPU.csdata,"",@progbits
; Kernel info:
; codeLenInByte = 1292
; TotalNumSgprs: 28
; NumVgprs: 28
; ScratchSize: 0
; MemoryBound: 0
; FloatMode: 240
; IeeeMode: 1
; LDSByteSize: 16384 bytes/workgroup (compile time only)
; SGPRBlocks: 8
; VGPRBlocks: 7
; NumSGPRsForWavesPerEU: 65
; NumVGPRsForWavesPerEU: 29
; Occupancy: 8
; WaveLimiterHint : 0
; COMPUTE_PGM_RSRC2:SCRATCH_EN: 0
; COMPUTE_PGM_RSRC2:USER_SGPR: 6
; COMPUTE_PGM_RSRC2:TRAP_HANDLER: 0
; COMPUTE_PGM_RSRC2:TGID_X_EN: 1
; COMPUTE_PGM_RSRC2:TGID_Y_EN: 1
; COMPUTE_PGM_RSRC2:TGID_Z_EN: 1
; COMPUTE_PGM_RSRC2:TIDIG_COMP_CNT: 1
	.section	.text._ZL26rocblas_syr2k_her2k_kernelIiLb0ELb0ELb0ELi32E19rocblas_complex_numIfEPKS1_PS1_EvbiT_T4_T5_S5_lS7_S5_lT6_S5_li,"axG",@progbits,_ZL26rocblas_syr2k_her2k_kernelIiLb0ELb0ELb0ELi32E19rocblas_complex_numIfEPKS1_PS1_EvbiT_T4_T5_S5_lS7_S5_lT6_S5_li,comdat
	.globl	_ZL26rocblas_syr2k_her2k_kernelIiLb0ELb0ELb0ELi32E19rocblas_complex_numIfEPKS1_PS1_EvbiT_T4_T5_S5_lS7_S5_lT6_S5_li ; -- Begin function _ZL26rocblas_syr2k_her2k_kernelIiLb0ELb0ELb0ELi32E19rocblas_complex_numIfEPKS1_PS1_EvbiT_T4_T5_S5_lS7_S5_lT6_S5_li
	.p2align	8
	.type	_ZL26rocblas_syr2k_her2k_kernelIiLb0ELb0ELb0ELi32E19rocblas_complex_numIfEPKS1_PS1_EvbiT_T4_T5_S5_lS7_S5_lT6_S5_li,@function
_ZL26rocblas_syr2k_her2k_kernelIiLb0ELb0ELb0ELi32E19rocblas_complex_numIfEPKS1_PS1_EvbiT_T4_T5_S5_lS7_S5_lT6_S5_li: ; @_ZL26rocblas_syr2k_her2k_kernelIiLb0ELb0ELb0ELi32E19rocblas_complex_numIfEPKS1_PS1_EvbiT_T4_T5_S5_lS7_S5_lT6_S5_li
; %bb.0:
	s_load_dwordx4 s[12:15], s[4:5], 0x0
	s_load_dword s9, s[4:5], 0x10
	s_waitcnt lgkmcnt(0)
	v_cmp_eq_f32_e64 s[0:1], s15, 0
	v_cmp_eq_f32_e64 s[2:3], s9, 0
	s_and_b64 s[0:1], s[0:1], s[2:3]
	s_and_b64 vcc, exec, s[0:1]
	s_cbranch_vccnz .LBB154_11
; %bb.1:
	s_and_b32 s2, 1, s12
	s_lshl_b32 s0, s7, 5
	s_lshl_b32 s1, s6, 5
	s_cmp_eq_u32 s2, 1
	s_cselect_b64 vcc, -1, 0
	s_and_b64 s[2:3], vcc, exec
	s_cselect_b32 s2, s1, s0
	s_cselect_b32 s3, s0, s1
	s_cmp_gt_i32 s2, s3
	s_cbranch_scc1 .LBB154_11
; %bb.2:
	s_cmp_lt_i32 s14, 1
	s_cbranch_scc1 .LBB154_11
; %bb.3:
	s_load_dwordx2 s[2:3], s[4:5], 0x18
	s_load_dword s10, s[4:5], 0x20
	s_load_dwordx4 s[16:19], s[4:5], 0x28
	s_load_dword s11, s[4:5], 0x38
	s_load_dwordx4 s[20:23], s[4:5], 0x40
	s_load_dword s12, s[4:5], 0x50
	s_load_dwordx2 s[6:7], s[4:5], 0x58
	s_waitcnt lgkmcnt(0)
	s_mul_i32 s4, s17, s8
	s_mul_hi_u32 s5, s16, s8
	s_add_i32 s5, s5, s4
	s_mul_i32 s4, s16, s8
	s_lshl_b64 s[4:5], s[4:5], 3
	s_add_u32 s4, s2, s4
	s_addc_u32 s5, s3, s5
	s_mul_i32 s2, s21, s8
	s_mul_hi_u32 s3, s20, s8
	v_add_u32_e32 v3, s1, v0
	s_add_i32 s3, s3, s2
	s_mul_i32 s2, s20, s8
	v_ashrrev_i32_e32 v4, 31, v3
	s_lshl_b64 s[2:3], s[2:3], 3
	v_lshlrev_b64 v[4:5], 3, v[3:4]
	s_add_u32 s16, s18, s2
	v_add_u32_e32 v2, s0, v1
	s_addc_u32 s17, s19, s3
	s_mul_i32 s2, s7, s8
	s_mul_hi_u32 s3, s6, s8
	v_cndmask_b32_e32 v8, v3, v2, vcc
	v_cndmask_b32_e32 v9, v2, v3, vcc
	v_cmp_gt_i32_e32 vcc, s13, v3
	v_mov_b32_e32 v3, s5
	v_add_co_u32_e64 v16, s[0:1], s4, v4
	s_add_i32 s3, s3, s2
	s_mul_i32 s2, s6, s8
	v_addc_co_u32_e64 v17, s[0:1], v3, v5, s[0:1]
	v_ashrrev_i32_e32 v3, 31, v2
	s_lshl_b64 s[2:3], s[2:3], 3
	v_lshlrev_b64 v[6:7], 3, v[2:3]
	s_add_u32 s6, s22, s2
	s_addc_u32 s7, s23, s3
	v_mov_b32_e32 v3, s17
	v_add_co_u32_e64 v20, s[2:3], s16, v6
	v_cmp_gt_i32_e64 s[0:1], s13, v2
	v_addc_co_u32_e64 v21, s[2:3], v3, v7, s[2:3]
	v_mad_i64_i32 v[2:3], s[2:3], s12, v2, 0
	v_cmp_le_i32_e64 s[2:3], v9, v8
	s_and_b64 s[4:5], s[0:1], vcc
	v_lshlrev_b64 v[2:3], 3, v[2:3]
	s_and_b64 s[4:5], s[4:5], s[2:3]
	v_mov_b32_e32 v6, s7
	v_add_co_u32_e64 v2, s[2:3], s6, v2
	v_lshlrev_b32_e32 v10, 3, v1
	v_addc_co_u32_e64 v3, s[2:3], v6, v3, s[2:3]
	v_lshlrev_b32_e32 v18, 8, v0
	v_or_b32_e32 v22, 0x2000, v10
	v_add_co_u32_e64 v14, s[2:3], v2, v4
	v_add_u32_e32 v19, v18, v10
	v_add_u32_e32 v23, v22, v18
	v_addc_co_u32_e64 v15, s[2:3], v3, v5, s[2:3]
	s_mov_b32 s8, 0
	v_add_u32_e32 v24, 0x800, v22
	v_add_u32_e32 v25, 0x1000, v22
	;; [unrolled: 1-line block ×3, first 2 shown]
	s_branch .LBB154_5
.LBB154_4:                              ;   in Loop: Header=BB154_5 Depth=1
	s_or_b64 exec, exec, s[2:3]
	s_add_i32 s8, s8, 32
	s_cmp_lt_i32 s8, s14
	s_waitcnt vmcnt(0)
	s_barrier
	s_cbranch_scc0 .LBB154_11
.LBB154_5:                              ; =>This Inner Loop Header: Depth=1
	v_add_u32_e32 v5, s8, v1
	v_cmp_gt_i32_e64 s[2:3], s14, v5
	s_and_b64 s[2:3], vcc, s[2:3]
	v_mov_b32_e32 v2, 0
	v_mov_b32_e32 v3, 0
	;; [unrolled: 1-line block ×3, first 2 shown]
	s_and_saveexec_b64 s[6:7], s[2:3]
	s_cbranch_execz .LBB154_7
; %bb.6:                                ;   in Loop: Header=BB154_5 Depth=1
	v_mad_i64_i32 v[3:4], s[2:3], v5, s10, 0
	v_lshlrev_b64 v[3:4], 3, v[3:4]
	v_add_co_u32_e64 v3, s[2:3], v16, v3
	v_addc_co_u32_e64 v4, s[2:3], v17, v4, s[2:3]
	global_load_dwordx2 v[3:4], v[3:4], off
.LBB154_7:                              ;   in Loop: Header=BB154_5 Depth=1
	s_or_b64 exec, exec, s[6:7]
	s_waitcnt vmcnt(0)
	ds_write_b64 v19, v[3:4]
	v_add_u32_e32 v4, s8, v0
	v_cmp_gt_i32_e64 s[2:3], s14, v4
	s_and_b64 s[2:3], s[0:1], s[2:3]
	v_mov_b32_e32 v3, 0
	s_and_saveexec_b64 s[6:7], s[2:3]
	s_cbranch_execz .LBB154_9
; %bb.8:                                ;   in Loop: Header=BB154_5 Depth=1
	v_mad_i64_i32 v[2:3], s[2:3], v4, s11, 0
	v_lshlrev_b64 v[2:3], 3, v[2:3]
	v_add_co_u32_e64 v2, s[2:3], v20, v2
	v_addc_co_u32_e64 v3, s[2:3], v21, v3, s[2:3]
	global_load_dwordx2 v[2:3], v[2:3], off
.LBB154_9:                              ;   in Loop: Header=BB154_5 Depth=1
	s_or_b64 exec, exec, s[6:7]
	s_waitcnt vmcnt(0)
	ds_write_b64 v23, v[2:3]
	s_waitcnt lgkmcnt(0)
	s_barrier
	s_and_saveexec_b64 s[2:3], s[4:5]
	s_cbranch_execz .LBB154_4
; %bb.10:                               ;   in Loop: Header=BB154_5 Depth=1
	ds_read2_b64 v[2:5], v22 offset1:32
	ds_read_b128 v[6:9], v18
	ds_read_b128 v[10:13], v18 offset:16
	s_waitcnt lgkmcnt(1)
	v_mul_f32_e32 v27, v3, v7
	v_fma_f32 v32, v2, v6, -v27
	ds_read2_b64 v[27:30], v22 offset0:64 offset1:96
	v_mul_f32_e32 v31, v2, v7
	v_mul_f32_e32 v2, v5, v9
	v_fma_f32 v33, v4, v8, -v2
	v_fmac_f32_e32 v31, v3, v6
	s_waitcnt lgkmcnt(0)
	v_mul_f32_e32 v2, v28, v11
	v_mul_f32_e32 v34, v4, v9
	v_fma_f32 v35, v27, v10, -v2
	v_mul_f32_e32 v27, v27, v11
	v_mul_f32_e32 v2, v30, v13
	v_fmac_f32_e32 v34, v5, v8
	v_fmac_f32_e32 v27, v28, v10
	v_fma_f32 v28, v29, v12, -v2
	v_mul_f32_e32 v29, v29, v13
	v_add_f32_e32 v10, 0, v32
	v_add_f32_e32 v11, 0, v31
	v_fmac_f32_e32 v29, v30, v12
	ds_read_b128 v[2:5], v18 offset:32
	ds_read_b128 v[6:9], v18 offset:48
	v_add_f32_e32 v30, v10, v33
	v_add_f32_e32 v31, v11, v34
	ds_read2_b64 v[10:13], v22 offset0:128 offset1:160
	v_add_f32_e32 v27, v31, v27
	v_add_f32_e32 v30, v30, v35
	;; [unrolled: 1-line block ×4, first 2 shown]
	s_waitcnt lgkmcnt(0)
	v_mul_f32_e32 v29, v11, v3
	v_mul_f32_e32 v3, v10, v3
	v_fma_f32 v29, v10, v2, -v29
	v_fmac_f32_e32 v3, v11, v2
	v_add_f32_e32 v2, v28, v29
	v_add_f32_e32 v3, v27, v3
	ds_read2_b64 v[27:30], v22 offset0:192 offset1:224
	v_mul_f32_e32 v10, v13, v5
	v_mul_f32_e32 v5, v12, v5
	v_fma_f32 v10, v12, v4, -v10
	v_fmac_f32_e32 v5, v13, v4
	s_waitcnt lgkmcnt(0)
	v_mul_f32_e32 v4, v28, v7
	v_add_f32_e32 v2, v2, v10
	v_add_f32_e32 v3, v3, v5
	v_fma_f32 v4, v27, v6, -v4
	v_mul_f32_e32 v5, v27, v7
	v_fmac_f32_e32 v5, v28, v6
	v_add_f32_e32 v6, v2, v4
	v_mul_f32_e32 v2, v30, v9
	v_add_f32_e32 v7, v3, v5
	v_fma_f32 v13, v29, v8, -v2
	v_mul_f32_e32 v27, v29, v9
	ds_read_b128 v[2:5], v18 offset:64
	ds_read2_b64 v[9:12], v24 offset1:32
	v_fmac_f32_e32 v27, v30, v8
	v_add_f32_e32 v6, v6, v13
	v_add_f32_e32 v7, v7, v27
	ds_read_b128 v[27:30], v18 offset:80
	s_waitcnt lgkmcnt(1)
	v_mul_f32_e32 v8, v10, v3
	v_fma_f32 v8, v9, v2, -v8
	v_mul_f32_e32 v3, v9, v3
	v_fmac_f32_e32 v3, v10, v2
	v_add_f32_e32 v2, v6, v8
	v_mul_f32_e32 v6, v12, v5
	v_add_f32_e32 v3, v7, v3
	v_fma_f32 v10, v11, v4, -v6
	ds_read2_b64 v[6:9], v24 offset0:64 offset1:96
	v_mul_f32_e32 v5, v11, v5
	v_fmac_f32_e32 v5, v12, v4
	v_add_f32_e32 v2, v2, v10
	v_add_f32_e32 v3, v3, v5
	s_waitcnt lgkmcnt(0)
	v_mul_f32_e32 v4, v7, v28
	v_fma_f32 v4, v6, v27, -v4
	v_mul_f32_e32 v5, v6, v28
	v_fmac_f32_e32 v5, v7, v27
	v_add_f32_e32 v6, v2, v4
	v_mul_f32_e32 v2, v9, v30
	v_add_f32_e32 v7, v3, v5
	v_fma_f32 v27, v8, v29, -v2
	ds_read_b128 v[2:5], v18 offset:96
	ds_read2_b64 v[10:13], v24 offset0:128 offset1:160
	v_mul_f32_e32 v8, v8, v30
	v_fmac_f32_e32 v8, v9, v29
	v_add_f32_e32 v27, v6, v27
	v_add_f32_e32 v28, v7, v8
	s_waitcnt lgkmcnt(0)
	v_mul_f32_e32 v29, v11, v3
	v_mul_f32_e32 v3, v10, v3
	v_fma_f32 v29, v10, v2, -v29
	v_fmac_f32_e32 v3, v11, v2
	ds_read_b128 v[6:9], v18 offset:112
	v_add_f32_e32 v2, v27, v29
	v_add_f32_e32 v3, v28, v3
	ds_read2_b64 v[27:30], v24 offset0:192 offset1:224
	v_mul_f32_e32 v10, v13, v5
	v_mul_f32_e32 v5, v12, v5
	v_fma_f32 v10, v12, v4, -v10
	v_fmac_f32_e32 v5, v13, v4
	s_waitcnt lgkmcnt(0)
	v_mul_f32_e32 v4, v28, v7
	v_add_f32_e32 v2, v2, v10
	v_add_f32_e32 v3, v3, v5
	v_fma_f32 v4, v27, v6, -v4
	v_mul_f32_e32 v5, v27, v7
	v_fmac_f32_e32 v5, v28, v6
	v_add_f32_e32 v6, v2, v4
	v_mul_f32_e32 v2, v30, v9
	v_add_f32_e32 v7, v3, v5
	v_fma_f32 v13, v29, v8, -v2
	v_mul_f32_e32 v27, v29, v9
	ds_read_b128 v[2:5], v18 offset:128
	ds_read2_b64 v[9:12], v25 offset1:32
	v_fmac_f32_e32 v27, v30, v8
	v_add_f32_e32 v6, v6, v13
	v_add_f32_e32 v7, v7, v27
	ds_read_b128 v[27:30], v18 offset:144
	s_waitcnt lgkmcnt(1)
	v_mul_f32_e32 v8, v10, v3
	v_fma_f32 v8, v9, v2, -v8
	v_mul_f32_e32 v3, v9, v3
	ds_read2_b64 v[31:34], v25 offset0:64 offset1:96
	v_fmac_f32_e32 v3, v10, v2
	v_add_f32_e32 v2, v6, v8
	v_mul_f32_e32 v6, v12, v5
	v_fma_f32 v6, v11, v4, -v6
	v_mul_f32_e32 v5, v11, v5
	v_add_f32_e32 v3, v7, v3
	v_fmac_f32_e32 v5, v12, v4
	v_add_f32_e32 v2, v2, v6
	ds_read_b128 v[6:9], v18 offset:160
	ds_read2_b64 v[10:13], v25 offset0:128 offset1:160
	v_add_f32_e32 v3, v3, v5
	s_waitcnt lgkmcnt(2)
	v_mul_f32_e32 v4, v32, v28
	v_mul_f32_e32 v5, v31, v28
	v_fma_f32 v4, v31, v27, -v4
	v_fmac_f32_e32 v5, v32, v27
	v_add_f32_e32 v2, v2, v4
	v_add_f32_e32 v3, v3, v5
	v_mul_f32_e32 v4, v34, v30
	v_mul_f32_e32 v5, v33, v30
	v_fma_f32 v4, v33, v29, -v4
	v_fmac_f32_e32 v5, v34, v29
	s_waitcnt lgkmcnt(0)
	v_mul_f32_e32 v29, v11, v7
	v_mul_f32_e32 v30, v10, v7
	v_fma_f32 v29, v10, v6, -v29
	v_fmac_f32_e32 v30, v11, v6
	v_mul_f32_e32 v6, v13, v9
	v_fma_f32 v31, v12, v8, -v6
	global_load_dwordx2 v[6:7], v[14:15], off
	v_mul_f32_e32 v12, v12, v9
	v_add_f32_e32 v27, v2, v4
	v_add_f32_e32 v28, v3, v5
	ds_read_b128 v[2:5], v18 offset:176
	v_fmac_f32_e32 v12, v13, v8
	ds_read2_b64 v[8:11], v25 offset0:192 offset1:224
	v_add_f32_e32 v13, v27, v29
	v_add_f32_e32 v27, v28, v30
	;; [unrolled: 1-line block ×4, first 2 shown]
	s_waitcnt lgkmcnt(0)
	v_mul_f32_e32 v27, v9, v3
	v_mul_f32_e32 v28, v8, v3
	v_fma_f32 v27, v8, v2, -v27
	v_fmac_f32_e32 v28, v9, v2
	v_mul_f32_e32 v2, v11, v5
	v_mul_f32_e32 v29, v10, v5
	v_add_f32_e32 v13, v13, v27
	v_fma_f32 v27, v10, v4, -v2
	v_fmac_f32_e32 v29, v11, v4
	ds_read_b128 v[2:5], v18 offset:192
	ds_read2_b64 v[8:11], v26 offset1:32
	v_add_f32_e32 v12, v12, v28
	v_add_f32_e32 v13, v13, v27
	v_add_f32_e32 v12, v12, v29
	ds_read_b128 v[27:30], v18 offset:208
	s_waitcnt lgkmcnt(1)
	v_mul_f32_e32 v31, v9, v3
	v_fma_f32 v31, v8, v2, -v31
	v_mul_f32_e32 v8, v8, v3
	v_fmac_f32_e32 v8, v9, v2
	v_mul_f32_e32 v2, v11, v5
	v_fma_f32 v9, v10, v4, -v2
	v_mul_f32_e32 v10, v10, v5
	v_fmac_f32_e32 v10, v11, v4
	ds_read2_b64 v[2:5], v26 offset0:64 offset1:96
	v_add_f32_e32 v8, v12, v8
	v_add_f32_e32 v11, v13, v31
	;; [unrolled: 1-line block ×4, first 2 shown]
	s_waitcnt lgkmcnt(0)
	v_mul_f32_e32 v8, v3, v28
	v_fma_f32 v8, v2, v27, -v8
	v_mul_f32_e32 v13, v2, v28
	v_mul_f32_e32 v2, v5, v30
	v_mul_f32_e32 v30, v4, v30
	v_fmac_f32_e32 v13, v3, v27
	v_add_f32_e32 v27, v9, v8
	v_fma_f32 v28, v4, v29, -v2
	v_fmac_f32_e32 v30, v5, v29
	ds_read_b128 v[2:5], v18 offset:224
	ds_read2_b64 v[8:11], v26 offset0:128 offset1:160
	v_add_f32_e32 v12, v12, v13
	v_add_f32_e32 v13, v27, v28
	;; [unrolled: 1-line block ×3, first 2 shown]
	ds_read_b128 v[27:30], v18 offset:240
	s_waitcnt lgkmcnt(1)
	v_mul_f32_e32 v31, v9, v3
	v_fma_f32 v31, v8, v2, -v31
	v_mul_f32_e32 v8, v8, v3
	v_fmac_f32_e32 v8, v9, v2
	v_mul_f32_e32 v2, v11, v5
	v_fma_f32 v9, v10, v4, -v2
	v_mul_f32_e32 v10, v10, v5
	v_fmac_f32_e32 v10, v11, v4
	ds_read2_b64 v[2:5], v26 offset0:192 offset1:224
	v_add_f32_e32 v8, v12, v8
	v_add_f32_e32 v8, v8, v10
	;; [unrolled: 1-line block ×4, first 2 shown]
	s_waitcnt lgkmcnt(0)
	v_mul_f32_e32 v10, v3, v28
	v_fma_f32 v10, v2, v27, -v10
	v_mul_f32_e32 v2, v2, v28
	v_fmac_f32_e32 v2, v3, v27
	v_add_f32_e32 v2, v8, v2
	v_mul_f32_e32 v8, v5, v30
	v_fma_f32 v8, v4, v29, -v8
	v_mul_f32_e32 v4, v4, v30
	v_fmac_f32_e32 v4, v5, v29
	v_add_f32_e32 v3, v9, v10
	v_add_f32_e32 v2, v2, v4
	;; [unrolled: 1-line block ×3, first 2 shown]
	v_mul_f32_e32 v4, s9, v2
	v_fma_f32 v4, s15, v3, -v4
	v_mul_f32_e32 v3, s9, v3
	v_fmac_f32_e32 v3, s15, v2
	s_waitcnt vmcnt(0)
	v_add_f32_e32 v2, v6, v4
	v_add_f32_e32 v3, v7, v3
	global_store_dwordx2 v[14:15], v[2:3], off
	s_branch .LBB154_4
.LBB154_11:
	s_endpgm
	.section	.rodata,"a",@progbits
	.p2align	6, 0x0
	.amdhsa_kernel _ZL26rocblas_syr2k_her2k_kernelIiLb0ELb0ELb0ELi32E19rocblas_complex_numIfEPKS1_PS1_EvbiT_T4_T5_S5_lS7_S5_lT6_S5_li
		.amdhsa_group_segment_fixed_size 16384
		.amdhsa_private_segment_fixed_size 0
		.amdhsa_kernarg_size 100
		.amdhsa_user_sgpr_count 6
		.amdhsa_user_sgpr_private_segment_buffer 1
		.amdhsa_user_sgpr_dispatch_ptr 0
		.amdhsa_user_sgpr_queue_ptr 0
		.amdhsa_user_sgpr_kernarg_segment_ptr 1
		.amdhsa_user_sgpr_dispatch_id 0
		.amdhsa_user_sgpr_flat_scratch_init 0
		.amdhsa_user_sgpr_private_segment_size 0
		.amdhsa_uses_dynamic_stack 0
		.amdhsa_system_sgpr_private_segment_wavefront_offset 0
		.amdhsa_system_sgpr_workgroup_id_x 1
		.amdhsa_system_sgpr_workgroup_id_y 1
		.amdhsa_system_sgpr_workgroup_id_z 1
		.amdhsa_system_sgpr_workgroup_info 0
		.amdhsa_system_vgpr_workitem_id 1
		.amdhsa_next_free_vgpr 36
		.amdhsa_next_free_sgpr 61
		.amdhsa_reserve_vcc 1
		.amdhsa_reserve_flat_scratch 0
		.amdhsa_float_round_mode_32 0
		.amdhsa_float_round_mode_16_64 0
		.amdhsa_float_denorm_mode_32 3
		.amdhsa_float_denorm_mode_16_64 3
		.amdhsa_dx10_clamp 1
		.amdhsa_ieee_mode 1
		.amdhsa_fp16_overflow 0
		.amdhsa_exception_fp_ieee_invalid_op 0
		.amdhsa_exception_fp_denorm_src 0
		.amdhsa_exception_fp_ieee_div_zero 0
		.amdhsa_exception_fp_ieee_overflow 0
		.amdhsa_exception_fp_ieee_underflow 0
		.amdhsa_exception_fp_ieee_inexact 0
		.amdhsa_exception_int_div_zero 0
	.end_amdhsa_kernel
	.section	.text._ZL26rocblas_syr2k_her2k_kernelIiLb0ELb0ELb0ELi32E19rocblas_complex_numIfEPKS1_PS1_EvbiT_T4_T5_S5_lS7_S5_lT6_S5_li,"axG",@progbits,_ZL26rocblas_syr2k_her2k_kernelIiLb0ELb0ELb0ELi32E19rocblas_complex_numIfEPKS1_PS1_EvbiT_T4_T5_S5_lS7_S5_lT6_S5_li,comdat
.Lfunc_end154:
	.size	_ZL26rocblas_syr2k_her2k_kernelIiLb0ELb0ELb0ELi32E19rocblas_complex_numIfEPKS1_PS1_EvbiT_T4_T5_S5_lS7_S5_lT6_S5_li, .Lfunc_end154-_ZL26rocblas_syr2k_her2k_kernelIiLb0ELb0ELb0ELi32E19rocblas_complex_numIfEPKS1_PS1_EvbiT_T4_T5_S5_lS7_S5_lT6_S5_li
                                        ; -- End function
	.set _ZL26rocblas_syr2k_her2k_kernelIiLb0ELb0ELb0ELi32E19rocblas_complex_numIfEPKS1_PS1_EvbiT_T4_T5_S5_lS7_S5_lT6_S5_li.num_vgpr, 36
	.set _ZL26rocblas_syr2k_her2k_kernelIiLb0ELb0ELb0ELi32E19rocblas_complex_numIfEPKS1_PS1_EvbiT_T4_T5_S5_lS7_S5_lT6_S5_li.num_agpr, 0
	.set _ZL26rocblas_syr2k_her2k_kernelIiLb0ELb0ELb0ELi32E19rocblas_complex_numIfEPKS1_PS1_EvbiT_T4_T5_S5_lS7_S5_lT6_S5_li.numbered_sgpr, 24
	.set _ZL26rocblas_syr2k_her2k_kernelIiLb0ELb0ELb0ELi32E19rocblas_complex_numIfEPKS1_PS1_EvbiT_T4_T5_S5_lS7_S5_lT6_S5_li.num_named_barrier, 0
	.set _ZL26rocblas_syr2k_her2k_kernelIiLb0ELb0ELb0ELi32E19rocblas_complex_numIfEPKS1_PS1_EvbiT_T4_T5_S5_lS7_S5_lT6_S5_li.private_seg_size, 0
	.set _ZL26rocblas_syr2k_her2k_kernelIiLb0ELb0ELb0ELi32E19rocblas_complex_numIfEPKS1_PS1_EvbiT_T4_T5_S5_lS7_S5_lT6_S5_li.uses_vcc, 1
	.set _ZL26rocblas_syr2k_her2k_kernelIiLb0ELb0ELb0ELi32E19rocblas_complex_numIfEPKS1_PS1_EvbiT_T4_T5_S5_lS7_S5_lT6_S5_li.uses_flat_scratch, 0
	.set _ZL26rocblas_syr2k_her2k_kernelIiLb0ELb0ELb0ELi32E19rocblas_complex_numIfEPKS1_PS1_EvbiT_T4_T5_S5_lS7_S5_lT6_S5_li.has_dyn_sized_stack, 0
	.set _ZL26rocblas_syr2k_her2k_kernelIiLb0ELb0ELb0ELi32E19rocblas_complex_numIfEPKS1_PS1_EvbiT_T4_T5_S5_lS7_S5_lT6_S5_li.has_recursion, 0
	.set _ZL26rocblas_syr2k_her2k_kernelIiLb0ELb0ELb0ELi32E19rocblas_complex_numIfEPKS1_PS1_EvbiT_T4_T5_S5_lS7_S5_lT6_S5_li.has_indirect_call, 0
	.section	.AMDGPU.csdata,"",@progbits
; Kernel info:
; codeLenInByte = 1944
; TotalNumSgprs: 28
; NumVgprs: 36
; ScratchSize: 0
; MemoryBound: 0
; FloatMode: 240
; IeeeMode: 1
; LDSByteSize: 16384 bytes/workgroup (compile time only)
; SGPRBlocks: 8
; VGPRBlocks: 8
; NumSGPRsForWavesPerEU: 65
; NumVGPRsForWavesPerEU: 36
; Occupancy: 7
; WaveLimiterHint : 0
; COMPUTE_PGM_RSRC2:SCRATCH_EN: 0
; COMPUTE_PGM_RSRC2:USER_SGPR: 6
; COMPUTE_PGM_RSRC2:TRAP_HANDLER: 0
; COMPUTE_PGM_RSRC2:TGID_X_EN: 1
; COMPUTE_PGM_RSRC2:TGID_Y_EN: 1
; COMPUTE_PGM_RSRC2:TGID_Z_EN: 1
; COMPUTE_PGM_RSRC2:TIDIG_COMP_CNT: 1
	.section	.text._ZL26rocblas_syr2k_her2k_kernelIiLb0ELb0ELb1ELi32E19rocblas_complex_numIfEPKS1_PS1_EvbiT_T4_T5_S5_lS7_S5_lT6_S5_li,"axG",@progbits,_ZL26rocblas_syr2k_her2k_kernelIiLb0ELb0ELb1ELi32E19rocblas_complex_numIfEPKS1_PS1_EvbiT_T4_T5_S5_lS7_S5_lT6_S5_li,comdat
	.globl	_ZL26rocblas_syr2k_her2k_kernelIiLb0ELb0ELb1ELi32E19rocblas_complex_numIfEPKS1_PS1_EvbiT_T4_T5_S5_lS7_S5_lT6_S5_li ; -- Begin function _ZL26rocblas_syr2k_her2k_kernelIiLb0ELb0ELb1ELi32E19rocblas_complex_numIfEPKS1_PS1_EvbiT_T4_T5_S5_lS7_S5_lT6_S5_li
	.p2align	8
	.type	_ZL26rocblas_syr2k_her2k_kernelIiLb0ELb0ELb1ELi32E19rocblas_complex_numIfEPKS1_PS1_EvbiT_T4_T5_S5_lS7_S5_lT6_S5_li,@function
_ZL26rocblas_syr2k_her2k_kernelIiLb0ELb0ELb1ELi32E19rocblas_complex_numIfEPKS1_PS1_EvbiT_T4_T5_S5_lS7_S5_lT6_S5_li: ; @_ZL26rocblas_syr2k_her2k_kernelIiLb0ELb0ELb1ELi32E19rocblas_complex_numIfEPKS1_PS1_EvbiT_T4_T5_S5_lS7_S5_lT6_S5_li
; %bb.0:
	s_load_dwordx4 s[12:15], s[4:5], 0x0
	s_load_dword s9, s[4:5], 0x10
	s_waitcnt lgkmcnt(0)
	v_cmp_eq_f32_e64 s[0:1], s15, 0
	v_cmp_eq_f32_e64 s[2:3], s9, 0
	s_and_b64 s[0:1], s[0:1], s[2:3]
	s_and_b64 vcc, exec, s[0:1]
	s_cbranch_vccnz .LBB155_11
; %bb.1:
	s_and_b32 s2, 1, s12
	s_lshl_b32 s0, s7, 5
	s_lshl_b32 s1, s6, 5
	s_cmp_eq_u32 s2, 1
	s_cselect_b64 vcc, -1, 0
	s_and_b64 s[2:3], vcc, exec
	s_cselect_b32 s2, s1, s0
	s_cselect_b32 s3, s0, s1
	s_cmp_gt_i32 s2, s3
	s_cbranch_scc1 .LBB155_11
; %bb.2:
	s_cmp_lt_i32 s14, 1
	s_cbranch_scc1 .LBB155_11
; %bb.3:
	v_add_u32_e32 v2, s1, v0
	s_load_dwordx2 s[2:3], s[4:5], 0x18
	s_load_dword s10, s[4:5], 0x20
	s_load_dwordx4 s[16:19], s[4:5], 0x28
	s_load_dword s11, s[4:5], 0x38
	s_load_dwordx4 s[20:23], s[4:5], 0x40
	s_load_dword s12, s[4:5], 0x50
	s_load_dwordx2 s[6:7], s[4:5], 0x58
	v_add_u32_e32 v6, s0, v1
	s_waitcnt lgkmcnt(0)
	v_mad_i64_i32 v[4:5], s[0:1], s10, v2, 0
	s_mul_i32 s4, s17, s8
	s_mul_hi_u32 s5, s16, s8
	s_add_i32 s5, s5, s4
	s_mul_i32 s4, s16, s8
	s_lshl_b64 s[4:5], s[4:5], 3
	s_add_u32 s4, s2, s4
	v_lshlrev_b64 v[4:5], 3, v[4:5]
	s_addc_u32 s5, s3, s5
	s_mul_i32 s2, s21, s8
	s_mul_hi_u32 s3, s20, s8
	s_add_i32 s3, s3, s2
	s_mul_i32 s2, s20, s8
	v_mov_b32_e32 v9, s5
	v_add_co_u32_e64 v16, s[0:1], s4, v4
	s_lshl_b64 s[2:3], s[2:3], 3
	v_addc_co_u32_e64 v17, s[0:1], v9, v5, s[0:1]
	v_mad_i64_i32 v[4:5], s[0:1], s11, v6, 0
	s_add_u32 s16, s18, s2
	s_addc_u32 s17, s19, s3
	s_mul_i32 s2, s7, s8
	s_mul_hi_u32 s3, s6, s8
	s_add_i32 s3, s3, s2
	s_mul_i32 s2, s6, s8
	s_lshl_b64 s[2:3], s[2:3], 3
	v_lshlrev_b64 v[4:5], 3, v[4:5]
	s_add_u32 s6, s22, s2
	s_addc_u32 s7, s23, s3
	v_mov_b32_e32 v10, s17
	v_add_co_u32_e64 v20, s[2:3], s16, v4
	v_addc_co_u32_e64 v21, s[2:3], v10, v5, s[2:3]
	v_mad_i64_i32 v[4:5], s[2:3], s12, v6, 0
	v_cndmask_b32_e32 v7, v2, v6, vcc
	v_cndmask_b32_e32 v8, v6, v2, vcc
	v_cmp_gt_i32_e32 vcc, s13, v2
	v_cmp_gt_i32_e64 s[0:1], s13, v6
	v_lshlrev_b64 v[4:5], 3, v[4:5]
	v_ashrrev_i32_e32 v3, 31, v2
	v_cmp_le_i32_e64 s[2:3], v8, v7
	s_and_b64 s[4:5], s[0:1], vcc
	s_and_b64 s[4:5], s[4:5], s[2:3]
	v_mov_b32_e32 v6, s7
	v_add_co_u32_e64 v4, s[2:3], s6, v4
	v_lshlrev_b64 v[2:3], 3, v[2:3]
	v_lshlrev_b32_e32 v9, 3, v1
	v_addc_co_u32_e64 v5, s[2:3], v6, v5, s[2:3]
	v_lshlrev_b32_e32 v18, 8, v0
	v_or_b32_e32 v22, 0x2000, v9
	v_add_co_u32_e64 v14, s[2:3], v4, v2
	v_add_u32_e32 v19, v18, v9
	v_add_u32_e32 v23, v22, v18
	v_addc_co_u32_e64 v15, s[2:3], v5, v3, s[2:3]
	s_mov_b32 s8, 0
	v_add_u32_e32 v24, 0x800, v22
	v_add_u32_e32 v25, 0x1000, v22
	;; [unrolled: 1-line block ×3, first 2 shown]
	s_branch .LBB155_5
.LBB155_4:                              ;   in Loop: Header=BB155_5 Depth=1
	s_or_b64 exec, exec, s[2:3]
	s_add_i32 s8, s8, 32
	s_cmp_lt_i32 s8, s14
	s_waitcnt vmcnt(0)
	s_barrier
	s_cbranch_scc0 .LBB155_11
.LBB155_5:                              ; =>This Inner Loop Header: Depth=1
	v_add_u32_e32 v5, s8, v1
	v_cmp_gt_i32_e64 s[2:3], s14, v5
	s_and_b64 s[2:3], vcc, s[2:3]
	v_mov_b32_e32 v2, 0
	v_mov_b32_e32 v3, 0
	;; [unrolled: 1-line block ×3, first 2 shown]
	s_and_saveexec_b64 s[6:7], s[2:3]
	s_cbranch_execz .LBB155_7
; %bb.6:                                ;   in Loop: Header=BB155_5 Depth=1
	v_ashrrev_i32_e32 v6, 31, v5
	v_lshlrev_b64 v[3:4], 3, v[5:6]
	v_add_co_u32_e64 v3, s[2:3], v16, v3
	v_addc_co_u32_e64 v4, s[2:3], v17, v4, s[2:3]
	global_load_dwordx2 v[3:4], v[3:4], off
.LBB155_7:                              ;   in Loop: Header=BB155_5 Depth=1
	s_or_b64 exec, exec, s[6:7]
	s_waitcnt vmcnt(0)
	ds_write_b64 v19, v[3:4]
	v_add_u32_e32 v4, s8, v0
	v_cmp_gt_i32_e64 s[2:3], s14, v4
	s_and_b64 s[2:3], s[0:1], s[2:3]
	v_mov_b32_e32 v3, 0
	s_and_saveexec_b64 s[6:7], s[2:3]
	s_cbranch_execz .LBB155_9
; %bb.8:                                ;   in Loop: Header=BB155_5 Depth=1
	v_ashrrev_i32_e32 v5, 31, v4
	v_lshlrev_b64 v[2:3], 3, v[4:5]
	v_add_co_u32_e64 v2, s[2:3], v20, v2
	v_addc_co_u32_e64 v3, s[2:3], v21, v3, s[2:3]
	global_load_dwordx2 v[2:3], v[2:3], off
.LBB155_9:                              ;   in Loop: Header=BB155_5 Depth=1
	s_or_b64 exec, exec, s[6:7]
	s_waitcnt vmcnt(0)
	ds_write_b64 v23, v[2:3]
	s_waitcnt lgkmcnt(0)
	s_barrier
	s_and_saveexec_b64 s[2:3], s[4:5]
	s_cbranch_execz .LBB155_4
; %bb.10:                               ;   in Loop: Header=BB155_5 Depth=1
	ds_read2_b64 v[2:5], v22 offset1:32
	ds_read_b128 v[6:9], v18
	ds_read_b128 v[10:13], v18 offset:16
	s_waitcnt lgkmcnt(1)
	v_mul_f32_e32 v27, v3, v7
	v_fma_f32 v32, v2, v6, -v27
	ds_read2_b64 v[27:30], v22 offset0:64 offset1:96
	v_mul_f32_e32 v31, v2, v7
	v_mul_f32_e32 v2, v5, v9
	v_fma_f32 v33, v4, v8, -v2
	v_fmac_f32_e32 v31, v3, v6
	s_waitcnt lgkmcnt(0)
	v_mul_f32_e32 v2, v28, v11
	v_mul_f32_e32 v34, v4, v9
	v_fma_f32 v35, v27, v10, -v2
	v_mul_f32_e32 v27, v27, v11
	v_mul_f32_e32 v2, v30, v13
	v_fmac_f32_e32 v34, v5, v8
	v_fmac_f32_e32 v27, v28, v10
	v_fma_f32 v28, v29, v12, -v2
	v_mul_f32_e32 v29, v29, v13
	v_add_f32_e32 v10, 0, v32
	v_add_f32_e32 v11, 0, v31
	v_fmac_f32_e32 v29, v30, v12
	ds_read_b128 v[2:5], v18 offset:32
	ds_read_b128 v[6:9], v18 offset:48
	v_add_f32_e32 v30, v10, v33
	v_add_f32_e32 v31, v11, v34
	ds_read2_b64 v[10:13], v22 offset0:128 offset1:160
	v_add_f32_e32 v27, v31, v27
	v_add_f32_e32 v30, v30, v35
	;; [unrolled: 1-line block ×4, first 2 shown]
	s_waitcnt lgkmcnt(0)
	v_mul_f32_e32 v29, v11, v3
	v_mul_f32_e32 v3, v10, v3
	v_fma_f32 v29, v10, v2, -v29
	v_fmac_f32_e32 v3, v11, v2
	v_add_f32_e32 v2, v28, v29
	v_add_f32_e32 v3, v27, v3
	ds_read2_b64 v[27:30], v22 offset0:192 offset1:224
	v_mul_f32_e32 v10, v13, v5
	v_mul_f32_e32 v5, v12, v5
	v_fma_f32 v10, v12, v4, -v10
	v_fmac_f32_e32 v5, v13, v4
	s_waitcnt lgkmcnt(0)
	v_mul_f32_e32 v4, v28, v7
	v_add_f32_e32 v2, v2, v10
	v_add_f32_e32 v3, v3, v5
	v_fma_f32 v4, v27, v6, -v4
	v_mul_f32_e32 v5, v27, v7
	v_fmac_f32_e32 v5, v28, v6
	v_add_f32_e32 v6, v2, v4
	v_mul_f32_e32 v2, v30, v9
	v_add_f32_e32 v7, v3, v5
	v_fma_f32 v13, v29, v8, -v2
	v_mul_f32_e32 v27, v29, v9
	ds_read_b128 v[2:5], v18 offset:64
	ds_read2_b64 v[9:12], v24 offset1:32
	v_fmac_f32_e32 v27, v30, v8
	v_add_f32_e32 v6, v6, v13
	v_add_f32_e32 v7, v7, v27
	ds_read_b128 v[27:30], v18 offset:80
	s_waitcnt lgkmcnt(1)
	v_mul_f32_e32 v8, v10, v3
	v_fma_f32 v8, v9, v2, -v8
	v_mul_f32_e32 v3, v9, v3
	v_fmac_f32_e32 v3, v10, v2
	v_add_f32_e32 v2, v6, v8
	v_mul_f32_e32 v6, v12, v5
	v_add_f32_e32 v3, v7, v3
	v_fma_f32 v10, v11, v4, -v6
	ds_read2_b64 v[6:9], v24 offset0:64 offset1:96
	v_mul_f32_e32 v5, v11, v5
	v_fmac_f32_e32 v5, v12, v4
	v_add_f32_e32 v2, v2, v10
	v_add_f32_e32 v3, v3, v5
	s_waitcnt lgkmcnt(0)
	v_mul_f32_e32 v4, v7, v28
	v_fma_f32 v4, v6, v27, -v4
	v_mul_f32_e32 v5, v6, v28
	v_fmac_f32_e32 v5, v7, v27
	v_add_f32_e32 v6, v2, v4
	v_mul_f32_e32 v2, v9, v30
	v_add_f32_e32 v7, v3, v5
	v_fma_f32 v27, v8, v29, -v2
	ds_read_b128 v[2:5], v18 offset:96
	ds_read2_b64 v[10:13], v24 offset0:128 offset1:160
	v_mul_f32_e32 v8, v8, v30
	v_fmac_f32_e32 v8, v9, v29
	v_add_f32_e32 v27, v6, v27
	v_add_f32_e32 v28, v7, v8
	s_waitcnt lgkmcnt(0)
	v_mul_f32_e32 v29, v11, v3
	v_mul_f32_e32 v3, v10, v3
	v_fma_f32 v29, v10, v2, -v29
	v_fmac_f32_e32 v3, v11, v2
	ds_read_b128 v[6:9], v18 offset:112
	v_add_f32_e32 v2, v27, v29
	v_add_f32_e32 v3, v28, v3
	ds_read2_b64 v[27:30], v24 offset0:192 offset1:224
	v_mul_f32_e32 v10, v13, v5
	v_mul_f32_e32 v5, v12, v5
	v_fma_f32 v10, v12, v4, -v10
	v_fmac_f32_e32 v5, v13, v4
	s_waitcnt lgkmcnt(0)
	v_mul_f32_e32 v4, v28, v7
	v_add_f32_e32 v2, v2, v10
	v_add_f32_e32 v3, v3, v5
	v_fma_f32 v4, v27, v6, -v4
	v_mul_f32_e32 v5, v27, v7
	v_fmac_f32_e32 v5, v28, v6
	v_add_f32_e32 v6, v2, v4
	v_mul_f32_e32 v2, v30, v9
	v_add_f32_e32 v7, v3, v5
	v_fma_f32 v13, v29, v8, -v2
	v_mul_f32_e32 v27, v29, v9
	ds_read_b128 v[2:5], v18 offset:128
	ds_read2_b64 v[9:12], v25 offset1:32
	v_fmac_f32_e32 v27, v30, v8
	v_add_f32_e32 v6, v6, v13
	v_add_f32_e32 v7, v7, v27
	ds_read_b128 v[27:30], v18 offset:144
	s_waitcnt lgkmcnt(1)
	v_mul_f32_e32 v8, v10, v3
	v_fma_f32 v8, v9, v2, -v8
	v_mul_f32_e32 v3, v9, v3
	ds_read2_b64 v[31:34], v25 offset0:64 offset1:96
	v_fmac_f32_e32 v3, v10, v2
	v_add_f32_e32 v2, v6, v8
	v_mul_f32_e32 v6, v12, v5
	v_fma_f32 v6, v11, v4, -v6
	v_mul_f32_e32 v5, v11, v5
	v_add_f32_e32 v3, v7, v3
	v_fmac_f32_e32 v5, v12, v4
	v_add_f32_e32 v2, v2, v6
	ds_read_b128 v[6:9], v18 offset:160
	ds_read2_b64 v[10:13], v25 offset0:128 offset1:160
	v_add_f32_e32 v3, v3, v5
	s_waitcnt lgkmcnt(2)
	v_mul_f32_e32 v4, v32, v28
	v_mul_f32_e32 v5, v31, v28
	v_fma_f32 v4, v31, v27, -v4
	v_fmac_f32_e32 v5, v32, v27
	v_add_f32_e32 v2, v2, v4
	v_add_f32_e32 v3, v3, v5
	v_mul_f32_e32 v4, v34, v30
	v_mul_f32_e32 v5, v33, v30
	v_fma_f32 v4, v33, v29, -v4
	v_fmac_f32_e32 v5, v34, v29
	s_waitcnt lgkmcnt(0)
	v_mul_f32_e32 v29, v11, v7
	v_mul_f32_e32 v30, v10, v7
	v_fma_f32 v29, v10, v6, -v29
	v_fmac_f32_e32 v30, v11, v6
	v_mul_f32_e32 v6, v13, v9
	v_fma_f32 v31, v12, v8, -v6
	global_load_dwordx2 v[6:7], v[14:15], off
	v_mul_f32_e32 v12, v12, v9
	v_add_f32_e32 v27, v2, v4
	v_add_f32_e32 v28, v3, v5
	ds_read_b128 v[2:5], v18 offset:176
	v_fmac_f32_e32 v12, v13, v8
	ds_read2_b64 v[8:11], v25 offset0:192 offset1:224
	v_add_f32_e32 v13, v27, v29
	v_add_f32_e32 v27, v28, v30
	;; [unrolled: 1-line block ×4, first 2 shown]
	s_waitcnt lgkmcnt(0)
	v_mul_f32_e32 v27, v9, v3
	v_mul_f32_e32 v28, v8, v3
	v_fma_f32 v27, v8, v2, -v27
	v_fmac_f32_e32 v28, v9, v2
	v_mul_f32_e32 v2, v11, v5
	v_mul_f32_e32 v29, v10, v5
	v_add_f32_e32 v13, v13, v27
	v_fma_f32 v27, v10, v4, -v2
	v_fmac_f32_e32 v29, v11, v4
	ds_read_b128 v[2:5], v18 offset:192
	ds_read2_b64 v[8:11], v26 offset1:32
	v_add_f32_e32 v12, v12, v28
	v_add_f32_e32 v13, v13, v27
	;; [unrolled: 1-line block ×3, first 2 shown]
	ds_read_b128 v[27:30], v18 offset:208
	s_waitcnt lgkmcnt(1)
	v_mul_f32_e32 v31, v9, v3
	v_fma_f32 v31, v8, v2, -v31
	v_mul_f32_e32 v8, v8, v3
	v_fmac_f32_e32 v8, v9, v2
	v_mul_f32_e32 v2, v11, v5
	v_fma_f32 v9, v10, v4, -v2
	v_mul_f32_e32 v10, v10, v5
	v_fmac_f32_e32 v10, v11, v4
	ds_read2_b64 v[2:5], v26 offset0:64 offset1:96
	v_add_f32_e32 v8, v12, v8
	v_add_f32_e32 v11, v13, v31
	;; [unrolled: 1-line block ×4, first 2 shown]
	s_waitcnt lgkmcnt(0)
	v_mul_f32_e32 v8, v3, v28
	v_fma_f32 v8, v2, v27, -v8
	v_mul_f32_e32 v13, v2, v28
	v_mul_f32_e32 v2, v5, v30
	;; [unrolled: 1-line block ×3, first 2 shown]
	v_fmac_f32_e32 v13, v3, v27
	v_add_f32_e32 v27, v9, v8
	v_fma_f32 v28, v4, v29, -v2
	v_fmac_f32_e32 v30, v5, v29
	ds_read_b128 v[2:5], v18 offset:224
	ds_read2_b64 v[8:11], v26 offset0:128 offset1:160
	v_add_f32_e32 v12, v12, v13
	v_add_f32_e32 v13, v27, v28
	;; [unrolled: 1-line block ×3, first 2 shown]
	ds_read_b128 v[27:30], v18 offset:240
	s_waitcnt lgkmcnt(1)
	v_mul_f32_e32 v31, v9, v3
	v_fma_f32 v31, v8, v2, -v31
	v_mul_f32_e32 v8, v8, v3
	v_fmac_f32_e32 v8, v9, v2
	v_mul_f32_e32 v2, v11, v5
	v_fma_f32 v9, v10, v4, -v2
	v_mul_f32_e32 v10, v10, v5
	v_fmac_f32_e32 v10, v11, v4
	ds_read2_b64 v[2:5], v26 offset0:192 offset1:224
	v_add_f32_e32 v8, v12, v8
	v_add_f32_e32 v8, v8, v10
	;; [unrolled: 1-line block ×4, first 2 shown]
	s_waitcnt lgkmcnt(0)
	v_mul_f32_e32 v10, v3, v28
	v_fma_f32 v10, v2, v27, -v10
	v_mul_f32_e32 v2, v2, v28
	v_fmac_f32_e32 v2, v3, v27
	v_add_f32_e32 v2, v8, v2
	v_mul_f32_e32 v8, v5, v30
	v_fma_f32 v8, v4, v29, -v8
	v_mul_f32_e32 v4, v4, v30
	v_fmac_f32_e32 v4, v5, v29
	v_add_f32_e32 v3, v9, v10
	v_add_f32_e32 v2, v2, v4
	;; [unrolled: 1-line block ×3, first 2 shown]
	v_mul_f32_e32 v4, s9, v2
	v_fma_f32 v4, s15, v3, -v4
	v_mul_f32_e32 v3, s9, v3
	v_fmac_f32_e32 v3, s15, v2
	s_waitcnt vmcnt(0)
	v_add_f32_e32 v2, v6, v4
	v_add_f32_e32 v3, v7, v3
	global_store_dwordx2 v[14:15], v[2:3], off
	s_branch .LBB155_4
.LBB155_11:
	s_endpgm
	.section	.rodata,"a",@progbits
	.p2align	6, 0x0
	.amdhsa_kernel _ZL26rocblas_syr2k_her2k_kernelIiLb0ELb0ELb1ELi32E19rocblas_complex_numIfEPKS1_PS1_EvbiT_T4_T5_S5_lS7_S5_lT6_S5_li
		.amdhsa_group_segment_fixed_size 16384
		.amdhsa_private_segment_fixed_size 0
		.amdhsa_kernarg_size 100
		.amdhsa_user_sgpr_count 6
		.amdhsa_user_sgpr_private_segment_buffer 1
		.amdhsa_user_sgpr_dispatch_ptr 0
		.amdhsa_user_sgpr_queue_ptr 0
		.amdhsa_user_sgpr_kernarg_segment_ptr 1
		.amdhsa_user_sgpr_dispatch_id 0
		.amdhsa_user_sgpr_flat_scratch_init 0
		.amdhsa_user_sgpr_private_segment_size 0
		.amdhsa_uses_dynamic_stack 0
		.amdhsa_system_sgpr_private_segment_wavefront_offset 0
		.amdhsa_system_sgpr_workgroup_id_x 1
		.amdhsa_system_sgpr_workgroup_id_y 1
		.amdhsa_system_sgpr_workgroup_id_z 1
		.amdhsa_system_sgpr_workgroup_info 0
		.amdhsa_system_vgpr_workitem_id 1
		.amdhsa_next_free_vgpr 36
		.amdhsa_next_free_sgpr 61
		.amdhsa_reserve_vcc 1
		.amdhsa_reserve_flat_scratch 0
		.amdhsa_float_round_mode_32 0
		.amdhsa_float_round_mode_16_64 0
		.amdhsa_float_denorm_mode_32 3
		.amdhsa_float_denorm_mode_16_64 3
		.amdhsa_dx10_clamp 1
		.amdhsa_ieee_mode 1
		.amdhsa_fp16_overflow 0
		.amdhsa_exception_fp_ieee_invalid_op 0
		.amdhsa_exception_fp_denorm_src 0
		.amdhsa_exception_fp_ieee_div_zero 0
		.amdhsa_exception_fp_ieee_overflow 0
		.amdhsa_exception_fp_ieee_underflow 0
		.amdhsa_exception_fp_ieee_inexact 0
		.amdhsa_exception_int_div_zero 0
	.end_amdhsa_kernel
	.section	.text._ZL26rocblas_syr2k_her2k_kernelIiLb0ELb0ELb1ELi32E19rocblas_complex_numIfEPKS1_PS1_EvbiT_T4_T5_S5_lS7_S5_lT6_S5_li,"axG",@progbits,_ZL26rocblas_syr2k_her2k_kernelIiLb0ELb0ELb1ELi32E19rocblas_complex_numIfEPKS1_PS1_EvbiT_T4_T5_S5_lS7_S5_lT6_S5_li,comdat
.Lfunc_end155:
	.size	_ZL26rocblas_syr2k_her2k_kernelIiLb0ELb0ELb1ELi32E19rocblas_complex_numIfEPKS1_PS1_EvbiT_T4_T5_S5_lS7_S5_lT6_S5_li, .Lfunc_end155-_ZL26rocblas_syr2k_her2k_kernelIiLb0ELb0ELb1ELi32E19rocblas_complex_numIfEPKS1_PS1_EvbiT_T4_T5_S5_lS7_S5_lT6_S5_li
                                        ; -- End function
	.set _ZL26rocblas_syr2k_her2k_kernelIiLb0ELb0ELb1ELi32E19rocblas_complex_numIfEPKS1_PS1_EvbiT_T4_T5_S5_lS7_S5_lT6_S5_li.num_vgpr, 36
	.set _ZL26rocblas_syr2k_her2k_kernelIiLb0ELb0ELb1ELi32E19rocblas_complex_numIfEPKS1_PS1_EvbiT_T4_T5_S5_lS7_S5_lT6_S5_li.num_agpr, 0
	.set _ZL26rocblas_syr2k_her2k_kernelIiLb0ELb0ELb1ELi32E19rocblas_complex_numIfEPKS1_PS1_EvbiT_T4_T5_S5_lS7_S5_lT6_S5_li.numbered_sgpr, 24
	.set _ZL26rocblas_syr2k_her2k_kernelIiLb0ELb0ELb1ELi32E19rocblas_complex_numIfEPKS1_PS1_EvbiT_T4_T5_S5_lS7_S5_lT6_S5_li.num_named_barrier, 0
	.set _ZL26rocblas_syr2k_her2k_kernelIiLb0ELb0ELb1ELi32E19rocblas_complex_numIfEPKS1_PS1_EvbiT_T4_T5_S5_lS7_S5_lT6_S5_li.private_seg_size, 0
	.set _ZL26rocblas_syr2k_her2k_kernelIiLb0ELb0ELb1ELi32E19rocblas_complex_numIfEPKS1_PS1_EvbiT_T4_T5_S5_lS7_S5_lT6_S5_li.uses_vcc, 1
	.set _ZL26rocblas_syr2k_her2k_kernelIiLb0ELb0ELb1ELi32E19rocblas_complex_numIfEPKS1_PS1_EvbiT_T4_T5_S5_lS7_S5_lT6_S5_li.uses_flat_scratch, 0
	.set _ZL26rocblas_syr2k_her2k_kernelIiLb0ELb0ELb1ELi32E19rocblas_complex_numIfEPKS1_PS1_EvbiT_T4_T5_S5_lS7_S5_lT6_S5_li.has_dyn_sized_stack, 0
	.set _ZL26rocblas_syr2k_her2k_kernelIiLb0ELb0ELb1ELi32E19rocblas_complex_numIfEPKS1_PS1_EvbiT_T4_T5_S5_lS7_S5_lT6_S5_li.has_recursion, 0
	.set _ZL26rocblas_syr2k_her2k_kernelIiLb0ELb0ELb1ELi32E19rocblas_complex_numIfEPKS1_PS1_EvbiT_T4_T5_S5_lS7_S5_lT6_S5_li.has_indirect_call, 0
	.section	.AMDGPU.csdata,"",@progbits
; Kernel info:
; codeLenInByte = 1956
; TotalNumSgprs: 28
; NumVgprs: 36
; ScratchSize: 0
; MemoryBound: 0
; FloatMode: 240
; IeeeMode: 1
; LDSByteSize: 16384 bytes/workgroup (compile time only)
; SGPRBlocks: 8
; VGPRBlocks: 8
; NumSGPRsForWavesPerEU: 65
; NumVGPRsForWavesPerEU: 36
; Occupancy: 7
; WaveLimiterHint : 0
; COMPUTE_PGM_RSRC2:SCRATCH_EN: 0
; COMPUTE_PGM_RSRC2:USER_SGPR: 6
; COMPUTE_PGM_RSRC2:TRAP_HANDLER: 0
; COMPUTE_PGM_RSRC2:TGID_X_EN: 1
; COMPUTE_PGM_RSRC2:TGID_Y_EN: 1
; COMPUTE_PGM_RSRC2:TGID_Z_EN: 1
; COMPUTE_PGM_RSRC2:TIDIG_COMP_CNT: 1
	.section	.text._ZL37rocblas_syrkx_herkx_restricted_kernelIi19rocblas_complex_numIfELi16ELi32ELi8ELi1ELi1ELb0ELc84ELc76EKS1_S1_EviT_PT9_S3_lS5_S3_lPT10_S3_li,"axG",@progbits,_ZL37rocblas_syrkx_herkx_restricted_kernelIi19rocblas_complex_numIfELi16ELi32ELi8ELi1ELi1ELb0ELc84ELc76EKS1_S1_EviT_PT9_S3_lS5_S3_lPT10_S3_li,comdat
	.globl	_ZL37rocblas_syrkx_herkx_restricted_kernelIi19rocblas_complex_numIfELi16ELi32ELi8ELi1ELi1ELb0ELc84ELc76EKS1_S1_EviT_PT9_S3_lS5_S3_lPT10_S3_li ; -- Begin function _ZL37rocblas_syrkx_herkx_restricted_kernelIi19rocblas_complex_numIfELi16ELi32ELi8ELi1ELi1ELb0ELc84ELc76EKS1_S1_EviT_PT9_S3_lS5_S3_lPT10_S3_li
	.p2align	8
	.type	_ZL37rocblas_syrkx_herkx_restricted_kernelIi19rocblas_complex_numIfELi16ELi32ELi8ELi1ELi1ELb0ELc84ELc76EKS1_S1_EviT_PT9_S3_lS5_S3_lPT10_S3_li,@function
_ZL37rocblas_syrkx_herkx_restricted_kernelIi19rocblas_complex_numIfELi16ELi32ELi8ELi1ELi1ELb0ELc84ELc76EKS1_S1_EviT_PT9_S3_lS5_S3_lPT10_S3_li: ; @_ZL37rocblas_syrkx_herkx_restricted_kernelIi19rocblas_complex_numIfELi16ELi32ELi8ELi1ELi1ELb0ELc84ELc76EKS1_S1_EviT_PT9_S3_lS5_S3_lPT10_S3_li
; %bb.0:
	s_load_dwordx2 s[10:11], s[4:5], 0x0
	s_load_dwordx4 s[0:3], s[4:5], 0x30
	s_lshl_b32 s6, s6, 5
	s_lshl_b32 s7, s7, 5
	s_mov_b32 s9, 0
	s_waitcnt lgkmcnt(0)
	s_cmp_lt_i32 s11, 1
	s_cbranch_scc1 .LBB156_3
; %bb.1:
	v_lshl_add_u32 v4, v1, 4, v0
	v_and_b32_e32 v7, 31, v4
	s_load_dwordx2 s[16:17], s[4:5], 0x8
	s_load_dword s20, s[4:5], 0x10
	s_load_dwordx4 s[12:15], s[4:5], 0x18
	s_load_dword s18, s[4:5], 0x28
	v_lshrrev_b32_e32 v6, 3, v4
	v_and_b32_e32 v9, 7, v0
	v_lshrrev_b32_e32 v4, 5, v4
	v_lshlrev_b32_e32 v8, 3, v7
	v_lshl_or_b32 v11, v4, 8, v8
	v_lshlrev_b32_e32 v8, 3, v9
	v_add_u32_e32 v2, s7, v6
	v_lshl_or_b32 v6, v6, 6, v8
	v_mov_b32_e32 v10, 0
	v_add_u32_e32 v12, 0x800, v6
	v_mov_b32_e32 v6, 0x800
	v_mov_b32_e32 v5, v10
	v_lshl_add_u32 v14, v1, 6, v6
	v_add_u32_e32 v6, s6, v7
	s_waitcnt lgkmcnt(0)
	v_mad_i64_i32 v[2:3], s[18:19], s18, v2, v[9:10]
	v_mad_i64_i32 v[4:5], s[18:19], s20, v6, v[4:5]
	s_mul_i32 s13, s13, s8
	s_mul_hi_u32 s21, s12, s8
	s_add_i32 s13, s21, s13
	s_mul_i32 s12, s12, s8
	s_lshl_b64 s[12:13], s[12:13], 3
	v_lshlrev_b64 v[4:5], 3, v[4:5]
	s_add_u32 s12, s16, s12
	s_addc_u32 s13, s17, s13
	v_add_co_u32_e32 v4, vcc, s12, v4
	s_mul_i32 s1, s1, s8
	s_mul_hi_u32 s12, s0, s8
	v_mov_b32_e32 v6, s13
	s_add_i32 s1, s12, s1
	s_mul_i32 s0, s0, s8
	v_addc_co_u32_e32 v5, vcc, v6, v5, vcc
	s_lshl_b64 s[0:1], s[0:1], 3
	v_add_co_u32_e32 v6, vcc, 4, v4
	v_lshlrev_b64 v[2:3], 3, v[2:3]
	s_add_u32 s0, s14, s0
	v_addc_co_u32_e32 v7, vcc, 0, v5, vcc
	s_addc_u32 s1, s15, s1
	v_mov_b32_e32 v4, s1
	v_add_co_u32_e32 v2, vcc, s0, v2
	v_addc_co_u32_e32 v3, vcc, v4, v3, vcc
	v_add_co_u32_e32 v8, vcc, 4, v2
	v_lshlrev_b32_e32 v13, 3, v0
	v_addc_co_u32_e32 v9, vcc, 0, v3, vcc
	v_mov_b32_e32 v15, v10
	v_mov_b32_e32 v16, v10
	;; [unrolled: 1-line block ×7, first 2 shown]
.LBB156_2:                              ; =>This Inner Loop Header: Depth=1
	global_load_dwordx2 v[2:3], v[6:7], off offset:-4
	v_add_co_u32_e32 v6, vcc, 64, v6
	v_addc_co_u32_e32 v7, vcc, 0, v7, vcc
	s_add_i32 s9, s9, 8
	s_cmp_ge_i32 s9, s11
	s_waitcnt vmcnt(0)
	ds_write_b64 v11, v[2:3]
	global_load_dwordx2 v[2:3], v[8:9], off offset:-4
	v_add_co_u32_e32 v8, vcc, 64, v8
	v_addc_co_u32_e32 v9, vcc, 0, v9, vcc
	s_waitcnt vmcnt(0)
	ds_write_b64 v12, v[2:3]
	s_waitcnt lgkmcnt(0)
	s_barrier
	ds_read_b128 v[22:25], v14
	ds_read_b128 v[26:29], v14 offset:16
	ds_read_b128 v[30:33], v14 offset:32
	;; [unrolled: 1-line block ×3, first 2 shown]
	ds_read2_b64 v[34:37], v13 offset1:16
	s_waitcnt lgkmcnt(0)
	v_mul_f32_e32 v38, v23, v35
	v_mul_f32_e32 v39, v22, v35
	v_fma_f32 v38, v22, v34, -v38
	v_fmac_f32_e32 v39, v23, v34
	v_add_f32_e32 v38, v20, v38
	v_add_f32_e32 v39, v21, v39
	v_mul_f32_e32 v20, v23, v37
	v_mul_f32_e32 v21, v22, v37
	v_fma_f32 v20, v22, v36, -v20
	v_fmac_f32_e32 v21, v23, v36
	v_add_f32_e32 v22, v19, v20
	v_add_f32_e32 v23, v18, v21
	ds_read_b128 v[18:21], v14 offset:1024
	s_waitcnt lgkmcnt(0)
	v_mul_f32_e32 v40, v19, v35
	v_mul_f32_e32 v35, v18, v35
	v_fma_f32 v40, v18, v34, -v40
	v_fmac_f32_e32 v35, v19, v34
	v_add_f32_e32 v34, v17, v40
	v_add_f32_e32 v35, v16, v35
	v_mul_f32_e32 v16, v19, v37
	v_mul_f32_e32 v17, v18, v37
	v_fma_f32 v16, v18, v36, -v16
	v_fmac_f32_e32 v17, v19, v36
	v_add_f32_e32 v19, v15, v16
	v_add_f32_e32 v10, v10, v17
	ds_read2_b64 v[15:18], v13 offset0:32 offset1:48
	s_waitcnt lgkmcnt(0)
	v_mul_f32_e32 v36, v25, v16
	v_fma_f32 v36, v24, v15, -v36
	v_add_f32_e32 v36, v38, v36
	v_mul_f32_e32 v38, v25, v18
	v_mul_f32_e32 v37, v24, v16
	v_fma_f32 v38, v24, v17, -v38
	v_mul_f32_e32 v24, v24, v18
	v_fmac_f32_e32 v24, v25, v17
	v_add_f32_e32 v23, v23, v24
	v_mul_f32_e32 v24, v21, v16
	v_mul_f32_e32 v16, v20, v16
	v_fmac_f32_e32 v16, v21, v15
	v_fmac_f32_e32 v37, v25, v15
	v_fma_f32 v24, v20, v15, -v24
	v_add_f32_e32 v25, v35, v16
	v_mul_f32_e32 v15, v21, v18
	v_mul_f32_e32 v16, v20, v18
	v_fma_f32 v15, v20, v17, -v15
	v_fmac_f32_e32 v16, v21, v17
	v_add_f32_e32 v24, v34, v24
	v_add_f32_e32 v34, v19, v15
	;; [unrolled: 1-line block ×3, first 2 shown]
	ds_read2_b64 v[15:18], v13 offset0:64 offset1:80
	v_add_f32_e32 v37, v39, v37
	v_add_f32_e32 v22, v22, v38
	s_waitcnt lgkmcnt(0)
	v_mul_f32_e32 v19, v27, v16
	v_mul_f32_e32 v20, v26, v16
	v_fma_f32 v19, v26, v15, -v19
	v_fmac_f32_e32 v20, v27, v15
	v_add_f32_e32 v35, v36, v19
	v_add_f32_e32 v36, v37, v20
	v_mul_f32_e32 v19, v27, v18
	v_mul_f32_e32 v20, v26, v18
	v_fma_f32 v19, v26, v17, -v19
	v_fmac_f32_e32 v20, v27, v17
	v_add_f32_e32 v26, v22, v19
	v_add_f32_e32 v23, v23, v20
	ds_read_b128 v[19:22], v14 offset:1040
	s_waitcnt lgkmcnt(0)
	v_mul_f32_e32 v27, v20, v16
	v_mul_f32_e32 v16, v19, v16
	v_fmac_f32_e32 v16, v20, v15
	v_fma_f32 v27, v19, v15, -v27
	v_add_f32_e32 v25, v25, v16
	v_mul_f32_e32 v15, v20, v18
	v_mul_f32_e32 v16, v19, v18
	v_fma_f32 v15, v19, v17, -v15
	v_fmac_f32_e32 v16, v20, v17
	v_add_f32_e32 v19, v34, v15
	v_add_f32_e32 v10, v10, v16
	ds_read2_b64 v[15:18], v13 offset0:96 offset1:112
	v_add_f32_e32 v24, v24, v27
	s_waitcnt lgkmcnt(0)
	v_mul_f32_e32 v20, v29, v16
	v_mul_f32_e32 v34, v29, v18
	v_fma_f32 v20, v28, v15, -v20
	v_mul_f32_e32 v27, v28, v16
	v_fma_f32 v34, v28, v17, -v34
	v_mul_f32_e32 v28, v28, v18
	v_fmac_f32_e32 v28, v29, v17
	v_add_f32_e32 v23, v23, v28
	v_mul_f32_e32 v28, v22, v16
	v_mul_f32_e32 v16, v21, v16
	v_fmac_f32_e32 v16, v22, v15
	v_fmac_f32_e32 v27, v29, v15
	v_fma_f32 v28, v21, v15, -v28
	v_add_f32_e32 v25, v25, v16
	v_mul_f32_e32 v15, v22, v18
	v_mul_f32_e32 v16, v21, v18
	v_fma_f32 v15, v21, v17, -v15
	v_fmac_f32_e32 v16, v22, v17
	v_add_f32_e32 v24, v24, v28
	v_add_f32_e32 v28, v19, v15
	;; [unrolled: 1-line block ×3, first 2 shown]
	ds_read2_b64 v[15:18], v13 offset0:128 offset1:144
	v_add_f32_e32 v20, v35, v20
	v_add_f32_e32 v27, v36, v27
	;; [unrolled: 1-line block ×3, first 2 shown]
	s_waitcnt lgkmcnt(0)
	v_mul_f32_e32 v19, v31, v16
	v_fma_f32 v19, v30, v15, -v19
	v_mul_f32_e32 v21, v30, v16
	v_add_f32_e32 v29, v20, v19
	v_mul_f32_e32 v19, v31, v18
	v_mul_f32_e32 v20, v30, v18
	v_fmac_f32_e32 v21, v31, v15
	v_fma_f32 v19, v30, v17, -v19
	v_fmac_f32_e32 v20, v31, v17
	v_add_f32_e32 v27, v27, v21
	v_add_f32_e32 v26, v26, v19
	;; [unrolled: 1-line block ×3, first 2 shown]
	ds_read_b128 v[19:22], v14 offset:1056
	s_waitcnt lgkmcnt(0)
	v_mul_f32_e32 v30, v20, v16
	v_mul_f32_e32 v16, v19, v16
	v_fmac_f32_e32 v16, v20, v15
	v_fma_f32 v30, v19, v15, -v30
	v_add_f32_e32 v25, v25, v16
	v_mul_f32_e32 v15, v20, v18
	v_mul_f32_e32 v16, v19, v18
	v_fma_f32 v15, v19, v17, -v15
	v_fmac_f32_e32 v16, v20, v17
	v_add_f32_e32 v19, v28, v15
	v_add_f32_e32 v10, v10, v16
	ds_read2_b64 v[15:18], v13 offset0:160 offset1:176
	v_add_f32_e32 v24, v24, v30
	s_waitcnt lgkmcnt(0)
	v_mul_f32_e32 v28, v32, v16
	v_fmac_f32_e32 v28, v33, v15
	v_add_f32_e32 v27, v27, v28
	v_mul_f32_e32 v28, v33, v18
	v_fma_f32 v28, v32, v17, -v28
	v_mul_f32_e32 v20, v33, v16
	v_add_f32_e32 v26, v26, v28
	v_mul_f32_e32 v28, v22, v16
	v_mul_f32_e32 v16, v21, v16
	v_fmac_f32_e32 v16, v22, v15
	v_fma_f32 v20, v32, v15, -v20
	v_fma_f32 v28, v21, v15, -v28
	v_add_f32_e32 v25, v25, v16
	v_mul_f32_e32 v15, v22, v18
	v_mul_f32_e32 v16, v21, v18
	v_add_f32_e32 v20, v29, v20
	v_mul_f32_e32 v29, v32, v18
	v_fma_f32 v15, v21, v17, -v15
	v_fmac_f32_e32 v16, v22, v17
	v_fmac_f32_e32 v29, v33, v17
	v_add_f32_e32 v19, v19, v15
	v_add_f32_e32 v10, v10, v16
	ds_read2_b64 v[15:18], v13 offset0:192 offset1:208
	v_add_f32_e32 v24, v24, v28
	v_add_f32_e32 v23, v23, v29
	s_waitcnt lgkmcnt(0)
	v_mul_f32_e32 v21, v3, v16
	v_fma_f32 v21, v2, v15, -v21
	v_add_f32_e32 v28, v20, v21
	v_mul_f32_e32 v20, v3, v18
	v_mul_f32_e32 v22, v2, v16
	v_fma_f32 v20, v2, v17, -v20
	v_mul_f32_e32 v2, v2, v18
	v_fmac_f32_e32 v22, v3, v15
	v_fmac_f32_e32 v2, v3, v17
	v_add_f32_e32 v29, v27, v22
	v_add_f32_e32 v3, v26, v20
	;; [unrolled: 1-line block ×3, first 2 shown]
	ds_read_b128 v[20:23], v14 offset:1072
	s_waitcnt lgkmcnt(0)
	v_mul_f32_e32 v26, v21, v16
	v_fma_f32 v26, v20, v15, -v26
	v_mul_f32_e32 v16, v20, v16
	v_fmac_f32_e32 v16, v21, v15
	v_add_f32_e32 v15, v24, v26
	v_mul_f32_e32 v24, v21, v18
	v_fma_f32 v24, v20, v17, -v24
	v_add_f32_e32 v16, v25, v16
	v_add_f32_e32 v30, v19, v24
	ds_read2_b64 v[24:27], v13 offset0:224 offset1:240
	v_mul_f32_e32 v18, v20, v18
	v_fmac_f32_e32 v18, v21, v17
	v_add_f32_e32 v10, v10, v18
	s_waitcnt lgkmcnt(0)
	v_mul_f32_e32 v17, v5, v25
	v_fma_f32 v17, v4, v24, -v17
	v_add_f32_e32 v20, v28, v17
	v_mul_f32_e32 v17, v5, v27
	v_mul_f32_e32 v18, v4, v25
	v_fma_f32 v17, v4, v26, -v17
	v_mul_f32_e32 v4, v4, v27
	v_fmac_f32_e32 v18, v5, v24
	v_fmac_f32_e32 v4, v5, v26
	v_add_f32_e32 v21, v29, v18
	v_add_f32_e32 v19, v3, v17
	;; [unrolled: 1-line block ×3, first 2 shown]
	v_mul_f32_e32 v2, v23, v25
	v_mul_f32_e32 v3, v22, v25
	v_fma_f32 v2, v22, v24, -v2
	v_fmac_f32_e32 v3, v23, v24
	v_add_f32_e32 v17, v15, v2
	v_add_f32_e32 v16, v16, v3
	v_mul_f32_e32 v2, v23, v27
	v_mul_f32_e32 v3, v22, v27
	v_fma_f32 v2, v22, v26, -v2
	v_fmac_f32_e32 v3, v23, v26
	v_add_f32_e32 v15, v30, v2
	v_add_f32_e32 v10, v10, v3
	s_barrier
	s_cbranch_scc0 .LBB156_2
	s_branch .LBB156_4
.LBB156_3:
	v_mov_b32_e32 v20, 0
	v_mov_b32_e32 v21, 0
	;; [unrolled: 1-line block ×8, first 2 shown]
.LBB156_4:
	s_load_dwordx2 s[0:1], s[4:5], 0x48
	s_load_dword s9, s[4:5], 0x40
	v_add_u32_e32 v4, s7, v1
	v_add_u32_e32 v0, s6, v0
	s_waitcnt lgkmcnt(0)
	s_mul_i32 s1, s1, s8
	s_mul_hi_u32 s4, s0, s8
	s_add_i32 s1, s4, s1
	v_mad_i64_i32 v[1:2], s[4:5], v4, s9, 0
	s_mul_i32 s0, s0, s8
	s_lshl_b64 s[0:1], s[0:1], 3
	s_add_u32 s7, s2, s0
	v_lshlrev_b64 v[1:2], 3, v[1:2]
	s_addc_u32 s8, s3, s1
	v_mov_b32_e32 v3, s8
	v_add_co_u32_e32 v5, vcc, s7, v1
	v_addc_co_u32_e32 v6, vcc, v3, v2, vcc
	v_cmp_le_i32_e64 s[0:1], v4, v0
	v_cmp_gt_i32_e32 vcc, s10, v0
	s_and_b64 s[0:1], s[0:1], vcc
	s_and_saveexec_b64 s[2:3], s[0:1]
	s_cbranch_execz .LBB156_6
; %bb.5:
	v_ashrrev_i32_e32 v1, 31, v0
	v_lshlrev_b64 v[1:2], 3, v[0:1]
	v_add_co_u32_e64 v1, s[0:1], v5, v1
	v_addc_co_u32_e64 v2, s[0:1], v6, v2, s[0:1]
	global_load_dwordx2 v[7:8], v[1:2], off
	s_waitcnt vmcnt(0)
	v_add_f32_e32 v7, v20, v7
	v_add_f32_e32 v8, v21, v8
	global_store_dwordx2 v[1:2], v[7:8], off
.LBB156_6:
	s_or_b64 exec, exec, s[2:3]
	v_add_u32_e32 v2, 16, v0
	v_cmp_le_i32_e64 s[2:3], v4, v2
	v_cmp_gt_i32_e64 s[0:1], s10, v2
	s_and_b64 s[2:3], s[2:3], s[0:1]
	s_and_saveexec_b64 s[4:5], s[2:3]
	s_cbranch_execz .LBB156_8
; %bb.7:
	v_ashrrev_i32_e32 v3, 31, v2
	v_lshlrev_b64 v[7:8], 3, v[2:3]
	v_add_co_u32_e64 v5, s[2:3], v5, v7
	v_addc_co_u32_e64 v6, s[2:3], v6, v8, s[2:3]
	global_load_dwordx2 v[7:8], v[5:6], off
	s_waitcnt vmcnt(0)
	v_add_f32_e32 v7, v19, v7
	v_add_f32_e32 v8, v18, v8
	global_store_dwordx2 v[5:6], v[7:8], off
.LBB156_8:
	s_or_b64 exec, exec, s[4:5]
	v_add_u32_e32 v3, 16, v4
	v_mad_i64_i32 v[4:5], s[2:3], v3, s9, 0
	v_mov_b32_e32 v1, s8
	v_lshlrev_b64 v[4:5], 3, v[4:5]
	v_add_co_u32_e64 v4, s[2:3], s7, v4
	v_addc_co_u32_e64 v5, s[2:3], v1, v5, s[2:3]
	v_cmp_le_i32_e64 s[2:3], v3, v0
	s_and_b64 s[4:5], s[2:3], vcc
	s_and_saveexec_b64 s[2:3], s[4:5]
	s_cbranch_execz .LBB156_10
; %bb.9:
	v_ashrrev_i32_e32 v1, 31, v0
	v_lshlrev_b64 v[0:1], 3, v[0:1]
	v_add_co_u32_e32 v0, vcc, v4, v0
	v_addc_co_u32_e32 v1, vcc, v5, v1, vcc
	global_load_dwordx2 v[6:7], v[0:1], off
	s_waitcnt vmcnt(0)
	v_add_f32_e32 v6, v17, v6
	v_add_f32_e32 v7, v16, v7
	global_store_dwordx2 v[0:1], v[6:7], off
.LBB156_10:
	s_or_b64 exec, exec, s[2:3]
	v_cmp_le_i32_e32 vcc, v3, v2
	s_and_b64 s[0:1], vcc, s[0:1]
	s_and_saveexec_b64 s[2:3], s[0:1]
	s_cbranch_execz .LBB156_12
; %bb.11:
	v_ashrrev_i32_e32 v3, 31, v2
	v_lshlrev_b64 v[0:1], 3, v[2:3]
	v_add_co_u32_e32 v0, vcc, v4, v0
	v_addc_co_u32_e32 v1, vcc, v5, v1, vcc
	global_load_dwordx2 v[2:3], v[0:1], off
	s_waitcnt vmcnt(0)
	v_add_f32_e32 v2, v15, v2
	v_add_f32_e32 v3, v10, v3
	global_store_dwordx2 v[0:1], v[2:3], off
.LBB156_12:
	s_endpgm
	.section	.rodata,"a",@progbits
	.p2align	6, 0x0
	.amdhsa_kernel _ZL37rocblas_syrkx_herkx_restricted_kernelIi19rocblas_complex_numIfELi16ELi32ELi8ELi1ELi1ELb0ELc84ELc76EKS1_S1_EviT_PT9_S3_lS5_S3_lPT10_S3_li
		.amdhsa_group_segment_fixed_size 4096
		.amdhsa_private_segment_fixed_size 0
		.amdhsa_kernarg_size 84
		.amdhsa_user_sgpr_count 6
		.amdhsa_user_sgpr_private_segment_buffer 1
		.amdhsa_user_sgpr_dispatch_ptr 0
		.amdhsa_user_sgpr_queue_ptr 0
		.amdhsa_user_sgpr_kernarg_segment_ptr 1
		.amdhsa_user_sgpr_dispatch_id 0
		.amdhsa_user_sgpr_flat_scratch_init 0
		.amdhsa_user_sgpr_private_segment_size 0
		.amdhsa_uses_dynamic_stack 0
		.amdhsa_system_sgpr_private_segment_wavefront_offset 0
		.amdhsa_system_sgpr_workgroup_id_x 1
		.amdhsa_system_sgpr_workgroup_id_y 1
		.amdhsa_system_sgpr_workgroup_id_z 1
		.amdhsa_system_sgpr_workgroup_info 0
		.amdhsa_system_vgpr_workitem_id 1
		.amdhsa_next_free_vgpr 41
		.amdhsa_next_free_sgpr 22
		.amdhsa_reserve_vcc 1
		.amdhsa_reserve_flat_scratch 0
		.amdhsa_float_round_mode_32 0
		.amdhsa_float_round_mode_16_64 0
		.amdhsa_float_denorm_mode_32 3
		.amdhsa_float_denorm_mode_16_64 3
		.amdhsa_dx10_clamp 1
		.amdhsa_ieee_mode 1
		.amdhsa_fp16_overflow 0
		.amdhsa_exception_fp_ieee_invalid_op 0
		.amdhsa_exception_fp_denorm_src 0
		.amdhsa_exception_fp_ieee_div_zero 0
		.amdhsa_exception_fp_ieee_overflow 0
		.amdhsa_exception_fp_ieee_underflow 0
		.amdhsa_exception_fp_ieee_inexact 0
		.amdhsa_exception_int_div_zero 0
	.end_amdhsa_kernel
	.section	.text._ZL37rocblas_syrkx_herkx_restricted_kernelIi19rocblas_complex_numIfELi16ELi32ELi8ELi1ELi1ELb0ELc84ELc76EKS1_S1_EviT_PT9_S3_lS5_S3_lPT10_S3_li,"axG",@progbits,_ZL37rocblas_syrkx_herkx_restricted_kernelIi19rocblas_complex_numIfELi16ELi32ELi8ELi1ELi1ELb0ELc84ELc76EKS1_S1_EviT_PT9_S3_lS5_S3_lPT10_S3_li,comdat
.Lfunc_end156:
	.size	_ZL37rocblas_syrkx_herkx_restricted_kernelIi19rocblas_complex_numIfELi16ELi32ELi8ELi1ELi1ELb0ELc84ELc76EKS1_S1_EviT_PT9_S3_lS5_S3_lPT10_S3_li, .Lfunc_end156-_ZL37rocblas_syrkx_herkx_restricted_kernelIi19rocblas_complex_numIfELi16ELi32ELi8ELi1ELi1ELb0ELc84ELc76EKS1_S1_EviT_PT9_S3_lS5_S3_lPT10_S3_li
                                        ; -- End function
	.set _ZL37rocblas_syrkx_herkx_restricted_kernelIi19rocblas_complex_numIfELi16ELi32ELi8ELi1ELi1ELb0ELc84ELc76EKS1_S1_EviT_PT9_S3_lS5_S3_lPT10_S3_li.num_vgpr, 41
	.set _ZL37rocblas_syrkx_herkx_restricted_kernelIi19rocblas_complex_numIfELi16ELi32ELi8ELi1ELi1ELb0ELc84ELc76EKS1_S1_EviT_PT9_S3_lS5_S3_lPT10_S3_li.num_agpr, 0
	.set _ZL37rocblas_syrkx_herkx_restricted_kernelIi19rocblas_complex_numIfELi16ELi32ELi8ELi1ELi1ELb0ELc84ELc76EKS1_S1_EviT_PT9_S3_lS5_S3_lPT10_S3_li.numbered_sgpr, 22
	.set _ZL37rocblas_syrkx_herkx_restricted_kernelIi19rocblas_complex_numIfELi16ELi32ELi8ELi1ELi1ELb0ELc84ELc76EKS1_S1_EviT_PT9_S3_lS5_S3_lPT10_S3_li.num_named_barrier, 0
	.set _ZL37rocblas_syrkx_herkx_restricted_kernelIi19rocblas_complex_numIfELi16ELi32ELi8ELi1ELi1ELb0ELc84ELc76EKS1_S1_EviT_PT9_S3_lS5_S3_lPT10_S3_li.private_seg_size, 0
	.set _ZL37rocblas_syrkx_herkx_restricted_kernelIi19rocblas_complex_numIfELi16ELi32ELi8ELi1ELi1ELb0ELc84ELc76EKS1_S1_EviT_PT9_S3_lS5_S3_lPT10_S3_li.uses_vcc, 1
	.set _ZL37rocblas_syrkx_herkx_restricted_kernelIi19rocblas_complex_numIfELi16ELi32ELi8ELi1ELi1ELb0ELc84ELc76EKS1_S1_EviT_PT9_S3_lS5_S3_lPT10_S3_li.uses_flat_scratch, 0
	.set _ZL37rocblas_syrkx_herkx_restricted_kernelIi19rocblas_complex_numIfELi16ELi32ELi8ELi1ELi1ELb0ELc84ELc76EKS1_S1_EviT_PT9_S3_lS5_S3_lPT10_S3_li.has_dyn_sized_stack, 0
	.set _ZL37rocblas_syrkx_herkx_restricted_kernelIi19rocblas_complex_numIfELi16ELi32ELi8ELi1ELi1ELb0ELc84ELc76EKS1_S1_EviT_PT9_S3_lS5_S3_lPT10_S3_li.has_recursion, 0
	.set _ZL37rocblas_syrkx_herkx_restricted_kernelIi19rocblas_complex_numIfELi16ELi32ELi8ELi1ELi1ELb0ELc84ELc76EKS1_S1_EviT_PT9_S3_lS5_S3_lPT10_S3_li.has_indirect_call, 0
	.section	.AMDGPU.csdata,"",@progbits
; Kernel info:
; codeLenInByte = 1952
; TotalNumSgprs: 26
; NumVgprs: 41
; ScratchSize: 0
; MemoryBound: 0
; FloatMode: 240
; IeeeMode: 1
; LDSByteSize: 4096 bytes/workgroup (compile time only)
; SGPRBlocks: 3
; VGPRBlocks: 10
; NumSGPRsForWavesPerEU: 26
; NumVGPRsForWavesPerEU: 41
; Occupancy: 5
; WaveLimiterHint : 0
; COMPUTE_PGM_RSRC2:SCRATCH_EN: 0
; COMPUTE_PGM_RSRC2:USER_SGPR: 6
; COMPUTE_PGM_RSRC2:TRAP_HANDLER: 0
; COMPUTE_PGM_RSRC2:TGID_X_EN: 1
; COMPUTE_PGM_RSRC2:TGID_Y_EN: 1
; COMPUTE_PGM_RSRC2:TGID_Z_EN: 1
; COMPUTE_PGM_RSRC2:TIDIG_COMP_CNT: 1
	.section	.text._ZL37rocblas_syrkx_herkx_restricted_kernelIi19rocblas_complex_numIfELi16ELi32ELi8ELi1ELi1ELb0ELc67ELc76EKS1_S1_EviT_PT9_S3_lS5_S3_lPT10_S3_li,"axG",@progbits,_ZL37rocblas_syrkx_herkx_restricted_kernelIi19rocblas_complex_numIfELi16ELi32ELi8ELi1ELi1ELb0ELc67ELc76EKS1_S1_EviT_PT9_S3_lS5_S3_lPT10_S3_li,comdat
	.globl	_ZL37rocblas_syrkx_herkx_restricted_kernelIi19rocblas_complex_numIfELi16ELi32ELi8ELi1ELi1ELb0ELc67ELc76EKS1_S1_EviT_PT9_S3_lS5_S3_lPT10_S3_li ; -- Begin function _ZL37rocblas_syrkx_herkx_restricted_kernelIi19rocblas_complex_numIfELi16ELi32ELi8ELi1ELi1ELb0ELc67ELc76EKS1_S1_EviT_PT9_S3_lS5_S3_lPT10_S3_li
	.p2align	8
	.type	_ZL37rocblas_syrkx_herkx_restricted_kernelIi19rocblas_complex_numIfELi16ELi32ELi8ELi1ELi1ELb0ELc67ELc76EKS1_S1_EviT_PT9_S3_lS5_S3_lPT10_S3_li,@function
_ZL37rocblas_syrkx_herkx_restricted_kernelIi19rocblas_complex_numIfELi16ELi32ELi8ELi1ELi1ELb0ELc67ELc76EKS1_S1_EviT_PT9_S3_lS5_S3_lPT10_S3_li: ; @_ZL37rocblas_syrkx_herkx_restricted_kernelIi19rocblas_complex_numIfELi16ELi32ELi8ELi1ELi1ELb0ELc67ELc76EKS1_S1_EviT_PT9_S3_lS5_S3_lPT10_S3_li
; %bb.0:
	s_load_dwordx2 s[10:11], s[4:5], 0x0
	s_load_dwordx4 s[0:3], s[4:5], 0x30
	s_lshl_b32 s6, s6, 5
	s_lshl_b32 s7, s7, 5
	s_mov_b32 s9, 0
	s_waitcnt lgkmcnt(0)
	s_cmp_lt_i32 s11, 1
	s_cbranch_scc1 .LBB157_3
; %bb.1:
	v_lshl_add_u32 v4, v1, 4, v0
	v_and_b32_e32 v7, 31, v4
	s_load_dwordx2 s[16:17], s[4:5], 0x8
	s_load_dword s20, s[4:5], 0x10
	s_load_dwordx4 s[12:15], s[4:5], 0x18
	s_load_dword s18, s[4:5], 0x28
	v_lshrrev_b32_e32 v6, 3, v4
	v_and_b32_e32 v9, 7, v0
	v_lshrrev_b32_e32 v4, 5, v4
	v_lshlrev_b32_e32 v8, 3, v7
	v_lshl_or_b32 v11, v4, 8, v8
	v_lshlrev_b32_e32 v8, 3, v9
	v_add_u32_e32 v2, s7, v6
	v_lshl_or_b32 v6, v6, 6, v8
	v_mov_b32_e32 v10, 0
	v_add_u32_e32 v12, 0x800, v6
	v_mov_b32_e32 v6, 0x800
	v_mov_b32_e32 v5, v10
	v_lshl_add_u32 v14, v1, 6, v6
	v_add_u32_e32 v6, s6, v7
	s_waitcnt lgkmcnt(0)
	v_mad_i64_i32 v[2:3], s[18:19], s18, v2, v[9:10]
	v_mad_i64_i32 v[4:5], s[18:19], s20, v6, v[4:5]
	s_mul_i32 s13, s13, s8
	s_mul_hi_u32 s21, s12, s8
	s_add_i32 s13, s21, s13
	s_mul_i32 s12, s12, s8
	s_lshl_b64 s[12:13], s[12:13], 3
	v_lshlrev_b64 v[4:5], 3, v[4:5]
	s_add_u32 s12, s16, s12
	s_addc_u32 s13, s17, s13
	v_add_co_u32_e32 v4, vcc, s12, v4
	s_mul_i32 s1, s1, s8
	s_mul_hi_u32 s12, s0, s8
	v_mov_b32_e32 v6, s13
	s_add_i32 s1, s12, s1
	s_mul_i32 s0, s0, s8
	v_addc_co_u32_e32 v5, vcc, v6, v5, vcc
	s_lshl_b64 s[0:1], s[0:1], 3
	v_add_co_u32_e32 v6, vcc, 4, v4
	v_lshlrev_b64 v[2:3], 3, v[2:3]
	s_add_u32 s0, s14, s0
	v_addc_co_u32_e32 v7, vcc, 0, v5, vcc
	s_addc_u32 s1, s15, s1
	v_mov_b32_e32 v4, s1
	v_add_co_u32_e32 v2, vcc, s0, v2
	v_addc_co_u32_e32 v3, vcc, v4, v3, vcc
	v_add_co_u32_e32 v8, vcc, 4, v2
	v_lshlrev_b32_e32 v13, 3, v0
	v_addc_co_u32_e32 v9, vcc, 0, v3, vcc
	v_mov_b32_e32 v15, v10
	v_mov_b32_e32 v16, v10
	;; [unrolled: 1-line block ×7, first 2 shown]
.LBB157_2:                              ; =>This Inner Loop Header: Depth=1
	global_load_dwordx2 v[2:3], v[6:7], off offset:-4
	v_add_co_u32_e32 v6, vcc, 64, v6
	v_addc_co_u32_e32 v7, vcc, 0, v7, vcc
	s_add_i32 s9, s9, 8
	s_cmp_ge_i32 s9, s11
	s_waitcnt vmcnt(0)
	ds_write_b64 v11, v[2:3]
	global_load_dwordx2 v[2:3], v[8:9], off offset:-4
	v_add_co_u32_e32 v8, vcc, 64, v8
	v_addc_co_u32_e32 v9, vcc, 0, v9, vcc
	s_waitcnt vmcnt(0)
	ds_write_b64 v12, v[2:3]
	s_waitcnt lgkmcnt(0)
	s_barrier
	ds_read_b128 v[22:25], v14
	ds_read_b128 v[26:29], v14 offset:16
	ds_read_b128 v[30:33], v14 offset:32
	;; [unrolled: 1-line block ×3, first 2 shown]
	ds_read2_b64 v[34:37], v13 offset1:16
	s_waitcnt lgkmcnt(0)
	v_mul_f32_e32 v38, v23, v35
	v_mul_f32_e32 v39, v22, v35
	v_fma_f32 v38, v22, v34, -v38
	v_fmac_f32_e32 v39, v23, v34
	v_add_f32_e32 v38, v20, v38
	v_add_f32_e32 v39, v21, v39
	v_mul_f32_e32 v20, v23, v37
	v_mul_f32_e32 v21, v22, v37
	v_fma_f32 v20, v22, v36, -v20
	v_fmac_f32_e32 v21, v23, v36
	v_add_f32_e32 v22, v19, v20
	v_add_f32_e32 v23, v18, v21
	ds_read_b128 v[18:21], v14 offset:1024
	s_waitcnt lgkmcnt(0)
	v_mul_f32_e32 v40, v19, v35
	v_mul_f32_e32 v35, v18, v35
	v_fma_f32 v40, v18, v34, -v40
	v_fmac_f32_e32 v35, v19, v34
	v_add_f32_e32 v34, v17, v40
	v_add_f32_e32 v35, v16, v35
	v_mul_f32_e32 v16, v19, v37
	v_mul_f32_e32 v17, v18, v37
	v_fma_f32 v16, v18, v36, -v16
	v_fmac_f32_e32 v17, v19, v36
	v_add_f32_e32 v19, v15, v16
	v_add_f32_e32 v10, v10, v17
	ds_read2_b64 v[15:18], v13 offset0:32 offset1:48
	s_waitcnt lgkmcnt(0)
	v_mul_f32_e32 v36, v25, v16
	v_fma_f32 v36, v24, v15, -v36
	v_add_f32_e32 v36, v38, v36
	v_mul_f32_e32 v38, v25, v18
	v_mul_f32_e32 v37, v24, v16
	v_fma_f32 v38, v24, v17, -v38
	v_mul_f32_e32 v24, v24, v18
	v_fmac_f32_e32 v24, v25, v17
	v_add_f32_e32 v23, v23, v24
	v_mul_f32_e32 v24, v21, v16
	v_mul_f32_e32 v16, v20, v16
	v_fmac_f32_e32 v16, v21, v15
	v_fmac_f32_e32 v37, v25, v15
	v_fma_f32 v24, v20, v15, -v24
	v_add_f32_e32 v25, v35, v16
	v_mul_f32_e32 v15, v21, v18
	v_mul_f32_e32 v16, v20, v18
	v_fma_f32 v15, v20, v17, -v15
	v_fmac_f32_e32 v16, v21, v17
	v_add_f32_e32 v24, v34, v24
	v_add_f32_e32 v34, v19, v15
	;; [unrolled: 1-line block ×3, first 2 shown]
	ds_read2_b64 v[15:18], v13 offset0:64 offset1:80
	v_add_f32_e32 v37, v39, v37
	v_add_f32_e32 v22, v22, v38
	s_waitcnt lgkmcnt(0)
	v_mul_f32_e32 v19, v27, v16
	v_mul_f32_e32 v20, v26, v16
	v_fma_f32 v19, v26, v15, -v19
	v_fmac_f32_e32 v20, v27, v15
	v_add_f32_e32 v35, v36, v19
	v_add_f32_e32 v36, v37, v20
	v_mul_f32_e32 v19, v27, v18
	v_mul_f32_e32 v20, v26, v18
	v_fma_f32 v19, v26, v17, -v19
	v_fmac_f32_e32 v20, v27, v17
	v_add_f32_e32 v26, v22, v19
	v_add_f32_e32 v23, v23, v20
	ds_read_b128 v[19:22], v14 offset:1040
	s_waitcnt lgkmcnt(0)
	v_mul_f32_e32 v27, v20, v16
	v_mul_f32_e32 v16, v19, v16
	v_fmac_f32_e32 v16, v20, v15
	v_fma_f32 v27, v19, v15, -v27
	v_add_f32_e32 v25, v25, v16
	v_mul_f32_e32 v15, v20, v18
	v_mul_f32_e32 v16, v19, v18
	v_fma_f32 v15, v19, v17, -v15
	v_fmac_f32_e32 v16, v20, v17
	v_add_f32_e32 v19, v34, v15
	v_add_f32_e32 v10, v10, v16
	ds_read2_b64 v[15:18], v13 offset0:96 offset1:112
	v_add_f32_e32 v24, v24, v27
	s_waitcnt lgkmcnt(0)
	v_mul_f32_e32 v20, v29, v16
	v_mul_f32_e32 v34, v29, v18
	v_fma_f32 v20, v28, v15, -v20
	v_mul_f32_e32 v27, v28, v16
	v_fma_f32 v34, v28, v17, -v34
	v_mul_f32_e32 v28, v28, v18
	v_fmac_f32_e32 v28, v29, v17
	v_add_f32_e32 v23, v23, v28
	v_mul_f32_e32 v28, v22, v16
	v_mul_f32_e32 v16, v21, v16
	v_fmac_f32_e32 v16, v22, v15
	v_fmac_f32_e32 v27, v29, v15
	v_fma_f32 v28, v21, v15, -v28
	v_add_f32_e32 v25, v25, v16
	v_mul_f32_e32 v15, v22, v18
	v_mul_f32_e32 v16, v21, v18
	v_fma_f32 v15, v21, v17, -v15
	v_fmac_f32_e32 v16, v22, v17
	v_add_f32_e32 v24, v24, v28
	v_add_f32_e32 v28, v19, v15
	;; [unrolled: 1-line block ×3, first 2 shown]
	ds_read2_b64 v[15:18], v13 offset0:128 offset1:144
	v_add_f32_e32 v20, v35, v20
	v_add_f32_e32 v27, v36, v27
	;; [unrolled: 1-line block ×3, first 2 shown]
	s_waitcnt lgkmcnt(0)
	v_mul_f32_e32 v19, v31, v16
	v_fma_f32 v19, v30, v15, -v19
	v_mul_f32_e32 v21, v30, v16
	v_add_f32_e32 v29, v20, v19
	v_mul_f32_e32 v19, v31, v18
	v_mul_f32_e32 v20, v30, v18
	v_fmac_f32_e32 v21, v31, v15
	v_fma_f32 v19, v30, v17, -v19
	v_fmac_f32_e32 v20, v31, v17
	v_add_f32_e32 v27, v27, v21
	v_add_f32_e32 v26, v26, v19
	;; [unrolled: 1-line block ×3, first 2 shown]
	ds_read_b128 v[19:22], v14 offset:1056
	s_waitcnt lgkmcnt(0)
	v_mul_f32_e32 v30, v20, v16
	v_mul_f32_e32 v16, v19, v16
	v_fmac_f32_e32 v16, v20, v15
	v_fma_f32 v30, v19, v15, -v30
	v_add_f32_e32 v25, v25, v16
	v_mul_f32_e32 v15, v20, v18
	v_mul_f32_e32 v16, v19, v18
	v_fma_f32 v15, v19, v17, -v15
	v_fmac_f32_e32 v16, v20, v17
	v_add_f32_e32 v19, v28, v15
	v_add_f32_e32 v10, v10, v16
	ds_read2_b64 v[15:18], v13 offset0:160 offset1:176
	v_add_f32_e32 v24, v24, v30
	s_waitcnt lgkmcnt(0)
	v_mul_f32_e32 v28, v32, v16
	v_fmac_f32_e32 v28, v33, v15
	v_add_f32_e32 v27, v27, v28
	v_mul_f32_e32 v28, v33, v18
	v_fma_f32 v28, v32, v17, -v28
	v_mul_f32_e32 v20, v33, v16
	v_add_f32_e32 v26, v26, v28
	v_mul_f32_e32 v28, v22, v16
	v_mul_f32_e32 v16, v21, v16
	v_fmac_f32_e32 v16, v22, v15
	v_fma_f32 v20, v32, v15, -v20
	v_fma_f32 v28, v21, v15, -v28
	v_add_f32_e32 v25, v25, v16
	v_mul_f32_e32 v15, v22, v18
	v_mul_f32_e32 v16, v21, v18
	v_add_f32_e32 v20, v29, v20
	v_mul_f32_e32 v29, v32, v18
	v_fma_f32 v15, v21, v17, -v15
	v_fmac_f32_e32 v16, v22, v17
	v_fmac_f32_e32 v29, v33, v17
	v_add_f32_e32 v19, v19, v15
	v_add_f32_e32 v10, v10, v16
	ds_read2_b64 v[15:18], v13 offset0:192 offset1:208
	v_add_f32_e32 v24, v24, v28
	v_add_f32_e32 v23, v23, v29
	s_waitcnt lgkmcnt(0)
	v_mul_f32_e32 v21, v3, v16
	v_fma_f32 v21, v2, v15, -v21
	v_add_f32_e32 v28, v20, v21
	v_mul_f32_e32 v20, v3, v18
	v_mul_f32_e32 v22, v2, v16
	v_fma_f32 v20, v2, v17, -v20
	v_mul_f32_e32 v2, v2, v18
	v_fmac_f32_e32 v22, v3, v15
	v_fmac_f32_e32 v2, v3, v17
	v_add_f32_e32 v29, v27, v22
	v_add_f32_e32 v3, v26, v20
	;; [unrolled: 1-line block ×3, first 2 shown]
	ds_read_b128 v[20:23], v14 offset:1072
	s_waitcnt lgkmcnt(0)
	v_mul_f32_e32 v26, v21, v16
	v_fma_f32 v26, v20, v15, -v26
	v_mul_f32_e32 v16, v20, v16
	v_fmac_f32_e32 v16, v21, v15
	v_add_f32_e32 v15, v24, v26
	v_mul_f32_e32 v24, v21, v18
	v_fma_f32 v24, v20, v17, -v24
	v_add_f32_e32 v16, v25, v16
	v_add_f32_e32 v30, v19, v24
	ds_read2_b64 v[24:27], v13 offset0:224 offset1:240
	v_mul_f32_e32 v18, v20, v18
	v_fmac_f32_e32 v18, v21, v17
	v_add_f32_e32 v10, v10, v18
	s_waitcnt lgkmcnt(0)
	v_mul_f32_e32 v17, v5, v25
	v_fma_f32 v17, v4, v24, -v17
	v_add_f32_e32 v20, v28, v17
	v_mul_f32_e32 v17, v5, v27
	v_mul_f32_e32 v18, v4, v25
	v_fma_f32 v17, v4, v26, -v17
	v_mul_f32_e32 v4, v4, v27
	v_fmac_f32_e32 v18, v5, v24
	v_fmac_f32_e32 v4, v5, v26
	v_add_f32_e32 v21, v29, v18
	v_add_f32_e32 v19, v3, v17
	v_add_f32_e32 v18, v2, v4
	v_mul_f32_e32 v2, v23, v25
	v_mul_f32_e32 v3, v22, v25
	v_fma_f32 v2, v22, v24, -v2
	v_fmac_f32_e32 v3, v23, v24
	v_add_f32_e32 v17, v15, v2
	v_add_f32_e32 v16, v16, v3
	v_mul_f32_e32 v2, v23, v27
	v_mul_f32_e32 v3, v22, v27
	v_fma_f32 v2, v22, v26, -v2
	v_fmac_f32_e32 v3, v23, v26
	v_add_f32_e32 v15, v30, v2
	v_add_f32_e32 v10, v10, v3
	s_barrier
	s_cbranch_scc0 .LBB157_2
	s_branch .LBB157_4
.LBB157_3:
	v_mov_b32_e32 v20, 0
	v_mov_b32_e32 v21, 0
	;; [unrolled: 1-line block ×8, first 2 shown]
.LBB157_4:
	s_load_dwordx2 s[0:1], s[4:5], 0x48
	s_load_dword s9, s[4:5], 0x40
	v_add_u32_e32 v4, s7, v1
	v_add_u32_e32 v0, s6, v0
	s_waitcnt lgkmcnt(0)
	s_mul_i32 s1, s1, s8
	s_mul_hi_u32 s4, s0, s8
	s_add_i32 s1, s4, s1
	v_mad_i64_i32 v[1:2], s[4:5], v4, s9, 0
	s_mul_i32 s0, s0, s8
	s_lshl_b64 s[0:1], s[0:1], 3
	s_add_u32 s7, s2, s0
	v_lshlrev_b64 v[1:2], 3, v[1:2]
	s_addc_u32 s8, s3, s1
	v_mov_b32_e32 v3, s8
	v_add_co_u32_e32 v5, vcc, s7, v1
	v_addc_co_u32_e32 v6, vcc, v3, v2, vcc
	v_cmp_le_i32_e64 s[0:1], v4, v0
	v_cmp_gt_i32_e32 vcc, s10, v0
	s_and_b64 s[0:1], s[0:1], vcc
	s_and_saveexec_b64 s[2:3], s[0:1]
	s_cbranch_execz .LBB157_6
; %bb.5:
	v_ashrrev_i32_e32 v1, 31, v0
	v_lshlrev_b64 v[1:2], 3, v[0:1]
	v_add_co_u32_e64 v1, s[0:1], v5, v1
	v_addc_co_u32_e64 v2, s[0:1], v6, v2, s[0:1]
	global_load_dwordx2 v[7:8], v[1:2], off
	s_waitcnt vmcnt(0)
	v_add_f32_e32 v7, v20, v7
	v_add_f32_e32 v8, v21, v8
	global_store_dwordx2 v[1:2], v[7:8], off
.LBB157_6:
	s_or_b64 exec, exec, s[2:3]
	v_add_u32_e32 v2, 16, v0
	v_cmp_le_i32_e64 s[2:3], v4, v2
	v_cmp_gt_i32_e64 s[0:1], s10, v2
	s_and_b64 s[2:3], s[2:3], s[0:1]
	s_and_saveexec_b64 s[4:5], s[2:3]
	s_cbranch_execz .LBB157_8
; %bb.7:
	v_ashrrev_i32_e32 v3, 31, v2
	v_lshlrev_b64 v[7:8], 3, v[2:3]
	v_add_co_u32_e64 v5, s[2:3], v5, v7
	v_addc_co_u32_e64 v6, s[2:3], v6, v8, s[2:3]
	global_load_dwordx2 v[7:8], v[5:6], off
	s_waitcnt vmcnt(0)
	v_add_f32_e32 v7, v19, v7
	v_add_f32_e32 v8, v18, v8
	global_store_dwordx2 v[5:6], v[7:8], off
.LBB157_8:
	s_or_b64 exec, exec, s[4:5]
	v_add_u32_e32 v3, 16, v4
	v_mad_i64_i32 v[4:5], s[2:3], v3, s9, 0
	v_mov_b32_e32 v1, s8
	v_lshlrev_b64 v[4:5], 3, v[4:5]
	v_add_co_u32_e64 v4, s[2:3], s7, v4
	v_addc_co_u32_e64 v5, s[2:3], v1, v5, s[2:3]
	v_cmp_le_i32_e64 s[2:3], v3, v0
	s_and_b64 s[4:5], s[2:3], vcc
	s_and_saveexec_b64 s[2:3], s[4:5]
	s_cbranch_execz .LBB157_10
; %bb.9:
	v_ashrrev_i32_e32 v1, 31, v0
	v_lshlrev_b64 v[0:1], 3, v[0:1]
	v_add_co_u32_e32 v0, vcc, v4, v0
	v_addc_co_u32_e32 v1, vcc, v5, v1, vcc
	global_load_dwordx2 v[6:7], v[0:1], off
	s_waitcnt vmcnt(0)
	v_add_f32_e32 v6, v17, v6
	v_add_f32_e32 v7, v16, v7
	global_store_dwordx2 v[0:1], v[6:7], off
.LBB157_10:
	s_or_b64 exec, exec, s[2:3]
	v_cmp_le_i32_e32 vcc, v3, v2
	s_and_b64 s[0:1], vcc, s[0:1]
	s_and_saveexec_b64 s[2:3], s[0:1]
	s_cbranch_execz .LBB157_12
; %bb.11:
	v_ashrrev_i32_e32 v3, 31, v2
	v_lshlrev_b64 v[0:1], 3, v[2:3]
	v_add_co_u32_e32 v0, vcc, v4, v0
	v_addc_co_u32_e32 v1, vcc, v5, v1, vcc
	global_load_dwordx2 v[2:3], v[0:1], off
	s_waitcnt vmcnt(0)
	v_add_f32_e32 v2, v15, v2
	v_add_f32_e32 v3, v10, v3
	global_store_dwordx2 v[0:1], v[2:3], off
.LBB157_12:
	s_endpgm
	.section	.rodata,"a",@progbits
	.p2align	6, 0x0
	.amdhsa_kernel _ZL37rocblas_syrkx_herkx_restricted_kernelIi19rocblas_complex_numIfELi16ELi32ELi8ELi1ELi1ELb0ELc67ELc76EKS1_S1_EviT_PT9_S3_lS5_S3_lPT10_S3_li
		.amdhsa_group_segment_fixed_size 4096
		.amdhsa_private_segment_fixed_size 0
		.amdhsa_kernarg_size 84
		.amdhsa_user_sgpr_count 6
		.amdhsa_user_sgpr_private_segment_buffer 1
		.amdhsa_user_sgpr_dispatch_ptr 0
		.amdhsa_user_sgpr_queue_ptr 0
		.amdhsa_user_sgpr_kernarg_segment_ptr 1
		.amdhsa_user_sgpr_dispatch_id 0
		.amdhsa_user_sgpr_flat_scratch_init 0
		.amdhsa_user_sgpr_private_segment_size 0
		.amdhsa_uses_dynamic_stack 0
		.amdhsa_system_sgpr_private_segment_wavefront_offset 0
		.amdhsa_system_sgpr_workgroup_id_x 1
		.amdhsa_system_sgpr_workgroup_id_y 1
		.amdhsa_system_sgpr_workgroup_id_z 1
		.amdhsa_system_sgpr_workgroup_info 0
		.amdhsa_system_vgpr_workitem_id 1
		.amdhsa_next_free_vgpr 41
		.amdhsa_next_free_sgpr 22
		.amdhsa_reserve_vcc 1
		.amdhsa_reserve_flat_scratch 0
		.amdhsa_float_round_mode_32 0
		.amdhsa_float_round_mode_16_64 0
		.amdhsa_float_denorm_mode_32 3
		.amdhsa_float_denorm_mode_16_64 3
		.amdhsa_dx10_clamp 1
		.amdhsa_ieee_mode 1
		.amdhsa_fp16_overflow 0
		.amdhsa_exception_fp_ieee_invalid_op 0
		.amdhsa_exception_fp_denorm_src 0
		.amdhsa_exception_fp_ieee_div_zero 0
		.amdhsa_exception_fp_ieee_overflow 0
		.amdhsa_exception_fp_ieee_underflow 0
		.amdhsa_exception_fp_ieee_inexact 0
		.amdhsa_exception_int_div_zero 0
	.end_amdhsa_kernel
	.section	.text._ZL37rocblas_syrkx_herkx_restricted_kernelIi19rocblas_complex_numIfELi16ELi32ELi8ELi1ELi1ELb0ELc67ELc76EKS1_S1_EviT_PT9_S3_lS5_S3_lPT10_S3_li,"axG",@progbits,_ZL37rocblas_syrkx_herkx_restricted_kernelIi19rocblas_complex_numIfELi16ELi32ELi8ELi1ELi1ELb0ELc67ELc76EKS1_S1_EviT_PT9_S3_lS5_S3_lPT10_S3_li,comdat
.Lfunc_end157:
	.size	_ZL37rocblas_syrkx_herkx_restricted_kernelIi19rocblas_complex_numIfELi16ELi32ELi8ELi1ELi1ELb0ELc67ELc76EKS1_S1_EviT_PT9_S3_lS5_S3_lPT10_S3_li, .Lfunc_end157-_ZL37rocblas_syrkx_herkx_restricted_kernelIi19rocblas_complex_numIfELi16ELi32ELi8ELi1ELi1ELb0ELc67ELc76EKS1_S1_EviT_PT9_S3_lS5_S3_lPT10_S3_li
                                        ; -- End function
	.set _ZL37rocblas_syrkx_herkx_restricted_kernelIi19rocblas_complex_numIfELi16ELi32ELi8ELi1ELi1ELb0ELc67ELc76EKS1_S1_EviT_PT9_S3_lS5_S3_lPT10_S3_li.num_vgpr, 41
	.set _ZL37rocblas_syrkx_herkx_restricted_kernelIi19rocblas_complex_numIfELi16ELi32ELi8ELi1ELi1ELb0ELc67ELc76EKS1_S1_EviT_PT9_S3_lS5_S3_lPT10_S3_li.num_agpr, 0
	.set _ZL37rocblas_syrkx_herkx_restricted_kernelIi19rocblas_complex_numIfELi16ELi32ELi8ELi1ELi1ELb0ELc67ELc76EKS1_S1_EviT_PT9_S3_lS5_S3_lPT10_S3_li.numbered_sgpr, 22
	.set _ZL37rocblas_syrkx_herkx_restricted_kernelIi19rocblas_complex_numIfELi16ELi32ELi8ELi1ELi1ELb0ELc67ELc76EKS1_S1_EviT_PT9_S3_lS5_S3_lPT10_S3_li.num_named_barrier, 0
	.set _ZL37rocblas_syrkx_herkx_restricted_kernelIi19rocblas_complex_numIfELi16ELi32ELi8ELi1ELi1ELb0ELc67ELc76EKS1_S1_EviT_PT9_S3_lS5_S3_lPT10_S3_li.private_seg_size, 0
	.set _ZL37rocblas_syrkx_herkx_restricted_kernelIi19rocblas_complex_numIfELi16ELi32ELi8ELi1ELi1ELb0ELc67ELc76EKS1_S1_EviT_PT9_S3_lS5_S3_lPT10_S3_li.uses_vcc, 1
	.set _ZL37rocblas_syrkx_herkx_restricted_kernelIi19rocblas_complex_numIfELi16ELi32ELi8ELi1ELi1ELb0ELc67ELc76EKS1_S1_EviT_PT9_S3_lS5_S3_lPT10_S3_li.uses_flat_scratch, 0
	.set _ZL37rocblas_syrkx_herkx_restricted_kernelIi19rocblas_complex_numIfELi16ELi32ELi8ELi1ELi1ELb0ELc67ELc76EKS1_S1_EviT_PT9_S3_lS5_S3_lPT10_S3_li.has_dyn_sized_stack, 0
	.set _ZL37rocblas_syrkx_herkx_restricted_kernelIi19rocblas_complex_numIfELi16ELi32ELi8ELi1ELi1ELb0ELc67ELc76EKS1_S1_EviT_PT9_S3_lS5_S3_lPT10_S3_li.has_recursion, 0
	.set _ZL37rocblas_syrkx_herkx_restricted_kernelIi19rocblas_complex_numIfELi16ELi32ELi8ELi1ELi1ELb0ELc67ELc76EKS1_S1_EviT_PT9_S3_lS5_S3_lPT10_S3_li.has_indirect_call, 0
	.section	.AMDGPU.csdata,"",@progbits
; Kernel info:
; codeLenInByte = 1952
; TotalNumSgprs: 26
; NumVgprs: 41
; ScratchSize: 0
; MemoryBound: 0
; FloatMode: 240
; IeeeMode: 1
; LDSByteSize: 4096 bytes/workgroup (compile time only)
; SGPRBlocks: 3
; VGPRBlocks: 10
; NumSGPRsForWavesPerEU: 26
; NumVGPRsForWavesPerEU: 41
; Occupancy: 5
; WaveLimiterHint : 0
; COMPUTE_PGM_RSRC2:SCRATCH_EN: 0
; COMPUTE_PGM_RSRC2:USER_SGPR: 6
; COMPUTE_PGM_RSRC2:TRAP_HANDLER: 0
; COMPUTE_PGM_RSRC2:TGID_X_EN: 1
; COMPUTE_PGM_RSRC2:TGID_Y_EN: 1
; COMPUTE_PGM_RSRC2:TGID_Z_EN: 1
; COMPUTE_PGM_RSRC2:TIDIG_COMP_CNT: 1
	.section	.text._ZL37rocblas_syrkx_herkx_restricted_kernelIi19rocblas_complex_numIfELi16ELi32ELi8ELi1ELi1ELb0ELc78ELc76EKS1_S1_EviT_PT9_S3_lS5_S3_lPT10_S3_li,"axG",@progbits,_ZL37rocblas_syrkx_herkx_restricted_kernelIi19rocblas_complex_numIfELi16ELi32ELi8ELi1ELi1ELb0ELc78ELc76EKS1_S1_EviT_PT9_S3_lS5_S3_lPT10_S3_li,comdat
	.globl	_ZL37rocblas_syrkx_herkx_restricted_kernelIi19rocblas_complex_numIfELi16ELi32ELi8ELi1ELi1ELb0ELc78ELc76EKS1_S1_EviT_PT9_S3_lS5_S3_lPT10_S3_li ; -- Begin function _ZL37rocblas_syrkx_herkx_restricted_kernelIi19rocblas_complex_numIfELi16ELi32ELi8ELi1ELi1ELb0ELc78ELc76EKS1_S1_EviT_PT9_S3_lS5_S3_lPT10_S3_li
	.p2align	8
	.type	_ZL37rocblas_syrkx_herkx_restricted_kernelIi19rocblas_complex_numIfELi16ELi32ELi8ELi1ELi1ELb0ELc78ELc76EKS1_S1_EviT_PT9_S3_lS5_S3_lPT10_S3_li,@function
_ZL37rocblas_syrkx_herkx_restricted_kernelIi19rocblas_complex_numIfELi16ELi32ELi8ELi1ELi1ELb0ELc78ELc76EKS1_S1_EviT_PT9_S3_lS5_S3_lPT10_S3_li: ; @_ZL37rocblas_syrkx_herkx_restricted_kernelIi19rocblas_complex_numIfELi16ELi32ELi8ELi1ELi1ELb0ELc78ELc76EKS1_S1_EviT_PT9_S3_lS5_S3_lPT10_S3_li
; %bb.0:
	s_load_dwordx2 s[10:11], s[4:5], 0x0
	s_load_dwordx4 s[0:3], s[4:5], 0x30
	s_lshl_b32 s9, s6, 5
	s_lshl_b32 s16, s7, 5
	s_mov_b32 s17, 0
	s_waitcnt lgkmcnt(0)
	s_cmp_lt_i32 s11, 1
	s_cbranch_scc1 .LBB158_3
; %bb.1:
	v_lshl_add_u32 v5, v1, 4, v0
	s_load_dword s6, s[4:5], 0x10
	s_load_dword s18, s[4:5], 0x28
	s_load_dwordx2 s[20:21], s[4:5], 0x8
	s_load_dwordx4 s[12:15], s[4:5], 0x18
	v_lshrrev_b32_e32 v6, 3, v5
	v_add_u32_e32 v2, s16, v6
	v_and_b32_e32 v4, 7, v0
	v_ashrrev_i32_e32 v3, 31, v2
	s_waitcnt lgkmcnt(0)
	v_mad_i64_i32 v[2:3], s[22:23], s18, v4, v[2:3]
	v_lshlrev_b32_e32 v4, 3, v4
	v_lshl_or_b32 v4, v6, 6, v4
	v_lshrrev_b32_e32 v7, 5, v5
	v_and_b32_e32 v5, 31, v5
	v_add_u32_e32 v11, 0x800, v4
	v_mov_b32_e32 v4, 0x800
	v_lshl_add_u32 v13, v1, 6, v4
	v_add_u32_e32 v4, s9, v5
	v_lshlrev_b32_e32 v8, 3, v5
	v_ashrrev_i32_e32 v5, 31, v4
	v_mad_i64_i32 v[4:5], s[22:23], s6, v7, v[4:5]
	s_mul_i32 s13, s13, s8
	s_mul_hi_u32 s24, s12, s8
	s_add_i32 s13, s24, s13
	s_mul_i32 s12, s12, s8
	s_ashr_i32 s7, s6, 31
	s_ashr_i32 s19, s18, 31
	s_lshl_b64 s[12:13], s[12:13], 3
	v_lshlrev_b64 v[4:5], 3, v[4:5]
	s_add_u32 s12, s20, s12
	s_addc_u32 s13, s21, s13
	v_add_co_u32_e32 v4, vcc, s12, v4
	s_mul_i32 s1, s1, s8
	s_mul_hi_u32 s12, s0, s8
	v_mov_b32_e32 v6, s13
	s_add_i32 s1, s12, s1
	s_mul_i32 s0, s0, s8
	v_addc_co_u32_e32 v5, vcc, v6, v5, vcc
	s_lshl_b64 s[6:7], s[6:7], 6
	s_lshl_b64 s[0:1], s[0:1], 3
	v_add_co_u32_e32 v6, vcc, 4, v4
	v_lshlrev_b64 v[2:3], 3, v[2:3]
	s_add_u32 s0, s14, s0
	v_lshl_or_b32 v10, v7, 8, v8
	v_addc_co_u32_e32 v7, vcc, 0, v5, vcc
	s_addc_u32 s1, s15, s1
	v_mov_b32_e32 v4, s1
	v_add_co_u32_e32 v2, vcc, s0, v2
	v_addc_co_u32_e32 v3, vcc, v4, v3, vcc
	v_add_co_u32_e32 v8, vcc, 4, v2
	s_lshl_b64 s[0:1], s[18:19], 6
	v_lshlrev_b32_e32 v12, 3, v0
	v_addc_co_u32_e32 v9, vcc, 0, v3, vcc
	v_mov_b32_e32 v16, 0
	v_mov_b32_e32 v14, s7
	;; [unrolled: 1-line block ×10, first 2 shown]
.LBB158_2:                              ; =>This Inner Loop Header: Depth=1
	global_load_dwordx2 v[2:3], v[6:7], off offset:-4
	v_add_co_u32_e32 v6, vcc, s6, v6
	v_addc_co_u32_e32 v7, vcc, v7, v14, vcc
	s_add_i32 s17, s17, 8
	s_cmp_ge_i32 s17, s11
	s_waitcnt vmcnt(0)
	ds_write_b64 v10, v[2:3]
	global_load_dwordx2 v[2:3], v[8:9], off offset:-4
	v_add_co_u32_e32 v8, vcc, s0, v8
	v_addc_co_u32_e32 v9, vcc, v9, v15, vcc
	s_waitcnt vmcnt(0)
	ds_write_b64 v11, v[2:3]
	s_waitcnt lgkmcnt(0)
	s_barrier
	ds_read_b128 v[24:27], v13
	ds_read_b128 v[28:31], v13 offset:16
	ds_read_b128 v[32:35], v13 offset:32
	;; [unrolled: 1-line block ×3, first 2 shown]
	ds_read2_b64 v[36:39], v12 offset1:16
	s_waitcnt lgkmcnt(0)
	v_mul_f32_e32 v40, v25, v37
	v_mul_f32_e32 v41, v24, v37
	v_fma_f32 v40, v24, v36, -v40
	v_fmac_f32_e32 v41, v25, v36
	v_add_f32_e32 v40, v22, v40
	v_add_f32_e32 v41, v23, v41
	v_mul_f32_e32 v22, v25, v39
	v_mul_f32_e32 v23, v24, v39
	v_fma_f32 v22, v24, v38, -v22
	v_fmac_f32_e32 v23, v25, v38
	v_add_f32_e32 v24, v21, v22
	v_add_f32_e32 v25, v20, v23
	ds_read_b128 v[20:23], v13 offset:1024
	s_waitcnt lgkmcnt(0)
	v_mul_f32_e32 v42, v21, v37
	v_mul_f32_e32 v37, v20, v37
	v_fma_f32 v42, v20, v36, -v42
	v_fmac_f32_e32 v37, v21, v36
	v_add_f32_e32 v36, v19, v42
	v_add_f32_e32 v37, v18, v37
	v_mul_f32_e32 v18, v21, v39
	v_mul_f32_e32 v19, v20, v39
	v_fma_f32 v18, v20, v38, -v18
	v_fmac_f32_e32 v19, v21, v38
	v_add_f32_e32 v20, v17, v18
	v_add_f32_e32 v21, v16, v19
	ds_read2_b64 v[16:19], v12 offset0:32 offset1:48
	s_waitcnt lgkmcnt(0)
	v_mul_f32_e32 v38, v27, v17
	v_fma_f32 v38, v26, v16, -v38
	v_add_f32_e32 v38, v40, v38
	v_mul_f32_e32 v40, v27, v19
	v_mul_f32_e32 v39, v26, v17
	v_fma_f32 v40, v26, v18, -v40
	v_mul_f32_e32 v26, v26, v19
	v_fmac_f32_e32 v26, v27, v18
	v_add_f32_e32 v25, v25, v26
	v_mul_f32_e32 v26, v23, v17
	v_mul_f32_e32 v17, v22, v17
	v_fmac_f32_e32 v17, v23, v16
	v_fmac_f32_e32 v39, v27, v16
	v_fma_f32 v26, v22, v16, -v26
	v_add_f32_e32 v27, v37, v17
	v_mul_f32_e32 v16, v23, v19
	v_mul_f32_e32 v17, v22, v19
	v_fma_f32 v16, v22, v18, -v16
	v_fmac_f32_e32 v17, v23, v18
	v_add_f32_e32 v26, v36, v26
	v_add_f32_e32 v36, v20, v16
	;; [unrolled: 1-line block ×3, first 2 shown]
	ds_read2_b64 v[16:19], v12 offset0:64 offset1:80
	v_add_f32_e32 v39, v41, v39
	v_add_f32_e32 v24, v24, v40
	s_waitcnt lgkmcnt(0)
	v_mul_f32_e32 v20, v29, v17
	v_mul_f32_e32 v21, v28, v17
	v_fma_f32 v20, v28, v16, -v20
	v_fmac_f32_e32 v21, v29, v16
	v_add_f32_e32 v38, v38, v20
	v_add_f32_e32 v39, v39, v21
	v_mul_f32_e32 v20, v29, v19
	v_mul_f32_e32 v21, v28, v19
	v_fma_f32 v20, v28, v18, -v20
	v_fmac_f32_e32 v21, v29, v18
	v_add_f32_e32 v24, v24, v20
	v_add_f32_e32 v25, v25, v21
	ds_read_b128 v[20:23], v13 offset:1040
	s_waitcnt lgkmcnt(0)
	v_mul_f32_e32 v28, v21, v17
	v_mul_f32_e32 v17, v20, v17
	v_fmac_f32_e32 v17, v21, v16
	v_fma_f32 v28, v20, v16, -v28
	v_add_f32_e32 v27, v27, v17
	v_mul_f32_e32 v16, v21, v19
	v_mul_f32_e32 v17, v20, v19
	v_fma_f32 v16, v20, v18, -v16
	v_fmac_f32_e32 v17, v21, v18
	v_add_f32_e32 v20, v36, v16
	v_add_f32_e32 v21, v37, v17
	ds_read2_b64 v[16:19], v12 offset0:96 offset1:112
	v_add_f32_e32 v26, v26, v28
	s_waitcnt lgkmcnt(0)
	v_mul_f32_e32 v28, v31, v17
	v_mul_f32_e32 v36, v31, v19
	v_fma_f32 v28, v30, v16, -v28
	v_mul_f32_e32 v29, v30, v17
	v_fma_f32 v36, v30, v18, -v36
	v_mul_f32_e32 v30, v30, v19
	v_fmac_f32_e32 v30, v31, v18
	v_add_f32_e32 v25, v25, v30
	v_mul_f32_e32 v30, v23, v17
	v_mul_f32_e32 v17, v22, v17
	v_fmac_f32_e32 v17, v23, v16
	v_fmac_f32_e32 v29, v31, v16
	v_fma_f32 v30, v22, v16, -v30
	v_add_f32_e32 v27, v27, v17
	v_mul_f32_e32 v16, v23, v19
	v_mul_f32_e32 v17, v22, v19
	v_fma_f32 v16, v22, v18, -v16
	v_fmac_f32_e32 v17, v23, v18
	v_add_f32_e32 v26, v26, v30
	v_add_f32_e32 v30, v20, v16
	;; [unrolled: 1-line block ×3, first 2 shown]
	ds_read2_b64 v[16:19], v12 offset0:128 offset1:144
	v_add_f32_e32 v28, v38, v28
	v_add_f32_e32 v29, v39, v29
	;; [unrolled: 1-line block ×3, first 2 shown]
	s_waitcnt lgkmcnt(0)
	v_mul_f32_e32 v20, v33, v17
	v_mul_f32_e32 v21, v32, v17
	v_fma_f32 v20, v32, v16, -v20
	v_fmac_f32_e32 v21, v33, v16
	v_add_f32_e32 v28, v28, v20
	v_add_f32_e32 v29, v29, v21
	v_mul_f32_e32 v20, v33, v19
	v_mul_f32_e32 v21, v32, v19
	v_fma_f32 v20, v32, v18, -v20
	v_fmac_f32_e32 v21, v33, v18
	v_add_f32_e32 v24, v24, v20
	v_add_f32_e32 v25, v25, v21
	ds_read_b128 v[20:23], v13 offset:1056
	s_waitcnt lgkmcnt(0)
	v_mul_f32_e32 v32, v21, v17
	v_mul_f32_e32 v17, v20, v17
	v_fmac_f32_e32 v17, v21, v16
	v_fma_f32 v32, v20, v16, -v32
	v_add_f32_e32 v27, v27, v17
	v_mul_f32_e32 v16, v21, v19
	v_mul_f32_e32 v17, v20, v19
	v_fma_f32 v16, v20, v18, -v16
	v_fmac_f32_e32 v17, v21, v18
	v_add_f32_e32 v20, v30, v16
	v_add_f32_e32 v21, v31, v17
	ds_read2_b64 v[16:19], v12 offset0:160 offset1:176
	v_add_f32_e32 v26, v26, v32
	s_waitcnt lgkmcnt(0)
	v_mul_f32_e32 v30, v35, v17
	v_fma_f32 v30, v34, v16, -v30
	v_add_f32_e32 v28, v28, v30
	v_mul_f32_e32 v30, v35, v19
	v_fma_f32 v30, v34, v18, -v30
	v_mul_f32_e32 v31, v34, v17
	v_add_f32_e32 v24, v24, v30
	v_mul_f32_e32 v30, v23, v17
	v_mul_f32_e32 v17, v22, v17
	v_fmac_f32_e32 v17, v23, v16
	v_fmac_f32_e32 v31, v35, v16
	v_fma_f32 v30, v22, v16, -v30
	v_add_f32_e32 v27, v27, v17
	v_mul_f32_e32 v16, v23, v19
	v_mul_f32_e32 v17, v22, v19
	v_add_f32_e32 v29, v29, v31
	v_mul_f32_e32 v31, v34, v19
	v_fma_f32 v16, v22, v18, -v16
	v_fmac_f32_e32 v17, v23, v18
	v_fmac_f32_e32 v31, v35, v18
	v_add_f32_e32 v20, v20, v16
	v_add_f32_e32 v21, v21, v17
	ds_read2_b64 v[16:19], v12 offset0:192 offset1:208
	v_add_f32_e32 v26, v26, v30
	v_add_f32_e32 v25, v25, v31
	s_waitcnt lgkmcnt(0)
	v_mul_f32_e32 v22, v3, v17
	v_fma_f32 v22, v2, v16, -v22
	v_add_f32_e32 v30, v28, v22
	v_mul_f32_e32 v22, v3, v19
	v_mul_f32_e32 v23, v2, v17
	v_fma_f32 v22, v2, v18, -v22
	v_mul_f32_e32 v2, v2, v19
	v_fmac_f32_e32 v23, v3, v16
	v_fmac_f32_e32 v2, v3, v18
	v_add_f32_e32 v31, v29, v23
	v_add_f32_e32 v3, v24, v22
	;; [unrolled: 1-line block ×3, first 2 shown]
	ds_read_b128 v[22:25], v13 offset:1072
	s_waitcnt lgkmcnt(0)
	v_mul_f32_e32 v28, v23, v17
	v_fma_f32 v28, v22, v16, -v28
	v_mul_f32_e32 v17, v22, v17
	v_fmac_f32_e32 v17, v23, v16
	v_add_f32_e32 v16, v26, v28
	v_mul_f32_e32 v26, v23, v19
	v_fma_f32 v26, v22, v18, -v26
	v_add_f32_e32 v17, v27, v17
	v_add_f32_e32 v32, v20, v26
	ds_read2_b64 v[26:29], v12 offset0:224 offset1:240
	v_mul_f32_e32 v19, v22, v19
	v_fmac_f32_e32 v19, v23, v18
	v_add_f32_e32 v33, v21, v19
	s_waitcnt lgkmcnt(0)
	v_mul_f32_e32 v18, v5, v27
	v_fma_f32 v18, v4, v26, -v18
	v_add_f32_e32 v22, v30, v18
	v_mul_f32_e32 v18, v5, v29
	v_mul_f32_e32 v19, v4, v27
	v_fma_f32 v18, v4, v28, -v18
	v_mul_f32_e32 v4, v4, v29
	v_fmac_f32_e32 v4, v5, v28
	v_add_f32_e32 v21, v3, v18
	v_add_f32_e32 v20, v2, v4
	v_mul_f32_e32 v2, v25, v27
	v_mul_f32_e32 v3, v24, v27
	v_fmac_f32_e32 v19, v5, v26
	v_fma_f32 v2, v24, v26, -v2
	v_fmac_f32_e32 v3, v25, v26
	v_add_f32_e32 v23, v31, v19
	v_add_f32_e32 v19, v16, v2
	;; [unrolled: 1-line block ×3, first 2 shown]
	v_mul_f32_e32 v2, v25, v29
	v_mul_f32_e32 v3, v24, v29
	v_fma_f32 v2, v24, v28, -v2
	v_fmac_f32_e32 v3, v25, v28
	v_add_f32_e32 v17, v32, v2
	v_add_f32_e32 v16, v33, v3
	s_barrier
	s_cbranch_scc0 .LBB158_2
	s_branch .LBB158_4
.LBB158_3:
	v_mov_b32_e32 v22, 0
	v_mov_b32_e32 v23, 0
	;; [unrolled: 1-line block ×8, first 2 shown]
.LBB158_4:
	s_load_dwordx2 s[0:1], s[4:5], 0x48
	s_load_dword s6, s[4:5], 0x40
	v_add_u32_e32 v4, s16, v1
	v_add_u32_e32 v0, s9, v0
	s_waitcnt lgkmcnt(0)
	s_mul_i32 s1, s1, s8
	s_mul_hi_u32 s4, s0, s8
	s_add_i32 s1, s4, s1
	v_mad_i64_i32 v[1:2], s[4:5], v4, s6, 0
	s_mul_i32 s0, s0, s8
	s_lshl_b64 s[0:1], s[0:1], 3
	s_add_u32 s7, s2, s0
	v_lshlrev_b64 v[1:2], 3, v[1:2]
	s_addc_u32 s8, s3, s1
	v_mov_b32_e32 v3, s8
	v_add_co_u32_e32 v5, vcc, s7, v1
	v_addc_co_u32_e32 v6, vcc, v3, v2, vcc
	v_cmp_le_i32_e64 s[0:1], v4, v0
	v_cmp_gt_i32_e32 vcc, s10, v0
	s_and_b64 s[0:1], s[0:1], vcc
	s_and_saveexec_b64 s[2:3], s[0:1]
	s_cbranch_execz .LBB158_6
; %bb.5:
	v_ashrrev_i32_e32 v1, 31, v0
	v_lshlrev_b64 v[1:2], 3, v[0:1]
	v_add_co_u32_e64 v1, s[0:1], v5, v1
	v_addc_co_u32_e64 v2, s[0:1], v6, v2, s[0:1]
	global_load_dwordx2 v[7:8], v[1:2], off
	s_waitcnt vmcnt(0)
	v_add_f32_e32 v7, v22, v7
	v_add_f32_e32 v8, v23, v8
	global_store_dwordx2 v[1:2], v[7:8], off
.LBB158_6:
	s_or_b64 exec, exec, s[2:3]
	v_add_u32_e32 v2, 16, v0
	v_cmp_le_i32_e64 s[2:3], v4, v2
	v_cmp_gt_i32_e64 s[0:1], s10, v2
	s_and_b64 s[2:3], s[2:3], s[0:1]
	s_and_saveexec_b64 s[4:5], s[2:3]
	s_cbranch_execz .LBB158_8
; %bb.7:
	v_ashrrev_i32_e32 v3, 31, v2
	v_lshlrev_b64 v[7:8], 3, v[2:3]
	v_add_co_u32_e64 v5, s[2:3], v5, v7
	v_addc_co_u32_e64 v6, s[2:3], v6, v8, s[2:3]
	global_load_dwordx2 v[7:8], v[5:6], off
	s_waitcnt vmcnt(0)
	v_add_f32_e32 v7, v21, v7
	v_add_f32_e32 v8, v20, v8
	global_store_dwordx2 v[5:6], v[7:8], off
.LBB158_8:
	s_or_b64 exec, exec, s[4:5]
	v_add_u32_e32 v3, 16, v4
	v_mad_i64_i32 v[4:5], s[2:3], v3, s6, 0
	v_mov_b32_e32 v1, s8
	v_lshlrev_b64 v[4:5], 3, v[4:5]
	v_add_co_u32_e64 v4, s[2:3], s7, v4
	v_addc_co_u32_e64 v5, s[2:3], v1, v5, s[2:3]
	v_cmp_le_i32_e64 s[2:3], v3, v0
	s_and_b64 s[4:5], s[2:3], vcc
	s_and_saveexec_b64 s[2:3], s[4:5]
	s_cbranch_execz .LBB158_10
; %bb.9:
	v_ashrrev_i32_e32 v1, 31, v0
	v_lshlrev_b64 v[0:1], 3, v[0:1]
	v_add_co_u32_e32 v0, vcc, v4, v0
	v_addc_co_u32_e32 v1, vcc, v5, v1, vcc
	global_load_dwordx2 v[6:7], v[0:1], off
	s_waitcnt vmcnt(0)
	v_add_f32_e32 v6, v19, v6
	v_add_f32_e32 v7, v18, v7
	global_store_dwordx2 v[0:1], v[6:7], off
.LBB158_10:
	s_or_b64 exec, exec, s[2:3]
	v_cmp_le_i32_e32 vcc, v3, v2
	s_and_b64 s[0:1], vcc, s[0:1]
	s_and_saveexec_b64 s[2:3], s[0:1]
	s_cbranch_execz .LBB158_12
; %bb.11:
	v_ashrrev_i32_e32 v3, 31, v2
	v_lshlrev_b64 v[0:1], 3, v[2:3]
	v_add_co_u32_e32 v0, vcc, v4, v0
	v_addc_co_u32_e32 v1, vcc, v5, v1, vcc
	global_load_dwordx2 v[2:3], v[0:1], off
	s_waitcnt vmcnt(0)
	v_add_f32_e32 v2, v17, v2
	v_add_f32_e32 v3, v16, v3
	global_store_dwordx2 v[0:1], v[2:3], off
.LBB158_12:
	s_endpgm
	.section	.rodata,"a",@progbits
	.p2align	6, 0x0
	.amdhsa_kernel _ZL37rocblas_syrkx_herkx_restricted_kernelIi19rocblas_complex_numIfELi16ELi32ELi8ELi1ELi1ELb0ELc78ELc76EKS1_S1_EviT_PT9_S3_lS5_S3_lPT10_S3_li
		.amdhsa_group_segment_fixed_size 4096
		.amdhsa_private_segment_fixed_size 0
		.amdhsa_kernarg_size 84
		.amdhsa_user_sgpr_count 6
		.amdhsa_user_sgpr_private_segment_buffer 1
		.amdhsa_user_sgpr_dispatch_ptr 0
		.amdhsa_user_sgpr_queue_ptr 0
		.amdhsa_user_sgpr_kernarg_segment_ptr 1
		.amdhsa_user_sgpr_dispatch_id 0
		.amdhsa_user_sgpr_flat_scratch_init 0
		.amdhsa_user_sgpr_private_segment_size 0
		.amdhsa_uses_dynamic_stack 0
		.amdhsa_system_sgpr_private_segment_wavefront_offset 0
		.amdhsa_system_sgpr_workgroup_id_x 1
		.amdhsa_system_sgpr_workgroup_id_y 1
		.amdhsa_system_sgpr_workgroup_id_z 1
		.amdhsa_system_sgpr_workgroup_info 0
		.amdhsa_system_vgpr_workitem_id 1
		.amdhsa_next_free_vgpr 43
		.amdhsa_next_free_sgpr 25
		.amdhsa_reserve_vcc 1
		.amdhsa_reserve_flat_scratch 0
		.amdhsa_float_round_mode_32 0
		.amdhsa_float_round_mode_16_64 0
		.amdhsa_float_denorm_mode_32 3
		.amdhsa_float_denorm_mode_16_64 3
		.amdhsa_dx10_clamp 1
		.amdhsa_ieee_mode 1
		.amdhsa_fp16_overflow 0
		.amdhsa_exception_fp_ieee_invalid_op 0
		.amdhsa_exception_fp_denorm_src 0
		.amdhsa_exception_fp_ieee_div_zero 0
		.amdhsa_exception_fp_ieee_overflow 0
		.amdhsa_exception_fp_ieee_underflow 0
		.amdhsa_exception_fp_ieee_inexact 0
		.amdhsa_exception_int_div_zero 0
	.end_amdhsa_kernel
	.section	.text._ZL37rocblas_syrkx_herkx_restricted_kernelIi19rocblas_complex_numIfELi16ELi32ELi8ELi1ELi1ELb0ELc78ELc76EKS1_S1_EviT_PT9_S3_lS5_S3_lPT10_S3_li,"axG",@progbits,_ZL37rocblas_syrkx_herkx_restricted_kernelIi19rocblas_complex_numIfELi16ELi32ELi8ELi1ELi1ELb0ELc78ELc76EKS1_S1_EviT_PT9_S3_lS5_S3_lPT10_S3_li,comdat
.Lfunc_end158:
	.size	_ZL37rocblas_syrkx_herkx_restricted_kernelIi19rocblas_complex_numIfELi16ELi32ELi8ELi1ELi1ELb0ELc78ELc76EKS1_S1_EviT_PT9_S3_lS5_S3_lPT10_S3_li, .Lfunc_end158-_ZL37rocblas_syrkx_herkx_restricted_kernelIi19rocblas_complex_numIfELi16ELi32ELi8ELi1ELi1ELb0ELc78ELc76EKS1_S1_EviT_PT9_S3_lS5_S3_lPT10_S3_li
                                        ; -- End function
	.set _ZL37rocblas_syrkx_herkx_restricted_kernelIi19rocblas_complex_numIfELi16ELi32ELi8ELi1ELi1ELb0ELc78ELc76EKS1_S1_EviT_PT9_S3_lS5_S3_lPT10_S3_li.num_vgpr, 43
	.set _ZL37rocblas_syrkx_herkx_restricted_kernelIi19rocblas_complex_numIfELi16ELi32ELi8ELi1ELi1ELb0ELc78ELc76EKS1_S1_EviT_PT9_S3_lS5_S3_lPT10_S3_li.num_agpr, 0
	.set _ZL37rocblas_syrkx_herkx_restricted_kernelIi19rocblas_complex_numIfELi16ELi32ELi8ELi1ELi1ELb0ELc78ELc76EKS1_S1_EviT_PT9_S3_lS5_S3_lPT10_S3_li.numbered_sgpr, 25
	.set _ZL37rocblas_syrkx_herkx_restricted_kernelIi19rocblas_complex_numIfELi16ELi32ELi8ELi1ELi1ELb0ELc78ELc76EKS1_S1_EviT_PT9_S3_lS5_S3_lPT10_S3_li.num_named_barrier, 0
	.set _ZL37rocblas_syrkx_herkx_restricted_kernelIi19rocblas_complex_numIfELi16ELi32ELi8ELi1ELi1ELb0ELc78ELc76EKS1_S1_EviT_PT9_S3_lS5_S3_lPT10_S3_li.private_seg_size, 0
	.set _ZL37rocblas_syrkx_herkx_restricted_kernelIi19rocblas_complex_numIfELi16ELi32ELi8ELi1ELi1ELb0ELc78ELc76EKS1_S1_EviT_PT9_S3_lS5_S3_lPT10_S3_li.uses_vcc, 1
	.set _ZL37rocblas_syrkx_herkx_restricted_kernelIi19rocblas_complex_numIfELi16ELi32ELi8ELi1ELi1ELb0ELc78ELc76EKS1_S1_EviT_PT9_S3_lS5_S3_lPT10_S3_li.uses_flat_scratch, 0
	.set _ZL37rocblas_syrkx_herkx_restricted_kernelIi19rocblas_complex_numIfELi16ELi32ELi8ELi1ELi1ELb0ELc78ELc76EKS1_S1_EviT_PT9_S3_lS5_S3_lPT10_S3_li.has_dyn_sized_stack, 0
	.set _ZL37rocblas_syrkx_herkx_restricted_kernelIi19rocblas_complex_numIfELi16ELi32ELi8ELi1ELi1ELb0ELc78ELc76EKS1_S1_EviT_PT9_S3_lS5_S3_lPT10_S3_li.has_recursion, 0
	.set _ZL37rocblas_syrkx_herkx_restricted_kernelIi19rocblas_complex_numIfELi16ELi32ELi8ELi1ELi1ELb0ELc78ELc76EKS1_S1_EviT_PT9_S3_lS5_S3_lPT10_S3_li.has_indirect_call, 0
	.section	.AMDGPU.csdata,"",@progbits
; Kernel info:
; codeLenInByte = 1980
; TotalNumSgprs: 29
; NumVgprs: 43
; ScratchSize: 0
; MemoryBound: 0
; FloatMode: 240
; IeeeMode: 1
; LDSByteSize: 4096 bytes/workgroup (compile time only)
; SGPRBlocks: 3
; VGPRBlocks: 10
; NumSGPRsForWavesPerEU: 29
; NumVGPRsForWavesPerEU: 43
; Occupancy: 5
; WaveLimiterHint : 0
; COMPUTE_PGM_RSRC2:SCRATCH_EN: 0
; COMPUTE_PGM_RSRC2:USER_SGPR: 6
; COMPUTE_PGM_RSRC2:TRAP_HANDLER: 0
; COMPUTE_PGM_RSRC2:TGID_X_EN: 1
; COMPUTE_PGM_RSRC2:TGID_Y_EN: 1
; COMPUTE_PGM_RSRC2:TGID_Z_EN: 1
; COMPUTE_PGM_RSRC2:TIDIG_COMP_CNT: 1
	.section	.text._ZL37rocblas_syrkx_herkx_restricted_kernelIi19rocblas_complex_numIfELi16ELi32ELi8ELi1ELi1ELb0ELc84ELc85EKS1_S1_EviT_PT9_S3_lS5_S3_lPT10_S3_li,"axG",@progbits,_ZL37rocblas_syrkx_herkx_restricted_kernelIi19rocblas_complex_numIfELi16ELi32ELi8ELi1ELi1ELb0ELc84ELc85EKS1_S1_EviT_PT9_S3_lS5_S3_lPT10_S3_li,comdat
	.globl	_ZL37rocblas_syrkx_herkx_restricted_kernelIi19rocblas_complex_numIfELi16ELi32ELi8ELi1ELi1ELb0ELc84ELc85EKS1_S1_EviT_PT9_S3_lS5_S3_lPT10_S3_li ; -- Begin function _ZL37rocblas_syrkx_herkx_restricted_kernelIi19rocblas_complex_numIfELi16ELi32ELi8ELi1ELi1ELb0ELc84ELc85EKS1_S1_EviT_PT9_S3_lS5_S3_lPT10_S3_li
	.p2align	8
	.type	_ZL37rocblas_syrkx_herkx_restricted_kernelIi19rocblas_complex_numIfELi16ELi32ELi8ELi1ELi1ELb0ELc84ELc85EKS1_S1_EviT_PT9_S3_lS5_S3_lPT10_S3_li,@function
_ZL37rocblas_syrkx_herkx_restricted_kernelIi19rocblas_complex_numIfELi16ELi32ELi8ELi1ELi1ELb0ELc84ELc85EKS1_S1_EviT_PT9_S3_lS5_S3_lPT10_S3_li: ; @_ZL37rocblas_syrkx_herkx_restricted_kernelIi19rocblas_complex_numIfELi16ELi32ELi8ELi1ELi1ELb0ELc84ELc85EKS1_S1_EviT_PT9_S3_lS5_S3_lPT10_S3_li
; %bb.0:
	s_load_dwordx2 s[10:11], s[4:5], 0x0
	s_load_dwordx4 s[0:3], s[4:5], 0x30
	s_lshl_b32 s6, s6, 5
	s_lshl_b32 s7, s7, 5
	s_mov_b32 s9, 0
	s_waitcnt lgkmcnt(0)
	s_cmp_lt_i32 s11, 1
	s_cbranch_scc1 .LBB159_3
; %bb.1:
	v_lshl_add_u32 v4, v1, 4, v0
	v_and_b32_e32 v7, 31, v4
	s_load_dwordx2 s[16:17], s[4:5], 0x8
	s_load_dword s20, s[4:5], 0x10
	s_load_dwordx4 s[12:15], s[4:5], 0x18
	s_load_dword s18, s[4:5], 0x28
	v_lshrrev_b32_e32 v6, 3, v4
	v_and_b32_e32 v9, 7, v0
	v_lshrrev_b32_e32 v4, 5, v4
	v_lshlrev_b32_e32 v8, 3, v7
	v_lshl_or_b32 v11, v4, 8, v8
	v_lshlrev_b32_e32 v8, 3, v9
	v_add_u32_e32 v2, s7, v6
	v_lshl_or_b32 v6, v6, 6, v8
	v_mov_b32_e32 v10, 0
	v_add_u32_e32 v12, 0x800, v6
	v_mov_b32_e32 v6, 0x800
	v_mov_b32_e32 v5, v10
	v_lshl_add_u32 v14, v1, 6, v6
	v_add_u32_e32 v6, s6, v7
	s_waitcnt lgkmcnt(0)
	v_mad_i64_i32 v[2:3], s[18:19], s18, v2, v[9:10]
	v_mad_i64_i32 v[4:5], s[18:19], s20, v6, v[4:5]
	s_mul_i32 s13, s13, s8
	s_mul_hi_u32 s21, s12, s8
	s_add_i32 s13, s21, s13
	s_mul_i32 s12, s12, s8
	s_lshl_b64 s[12:13], s[12:13], 3
	v_lshlrev_b64 v[4:5], 3, v[4:5]
	s_add_u32 s12, s16, s12
	s_addc_u32 s13, s17, s13
	v_add_co_u32_e32 v4, vcc, s12, v4
	s_mul_i32 s1, s1, s8
	s_mul_hi_u32 s12, s0, s8
	v_mov_b32_e32 v6, s13
	s_add_i32 s1, s12, s1
	s_mul_i32 s0, s0, s8
	v_addc_co_u32_e32 v5, vcc, v6, v5, vcc
	s_lshl_b64 s[0:1], s[0:1], 3
	v_add_co_u32_e32 v6, vcc, 4, v4
	v_lshlrev_b64 v[2:3], 3, v[2:3]
	s_add_u32 s0, s14, s0
	v_addc_co_u32_e32 v7, vcc, 0, v5, vcc
	s_addc_u32 s1, s15, s1
	v_mov_b32_e32 v4, s1
	v_add_co_u32_e32 v2, vcc, s0, v2
	v_addc_co_u32_e32 v3, vcc, v4, v3, vcc
	v_add_co_u32_e32 v8, vcc, 4, v2
	v_lshlrev_b32_e32 v13, 3, v0
	v_addc_co_u32_e32 v9, vcc, 0, v3, vcc
	v_mov_b32_e32 v15, v10
	v_mov_b32_e32 v16, v10
	;; [unrolled: 1-line block ×7, first 2 shown]
.LBB159_2:                              ; =>This Inner Loop Header: Depth=1
	global_load_dwordx2 v[2:3], v[6:7], off offset:-4
	v_add_co_u32_e32 v6, vcc, 64, v6
	v_addc_co_u32_e32 v7, vcc, 0, v7, vcc
	s_add_i32 s9, s9, 8
	s_cmp_ge_i32 s9, s11
	s_waitcnt vmcnt(0)
	ds_write_b64 v11, v[2:3]
	global_load_dwordx2 v[2:3], v[8:9], off offset:-4
	v_add_co_u32_e32 v8, vcc, 64, v8
	v_addc_co_u32_e32 v9, vcc, 0, v9, vcc
	s_waitcnt vmcnt(0)
	ds_write_b64 v12, v[2:3]
	s_waitcnt lgkmcnt(0)
	s_barrier
	ds_read_b128 v[22:25], v14
	ds_read_b128 v[26:29], v14 offset:16
	ds_read_b128 v[30:33], v14 offset:32
	;; [unrolled: 1-line block ×3, first 2 shown]
	ds_read2_b64 v[34:37], v13 offset1:16
	s_waitcnt lgkmcnt(0)
	v_mul_f32_e32 v38, v23, v35
	v_mul_f32_e32 v39, v22, v35
	v_fma_f32 v38, v22, v34, -v38
	v_fmac_f32_e32 v39, v23, v34
	v_add_f32_e32 v38, v20, v38
	v_add_f32_e32 v39, v21, v39
	v_mul_f32_e32 v20, v23, v37
	v_mul_f32_e32 v21, v22, v37
	v_fma_f32 v20, v22, v36, -v20
	v_fmac_f32_e32 v21, v23, v36
	v_add_f32_e32 v22, v19, v20
	v_add_f32_e32 v23, v18, v21
	ds_read_b128 v[18:21], v14 offset:1024
	s_waitcnt lgkmcnt(0)
	v_mul_f32_e32 v40, v19, v35
	v_mul_f32_e32 v35, v18, v35
	v_fma_f32 v40, v18, v34, -v40
	v_fmac_f32_e32 v35, v19, v34
	v_add_f32_e32 v34, v17, v40
	v_add_f32_e32 v35, v16, v35
	v_mul_f32_e32 v16, v19, v37
	v_mul_f32_e32 v17, v18, v37
	v_fma_f32 v16, v18, v36, -v16
	v_fmac_f32_e32 v17, v19, v36
	v_add_f32_e32 v19, v15, v16
	v_add_f32_e32 v10, v10, v17
	ds_read2_b64 v[15:18], v13 offset0:32 offset1:48
	s_waitcnt lgkmcnt(0)
	v_mul_f32_e32 v36, v25, v16
	v_fma_f32 v36, v24, v15, -v36
	v_add_f32_e32 v36, v38, v36
	v_mul_f32_e32 v38, v25, v18
	v_mul_f32_e32 v37, v24, v16
	v_fma_f32 v38, v24, v17, -v38
	v_mul_f32_e32 v24, v24, v18
	v_fmac_f32_e32 v24, v25, v17
	v_add_f32_e32 v23, v23, v24
	v_mul_f32_e32 v24, v21, v16
	v_mul_f32_e32 v16, v20, v16
	v_fmac_f32_e32 v16, v21, v15
	v_fmac_f32_e32 v37, v25, v15
	v_fma_f32 v24, v20, v15, -v24
	v_add_f32_e32 v25, v35, v16
	v_mul_f32_e32 v15, v21, v18
	v_mul_f32_e32 v16, v20, v18
	v_fma_f32 v15, v20, v17, -v15
	v_fmac_f32_e32 v16, v21, v17
	v_add_f32_e32 v24, v34, v24
	v_add_f32_e32 v34, v19, v15
	;; [unrolled: 1-line block ×3, first 2 shown]
	ds_read2_b64 v[15:18], v13 offset0:64 offset1:80
	v_add_f32_e32 v37, v39, v37
	v_add_f32_e32 v22, v22, v38
	s_waitcnt lgkmcnt(0)
	v_mul_f32_e32 v19, v27, v16
	v_mul_f32_e32 v20, v26, v16
	v_fma_f32 v19, v26, v15, -v19
	v_fmac_f32_e32 v20, v27, v15
	v_add_f32_e32 v35, v36, v19
	v_add_f32_e32 v36, v37, v20
	v_mul_f32_e32 v19, v27, v18
	v_mul_f32_e32 v20, v26, v18
	v_fma_f32 v19, v26, v17, -v19
	v_fmac_f32_e32 v20, v27, v17
	v_add_f32_e32 v26, v22, v19
	v_add_f32_e32 v23, v23, v20
	ds_read_b128 v[19:22], v14 offset:1040
	s_waitcnt lgkmcnt(0)
	v_mul_f32_e32 v27, v20, v16
	v_mul_f32_e32 v16, v19, v16
	v_fmac_f32_e32 v16, v20, v15
	v_fma_f32 v27, v19, v15, -v27
	v_add_f32_e32 v25, v25, v16
	v_mul_f32_e32 v15, v20, v18
	v_mul_f32_e32 v16, v19, v18
	v_fma_f32 v15, v19, v17, -v15
	v_fmac_f32_e32 v16, v20, v17
	v_add_f32_e32 v19, v34, v15
	v_add_f32_e32 v10, v10, v16
	ds_read2_b64 v[15:18], v13 offset0:96 offset1:112
	v_add_f32_e32 v24, v24, v27
	s_waitcnt lgkmcnt(0)
	v_mul_f32_e32 v20, v29, v16
	v_mul_f32_e32 v34, v29, v18
	v_fma_f32 v20, v28, v15, -v20
	v_mul_f32_e32 v27, v28, v16
	v_fma_f32 v34, v28, v17, -v34
	v_mul_f32_e32 v28, v28, v18
	v_fmac_f32_e32 v28, v29, v17
	v_add_f32_e32 v23, v23, v28
	v_mul_f32_e32 v28, v22, v16
	v_mul_f32_e32 v16, v21, v16
	v_fmac_f32_e32 v16, v22, v15
	v_fmac_f32_e32 v27, v29, v15
	v_fma_f32 v28, v21, v15, -v28
	v_add_f32_e32 v25, v25, v16
	v_mul_f32_e32 v15, v22, v18
	v_mul_f32_e32 v16, v21, v18
	v_fma_f32 v15, v21, v17, -v15
	v_fmac_f32_e32 v16, v22, v17
	v_add_f32_e32 v24, v24, v28
	v_add_f32_e32 v28, v19, v15
	;; [unrolled: 1-line block ×3, first 2 shown]
	ds_read2_b64 v[15:18], v13 offset0:128 offset1:144
	v_add_f32_e32 v20, v35, v20
	v_add_f32_e32 v27, v36, v27
	;; [unrolled: 1-line block ×3, first 2 shown]
	s_waitcnt lgkmcnt(0)
	v_mul_f32_e32 v19, v31, v16
	v_fma_f32 v19, v30, v15, -v19
	v_mul_f32_e32 v21, v30, v16
	v_add_f32_e32 v29, v20, v19
	v_mul_f32_e32 v19, v31, v18
	v_mul_f32_e32 v20, v30, v18
	v_fmac_f32_e32 v21, v31, v15
	v_fma_f32 v19, v30, v17, -v19
	v_fmac_f32_e32 v20, v31, v17
	v_add_f32_e32 v27, v27, v21
	v_add_f32_e32 v26, v26, v19
	;; [unrolled: 1-line block ×3, first 2 shown]
	ds_read_b128 v[19:22], v14 offset:1056
	s_waitcnt lgkmcnt(0)
	v_mul_f32_e32 v30, v20, v16
	v_mul_f32_e32 v16, v19, v16
	v_fmac_f32_e32 v16, v20, v15
	v_fma_f32 v30, v19, v15, -v30
	v_add_f32_e32 v25, v25, v16
	v_mul_f32_e32 v15, v20, v18
	v_mul_f32_e32 v16, v19, v18
	v_fma_f32 v15, v19, v17, -v15
	v_fmac_f32_e32 v16, v20, v17
	v_add_f32_e32 v19, v28, v15
	v_add_f32_e32 v10, v10, v16
	ds_read2_b64 v[15:18], v13 offset0:160 offset1:176
	v_add_f32_e32 v24, v24, v30
	s_waitcnt lgkmcnt(0)
	v_mul_f32_e32 v28, v32, v16
	v_fmac_f32_e32 v28, v33, v15
	v_add_f32_e32 v27, v27, v28
	v_mul_f32_e32 v28, v33, v18
	v_fma_f32 v28, v32, v17, -v28
	v_mul_f32_e32 v20, v33, v16
	v_add_f32_e32 v26, v26, v28
	v_mul_f32_e32 v28, v22, v16
	v_mul_f32_e32 v16, v21, v16
	v_fmac_f32_e32 v16, v22, v15
	v_fma_f32 v20, v32, v15, -v20
	v_fma_f32 v28, v21, v15, -v28
	v_add_f32_e32 v25, v25, v16
	v_mul_f32_e32 v15, v22, v18
	v_mul_f32_e32 v16, v21, v18
	v_add_f32_e32 v20, v29, v20
	v_mul_f32_e32 v29, v32, v18
	v_fma_f32 v15, v21, v17, -v15
	v_fmac_f32_e32 v16, v22, v17
	v_fmac_f32_e32 v29, v33, v17
	v_add_f32_e32 v19, v19, v15
	v_add_f32_e32 v10, v10, v16
	ds_read2_b64 v[15:18], v13 offset0:192 offset1:208
	v_add_f32_e32 v24, v24, v28
	v_add_f32_e32 v23, v23, v29
	s_waitcnt lgkmcnt(0)
	v_mul_f32_e32 v21, v3, v16
	v_fma_f32 v21, v2, v15, -v21
	v_add_f32_e32 v28, v20, v21
	v_mul_f32_e32 v20, v3, v18
	v_mul_f32_e32 v22, v2, v16
	v_fma_f32 v20, v2, v17, -v20
	v_mul_f32_e32 v2, v2, v18
	v_fmac_f32_e32 v22, v3, v15
	v_fmac_f32_e32 v2, v3, v17
	v_add_f32_e32 v29, v27, v22
	v_add_f32_e32 v3, v26, v20
	;; [unrolled: 1-line block ×3, first 2 shown]
	ds_read_b128 v[20:23], v14 offset:1072
	s_waitcnt lgkmcnt(0)
	v_mul_f32_e32 v26, v21, v16
	v_fma_f32 v26, v20, v15, -v26
	v_mul_f32_e32 v16, v20, v16
	v_fmac_f32_e32 v16, v21, v15
	v_add_f32_e32 v15, v24, v26
	v_mul_f32_e32 v24, v21, v18
	v_fma_f32 v24, v20, v17, -v24
	v_add_f32_e32 v16, v25, v16
	v_add_f32_e32 v30, v19, v24
	ds_read2_b64 v[24:27], v13 offset0:224 offset1:240
	v_mul_f32_e32 v18, v20, v18
	v_fmac_f32_e32 v18, v21, v17
	v_add_f32_e32 v10, v10, v18
	s_waitcnt lgkmcnt(0)
	v_mul_f32_e32 v17, v5, v25
	v_fma_f32 v17, v4, v24, -v17
	v_add_f32_e32 v20, v28, v17
	v_mul_f32_e32 v17, v5, v27
	v_mul_f32_e32 v18, v4, v25
	v_fma_f32 v17, v4, v26, -v17
	v_mul_f32_e32 v4, v4, v27
	v_fmac_f32_e32 v18, v5, v24
	v_fmac_f32_e32 v4, v5, v26
	v_add_f32_e32 v21, v29, v18
	v_add_f32_e32 v19, v3, v17
	;; [unrolled: 1-line block ×3, first 2 shown]
	v_mul_f32_e32 v2, v23, v25
	v_mul_f32_e32 v3, v22, v25
	v_fma_f32 v2, v22, v24, -v2
	v_fmac_f32_e32 v3, v23, v24
	v_add_f32_e32 v17, v15, v2
	v_add_f32_e32 v16, v16, v3
	v_mul_f32_e32 v2, v23, v27
	v_mul_f32_e32 v3, v22, v27
	v_fma_f32 v2, v22, v26, -v2
	v_fmac_f32_e32 v3, v23, v26
	v_add_f32_e32 v15, v30, v2
	v_add_f32_e32 v10, v10, v3
	s_barrier
	s_cbranch_scc0 .LBB159_2
	s_branch .LBB159_4
.LBB159_3:
	v_mov_b32_e32 v20, 0
	v_mov_b32_e32 v21, 0
	;; [unrolled: 1-line block ×8, first 2 shown]
.LBB159_4:
	s_load_dwordx2 s[0:1], s[4:5], 0x48
	s_load_dword s9, s[4:5], 0x40
	v_add_u32_e32 v4, s7, v1
	v_add_u32_e32 v0, s6, v0
	v_cmp_gt_i32_e32 vcc, s10, v4
	s_waitcnt lgkmcnt(0)
	s_mul_i32 s1, s1, s8
	v_mad_i64_i32 v[1:2], s[12:13], v4, s9, 0
	s_mul_hi_u32 s4, s0, s8
	s_mul_i32 s0, s0, s8
	s_add_i32 s1, s4, s1
	s_lshl_b64 s[0:1], s[0:1], 3
	s_add_u32 s4, s2, s0
	v_lshlrev_b64 v[1:2], 3, v[1:2]
	s_addc_u32 s5, s3, s1
	v_mov_b32_e32 v3, s5
	v_add_co_u32_e64 v5, s[0:1], s4, v1
	v_addc_co_u32_e64 v6, s[0:1], v3, v2, s[0:1]
	v_cmp_le_i32_e64 s[0:1], v0, v4
	s_and_b64 s[0:1], vcc, s[0:1]
	s_and_saveexec_b64 s[2:3], s[0:1]
	s_cbranch_execz .LBB159_6
; %bb.5:
	v_ashrrev_i32_e32 v1, 31, v0
	v_lshlrev_b64 v[1:2], 3, v[0:1]
	v_add_co_u32_e64 v1, s[0:1], v5, v1
	v_addc_co_u32_e64 v2, s[0:1], v6, v2, s[0:1]
	global_load_dwordx2 v[7:8], v[1:2], off
	s_waitcnt vmcnt(0)
	v_add_f32_e32 v7, v20, v7
	v_add_f32_e32 v8, v21, v8
	global_store_dwordx2 v[1:2], v[7:8], off
.LBB159_6:
	s_or_b64 exec, exec, s[2:3]
	v_add_u32_e32 v2, 16, v0
	v_cmp_le_i32_e64 s[0:1], v2, v4
	s_and_b64 s[2:3], vcc, s[0:1]
	s_and_saveexec_b64 s[0:1], s[2:3]
	s_cbranch_execz .LBB159_8
; %bb.7:
	v_ashrrev_i32_e32 v3, 31, v2
	v_lshlrev_b64 v[7:8], 3, v[2:3]
	v_add_co_u32_e32 v5, vcc, v5, v7
	v_addc_co_u32_e32 v6, vcc, v6, v8, vcc
	global_load_dwordx2 v[7:8], v[5:6], off
	s_waitcnt vmcnt(0)
	v_add_f32_e32 v7, v19, v7
	v_add_f32_e32 v8, v18, v8
	global_store_dwordx2 v[5:6], v[7:8], off
.LBB159_8:
	s_or_b64 exec, exec, s[0:1]
	v_add_u32_e32 v3, 16, v4
	v_mad_i64_i32 v[4:5], s[0:1], v3, s9, 0
	v_mov_b32_e32 v1, s5
	v_cmp_gt_i32_e32 vcc, s10, v3
	v_lshlrev_b64 v[4:5], 3, v[4:5]
	v_add_co_u32_e64 v4, s[0:1], s4, v4
	v_addc_co_u32_e64 v5, s[0:1], v1, v5, s[0:1]
	v_cmp_le_i32_e64 s[0:1], v0, v3
	s_and_b64 s[0:1], vcc, s[0:1]
	s_and_saveexec_b64 s[2:3], s[0:1]
	s_cbranch_execz .LBB159_10
; %bb.9:
	v_ashrrev_i32_e32 v1, 31, v0
	v_lshlrev_b64 v[0:1], 3, v[0:1]
	v_add_co_u32_e64 v0, s[0:1], v4, v0
	v_addc_co_u32_e64 v1, s[0:1], v5, v1, s[0:1]
	global_load_dwordx2 v[6:7], v[0:1], off
	s_waitcnt vmcnt(0)
	v_add_f32_e32 v6, v17, v6
	v_add_f32_e32 v7, v16, v7
	global_store_dwordx2 v[0:1], v[6:7], off
.LBB159_10:
	s_or_b64 exec, exec, s[2:3]
	v_cmp_le_i32_e64 s[0:1], v2, v3
	s_and_b64 s[0:1], vcc, s[0:1]
	s_and_saveexec_b64 s[2:3], s[0:1]
	s_cbranch_execz .LBB159_12
; %bb.11:
	v_ashrrev_i32_e32 v3, 31, v2
	v_lshlrev_b64 v[0:1], 3, v[2:3]
	v_add_co_u32_e32 v0, vcc, v4, v0
	v_addc_co_u32_e32 v1, vcc, v5, v1, vcc
	global_load_dwordx2 v[2:3], v[0:1], off
	s_waitcnt vmcnt(0)
	v_add_f32_e32 v2, v15, v2
	v_add_f32_e32 v3, v10, v3
	global_store_dwordx2 v[0:1], v[2:3], off
.LBB159_12:
	s_endpgm
	.section	.rodata,"a",@progbits
	.p2align	6, 0x0
	.amdhsa_kernel _ZL37rocblas_syrkx_herkx_restricted_kernelIi19rocblas_complex_numIfELi16ELi32ELi8ELi1ELi1ELb0ELc84ELc85EKS1_S1_EviT_PT9_S3_lS5_S3_lPT10_S3_li
		.amdhsa_group_segment_fixed_size 4096
		.amdhsa_private_segment_fixed_size 0
		.amdhsa_kernarg_size 84
		.amdhsa_user_sgpr_count 6
		.amdhsa_user_sgpr_private_segment_buffer 1
		.amdhsa_user_sgpr_dispatch_ptr 0
		.amdhsa_user_sgpr_queue_ptr 0
		.amdhsa_user_sgpr_kernarg_segment_ptr 1
		.amdhsa_user_sgpr_dispatch_id 0
		.amdhsa_user_sgpr_flat_scratch_init 0
		.amdhsa_user_sgpr_private_segment_size 0
		.amdhsa_uses_dynamic_stack 0
		.amdhsa_system_sgpr_private_segment_wavefront_offset 0
		.amdhsa_system_sgpr_workgroup_id_x 1
		.amdhsa_system_sgpr_workgroup_id_y 1
		.amdhsa_system_sgpr_workgroup_id_z 1
		.amdhsa_system_sgpr_workgroup_info 0
		.amdhsa_system_vgpr_workitem_id 1
		.amdhsa_next_free_vgpr 41
		.amdhsa_next_free_sgpr 22
		.amdhsa_reserve_vcc 1
		.amdhsa_reserve_flat_scratch 0
		.amdhsa_float_round_mode_32 0
		.amdhsa_float_round_mode_16_64 0
		.amdhsa_float_denorm_mode_32 3
		.amdhsa_float_denorm_mode_16_64 3
		.amdhsa_dx10_clamp 1
		.amdhsa_ieee_mode 1
		.amdhsa_fp16_overflow 0
		.amdhsa_exception_fp_ieee_invalid_op 0
		.amdhsa_exception_fp_denorm_src 0
		.amdhsa_exception_fp_ieee_div_zero 0
		.amdhsa_exception_fp_ieee_overflow 0
		.amdhsa_exception_fp_ieee_underflow 0
		.amdhsa_exception_fp_ieee_inexact 0
		.amdhsa_exception_int_div_zero 0
	.end_amdhsa_kernel
	.section	.text._ZL37rocblas_syrkx_herkx_restricted_kernelIi19rocblas_complex_numIfELi16ELi32ELi8ELi1ELi1ELb0ELc84ELc85EKS1_S1_EviT_PT9_S3_lS5_S3_lPT10_S3_li,"axG",@progbits,_ZL37rocblas_syrkx_herkx_restricted_kernelIi19rocblas_complex_numIfELi16ELi32ELi8ELi1ELi1ELb0ELc84ELc85EKS1_S1_EviT_PT9_S3_lS5_S3_lPT10_S3_li,comdat
.Lfunc_end159:
	.size	_ZL37rocblas_syrkx_herkx_restricted_kernelIi19rocblas_complex_numIfELi16ELi32ELi8ELi1ELi1ELb0ELc84ELc85EKS1_S1_EviT_PT9_S3_lS5_S3_lPT10_S3_li, .Lfunc_end159-_ZL37rocblas_syrkx_herkx_restricted_kernelIi19rocblas_complex_numIfELi16ELi32ELi8ELi1ELi1ELb0ELc84ELc85EKS1_S1_EviT_PT9_S3_lS5_S3_lPT10_S3_li
                                        ; -- End function
	.set _ZL37rocblas_syrkx_herkx_restricted_kernelIi19rocblas_complex_numIfELi16ELi32ELi8ELi1ELi1ELb0ELc84ELc85EKS1_S1_EviT_PT9_S3_lS5_S3_lPT10_S3_li.num_vgpr, 41
	.set _ZL37rocblas_syrkx_herkx_restricted_kernelIi19rocblas_complex_numIfELi16ELi32ELi8ELi1ELi1ELb0ELc84ELc85EKS1_S1_EviT_PT9_S3_lS5_S3_lPT10_S3_li.num_agpr, 0
	.set _ZL37rocblas_syrkx_herkx_restricted_kernelIi19rocblas_complex_numIfELi16ELi32ELi8ELi1ELi1ELb0ELc84ELc85EKS1_S1_EviT_PT9_S3_lS5_S3_lPT10_S3_li.numbered_sgpr, 22
	.set _ZL37rocblas_syrkx_herkx_restricted_kernelIi19rocblas_complex_numIfELi16ELi32ELi8ELi1ELi1ELb0ELc84ELc85EKS1_S1_EviT_PT9_S3_lS5_S3_lPT10_S3_li.num_named_barrier, 0
	.set _ZL37rocblas_syrkx_herkx_restricted_kernelIi19rocblas_complex_numIfELi16ELi32ELi8ELi1ELi1ELb0ELc84ELc85EKS1_S1_EviT_PT9_S3_lS5_S3_lPT10_S3_li.private_seg_size, 0
	.set _ZL37rocblas_syrkx_herkx_restricted_kernelIi19rocblas_complex_numIfELi16ELi32ELi8ELi1ELi1ELb0ELc84ELc85EKS1_S1_EviT_PT9_S3_lS5_S3_lPT10_S3_li.uses_vcc, 1
	.set _ZL37rocblas_syrkx_herkx_restricted_kernelIi19rocblas_complex_numIfELi16ELi32ELi8ELi1ELi1ELb0ELc84ELc85EKS1_S1_EviT_PT9_S3_lS5_S3_lPT10_S3_li.uses_flat_scratch, 0
	.set _ZL37rocblas_syrkx_herkx_restricted_kernelIi19rocblas_complex_numIfELi16ELi32ELi8ELi1ELi1ELb0ELc84ELc85EKS1_S1_EviT_PT9_S3_lS5_S3_lPT10_S3_li.has_dyn_sized_stack, 0
	.set _ZL37rocblas_syrkx_herkx_restricted_kernelIi19rocblas_complex_numIfELi16ELi32ELi8ELi1ELi1ELb0ELc84ELc85EKS1_S1_EviT_PT9_S3_lS5_S3_lPT10_S3_li.has_recursion, 0
	.set _ZL37rocblas_syrkx_herkx_restricted_kernelIi19rocblas_complex_numIfELi16ELi32ELi8ELi1ELi1ELb0ELc84ELc85EKS1_S1_EviT_PT9_S3_lS5_S3_lPT10_S3_li.has_indirect_call, 0
	.section	.AMDGPU.csdata,"",@progbits
; Kernel info:
; codeLenInByte = 1960
; TotalNumSgprs: 26
; NumVgprs: 41
; ScratchSize: 0
; MemoryBound: 0
; FloatMode: 240
; IeeeMode: 1
; LDSByteSize: 4096 bytes/workgroup (compile time only)
; SGPRBlocks: 3
; VGPRBlocks: 10
; NumSGPRsForWavesPerEU: 26
; NumVGPRsForWavesPerEU: 41
; Occupancy: 5
; WaveLimiterHint : 0
; COMPUTE_PGM_RSRC2:SCRATCH_EN: 0
; COMPUTE_PGM_RSRC2:USER_SGPR: 6
; COMPUTE_PGM_RSRC2:TRAP_HANDLER: 0
; COMPUTE_PGM_RSRC2:TGID_X_EN: 1
; COMPUTE_PGM_RSRC2:TGID_Y_EN: 1
; COMPUTE_PGM_RSRC2:TGID_Z_EN: 1
; COMPUTE_PGM_RSRC2:TIDIG_COMP_CNT: 1
	.section	.text._ZL37rocblas_syrkx_herkx_restricted_kernelIi19rocblas_complex_numIfELi16ELi32ELi8ELi1ELi1ELb0ELc67ELc85EKS1_S1_EviT_PT9_S3_lS5_S3_lPT10_S3_li,"axG",@progbits,_ZL37rocblas_syrkx_herkx_restricted_kernelIi19rocblas_complex_numIfELi16ELi32ELi8ELi1ELi1ELb0ELc67ELc85EKS1_S1_EviT_PT9_S3_lS5_S3_lPT10_S3_li,comdat
	.globl	_ZL37rocblas_syrkx_herkx_restricted_kernelIi19rocblas_complex_numIfELi16ELi32ELi8ELi1ELi1ELb0ELc67ELc85EKS1_S1_EviT_PT9_S3_lS5_S3_lPT10_S3_li ; -- Begin function _ZL37rocblas_syrkx_herkx_restricted_kernelIi19rocblas_complex_numIfELi16ELi32ELi8ELi1ELi1ELb0ELc67ELc85EKS1_S1_EviT_PT9_S3_lS5_S3_lPT10_S3_li
	.p2align	8
	.type	_ZL37rocblas_syrkx_herkx_restricted_kernelIi19rocblas_complex_numIfELi16ELi32ELi8ELi1ELi1ELb0ELc67ELc85EKS1_S1_EviT_PT9_S3_lS5_S3_lPT10_S3_li,@function
_ZL37rocblas_syrkx_herkx_restricted_kernelIi19rocblas_complex_numIfELi16ELi32ELi8ELi1ELi1ELb0ELc67ELc85EKS1_S1_EviT_PT9_S3_lS5_S3_lPT10_S3_li: ; @_ZL37rocblas_syrkx_herkx_restricted_kernelIi19rocblas_complex_numIfELi16ELi32ELi8ELi1ELi1ELb0ELc67ELc85EKS1_S1_EviT_PT9_S3_lS5_S3_lPT10_S3_li
; %bb.0:
	s_load_dwordx2 s[10:11], s[4:5], 0x0
	s_load_dwordx4 s[0:3], s[4:5], 0x30
	s_lshl_b32 s6, s6, 5
	s_lshl_b32 s7, s7, 5
	s_mov_b32 s9, 0
	s_waitcnt lgkmcnt(0)
	s_cmp_lt_i32 s11, 1
	s_cbranch_scc1 .LBB160_3
; %bb.1:
	v_lshl_add_u32 v4, v1, 4, v0
	v_and_b32_e32 v7, 31, v4
	s_load_dwordx2 s[16:17], s[4:5], 0x8
	s_load_dword s20, s[4:5], 0x10
	s_load_dwordx4 s[12:15], s[4:5], 0x18
	s_load_dword s18, s[4:5], 0x28
	v_lshrrev_b32_e32 v6, 3, v4
	v_and_b32_e32 v9, 7, v0
	v_lshrrev_b32_e32 v4, 5, v4
	v_lshlrev_b32_e32 v8, 3, v7
	v_lshl_or_b32 v11, v4, 8, v8
	v_lshlrev_b32_e32 v8, 3, v9
	v_add_u32_e32 v2, s7, v6
	v_lshl_or_b32 v6, v6, 6, v8
	v_mov_b32_e32 v10, 0
	v_add_u32_e32 v12, 0x800, v6
	v_mov_b32_e32 v6, 0x800
	v_mov_b32_e32 v5, v10
	v_lshl_add_u32 v14, v1, 6, v6
	v_add_u32_e32 v6, s6, v7
	s_waitcnt lgkmcnt(0)
	v_mad_i64_i32 v[2:3], s[18:19], s18, v2, v[9:10]
	v_mad_i64_i32 v[4:5], s[18:19], s20, v6, v[4:5]
	s_mul_i32 s13, s13, s8
	s_mul_hi_u32 s21, s12, s8
	s_add_i32 s13, s21, s13
	s_mul_i32 s12, s12, s8
	s_lshl_b64 s[12:13], s[12:13], 3
	v_lshlrev_b64 v[4:5], 3, v[4:5]
	s_add_u32 s12, s16, s12
	s_addc_u32 s13, s17, s13
	v_add_co_u32_e32 v4, vcc, s12, v4
	s_mul_i32 s1, s1, s8
	s_mul_hi_u32 s12, s0, s8
	v_mov_b32_e32 v6, s13
	s_add_i32 s1, s12, s1
	s_mul_i32 s0, s0, s8
	v_addc_co_u32_e32 v5, vcc, v6, v5, vcc
	s_lshl_b64 s[0:1], s[0:1], 3
	v_add_co_u32_e32 v6, vcc, 4, v4
	v_lshlrev_b64 v[2:3], 3, v[2:3]
	s_add_u32 s0, s14, s0
	v_addc_co_u32_e32 v7, vcc, 0, v5, vcc
	s_addc_u32 s1, s15, s1
	v_mov_b32_e32 v4, s1
	v_add_co_u32_e32 v2, vcc, s0, v2
	v_addc_co_u32_e32 v3, vcc, v4, v3, vcc
	v_add_co_u32_e32 v8, vcc, 4, v2
	v_lshlrev_b32_e32 v13, 3, v0
	v_addc_co_u32_e32 v9, vcc, 0, v3, vcc
	v_mov_b32_e32 v15, v10
	v_mov_b32_e32 v16, v10
	;; [unrolled: 1-line block ×7, first 2 shown]
.LBB160_2:                              ; =>This Inner Loop Header: Depth=1
	global_load_dwordx2 v[2:3], v[6:7], off offset:-4
	v_add_co_u32_e32 v6, vcc, 64, v6
	v_addc_co_u32_e32 v7, vcc, 0, v7, vcc
	s_add_i32 s9, s9, 8
	s_cmp_ge_i32 s9, s11
	s_waitcnt vmcnt(0)
	ds_write_b64 v11, v[2:3]
	global_load_dwordx2 v[2:3], v[8:9], off offset:-4
	v_add_co_u32_e32 v8, vcc, 64, v8
	v_addc_co_u32_e32 v9, vcc, 0, v9, vcc
	s_waitcnt vmcnt(0)
	ds_write_b64 v12, v[2:3]
	s_waitcnt lgkmcnt(0)
	s_barrier
	ds_read_b128 v[22:25], v14
	ds_read_b128 v[26:29], v14 offset:16
	ds_read_b128 v[30:33], v14 offset:32
	;; [unrolled: 1-line block ×3, first 2 shown]
	ds_read2_b64 v[34:37], v13 offset1:16
	s_waitcnt lgkmcnt(0)
	v_mul_f32_e32 v38, v23, v35
	v_mul_f32_e32 v39, v22, v35
	v_fma_f32 v38, v22, v34, -v38
	v_fmac_f32_e32 v39, v23, v34
	v_add_f32_e32 v38, v20, v38
	v_add_f32_e32 v39, v21, v39
	v_mul_f32_e32 v20, v23, v37
	v_mul_f32_e32 v21, v22, v37
	v_fma_f32 v20, v22, v36, -v20
	v_fmac_f32_e32 v21, v23, v36
	v_add_f32_e32 v22, v19, v20
	v_add_f32_e32 v23, v18, v21
	ds_read_b128 v[18:21], v14 offset:1024
	s_waitcnt lgkmcnt(0)
	v_mul_f32_e32 v40, v19, v35
	v_mul_f32_e32 v35, v18, v35
	v_fma_f32 v40, v18, v34, -v40
	v_fmac_f32_e32 v35, v19, v34
	v_add_f32_e32 v34, v17, v40
	v_add_f32_e32 v35, v16, v35
	v_mul_f32_e32 v16, v19, v37
	v_mul_f32_e32 v17, v18, v37
	v_fma_f32 v16, v18, v36, -v16
	v_fmac_f32_e32 v17, v19, v36
	v_add_f32_e32 v19, v15, v16
	v_add_f32_e32 v10, v10, v17
	ds_read2_b64 v[15:18], v13 offset0:32 offset1:48
	s_waitcnt lgkmcnt(0)
	v_mul_f32_e32 v36, v25, v16
	v_fma_f32 v36, v24, v15, -v36
	v_add_f32_e32 v36, v38, v36
	v_mul_f32_e32 v38, v25, v18
	v_mul_f32_e32 v37, v24, v16
	v_fma_f32 v38, v24, v17, -v38
	v_mul_f32_e32 v24, v24, v18
	v_fmac_f32_e32 v24, v25, v17
	v_add_f32_e32 v23, v23, v24
	v_mul_f32_e32 v24, v21, v16
	v_mul_f32_e32 v16, v20, v16
	v_fmac_f32_e32 v16, v21, v15
	v_fmac_f32_e32 v37, v25, v15
	v_fma_f32 v24, v20, v15, -v24
	v_add_f32_e32 v25, v35, v16
	v_mul_f32_e32 v15, v21, v18
	v_mul_f32_e32 v16, v20, v18
	v_fma_f32 v15, v20, v17, -v15
	v_fmac_f32_e32 v16, v21, v17
	v_add_f32_e32 v24, v34, v24
	v_add_f32_e32 v34, v19, v15
	;; [unrolled: 1-line block ×3, first 2 shown]
	ds_read2_b64 v[15:18], v13 offset0:64 offset1:80
	v_add_f32_e32 v37, v39, v37
	v_add_f32_e32 v22, v22, v38
	s_waitcnt lgkmcnt(0)
	v_mul_f32_e32 v19, v27, v16
	v_mul_f32_e32 v20, v26, v16
	v_fma_f32 v19, v26, v15, -v19
	v_fmac_f32_e32 v20, v27, v15
	v_add_f32_e32 v35, v36, v19
	v_add_f32_e32 v36, v37, v20
	v_mul_f32_e32 v19, v27, v18
	v_mul_f32_e32 v20, v26, v18
	v_fma_f32 v19, v26, v17, -v19
	v_fmac_f32_e32 v20, v27, v17
	v_add_f32_e32 v26, v22, v19
	v_add_f32_e32 v23, v23, v20
	ds_read_b128 v[19:22], v14 offset:1040
	s_waitcnt lgkmcnt(0)
	v_mul_f32_e32 v27, v20, v16
	v_mul_f32_e32 v16, v19, v16
	v_fmac_f32_e32 v16, v20, v15
	v_fma_f32 v27, v19, v15, -v27
	v_add_f32_e32 v25, v25, v16
	v_mul_f32_e32 v15, v20, v18
	v_mul_f32_e32 v16, v19, v18
	v_fma_f32 v15, v19, v17, -v15
	v_fmac_f32_e32 v16, v20, v17
	v_add_f32_e32 v19, v34, v15
	v_add_f32_e32 v10, v10, v16
	ds_read2_b64 v[15:18], v13 offset0:96 offset1:112
	v_add_f32_e32 v24, v24, v27
	s_waitcnt lgkmcnt(0)
	v_mul_f32_e32 v20, v29, v16
	v_mul_f32_e32 v34, v29, v18
	v_fma_f32 v20, v28, v15, -v20
	v_mul_f32_e32 v27, v28, v16
	v_fma_f32 v34, v28, v17, -v34
	v_mul_f32_e32 v28, v28, v18
	v_fmac_f32_e32 v28, v29, v17
	v_add_f32_e32 v23, v23, v28
	v_mul_f32_e32 v28, v22, v16
	v_mul_f32_e32 v16, v21, v16
	v_fmac_f32_e32 v16, v22, v15
	v_fmac_f32_e32 v27, v29, v15
	v_fma_f32 v28, v21, v15, -v28
	v_add_f32_e32 v25, v25, v16
	v_mul_f32_e32 v15, v22, v18
	v_mul_f32_e32 v16, v21, v18
	v_fma_f32 v15, v21, v17, -v15
	v_fmac_f32_e32 v16, v22, v17
	v_add_f32_e32 v24, v24, v28
	v_add_f32_e32 v28, v19, v15
	;; [unrolled: 1-line block ×3, first 2 shown]
	ds_read2_b64 v[15:18], v13 offset0:128 offset1:144
	v_add_f32_e32 v20, v35, v20
	v_add_f32_e32 v27, v36, v27
	;; [unrolled: 1-line block ×3, first 2 shown]
	s_waitcnt lgkmcnt(0)
	v_mul_f32_e32 v19, v31, v16
	v_fma_f32 v19, v30, v15, -v19
	v_mul_f32_e32 v21, v30, v16
	v_add_f32_e32 v29, v20, v19
	v_mul_f32_e32 v19, v31, v18
	v_mul_f32_e32 v20, v30, v18
	v_fmac_f32_e32 v21, v31, v15
	v_fma_f32 v19, v30, v17, -v19
	v_fmac_f32_e32 v20, v31, v17
	v_add_f32_e32 v27, v27, v21
	v_add_f32_e32 v26, v26, v19
	;; [unrolled: 1-line block ×3, first 2 shown]
	ds_read_b128 v[19:22], v14 offset:1056
	s_waitcnt lgkmcnt(0)
	v_mul_f32_e32 v30, v20, v16
	v_mul_f32_e32 v16, v19, v16
	v_fmac_f32_e32 v16, v20, v15
	v_fma_f32 v30, v19, v15, -v30
	v_add_f32_e32 v25, v25, v16
	v_mul_f32_e32 v15, v20, v18
	v_mul_f32_e32 v16, v19, v18
	v_fma_f32 v15, v19, v17, -v15
	v_fmac_f32_e32 v16, v20, v17
	v_add_f32_e32 v19, v28, v15
	v_add_f32_e32 v10, v10, v16
	ds_read2_b64 v[15:18], v13 offset0:160 offset1:176
	v_add_f32_e32 v24, v24, v30
	s_waitcnt lgkmcnt(0)
	v_mul_f32_e32 v28, v32, v16
	v_fmac_f32_e32 v28, v33, v15
	v_add_f32_e32 v27, v27, v28
	v_mul_f32_e32 v28, v33, v18
	v_fma_f32 v28, v32, v17, -v28
	v_mul_f32_e32 v20, v33, v16
	v_add_f32_e32 v26, v26, v28
	v_mul_f32_e32 v28, v22, v16
	v_mul_f32_e32 v16, v21, v16
	v_fmac_f32_e32 v16, v22, v15
	v_fma_f32 v20, v32, v15, -v20
	v_fma_f32 v28, v21, v15, -v28
	v_add_f32_e32 v25, v25, v16
	v_mul_f32_e32 v15, v22, v18
	v_mul_f32_e32 v16, v21, v18
	v_add_f32_e32 v20, v29, v20
	v_mul_f32_e32 v29, v32, v18
	v_fma_f32 v15, v21, v17, -v15
	v_fmac_f32_e32 v16, v22, v17
	v_fmac_f32_e32 v29, v33, v17
	v_add_f32_e32 v19, v19, v15
	v_add_f32_e32 v10, v10, v16
	ds_read2_b64 v[15:18], v13 offset0:192 offset1:208
	v_add_f32_e32 v24, v24, v28
	v_add_f32_e32 v23, v23, v29
	s_waitcnt lgkmcnt(0)
	v_mul_f32_e32 v21, v3, v16
	v_fma_f32 v21, v2, v15, -v21
	v_add_f32_e32 v28, v20, v21
	v_mul_f32_e32 v20, v3, v18
	v_mul_f32_e32 v22, v2, v16
	v_fma_f32 v20, v2, v17, -v20
	v_mul_f32_e32 v2, v2, v18
	v_fmac_f32_e32 v22, v3, v15
	v_fmac_f32_e32 v2, v3, v17
	v_add_f32_e32 v29, v27, v22
	v_add_f32_e32 v3, v26, v20
	;; [unrolled: 1-line block ×3, first 2 shown]
	ds_read_b128 v[20:23], v14 offset:1072
	s_waitcnt lgkmcnt(0)
	v_mul_f32_e32 v26, v21, v16
	v_fma_f32 v26, v20, v15, -v26
	v_mul_f32_e32 v16, v20, v16
	v_fmac_f32_e32 v16, v21, v15
	v_add_f32_e32 v15, v24, v26
	v_mul_f32_e32 v24, v21, v18
	v_fma_f32 v24, v20, v17, -v24
	v_add_f32_e32 v16, v25, v16
	v_add_f32_e32 v30, v19, v24
	ds_read2_b64 v[24:27], v13 offset0:224 offset1:240
	v_mul_f32_e32 v18, v20, v18
	v_fmac_f32_e32 v18, v21, v17
	v_add_f32_e32 v10, v10, v18
	s_waitcnt lgkmcnt(0)
	v_mul_f32_e32 v17, v5, v25
	v_fma_f32 v17, v4, v24, -v17
	v_add_f32_e32 v20, v28, v17
	v_mul_f32_e32 v17, v5, v27
	v_mul_f32_e32 v18, v4, v25
	v_fma_f32 v17, v4, v26, -v17
	v_mul_f32_e32 v4, v4, v27
	v_fmac_f32_e32 v18, v5, v24
	v_fmac_f32_e32 v4, v5, v26
	v_add_f32_e32 v21, v29, v18
	v_add_f32_e32 v19, v3, v17
	;; [unrolled: 1-line block ×3, first 2 shown]
	v_mul_f32_e32 v2, v23, v25
	v_mul_f32_e32 v3, v22, v25
	v_fma_f32 v2, v22, v24, -v2
	v_fmac_f32_e32 v3, v23, v24
	v_add_f32_e32 v17, v15, v2
	v_add_f32_e32 v16, v16, v3
	v_mul_f32_e32 v2, v23, v27
	v_mul_f32_e32 v3, v22, v27
	v_fma_f32 v2, v22, v26, -v2
	v_fmac_f32_e32 v3, v23, v26
	v_add_f32_e32 v15, v30, v2
	v_add_f32_e32 v10, v10, v3
	s_barrier
	s_cbranch_scc0 .LBB160_2
	s_branch .LBB160_4
.LBB160_3:
	v_mov_b32_e32 v20, 0
	v_mov_b32_e32 v21, 0
	;; [unrolled: 1-line block ×8, first 2 shown]
.LBB160_4:
	s_load_dwordx2 s[0:1], s[4:5], 0x48
	s_load_dword s9, s[4:5], 0x40
	v_add_u32_e32 v4, s7, v1
	v_add_u32_e32 v0, s6, v0
	v_cmp_gt_i32_e32 vcc, s10, v4
	s_waitcnt lgkmcnt(0)
	s_mul_i32 s1, s1, s8
	v_mad_i64_i32 v[1:2], s[12:13], v4, s9, 0
	s_mul_hi_u32 s4, s0, s8
	s_mul_i32 s0, s0, s8
	s_add_i32 s1, s4, s1
	s_lshl_b64 s[0:1], s[0:1], 3
	s_add_u32 s4, s2, s0
	v_lshlrev_b64 v[1:2], 3, v[1:2]
	s_addc_u32 s5, s3, s1
	v_mov_b32_e32 v3, s5
	v_add_co_u32_e64 v5, s[0:1], s4, v1
	v_addc_co_u32_e64 v6, s[0:1], v3, v2, s[0:1]
	v_cmp_le_i32_e64 s[0:1], v0, v4
	s_and_b64 s[0:1], vcc, s[0:1]
	s_and_saveexec_b64 s[2:3], s[0:1]
	s_cbranch_execz .LBB160_6
; %bb.5:
	v_ashrrev_i32_e32 v1, 31, v0
	v_lshlrev_b64 v[1:2], 3, v[0:1]
	v_add_co_u32_e64 v1, s[0:1], v5, v1
	v_addc_co_u32_e64 v2, s[0:1], v6, v2, s[0:1]
	global_load_dwordx2 v[7:8], v[1:2], off
	s_waitcnt vmcnt(0)
	v_add_f32_e32 v7, v20, v7
	v_add_f32_e32 v8, v21, v8
	global_store_dwordx2 v[1:2], v[7:8], off
.LBB160_6:
	s_or_b64 exec, exec, s[2:3]
	v_add_u32_e32 v2, 16, v0
	v_cmp_le_i32_e64 s[0:1], v2, v4
	s_and_b64 s[2:3], vcc, s[0:1]
	s_and_saveexec_b64 s[0:1], s[2:3]
	s_cbranch_execz .LBB160_8
; %bb.7:
	v_ashrrev_i32_e32 v3, 31, v2
	v_lshlrev_b64 v[7:8], 3, v[2:3]
	v_add_co_u32_e32 v5, vcc, v5, v7
	v_addc_co_u32_e32 v6, vcc, v6, v8, vcc
	global_load_dwordx2 v[7:8], v[5:6], off
	s_waitcnt vmcnt(0)
	v_add_f32_e32 v7, v19, v7
	v_add_f32_e32 v8, v18, v8
	global_store_dwordx2 v[5:6], v[7:8], off
.LBB160_8:
	s_or_b64 exec, exec, s[0:1]
	v_add_u32_e32 v3, 16, v4
	v_mad_i64_i32 v[4:5], s[0:1], v3, s9, 0
	v_mov_b32_e32 v1, s5
	v_cmp_gt_i32_e32 vcc, s10, v3
	v_lshlrev_b64 v[4:5], 3, v[4:5]
	v_add_co_u32_e64 v4, s[0:1], s4, v4
	v_addc_co_u32_e64 v5, s[0:1], v1, v5, s[0:1]
	v_cmp_le_i32_e64 s[0:1], v0, v3
	s_and_b64 s[0:1], vcc, s[0:1]
	s_and_saveexec_b64 s[2:3], s[0:1]
	s_cbranch_execz .LBB160_10
; %bb.9:
	v_ashrrev_i32_e32 v1, 31, v0
	v_lshlrev_b64 v[0:1], 3, v[0:1]
	v_add_co_u32_e64 v0, s[0:1], v4, v0
	v_addc_co_u32_e64 v1, s[0:1], v5, v1, s[0:1]
	global_load_dwordx2 v[6:7], v[0:1], off
	s_waitcnt vmcnt(0)
	v_add_f32_e32 v6, v17, v6
	v_add_f32_e32 v7, v16, v7
	global_store_dwordx2 v[0:1], v[6:7], off
.LBB160_10:
	s_or_b64 exec, exec, s[2:3]
	v_cmp_le_i32_e64 s[0:1], v2, v3
	s_and_b64 s[0:1], vcc, s[0:1]
	s_and_saveexec_b64 s[2:3], s[0:1]
	s_cbranch_execz .LBB160_12
; %bb.11:
	v_ashrrev_i32_e32 v3, 31, v2
	v_lshlrev_b64 v[0:1], 3, v[2:3]
	v_add_co_u32_e32 v0, vcc, v4, v0
	v_addc_co_u32_e32 v1, vcc, v5, v1, vcc
	global_load_dwordx2 v[2:3], v[0:1], off
	s_waitcnt vmcnt(0)
	v_add_f32_e32 v2, v15, v2
	v_add_f32_e32 v3, v10, v3
	global_store_dwordx2 v[0:1], v[2:3], off
.LBB160_12:
	s_endpgm
	.section	.rodata,"a",@progbits
	.p2align	6, 0x0
	.amdhsa_kernel _ZL37rocblas_syrkx_herkx_restricted_kernelIi19rocblas_complex_numIfELi16ELi32ELi8ELi1ELi1ELb0ELc67ELc85EKS1_S1_EviT_PT9_S3_lS5_S3_lPT10_S3_li
		.amdhsa_group_segment_fixed_size 4096
		.amdhsa_private_segment_fixed_size 0
		.amdhsa_kernarg_size 84
		.amdhsa_user_sgpr_count 6
		.amdhsa_user_sgpr_private_segment_buffer 1
		.amdhsa_user_sgpr_dispatch_ptr 0
		.amdhsa_user_sgpr_queue_ptr 0
		.amdhsa_user_sgpr_kernarg_segment_ptr 1
		.amdhsa_user_sgpr_dispatch_id 0
		.amdhsa_user_sgpr_flat_scratch_init 0
		.amdhsa_user_sgpr_private_segment_size 0
		.amdhsa_uses_dynamic_stack 0
		.amdhsa_system_sgpr_private_segment_wavefront_offset 0
		.amdhsa_system_sgpr_workgroup_id_x 1
		.amdhsa_system_sgpr_workgroup_id_y 1
		.amdhsa_system_sgpr_workgroup_id_z 1
		.amdhsa_system_sgpr_workgroup_info 0
		.amdhsa_system_vgpr_workitem_id 1
		.amdhsa_next_free_vgpr 41
		.amdhsa_next_free_sgpr 22
		.amdhsa_reserve_vcc 1
		.amdhsa_reserve_flat_scratch 0
		.amdhsa_float_round_mode_32 0
		.amdhsa_float_round_mode_16_64 0
		.amdhsa_float_denorm_mode_32 3
		.amdhsa_float_denorm_mode_16_64 3
		.amdhsa_dx10_clamp 1
		.amdhsa_ieee_mode 1
		.amdhsa_fp16_overflow 0
		.amdhsa_exception_fp_ieee_invalid_op 0
		.amdhsa_exception_fp_denorm_src 0
		.amdhsa_exception_fp_ieee_div_zero 0
		.amdhsa_exception_fp_ieee_overflow 0
		.amdhsa_exception_fp_ieee_underflow 0
		.amdhsa_exception_fp_ieee_inexact 0
		.amdhsa_exception_int_div_zero 0
	.end_amdhsa_kernel
	.section	.text._ZL37rocblas_syrkx_herkx_restricted_kernelIi19rocblas_complex_numIfELi16ELi32ELi8ELi1ELi1ELb0ELc67ELc85EKS1_S1_EviT_PT9_S3_lS5_S3_lPT10_S3_li,"axG",@progbits,_ZL37rocblas_syrkx_herkx_restricted_kernelIi19rocblas_complex_numIfELi16ELi32ELi8ELi1ELi1ELb0ELc67ELc85EKS1_S1_EviT_PT9_S3_lS5_S3_lPT10_S3_li,comdat
.Lfunc_end160:
	.size	_ZL37rocblas_syrkx_herkx_restricted_kernelIi19rocblas_complex_numIfELi16ELi32ELi8ELi1ELi1ELb0ELc67ELc85EKS1_S1_EviT_PT9_S3_lS5_S3_lPT10_S3_li, .Lfunc_end160-_ZL37rocblas_syrkx_herkx_restricted_kernelIi19rocblas_complex_numIfELi16ELi32ELi8ELi1ELi1ELb0ELc67ELc85EKS1_S1_EviT_PT9_S3_lS5_S3_lPT10_S3_li
                                        ; -- End function
	.set _ZL37rocblas_syrkx_herkx_restricted_kernelIi19rocblas_complex_numIfELi16ELi32ELi8ELi1ELi1ELb0ELc67ELc85EKS1_S1_EviT_PT9_S3_lS5_S3_lPT10_S3_li.num_vgpr, 41
	.set _ZL37rocblas_syrkx_herkx_restricted_kernelIi19rocblas_complex_numIfELi16ELi32ELi8ELi1ELi1ELb0ELc67ELc85EKS1_S1_EviT_PT9_S3_lS5_S3_lPT10_S3_li.num_agpr, 0
	.set _ZL37rocblas_syrkx_herkx_restricted_kernelIi19rocblas_complex_numIfELi16ELi32ELi8ELi1ELi1ELb0ELc67ELc85EKS1_S1_EviT_PT9_S3_lS5_S3_lPT10_S3_li.numbered_sgpr, 22
	.set _ZL37rocblas_syrkx_herkx_restricted_kernelIi19rocblas_complex_numIfELi16ELi32ELi8ELi1ELi1ELb0ELc67ELc85EKS1_S1_EviT_PT9_S3_lS5_S3_lPT10_S3_li.num_named_barrier, 0
	.set _ZL37rocblas_syrkx_herkx_restricted_kernelIi19rocblas_complex_numIfELi16ELi32ELi8ELi1ELi1ELb0ELc67ELc85EKS1_S1_EviT_PT9_S3_lS5_S3_lPT10_S3_li.private_seg_size, 0
	.set _ZL37rocblas_syrkx_herkx_restricted_kernelIi19rocblas_complex_numIfELi16ELi32ELi8ELi1ELi1ELb0ELc67ELc85EKS1_S1_EviT_PT9_S3_lS5_S3_lPT10_S3_li.uses_vcc, 1
	.set _ZL37rocblas_syrkx_herkx_restricted_kernelIi19rocblas_complex_numIfELi16ELi32ELi8ELi1ELi1ELb0ELc67ELc85EKS1_S1_EviT_PT9_S3_lS5_S3_lPT10_S3_li.uses_flat_scratch, 0
	.set _ZL37rocblas_syrkx_herkx_restricted_kernelIi19rocblas_complex_numIfELi16ELi32ELi8ELi1ELi1ELb0ELc67ELc85EKS1_S1_EviT_PT9_S3_lS5_S3_lPT10_S3_li.has_dyn_sized_stack, 0
	.set _ZL37rocblas_syrkx_herkx_restricted_kernelIi19rocblas_complex_numIfELi16ELi32ELi8ELi1ELi1ELb0ELc67ELc85EKS1_S1_EviT_PT9_S3_lS5_S3_lPT10_S3_li.has_recursion, 0
	.set _ZL37rocblas_syrkx_herkx_restricted_kernelIi19rocblas_complex_numIfELi16ELi32ELi8ELi1ELi1ELb0ELc67ELc85EKS1_S1_EviT_PT9_S3_lS5_S3_lPT10_S3_li.has_indirect_call, 0
	.section	.AMDGPU.csdata,"",@progbits
; Kernel info:
; codeLenInByte = 1960
; TotalNumSgprs: 26
; NumVgprs: 41
; ScratchSize: 0
; MemoryBound: 0
; FloatMode: 240
; IeeeMode: 1
; LDSByteSize: 4096 bytes/workgroup (compile time only)
; SGPRBlocks: 3
; VGPRBlocks: 10
; NumSGPRsForWavesPerEU: 26
; NumVGPRsForWavesPerEU: 41
; Occupancy: 5
; WaveLimiterHint : 0
; COMPUTE_PGM_RSRC2:SCRATCH_EN: 0
; COMPUTE_PGM_RSRC2:USER_SGPR: 6
; COMPUTE_PGM_RSRC2:TRAP_HANDLER: 0
; COMPUTE_PGM_RSRC2:TGID_X_EN: 1
; COMPUTE_PGM_RSRC2:TGID_Y_EN: 1
; COMPUTE_PGM_RSRC2:TGID_Z_EN: 1
; COMPUTE_PGM_RSRC2:TIDIG_COMP_CNT: 1
	.section	.text._ZL37rocblas_syrkx_herkx_restricted_kernelIi19rocblas_complex_numIfELi16ELi32ELi8ELi1ELi1ELb0ELc78ELc85EKS1_S1_EviT_PT9_S3_lS5_S3_lPT10_S3_li,"axG",@progbits,_ZL37rocblas_syrkx_herkx_restricted_kernelIi19rocblas_complex_numIfELi16ELi32ELi8ELi1ELi1ELb0ELc78ELc85EKS1_S1_EviT_PT9_S3_lS5_S3_lPT10_S3_li,comdat
	.globl	_ZL37rocblas_syrkx_herkx_restricted_kernelIi19rocblas_complex_numIfELi16ELi32ELi8ELi1ELi1ELb0ELc78ELc85EKS1_S1_EviT_PT9_S3_lS5_S3_lPT10_S3_li ; -- Begin function _ZL37rocblas_syrkx_herkx_restricted_kernelIi19rocblas_complex_numIfELi16ELi32ELi8ELi1ELi1ELb0ELc78ELc85EKS1_S1_EviT_PT9_S3_lS5_S3_lPT10_S3_li
	.p2align	8
	.type	_ZL37rocblas_syrkx_herkx_restricted_kernelIi19rocblas_complex_numIfELi16ELi32ELi8ELi1ELi1ELb0ELc78ELc85EKS1_S1_EviT_PT9_S3_lS5_S3_lPT10_S3_li,@function
_ZL37rocblas_syrkx_herkx_restricted_kernelIi19rocblas_complex_numIfELi16ELi32ELi8ELi1ELi1ELb0ELc78ELc85EKS1_S1_EviT_PT9_S3_lS5_S3_lPT10_S3_li: ; @_ZL37rocblas_syrkx_herkx_restricted_kernelIi19rocblas_complex_numIfELi16ELi32ELi8ELi1ELi1ELb0ELc78ELc85EKS1_S1_EviT_PT9_S3_lS5_S3_lPT10_S3_li
; %bb.0:
	s_load_dwordx2 s[10:11], s[4:5], 0x0
	s_load_dwordx4 s[0:3], s[4:5], 0x30
	s_lshl_b32 s9, s6, 5
	s_lshl_b32 s16, s7, 5
	s_mov_b32 s17, 0
	s_waitcnt lgkmcnt(0)
	s_cmp_lt_i32 s11, 1
	s_cbranch_scc1 .LBB161_3
; %bb.1:
	v_lshl_add_u32 v5, v1, 4, v0
	s_load_dword s6, s[4:5], 0x10
	s_load_dword s18, s[4:5], 0x28
	s_load_dwordx2 s[20:21], s[4:5], 0x8
	s_load_dwordx4 s[12:15], s[4:5], 0x18
	v_lshrrev_b32_e32 v6, 3, v5
	v_add_u32_e32 v2, s16, v6
	v_and_b32_e32 v4, 7, v0
	v_ashrrev_i32_e32 v3, 31, v2
	s_waitcnt lgkmcnt(0)
	v_mad_i64_i32 v[2:3], s[22:23], s18, v4, v[2:3]
	v_lshlrev_b32_e32 v4, 3, v4
	v_lshl_or_b32 v4, v6, 6, v4
	v_lshrrev_b32_e32 v7, 5, v5
	v_and_b32_e32 v5, 31, v5
	v_add_u32_e32 v11, 0x800, v4
	v_mov_b32_e32 v4, 0x800
	v_lshl_add_u32 v13, v1, 6, v4
	v_add_u32_e32 v4, s9, v5
	v_lshlrev_b32_e32 v8, 3, v5
	v_ashrrev_i32_e32 v5, 31, v4
	v_mad_i64_i32 v[4:5], s[22:23], s6, v7, v[4:5]
	s_mul_i32 s13, s13, s8
	s_mul_hi_u32 s24, s12, s8
	s_add_i32 s13, s24, s13
	s_mul_i32 s12, s12, s8
	s_ashr_i32 s7, s6, 31
	s_ashr_i32 s19, s18, 31
	s_lshl_b64 s[12:13], s[12:13], 3
	v_lshlrev_b64 v[4:5], 3, v[4:5]
	s_add_u32 s12, s20, s12
	s_addc_u32 s13, s21, s13
	v_add_co_u32_e32 v4, vcc, s12, v4
	s_mul_i32 s1, s1, s8
	s_mul_hi_u32 s12, s0, s8
	v_mov_b32_e32 v6, s13
	s_add_i32 s1, s12, s1
	s_mul_i32 s0, s0, s8
	v_addc_co_u32_e32 v5, vcc, v6, v5, vcc
	s_lshl_b64 s[6:7], s[6:7], 6
	s_lshl_b64 s[0:1], s[0:1], 3
	v_add_co_u32_e32 v6, vcc, 4, v4
	v_lshlrev_b64 v[2:3], 3, v[2:3]
	s_add_u32 s0, s14, s0
	v_lshl_or_b32 v10, v7, 8, v8
	v_addc_co_u32_e32 v7, vcc, 0, v5, vcc
	s_addc_u32 s1, s15, s1
	v_mov_b32_e32 v4, s1
	v_add_co_u32_e32 v2, vcc, s0, v2
	v_addc_co_u32_e32 v3, vcc, v4, v3, vcc
	v_add_co_u32_e32 v8, vcc, 4, v2
	s_lshl_b64 s[0:1], s[18:19], 6
	v_lshlrev_b32_e32 v12, 3, v0
	v_addc_co_u32_e32 v9, vcc, 0, v3, vcc
	v_mov_b32_e32 v16, 0
	v_mov_b32_e32 v14, s7
	;; [unrolled: 1-line block ×10, first 2 shown]
.LBB161_2:                              ; =>This Inner Loop Header: Depth=1
	global_load_dwordx2 v[2:3], v[6:7], off offset:-4
	v_add_co_u32_e32 v6, vcc, s6, v6
	v_addc_co_u32_e32 v7, vcc, v7, v14, vcc
	s_add_i32 s17, s17, 8
	s_cmp_ge_i32 s17, s11
	s_waitcnt vmcnt(0)
	ds_write_b64 v10, v[2:3]
	global_load_dwordx2 v[2:3], v[8:9], off offset:-4
	v_add_co_u32_e32 v8, vcc, s0, v8
	v_addc_co_u32_e32 v9, vcc, v9, v15, vcc
	s_waitcnt vmcnt(0)
	ds_write_b64 v11, v[2:3]
	s_waitcnt lgkmcnt(0)
	s_barrier
	ds_read_b128 v[24:27], v13
	ds_read_b128 v[28:31], v13 offset:16
	ds_read_b128 v[32:35], v13 offset:32
	ds_read_b128 v[2:5], v13 offset:48
	ds_read2_b64 v[36:39], v12 offset1:16
	s_waitcnt lgkmcnt(0)
	v_mul_f32_e32 v40, v25, v37
	v_mul_f32_e32 v41, v24, v37
	v_fma_f32 v40, v24, v36, -v40
	v_fmac_f32_e32 v41, v25, v36
	v_add_f32_e32 v40, v22, v40
	v_add_f32_e32 v41, v23, v41
	v_mul_f32_e32 v22, v25, v39
	v_mul_f32_e32 v23, v24, v39
	v_fma_f32 v22, v24, v38, -v22
	v_fmac_f32_e32 v23, v25, v38
	v_add_f32_e32 v24, v21, v22
	v_add_f32_e32 v25, v20, v23
	ds_read_b128 v[20:23], v13 offset:1024
	s_waitcnt lgkmcnt(0)
	v_mul_f32_e32 v42, v21, v37
	v_mul_f32_e32 v37, v20, v37
	v_fma_f32 v42, v20, v36, -v42
	v_fmac_f32_e32 v37, v21, v36
	v_add_f32_e32 v36, v19, v42
	v_add_f32_e32 v37, v18, v37
	v_mul_f32_e32 v18, v21, v39
	v_mul_f32_e32 v19, v20, v39
	v_fma_f32 v18, v20, v38, -v18
	v_fmac_f32_e32 v19, v21, v38
	v_add_f32_e32 v20, v17, v18
	v_add_f32_e32 v21, v16, v19
	ds_read2_b64 v[16:19], v12 offset0:32 offset1:48
	s_waitcnt lgkmcnt(0)
	v_mul_f32_e32 v38, v27, v17
	v_fma_f32 v38, v26, v16, -v38
	v_add_f32_e32 v38, v40, v38
	v_mul_f32_e32 v40, v27, v19
	v_mul_f32_e32 v39, v26, v17
	v_fma_f32 v40, v26, v18, -v40
	v_mul_f32_e32 v26, v26, v19
	v_fmac_f32_e32 v26, v27, v18
	v_add_f32_e32 v25, v25, v26
	v_mul_f32_e32 v26, v23, v17
	v_mul_f32_e32 v17, v22, v17
	v_fmac_f32_e32 v17, v23, v16
	v_fmac_f32_e32 v39, v27, v16
	v_fma_f32 v26, v22, v16, -v26
	v_add_f32_e32 v27, v37, v17
	v_mul_f32_e32 v16, v23, v19
	v_mul_f32_e32 v17, v22, v19
	v_fma_f32 v16, v22, v18, -v16
	v_fmac_f32_e32 v17, v23, v18
	v_add_f32_e32 v26, v36, v26
	v_add_f32_e32 v36, v20, v16
	;; [unrolled: 1-line block ×3, first 2 shown]
	ds_read2_b64 v[16:19], v12 offset0:64 offset1:80
	v_add_f32_e32 v39, v41, v39
	v_add_f32_e32 v24, v24, v40
	s_waitcnt lgkmcnt(0)
	v_mul_f32_e32 v20, v29, v17
	v_mul_f32_e32 v21, v28, v17
	v_fma_f32 v20, v28, v16, -v20
	v_fmac_f32_e32 v21, v29, v16
	v_add_f32_e32 v38, v38, v20
	v_add_f32_e32 v39, v39, v21
	v_mul_f32_e32 v20, v29, v19
	v_mul_f32_e32 v21, v28, v19
	v_fma_f32 v20, v28, v18, -v20
	v_fmac_f32_e32 v21, v29, v18
	v_add_f32_e32 v24, v24, v20
	v_add_f32_e32 v25, v25, v21
	ds_read_b128 v[20:23], v13 offset:1040
	s_waitcnt lgkmcnt(0)
	v_mul_f32_e32 v28, v21, v17
	v_mul_f32_e32 v17, v20, v17
	v_fmac_f32_e32 v17, v21, v16
	v_fma_f32 v28, v20, v16, -v28
	v_add_f32_e32 v27, v27, v17
	v_mul_f32_e32 v16, v21, v19
	v_mul_f32_e32 v17, v20, v19
	v_fma_f32 v16, v20, v18, -v16
	v_fmac_f32_e32 v17, v21, v18
	v_add_f32_e32 v20, v36, v16
	v_add_f32_e32 v21, v37, v17
	ds_read2_b64 v[16:19], v12 offset0:96 offset1:112
	v_add_f32_e32 v26, v26, v28
	s_waitcnt lgkmcnt(0)
	v_mul_f32_e32 v28, v31, v17
	v_mul_f32_e32 v36, v31, v19
	v_fma_f32 v28, v30, v16, -v28
	v_mul_f32_e32 v29, v30, v17
	v_fma_f32 v36, v30, v18, -v36
	v_mul_f32_e32 v30, v30, v19
	v_fmac_f32_e32 v30, v31, v18
	v_add_f32_e32 v25, v25, v30
	v_mul_f32_e32 v30, v23, v17
	v_mul_f32_e32 v17, v22, v17
	v_fmac_f32_e32 v17, v23, v16
	v_fmac_f32_e32 v29, v31, v16
	v_fma_f32 v30, v22, v16, -v30
	v_add_f32_e32 v27, v27, v17
	v_mul_f32_e32 v16, v23, v19
	v_mul_f32_e32 v17, v22, v19
	v_fma_f32 v16, v22, v18, -v16
	v_fmac_f32_e32 v17, v23, v18
	v_add_f32_e32 v26, v26, v30
	v_add_f32_e32 v30, v20, v16
	;; [unrolled: 1-line block ×3, first 2 shown]
	ds_read2_b64 v[16:19], v12 offset0:128 offset1:144
	v_add_f32_e32 v28, v38, v28
	v_add_f32_e32 v29, v39, v29
	;; [unrolled: 1-line block ×3, first 2 shown]
	s_waitcnt lgkmcnt(0)
	v_mul_f32_e32 v20, v33, v17
	v_mul_f32_e32 v21, v32, v17
	v_fma_f32 v20, v32, v16, -v20
	v_fmac_f32_e32 v21, v33, v16
	v_add_f32_e32 v28, v28, v20
	v_add_f32_e32 v29, v29, v21
	v_mul_f32_e32 v20, v33, v19
	v_mul_f32_e32 v21, v32, v19
	v_fma_f32 v20, v32, v18, -v20
	v_fmac_f32_e32 v21, v33, v18
	v_add_f32_e32 v24, v24, v20
	v_add_f32_e32 v25, v25, v21
	ds_read_b128 v[20:23], v13 offset:1056
	s_waitcnt lgkmcnt(0)
	v_mul_f32_e32 v32, v21, v17
	v_mul_f32_e32 v17, v20, v17
	v_fmac_f32_e32 v17, v21, v16
	v_fma_f32 v32, v20, v16, -v32
	v_add_f32_e32 v27, v27, v17
	v_mul_f32_e32 v16, v21, v19
	v_mul_f32_e32 v17, v20, v19
	v_fma_f32 v16, v20, v18, -v16
	v_fmac_f32_e32 v17, v21, v18
	v_add_f32_e32 v20, v30, v16
	v_add_f32_e32 v21, v31, v17
	ds_read2_b64 v[16:19], v12 offset0:160 offset1:176
	v_add_f32_e32 v26, v26, v32
	s_waitcnt lgkmcnt(0)
	v_mul_f32_e32 v30, v35, v17
	v_fma_f32 v30, v34, v16, -v30
	v_add_f32_e32 v28, v28, v30
	v_mul_f32_e32 v30, v35, v19
	v_fma_f32 v30, v34, v18, -v30
	v_mul_f32_e32 v31, v34, v17
	v_add_f32_e32 v24, v24, v30
	v_mul_f32_e32 v30, v23, v17
	v_mul_f32_e32 v17, v22, v17
	v_fmac_f32_e32 v17, v23, v16
	v_fmac_f32_e32 v31, v35, v16
	v_fma_f32 v30, v22, v16, -v30
	v_add_f32_e32 v27, v27, v17
	v_mul_f32_e32 v16, v23, v19
	v_mul_f32_e32 v17, v22, v19
	v_add_f32_e32 v29, v29, v31
	v_mul_f32_e32 v31, v34, v19
	v_fma_f32 v16, v22, v18, -v16
	v_fmac_f32_e32 v17, v23, v18
	v_fmac_f32_e32 v31, v35, v18
	v_add_f32_e32 v20, v20, v16
	v_add_f32_e32 v21, v21, v17
	ds_read2_b64 v[16:19], v12 offset0:192 offset1:208
	v_add_f32_e32 v26, v26, v30
	v_add_f32_e32 v25, v25, v31
	s_waitcnt lgkmcnt(0)
	v_mul_f32_e32 v22, v3, v17
	v_fma_f32 v22, v2, v16, -v22
	v_add_f32_e32 v30, v28, v22
	v_mul_f32_e32 v22, v3, v19
	v_mul_f32_e32 v23, v2, v17
	v_fma_f32 v22, v2, v18, -v22
	v_mul_f32_e32 v2, v2, v19
	v_fmac_f32_e32 v23, v3, v16
	v_fmac_f32_e32 v2, v3, v18
	v_add_f32_e32 v31, v29, v23
	v_add_f32_e32 v3, v24, v22
	;; [unrolled: 1-line block ×3, first 2 shown]
	ds_read_b128 v[22:25], v13 offset:1072
	s_waitcnt lgkmcnt(0)
	v_mul_f32_e32 v28, v23, v17
	v_fma_f32 v28, v22, v16, -v28
	v_mul_f32_e32 v17, v22, v17
	v_fmac_f32_e32 v17, v23, v16
	v_add_f32_e32 v16, v26, v28
	v_mul_f32_e32 v26, v23, v19
	v_fma_f32 v26, v22, v18, -v26
	v_add_f32_e32 v17, v27, v17
	v_add_f32_e32 v32, v20, v26
	ds_read2_b64 v[26:29], v12 offset0:224 offset1:240
	v_mul_f32_e32 v19, v22, v19
	v_fmac_f32_e32 v19, v23, v18
	v_add_f32_e32 v33, v21, v19
	s_waitcnt lgkmcnt(0)
	v_mul_f32_e32 v18, v5, v27
	v_fma_f32 v18, v4, v26, -v18
	v_add_f32_e32 v22, v30, v18
	v_mul_f32_e32 v18, v5, v29
	v_mul_f32_e32 v19, v4, v27
	v_fma_f32 v18, v4, v28, -v18
	v_mul_f32_e32 v4, v4, v29
	v_fmac_f32_e32 v4, v5, v28
	v_add_f32_e32 v21, v3, v18
	v_add_f32_e32 v20, v2, v4
	v_mul_f32_e32 v2, v25, v27
	v_mul_f32_e32 v3, v24, v27
	v_fmac_f32_e32 v19, v5, v26
	v_fma_f32 v2, v24, v26, -v2
	v_fmac_f32_e32 v3, v25, v26
	v_add_f32_e32 v23, v31, v19
	v_add_f32_e32 v19, v16, v2
	;; [unrolled: 1-line block ×3, first 2 shown]
	v_mul_f32_e32 v2, v25, v29
	v_mul_f32_e32 v3, v24, v29
	v_fma_f32 v2, v24, v28, -v2
	v_fmac_f32_e32 v3, v25, v28
	v_add_f32_e32 v17, v32, v2
	v_add_f32_e32 v16, v33, v3
	s_barrier
	s_cbranch_scc0 .LBB161_2
	s_branch .LBB161_4
.LBB161_3:
	v_mov_b32_e32 v22, 0
	v_mov_b32_e32 v23, 0
	;; [unrolled: 1-line block ×8, first 2 shown]
.LBB161_4:
	s_load_dwordx2 s[0:1], s[4:5], 0x48
	s_load_dword s6, s[4:5], 0x40
	v_add_u32_e32 v4, s16, v1
	v_add_u32_e32 v0, s9, v0
	v_cmp_gt_i32_e32 vcc, s10, v4
	s_waitcnt lgkmcnt(0)
	s_mul_i32 s1, s1, s8
	v_mad_i64_i32 v[1:2], s[12:13], v4, s6, 0
	s_mul_hi_u32 s4, s0, s8
	s_mul_i32 s0, s0, s8
	s_add_i32 s1, s4, s1
	s_lshl_b64 s[0:1], s[0:1], 3
	s_add_u32 s4, s2, s0
	v_lshlrev_b64 v[1:2], 3, v[1:2]
	s_addc_u32 s5, s3, s1
	v_mov_b32_e32 v3, s5
	v_add_co_u32_e64 v5, s[0:1], s4, v1
	v_addc_co_u32_e64 v6, s[0:1], v3, v2, s[0:1]
	v_cmp_le_i32_e64 s[0:1], v0, v4
	s_and_b64 s[0:1], vcc, s[0:1]
	s_and_saveexec_b64 s[2:3], s[0:1]
	s_cbranch_execz .LBB161_6
; %bb.5:
	v_ashrrev_i32_e32 v1, 31, v0
	v_lshlrev_b64 v[1:2], 3, v[0:1]
	v_add_co_u32_e64 v1, s[0:1], v5, v1
	v_addc_co_u32_e64 v2, s[0:1], v6, v2, s[0:1]
	global_load_dwordx2 v[7:8], v[1:2], off
	s_waitcnt vmcnt(0)
	v_add_f32_e32 v7, v22, v7
	v_add_f32_e32 v8, v23, v8
	global_store_dwordx2 v[1:2], v[7:8], off
.LBB161_6:
	s_or_b64 exec, exec, s[2:3]
	v_add_u32_e32 v2, 16, v0
	v_cmp_le_i32_e64 s[0:1], v2, v4
	s_and_b64 s[2:3], vcc, s[0:1]
	s_and_saveexec_b64 s[0:1], s[2:3]
	s_cbranch_execz .LBB161_8
; %bb.7:
	v_ashrrev_i32_e32 v3, 31, v2
	v_lshlrev_b64 v[7:8], 3, v[2:3]
	v_add_co_u32_e32 v5, vcc, v5, v7
	v_addc_co_u32_e32 v6, vcc, v6, v8, vcc
	global_load_dwordx2 v[7:8], v[5:6], off
	s_waitcnt vmcnt(0)
	v_add_f32_e32 v7, v21, v7
	v_add_f32_e32 v8, v20, v8
	global_store_dwordx2 v[5:6], v[7:8], off
.LBB161_8:
	s_or_b64 exec, exec, s[0:1]
	v_add_u32_e32 v3, 16, v4
	v_mad_i64_i32 v[4:5], s[0:1], v3, s6, 0
	v_mov_b32_e32 v1, s5
	v_cmp_gt_i32_e32 vcc, s10, v3
	v_lshlrev_b64 v[4:5], 3, v[4:5]
	v_add_co_u32_e64 v4, s[0:1], s4, v4
	v_addc_co_u32_e64 v5, s[0:1], v1, v5, s[0:1]
	v_cmp_le_i32_e64 s[0:1], v0, v3
	s_and_b64 s[0:1], vcc, s[0:1]
	s_and_saveexec_b64 s[2:3], s[0:1]
	s_cbranch_execz .LBB161_10
; %bb.9:
	v_ashrrev_i32_e32 v1, 31, v0
	v_lshlrev_b64 v[0:1], 3, v[0:1]
	v_add_co_u32_e64 v0, s[0:1], v4, v0
	v_addc_co_u32_e64 v1, s[0:1], v5, v1, s[0:1]
	global_load_dwordx2 v[6:7], v[0:1], off
	s_waitcnt vmcnt(0)
	v_add_f32_e32 v6, v19, v6
	v_add_f32_e32 v7, v18, v7
	global_store_dwordx2 v[0:1], v[6:7], off
.LBB161_10:
	s_or_b64 exec, exec, s[2:3]
	v_cmp_le_i32_e64 s[0:1], v2, v3
	s_and_b64 s[0:1], vcc, s[0:1]
	s_and_saveexec_b64 s[2:3], s[0:1]
	s_cbranch_execz .LBB161_12
; %bb.11:
	v_ashrrev_i32_e32 v3, 31, v2
	v_lshlrev_b64 v[0:1], 3, v[2:3]
	v_add_co_u32_e32 v0, vcc, v4, v0
	v_addc_co_u32_e32 v1, vcc, v5, v1, vcc
	global_load_dwordx2 v[2:3], v[0:1], off
	s_waitcnt vmcnt(0)
	v_add_f32_e32 v2, v17, v2
	v_add_f32_e32 v3, v16, v3
	global_store_dwordx2 v[0:1], v[2:3], off
.LBB161_12:
	s_endpgm
	.section	.rodata,"a",@progbits
	.p2align	6, 0x0
	.amdhsa_kernel _ZL37rocblas_syrkx_herkx_restricted_kernelIi19rocblas_complex_numIfELi16ELi32ELi8ELi1ELi1ELb0ELc78ELc85EKS1_S1_EviT_PT9_S3_lS5_S3_lPT10_S3_li
		.amdhsa_group_segment_fixed_size 4096
		.amdhsa_private_segment_fixed_size 0
		.amdhsa_kernarg_size 84
		.amdhsa_user_sgpr_count 6
		.amdhsa_user_sgpr_private_segment_buffer 1
		.amdhsa_user_sgpr_dispatch_ptr 0
		.amdhsa_user_sgpr_queue_ptr 0
		.amdhsa_user_sgpr_kernarg_segment_ptr 1
		.amdhsa_user_sgpr_dispatch_id 0
		.amdhsa_user_sgpr_flat_scratch_init 0
		.amdhsa_user_sgpr_private_segment_size 0
		.amdhsa_uses_dynamic_stack 0
		.amdhsa_system_sgpr_private_segment_wavefront_offset 0
		.amdhsa_system_sgpr_workgroup_id_x 1
		.amdhsa_system_sgpr_workgroup_id_y 1
		.amdhsa_system_sgpr_workgroup_id_z 1
		.amdhsa_system_sgpr_workgroup_info 0
		.amdhsa_system_vgpr_workitem_id 1
		.amdhsa_next_free_vgpr 43
		.amdhsa_next_free_sgpr 25
		.amdhsa_reserve_vcc 1
		.amdhsa_reserve_flat_scratch 0
		.amdhsa_float_round_mode_32 0
		.amdhsa_float_round_mode_16_64 0
		.amdhsa_float_denorm_mode_32 3
		.amdhsa_float_denorm_mode_16_64 3
		.amdhsa_dx10_clamp 1
		.amdhsa_ieee_mode 1
		.amdhsa_fp16_overflow 0
		.amdhsa_exception_fp_ieee_invalid_op 0
		.amdhsa_exception_fp_denorm_src 0
		.amdhsa_exception_fp_ieee_div_zero 0
		.amdhsa_exception_fp_ieee_overflow 0
		.amdhsa_exception_fp_ieee_underflow 0
		.amdhsa_exception_fp_ieee_inexact 0
		.amdhsa_exception_int_div_zero 0
	.end_amdhsa_kernel
	.section	.text._ZL37rocblas_syrkx_herkx_restricted_kernelIi19rocblas_complex_numIfELi16ELi32ELi8ELi1ELi1ELb0ELc78ELc85EKS1_S1_EviT_PT9_S3_lS5_S3_lPT10_S3_li,"axG",@progbits,_ZL37rocblas_syrkx_herkx_restricted_kernelIi19rocblas_complex_numIfELi16ELi32ELi8ELi1ELi1ELb0ELc78ELc85EKS1_S1_EviT_PT9_S3_lS5_S3_lPT10_S3_li,comdat
.Lfunc_end161:
	.size	_ZL37rocblas_syrkx_herkx_restricted_kernelIi19rocblas_complex_numIfELi16ELi32ELi8ELi1ELi1ELb0ELc78ELc85EKS1_S1_EviT_PT9_S3_lS5_S3_lPT10_S3_li, .Lfunc_end161-_ZL37rocblas_syrkx_herkx_restricted_kernelIi19rocblas_complex_numIfELi16ELi32ELi8ELi1ELi1ELb0ELc78ELc85EKS1_S1_EviT_PT9_S3_lS5_S3_lPT10_S3_li
                                        ; -- End function
	.set _ZL37rocblas_syrkx_herkx_restricted_kernelIi19rocblas_complex_numIfELi16ELi32ELi8ELi1ELi1ELb0ELc78ELc85EKS1_S1_EviT_PT9_S3_lS5_S3_lPT10_S3_li.num_vgpr, 43
	.set _ZL37rocblas_syrkx_herkx_restricted_kernelIi19rocblas_complex_numIfELi16ELi32ELi8ELi1ELi1ELb0ELc78ELc85EKS1_S1_EviT_PT9_S3_lS5_S3_lPT10_S3_li.num_agpr, 0
	.set _ZL37rocblas_syrkx_herkx_restricted_kernelIi19rocblas_complex_numIfELi16ELi32ELi8ELi1ELi1ELb0ELc78ELc85EKS1_S1_EviT_PT9_S3_lS5_S3_lPT10_S3_li.numbered_sgpr, 25
	.set _ZL37rocblas_syrkx_herkx_restricted_kernelIi19rocblas_complex_numIfELi16ELi32ELi8ELi1ELi1ELb0ELc78ELc85EKS1_S1_EviT_PT9_S3_lS5_S3_lPT10_S3_li.num_named_barrier, 0
	.set _ZL37rocblas_syrkx_herkx_restricted_kernelIi19rocblas_complex_numIfELi16ELi32ELi8ELi1ELi1ELb0ELc78ELc85EKS1_S1_EviT_PT9_S3_lS5_S3_lPT10_S3_li.private_seg_size, 0
	.set _ZL37rocblas_syrkx_herkx_restricted_kernelIi19rocblas_complex_numIfELi16ELi32ELi8ELi1ELi1ELb0ELc78ELc85EKS1_S1_EviT_PT9_S3_lS5_S3_lPT10_S3_li.uses_vcc, 1
	.set _ZL37rocblas_syrkx_herkx_restricted_kernelIi19rocblas_complex_numIfELi16ELi32ELi8ELi1ELi1ELb0ELc78ELc85EKS1_S1_EviT_PT9_S3_lS5_S3_lPT10_S3_li.uses_flat_scratch, 0
	.set _ZL37rocblas_syrkx_herkx_restricted_kernelIi19rocblas_complex_numIfELi16ELi32ELi8ELi1ELi1ELb0ELc78ELc85EKS1_S1_EviT_PT9_S3_lS5_S3_lPT10_S3_li.has_dyn_sized_stack, 0
	.set _ZL37rocblas_syrkx_herkx_restricted_kernelIi19rocblas_complex_numIfELi16ELi32ELi8ELi1ELi1ELb0ELc78ELc85EKS1_S1_EviT_PT9_S3_lS5_S3_lPT10_S3_li.has_recursion, 0
	.set _ZL37rocblas_syrkx_herkx_restricted_kernelIi19rocblas_complex_numIfELi16ELi32ELi8ELi1ELi1ELb0ELc78ELc85EKS1_S1_EviT_PT9_S3_lS5_S3_lPT10_S3_li.has_indirect_call, 0
	.section	.AMDGPU.csdata,"",@progbits
; Kernel info:
; codeLenInByte = 1988
; TotalNumSgprs: 29
; NumVgprs: 43
; ScratchSize: 0
; MemoryBound: 0
; FloatMode: 240
; IeeeMode: 1
; LDSByteSize: 4096 bytes/workgroup (compile time only)
; SGPRBlocks: 3
; VGPRBlocks: 10
; NumSGPRsForWavesPerEU: 29
; NumVGPRsForWavesPerEU: 43
; Occupancy: 5
; WaveLimiterHint : 0
; COMPUTE_PGM_RSRC2:SCRATCH_EN: 0
; COMPUTE_PGM_RSRC2:USER_SGPR: 6
; COMPUTE_PGM_RSRC2:TRAP_HANDLER: 0
; COMPUTE_PGM_RSRC2:TGID_X_EN: 1
; COMPUTE_PGM_RSRC2:TGID_Y_EN: 1
; COMPUTE_PGM_RSRC2:TGID_Z_EN: 1
; COMPUTE_PGM_RSRC2:TIDIG_COMP_CNT: 1
	.section	.text._ZL37rocblas_syrkx_herkx_restricted_kernelIi19rocblas_complex_numIfELi16ELi32ELi8ELi1ELin1ELb0ELc84ELc76EKS1_S1_EviT_PT9_S3_lS5_S3_lPT10_S3_li,"axG",@progbits,_ZL37rocblas_syrkx_herkx_restricted_kernelIi19rocblas_complex_numIfELi16ELi32ELi8ELi1ELin1ELb0ELc84ELc76EKS1_S1_EviT_PT9_S3_lS5_S3_lPT10_S3_li,comdat
	.globl	_ZL37rocblas_syrkx_herkx_restricted_kernelIi19rocblas_complex_numIfELi16ELi32ELi8ELi1ELin1ELb0ELc84ELc76EKS1_S1_EviT_PT9_S3_lS5_S3_lPT10_S3_li ; -- Begin function _ZL37rocblas_syrkx_herkx_restricted_kernelIi19rocblas_complex_numIfELi16ELi32ELi8ELi1ELin1ELb0ELc84ELc76EKS1_S1_EviT_PT9_S3_lS5_S3_lPT10_S3_li
	.p2align	8
	.type	_ZL37rocblas_syrkx_herkx_restricted_kernelIi19rocblas_complex_numIfELi16ELi32ELi8ELi1ELin1ELb0ELc84ELc76EKS1_S1_EviT_PT9_S3_lS5_S3_lPT10_S3_li,@function
_ZL37rocblas_syrkx_herkx_restricted_kernelIi19rocblas_complex_numIfELi16ELi32ELi8ELi1ELin1ELb0ELc84ELc76EKS1_S1_EviT_PT9_S3_lS5_S3_lPT10_S3_li: ; @_ZL37rocblas_syrkx_herkx_restricted_kernelIi19rocblas_complex_numIfELi16ELi32ELi8ELi1ELin1ELb0ELc84ELc76EKS1_S1_EviT_PT9_S3_lS5_S3_lPT10_S3_li
; %bb.0:
	s_load_dwordx2 s[10:11], s[4:5], 0x0
	s_load_dwordx4 s[0:3], s[4:5], 0x30
	s_lshl_b32 s6, s6, 5
	s_lshl_b32 s7, s7, 5
	s_mov_b32 s9, 0
	s_waitcnt lgkmcnt(0)
	s_cmp_lt_i32 s11, 1
	s_cbranch_scc1 .LBB162_3
; %bb.1:
	v_lshl_add_u32 v4, v1, 4, v0
	v_and_b32_e32 v7, 31, v4
	s_load_dwordx2 s[16:17], s[4:5], 0x8
	s_load_dword s20, s[4:5], 0x10
	s_load_dwordx4 s[12:15], s[4:5], 0x18
	s_load_dword s18, s[4:5], 0x28
	v_lshrrev_b32_e32 v6, 3, v4
	v_and_b32_e32 v9, 7, v0
	v_lshrrev_b32_e32 v4, 5, v4
	v_lshlrev_b32_e32 v8, 3, v7
	v_lshl_or_b32 v11, v4, 8, v8
	v_lshlrev_b32_e32 v8, 3, v9
	v_add_u32_e32 v2, s7, v6
	v_lshl_or_b32 v6, v6, 6, v8
	v_mov_b32_e32 v10, 0
	v_add_u32_e32 v12, 0x800, v6
	v_mov_b32_e32 v6, 0x800
	v_mov_b32_e32 v5, v10
	v_lshl_add_u32 v14, v1, 6, v6
	v_add_u32_e32 v6, s6, v7
	s_waitcnt lgkmcnt(0)
	v_mad_i64_i32 v[2:3], s[18:19], s18, v2, v[9:10]
	v_mad_i64_i32 v[4:5], s[18:19], s20, v6, v[4:5]
	s_mul_i32 s13, s13, s8
	s_mul_hi_u32 s21, s12, s8
	s_add_i32 s13, s21, s13
	s_mul_i32 s12, s12, s8
	s_lshl_b64 s[12:13], s[12:13], 3
	v_lshlrev_b64 v[4:5], 3, v[4:5]
	s_add_u32 s12, s16, s12
	s_addc_u32 s13, s17, s13
	v_add_co_u32_e32 v4, vcc, s12, v4
	s_mul_i32 s1, s1, s8
	s_mul_hi_u32 s12, s0, s8
	v_mov_b32_e32 v6, s13
	s_add_i32 s1, s12, s1
	s_mul_i32 s0, s0, s8
	v_addc_co_u32_e32 v5, vcc, v6, v5, vcc
	s_lshl_b64 s[0:1], s[0:1], 3
	v_add_co_u32_e32 v6, vcc, 4, v4
	v_lshlrev_b64 v[2:3], 3, v[2:3]
	s_add_u32 s0, s14, s0
	v_addc_co_u32_e32 v7, vcc, 0, v5, vcc
	s_addc_u32 s1, s15, s1
	v_mov_b32_e32 v4, s1
	v_add_co_u32_e32 v2, vcc, s0, v2
	v_addc_co_u32_e32 v3, vcc, v4, v3, vcc
	v_add_co_u32_e32 v8, vcc, 4, v2
	v_lshlrev_b32_e32 v13, 3, v0
	v_addc_co_u32_e32 v9, vcc, 0, v3, vcc
	v_mov_b32_e32 v15, v10
	v_mov_b32_e32 v16, v10
	;; [unrolled: 1-line block ×7, first 2 shown]
.LBB162_2:                              ; =>This Inner Loop Header: Depth=1
	global_load_dwordx2 v[2:3], v[6:7], off offset:-4
	v_add_co_u32_e32 v6, vcc, 64, v6
	v_addc_co_u32_e32 v7, vcc, 0, v7, vcc
	s_add_i32 s9, s9, 8
	s_cmp_ge_i32 s9, s11
	s_waitcnt vmcnt(0)
	ds_write_b64 v11, v[2:3]
	global_load_dwordx2 v[2:3], v[8:9], off offset:-4
	v_add_co_u32_e32 v8, vcc, 64, v8
	v_addc_co_u32_e32 v9, vcc, 0, v9, vcc
	s_waitcnt vmcnt(0)
	ds_write_b64 v12, v[2:3]
	s_waitcnt lgkmcnt(0)
	s_barrier
	ds_read_b128 v[22:25], v14
	ds_read_b128 v[26:29], v14 offset:16
	ds_read_b128 v[30:33], v14 offset:32
	;; [unrolled: 1-line block ×3, first 2 shown]
	ds_read2_b64 v[34:37], v13 offset1:16
	s_waitcnt lgkmcnt(0)
	v_mul_f32_e32 v38, v23, v35
	v_mul_f32_e32 v39, v22, v35
	v_fma_f32 v38, v22, v34, -v38
	v_fmac_f32_e32 v39, v23, v34
	v_add_f32_e32 v38, v20, v38
	v_add_f32_e32 v39, v21, v39
	v_mul_f32_e32 v20, v23, v37
	v_mul_f32_e32 v21, v22, v37
	v_fma_f32 v20, v22, v36, -v20
	v_fmac_f32_e32 v21, v23, v36
	v_add_f32_e32 v22, v19, v20
	v_add_f32_e32 v23, v18, v21
	ds_read_b128 v[18:21], v14 offset:1024
	s_waitcnt lgkmcnt(0)
	v_mul_f32_e32 v40, v19, v35
	v_mul_f32_e32 v35, v18, v35
	v_fma_f32 v40, v18, v34, -v40
	v_fmac_f32_e32 v35, v19, v34
	v_add_f32_e32 v34, v17, v40
	v_add_f32_e32 v35, v16, v35
	v_mul_f32_e32 v16, v19, v37
	v_mul_f32_e32 v17, v18, v37
	v_fma_f32 v16, v18, v36, -v16
	v_fmac_f32_e32 v17, v19, v36
	v_add_f32_e32 v19, v15, v16
	v_add_f32_e32 v10, v10, v17
	ds_read2_b64 v[15:18], v13 offset0:32 offset1:48
	s_waitcnt lgkmcnt(0)
	v_mul_f32_e32 v36, v25, v16
	v_fma_f32 v36, v24, v15, -v36
	v_add_f32_e32 v36, v38, v36
	v_mul_f32_e32 v38, v25, v18
	v_mul_f32_e32 v37, v24, v16
	v_fma_f32 v38, v24, v17, -v38
	v_mul_f32_e32 v24, v24, v18
	v_fmac_f32_e32 v24, v25, v17
	v_add_f32_e32 v23, v23, v24
	v_mul_f32_e32 v24, v21, v16
	v_mul_f32_e32 v16, v20, v16
	v_fmac_f32_e32 v16, v21, v15
	v_fmac_f32_e32 v37, v25, v15
	v_fma_f32 v24, v20, v15, -v24
	v_add_f32_e32 v25, v35, v16
	v_mul_f32_e32 v15, v21, v18
	v_mul_f32_e32 v16, v20, v18
	v_fma_f32 v15, v20, v17, -v15
	v_fmac_f32_e32 v16, v21, v17
	v_add_f32_e32 v24, v34, v24
	v_add_f32_e32 v34, v19, v15
	;; [unrolled: 1-line block ×3, first 2 shown]
	ds_read2_b64 v[15:18], v13 offset0:64 offset1:80
	v_add_f32_e32 v37, v39, v37
	v_add_f32_e32 v22, v22, v38
	s_waitcnt lgkmcnt(0)
	v_mul_f32_e32 v19, v27, v16
	v_mul_f32_e32 v20, v26, v16
	v_fma_f32 v19, v26, v15, -v19
	v_fmac_f32_e32 v20, v27, v15
	v_add_f32_e32 v35, v36, v19
	v_add_f32_e32 v36, v37, v20
	v_mul_f32_e32 v19, v27, v18
	v_mul_f32_e32 v20, v26, v18
	v_fma_f32 v19, v26, v17, -v19
	v_fmac_f32_e32 v20, v27, v17
	v_add_f32_e32 v26, v22, v19
	v_add_f32_e32 v23, v23, v20
	ds_read_b128 v[19:22], v14 offset:1040
	s_waitcnt lgkmcnt(0)
	v_mul_f32_e32 v27, v20, v16
	v_mul_f32_e32 v16, v19, v16
	v_fmac_f32_e32 v16, v20, v15
	v_fma_f32 v27, v19, v15, -v27
	v_add_f32_e32 v25, v25, v16
	v_mul_f32_e32 v15, v20, v18
	v_mul_f32_e32 v16, v19, v18
	v_fma_f32 v15, v19, v17, -v15
	v_fmac_f32_e32 v16, v20, v17
	v_add_f32_e32 v19, v34, v15
	v_add_f32_e32 v10, v10, v16
	ds_read2_b64 v[15:18], v13 offset0:96 offset1:112
	v_add_f32_e32 v24, v24, v27
	s_waitcnt lgkmcnt(0)
	v_mul_f32_e32 v20, v29, v16
	v_mul_f32_e32 v34, v29, v18
	v_fma_f32 v20, v28, v15, -v20
	v_mul_f32_e32 v27, v28, v16
	v_fma_f32 v34, v28, v17, -v34
	v_mul_f32_e32 v28, v28, v18
	v_fmac_f32_e32 v28, v29, v17
	v_add_f32_e32 v23, v23, v28
	v_mul_f32_e32 v28, v22, v16
	v_mul_f32_e32 v16, v21, v16
	v_fmac_f32_e32 v16, v22, v15
	v_fmac_f32_e32 v27, v29, v15
	v_fma_f32 v28, v21, v15, -v28
	v_add_f32_e32 v25, v25, v16
	v_mul_f32_e32 v15, v22, v18
	v_mul_f32_e32 v16, v21, v18
	v_fma_f32 v15, v21, v17, -v15
	v_fmac_f32_e32 v16, v22, v17
	v_add_f32_e32 v24, v24, v28
	v_add_f32_e32 v28, v19, v15
	;; [unrolled: 1-line block ×3, first 2 shown]
	ds_read2_b64 v[15:18], v13 offset0:128 offset1:144
	v_add_f32_e32 v20, v35, v20
	v_add_f32_e32 v27, v36, v27
	;; [unrolled: 1-line block ×3, first 2 shown]
	s_waitcnt lgkmcnt(0)
	v_mul_f32_e32 v19, v31, v16
	v_fma_f32 v19, v30, v15, -v19
	v_mul_f32_e32 v21, v30, v16
	v_add_f32_e32 v29, v20, v19
	v_mul_f32_e32 v19, v31, v18
	v_mul_f32_e32 v20, v30, v18
	v_fmac_f32_e32 v21, v31, v15
	v_fma_f32 v19, v30, v17, -v19
	v_fmac_f32_e32 v20, v31, v17
	v_add_f32_e32 v27, v27, v21
	v_add_f32_e32 v26, v26, v19
	;; [unrolled: 1-line block ×3, first 2 shown]
	ds_read_b128 v[19:22], v14 offset:1056
	s_waitcnt lgkmcnt(0)
	v_mul_f32_e32 v30, v20, v16
	v_mul_f32_e32 v16, v19, v16
	v_fmac_f32_e32 v16, v20, v15
	v_fma_f32 v30, v19, v15, -v30
	v_add_f32_e32 v25, v25, v16
	v_mul_f32_e32 v15, v20, v18
	v_mul_f32_e32 v16, v19, v18
	v_fma_f32 v15, v19, v17, -v15
	v_fmac_f32_e32 v16, v20, v17
	v_add_f32_e32 v19, v28, v15
	v_add_f32_e32 v10, v10, v16
	ds_read2_b64 v[15:18], v13 offset0:160 offset1:176
	v_add_f32_e32 v24, v24, v30
	s_waitcnt lgkmcnt(0)
	v_mul_f32_e32 v28, v32, v16
	v_fmac_f32_e32 v28, v33, v15
	v_add_f32_e32 v27, v27, v28
	v_mul_f32_e32 v28, v33, v18
	v_fma_f32 v28, v32, v17, -v28
	v_mul_f32_e32 v20, v33, v16
	v_add_f32_e32 v26, v26, v28
	v_mul_f32_e32 v28, v22, v16
	v_mul_f32_e32 v16, v21, v16
	v_fmac_f32_e32 v16, v22, v15
	v_fma_f32 v20, v32, v15, -v20
	v_fma_f32 v28, v21, v15, -v28
	v_add_f32_e32 v25, v25, v16
	v_mul_f32_e32 v15, v22, v18
	v_mul_f32_e32 v16, v21, v18
	v_add_f32_e32 v20, v29, v20
	v_mul_f32_e32 v29, v32, v18
	v_fma_f32 v15, v21, v17, -v15
	v_fmac_f32_e32 v16, v22, v17
	v_fmac_f32_e32 v29, v33, v17
	v_add_f32_e32 v19, v19, v15
	v_add_f32_e32 v10, v10, v16
	ds_read2_b64 v[15:18], v13 offset0:192 offset1:208
	v_add_f32_e32 v24, v24, v28
	v_add_f32_e32 v23, v23, v29
	s_waitcnt lgkmcnt(0)
	v_mul_f32_e32 v21, v3, v16
	v_fma_f32 v21, v2, v15, -v21
	v_add_f32_e32 v28, v20, v21
	v_mul_f32_e32 v20, v3, v18
	v_mul_f32_e32 v22, v2, v16
	v_fma_f32 v20, v2, v17, -v20
	v_mul_f32_e32 v2, v2, v18
	v_fmac_f32_e32 v22, v3, v15
	v_fmac_f32_e32 v2, v3, v17
	v_add_f32_e32 v29, v27, v22
	v_add_f32_e32 v3, v26, v20
	;; [unrolled: 1-line block ×3, first 2 shown]
	ds_read_b128 v[20:23], v14 offset:1072
	s_waitcnt lgkmcnt(0)
	v_mul_f32_e32 v26, v21, v16
	v_fma_f32 v26, v20, v15, -v26
	v_mul_f32_e32 v16, v20, v16
	v_fmac_f32_e32 v16, v21, v15
	v_add_f32_e32 v15, v24, v26
	v_mul_f32_e32 v24, v21, v18
	v_fma_f32 v24, v20, v17, -v24
	v_add_f32_e32 v16, v25, v16
	v_add_f32_e32 v30, v19, v24
	ds_read2_b64 v[24:27], v13 offset0:224 offset1:240
	v_mul_f32_e32 v18, v20, v18
	v_fmac_f32_e32 v18, v21, v17
	v_add_f32_e32 v10, v10, v18
	s_waitcnt lgkmcnt(0)
	v_mul_f32_e32 v17, v5, v25
	v_fma_f32 v17, v4, v24, -v17
	v_add_f32_e32 v20, v28, v17
	v_mul_f32_e32 v17, v5, v27
	v_mul_f32_e32 v18, v4, v25
	v_fma_f32 v17, v4, v26, -v17
	v_mul_f32_e32 v4, v4, v27
	v_fmac_f32_e32 v18, v5, v24
	v_fmac_f32_e32 v4, v5, v26
	v_add_f32_e32 v21, v29, v18
	v_add_f32_e32 v19, v3, v17
	v_add_f32_e32 v18, v2, v4
	v_mul_f32_e32 v2, v23, v25
	v_mul_f32_e32 v3, v22, v25
	v_fma_f32 v2, v22, v24, -v2
	v_fmac_f32_e32 v3, v23, v24
	v_add_f32_e32 v17, v15, v2
	v_add_f32_e32 v16, v16, v3
	v_mul_f32_e32 v2, v23, v27
	v_mul_f32_e32 v3, v22, v27
	v_fma_f32 v2, v22, v26, -v2
	v_fmac_f32_e32 v3, v23, v26
	v_add_f32_e32 v15, v30, v2
	v_add_f32_e32 v10, v10, v3
	s_barrier
	s_cbranch_scc0 .LBB162_2
	s_branch .LBB162_4
.LBB162_3:
	v_mov_b32_e32 v20, 0
	v_mov_b32_e32 v21, 0
	;; [unrolled: 1-line block ×8, first 2 shown]
.LBB162_4:
	s_load_dwordx2 s[0:1], s[4:5], 0x48
	s_load_dword s9, s[4:5], 0x40
	v_add_u32_e32 v4, s7, v1
	v_add_u32_e32 v0, s6, v0
	s_waitcnt lgkmcnt(0)
	s_mul_i32 s1, s1, s8
	s_mul_hi_u32 s4, s0, s8
	s_add_i32 s1, s4, s1
	v_mad_i64_i32 v[1:2], s[4:5], v4, s9, 0
	s_mul_i32 s0, s0, s8
	s_lshl_b64 s[0:1], s[0:1], 3
	s_add_u32 s7, s2, s0
	v_lshlrev_b64 v[1:2], 3, v[1:2]
	s_addc_u32 s8, s3, s1
	v_mov_b32_e32 v3, s8
	v_add_co_u32_e32 v5, vcc, s7, v1
	v_addc_co_u32_e32 v6, vcc, v3, v2, vcc
	v_cmp_le_i32_e64 s[0:1], v4, v0
	v_cmp_gt_i32_e32 vcc, s10, v0
	s_and_b64 s[0:1], s[0:1], vcc
	s_and_saveexec_b64 s[2:3], s[0:1]
	s_cbranch_execz .LBB162_6
; %bb.5:
	v_ashrrev_i32_e32 v1, 31, v0
	v_lshlrev_b64 v[1:2], 3, v[0:1]
	v_add_co_u32_e64 v1, s[0:1], v5, v1
	v_addc_co_u32_e64 v2, s[0:1], v6, v2, s[0:1]
	global_load_dwordx2 v[7:8], v[1:2], off
	s_waitcnt vmcnt(0)
	v_sub_f32_e32 v7, v20, v7
	v_sub_f32_e32 v8, v21, v8
	global_store_dwordx2 v[1:2], v[7:8], off
.LBB162_6:
	s_or_b64 exec, exec, s[2:3]
	v_add_u32_e32 v2, 16, v0
	v_cmp_le_i32_e64 s[2:3], v4, v2
	v_cmp_gt_i32_e64 s[0:1], s10, v2
	s_and_b64 s[2:3], s[2:3], s[0:1]
	s_and_saveexec_b64 s[4:5], s[2:3]
	s_cbranch_execz .LBB162_8
; %bb.7:
	v_ashrrev_i32_e32 v3, 31, v2
	v_lshlrev_b64 v[7:8], 3, v[2:3]
	v_add_co_u32_e64 v5, s[2:3], v5, v7
	v_addc_co_u32_e64 v6, s[2:3], v6, v8, s[2:3]
	global_load_dwordx2 v[7:8], v[5:6], off
	s_waitcnt vmcnt(0)
	v_sub_f32_e32 v7, v19, v7
	v_sub_f32_e32 v8, v18, v8
	global_store_dwordx2 v[5:6], v[7:8], off
.LBB162_8:
	s_or_b64 exec, exec, s[4:5]
	v_add_u32_e32 v3, 16, v4
	v_mad_i64_i32 v[4:5], s[2:3], v3, s9, 0
	v_mov_b32_e32 v1, s8
	v_lshlrev_b64 v[4:5], 3, v[4:5]
	v_add_co_u32_e64 v4, s[2:3], s7, v4
	v_addc_co_u32_e64 v5, s[2:3], v1, v5, s[2:3]
	v_cmp_le_i32_e64 s[2:3], v3, v0
	s_and_b64 s[4:5], s[2:3], vcc
	s_and_saveexec_b64 s[2:3], s[4:5]
	s_cbranch_execz .LBB162_10
; %bb.9:
	v_ashrrev_i32_e32 v1, 31, v0
	v_lshlrev_b64 v[0:1], 3, v[0:1]
	v_add_co_u32_e32 v0, vcc, v4, v0
	v_addc_co_u32_e32 v1, vcc, v5, v1, vcc
	global_load_dwordx2 v[6:7], v[0:1], off
	s_waitcnt vmcnt(0)
	v_sub_f32_e32 v6, v17, v6
	v_sub_f32_e32 v7, v16, v7
	global_store_dwordx2 v[0:1], v[6:7], off
.LBB162_10:
	s_or_b64 exec, exec, s[2:3]
	v_cmp_le_i32_e32 vcc, v3, v2
	s_and_b64 s[0:1], vcc, s[0:1]
	s_and_saveexec_b64 s[2:3], s[0:1]
	s_cbranch_execz .LBB162_12
; %bb.11:
	v_ashrrev_i32_e32 v3, 31, v2
	v_lshlrev_b64 v[0:1], 3, v[2:3]
	v_add_co_u32_e32 v0, vcc, v4, v0
	v_addc_co_u32_e32 v1, vcc, v5, v1, vcc
	global_load_dwordx2 v[2:3], v[0:1], off
	s_waitcnt vmcnt(0)
	v_sub_f32_e32 v2, v15, v2
	v_sub_f32_e32 v3, v10, v3
	global_store_dwordx2 v[0:1], v[2:3], off
.LBB162_12:
	s_endpgm
	.section	.rodata,"a",@progbits
	.p2align	6, 0x0
	.amdhsa_kernel _ZL37rocblas_syrkx_herkx_restricted_kernelIi19rocblas_complex_numIfELi16ELi32ELi8ELi1ELin1ELb0ELc84ELc76EKS1_S1_EviT_PT9_S3_lS5_S3_lPT10_S3_li
		.amdhsa_group_segment_fixed_size 4096
		.amdhsa_private_segment_fixed_size 0
		.amdhsa_kernarg_size 84
		.amdhsa_user_sgpr_count 6
		.amdhsa_user_sgpr_private_segment_buffer 1
		.amdhsa_user_sgpr_dispatch_ptr 0
		.amdhsa_user_sgpr_queue_ptr 0
		.amdhsa_user_sgpr_kernarg_segment_ptr 1
		.amdhsa_user_sgpr_dispatch_id 0
		.amdhsa_user_sgpr_flat_scratch_init 0
		.amdhsa_user_sgpr_private_segment_size 0
		.amdhsa_uses_dynamic_stack 0
		.amdhsa_system_sgpr_private_segment_wavefront_offset 0
		.amdhsa_system_sgpr_workgroup_id_x 1
		.amdhsa_system_sgpr_workgroup_id_y 1
		.amdhsa_system_sgpr_workgroup_id_z 1
		.amdhsa_system_sgpr_workgroup_info 0
		.amdhsa_system_vgpr_workitem_id 1
		.amdhsa_next_free_vgpr 41
		.amdhsa_next_free_sgpr 22
		.amdhsa_reserve_vcc 1
		.amdhsa_reserve_flat_scratch 0
		.amdhsa_float_round_mode_32 0
		.amdhsa_float_round_mode_16_64 0
		.amdhsa_float_denorm_mode_32 3
		.amdhsa_float_denorm_mode_16_64 3
		.amdhsa_dx10_clamp 1
		.amdhsa_ieee_mode 1
		.amdhsa_fp16_overflow 0
		.amdhsa_exception_fp_ieee_invalid_op 0
		.amdhsa_exception_fp_denorm_src 0
		.amdhsa_exception_fp_ieee_div_zero 0
		.amdhsa_exception_fp_ieee_overflow 0
		.amdhsa_exception_fp_ieee_underflow 0
		.amdhsa_exception_fp_ieee_inexact 0
		.amdhsa_exception_int_div_zero 0
	.end_amdhsa_kernel
	.section	.text._ZL37rocblas_syrkx_herkx_restricted_kernelIi19rocblas_complex_numIfELi16ELi32ELi8ELi1ELin1ELb0ELc84ELc76EKS1_S1_EviT_PT9_S3_lS5_S3_lPT10_S3_li,"axG",@progbits,_ZL37rocblas_syrkx_herkx_restricted_kernelIi19rocblas_complex_numIfELi16ELi32ELi8ELi1ELin1ELb0ELc84ELc76EKS1_S1_EviT_PT9_S3_lS5_S3_lPT10_S3_li,comdat
.Lfunc_end162:
	.size	_ZL37rocblas_syrkx_herkx_restricted_kernelIi19rocblas_complex_numIfELi16ELi32ELi8ELi1ELin1ELb0ELc84ELc76EKS1_S1_EviT_PT9_S3_lS5_S3_lPT10_S3_li, .Lfunc_end162-_ZL37rocblas_syrkx_herkx_restricted_kernelIi19rocblas_complex_numIfELi16ELi32ELi8ELi1ELin1ELb0ELc84ELc76EKS1_S1_EviT_PT9_S3_lS5_S3_lPT10_S3_li
                                        ; -- End function
	.set _ZL37rocblas_syrkx_herkx_restricted_kernelIi19rocblas_complex_numIfELi16ELi32ELi8ELi1ELin1ELb0ELc84ELc76EKS1_S1_EviT_PT9_S3_lS5_S3_lPT10_S3_li.num_vgpr, 41
	.set _ZL37rocblas_syrkx_herkx_restricted_kernelIi19rocblas_complex_numIfELi16ELi32ELi8ELi1ELin1ELb0ELc84ELc76EKS1_S1_EviT_PT9_S3_lS5_S3_lPT10_S3_li.num_agpr, 0
	.set _ZL37rocblas_syrkx_herkx_restricted_kernelIi19rocblas_complex_numIfELi16ELi32ELi8ELi1ELin1ELb0ELc84ELc76EKS1_S1_EviT_PT9_S3_lS5_S3_lPT10_S3_li.numbered_sgpr, 22
	.set _ZL37rocblas_syrkx_herkx_restricted_kernelIi19rocblas_complex_numIfELi16ELi32ELi8ELi1ELin1ELb0ELc84ELc76EKS1_S1_EviT_PT9_S3_lS5_S3_lPT10_S3_li.num_named_barrier, 0
	.set _ZL37rocblas_syrkx_herkx_restricted_kernelIi19rocblas_complex_numIfELi16ELi32ELi8ELi1ELin1ELb0ELc84ELc76EKS1_S1_EviT_PT9_S3_lS5_S3_lPT10_S3_li.private_seg_size, 0
	.set _ZL37rocblas_syrkx_herkx_restricted_kernelIi19rocblas_complex_numIfELi16ELi32ELi8ELi1ELin1ELb0ELc84ELc76EKS1_S1_EviT_PT9_S3_lS5_S3_lPT10_S3_li.uses_vcc, 1
	.set _ZL37rocblas_syrkx_herkx_restricted_kernelIi19rocblas_complex_numIfELi16ELi32ELi8ELi1ELin1ELb0ELc84ELc76EKS1_S1_EviT_PT9_S3_lS5_S3_lPT10_S3_li.uses_flat_scratch, 0
	.set _ZL37rocblas_syrkx_herkx_restricted_kernelIi19rocblas_complex_numIfELi16ELi32ELi8ELi1ELin1ELb0ELc84ELc76EKS1_S1_EviT_PT9_S3_lS5_S3_lPT10_S3_li.has_dyn_sized_stack, 0
	.set _ZL37rocblas_syrkx_herkx_restricted_kernelIi19rocblas_complex_numIfELi16ELi32ELi8ELi1ELin1ELb0ELc84ELc76EKS1_S1_EviT_PT9_S3_lS5_S3_lPT10_S3_li.has_recursion, 0
	.set _ZL37rocblas_syrkx_herkx_restricted_kernelIi19rocblas_complex_numIfELi16ELi32ELi8ELi1ELin1ELb0ELc84ELc76EKS1_S1_EviT_PT9_S3_lS5_S3_lPT10_S3_li.has_indirect_call, 0
	.section	.AMDGPU.csdata,"",@progbits
; Kernel info:
; codeLenInByte = 1952
; TotalNumSgprs: 26
; NumVgprs: 41
; ScratchSize: 0
; MemoryBound: 0
; FloatMode: 240
; IeeeMode: 1
; LDSByteSize: 4096 bytes/workgroup (compile time only)
; SGPRBlocks: 3
; VGPRBlocks: 10
; NumSGPRsForWavesPerEU: 26
; NumVGPRsForWavesPerEU: 41
; Occupancy: 5
; WaveLimiterHint : 0
; COMPUTE_PGM_RSRC2:SCRATCH_EN: 0
; COMPUTE_PGM_RSRC2:USER_SGPR: 6
; COMPUTE_PGM_RSRC2:TRAP_HANDLER: 0
; COMPUTE_PGM_RSRC2:TGID_X_EN: 1
; COMPUTE_PGM_RSRC2:TGID_Y_EN: 1
; COMPUTE_PGM_RSRC2:TGID_Z_EN: 1
; COMPUTE_PGM_RSRC2:TIDIG_COMP_CNT: 1
	.section	.text._ZL37rocblas_syrkx_herkx_restricted_kernelIi19rocblas_complex_numIfELi16ELi32ELi8ELi1ELin1ELb0ELc67ELc76EKS1_S1_EviT_PT9_S3_lS5_S3_lPT10_S3_li,"axG",@progbits,_ZL37rocblas_syrkx_herkx_restricted_kernelIi19rocblas_complex_numIfELi16ELi32ELi8ELi1ELin1ELb0ELc67ELc76EKS1_S1_EviT_PT9_S3_lS5_S3_lPT10_S3_li,comdat
	.globl	_ZL37rocblas_syrkx_herkx_restricted_kernelIi19rocblas_complex_numIfELi16ELi32ELi8ELi1ELin1ELb0ELc67ELc76EKS1_S1_EviT_PT9_S3_lS5_S3_lPT10_S3_li ; -- Begin function _ZL37rocblas_syrkx_herkx_restricted_kernelIi19rocblas_complex_numIfELi16ELi32ELi8ELi1ELin1ELb0ELc67ELc76EKS1_S1_EviT_PT9_S3_lS5_S3_lPT10_S3_li
	.p2align	8
	.type	_ZL37rocblas_syrkx_herkx_restricted_kernelIi19rocblas_complex_numIfELi16ELi32ELi8ELi1ELin1ELb0ELc67ELc76EKS1_S1_EviT_PT9_S3_lS5_S3_lPT10_S3_li,@function
_ZL37rocblas_syrkx_herkx_restricted_kernelIi19rocblas_complex_numIfELi16ELi32ELi8ELi1ELin1ELb0ELc67ELc76EKS1_S1_EviT_PT9_S3_lS5_S3_lPT10_S3_li: ; @_ZL37rocblas_syrkx_herkx_restricted_kernelIi19rocblas_complex_numIfELi16ELi32ELi8ELi1ELin1ELb0ELc67ELc76EKS1_S1_EviT_PT9_S3_lS5_S3_lPT10_S3_li
; %bb.0:
	s_load_dwordx2 s[10:11], s[4:5], 0x0
	s_load_dwordx4 s[0:3], s[4:5], 0x30
	s_lshl_b32 s6, s6, 5
	s_lshl_b32 s7, s7, 5
	s_mov_b32 s9, 0
	s_waitcnt lgkmcnt(0)
	s_cmp_lt_i32 s11, 1
	s_cbranch_scc1 .LBB163_3
; %bb.1:
	v_lshl_add_u32 v4, v1, 4, v0
	v_and_b32_e32 v7, 31, v4
	s_load_dwordx2 s[16:17], s[4:5], 0x8
	s_load_dword s20, s[4:5], 0x10
	s_load_dwordx4 s[12:15], s[4:5], 0x18
	s_load_dword s18, s[4:5], 0x28
	v_lshrrev_b32_e32 v6, 3, v4
	v_and_b32_e32 v9, 7, v0
	v_lshrrev_b32_e32 v4, 5, v4
	v_lshlrev_b32_e32 v8, 3, v7
	v_lshl_or_b32 v11, v4, 8, v8
	v_lshlrev_b32_e32 v8, 3, v9
	v_add_u32_e32 v2, s7, v6
	v_lshl_or_b32 v6, v6, 6, v8
	v_mov_b32_e32 v10, 0
	v_add_u32_e32 v12, 0x800, v6
	v_mov_b32_e32 v6, 0x800
	v_mov_b32_e32 v5, v10
	v_lshl_add_u32 v14, v1, 6, v6
	v_add_u32_e32 v6, s6, v7
	s_waitcnt lgkmcnt(0)
	v_mad_i64_i32 v[2:3], s[18:19], s18, v2, v[9:10]
	v_mad_i64_i32 v[4:5], s[18:19], s20, v6, v[4:5]
	s_mul_i32 s13, s13, s8
	s_mul_hi_u32 s21, s12, s8
	s_add_i32 s13, s21, s13
	s_mul_i32 s12, s12, s8
	s_lshl_b64 s[12:13], s[12:13], 3
	v_lshlrev_b64 v[4:5], 3, v[4:5]
	s_add_u32 s12, s16, s12
	s_addc_u32 s13, s17, s13
	v_add_co_u32_e32 v4, vcc, s12, v4
	s_mul_i32 s1, s1, s8
	s_mul_hi_u32 s12, s0, s8
	v_mov_b32_e32 v6, s13
	s_add_i32 s1, s12, s1
	s_mul_i32 s0, s0, s8
	v_addc_co_u32_e32 v5, vcc, v6, v5, vcc
	s_lshl_b64 s[0:1], s[0:1], 3
	v_add_co_u32_e32 v6, vcc, 4, v4
	v_lshlrev_b64 v[2:3], 3, v[2:3]
	s_add_u32 s0, s14, s0
	v_addc_co_u32_e32 v7, vcc, 0, v5, vcc
	s_addc_u32 s1, s15, s1
	v_mov_b32_e32 v4, s1
	v_add_co_u32_e32 v2, vcc, s0, v2
	v_addc_co_u32_e32 v3, vcc, v4, v3, vcc
	v_add_co_u32_e32 v8, vcc, 4, v2
	v_lshlrev_b32_e32 v13, 3, v0
	v_addc_co_u32_e32 v9, vcc, 0, v3, vcc
	v_mov_b32_e32 v15, v10
	v_mov_b32_e32 v16, v10
	;; [unrolled: 1-line block ×7, first 2 shown]
.LBB163_2:                              ; =>This Inner Loop Header: Depth=1
	global_load_dwordx2 v[2:3], v[6:7], off offset:-4
	v_add_co_u32_e32 v6, vcc, 64, v6
	v_addc_co_u32_e32 v7, vcc, 0, v7, vcc
	s_add_i32 s9, s9, 8
	s_cmp_ge_i32 s9, s11
	s_waitcnt vmcnt(0)
	ds_write_b64 v11, v[2:3]
	global_load_dwordx2 v[2:3], v[8:9], off offset:-4
	v_add_co_u32_e32 v8, vcc, 64, v8
	v_addc_co_u32_e32 v9, vcc, 0, v9, vcc
	s_waitcnt vmcnt(0)
	ds_write_b64 v12, v[2:3]
	s_waitcnt lgkmcnt(0)
	s_barrier
	ds_read_b128 v[22:25], v14
	ds_read_b128 v[26:29], v14 offset:16
	ds_read_b128 v[30:33], v14 offset:32
	;; [unrolled: 1-line block ×3, first 2 shown]
	ds_read2_b64 v[34:37], v13 offset1:16
	s_waitcnt lgkmcnt(0)
	v_mul_f32_e32 v38, v23, v35
	v_mul_f32_e32 v39, v22, v35
	v_fma_f32 v38, v22, v34, -v38
	v_fmac_f32_e32 v39, v23, v34
	v_add_f32_e32 v38, v20, v38
	v_add_f32_e32 v39, v21, v39
	v_mul_f32_e32 v20, v23, v37
	v_mul_f32_e32 v21, v22, v37
	v_fma_f32 v20, v22, v36, -v20
	v_fmac_f32_e32 v21, v23, v36
	v_add_f32_e32 v22, v19, v20
	v_add_f32_e32 v23, v18, v21
	ds_read_b128 v[18:21], v14 offset:1024
	s_waitcnt lgkmcnt(0)
	v_mul_f32_e32 v40, v19, v35
	v_mul_f32_e32 v35, v18, v35
	v_fma_f32 v40, v18, v34, -v40
	v_fmac_f32_e32 v35, v19, v34
	v_add_f32_e32 v34, v17, v40
	v_add_f32_e32 v35, v16, v35
	v_mul_f32_e32 v16, v19, v37
	v_mul_f32_e32 v17, v18, v37
	v_fma_f32 v16, v18, v36, -v16
	v_fmac_f32_e32 v17, v19, v36
	v_add_f32_e32 v19, v15, v16
	v_add_f32_e32 v10, v10, v17
	ds_read2_b64 v[15:18], v13 offset0:32 offset1:48
	s_waitcnt lgkmcnt(0)
	v_mul_f32_e32 v36, v25, v16
	v_fma_f32 v36, v24, v15, -v36
	v_add_f32_e32 v36, v38, v36
	v_mul_f32_e32 v38, v25, v18
	v_mul_f32_e32 v37, v24, v16
	v_fma_f32 v38, v24, v17, -v38
	v_mul_f32_e32 v24, v24, v18
	v_fmac_f32_e32 v24, v25, v17
	v_add_f32_e32 v23, v23, v24
	v_mul_f32_e32 v24, v21, v16
	v_mul_f32_e32 v16, v20, v16
	v_fmac_f32_e32 v16, v21, v15
	v_fmac_f32_e32 v37, v25, v15
	v_fma_f32 v24, v20, v15, -v24
	v_add_f32_e32 v25, v35, v16
	v_mul_f32_e32 v15, v21, v18
	v_mul_f32_e32 v16, v20, v18
	v_fma_f32 v15, v20, v17, -v15
	v_fmac_f32_e32 v16, v21, v17
	v_add_f32_e32 v24, v34, v24
	v_add_f32_e32 v34, v19, v15
	;; [unrolled: 1-line block ×3, first 2 shown]
	ds_read2_b64 v[15:18], v13 offset0:64 offset1:80
	v_add_f32_e32 v37, v39, v37
	v_add_f32_e32 v22, v22, v38
	s_waitcnt lgkmcnt(0)
	v_mul_f32_e32 v19, v27, v16
	v_mul_f32_e32 v20, v26, v16
	v_fma_f32 v19, v26, v15, -v19
	v_fmac_f32_e32 v20, v27, v15
	v_add_f32_e32 v35, v36, v19
	v_add_f32_e32 v36, v37, v20
	v_mul_f32_e32 v19, v27, v18
	v_mul_f32_e32 v20, v26, v18
	v_fma_f32 v19, v26, v17, -v19
	v_fmac_f32_e32 v20, v27, v17
	v_add_f32_e32 v26, v22, v19
	v_add_f32_e32 v23, v23, v20
	ds_read_b128 v[19:22], v14 offset:1040
	s_waitcnt lgkmcnt(0)
	v_mul_f32_e32 v27, v20, v16
	v_mul_f32_e32 v16, v19, v16
	v_fmac_f32_e32 v16, v20, v15
	v_fma_f32 v27, v19, v15, -v27
	v_add_f32_e32 v25, v25, v16
	v_mul_f32_e32 v15, v20, v18
	v_mul_f32_e32 v16, v19, v18
	v_fma_f32 v15, v19, v17, -v15
	v_fmac_f32_e32 v16, v20, v17
	v_add_f32_e32 v19, v34, v15
	v_add_f32_e32 v10, v10, v16
	ds_read2_b64 v[15:18], v13 offset0:96 offset1:112
	v_add_f32_e32 v24, v24, v27
	s_waitcnt lgkmcnt(0)
	v_mul_f32_e32 v20, v29, v16
	v_mul_f32_e32 v34, v29, v18
	v_fma_f32 v20, v28, v15, -v20
	v_mul_f32_e32 v27, v28, v16
	v_fma_f32 v34, v28, v17, -v34
	v_mul_f32_e32 v28, v28, v18
	v_fmac_f32_e32 v28, v29, v17
	v_add_f32_e32 v23, v23, v28
	v_mul_f32_e32 v28, v22, v16
	v_mul_f32_e32 v16, v21, v16
	v_fmac_f32_e32 v16, v22, v15
	v_fmac_f32_e32 v27, v29, v15
	v_fma_f32 v28, v21, v15, -v28
	v_add_f32_e32 v25, v25, v16
	v_mul_f32_e32 v15, v22, v18
	v_mul_f32_e32 v16, v21, v18
	v_fma_f32 v15, v21, v17, -v15
	v_fmac_f32_e32 v16, v22, v17
	v_add_f32_e32 v24, v24, v28
	v_add_f32_e32 v28, v19, v15
	;; [unrolled: 1-line block ×3, first 2 shown]
	ds_read2_b64 v[15:18], v13 offset0:128 offset1:144
	v_add_f32_e32 v20, v35, v20
	v_add_f32_e32 v27, v36, v27
	;; [unrolled: 1-line block ×3, first 2 shown]
	s_waitcnt lgkmcnt(0)
	v_mul_f32_e32 v19, v31, v16
	v_fma_f32 v19, v30, v15, -v19
	v_mul_f32_e32 v21, v30, v16
	v_add_f32_e32 v29, v20, v19
	v_mul_f32_e32 v19, v31, v18
	v_mul_f32_e32 v20, v30, v18
	v_fmac_f32_e32 v21, v31, v15
	v_fma_f32 v19, v30, v17, -v19
	v_fmac_f32_e32 v20, v31, v17
	v_add_f32_e32 v27, v27, v21
	v_add_f32_e32 v26, v26, v19
	;; [unrolled: 1-line block ×3, first 2 shown]
	ds_read_b128 v[19:22], v14 offset:1056
	s_waitcnt lgkmcnt(0)
	v_mul_f32_e32 v30, v20, v16
	v_mul_f32_e32 v16, v19, v16
	v_fmac_f32_e32 v16, v20, v15
	v_fma_f32 v30, v19, v15, -v30
	v_add_f32_e32 v25, v25, v16
	v_mul_f32_e32 v15, v20, v18
	v_mul_f32_e32 v16, v19, v18
	v_fma_f32 v15, v19, v17, -v15
	v_fmac_f32_e32 v16, v20, v17
	v_add_f32_e32 v19, v28, v15
	v_add_f32_e32 v10, v10, v16
	ds_read2_b64 v[15:18], v13 offset0:160 offset1:176
	v_add_f32_e32 v24, v24, v30
	s_waitcnt lgkmcnt(0)
	v_mul_f32_e32 v28, v32, v16
	v_fmac_f32_e32 v28, v33, v15
	v_add_f32_e32 v27, v27, v28
	v_mul_f32_e32 v28, v33, v18
	v_fma_f32 v28, v32, v17, -v28
	v_mul_f32_e32 v20, v33, v16
	v_add_f32_e32 v26, v26, v28
	v_mul_f32_e32 v28, v22, v16
	v_mul_f32_e32 v16, v21, v16
	v_fmac_f32_e32 v16, v22, v15
	v_fma_f32 v20, v32, v15, -v20
	v_fma_f32 v28, v21, v15, -v28
	v_add_f32_e32 v25, v25, v16
	v_mul_f32_e32 v15, v22, v18
	v_mul_f32_e32 v16, v21, v18
	v_add_f32_e32 v20, v29, v20
	v_mul_f32_e32 v29, v32, v18
	v_fma_f32 v15, v21, v17, -v15
	v_fmac_f32_e32 v16, v22, v17
	v_fmac_f32_e32 v29, v33, v17
	v_add_f32_e32 v19, v19, v15
	v_add_f32_e32 v10, v10, v16
	ds_read2_b64 v[15:18], v13 offset0:192 offset1:208
	v_add_f32_e32 v24, v24, v28
	v_add_f32_e32 v23, v23, v29
	s_waitcnt lgkmcnt(0)
	v_mul_f32_e32 v21, v3, v16
	v_fma_f32 v21, v2, v15, -v21
	v_add_f32_e32 v28, v20, v21
	v_mul_f32_e32 v20, v3, v18
	v_mul_f32_e32 v22, v2, v16
	v_fma_f32 v20, v2, v17, -v20
	v_mul_f32_e32 v2, v2, v18
	v_fmac_f32_e32 v22, v3, v15
	v_fmac_f32_e32 v2, v3, v17
	v_add_f32_e32 v29, v27, v22
	v_add_f32_e32 v3, v26, v20
	;; [unrolled: 1-line block ×3, first 2 shown]
	ds_read_b128 v[20:23], v14 offset:1072
	s_waitcnt lgkmcnt(0)
	v_mul_f32_e32 v26, v21, v16
	v_fma_f32 v26, v20, v15, -v26
	v_mul_f32_e32 v16, v20, v16
	v_fmac_f32_e32 v16, v21, v15
	v_add_f32_e32 v15, v24, v26
	v_mul_f32_e32 v24, v21, v18
	v_fma_f32 v24, v20, v17, -v24
	v_add_f32_e32 v16, v25, v16
	v_add_f32_e32 v30, v19, v24
	ds_read2_b64 v[24:27], v13 offset0:224 offset1:240
	v_mul_f32_e32 v18, v20, v18
	v_fmac_f32_e32 v18, v21, v17
	v_add_f32_e32 v10, v10, v18
	s_waitcnt lgkmcnt(0)
	v_mul_f32_e32 v17, v5, v25
	v_fma_f32 v17, v4, v24, -v17
	v_add_f32_e32 v20, v28, v17
	v_mul_f32_e32 v17, v5, v27
	v_mul_f32_e32 v18, v4, v25
	v_fma_f32 v17, v4, v26, -v17
	v_mul_f32_e32 v4, v4, v27
	v_fmac_f32_e32 v18, v5, v24
	v_fmac_f32_e32 v4, v5, v26
	v_add_f32_e32 v21, v29, v18
	v_add_f32_e32 v19, v3, v17
	;; [unrolled: 1-line block ×3, first 2 shown]
	v_mul_f32_e32 v2, v23, v25
	v_mul_f32_e32 v3, v22, v25
	v_fma_f32 v2, v22, v24, -v2
	v_fmac_f32_e32 v3, v23, v24
	v_add_f32_e32 v17, v15, v2
	v_add_f32_e32 v16, v16, v3
	v_mul_f32_e32 v2, v23, v27
	v_mul_f32_e32 v3, v22, v27
	v_fma_f32 v2, v22, v26, -v2
	v_fmac_f32_e32 v3, v23, v26
	v_add_f32_e32 v15, v30, v2
	v_add_f32_e32 v10, v10, v3
	s_barrier
	s_cbranch_scc0 .LBB163_2
	s_branch .LBB163_4
.LBB163_3:
	v_mov_b32_e32 v20, 0
	v_mov_b32_e32 v21, 0
	;; [unrolled: 1-line block ×8, first 2 shown]
.LBB163_4:
	s_load_dwordx2 s[0:1], s[4:5], 0x48
	s_load_dword s9, s[4:5], 0x40
	v_add_u32_e32 v4, s7, v1
	v_add_u32_e32 v0, s6, v0
	s_waitcnt lgkmcnt(0)
	s_mul_i32 s1, s1, s8
	s_mul_hi_u32 s4, s0, s8
	s_add_i32 s1, s4, s1
	v_mad_i64_i32 v[1:2], s[4:5], v4, s9, 0
	s_mul_i32 s0, s0, s8
	s_lshl_b64 s[0:1], s[0:1], 3
	s_add_u32 s7, s2, s0
	v_lshlrev_b64 v[1:2], 3, v[1:2]
	s_addc_u32 s8, s3, s1
	v_mov_b32_e32 v3, s8
	v_add_co_u32_e32 v5, vcc, s7, v1
	v_addc_co_u32_e32 v6, vcc, v3, v2, vcc
	v_cmp_le_i32_e64 s[0:1], v4, v0
	v_cmp_gt_i32_e32 vcc, s10, v0
	s_and_b64 s[0:1], s[0:1], vcc
	s_and_saveexec_b64 s[2:3], s[0:1]
	s_cbranch_execz .LBB163_6
; %bb.5:
	v_ashrrev_i32_e32 v1, 31, v0
	v_lshlrev_b64 v[1:2], 3, v[0:1]
	v_add_co_u32_e64 v1, s[0:1], v5, v1
	v_addc_co_u32_e64 v2, s[0:1], v6, v2, s[0:1]
	global_load_dwordx2 v[7:8], v[1:2], off
	s_waitcnt vmcnt(0)
	v_sub_f32_e32 v7, v20, v7
	v_sub_f32_e32 v8, v21, v8
	global_store_dwordx2 v[1:2], v[7:8], off
.LBB163_6:
	s_or_b64 exec, exec, s[2:3]
	v_add_u32_e32 v2, 16, v0
	v_cmp_le_i32_e64 s[2:3], v4, v2
	v_cmp_gt_i32_e64 s[0:1], s10, v2
	s_and_b64 s[2:3], s[2:3], s[0:1]
	s_and_saveexec_b64 s[4:5], s[2:3]
	s_cbranch_execz .LBB163_8
; %bb.7:
	v_ashrrev_i32_e32 v3, 31, v2
	v_lshlrev_b64 v[7:8], 3, v[2:3]
	v_add_co_u32_e64 v5, s[2:3], v5, v7
	v_addc_co_u32_e64 v6, s[2:3], v6, v8, s[2:3]
	global_load_dwordx2 v[7:8], v[5:6], off
	s_waitcnt vmcnt(0)
	v_sub_f32_e32 v7, v19, v7
	v_sub_f32_e32 v8, v18, v8
	global_store_dwordx2 v[5:6], v[7:8], off
.LBB163_8:
	s_or_b64 exec, exec, s[4:5]
	v_add_u32_e32 v3, 16, v4
	v_mad_i64_i32 v[4:5], s[2:3], v3, s9, 0
	v_mov_b32_e32 v1, s8
	v_lshlrev_b64 v[4:5], 3, v[4:5]
	v_add_co_u32_e64 v4, s[2:3], s7, v4
	v_addc_co_u32_e64 v5, s[2:3], v1, v5, s[2:3]
	v_cmp_le_i32_e64 s[2:3], v3, v0
	s_and_b64 s[4:5], s[2:3], vcc
	s_and_saveexec_b64 s[2:3], s[4:5]
	s_cbranch_execz .LBB163_10
; %bb.9:
	v_ashrrev_i32_e32 v1, 31, v0
	v_lshlrev_b64 v[0:1], 3, v[0:1]
	v_add_co_u32_e32 v0, vcc, v4, v0
	v_addc_co_u32_e32 v1, vcc, v5, v1, vcc
	global_load_dwordx2 v[6:7], v[0:1], off
	s_waitcnt vmcnt(0)
	v_sub_f32_e32 v6, v17, v6
	v_sub_f32_e32 v7, v16, v7
	global_store_dwordx2 v[0:1], v[6:7], off
.LBB163_10:
	s_or_b64 exec, exec, s[2:3]
	v_cmp_le_i32_e32 vcc, v3, v2
	s_and_b64 s[0:1], vcc, s[0:1]
	s_and_saveexec_b64 s[2:3], s[0:1]
	s_cbranch_execz .LBB163_12
; %bb.11:
	v_ashrrev_i32_e32 v3, 31, v2
	v_lshlrev_b64 v[0:1], 3, v[2:3]
	v_add_co_u32_e32 v0, vcc, v4, v0
	v_addc_co_u32_e32 v1, vcc, v5, v1, vcc
	global_load_dwordx2 v[2:3], v[0:1], off
	s_waitcnt vmcnt(0)
	v_sub_f32_e32 v2, v15, v2
	v_sub_f32_e32 v3, v10, v3
	global_store_dwordx2 v[0:1], v[2:3], off
.LBB163_12:
	s_endpgm
	.section	.rodata,"a",@progbits
	.p2align	6, 0x0
	.amdhsa_kernel _ZL37rocblas_syrkx_herkx_restricted_kernelIi19rocblas_complex_numIfELi16ELi32ELi8ELi1ELin1ELb0ELc67ELc76EKS1_S1_EviT_PT9_S3_lS5_S3_lPT10_S3_li
		.amdhsa_group_segment_fixed_size 4096
		.amdhsa_private_segment_fixed_size 0
		.amdhsa_kernarg_size 84
		.amdhsa_user_sgpr_count 6
		.amdhsa_user_sgpr_private_segment_buffer 1
		.amdhsa_user_sgpr_dispatch_ptr 0
		.amdhsa_user_sgpr_queue_ptr 0
		.amdhsa_user_sgpr_kernarg_segment_ptr 1
		.amdhsa_user_sgpr_dispatch_id 0
		.amdhsa_user_sgpr_flat_scratch_init 0
		.amdhsa_user_sgpr_private_segment_size 0
		.amdhsa_uses_dynamic_stack 0
		.amdhsa_system_sgpr_private_segment_wavefront_offset 0
		.amdhsa_system_sgpr_workgroup_id_x 1
		.amdhsa_system_sgpr_workgroup_id_y 1
		.amdhsa_system_sgpr_workgroup_id_z 1
		.amdhsa_system_sgpr_workgroup_info 0
		.amdhsa_system_vgpr_workitem_id 1
		.amdhsa_next_free_vgpr 41
		.amdhsa_next_free_sgpr 22
		.amdhsa_reserve_vcc 1
		.amdhsa_reserve_flat_scratch 0
		.amdhsa_float_round_mode_32 0
		.amdhsa_float_round_mode_16_64 0
		.amdhsa_float_denorm_mode_32 3
		.amdhsa_float_denorm_mode_16_64 3
		.amdhsa_dx10_clamp 1
		.amdhsa_ieee_mode 1
		.amdhsa_fp16_overflow 0
		.amdhsa_exception_fp_ieee_invalid_op 0
		.amdhsa_exception_fp_denorm_src 0
		.amdhsa_exception_fp_ieee_div_zero 0
		.amdhsa_exception_fp_ieee_overflow 0
		.amdhsa_exception_fp_ieee_underflow 0
		.amdhsa_exception_fp_ieee_inexact 0
		.amdhsa_exception_int_div_zero 0
	.end_amdhsa_kernel
	.section	.text._ZL37rocblas_syrkx_herkx_restricted_kernelIi19rocblas_complex_numIfELi16ELi32ELi8ELi1ELin1ELb0ELc67ELc76EKS1_S1_EviT_PT9_S3_lS5_S3_lPT10_S3_li,"axG",@progbits,_ZL37rocblas_syrkx_herkx_restricted_kernelIi19rocblas_complex_numIfELi16ELi32ELi8ELi1ELin1ELb0ELc67ELc76EKS1_S1_EviT_PT9_S3_lS5_S3_lPT10_S3_li,comdat
.Lfunc_end163:
	.size	_ZL37rocblas_syrkx_herkx_restricted_kernelIi19rocblas_complex_numIfELi16ELi32ELi8ELi1ELin1ELb0ELc67ELc76EKS1_S1_EviT_PT9_S3_lS5_S3_lPT10_S3_li, .Lfunc_end163-_ZL37rocblas_syrkx_herkx_restricted_kernelIi19rocblas_complex_numIfELi16ELi32ELi8ELi1ELin1ELb0ELc67ELc76EKS1_S1_EviT_PT9_S3_lS5_S3_lPT10_S3_li
                                        ; -- End function
	.set _ZL37rocblas_syrkx_herkx_restricted_kernelIi19rocblas_complex_numIfELi16ELi32ELi8ELi1ELin1ELb0ELc67ELc76EKS1_S1_EviT_PT9_S3_lS5_S3_lPT10_S3_li.num_vgpr, 41
	.set _ZL37rocblas_syrkx_herkx_restricted_kernelIi19rocblas_complex_numIfELi16ELi32ELi8ELi1ELin1ELb0ELc67ELc76EKS1_S1_EviT_PT9_S3_lS5_S3_lPT10_S3_li.num_agpr, 0
	.set _ZL37rocblas_syrkx_herkx_restricted_kernelIi19rocblas_complex_numIfELi16ELi32ELi8ELi1ELin1ELb0ELc67ELc76EKS1_S1_EviT_PT9_S3_lS5_S3_lPT10_S3_li.numbered_sgpr, 22
	.set _ZL37rocblas_syrkx_herkx_restricted_kernelIi19rocblas_complex_numIfELi16ELi32ELi8ELi1ELin1ELb0ELc67ELc76EKS1_S1_EviT_PT9_S3_lS5_S3_lPT10_S3_li.num_named_barrier, 0
	.set _ZL37rocblas_syrkx_herkx_restricted_kernelIi19rocblas_complex_numIfELi16ELi32ELi8ELi1ELin1ELb0ELc67ELc76EKS1_S1_EviT_PT9_S3_lS5_S3_lPT10_S3_li.private_seg_size, 0
	.set _ZL37rocblas_syrkx_herkx_restricted_kernelIi19rocblas_complex_numIfELi16ELi32ELi8ELi1ELin1ELb0ELc67ELc76EKS1_S1_EviT_PT9_S3_lS5_S3_lPT10_S3_li.uses_vcc, 1
	.set _ZL37rocblas_syrkx_herkx_restricted_kernelIi19rocblas_complex_numIfELi16ELi32ELi8ELi1ELin1ELb0ELc67ELc76EKS1_S1_EviT_PT9_S3_lS5_S3_lPT10_S3_li.uses_flat_scratch, 0
	.set _ZL37rocblas_syrkx_herkx_restricted_kernelIi19rocblas_complex_numIfELi16ELi32ELi8ELi1ELin1ELb0ELc67ELc76EKS1_S1_EviT_PT9_S3_lS5_S3_lPT10_S3_li.has_dyn_sized_stack, 0
	.set _ZL37rocblas_syrkx_herkx_restricted_kernelIi19rocblas_complex_numIfELi16ELi32ELi8ELi1ELin1ELb0ELc67ELc76EKS1_S1_EviT_PT9_S3_lS5_S3_lPT10_S3_li.has_recursion, 0
	.set _ZL37rocblas_syrkx_herkx_restricted_kernelIi19rocblas_complex_numIfELi16ELi32ELi8ELi1ELin1ELb0ELc67ELc76EKS1_S1_EviT_PT9_S3_lS5_S3_lPT10_S3_li.has_indirect_call, 0
	.section	.AMDGPU.csdata,"",@progbits
; Kernel info:
; codeLenInByte = 1952
; TotalNumSgprs: 26
; NumVgprs: 41
; ScratchSize: 0
; MemoryBound: 0
; FloatMode: 240
; IeeeMode: 1
; LDSByteSize: 4096 bytes/workgroup (compile time only)
; SGPRBlocks: 3
; VGPRBlocks: 10
; NumSGPRsForWavesPerEU: 26
; NumVGPRsForWavesPerEU: 41
; Occupancy: 5
; WaveLimiterHint : 0
; COMPUTE_PGM_RSRC2:SCRATCH_EN: 0
; COMPUTE_PGM_RSRC2:USER_SGPR: 6
; COMPUTE_PGM_RSRC2:TRAP_HANDLER: 0
; COMPUTE_PGM_RSRC2:TGID_X_EN: 1
; COMPUTE_PGM_RSRC2:TGID_Y_EN: 1
; COMPUTE_PGM_RSRC2:TGID_Z_EN: 1
; COMPUTE_PGM_RSRC2:TIDIG_COMP_CNT: 1
	.section	.text._ZL37rocblas_syrkx_herkx_restricted_kernelIi19rocblas_complex_numIfELi16ELi32ELi8ELi1ELin1ELb0ELc78ELc76EKS1_S1_EviT_PT9_S3_lS5_S3_lPT10_S3_li,"axG",@progbits,_ZL37rocblas_syrkx_herkx_restricted_kernelIi19rocblas_complex_numIfELi16ELi32ELi8ELi1ELin1ELb0ELc78ELc76EKS1_S1_EviT_PT9_S3_lS5_S3_lPT10_S3_li,comdat
	.globl	_ZL37rocblas_syrkx_herkx_restricted_kernelIi19rocblas_complex_numIfELi16ELi32ELi8ELi1ELin1ELb0ELc78ELc76EKS1_S1_EviT_PT9_S3_lS5_S3_lPT10_S3_li ; -- Begin function _ZL37rocblas_syrkx_herkx_restricted_kernelIi19rocblas_complex_numIfELi16ELi32ELi8ELi1ELin1ELb0ELc78ELc76EKS1_S1_EviT_PT9_S3_lS5_S3_lPT10_S3_li
	.p2align	8
	.type	_ZL37rocblas_syrkx_herkx_restricted_kernelIi19rocblas_complex_numIfELi16ELi32ELi8ELi1ELin1ELb0ELc78ELc76EKS1_S1_EviT_PT9_S3_lS5_S3_lPT10_S3_li,@function
_ZL37rocblas_syrkx_herkx_restricted_kernelIi19rocblas_complex_numIfELi16ELi32ELi8ELi1ELin1ELb0ELc78ELc76EKS1_S1_EviT_PT9_S3_lS5_S3_lPT10_S3_li: ; @_ZL37rocblas_syrkx_herkx_restricted_kernelIi19rocblas_complex_numIfELi16ELi32ELi8ELi1ELin1ELb0ELc78ELc76EKS1_S1_EviT_PT9_S3_lS5_S3_lPT10_S3_li
; %bb.0:
	s_load_dwordx2 s[10:11], s[4:5], 0x0
	s_load_dwordx4 s[0:3], s[4:5], 0x30
	s_lshl_b32 s9, s6, 5
	s_lshl_b32 s16, s7, 5
	s_mov_b32 s17, 0
	s_waitcnt lgkmcnt(0)
	s_cmp_lt_i32 s11, 1
	s_cbranch_scc1 .LBB164_3
; %bb.1:
	v_lshl_add_u32 v5, v1, 4, v0
	s_load_dword s6, s[4:5], 0x10
	s_load_dword s18, s[4:5], 0x28
	s_load_dwordx2 s[20:21], s[4:5], 0x8
	s_load_dwordx4 s[12:15], s[4:5], 0x18
	v_lshrrev_b32_e32 v6, 3, v5
	v_add_u32_e32 v2, s16, v6
	v_and_b32_e32 v4, 7, v0
	v_ashrrev_i32_e32 v3, 31, v2
	s_waitcnt lgkmcnt(0)
	v_mad_i64_i32 v[2:3], s[22:23], s18, v4, v[2:3]
	v_lshlrev_b32_e32 v4, 3, v4
	v_lshl_or_b32 v4, v6, 6, v4
	v_lshrrev_b32_e32 v7, 5, v5
	v_and_b32_e32 v5, 31, v5
	v_add_u32_e32 v11, 0x800, v4
	v_mov_b32_e32 v4, 0x800
	v_lshl_add_u32 v13, v1, 6, v4
	v_add_u32_e32 v4, s9, v5
	v_lshlrev_b32_e32 v8, 3, v5
	v_ashrrev_i32_e32 v5, 31, v4
	v_mad_i64_i32 v[4:5], s[22:23], s6, v7, v[4:5]
	s_mul_i32 s13, s13, s8
	s_mul_hi_u32 s24, s12, s8
	s_add_i32 s13, s24, s13
	s_mul_i32 s12, s12, s8
	s_ashr_i32 s7, s6, 31
	s_ashr_i32 s19, s18, 31
	s_lshl_b64 s[12:13], s[12:13], 3
	v_lshlrev_b64 v[4:5], 3, v[4:5]
	s_add_u32 s12, s20, s12
	s_addc_u32 s13, s21, s13
	v_add_co_u32_e32 v4, vcc, s12, v4
	s_mul_i32 s1, s1, s8
	s_mul_hi_u32 s12, s0, s8
	v_mov_b32_e32 v6, s13
	s_add_i32 s1, s12, s1
	s_mul_i32 s0, s0, s8
	v_addc_co_u32_e32 v5, vcc, v6, v5, vcc
	s_lshl_b64 s[6:7], s[6:7], 6
	s_lshl_b64 s[0:1], s[0:1], 3
	v_add_co_u32_e32 v6, vcc, 4, v4
	v_lshlrev_b64 v[2:3], 3, v[2:3]
	s_add_u32 s0, s14, s0
	v_lshl_or_b32 v10, v7, 8, v8
	v_addc_co_u32_e32 v7, vcc, 0, v5, vcc
	s_addc_u32 s1, s15, s1
	v_mov_b32_e32 v4, s1
	v_add_co_u32_e32 v2, vcc, s0, v2
	v_addc_co_u32_e32 v3, vcc, v4, v3, vcc
	v_add_co_u32_e32 v8, vcc, 4, v2
	s_lshl_b64 s[0:1], s[18:19], 6
	v_lshlrev_b32_e32 v12, 3, v0
	v_addc_co_u32_e32 v9, vcc, 0, v3, vcc
	v_mov_b32_e32 v16, 0
	v_mov_b32_e32 v14, s7
	;; [unrolled: 1-line block ×10, first 2 shown]
.LBB164_2:                              ; =>This Inner Loop Header: Depth=1
	global_load_dwordx2 v[2:3], v[6:7], off offset:-4
	v_add_co_u32_e32 v6, vcc, s6, v6
	v_addc_co_u32_e32 v7, vcc, v7, v14, vcc
	s_add_i32 s17, s17, 8
	s_cmp_ge_i32 s17, s11
	s_waitcnt vmcnt(0)
	ds_write_b64 v10, v[2:3]
	global_load_dwordx2 v[2:3], v[8:9], off offset:-4
	v_add_co_u32_e32 v8, vcc, s0, v8
	v_addc_co_u32_e32 v9, vcc, v9, v15, vcc
	s_waitcnt vmcnt(0)
	ds_write_b64 v11, v[2:3]
	s_waitcnt lgkmcnt(0)
	s_barrier
	ds_read_b128 v[24:27], v13
	ds_read_b128 v[28:31], v13 offset:16
	ds_read_b128 v[32:35], v13 offset:32
	;; [unrolled: 1-line block ×3, first 2 shown]
	ds_read2_b64 v[36:39], v12 offset1:16
	s_waitcnt lgkmcnt(0)
	v_mul_f32_e32 v40, v25, v37
	v_mul_f32_e32 v41, v24, v37
	v_fma_f32 v40, v24, v36, -v40
	v_fmac_f32_e32 v41, v25, v36
	v_add_f32_e32 v40, v22, v40
	v_add_f32_e32 v41, v23, v41
	v_mul_f32_e32 v22, v25, v39
	v_mul_f32_e32 v23, v24, v39
	v_fma_f32 v22, v24, v38, -v22
	v_fmac_f32_e32 v23, v25, v38
	v_add_f32_e32 v24, v21, v22
	v_add_f32_e32 v25, v20, v23
	ds_read_b128 v[20:23], v13 offset:1024
	s_waitcnt lgkmcnt(0)
	v_mul_f32_e32 v42, v21, v37
	v_mul_f32_e32 v37, v20, v37
	v_fma_f32 v42, v20, v36, -v42
	v_fmac_f32_e32 v37, v21, v36
	v_add_f32_e32 v36, v19, v42
	v_add_f32_e32 v37, v18, v37
	v_mul_f32_e32 v18, v21, v39
	v_mul_f32_e32 v19, v20, v39
	v_fma_f32 v18, v20, v38, -v18
	v_fmac_f32_e32 v19, v21, v38
	v_add_f32_e32 v20, v17, v18
	v_add_f32_e32 v21, v16, v19
	ds_read2_b64 v[16:19], v12 offset0:32 offset1:48
	s_waitcnt lgkmcnt(0)
	v_mul_f32_e32 v38, v27, v17
	v_fma_f32 v38, v26, v16, -v38
	v_add_f32_e32 v38, v40, v38
	v_mul_f32_e32 v40, v27, v19
	v_mul_f32_e32 v39, v26, v17
	v_fma_f32 v40, v26, v18, -v40
	v_mul_f32_e32 v26, v26, v19
	v_fmac_f32_e32 v26, v27, v18
	v_add_f32_e32 v25, v25, v26
	v_mul_f32_e32 v26, v23, v17
	v_mul_f32_e32 v17, v22, v17
	v_fmac_f32_e32 v17, v23, v16
	v_fmac_f32_e32 v39, v27, v16
	v_fma_f32 v26, v22, v16, -v26
	v_add_f32_e32 v27, v37, v17
	v_mul_f32_e32 v16, v23, v19
	v_mul_f32_e32 v17, v22, v19
	v_fma_f32 v16, v22, v18, -v16
	v_fmac_f32_e32 v17, v23, v18
	v_add_f32_e32 v26, v36, v26
	v_add_f32_e32 v36, v20, v16
	;; [unrolled: 1-line block ×3, first 2 shown]
	ds_read2_b64 v[16:19], v12 offset0:64 offset1:80
	v_add_f32_e32 v39, v41, v39
	v_add_f32_e32 v24, v24, v40
	s_waitcnt lgkmcnt(0)
	v_mul_f32_e32 v20, v29, v17
	v_mul_f32_e32 v21, v28, v17
	v_fma_f32 v20, v28, v16, -v20
	v_fmac_f32_e32 v21, v29, v16
	v_add_f32_e32 v38, v38, v20
	v_add_f32_e32 v39, v39, v21
	v_mul_f32_e32 v20, v29, v19
	v_mul_f32_e32 v21, v28, v19
	v_fma_f32 v20, v28, v18, -v20
	v_fmac_f32_e32 v21, v29, v18
	v_add_f32_e32 v24, v24, v20
	v_add_f32_e32 v25, v25, v21
	ds_read_b128 v[20:23], v13 offset:1040
	s_waitcnt lgkmcnt(0)
	v_mul_f32_e32 v28, v21, v17
	v_mul_f32_e32 v17, v20, v17
	v_fmac_f32_e32 v17, v21, v16
	v_fma_f32 v28, v20, v16, -v28
	v_add_f32_e32 v27, v27, v17
	v_mul_f32_e32 v16, v21, v19
	v_mul_f32_e32 v17, v20, v19
	v_fma_f32 v16, v20, v18, -v16
	v_fmac_f32_e32 v17, v21, v18
	v_add_f32_e32 v20, v36, v16
	v_add_f32_e32 v21, v37, v17
	ds_read2_b64 v[16:19], v12 offset0:96 offset1:112
	v_add_f32_e32 v26, v26, v28
	s_waitcnt lgkmcnt(0)
	v_mul_f32_e32 v28, v31, v17
	v_mul_f32_e32 v36, v31, v19
	v_fma_f32 v28, v30, v16, -v28
	v_mul_f32_e32 v29, v30, v17
	v_fma_f32 v36, v30, v18, -v36
	v_mul_f32_e32 v30, v30, v19
	v_fmac_f32_e32 v30, v31, v18
	v_add_f32_e32 v25, v25, v30
	v_mul_f32_e32 v30, v23, v17
	v_mul_f32_e32 v17, v22, v17
	v_fmac_f32_e32 v17, v23, v16
	v_fmac_f32_e32 v29, v31, v16
	v_fma_f32 v30, v22, v16, -v30
	v_add_f32_e32 v27, v27, v17
	v_mul_f32_e32 v16, v23, v19
	v_mul_f32_e32 v17, v22, v19
	v_fma_f32 v16, v22, v18, -v16
	v_fmac_f32_e32 v17, v23, v18
	v_add_f32_e32 v26, v26, v30
	v_add_f32_e32 v30, v20, v16
	v_add_f32_e32 v31, v21, v17
	ds_read2_b64 v[16:19], v12 offset0:128 offset1:144
	v_add_f32_e32 v28, v38, v28
	v_add_f32_e32 v29, v39, v29
	;; [unrolled: 1-line block ×3, first 2 shown]
	s_waitcnt lgkmcnt(0)
	v_mul_f32_e32 v20, v33, v17
	v_mul_f32_e32 v21, v32, v17
	v_fma_f32 v20, v32, v16, -v20
	v_fmac_f32_e32 v21, v33, v16
	v_add_f32_e32 v28, v28, v20
	v_add_f32_e32 v29, v29, v21
	v_mul_f32_e32 v20, v33, v19
	v_mul_f32_e32 v21, v32, v19
	v_fma_f32 v20, v32, v18, -v20
	v_fmac_f32_e32 v21, v33, v18
	v_add_f32_e32 v24, v24, v20
	v_add_f32_e32 v25, v25, v21
	ds_read_b128 v[20:23], v13 offset:1056
	s_waitcnt lgkmcnt(0)
	v_mul_f32_e32 v32, v21, v17
	v_mul_f32_e32 v17, v20, v17
	v_fmac_f32_e32 v17, v21, v16
	v_fma_f32 v32, v20, v16, -v32
	v_add_f32_e32 v27, v27, v17
	v_mul_f32_e32 v16, v21, v19
	v_mul_f32_e32 v17, v20, v19
	v_fma_f32 v16, v20, v18, -v16
	v_fmac_f32_e32 v17, v21, v18
	v_add_f32_e32 v20, v30, v16
	v_add_f32_e32 v21, v31, v17
	ds_read2_b64 v[16:19], v12 offset0:160 offset1:176
	v_add_f32_e32 v26, v26, v32
	s_waitcnt lgkmcnt(0)
	v_mul_f32_e32 v30, v35, v17
	v_fma_f32 v30, v34, v16, -v30
	v_add_f32_e32 v28, v28, v30
	v_mul_f32_e32 v30, v35, v19
	v_fma_f32 v30, v34, v18, -v30
	v_mul_f32_e32 v31, v34, v17
	v_add_f32_e32 v24, v24, v30
	v_mul_f32_e32 v30, v23, v17
	v_mul_f32_e32 v17, v22, v17
	v_fmac_f32_e32 v17, v23, v16
	v_fmac_f32_e32 v31, v35, v16
	v_fma_f32 v30, v22, v16, -v30
	v_add_f32_e32 v27, v27, v17
	v_mul_f32_e32 v16, v23, v19
	v_mul_f32_e32 v17, v22, v19
	v_add_f32_e32 v29, v29, v31
	v_mul_f32_e32 v31, v34, v19
	v_fma_f32 v16, v22, v18, -v16
	v_fmac_f32_e32 v17, v23, v18
	v_fmac_f32_e32 v31, v35, v18
	v_add_f32_e32 v20, v20, v16
	v_add_f32_e32 v21, v21, v17
	ds_read2_b64 v[16:19], v12 offset0:192 offset1:208
	v_add_f32_e32 v26, v26, v30
	v_add_f32_e32 v25, v25, v31
	s_waitcnt lgkmcnt(0)
	v_mul_f32_e32 v22, v3, v17
	v_fma_f32 v22, v2, v16, -v22
	v_add_f32_e32 v30, v28, v22
	v_mul_f32_e32 v22, v3, v19
	v_mul_f32_e32 v23, v2, v17
	v_fma_f32 v22, v2, v18, -v22
	v_mul_f32_e32 v2, v2, v19
	v_fmac_f32_e32 v23, v3, v16
	v_fmac_f32_e32 v2, v3, v18
	v_add_f32_e32 v31, v29, v23
	v_add_f32_e32 v3, v24, v22
	;; [unrolled: 1-line block ×3, first 2 shown]
	ds_read_b128 v[22:25], v13 offset:1072
	s_waitcnt lgkmcnt(0)
	v_mul_f32_e32 v28, v23, v17
	v_fma_f32 v28, v22, v16, -v28
	v_mul_f32_e32 v17, v22, v17
	v_fmac_f32_e32 v17, v23, v16
	v_add_f32_e32 v16, v26, v28
	v_mul_f32_e32 v26, v23, v19
	v_fma_f32 v26, v22, v18, -v26
	v_add_f32_e32 v17, v27, v17
	v_add_f32_e32 v32, v20, v26
	ds_read2_b64 v[26:29], v12 offset0:224 offset1:240
	v_mul_f32_e32 v19, v22, v19
	v_fmac_f32_e32 v19, v23, v18
	v_add_f32_e32 v33, v21, v19
	s_waitcnt lgkmcnt(0)
	v_mul_f32_e32 v18, v5, v27
	v_fma_f32 v18, v4, v26, -v18
	v_add_f32_e32 v22, v30, v18
	v_mul_f32_e32 v18, v5, v29
	v_mul_f32_e32 v19, v4, v27
	v_fma_f32 v18, v4, v28, -v18
	v_mul_f32_e32 v4, v4, v29
	v_fmac_f32_e32 v4, v5, v28
	v_add_f32_e32 v21, v3, v18
	v_add_f32_e32 v20, v2, v4
	v_mul_f32_e32 v2, v25, v27
	v_mul_f32_e32 v3, v24, v27
	v_fmac_f32_e32 v19, v5, v26
	v_fma_f32 v2, v24, v26, -v2
	v_fmac_f32_e32 v3, v25, v26
	v_add_f32_e32 v23, v31, v19
	v_add_f32_e32 v19, v16, v2
	;; [unrolled: 1-line block ×3, first 2 shown]
	v_mul_f32_e32 v2, v25, v29
	v_mul_f32_e32 v3, v24, v29
	v_fma_f32 v2, v24, v28, -v2
	v_fmac_f32_e32 v3, v25, v28
	v_add_f32_e32 v17, v32, v2
	v_add_f32_e32 v16, v33, v3
	s_barrier
	s_cbranch_scc0 .LBB164_2
	s_branch .LBB164_4
.LBB164_3:
	v_mov_b32_e32 v22, 0
	v_mov_b32_e32 v23, 0
	v_mov_b32_e32 v21, 0
	v_mov_b32_e32 v20, 0
	v_mov_b32_e32 v19, 0
	v_mov_b32_e32 v18, 0
	v_mov_b32_e32 v17, 0
	v_mov_b32_e32 v16, 0
.LBB164_4:
	s_load_dwordx2 s[0:1], s[4:5], 0x48
	s_load_dword s6, s[4:5], 0x40
	v_add_u32_e32 v4, s16, v1
	v_add_u32_e32 v0, s9, v0
	s_waitcnt lgkmcnt(0)
	s_mul_i32 s1, s1, s8
	s_mul_hi_u32 s4, s0, s8
	s_add_i32 s1, s4, s1
	v_mad_i64_i32 v[1:2], s[4:5], v4, s6, 0
	s_mul_i32 s0, s0, s8
	s_lshl_b64 s[0:1], s[0:1], 3
	s_add_u32 s7, s2, s0
	v_lshlrev_b64 v[1:2], 3, v[1:2]
	s_addc_u32 s8, s3, s1
	v_mov_b32_e32 v3, s8
	v_add_co_u32_e32 v5, vcc, s7, v1
	v_addc_co_u32_e32 v6, vcc, v3, v2, vcc
	v_cmp_le_i32_e64 s[0:1], v4, v0
	v_cmp_gt_i32_e32 vcc, s10, v0
	s_and_b64 s[0:1], s[0:1], vcc
	s_and_saveexec_b64 s[2:3], s[0:1]
	s_cbranch_execz .LBB164_6
; %bb.5:
	v_ashrrev_i32_e32 v1, 31, v0
	v_lshlrev_b64 v[1:2], 3, v[0:1]
	v_add_co_u32_e64 v1, s[0:1], v5, v1
	v_addc_co_u32_e64 v2, s[0:1], v6, v2, s[0:1]
	global_load_dwordx2 v[7:8], v[1:2], off
	s_waitcnt vmcnt(0)
	v_sub_f32_e32 v7, v22, v7
	v_sub_f32_e32 v8, v23, v8
	global_store_dwordx2 v[1:2], v[7:8], off
.LBB164_6:
	s_or_b64 exec, exec, s[2:3]
	v_add_u32_e32 v2, 16, v0
	v_cmp_le_i32_e64 s[2:3], v4, v2
	v_cmp_gt_i32_e64 s[0:1], s10, v2
	s_and_b64 s[2:3], s[2:3], s[0:1]
	s_and_saveexec_b64 s[4:5], s[2:3]
	s_cbranch_execz .LBB164_8
; %bb.7:
	v_ashrrev_i32_e32 v3, 31, v2
	v_lshlrev_b64 v[7:8], 3, v[2:3]
	v_add_co_u32_e64 v5, s[2:3], v5, v7
	v_addc_co_u32_e64 v6, s[2:3], v6, v8, s[2:3]
	global_load_dwordx2 v[7:8], v[5:6], off
	s_waitcnt vmcnt(0)
	v_sub_f32_e32 v7, v21, v7
	v_sub_f32_e32 v8, v20, v8
	global_store_dwordx2 v[5:6], v[7:8], off
.LBB164_8:
	s_or_b64 exec, exec, s[4:5]
	v_add_u32_e32 v3, 16, v4
	v_mad_i64_i32 v[4:5], s[2:3], v3, s6, 0
	v_mov_b32_e32 v1, s8
	v_lshlrev_b64 v[4:5], 3, v[4:5]
	v_add_co_u32_e64 v4, s[2:3], s7, v4
	v_addc_co_u32_e64 v5, s[2:3], v1, v5, s[2:3]
	v_cmp_le_i32_e64 s[2:3], v3, v0
	s_and_b64 s[4:5], s[2:3], vcc
	s_and_saveexec_b64 s[2:3], s[4:5]
	s_cbranch_execz .LBB164_10
; %bb.9:
	v_ashrrev_i32_e32 v1, 31, v0
	v_lshlrev_b64 v[0:1], 3, v[0:1]
	v_add_co_u32_e32 v0, vcc, v4, v0
	v_addc_co_u32_e32 v1, vcc, v5, v1, vcc
	global_load_dwordx2 v[6:7], v[0:1], off
	s_waitcnt vmcnt(0)
	v_sub_f32_e32 v6, v19, v6
	v_sub_f32_e32 v7, v18, v7
	global_store_dwordx2 v[0:1], v[6:7], off
.LBB164_10:
	s_or_b64 exec, exec, s[2:3]
	v_cmp_le_i32_e32 vcc, v3, v2
	s_and_b64 s[0:1], vcc, s[0:1]
	s_and_saveexec_b64 s[2:3], s[0:1]
	s_cbranch_execz .LBB164_12
; %bb.11:
	v_ashrrev_i32_e32 v3, 31, v2
	v_lshlrev_b64 v[0:1], 3, v[2:3]
	v_add_co_u32_e32 v0, vcc, v4, v0
	v_addc_co_u32_e32 v1, vcc, v5, v1, vcc
	global_load_dwordx2 v[2:3], v[0:1], off
	s_waitcnt vmcnt(0)
	v_sub_f32_e32 v2, v17, v2
	v_sub_f32_e32 v3, v16, v3
	global_store_dwordx2 v[0:1], v[2:3], off
.LBB164_12:
	s_endpgm
	.section	.rodata,"a",@progbits
	.p2align	6, 0x0
	.amdhsa_kernel _ZL37rocblas_syrkx_herkx_restricted_kernelIi19rocblas_complex_numIfELi16ELi32ELi8ELi1ELin1ELb0ELc78ELc76EKS1_S1_EviT_PT9_S3_lS5_S3_lPT10_S3_li
		.amdhsa_group_segment_fixed_size 4096
		.amdhsa_private_segment_fixed_size 0
		.amdhsa_kernarg_size 84
		.amdhsa_user_sgpr_count 6
		.amdhsa_user_sgpr_private_segment_buffer 1
		.amdhsa_user_sgpr_dispatch_ptr 0
		.amdhsa_user_sgpr_queue_ptr 0
		.amdhsa_user_sgpr_kernarg_segment_ptr 1
		.amdhsa_user_sgpr_dispatch_id 0
		.amdhsa_user_sgpr_flat_scratch_init 0
		.amdhsa_user_sgpr_private_segment_size 0
		.amdhsa_uses_dynamic_stack 0
		.amdhsa_system_sgpr_private_segment_wavefront_offset 0
		.amdhsa_system_sgpr_workgroup_id_x 1
		.amdhsa_system_sgpr_workgroup_id_y 1
		.amdhsa_system_sgpr_workgroup_id_z 1
		.amdhsa_system_sgpr_workgroup_info 0
		.amdhsa_system_vgpr_workitem_id 1
		.amdhsa_next_free_vgpr 43
		.amdhsa_next_free_sgpr 25
		.amdhsa_reserve_vcc 1
		.amdhsa_reserve_flat_scratch 0
		.amdhsa_float_round_mode_32 0
		.amdhsa_float_round_mode_16_64 0
		.amdhsa_float_denorm_mode_32 3
		.amdhsa_float_denorm_mode_16_64 3
		.amdhsa_dx10_clamp 1
		.amdhsa_ieee_mode 1
		.amdhsa_fp16_overflow 0
		.amdhsa_exception_fp_ieee_invalid_op 0
		.amdhsa_exception_fp_denorm_src 0
		.amdhsa_exception_fp_ieee_div_zero 0
		.amdhsa_exception_fp_ieee_overflow 0
		.amdhsa_exception_fp_ieee_underflow 0
		.amdhsa_exception_fp_ieee_inexact 0
		.amdhsa_exception_int_div_zero 0
	.end_amdhsa_kernel
	.section	.text._ZL37rocblas_syrkx_herkx_restricted_kernelIi19rocblas_complex_numIfELi16ELi32ELi8ELi1ELin1ELb0ELc78ELc76EKS1_S1_EviT_PT9_S3_lS5_S3_lPT10_S3_li,"axG",@progbits,_ZL37rocblas_syrkx_herkx_restricted_kernelIi19rocblas_complex_numIfELi16ELi32ELi8ELi1ELin1ELb0ELc78ELc76EKS1_S1_EviT_PT9_S3_lS5_S3_lPT10_S3_li,comdat
.Lfunc_end164:
	.size	_ZL37rocblas_syrkx_herkx_restricted_kernelIi19rocblas_complex_numIfELi16ELi32ELi8ELi1ELin1ELb0ELc78ELc76EKS1_S1_EviT_PT9_S3_lS5_S3_lPT10_S3_li, .Lfunc_end164-_ZL37rocblas_syrkx_herkx_restricted_kernelIi19rocblas_complex_numIfELi16ELi32ELi8ELi1ELin1ELb0ELc78ELc76EKS1_S1_EviT_PT9_S3_lS5_S3_lPT10_S3_li
                                        ; -- End function
	.set _ZL37rocblas_syrkx_herkx_restricted_kernelIi19rocblas_complex_numIfELi16ELi32ELi8ELi1ELin1ELb0ELc78ELc76EKS1_S1_EviT_PT9_S3_lS5_S3_lPT10_S3_li.num_vgpr, 43
	.set _ZL37rocblas_syrkx_herkx_restricted_kernelIi19rocblas_complex_numIfELi16ELi32ELi8ELi1ELin1ELb0ELc78ELc76EKS1_S1_EviT_PT9_S3_lS5_S3_lPT10_S3_li.num_agpr, 0
	.set _ZL37rocblas_syrkx_herkx_restricted_kernelIi19rocblas_complex_numIfELi16ELi32ELi8ELi1ELin1ELb0ELc78ELc76EKS1_S1_EviT_PT9_S3_lS5_S3_lPT10_S3_li.numbered_sgpr, 25
	.set _ZL37rocblas_syrkx_herkx_restricted_kernelIi19rocblas_complex_numIfELi16ELi32ELi8ELi1ELin1ELb0ELc78ELc76EKS1_S1_EviT_PT9_S3_lS5_S3_lPT10_S3_li.num_named_barrier, 0
	.set _ZL37rocblas_syrkx_herkx_restricted_kernelIi19rocblas_complex_numIfELi16ELi32ELi8ELi1ELin1ELb0ELc78ELc76EKS1_S1_EviT_PT9_S3_lS5_S3_lPT10_S3_li.private_seg_size, 0
	.set _ZL37rocblas_syrkx_herkx_restricted_kernelIi19rocblas_complex_numIfELi16ELi32ELi8ELi1ELin1ELb0ELc78ELc76EKS1_S1_EviT_PT9_S3_lS5_S3_lPT10_S3_li.uses_vcc, 1
	.set _ZL37rocblas_syrkx_herkx_restricted_kernelIi19rocblas_complex_numIfELi16ELi32ELi8ELi1ELin1ELb0ELc78ELc76EKS1_S1_EviT_PT9_S3_lS5_S3_lPT10_S3_li.uses_flat_scratch, 0
	.set _ZL37rocblas_syrkx_herkx_restricted_kernelIi19rocblas_complex_numIfELi16ELi32ELi8ELi1ELin1ELb0ELc78ELc76EKS1_S1_EviT_PT9_S3_lS5_S3_lPT10_S3_li.has_dyn_sized_stack, 0
	.set _ZL37rocblas_syrkx_herkx_restricted_kernelIi19rocblas_complex_numIfELi16ELi32ELi8ELi1ELin1ELb0ELc78ELc76EKS1_S1_EviT_PT9_S3_lS5_S3_lPT10_S3_li.has_recursion, 0
	.set _ZL37rocblas_syrkx_herkx_restricted_kernelIi19rocblas_complex_numIfELi16ELi32ELi8ELi1ELin1ELb0ELc78ELc76EKS1_S1_EviT_PT9_S3_lS5_S3_lPT10_S3_li.has_indirect_call, 0
	.section	.AMDGPU.csdata,"",@progbits
; Kernel info:
; codeLenInByte = 1980
; TotalNumSgprs: 29
; NumVgprs: 43
; ScratchSize: 0
; MemoryBound: 0
; FloatMode: 240
; IeeeMode: 1
; LDSByteSize: 4096 bytes/workgroup (compile time only)
; SGPRBlocks: 3
; VGPRBlocks: 10
; NumSGPRsForWavesPerEU: 29
; NumVGPRsForWavesPerEU: 43
; Occupancy: 5
; WaveLimiterHint : 0
; COMPUTE_PGM_RSRC2:SCRATCH_EN: 0
; COMPUTE_PGM_RSRC2:USER_SGPR: 6
; COMPUTE_PGM_RSRC2:TRAP_HANDLER: 0
; COMPUTE_PGM_RSRC2:TGID_X_EN: 1
; COMPUTE_PGM_RSRC2:TGID_Y_EN: 1
; COMPUTE_PGM_RSRC2:TGID_Z_EN: 1
; COMPUTE_PGM_RSRC2:TIDIG_COMP_CNT: 1
	.section	.text._ZL37rocblas_syrkx_herkx_restricted_kernelIi19rocblas_complex_numIfELi16ELi32ELi8ELi1ELin1ELb0ELc84ELc85EKS1_S1_EviT_PT9_S3_lS5_S3_lPT10_S3_li,"axG",@progbits,_ZL37rocblas_syrkx_herkx_restricted_kernelIi19rocblas_complex_numIfELi16ELi32ELi8ELi1ELin1ELb0ELc84ELc85EKS1_S1_EviT_PT9_S3_lS5_S3_lPT10_S3_li,comdat
	.globl	_ZL37rocblas_syrkx_herkx_restricted_kernelIi19rocblas_complex_numIfELi16ELi32ELi8ELi1ELin1ELb0ELc84ELc85EKS1_S1_EviT_PT9_S3_lS5_S3_lPT10_S3_li ; -- Begin function _ZL37rocblas_syrkx_herkx_restricted_kernelIi19rocblas_complex_numIfELi16ELi32ELi8ELi1ELin1ELb0ELc84ELc85EKS1_S1_EviT_PT9_S3_lS5_S3_lPT10_S3_li
	.p2align	8
	.type	_ZL37rocblas_syrkx_herkx_restricted_kernelIi19rocblas_complex_numIfELi16ELi32ELi8ELi1ELin1ELb0ELc84ELc85EKS1_S1_EviT_PT9_S3_lS5_S3_lPT10_S3_li,@function
_ZL37rocblas_syrkx_herkx_restricted_kernelIi19rocblas_complex_numIfELi16ELi32ELi8ELi1ELin1ELb0ELc84ELc85EKS1_S1_EviT_PT9_S3_lS5_S3_lPT10_S3_li: ; @_ZL37rocblas_syrkx_herkx_restricted_kernelIi19rocblas_complex_numIfELi16ELi32ELi8ELi1ELin1ELb0ELc84ELc85EKS1_S1_EviT_PT9_S3_lS5_S3_lPT10_S3_li
; %bb.0:
	s_load_dwordx2 s[10:11], s[4:5], 0x0
	s_load_dwordx4 s[0:3], s[4:5], 0x30
	s_lshl_b32 s6, s6, 5
	s_lshl_b32 s7, s7, 5
	s_mov_b32 s9, 0
	s_waitcnt lgkmcnt(0)
	s_cmp_lt_i32 s11, 1
	s_cbranch_scc1 .LBB165_3
; %bb.1:
	v_lshl_add_u32 v4, v1, 4, v0
	v_and_b32_e32 v7, 31, v4
	s_load_dwordx2 s[16:17], s[4:5], 0x8
	s_load_dword s20, s[4:5], 0x10
	s_load_dwordx4 s[12:15], s[4:5], 0x18
	s_load_dword s18, s[4:5], 0x28
	v_lshrrev_b32_e32 v6, 3, v4
	v_and_b32_e32 v9, 7, v0
	v_lshrrev_b32_e32 v4, 5, v4
	v_lshlrev_b32_e32 v8, 3, v7
	v_lshl_or_b32 v11, v4, 8, v8
	v_lshlrev_b32_e32 v8, 3, v9
	v_add_u32_e32 v2, s7, v6
	v_lshl_or_b32 v6, v6, 6, v8
	v_mov_b32_e32 v10, 0
	v_add_u32_e32 v12, 0x800, v6
	v_mov_b32_e32 v6, 0x800
	v_mov_b32_e32 v5, v10
	v_lshl_add_u32 v14, v1, 6, v6
	v_add_u32_e32 v6, s6, v7
	s_waitcnt lgkmcnt(0)
	v_mad_i64_i32 v[2:3], s[18:19], s18, v2, v[9:10]
	v_mad_i64_i32 v[4:5], s[18:19], s20, v6, v[4:5]
	s_mul_i32 s13, s13, s8
	s_mul_hi_u32 s21, s12, s8
	s_add_i32 s13, s21, s13
	s_mul_i32 s12, s12, s8
	s_lshl_b64 s[12:13], s[12:13], 3
	v_lshlrev_b64 v[4:5], 3, v[4:5]
	s_add_u32 s12, s16, s12
	s_addc_u32 s13, s17, s13
	v_add_co_u32_e32 v4, vcc, s12, v4
	s_mul_i32 s1, s1, s8
	s_mul_hi_u32 s12, s0, s8
	v_mov_b32_e32 v6, s13
	s_add_i32 s1, s12, s1
	s_mul_i32 s0, s0, s8
	v_addc_co_u32_e32 v5, vcc, v6, v5, vcc
	s_lshl_b64 s[0:1], s[0:1], 3
	v_add_co_u32_e32 v6, vcc, 4, v4
	v_lshlrev_b64 v[2:3], 3, v[2:3]
	s_add_u32 s0, s14, s0
	v_addc_co_u32_e32 v7, vcc, 0, v5, vcc
	s_addc_u32 s1, s15, s1
	v_mov_b32_e32 v4, s1
	v_add_co_u32_e32 v2, vcc, s0, v2
	v_addc_co_u32_e32 v3, vcc, v4, v3, vcc
	v_add_co_u32_e32 v8, vcc, 4, v2
	v_lshlrev_b32_e32 v13, 3, v0
	v_addc_co_u32_e32 v9, vcc, 0, v3, vcc
	v_mov_b32_e32 v15, v10
	v_mov_b32_e32 v16, v10
	;; [unrolled: 1-line block ×7, first 2 shown]
.LBB165_2:                              ; =>This Inner Loop Header: Depth=1
	global_load_dwordx2 v[2:3], v[6:7], off offset:-4
	v_add_co_u32_e32 v6, vcc, 64, v6
	v_addc_co_u32_e32 v7, vcc, 0, v7, vcc
	s_add_i32 s9, s9, 8
	s_cmp_ge_i32 s9, s11
	s_waitcnt vmcnt(0)
	ds_write_b64 v11, v[2:3]
	global_load_dwordx2 v[2:3], v[8:9], off offset:-4
	v_add_co_u32_e32 v8, vcc, 64, v8
	v_addc_co_u32_e32 v9, vcc, 0, v9, vcc
	s_waitcnt vmcnt(0)
	ds_write_b64 v12, v[2:3]
	s_waitcnt lgkmcnt(0)
	s_barrier
	ds_read_b128 v[22:25], v14
	ds_read_b128 v[26:29], v14 offset:16
	ds_read_b128 v[30:33], v14 offset:32
	ds_read_b128 v[2:5], v14 offset:48
	ds_read2_b64 v[34:37], v13 offset1:16
	s_waitcnt lgkmcnt(0)
	v_mul_f32_e32 v38, v23, v35
	v_mul_f32_e32 v39, v22, v35
	v_fma_f32 v38, v22, v34, -v38
	v_fmac_f32_e32 v39, v23, v34
	v_add_f32_e32 v38, v20, v38
	v_add_f32_e32 v39, v21, v39
	v_mul_f32_e32 v20, v23, v37
	v_mul_f32_e32 v21, v22, v37
	v_fma_f32 v20, v22, v36, -v20
	v_fmac_f32_e32 v21, v23, v36
	v_add_f32_e32 v22, v19, v20
	v_add_f32_e32 v23, v18, v21
	ds_read_b128 v[18:21], v14 offset:1024
	s_waitcnt lgkmcnt(0)
	v_mul_f32_e32 v40, v19, v35
	v_mul_f32_e32 v35, v18, v35
	v_fma_f32 v40, v18, v34, -v40
	v_fmac_f32_e32 v35, v19, v34
	v_add_f32_e32 v34, v17, v40
	v_add_f32_e32 v35, v16, v35
	v_mul_f32_e32 v16, v19, v37
	v_mul_f32_e32 v17, v18, v37
	v_fma_f32 v16, v18, v36, -v16
	v_fmac_f32_e32 v17, v19, v36
	v_add_f32_e32 v19, v15, v16
	v_add_f32_e32 v10, v10, v17
	ds_read2_b64 v[15:18], v13 offset0:32 offset1:48
	s_waitcnt lgkmcnt(0)
	v_mul_f32_e32 v36, v25, v16
	v_fma_f32 v36, v24, v15, -v36
	v_add_f32_e32 v36, v38, v36
	v_mul_f32_e32 v38, v25, v18
	v_mul_f32_e32 v37, v24, v16
	v_fma_f32 v38, v24, v17, -v38
	v_mul_f32_e32 v24, v24, v18
	v_fmac_f32_e32 v24, v25, v17
	v_add_f32_e32 v23, v23, v24
	v_mul_f32_e32 v24, v21, v16
	v_mul_f32_e32 v16, v20, v16
	v_fmac_f32_e32 v16, v21, v15
	v_fmac_f32_e32 v37, v25, v15
	v_fma_f32 v24, v20, v15, -v24
	v_add_f32_e32 v25, v35, v16
	v_mul_f32_e32 v15, v21, v18
	v_mul_f32_e32 v16, v20, v18
	v_fma_f32 v15, v20, v17, -v15
	v_fmac_f32_e32 v16, v21, v17
	v_add_f32_e32 v24, v34, v24
	v_add_f32_e32 v34, v19, v15
	;; [unrolled: 1-line block ×3, first 2 shown]
	ds_read2_b64 v[15:18], v13 offset0:64 offset1:80
	v_add_f32_e32 v37, v39, v37
	v_add_f32_e32 v22, v22, v38
	s_waitcnt lgkmcnt(0)
	v_mul_f32_e32 v19, v27, v16
	v_mul_f32_e32 v20, v26, v16
	v_fma_f32 v19, v26, v15, -v19
	v_fmac_f32_e32 v20, v27, v15
	v_add_f32_e32 v35, v36, v19
	v_add_f32_e32 v36, v37, v20
	v_mul_f32_e32 v19, v27, v18
	v_mul_f32_e32 v20, v26, v18
	v_fma_f32 v19, v26, v17, -v19
	v_fmac_f32_e32 v20, v27, v17
	v_add_f32_e32 v26, v22, v19
	v_add_f32_e32 v23, v23, v20
	ds_read_b128 v[19:22], v14 offset:1040
	s_waitcnt lgkmcnt(0)
	v_mul_f32_e32 v27, v20, v16
	v_mul_f32_e32 v16, v19, v16
	v_fmac_f32_e32 v16, v20, v15
	v_fma_f32 v27, v19, v15, -v27
	v_add_f32_e32 v25, v25, v16
	v_mul_f32_e32 v15, v20, v18
	v_mul_f32_e32 v16, v19, v18
	v_fma_f32 v15, v19, v17, -v15
	v_fmac_f32_e32 v16, v20, v17
	v_add_f32_e32 v19, v34, v15
	v_add_f32_e32 v10, v10, v16
	ds_read2_b64 v[15:18], v13 offset0:96 offset1:112
	v_add_f32_e32 v24, v24, v27
	s_waitcnt lgkmcnt(0)
	v_mul_f32_e32 v20, v29, v16
	v_mul_f32_e32 v34, v29, v18
	v_fma_f32 v20, v28, v15, -v20
	v_mul_f32_e32 v27, v28, v16
	v_fma_f32 v34, v28, v17, -v34
	v_mul_f32_e32 v28, v28, v18
	v_fmac_f32_e32 v28, v29, v17
	v_add_f32_e32 v23, v23, v28
	v_mul_f32_e32 v28, v22, v16
	v_mul_f32_e32 v16, v21, v16
	v_fmac_f32_e32 v16, v22, v15
	v_fmac_f32_e32 v27, v29, v15
	v_fma_f32 v28, v21, v15, -v28
	v_add_f32_e32 v25, v25, v16
	v_mul_f32_e32 v15, v22, v18
	v_mul_f32_e32 v16, v21, v18
	v_fma_f32 v15, v21, v17, -v15
	v_fmac_f32_e32 v16, v22, v17
	v_add_f32_e32 v24, v24, v28
	v_add_f32_e32 v28, v19, v15
	;; [unrolled: 1-line block ×3, first 2 shown]
	ds_read2_b64 v[15:18], v13 offset0:128 offset1:144
	v_add_f32_e32 v20, v35, v20
	v_add_f32_e32 v27, v36, v27
	;; [unrolled: 1-line block ×3, first 2 shown]
	s_waitcnt lgkmcnt(0)
	v_mul_f32_e32 v19, v31, v16
	v_fma_f32 v19, v30, v15, -v19
	v_mul_f32_e32 v21, v30, v16
	v_add_f32_e32 v29, v20, v19
	v_mul_f32_e32 v19, v31, v18
	v_mul_f32_e32 v20, v30, v18
	v_fmac_f32_e32 v21, v31, v15
	v_fma_f32 v19, v30, v17, -v19
	v_fmac_f32_e32 v20, v31, v17
	v_add_f32_e32 v27, v27, v21
	v_add_f32_e32 v26, v26, v19
	;; [unrolled: 1-line block ×3, first 2 shown]
	ds_read_b128 v[19:22], v14 offset:1056
	s_waitcnt lgkmcnt(0)
	v_mul_f32_e32 v30, v20, v16
	v_mul_f32_e32 v16, v19, v16
	v_fmac_f32_e32 v16, v20, v15
	v_fma_f32 v30, v19, v15, -v30
	v_add_f32_e32 v25, v25, v16
	v_mul_f32_e32 v15, v20, v18
	v_mul_f32_e32 v16, v19, v18
	v_fma_f32 v15, v19, v17, -v15
	v_fmac_f32_e32 v16, v20, v17
	v_add_f32_e32 v19, v28, v15
	v_add_f32_e32 v10, v10, v16
	ds_read2_b64 v[15:18], v13 offset0:160 offset1:176
	v_add_f32_e32 v24, v24, v30
	s_waitcnt lgkmcnt(0)
	v_mul_f32_e32 v28, v32, v16
	v_fmac_f32_e32 v28, v33, v15
	v_add_f32_e32 v27, v27, v28
	v_mul_f32_e32 v28, v33, v18
	v_fma_f32 v28, v32, v17, -v28
	v_mul_f32_e32 v20, v33, v16
	v_add_f32_e32 v26, v26, v28
	v_mul_f32_e32 v28, v22, v16
	v_mul_f32_e32 v16, v21, v16
	v_fmac_f32_e32 v16, v22, v15
	v_fma_f32 v20, v32, v15, -v20
	v_fma_f32 v28, v21, v15, -v28
	v_add_f32_e32 v25, v25, v16
	v_mul_f32_e32 v15, v22, v18
	v_mul_f32_e32 v16, v21, v18
	v_add_f32_e32 v20, v29, v20
	v_mul_f32_e32 v29, v32, v18
	v_fma_f32 v15, v21, v17, -v15
	v_fmac_f32_e32 v16, v22, v17
	v_fmac_f32_e32 v29, v33, v17
	v_add_f32_e32 v19, v19, v15
	v_add_f32_e32 v10, v10, v16
	ds_read2_b64 v[15:18], v13 offset0:192 offset1:208
	v_add_f32_e32 v24, v24, v28
	v_add_f32_e32 v23, v23, v29
	s_waitcnt lgkmcnt(0)
	v_mul_f32_e32 v21, v3, v16
	v_fma_f32 v21, v2, v15, -v21
	v_add_f32_e32 v28, v20, v21
	v_mul_f32_e32 v20, v3, v18
	v_mul_f32_e32 v22, v2, v16
	v_fma_f32 v20, v2, v17, -v20
	v_mul_f32_e32 v2, v2, v18
	v_fmac_f32_e32 v22, v3, v15
	v_fmac_f32_e32 v2, v3, v17
	v_add_f32_e32 v29, v27, v22
	v_add_f32_e32 v3, v26, v20
	;; [unrolled: 1-line block ×3, first 2 shown]
	ds_read_b128 v[20:23], v14 offset:1072
	s_waitcnt lgkmcnt(0)
	v_mul_f32_e32 v26, v21, v16
	v_fma_f32 v26, v20, v15, -v26
	v_mul_f32_e32 v16, v20, v16
	v_fmac_f32_e32 v16, v21, v15
	v_add_f32_e32 v15, v24, v26
	v_mul_f32_e32 v24, v21, v18
	v_fma_f32 v24, v20, v17, -v24
	v_add_f32_e32 v16, v25, v16
	v_add_f32_e32 v30, v19, v24
	ds_read2_b64 v[24:27], v13 offset0:224 offset1:240
	v_mul_f32_e32 v18, v20, v18
	v_fmac_f32_e32 v18, v21, v17
	v_add_f32_e32 v10, v10, v18
	s_waitcnt lgkmcnt(0)
	v_mul_f32_e32 v17, v5, v25
	v_fma_f32 v17, v4, v24, -v17
	v_add_f32_e32 v20, v28, v17
	v_mul_f32_e32 v17, v5, v27
	v_mul_f32_e32 v18, v4, v25
	v_fma_f32 v17, v4, v26, -v17
	v_mul_f32_e32 v4, v4, v27
	v_fmac_f32_e32 v18, v5, v24
	v_fmac_f32_e32 v4, v5, v26
	v_add_f32_e32 v21, v29, v18
	v_add_f32_e32 v19, v3, v17
	;; [unrolled: 1-line block ×3, first 2 shown]
	v_mul_f32_e32 v2, v23, v25
	v_mul_f32_e32 v3, v22, v25
	v_fma_f32 v2, v22, v24, -v2
	v_fmac_f32_e32 v3, v23, v24
	v_add_f32_e32 v17, v15, v2
	v_add_f32_e32 v16, v16, v3
	v_mul_f32_e32 v2, v23, v27
	v_mul_f32_e32 v3, v22, v27
	v_fma_f32 v2, v22, v26, -v2
	v_fmac_f32_e32 v3, v23, v26
	v_add_f32_e32 v15, v30, v2
	v_add_f32_e32 v10, v10, v3
	s_barrier
	s_cbranch_scc0 .LBB165_2
	s_branch .LBB165_4
.LBB165_3:
	v_mov_b32_e32 v20, 0
	v_mov_b32_e32 v21, 0
	;; [unrolled: 1-line block ×8, first 2 shown]
.LBB165_4:
	s_load_dwordx2 s[0:1], s[4:5], 0x48
	s_load_dword s9, s[4:5], 0x40
	v_add_u32_e32 v4, s7, v1
	v_add_u32_e32 v0, s6, v0
	v_cmp_gt_i32_e32 vcc, s10, v4
	s_waitcnt lgkmcnt(0)
	s_mul_i32 s1, s1, s8
	v_mad_i64_i32 v[1:2], s[12:13], v4, s9, 0
	s_mul_hi_u32 s4, s0, s8
	s_mul_i32 s0, s0, s8
	s_add_i32 s1, s4, s1
	s_lshl_b64 s[0:1], s[0:1], 3
	s_add_u32 s4, s2, s0
	v_lshlrev_b64 v[1:2], 3, v[1:2]
	s_addc_u32 s5, s3, s1
	v_mov_b32_e32 v3, s5
	v_add_co_u32_e64 v5, s[0:1], s4, v1
	v_addc_co_u32_e64 v6, s[0:1], v3, v2, s[0:1]
	v_cmp_le_i32_e64 s[0:1], v0, v4
	s_and_b64 s[0:1], vcc, s[0:1]
	s_and_saveexec_b64 s[2:3], s[0:1]
	s_cbranch_execz .LBB165_6
; %bb.5:
	v_ashrrev_i32_e32 v1, 31, v0
	v_lshlrev_b64 v[1:2], 3, v[0:1]
	v_add_co_u32_e64 v1, s[0:1], v5, v1
	v_addc_co_u32_e64 v2, s[0:1], v6, v2, s[0:1]
	global_load_dwordx2 v[7:8], v[1:2], off
	s_waitcnt vmcnt(0)
	v_sub_f32_e32 v7, v20, v7
	v_sub_f32_e32 v8, v21, v8
	global_store_dwordx2 v[1:2], v[7:8], off
.LBB165_6:
	s_or_b64 exec, exec, s[2:3]
	v_add_u32_e32 v2, 16, v0
	v_cmp_le_i32_e64 s[0:1], v2, v4
	s_and_b64 s[2:3], vcc, s[0:1]
	s_and_saveexec_b64 s[0:1], s[2:3]
	s_cbranch_execz .LBB165_8
; %bb.7:
	v_ashrrev_i32_e32 v3, 31, v2
	v_lshlrev_b64 v[7:8], 3, v[2:3]
	v_add_co_u32_e32 v5, vcc, v5, v7
	v_addc_co_u32_e32 v6, vcc, v6, v8, vcc
	global_load_dwordx2 v[7:8], v[5:6], off
	s_waitcnt vmcnt(0)
	v_sub_f32_e32 v7, v19, v7
	v_sub_f32_e32 v8, v18, v8
	global_store_dwordx2 v[5:6], v[7:8], off
.LBB165_8:
	s_or_b64 exec, exec, s[0:1]
	v_add_u32_e32 v3, 16, v4
	v_mad_i64_i32 v[4:5], s[0:1], v3, s9, 0
	v_mov_b32_e32 v1, s5
	v_cmp_gt_i32_e32 vcc, s10, v3
	v_lshlrev_b64 v[4:5], 3, v[4:5]
	v_add_co_u32_e64 v4, s[0:1], s4, v4
	v_addc_co_u32_e64 v5, s[0:1], v1, v5, s[0:1]
	v_cmp_le_i32_e64 s[0:1], v0, v3
	s_and_b64 s[0:1], vcc, s[0:1]
	s_and_saveexec_b64 s[2:3], s[0:1]
	s_cbranch_execz .LBB165_10
; %bb.9:
	v_ashrrev_i32_e32 v1, 31, v0
	v_lshlrev_b64 v[0:1], 3, v[0:1]
	v_add_co_u32_e64 v0, s[0:1], v4, v0
	v_addc_co_u32_e64 v1, s[0:1], v5, v1, s[0:1]
	global_load_dwordx2 v[6:7], v[0:1], off
	s_waitcnt vmcnt(0)
	v_sub_f32_e32 v6, v17, v6
	v_sub_f32_e32 v7, v16, v7
	global_store_dwordx2 v[0:1], v[6:7], off
.LBB165_10:
	s_or_b64 exec, exec, s[2:3]
	v_cmp_le_i32_e64 s[0:1], v2, v3
	s_and_b64 s[0:1], vcc, s[0:1]
	s_and_saveexec_b64 s[2:3], s[0:1]
	s_cbranch_execz .LBB165_12
; %bb.11:
	v_ashrrev_i32_e32 v3, 31, v2
	v_lshlrev_b64 v[0:1], 3, v[2:3]
	v_add_co_u32_e32 v0, vcc, v4, v0
	v_addc_co_u32_e32 v1, vcc, v5, v1, vcc
	global_load_dwordx2 v[2:3], v[0:1], off
	s_waitcnt vmcnt(0)
	v_sub_f32_e32 v2, v15, v2
	v_sub_f32_e32 v3, v10, v3
	global_store_dwordx2 v[0:1], v[2:3], off
.LBB165_12:
	s_endpgm
	.section	.rodata,"a",@progbits
	.p2align	6, 0x0
	.amdhsa_kernel _ZL37rocblas_syrkx_herkx_restricted_kernelIi19rocblas_complex_numIfELi16ELi32ELi8ELi1ELin1ELb0ELc84ELc85EKS1_S1_EviT_PT9_S3_lS5_S3_lPT10_S3_li
		.amdhsa_group_segment_fixed_size 4096
		.amdhsa_private_segment_fixed_size 0
		.amdhsa_kernarg_size 84
		.amdhsa_user_sgpr_count 6
		.amdhsa_user_sgpr_private_segment_buffer 1
		.amdhsa_user_sgpr_dispatch_ptr 0
		.amdhsa_user_sgpr_queue_ptr 0
		.amdhsa_user_sgpr_kernarg_segment_ptr 1
		.amdhsa_user_sgpr_dispatch_id 0
		.amdhsa_user_sgpr_flat_scratch_init 0
		.amdhsa_user_sgpr_private_segment_size 0
		.amdhsa_uses_dynamic_stack 0
		.amdhsa_system_sgpr_private_segment_wavefront_offset 0
		.amdhsa_system_sgpr_workgroup_id_x 1
		.amdhsa_system_sgpr_workgroup_id_y 1
		.amdhsa_system_sgpr_workgroup_id_z 1
		.amdhsa_system_sgpr_workgroup_info 0
		.amdhsa_system_vgpr_workitem_id 1
		.amdhsa_next_free_vgpr 41
		.amdhsa_next_free_sgpr 22
		.amdhsa_reserve_vcc 1
		.amdhsa_reserve_flat_scratch 0
		.amdhsa_float_round_mode_32 0
		.amdhsa_float_round_mode_16_64 0
		.amdhsa_float_denorm_mode_32 3
		.amdhsa_float_denorm_mode_16_64 3
		.amdhsa_dx10_clamp 1
		.amdhsa_ieee_mode 1
		.amdhsa_fp16_overflow 0
		.amdhsa_exception_fp_ieee_invalid_op 0
		.amdhsa_exception_fp_denorm_src 0
		.amdhsa_exception_fp_ieee_div_zero 0
		.amdhsa_exception_fp_ieee_overflow 0
		.amdhsa_exception_fp_ieee_underflow 0
		.amdhsa_exception_fp_ieee_inexact 0
		.amdhsa_exception_int_div_zero 0
	.end_amdhsa_kernel
	.section	.text._ZL37rocblas_syrkx_herkx_restricted_kernelIi19rocblas_complex_numIfELi16ELi32ELi8ELi1ELin1ELb0ELc84ELc85EKS1_S1_EviT_PT9_S3_lS5_S3_lPT10_S3_li,"axG",@progbits,_ZL37rocblas_syrkx_herkx_restricted_kernelIi19rocblas_complex_numIfELi16ELi32ELi8ELi1ELin1ELb0ELc84ELc85EKS1_S1_EviT_PT9_S3_lS5_S3_lPT10_S3_li,comdat
.Lfunc_end165:
	.size	_ZL37rocblas_syrkx_herkx_restricted_kernelIi19rocblas_complex_numIfELi16ELi32ELi8ELi1ELin1ELb0ELc84ELc85EKS1_S1_EviT_PT9_S3_lS5_S3_lPT10_S3_li, .Lfunc_end165-_ZL37rocblas_syrkx_herkx_restricted_kernelIi19rocblas_complex_numIfELi16ELi32ELi8ELi1ELin1ELb0ELc84ELc85EKS1_S1_EviT_PT9_S3_lS5_S3_lPT10_S3_li
                                        ; -- End function
	.set _ZL37rocblas_syrkx_herkx_restricted_kernelIi19rocblas_complex_numIfELi16ELi32ELi8ELi1ELin1ELb0ELc84ELc85EKS1_S1_EviT_PT9_S3_lS5_S3_lPT10_S3_li.num_vgpr, 41
	.set _ZL37rocblas_syrkx_herkx_restricted_kernelIi19rocblas_complex_numIfELi16ELi32ELi8ELi1ELin1ELb0ELc84ELc85EKS1_S1_EviT_PT9_S3_lS5_S3_lPT10_S3_li.num_agpr, 0
	.set _ZL37rocblas_syrkx_herkx_restricted_kernelIi19rocblas_complex_numIfELi16ELi32ELi8ELi1ELin1ELb0ELc84ELc85EKS1_S1_EviT_PT9_S3_lS5_S3_lPT10_S3_li.numbered_sgpr, 22
	.set _ZL37rocblas_syrkx_herkx_restricted_kernelIi19rocblas_complex_numIfELi16ELi32ELi8ELi1ELin1ELb0ELc84ELc85EKS1_S1_EviT_PT9_S3_lS5_S3_lPT10_S3_li.num_named_barrier, 0
	.set _ZL37rocblas_syrkx_herkx_restricted_kernelIi19rocblas_complex_numIfELi16ELi32ELi8ELi1ELin1ELb0ELc84ELc85EKS1_S1_EviT_PT9_S3_lS5_S3_lPT10_S3_li.private_seg_size, 0
	.set _ZL37rocblas_syrkx_herkx_restricted_kernelIi19rocblas_complex_numIfELi16ELi32ELi8ELi1ELin1ELb0ELc84ELc85EKS1_S1_EviT_PT9_S3_lS5_S3_lPT10_S3_li.uses_vcc, 1
	.set _ZL37rocblas_syrkx_herkx_restricted_kernelIi19rocblas_complex_numIfELi16ELi32ELi8ELi1ELin1ELb0ELc84ELc85EKS1_S1_EviT_PT9_S3_lS5_S3_lPT10_S3_li.uses_flat_scratch, 0
	.set _ZL37rocblas_syrkx_herkx_restricted_kernelIi19rocblas_complex_numIfELi16ELi32ELi8ELi1ELin1ELb0ELc84ELc85EKS1_S1_EviT_PT9_S3_lS5_S3_lPT10_S3_li.has_dyn_sized_stack, 0
	.set _ZL37rocblas_syrkx_herkx_restricted_kernelIi19rocblas_complex_numIfELi16ELi32ELi8ELi1ELin1ELb0ELc84ELc85EKS1_S1_EviT_PT9_S3_lS5_S3_lPT10_S3_li.has_recursion, 0
	.set _ZL37rocblas_syrkx_herkx_restricted_kernelIi19rocblas_complex_numIfELi16ELi32ELi8ELi1ELin1ELb0ELc84ELc85EKS1_S1_EviT_PT9_S3_lS5_S3_lPT10_S3_li.has_indirect_call, 0
	.section	.AMDGPU.csdata,"",@progbits
; Kernel info:
; codeLenInByte = 1960
; TotalNumSgprs: 26
; NumVgprs: 41
; ScratchSize: 0
; MemoryBound: 0
; FloatMode: 240
; IeeeMode: 1
; LDSByteSize: 4096 bytes/workgroup (compile time only)
; SGPRBlocks: 3
; VGPRBlocks: 10
; NumSGPRsForWavesPerEU: 26
; NumVGPRsForWavesPerEU: 41
; Occupancy: 5
; WaveLimiterHint : 0
; COMPUTE_PGM_RSRC2:SCRATCH_EN: 0
; COMPUTE_PGM_RSRC2:USER_SGPR: 6
; COMPUTE_PGM_RSRC2:TRAP_HANDLER: 0
; COMPUTE_PGM_RSRC2:TGID_X_EN: 1
; COMPUTE_PGM_RSRC2:TGID_Y_EN: 1
; COMPUTE_PGM_RSRC2:TGID_Z_EN: 1
; COMPUTE_PGM_RSRC2:TIDIG_COMP_CNT: 1
	.section	.text._ZL37rocblas_syrkx_herkx_restricted_kernelIi19rocblas_complex_numIfELi16ELi32ELi8ELi1ELin1ELb0ELc67ELc85EKS1_S1_EviT_PT9_S3_lS5_S3_lPT10_S3_li,"axG",@progbits,_ZL37rocblas_syrkx_herkx_restricted_kernelIi19rocblas_complex_numIfELi16ELi32ELi8ELi1ELin1ELb0ELc67ELc85EKS1_S1_EviT_PT9_S3_lS5_S3_lPT10_S3_li,comdat
	.globl	_ZL37rocblas_syrkx_herkx_restricted_kernelIi19rocblas_complex_numIfELi16ELi32ELi8ELi1ELin1ELb0ELc67ELc85EKS1_S1_EviT_PT9_S3_lS5_S3_lPT10_S3_li ; -- Begin function _ZL37rocblas_syrkx_herkx_restricted_kernelIi19rocblas_complex_numIfELi16ELi32ELi8ELi1ELin1ELb0ELc67ELc85EKS1_S1_EviT_PT9_S3_lS5_S3_lPT10_S3_li
	.p2align	8
	.type	_ZL37rocblas_syrkx_herkx_restricted_kernelIi19rocblas_complex_numIfELi16ELi32ELi8ELi1ELin1ELb0ELc67ELc85EKS1_S1_EviT_PT9_S3_lS5_S3_lPT10_S3_li,@function
_ZL37rocblas_syrkx_herkx_restricted_kernelIi19rocblas_complex_numIfELi16ELi32ELi8ELi1ELin1ELb0ELc67ELc85EKS1_S1_EviT_PT9_S3_lS5_S3_lPT10_S3_li: ; @_ZL37rocblas_syrkx_herkx_restricted_kernelIi19rocblas_complex_numIfELi16ELi32ELi8ELi1ELin1ELb0ELc67ELc85EKS1_S1_EviT_PT9_S3_lS5_S3_lPT10_S3_li
; %bb.0:
	s_load_dwordx2 s[10:11], s[4:5], 0x0
	s_load_dwordx4 s[0:3], s[4:5], 0x30
	s_lshl_b32 s6, s6, 5
	s_lshl_b32 s7, s7, 5
	s_mov_b32 s9, 0
	s_waitcnt lgkmcnt(0)
	s_cmp_lt_i32 s11, 1
	s_cbranch_scc1 .LBB166_3
; %bb.1:
	v_lshl_add_u32 v4, v1, 4, v0
	v_and_b32_e32 v7, 31, v4
	s_load_dwordx2 s[16:17], s[4:5], 0x8
	s_load_dword s20, s[4:5], 0x10
	s_load_dwordx4 s[12:15], s[4:5], 0x18
	s_load_dword s18, s[4:5], 0x28
	v_lshrrev_b32_e32 v6, 3, v4
	v_and_b32_e32 v9, 7, v0
	v_lshrrev_b32_e32 v4, 5, v4
	v_lshlrev_b32_e32 v8, 3, v7
	v_lshl_or_b32 v11, v4, 8, v8
	v_lshlrev_b32_e32 v8, 3, v9
	v_add_u32_e32 v2, s7, v6
	v_lshl_or_b32 v6, v6, 6, v8
	v_mov_b32_e32 v10, 0
	v_add_u32_e32 v12, 0x800, v6
	v_mov_b32_e32 v6, 0x800
	v_mov_b32_e32 v5, v10
	v_lshl_add_u32 v14, v1, 6, v6
	v_add_u32_e32 v6, s6, v7
	s_waitcnt lgkmcnt(0)
	v_mad_i64_i32 v[2:3], s[18:19], s18, v2, v[9:10]
	v_mad_i64_i32 v[4:5], s[18:19], s20, v6, v[4:5]
	s_mul_i32 s13, s13, s8
	s_mul_hi_u32 s21, s12, s8
	s_add_i32 s13, s21, s13
	s_mul_i32 s12, s12, s8
	s_lshl_b64 s[12:13], s[12:13], 3
	v_lshlrev_b64 v[4:5], 3, v[4:5]
	s_add_u32 s12, s16, s12
	s_addc_u32 s13, s17, s13
	v_add_co_u32_e32 v4, vcc, s12, v4
	s_mul_i32 s1, s1, s8
	s_mul_hi_u32 s12, s0, s8
	v_mov_b32_e32 v6, s13
	s_add_i32 s1, s12, s1
	s_mul_i32 s0, s0, s8
	v_addc_co_u32_e32 v5, vcc, v6, v5, vcc
	s_lshl_b64 s[0:1], s[0:1], 3
	v_add_co_u32_e32 v6, vcc, 4, v4
	v_lshlrev_b64 v[2:3], 3, v[2:3]
	s_add_u32 s0, s14, s0
	v_addc_co_u32_e32 v7, vcc, 0, v5, vcc
	s_addc_u32 s1, s15, s1
	v_mov_b32_e32 v4, s1
	v_add_co_u32_e32 v2, vcc, s0, v2
	v_addc_co_u32_e32 v3, vcc, v4, v3, vcc
	v_add_co_u32_e32 v8, vcc, 4, v2
	v_lshlrev_b32_e32 v13, 3, v0
	v_addc_co_u32_e32 v9, vcc, 0, v3, vcc
	v_mov_b32_e32 v15, v10
	v_mov_b32_e32 v16, v10
	;; [unrolled: 1-line block ×7, first 2 shown]
.LBB166_2:                              ; =>This Inner Loop Header: Depth=1
	global_load_dwordx2 v[2:3], v[6:7], off offset:-4
	v_add_co_u32_e32 v6, vcc, 64, v6
	v_addc_co_u32_e32 v7, vcc, 0, v7, vcc
	s_add_i32 s9, s9, 8
	s_cmp_ge_i32 s9, s11
	s_waitcnt vmcnt(0)
	ds_write_b64 v11, v[2:3]
	global_load_dwordx2 v[2:3], v[8:9], off offset:-4
	v_add_co_u32_e32 v8, vcc, 64, v8
	v_addc_co_u32_e32 v9, vcc, 0, v9, vcc
	s_waitcnt vmcnt(0)
	ds_write_b64 v12, v[2:3]
	s_waitcnt lgkmcnt(0)
	s_barrier
	ds_read_b128 v[22:25], v14
	ds_read_b128 v[26:29], v14 offset:16
	ds_read_b128 v[30:33], v14 offset:32
	;; [unrolled: 1-line block ×3, first 2 shown]
	ds_read2_b64 v[34:37], v13 offset1:16
	s_waitcnt lgkmcnt(0)
	v_mul_f32_e32 v38, v23, v35
	v_mul_f32_e32 v39, v22, v35
	v_fma_f32 v38, v22, v34, -v38
	v_fmac_f32_e32 v39, v23, v34
	v_add_f32_e32 v38, v20, v38
	v_add_f32_e32 v39, v21, v39
	v_mul_f32_e32 v20, v23, v37
	v_mul_f32_e32 v21, v22, v37
	v_fma_f32 v20, v22, v36, -v20
	v_fmac_f32_e32 v21, v23, v36
	v_add_f32_e32 v22, v19, v20
	v_add_f32_e32 v23, v18, v21
	ds_read_b128 v[18:21], v14 offset:1024
	s_waitcnt lgkmcnt(0)
	v_mul_f32_e32 v40, v19, v35
	v_mul_f32_e32 v35, v18, v35
	v_fma_f32 v40, v18, v34, -v40
	v_fmac_f32_e32 v35, v19, v34
	v_add_f32_e32 v34, v17, v40
	v_add_f32_e32 v35, v16, v35
	v_mul_f32_e32 v16, v19, v37
	v_mul_f32_e32 v17, v18, v37
	v_fma_f32 v16, v18, v36, -v16
	v_fmac_f32_e32 v17, v19, v36
	v_add_f32_e32 v19, v15, v16
	v_add_f32_e32 v10, v10, v17
	ds_read2_b64 v[15:18], v13 offset0:32 offset1:48
	s_waitcnt lgkmcnt(0)
	v_mul_f32_e32 v36, v25, v16
	v_fma_f32 v36, v24, v15, -v36
	v_add_f32_e32 v36, v38, v36
	v_mul_f32_e32 v38, v25, v18
	v_mul_f32_e32 v37, v24, v16
	v_fma_f32 v38, v24, v17, -v38
	v_mul_f32_e32 v24, v24, v18
	v_fmac_f32_e32 v24, v25, v17
	v_add_f32_e32 v23, v23, v24
	v_mul_f32_e32 v24, v21, v16
	v_mul_f32_e32 v16, v20, v16
	v_fmac_f32_e32 v16, v21, v15
	v_fmac_f32_e32 v37, v25, v15
	v_fma_f32 v24, v20, v15, -v24
	v_add_f32_e32 v25, v35, v16
	v_mul_f32_e32 v15, v21, v18
	v_mul_f32_e32 v16, v20, v18
	v_fma_f32 v15, v20, v17, -v15
	v_fmac_f32_e32 v16, v21, v17
	v_add_f32_e32 v24, v34, v24
	v_add_f32_e32 v34, v19, v15
	;; [unrolled: 1-line block ×3, first 2 shown]
	ds_read2_b64 v[15:18], v13 offset0:64 offset1:80
	v_add_f32_e32 v37, v39, v37
	v_add_f32_e32 v22, v22, v38
	s_waitcnt lgkmcnt(0)
	v_mul_f32_e32 v19, v27, v16
	v_mul_f32_e32 v20, v26, v16
	v_fma_f32 v19, v26, v15, -v19
	v_fmac_f32_e32 v20, v27, v15
	v_add_f32_e32 v35, v36, v19
	v_add_f32_e32 v36, v37, v20
	v_mul_f32_e32 v19, v27, v18
	v_mul_f32_e32 v20, v26, v18
	v_fma_f32 v19, v26, v17, -v19
	v_fmac_f32_e32 v20, v27, v17
	v_add_f32_e32 v26, v22, v19
	v_add_f32_e32 v23, v23, v20
	ds_read_b128 v[19:22], v14 offset:1040
	s_waitcnt lgkmcnt(0)
	v_mul_f32_e32 v27, v20, v16
	v_mul_f32_e32 v16, v19, v16
	v_fmac_f32_e32 v16, v20, v15
	v_fma_f32 v27, v19, v15, -v27
	v_add_f32_e32 v25, v25, v16
	v_mul_f32_e32 v15, v20, v18
	v_mul_f32_e32 v16, v19, v18
	v_fma_f32 v15, v19, v17, -v15
	v_fmac_f32_e32 v16, v20, v17
	v_add_f32_e32 v19, v34, v15
	v_add_f32_e32 v10, v10, v16
	ds_read2_b64 v[15:18], v13 offset0:96 offset1:112
	v_add_f32_e32 v24, v24, v27
	s_waitcnt lgkmcnt(0)
	v_mul_f32_e32 v20, v29, v16
	v_mul_f32_e32 v34, v29, v18
	v_fma_f32 v20, v28, v15, -v20
	v_mul_f32_e32 v27, v28, v16
	v_fma_f32 v34, v28, v17, -v34
	v_mul_f32_e32 v28, v28, v18
	v_fmac_f32_e32 v28, v29, v17
	v_add_f32_e32 v23, v23, v28
	v_mul_f32_e32 v28, v22, v16
	v_mul_f32_e32 v16, v21, v16
	v_fmac_f32_e32 v16, v22, v15
	v_fmac_f32_e32 v27, v29, v15
	v_fma_f32 v28, v21, v15, -v28
	v_add_f32_e32 v25, v25, v16
	v_mul_f32_e32 v15, v22, v18
	v_mul_f32_e32 v16, v21, v18
	v_fma_f32 v15, v21, v17, -v15
	v_fmac_f32_e32 v16, v22, v17
	v_add_f32_e32 v24, v24, v28
	v_add_f32_e32 v28, v19, v15
	v_add_f32_e32 v10, v10, v16
	ds_read2_b64 v[15:18], v13 offset0:128 offset1:144
	v_add_f32_e32 v20, v35, v20
	v_add_f32_e32 v27, v36, v27
	;; [unrolled: 1-line block ×3, first 2 shown]
	s_waitcnt lgkmcnt(0)
	v_mul_f32_e32 v19, v31, v16
	v_fma_f32 v19, v30, v15, -v19
	v_mul_f32_e32 v21, v30, v16
	v_add_f32_e32 v29, v20, v19
	v_mul_f32_e32 v19, v31, v18
	v_mul_f32_e32 v20, v30, v18
	v_fmac_f32_e32 v21, v31, v15
	v_fma_f32 v19, v30, v17, -v19
	v_fmac_f32_e32 v20, v31, v17
	v_add_f32_e32 v27, v27, v21
	v_add_f32_e32 v26, v26, v19
	;; [unrolled: 1-line block ×3, first 2 shown]
	ds_read_b128 v[19:22], v14 offset:1056
	s_waitcnt lgkmcnt(0)
	v_mul_f32_e32 v30, v20, v16
	v_mul_f32_e32 v16, v19, v16
	v_fmac_f32_e32 v16, v20, v15
	v_fma_f32 v30, v19, v15, -v30
	v_add_f32_e32 v25, v25, v16
	v_mul_f32_e32 v15, v20, v18
	v_mul_f32_e32 v16, v19, v18
	v_fma_f32 v15, v19, v17, -v15
	v_fmac_f32_e32 v16, v20, v17
	v_add_f32_e32 v19, v28, v15
	v_add_f32_e32 v10, v10, v16
	ds_read2_b64 v[15:18], v13 offset0:160 offset1:176
	v_add_f32_e32 v24, v24, v30
	s_waitcnt lgkmcnt(0)
	v_mul_f32_e32 v28, v32, v16
	v_fmac_f32_e32 v28, v33, v15
	v_add_f32_e32 v27, v27, v28
	v_mul_f32_e32 v28, v33, v18
	v_fma_f32 v28, v32, v17, -v28
	v_mul_f32_e32 v20, v33, v16
	v_add_f32_e32 v26, v26, v28
	v_mul_f32_e32 v28, v22, v16
	v_mul_f32_e32 v16, v21, v16
	v_fmac_f32_e32 v16, v22, v15
	v_fma_f32 v20, v32, v15, -v20
	v_fma_f32 v28, v21, v15, -v28
	v_add_f32_e32 v25, v25, v16
	v_mul_f32_e32 v15, v22, v18
	v_mul_f32_e32 v16, v21, v18
	v_add_f32_e32 v20, v29, v20
	v_mul_f32_e32 v29, v32, v18
	v_fma_f32 v15, v21, v17, -v15
	v_fmac_f32_e32 v16, v22, v17
	v_fmac_f32_e32 v29, v33, v17
	v_add_f32_e32 v19, v19, v15
	v_add_f32_e32 v10, v10, v16
	ds_read2_b64 v[15:18], v13 offset0:192 offset1:208
	v_add_f32_e32 v24, v24, v28
	v_add_f32_e32 v23, v23, v29
	s_waitcnt lgkmcnt(0)
	v_mul_f32_e32 v21, v3, v16
	v_fma_f32 v21, v2, v15, -v21
	v_add_f32_e32 v28, v20, v21
	v_mul_f32_e32 v20, v3, v18
	v_mul_f32_e32 v22, v2, v16
	v_fma_f32 v20, v2, v17, -v20
	v_mul_f32_e32 v2, v2, v18
	v_fmac_f32_e32 v22, v3, v15
	v_fmac_f32_e32 v2, v3, v17
	v_add_f32_e32 v29, v27, v22
	v_add_f32_e32 v3, v26, v20
	;; [unrolled: 1-line block ×3, first 2 shown]
	ds_read_b128 v[20:23], v14 offset:1072
	s_waitcnt lgkmcnt(0)
	v_mul_f32_e32 v26, v21, v16
	v_fma_f32 v26, v20, v15, -v26
	v_mul_f32_e32 v16, v20, v16
	v_fmac_f32_e32 v16, v21, v15
	v_add_f32_e32 v15, v24, v26
	v_mul_f32_e32 v24, v21, v18
	v_fma_f32 v24, v20, v17, -v24
	v_add_f32_e32 v16, v25, v16
	v_add_f32_e32 v30, v19, v24
	ds_read2_b64 v[24:27], v13 offset0:224 offset1:240
	v_mul_f32_e32 v18, v20, v18
	v_fmac_f32_e32 v18, v21, v17
	v_add_f32_e32 v10, v10, v18
	s_waitcnt lgkmcnt(0)
	v_mul_f32_e32 v17, v5, v25
	v_fma_f32 v17, v4, v24, -v17
	v_add_f32_e32 v20, v28, v17
	v_mul_f32_e32 v17, v5, v27
	v_mul_f32_e32 v18, v4, v25
	v_fma_f32 v17, v4, v26, -v17
	v_mul_f32_e32 v4, v4, v27
	v_fmac_f32_e32 v18, v5, v24
	v_fmac_f32_e32 v4, v5, v26
	v_add_f32_e32 v21, v29, v18
	v_add_f32_e32 v19, v3, v17
	;; [unrolled: 1-line block ×3, first 2 shown]
	v_mul_f32_e32 v2, v23, v25
	v_mul_f32_e32 v3, v22, v25
	v_fma_f32 v2, v22, v24, -v2
	v_fmac_f32_e32 v3, v23, v24
	v_add_f32_e32 v17, v15, v2
	v_add_f32_e32 v16, v16, v3
	v_mul_f32_e32 v2, v23, v27
	v_mul_f32_e32 v3, v22, v27
	v_fma_f32 v2, v22, v26, -v2
	v_fmac_f32_e32 v3, v23, v26
	v_add_f32_e32 v15, v30, v2
	v_add_f32_e32 v10, v10, v3
	s_barrier
	s_cbranch_scc0 .LBB166_2
	s_branch .LBB166_4
.LBB166_3:
	v_mov_b32_e32 v20, 0
	v_mov_b32_e32 v21, 0
	v_mov_b32_e32 v19, 0
	v_mov_b32_e32 v18, 0
	v_mov_b32_e32 v17, 0
	v_mov_b32_e32 v16, 0
	v_mov_b32_e32 v15, 0
	v_mov_b32_e32 v10, 0
.LBB166_4:
	s_load_dwordx2 s[0:1], s[4:5], 0x48
	s_load_dword s9, s[4:5], 0x40
	v_add_u32_e32 v4, s7, v1
	v_add_u32_e32 v0, s6, v0
	v_cmp_gt_i32_e32 vcc, s10, v4
	s_waitcnt lgkmcnt(0)
	s_mul_i32 s1, s1, s8
	v_mad_i64_i32 v[1:2], s[12:13], v4, s9, 0
	s_mul_hi_u32 s4, s0, s8
	s_mul_i32 s0, s0, s8
	s_add_i32 s1, s4, s1
	s_lshl_b64 s[0:1], s[0:1], 3
	s_add_u32 s4, s2, s0
	v_lshlrev_b64 v[1:2], 3, v[1:2]
	s_addc_u32 s5, s3, s1
	v_mov_b32_e32 v3, s5
	v_add_co_u32_e64 v5, s[0:1], s4, v1
	v_addc_co_u32_e64 v6, s[0:1], v3, v2, s[0:1]
	v_cmp_le_i32_e64 s[0:1], v0, v4
	s_and_b64 s[0:1], vcc, s[0:1]
	s_and_saveexec_b64 s[2:3], s[0:1]
	s_cbranch_execz .LBB166_6
; %bb.5:
	v_ashrrev_i32_e32 v1, 31, v0
	v_lshlrev_b64 v[1:2], 3, v[0:1]
	v_add_co_u32_e64 v1, s[0:1], v5, v1
	v_addc_co_u32_e64 v2, s[0:1], v6, v2, s[0:1]
	global_load_dwordx2 v[7:8], v[1:2], off
	s_waitcnt vmcnt(0)
	v_sub_f32_e32 v7, v20, v7
	v_sub_f32_e32 v8, v21, v8
	global_store_dwordx2 v[1:2], v[7:8], off
.LBB166_6:
	s_or_b64 exec, exec, s[2:3]
	v_add_u32_e32 v2, 16, v0
	v_cmp_le_i32_e64 s[0:1], v2, v4
	s_and_b64 s[2:3], vcc, s[0:1]
	s_and_saveexec_b64 s[0:1], s[2:3]
	s_cbranch_execz .LBB166_8
; %bb.7:
	v_ashrrev_i32_e32 v3, 31, v2
	v_lshlrev_b64 v[7:8], 3, v[2:3]
	v_add_co_u32_e32 v5, vcc, v5, v7
	v_addc_co_u32_e32 v6, vcc, v6, v8, vcc
	global_load_dwordx2 v[7:8], v[5:6], off
	s_waitcnt vmcnt(0)
	v_sub_f32_e32 v7, v19, v7
	v_sub_f32_e32 v8, v18, v8
	global_store_dwordx2 v[5:6], v[7:8], off
.LBB166_8:
	s_or_b64 exec, exec, s[0:1]
	v_add_u32_e32 v3, 16, v4
	v_mad_i64_i32 v[4:5], s[0:1], v3, s9, 0
	v_mov_b32_e32 v1, s5
	v_cmp_gt_i32_e32 vcc, s10, v3
	v_lshlrev_b64 v[4:5], 3, v[4:5]
	v_add_co_u32_e64 v4, s[0:1], s4, v4
	v_addc_co_u32_e64 v5, s[0:1], v1, v5, s[0:1]
	v_cmp_le_i32_e64 s[0:1], v0, v3
	s_and_b64 s[0:1], vcc, s[0:1]
	s_and_saveexec_b64 s[2:3], s[0:1]
	s_cbranch_execz .LBB166_10
; %bb.9:
	v_ashrrev_i32_e32 v1, 31, v0
	v_lshlrev_b64 v[0:1], 3, v[0:1]
	v_add_co_u32_e64 v0, s[0:1], v4, v0
	v_addc_co_u32_e64 v1, s[0:1], v5, v1, s[0:1]
	global_load_dwordx2 v[6:7], v[0:1], off
	s_waitcnt vmcnt(0)
	v_sub_f32_e32 v6, v17, v6
	v_sub_f32_e32 v7, v16, v7
	global_store_dwordx2 v[0:1], v[6:7], off
.LBB166_10:
	s_or_b64 exec, exec, s[2:3]
	v_cmp_le_i32_e64 s[0:1], v2, v3
	s_and_b64 s[0:1], vcc, s[0:1]
	s_and_saveexec_b64 s[2:3], s[0:1]
	s_cbranch_execz .LBB166_12
; %bb.11:
	v_ashrrev_i32_e32 v3, 31, v2
	v_lshlrev_b64 v[0:1], 3, v[2:3]
	v_add_co_u32_e32 v0, vcc, v4, v0
	v_addc_co_u32_e32 v1, vcc, v5, v1, vcc
	global_load_dwordx2 v[2:3], v[0:1], off
	s_waitcnt vmcnt(0)
	v_sub_f32_e32 v2, v15, v2
	v_sub_f32_e32 v3, v10, v3
	global_store_dwordx2 v[0:1], v[2:3], off
.LBB166_12:
	s_endpgm
	.section	.rodata,"a",@progbits
	.p2align	6, 0x0
	.amdhsa_kernel _ZL37rocblas_syrkx_herkx_restricted_kernelIi19rocblas_complex_numIfELi16ELi32ELi8ELi1ELin1ELb0ELc67ELc85EKS1_S1_EviT_PT9_S3_lS5_S3_lPT10_S3_li
		.amdhsa_group_segment_fixed_size 4096
		.amdhsa_private_segment_fixed_size 0
		.amdhsa_kernarg_size 84
		.amdhsa_user_sgpr_count 6
		.amdhsa_user_sgpr_private_segment_buffer 1
		.amdhsa_user_sgpr_dispatch_ptr 0
		.amdhsa_user_sgpr_queue_ptr 0
		.amdhsa_user_sgpr_kernarg_segment_ptr 1
		.amdhsa_user_sgpr_dispatch_id 0
		.amdhsa_user_sgpr_flat_scratch_init 0
		.amdhsa_user_sgpr_private_segment_size 0
		.amdhsa_uses_dynamic_stack 0
		.amdhsa_system_sgpr_private_segment_wavefront_offset 0
		.amdhsa_system_sgpr_workgroup_id_x 1
		.amdhsa_system_sgpr_workgroup_id_y 1
		.amdhsa_system_sgpr_workgroup_id_z 1
		.amdhsa_system_sgpr_workgroup_info 0
		.amdhsa_system_vgpr_workitem_id 1
		.amdhsa_next_free_vgpr 41
		.amdhsa_next_free_sgpr 22
		.amdhsa_reserve_vcc 1
		.amdhsa_reserve_flat_scratch 0
		.amdhsa_float_round_mode_32 0
		.amdhsa_float_round_mode_16_64 0
		.amdhsa_float_denorm_mode_32 3
		.amdhsa_float_denorm_mode_16_64 3
		.amdhsa_dx10_clamp 1
		.amdhsa_ieee_mode 1
		.amdhsa_fp16_overflow 0
		.amdhsa_exception_fp_ieee_invalid_op 0
		.amdhsa_exception_fp_denorm_src 0
		.amdhsa_exception_fp_ieee_div_zero 0
		.amdhsa_exception_fp_ieee_overflow 0
		.amdhsa_exception_fp_ieee_underflow 0
		.amdhsa_exception_fp_ieee_inexact 0
		.amdhsa_exception_int_div_zero 0
	.end_amdhsa_kernel
	.section	.text._ZL37rocblas_syrkx_herkx_restricted_kernelIi19rocblas_complex_numIfELi16ELi32ELi8ELi1ELin1ELb0ELc67ELc85EKS1_S1_EviT_PT9_S3_lS5_S3_lPT10_S3_li,"axG",@progbits,_ZL37rocblas_syrkx_herkx_restricted_kernelIi19rocblas_complex_numIfELi16ELi32ELi8ELi1ELin1ELb0ELc67ELc85EKS1_S1_EviT_PT9_S3_lS5_S3_lPT10_S3_li,comdat
.Lfunc_end166:
	.size	_ZL37rocblas_syrkx_herkx_restricted_kernelIi19rocblas_complex_numIfELi16ELi32ELi8ELi1ELin1ELb0ELc67ELc85EKS1_S1_EviT_PT9_S3_lS5_S3_lPT10_S3_li, .Lfunc_end166-_ZL37rocblas_syrkx_herkx_restricted_kernelIi19rocblas_complex_numIfELi16ELi32ELi8ELi1ELin1ELb0ELc67ELc85EKS1_S1_EviT_PT9_S3_lS5_S3_lPT10_S3_li
                                        ; -- End function
	.set _ZL37rocblas_syrkx_herkx_restricted_kernelIi19rocblas_complex_numIfELi16ELi32ELi8ELi1ELin1ELb0ELc67ELc85EKS1_S1_EviT_PT9_S3_lS5_S3_lPT10_S3_li.num_vgpr, 41
	.set _ZL37rocblas_syrkx_herkx_restricted_kernelIi19rocblas_complex_numIfELi16ELi32ELi8ELi1ELin1ELb0ELc67ELc85EKS1_S1_EviT_PT9_S3_lS5_S3_lPT10_S3_li.num_agpr, 0
	.set _ZL37rocblas_syrkx_herkx_restricted_kernelIi19rocblas_complex_numIfELi16ELi32ELi8ELi1ELin1ELb0ELc67ELc85EKS1_S1_EviT_PT9_S3_lS5_S3_lPT10_S3_li.numbered_sgpr, 22
	.set _ZL37rocblas_syrkx_herkx_restricted_kernelIi19rocblas_complex_numIfELi16ELi32ELi8ELi1ELin1ELb0ELc67ELc85EKS1_S1_EviT_PT9_S3_lS5_S3_lPT10_S3_li.num_named_barrier, 0
	.set _ZL37rocblas_syrkx_herkx_restricted_kernelIi19rocblas_complex_numIfELi16ELi32ELi8ELi1ELin1ELb0ELc67ELc85EKS1_S1_EviT_PT9_S3_lS5_S3_lPT10_S3_li.private_seg_size, 0
	.set _ZL37rocblas_syrkx_herkx_restricted_kernelIi19rocblas_complex_numIfELi16ELi32ELi8ELi1ELin1ELb0ELc67ELc85EKS1_S1_EviT_PT9_S3_lS5_S3_lPT10_S3_li.uses_vcc, 1
	.set _ZL37rocblas_syrkx_herkx_restricted_kernelIi19rocblas_complex_numIfELi16ELi32ELi8ELi1ELin1ELb0ELc67ELc85EKS1_S1_EviT_PT9_S3_lS5_S3_lPT10_S3_li.uses_flat_scratch, 0
	.set _ZL37rocblas_syrkx_herkx_restricted_kernelIi19rocblas_complex_numIfELi16ELi32ELi8ELi1ELin1ELb0ELc67ELc85EKS1_S1_EviT_PT9_S3_lS5_S3_lPT10_S3_li.has_dyn_sized_stack, 0
	.set _ZL37rocblas_syrkx_herkx_restricted_kernelIi19rocblas_complex_numIfELi16ELi32ELi8ELi1ELin1ELb0ELc67ELc85EKS1_S1_EviT_PT9_S3_lS5_S3_lPT10_S3_li.has_recursion, 0
	.set _ZL37rocblas_syrkx_herkx_restricted_kernelIi19rocblas_complex_numIfELi16ELi32ELi8ELi1ELin1ELb0ELc67ELc85EKS1_S1_EviT_PT9_S3_lS5_S3_lPT10_S3_li.has_indirect_call, 0
	.section	.AMDGPU.csdata,"",@progbits
; Kernel info:
; codeLenInByte = 1960
; TotalNumSgprs: 26
; NumVgprs: 41
; ScratchSize: 0
; MemoryBound: 0
; FloatMode: 240
; IeeeMode: 1
; LDSByteSize: 4096 bytes/workgroup (compile time only)
; SGPRBlocks: 3
; VGPRBlocks: 10
; NumSGPRsForWavesPerEU: 26
; NumVGPRsForWavesPerEU: 41
; Occupancy: 5
; WaveLimiterHint : 0
; COMPUTE_PGM_RSRC2:SCRATCH_EN: 0
; COMPUTE_PGM_RSRC2:USER_SGPR: 6
; COMPUTE_PGM_RSRC2:TRAP_HANDLER: 0
; COMPUTE_PGM_RSRC2:TGID_X_EN: 1
; COMPUTE_PGM_RSRC2:TGID_Y_EN: 1
; COMPUTE_PGM_RSRC2:TGID_Z_EN: 1
; COMPUTE_PGM_RSRC2:TIDIG_COMP_CNT: 1
	.section	.text._ZL37rocblas_syrkx_herkx_restricted_kernelIi19rocblas_complex_numIfELi16ELi32ELi8ELi1ELin1ELb0ELc78ELc85EKS1_S1_EviT_PT9_S3_lS5_S3_lPT10_S3_li,"axG",@progbits,_ZL37rocblas_syrkx_herkx_restricted_kernelIi19rocblas_complex_numIfELi16ELi32ELi8ELi1ELin1ELb0ELc78ELc85EKS1_S1_EviT_PT9_S3_lS5_S3_lPT10_S3_li,comdat
	.globl	_ZL37rocblas_syrkx_herkx_restricted_kernelIi19rocblas_complex_numIfELi16ELi32ELi8ELi1ELin1ELb0ELc78ELc85EKS1_S1_EviT_PT9_S3_lS5_S3_lPT10_S3_li ; -- Begin function _ZL37rocblas_syrkx_herkx_restricted_kernelIi19rocblas_complex_numIfELi16ELi32ELi8ELi1ELin1ELb0ELc78ELc85EKS1_S1_EviT_PT9_S3_lS5_S3_lPT10_S3_li
	.p2align	8
	.type	_ZL37rocblas_syrkx_herkx_restricted_kernelIi19rocblas_complex_numIfELi16ELi32ELi8ELi1ELin1ELb0ELc78ELc85EKS1_S1_EviT_PT9_S3_lS5_S3_lPT10_S3_li,@function
_ZL37rocblas_syrkx_herkx_restricted_kernelIi19rocblas_complex_numIfELi16ELi32ELi8ELi1ELin1ELb0ELc78ELc85EKS1_S1_EviT_PT9_S3_lS5_S3_lPT10_S3_li: ; @_ZL37rocblas_syrkx_herkx_restricted_kernelIi19rocblas_complex_numIfELi16ELi32ELi8ELi1ELin1ELb0ELc78ELc85EKS1_S1_EviT_PT9_S3_lS5_S3_lPT10_S3_li
; %bb.0:
	s_load_dwordx2 s[10:11], s[4:5], 0x0
	s_load_dwordx4 s[0:3], s[4:5], 0x30
	s_lshl_b32 s9, s6, 5
	s_lshl_b32 s16, s7, 5
	s_mov_b32 s17, 0
	s_waitcnt lgkmcnt(0)
	s_cmp_lt_i32 s11, 1
	s_cbranch_scc1 .LBB167_3
; %bb.1:
	v_lshl_add_u32 v5, v1, 4, v0
	s_load_dword s6, s[4:5], 0x10
	s_load_dword s18, s[4:5], 0x28
	s_load_dwordx2 s[20:21], s[4:5], 0x8
	s_load_dwordx4 s[12:15], s[4:5], 0x18
	v_lshrrev_b32_e32 v6, 3, v5
	v_add_u32_e32 v2, s16, v6
	v_and_b32_e32 v4, 7, v0
	v_ashrrev_i32_e32 v3, 31, v2
	s_waitcnt lgkmcnt(0)
	v_mad_i64_i32 v[2:3], s[22:23], s18, v4, v[2:3]
	v_lshlrev_b32_e32 v4, 3, v4
	v_lshl_or_b32 v4, v6, 6, v4
	v_lshrrev_b32_e32 v7, 5, v5
	v_and_b32_e32 v5, 31, v5
	v_add_u32_e32 v11, 0x800, v4
	v_mov_b32_e32 v4, 0x800
	v_lshl_add_u32 v13, v1, 6, v4
	v_add_u32_e32 v4, s9, v5
	v_lshlrev_b32_e32 v8, 3, v5
	v_ashrrev_i32_e32 v5, 31, v4
	v_mad_i64_i32 v[4:5], s[22:23], s6, v7, v[4:5]
	s_mul_i32 s13, s13, s8
	s_mul_hi_u32 s24, s12, s8
	s_add_i32 s13, s24, s13
	s_mul_i32 s12, s12, s8
	s_ashr_i32 s7, s6, 31
	s_ashr_i32 s19, s18, 31
	s_lshl_b64 s[12:13], s[12:13], 3
	v_lshlrev_b64 v[4:5], 3, v[4:5]
	s_add_u32 s12, s20, s12
	s_addc_u32 s13, s21, s13
	v_add_co_u32_e32 v4, vcc, s12, v4
	s_mul_i32 s1, s1, s8
	s_mul_hi_u32 s12, s0, s8
	v_mov_b32_e32 v6, s13
	s_add_i32 s1, s12, s1
	s_mul_i32 s0, s0, s8
	v_addc_co_u32_e32 v5, vcc, v6, v5, vcc
	s_lshl_b64 s[6:7], s[6:7], 6
	s_lshl_b64 s[0:1], s[0:1], 3
	v_add_co_u32_e32 v6, vcc, 4, v4
	v_lshlrev_b64 v[2:3], 3, v[2:3]
	s_add_u32 s0, s14, s0
	v_lshl_or_b32 v10, v7, 8, v8
	v_addc_co_u32_e32 v7, vcc, 0, v5, vcc
	s_addc_u32 s1, s15, s1
	v_mov_b32_e32 v4, s1
	v_add_co_u32_e32 v2, vcc, s0, v2
	v_addc_co_u32_e32 v3, vcc, v4, v3, vcc
	v_add_co_u32_e32 v8, vcc, 4, v2
	s_lshl_b64 s[0:1], s[18:19], 6
	v_lshlrev_b32_e32 v12, 3, v0
	v_addc_co_u32_e32 v9, vcc, 0, v3, vcc
	v_mov_b32_e32 v16, 0
	v_mov_b32_e32 v14, s7
	;; [unrolled: 1-line block ×10, first 2 shown]
.LBB167_2:                              ; =>This Inner Loop Header: Depth=1
	global_load_dwordx2 v[2:3], v[6:7], off offset:-4
	v_add_co_u32_e32 v6, vcc, s6, v6
	v_addc_co_u32_e32 v7, vcc, v7, v14, vcc
	s_add_i32 s17, s17, 8
	s_cmp_ge_i32 s17, s11
	s_waitcnt vmcnt(0)
	ds_write_b64 v10, v[2:3]
	global_load_dwordx2 v[2:3], v[8:9], off offset:-4
	v_add_co_u32_e32 v8, vcc, s0, v8
	v_addc_co_u32_e32 v9, vcc, v9, v15, vcc
	s_waitcnt vmcnt(0)
	ds_write_b64 v11, v[2:3]
	s_waitcnt lgkmcnt(0)
	s_barrier
	ds_read_b128 v[24:27], v13
	ds_read_b128 v[28:31], v13 offset:16
	ds_read_b128 v[32:35], v13 offset:32
	;; [unrolled: 1-line block ×3, first 2 shown]
	ds_read2_b64 v[36:39], v12 offset1:16
	s_waitcnt lgkmcnt(0)
	v_mul_f32_e32 v40, v25, v37
	v_mul_f32_e32 v41, v24, v37
	v_fma_f32 v40, v24, v36, -v40
	v_fmac_f32_e32 v41, v25, v36
	v_add_f32_e32 v40, v22, v40
	v_add_f32_e32 v41, v23, v41
	v_mul_f32_e32 v22, v25, v39
	v_mul_f32_e32 v23, v24, v39
	v_fma_f32 v22, v24, v38, -v22
	v_fmac_f32_e32 v23, v25, v38
	v_add_f32_e32 v24, v21, v22
	v_add_f32_e32 v25, v20, v23
	ds_read_b128 v[20:23], v13 offset:1024
	s_waitcnt lgkmcnt(0)
	v_mul_f32_e32 v42, v21, v37
	v_mul_f32_e32 v37, v20, v37
	v_fma_f32 v42, v20, v36, -v42
	v_fmac_f32_e32 v37, v21, v36
	v_add_f32_e32 v36, v19, v42
	v_add_f32_e32 v37, v18, v37
	v_mul_f32_e32 v18, v21, v39
	v_mul_f32_e32 v19, v20, v39
	v_fma_f32 v18, v20, v38, -v18
	v_fmac_f32_e32 v19, v21, v38
	v_add_f32_e32 v20, v17, v18
	v_add_f32_e32 v21, v16, v19
	ds_read2_b64 v[16:19], v12 offset0:32 offset1:48
	s_waitcnt lgkmcnt(0)
	v_mul_f32_e32 v38, v27, v17
	v_fma_f32 v38, v26, v16, -v38
	v_add_f32_e32 v38, v40, v38
	v_mul_f32_e32 v40, v27, v19
	v_mul_f32_e32 v39, v26, v17
	v_fma_f32 v40, v26, v18, -v40
	v_mul_f32_e32 v26, v26, v19
	v_fmac_f32_e32 v26, v27, v18
	v_add_f32_e32 v25, v25, v26
	v_mul_f32_e32 v26, v23, v17
	v_mul_f32_e32 v17, v22, v17
	v_fmac_f32_e32 v17, v23, v16
	v_fmac_f32_e32 v39, v27, v16
	v_fma_f32 v26, v22, v16, -v26
	v_add_f32_e32 v27, v37, v17
	v_mul_f32_e32 v16, v23, v19
	v_mul_f32_e32 v17, v22, v19
	v_fma_f32 v16, v22, v18, -v16
	v_fmac_f32_e32 v17, v23, v18
	v_add_f32_e32 v26, v36, v26
	v_add_f32_e32 v36, v20, v16
	;; [unrolled: 1-line block ×3, first 2 shown]
	ds_read2_b64 v[16:19], v12 offset0:64 offset1:80
	v_add_f32_e32 v39, v41, v39
	v_add_f32_e32 v24, v24, v40
	s_waitcnt lgkmcnt(0)
	v_mul_f32_e32 v20, v29, v17
	v_mul_f32_e32 v21, v28, v17
	v_fma_f32 v20, v28, v16, -v20
	v_fmac_f32_e32 v21, v29, v16
	v_add_f32_e32 v38, v38, v20
	v_add_f32_e32 v39, v39, v21
	v_mul_f32_e32 v20, v29, v19
	v_mul_f32_e32 v21, v28, v19
	v_fma_f32 v20, v28, v18, -v20
	v_fmac_f32_e32 v21, v29, v18
	v_add_f32_e32 v24, v24, v20
	v_add_f32_e32 v25, v25, v21
	ds_read_b128 v[20:23], v13 offset:1040
	s_waitcnt lgkmcnt(0)
	v_mul_f32_e32 v28, v21, v17
	v_mul_f32_e32 v17, v20, v17
	v_fmac_f32_e32 v17, v21, v16
	v_fma_f32 v28, v20, v16, -v28
	v_add_f32_e32 v27, v27, v17
	v_mul_f32_e32 v16, v21, v19
	v_mul_f32_e32 v17, v20, v19
	v_fma_f32 v16, v20, v18, -v16
	v_fmac_f32_e32 v17, v21, v18
	v_add_f32_e32 v20, v36, v16
	v_add_f32_e32 v21, v37, v17
	ds_read2_b64 v[16:19], v12 offset0:96 offset1:112
	v_add_f32_e32 v26, v26, v28
	s_waitcnt lgkmcnt(0)
	v_mul_f32_e32 v28, v31, v17
	v_mul_f32_e32 v36, v31, v19
	v_fma_f32 v28, v30, v16, -v28
	v_mul_f32_e32 v29, v30, v17
	v_fma_f32 v36, v30, v18, -v36
	v_mul_f32_e32 v30, v30, v19
	v_fmac_f32_e32 v30, v31, v18
	v_add_f32_e32 v25, v25, v30
	v_mul_f32_e32 v30, v23, v17
	v_mul_f32_e32 v17, v22, v17
	v_fmac_f32_e32 v17, v23, v16
	v_fmac_f32_e32 v29, v31, v16
	v_fma_f32 v30, v22, v16, -v30
	v_add_f32_e32 v27, v27, v17
	v_mul_f32_e32 v16, v23, v19
	v_mul_f32_e32 v17, v22, v19
	v_fma_f32 v16, v22, v18, -v16
	v_fmac_f32_e32 v17, v23, v18
	v_add_f32_e32 v26, v26, v30
	v_add_f32_e32 v30, v20, v16
	;; [unrolled: 1-line block ×3, first 2 shown]
	ds_read2_b64 v[16:19], v12 offset0:128 offset1:144
	v_add_f32_e32 v28, v38, v28
	v_add_f32_e32 v29, v39, v29
	;; [unrolled: 1-line block ×3, first 2 shown]
	s_waitcnt lgkmcnt(0)
	v_mul_f32_e32 v20, v33, v17
	v_mul_f32_e32 v21, v32, v17
	v_fma_f32 v20, v32, v16, -v20
	v_fmac_f32_e32 v21, v33, v16
	v_add_f32_e32 v28, v28, v20
	v_add_f32_e32 v29, v29, v21
	v_mul_f32_e32 v20, v33, v19
	v_mul_f32_e32 v21, v32, v19
	v_fma_f32 v20, v32, v18, -v20
	v_fmac_f32_e32 v21, v33, v18
	v_add_f32_e32 v24, v24, v20
	v_add_f32_e32 v25, v25, v21
	ds_read_b128 v[20:23], v13 offset:1056
	s_waitcnt lgkmcnt(0)
	v_mul_f32_e32 v32, v21, v17
	v_mul_f32_e32 v17, v20, v17
	v_fmac_f32_e32 v17, v21, v16
	v_fma_f32 v32, v20, v16, -v32
	v_add_f32_e32 v27, v27, v17
	v_mul_f32_e32 v16, v21, v19
	v_mul_f32_e32 v17, v20, v19
	v_fma_f32 v16, v20, v18, -v16
	v_fmac_f32_e32 v17, v21, v18
	v_add_f32_e32 v20, v30, v16
	v_add_f32_e32 v21, v31, v17
	ds_read2_b64 v[16:19], v12 offset0:160 offset1:176
	v_add_f32_e32 v26, v26, v32
	s_waitcnt lgkmcnt(0)
	v_mul_f32_e32 v30, v35, v17
	v_fma_f32 v30, v34, v16, -v30
	v_add_f32_e32 v28, v28, v30
	v_mul_f32_e32 v30, v35, v19
	v_fma_f32 v30, v34, v18, -v30
	v_mul_f32_e32 v31, v34, v17
	v_add_f32_e32 v24, v24, v30
	v_mul_f32_e32 v30, v23, v17
	v_mul_f32_e32 v17, v22, v17
	v_fmac_f32_e32 v17, v23, v16
	v_fmac_f32_e32 v31, v35, v16
	v_fma_f32 v30, v22, v16, -v30
	v_add_f32_e32 v27, v27, v17
	v_mul_f32_e32 v16, v23, v19
	v_mul_f32_e32 v17, v22, v19
	v_add_f32_e32 v29, v29, v31
	v_mul_f32_e32 v31, v34, v19
	v_fma_f32 v16, v22, v18, -v16
	v_fmac_f32_e32 v17, v23, v18
	v_fmac_f32_e32 v31, v35, v18
	v_add_f32_e32 v20, v20, v16
	v_add_f32_e32 v21, v21, v17
	ds_read2_b64 v[16:19], v12 offset0:192 offset1:208
	v_add_f32_e32 v26, v26, v30
	v_add_f32_e32 v25, v25, v31
	s_waitcnt lgkmcnt(0)
	v_mul_f32_e32 v22, v3, v17
	v_fma_f32 v22, v2, v16, -v22
	v_add_f32_e32 v30, v28, v22
	v_mul_f32_e32 v22, v3, v19
	v_mul_f32_e32 v23, v2, v17
	v_fma_f32 v22, v2, v18, -v22
	v_mul_f32_e32 v2, v2, v19
	v_fmac_f32_e32 v23, v3, v16
	v_fmac_f32_e32 v2, v3, v18
	v_add_f32_e32 v31, v29, v23
	v_add_f32_e32 v3, v24, v22
	;; [unrolled: 1-line block ×3, first 2 shown]
	ds_read_b128 v[22:25], v13 offset:1072
	s_waitcnt lgkmcnt(0)
	v_mul_f32_e32 v28, v23, v17
	v_fma_f32 v28, v22, v16, -v28
	v_mul_f32_e32 v17, v22, v17
	v_fmac_f32_e32 v17, v23, v16
	v_add_f32_e32 v16, v26, v28
	v_mul_f32_e32 v26, v23, v19
	v_fma_f32 v26, v22, v18, -v26
	v_add_f32_e32 v17, v27, v17
	v_add_f32_e32 v32, v20, v26
	ds_read2_b64 v[26:29], v12 offset0:224 offset1:240
	v_mul_f32_e32 v19, v22, v19
	v_fmac_f32_e32 v19, v23, v18
	v_add_f32_e32 v33, v21, v19
	s_waitcnt lgkmcnt(0)
	v_mul_f32_e32 v18, v5, v27
	v_fma_f32 v18, v4, v26, -v18
	v_add_f32_e32 v22, v30, v18
	v_mul_f32_e32 v18, v5, v29
	v_mul_f32_e32 v19, v4, v27
	v_fma_f32 v18, v4, v28, -v18
	v_mul_f32_e32 v4, v4, v29
	v_fmac_f32_e32 v4, v5, v28
	v_add_f32_e32 v21, v3, v18
	v_add_f32_e32 v20, v2, v4
	v_mul_f32_e32 v2, v25, v27
	v_mul_f32_e32 v3, v24, v27
	v_fmac_f32_e32 v19, v5, v26
	v_fma_f32 v2, v24, v26, -v2
	v_fmac_f32_e32 v3, v25, v26
	v_add_f32_e32 v23, v31, v19
	v_add_f32_e32 v19, v16, v2
	;; [unrolled: 1-line block ×3, first 2 shown]
	v_mul_f32_e32 v2, v25, v29
	v_mul_f32_e32 v3, v24, v29
	v_fma_f32 v2, v24, v28, -v2
	v_fmac_f32_e32 v3, v25, v28
	v_add_f32_e32 v17, v32, v2
	v_add_f32_e32 v16, v33, v3
	s_barrier
	s_cbranch_scc0 .LBB167_2
	s_branch .LBB167_4
.LBB167_3:
	v_mov_b32_e32 v22, 0
	v_mov_b32_e32 v23, 0
	;; [unrolled: 1-line block ×8, first 2 shown]
.LBB167_4:
	s_load_dwordx2 s[0:1], s[4:5], 0x48
	s_load_dword s6, s[4:5], 0x40
	v_add_u32_e32 v4, s16, v1
	v_add_u32_e32 v0, s9, v0
	v_cmp_gt_i32_e32 vcc, s10, v4
	s_waitcnt lgkmcnt(0)
	s_mul_i32 s1, s1, s8
	v_mad_i64_i32 v[1:2], s[12:13], v4, s6, 0
	s_mul_hi_u32 s4, s0, s8
	s_mul_i32 s0, s0, s8
	s_add_i32 s1, s4, s1
	s_lshl_b64 s[0:1], s[0:1], 3
	s_add_u32 s4, s2, s0
	v_lshlrev_b64 v[1:2], 3, v[1:2]
	s_addc_u32 s5, s3, s1
	v_mov_b32_e32 v3, s5
	v_add_co_u32_e64 v5, s[0:1], s4, v1
	v_addc_co_u32_e64 v6, s[0:1], v3, v2, s[0:1]
	v_cmp_le_i32_e64 s[0:1], v0, v4
	s_and_b64 s[0:1], vcc, s[0:1]
	s_and_saveexec_b64 s[2:3], s[0:1]
	s_cbranch_execz .LBB167_6
; %bb.5:
	v_ashrrev_i32_e32 v1, 31, v0
	v_lshlrev_b64 v[1:2], 3, v[0:1]
	v_add_co_u32_e64 v1, s[0:1], v5, v1
	v_addc_co_u32_e64 v2, s[0:1], v6, v2, s[0:1]
	global_load_dwordx2 v[7:8], v[1:2], off
	s_waitcnt vmcnt(0)
	v_sub_f32_e32 v7, v22, v7
	v_sub_f32_e32 v8, v23, v8
	global_store_dwordx2 v[1:2], v[7:8], off
.LBB167_6:
	s_or_b64 exec, exec, s[2:3]
	v_add_u32_e32 v2, 16, v0
	v_cmp_le_i32_e64 s[0:1], v2, v4
	s_and_b64 s[2:3], vcc, s[0:1]
	s_and_saveexec_b64 s[0:1], s[2:3]
	s_cbranch_execz .LBB167_8
; %bb.7:
	v_ashrrev_i32_e32 v3, 31, v2
	v_lshlrev_b64 v[7:8], 3, v[2:3]
	v_add_co_u32_e32 v5, vcc, v5, v7
	v_addc_co_u32_e32 v6, vcc, v6, v8, vcc
	global_load_dwordx2 v[7:8], v[5:6], off
	s_waitcnt vmcnt(0)
	v_sub_f32_e32 v7, v21, v7
	v_sub_f32_e32 v8, v20, v8
	global_store_dwordx2 v[5:6], v[7:8], off
.LBB167_8:
	s_or_b64 exec, exec, s[0:1]
	v_add_u32_e32 v3, 16, v4
	v_mad_i64_i32 v[4:5], s[0:1], v3, s6, 0
	v_mov_b32_e32 v1, s5
	v_cmp_gt_i32_e32 vcc, s10, v3
	v_lshlrev_b64 v[4:5], 3, v[4:5]
	v_add_co_u32_e64 v4, s[0:1], s4, v4
	v_addc_co_u32_e64 v5, s[0:1], v1, v5, s[0:1]
	v_cmp_le_i32_e64 s[0:1], v0, v3
	s_and_b64 s[0:1], vcc, s[0:1]
	s_and_saveexec_b64 s[2:3], s[0:1]
	s_cbranch_execz .LBB167_10
; %bb.9:
	v_ashrrev_i32_e32 v1, 31, v0
	v_lshlrev_b64 v[0:1], 3, v[0:1]
	v_add_co_u32_e64 v0, s[0:1], v4, v0
	v_addc_co_u32_e64 v1, s[0:1], v5, v1, s[0:1]
	global_load_dwordx2 v[6:7], v[0:1], off
	s_waitcnt vmcnt(0)
	v_sub_f32_e32 v6, v19, v6
	v_sub_f32_e32 v7, v18, v7
	global_store_dwordx2 v[0:1], v[6:7], off
.LBB167_10:
	s_or_b64 exec, exec, s[2:3]
	v_cmp_le_i32_e64 s[0:1], v2, v3
	s_and_b64 s[0:1], vcc, s[0:1]
	s_and_saveexec_b64 s[2:3], s[0:1]
	s_cbranch_execz .LBB167_12
; %bb.11:
	v_ashrrev_i32_e32 v3, 31, v2
	v_lshlrev_b64 v[0:1], 3, v[2:3]
	v_add_co_u32_e32 v0, vcc, v4, v0
	v_addc_co_u32_e32 v1, vcc, v5, v1, vcc
	global_load_dwordx2 v[2:3], v[0:1], off
	s_waitcnt vmcnt(0)
	v_sub_f32_e32 v2, v17, v2
	v_sub_f32_e32 v3, v16, v3
	global_store_dwordx2 v[0:1], v[2:3], off
.LBB167_12:
	s_endpgm
	.section	.rodata,"a",@progbits
	.p2align	6, 0x0
	.amdhsa_kernel _ZL37rocblas_syrkx_herkx_restricted_kernelIi19rocblas_complex_numIfELi16ELi32ELi8ELi1ELin1ELb0ELc78ELc85EKS1_S1_EviT_PT9_S3_lS5_S3_lPT10_S3_li
		.amdhsa_group_segment_fixed_size 4096
		.amdhsa_private_segment_fixed_size 0
		.amdhsa_kernarg_size 84
		.amdhsa_user_sgpr_count 6
		.amdhsa_user_sgpr_private_segment_buffer 1
		.amdhsa_user_sgpr_dispatch_ptr 0
		.amdhsa_user_sgpr_queue_ptr 0
		.amdhsa_user_sgpr_kernarg_segment_ptr 1
		.amdhsa_user_sgpr_dispatch_id 0
		.amdhsa_user_sgpr_flat_scratch_init 0
		.amdhsa_user_sgpr_private_segment_size 0
		.amdhsa_uses_dynamic_stack 0
		.amdhsa_system_sgpr_private_segment_wavefront_offset 0
		.amdhsa_system_sgpr_workgroup_id_x 1
		.amdhsa_system_sgpr_workgroup_id_y 1
		.amdhsa_system_sgpr_workgroup_id_z 1
		.amdhsa_system_sgpr_workgroup_info 0
		.amdhsa_system_vgpr_workitem_id 1
		.amdhsa_next_free_vgpr 43
		.amdhsa_next_free_sgpr 25
		.amdhsa_reserve_vcc 1
		.amdhsa_reserve_flat_scratch 0
		.amdhsa_float_round_mode_32 0
		.amdhsa_float_round_mode_16_64 0
		.amdhsa_float_denorm_mode_32 3
		.amdhsa_float_denorm_mode_16_64 3
		.amdhsa_dx10_clamp 1
		.amdhsa_ieee_mode 1
		.amdhsa_fp16_overflow 0
		.amdhsa_exception_fp_ieee_invalid_op 0
		.amdhsa_exception_fp_denorm_src 0
		.amdhsa_exception_fp_ieee_div_zero 0
		.amdhsa_exception_fp_ieee_overflow 0
		.amdhsa_exception_fp_ieee_underflow 0
		.amdhsa_exception_fp_ieee_inexact 0
		.amdhsa_exception_int_div_zero 0
	.end_amdhsa_kernel
	.section	.text._ZL37rocblas_syrkx_herkx_restricted_kernelIi19rocblas_complex_numIfELi16ELi32ELi8ELi1ELin1ELb0ELc78ELc85EKS1_S1_EviT_PT9_S3_lS5_S3_lPT10_S3_li,"axG",@progbits,_ZL37rocblas_syrkx_herkx_restricted_kernelIi19rocblas_complex_numIfELi16ELi32ELi8ELi1ELin1ELb0ELc78ELc85EKS1_S1_EviT_PT9_S3_lS5_S3_lPT10_S3_li,comdat
.Lfunc_end167:
	.size	_ZL37rocblas_syrkx_herkx_restricted_kernelIi19rocblas_complex_numIfELi16ELi32ELi8ELi1ELin1ELb0ELc78ELc85EKS1_S1_EviT_PT9_S3_lS5_S3_lPT10_S3_li, .Lfunc_end167-_ZL37rocblas_syrkx_herkx_restricted_kernelIi19rocblas_complex_numIfELi16ELi32ELi8ELi1ELin1ELb0ELc78ELc85EKS1_S1_EviT_PT9_S3_lS5_S3_lPT10_S3_li
                                        ; -- End function
	.set _ZL37rocblas_syrkx_herkx_restricted_kernelIi19rocblas_complex_numIfELi16ELi32ELi8ELi1ELin1ELb0ELc78ELc85EKS1_S1_EviT_PT9_S3_lS5_S3_lPT10_S3_li.num_vgpr, 43
	.set _ZL37rocblas_syrkx_herkx_restricted_kernelIi19rocblas_complex_numIfELi16ELi32ELi8ELi1ELin1ELb0ELc78ELc85EKS1_S1_EviT_PT9_S3_lS5_S3_lPT10_S3_li.num_agpr, 0
	.set _ZL37rocblas_syrkx_herkx_restricted_kernelIi19rocblas_complex_numIfELi16ELi32ELi8ELi1ELin1ELb0ELc78ELc85EKS1_S1_EviT_PT9_S3_lS5_S3_lPT10_S3_li.numbered_sgpr, 25
	.set _ZL37rocblas_syrkx_herkx_restricted_kernelIi19rocblas_complex_numIfELi16ELi32ELi8ELi1ELin1ELb0ELc78ELc85EKS1_S1_EviT_PT9_S3_lS5_S3_lPT10_S3_li.num_named_barrier, 0
	.set _ZL37rocblas_syrkx_herkx_restricted_kernelIi19rocblas_complex_numIfELi16ELi32ELi8ELi1ELin1ELb0ELc78ELc85EKS1_S1_EviT_PT9_S3_lS5_S3_lPT10_S3_li.private_seg_size, 0
	.set _ZL37rocblas_syrkx_herkx_restricted_kernelIi19rocblas_complex_numIfELi16ELi32ELi8ELi1ELin1ELb0ELc78ELc85EKS1_S1_EviT_PT9_S3_lS5_S3_lPT10_S3_li.uses_vcc, 1
	.set _ZL37rocblas_syrkx_herkx_restricted_kernelIi19rocblas_complex_numIfELi16ELi32ELi8ELi1ELin1ELb0ELc78ELc85EKS1_S1_EviT_PT9_S3_lS5_S3_lPT10_S3_li.uses_flat_scratch, 0
	.set _ZL37rocblas_syrkx_herkx_restricted_kernelIi19rocblas_complex_numIfELi16ELi32ELi8ELi1ELin1ELb0ELc78ELc85EKS1_S1_EviT_PT9_S3_lS5_S3_lPT10_S3_li.has_dyn_sized_stack, 0
	.set _ZL37rocblas_syrkx_herkx_restricted_kernelIi19rocblas_complex_numIfELi16ELi32ELi8ELi1ELin1ELb0ELc78ELc85EKS1_S1_EviT_PT9_S3_lS5_S3_lPT10_S3_li.has_recursion, 0
	.set _ZL37rocblas_syrkx_herkx_restricted_kernelIi19rocblas_complex_numIfELi16ELi32ELi8ELi1ELin1ELb0ELc78ELc85EKS1_S1_EviT_PT9_S3_lS5_S3_lPT10_S3_li.has_indirect_call, 0
	.section	.AMDGPU.csdata,"",@progbits
; Kernel info:
; codeLenInByte = 1988
; TotalNumSgprs: 29
; NumVgprs: 43
; ScratchSize: 0
; MemoryBound: 0
; FloatMode: 240
; IeeeMode: 1
; LDSByteSize: 4096 bytes/workgroup (compile time only)
; SGPRBlocks: 3
; VGPRBlocks: 10
; NumSGPRsForWavesPerEU: 29
; NumVGPRsForWavesPerEU: 43
; Occupancy: 5
; WaveLimiterHint : 0
; COMPUTE_PGM_RSRC2:SCRATCH_EN: 0
; COMPUTE_PGM_RSRC2:USER_SGPR: 6
; COMPUTE_PGM_RSRC2:TRAP_HANDLER: 0
; COMPUTE_PGM_RSRC2:TGID_X_EN: 1
; COMPUTE_PGM_RSRC2:TGID_Y_EN: 1
; COMPUTE_PGM_RSRC2:TGID_Z_EN: 1
; COMPUTE_PGM_RSRC2:TIDIG_COMP_CNT: 1
	.section	.text._ZL37rocblas_syrkx_herkx_restricted_kernelIi19rocblas_complex_numIfELi16ELi32ELi8ELi1ELi0ELb0ELc84ELc76EKS1_S1_EviT_PT9_S3_lS5_S3_lPT10_S3_li,"axG",@progbits,_ZL37rocblas_syrkx_herkx_restricted_kernelIi19rocblas_complex_numIfELi16ELi32ELi8ELi1ELi0ELb0ELc84ELc76EKS1_S1_EviT_PT9_S3_lS5_S3_lPT10_S3_li,comdat
	.globl	_ZL37rocblas_syrkx_herkx_restricted_kernelIi19rocblas_complex_numIfELi16ELi32ELi8ELi1ELi0ELb0ELc84ELc76EKS1_S1_EviT_PT9_S3_lS5_S3_lPT10_S3_li ; -- Begin function _ZL37rocblas_syrkx_herkx_restricted_kernelIi19rocblas_complex_numIfELi16ELi32ELi8ELi1ELi0ELb0ELc84ELc76EKS1_S1_EviT_PT9_S3_lS5_S3_lPT10_S3_li
	.p2align	8
	.type	_ZL37rocblas_syrkx_herkx_restricted_kernelIi19rocblas_complex_numIfELi16ELi32ELi8ELi1ELi0ELb0ELc84ELc76EKS1_S1_EviT_PT9_S3_lS5_S3_lPT10_S3_li,@function
_ZL37rocblas_syrkx_herkx_restricted_kernelIi19rocblas_complex_numIfELi16ELi32ELi8ELi1ELi0ELb0ELc84ELc76EKS1_S1_EviT_PT9_S3_lS5_S3_lPT10_S3_li: ; @_ZL37rocblas_syrkx_herkx_restricted_kernelIi19rocblas_complex_numIfELi16ELi32ELi8ELi1ELi0ELb0ELc84ELc76EKS1_S1_EviT_PT9_S3_lS5_S3_lPT10_S3_li
; %bb.0:
	s_load_dwordx2 s[10:11], s[4:5], 0x0
	s_load_dwordx4 s[0:3], s[4:5], 0x30
	s_lshl_b32 s6, s6, 5
	s_lshl_b32 s7, s7, 5
	s_mov_b32 s9, 0
	s_waitcnt lgkmcnt(0)
	s_cmp_lt_i32 s11, 1
	s_cbranch_scc1 .LBB168_3
; %bb.1:
	v_lshl_add_u32 v4, v1, 4, v0
	v_and_b32_e32 v7, 31, v4
	s_load_dwordx2 s[16:17], s[4:5], 0x8
	s_load_dword s20, s[4:5], 0x10
	s_load_dwordx4 s[12:15], s[4:5], 0x18
	s_load_dword s18, s[4:5], 0x28
	v_lshrrev_b32_e32 v6, 3, v4
	v_and_b32_e32 v10, 7, v0
	v_lshrrev_b32_e32 v4, 5, v4
	v_lshlrev_b32_e32 v8, 3, v7
	v_lshl_or_b32 v18, v4, 8, v8
	v_lshlrev_b32_e32 v8, 3, v10
	v_add_u32_e32 v2, s7, v6
	v_lshl_or_b32 v6, v6, 6, v8
	v_mov_b32_e32 v11, 0
	v_add_u32_e32 v19, 0x800, v6
	v_mov_b32_e32 v6, 0x800
	v_mov_b32_e32 v5, v11
	v_lshl_add_u32 v21, v1, 6, v6
	v_add_u32_e32 v6, s6, v7
	s_waitcnt lgkmcnt(0)
	v_mad_i64_i32 v[2:3], s[18:19], s18, v2, v[10:11]
	v_mad_i64_i32 v[4:5], s[18:19], s20, v6, v[4:5]
	s_mul_i32 s13, s13, s8
	s_mul_hi_u32 s21, s12, s8
	s_add_i32 s13, s21, s13
	s_mul_i32 s12, s12, s8
	s_lshl_b64 s[12:13], s[12:13], 3
	v_lshlrev_b64 v[4:5], 3, v[4:5]
	s_add_u32 s12, s16, s12
	s_addc_u32 s13, s17, s13
	v_add_co_u32_e32 v4, vcc, s12, v4
	s_mul_i32 s1, s1, s8
	s_mul_hi_u32 s12, s0, s8
	v_mov_b32_e32 v6, s13
	s_add_i32 s1, s12, s1
	s_mul_i32 s0, s0, s8
	v_addc_co_u32_e32 v5, vcc, v6, v5, vcc
	s_lshl_b64 s[0:1], s[0:1], 3
	v_add_co_u32_e32 v6, vcc, 4, v4
	v_lshlrev_b64 v[2:3], 3, v[2:3]
	s_add_u32 s0, s14, s0
	v_addc_co_u32_e32 v7, vcc, 0, v5, vcc
	s_addc_u32 s1, s15, s1
	v_mov_b32_e32 v4, s1
	v_add_co_u32_e32 v2, vcc, s0, v2
	v_addc_co_u32_e32 v3, vcc, v4, v3, vcc
	v_add_co_u32_e32 v8, vcc, 4, v2
	v_lshlrev_b32_e32 v20, 3, v0
	v_addc_co_u32_e32 v9, vcc, 0, v3, vcc
	v_mov_b32_e32 v10, v11
	v_mov_b32_e32 v13, v11
	;; [unrolled: 1-line block ×7, first 2 shown]
.LBB168_2:                              ; =>This Inner Loop Header: Depth=1
	global_load_dwordx2 v[2:3], v[6:7], off offset:-4
	v_add_co_u32_e32 v6, vcc, 64, v6
	v_addc_co_u32_e32 v7, vcc, 0, v7, vcc
	s_add_i32 s9, s9, 8
	s_cmp_ge_i32 s9, s11
	s_waitcnt vmcnt(0)
	ds_write_b64 v18, v[2:3]
	global_load_dwordx2 v[2:3], v[8:9], off offset:-4
	v_add_co_u32_e32 v8, vcc, 64, v8
	v_addc_co_u32_e32 v9, vcc, 0, v9, vcc
	s_waitcnt vmcnt(0)
	ds_write_b64 v19, v[2:3]
	s_waitcnt lgkmcnt(0)
	s_barrier
	ds_read_b128 v[22:25], v21
	ds_read_b128 v[26:29], v21 offset:16
	ds_read_b128 v[30:33], v21 offset:32
	;; [unrolled: 1-line block ×3, first 2 shown]
	ds_read2_b64 v[34:37], v20 offset1:16
	s_waitcnt lgkmcnt(0)
	v_mul_f32_e32 v38, v23, v35
	v_mul_f32_e32 v39, v22, v35
	v_fma_f32 v38, v22, v34, -v38
	v_fmac_f32_e32 v39, v23, v34
	v_add_f32_e32 v38, v16, v38
	v_add_f32_e32 v39, v17, v39
	v_mul_f32_e32 v16, v23, v37
	v_mul_f32_e32 v17, v22, v37
	v_fma_f32 v16, v22, v36, -v16
	v_fmac_f32_e32 v17, v23, v36
	v_add_f32_e32 v22, v14, v16
	v_add_f32_e32 v23, v15, v17
	ds_read_b128 v[14:17], v21 offset:1024
	s_waitcnt lgkmcnt(0)
	v_mul_f32_e32 v40, v15, v35
	v_mul_f32_e32 v35, v14, v35
	v_fma_f32 v40, v14, v34, -v40
	v_fmac_f32_e32 v35, v15, v34
	v_add_f32_e32 v34, v12, v40
	v_add_f32_e32 v35, v13, v35
	v_mul_f32_e32 v12, v15, v37
	v_mul_f32_e32 v13, v14, v37
	v_fma_f32 v12, v14, v36, -v12
	v_fmac_f32_e32 v13, v15, v36
	v_add_f32_e32 v14, v10, v12
	v_add_f32_e32 v15, v11, v13
	ds_read2_b64 v[10:13], v20 offset0:32 offset1:48
	s_waitcnt lgkmcnt(0)
	v_mul_f32_e32 v36, v25, v11
	v_fma_f32 v36, v24, v10, -v36
	v_add_f32_e32 v36, v38, v36
	v_mul_f32_e32 v38, v25, v13
	v_mul_f32_e32 v37, v24, v11
	v_fma_f32 v38, v24, v12, -v38
	v_mul_f32_e32 v24, v24, v13
	v_fmac_f32_e32 v24, v25, v12
	v_add_f32_e32 v23, v23, v24
	v_mul_f32_e32 v24, v17, v11
	v_mul_f32_e32 v11, v16, v11
	v_fmac_f32_e32 v11, v17, v10
	v_fmac_f32_e32 v37, v25, v10
	v_fma_f32 v24, v16, v10, -v24
	v_add_f32_e32 v25, v35, v11
	v_mul_f32_e32 v10, v17, v13
	v_mul_f32_e32 v11, v16, v13
	v_fma_f32 v10, v16, v12, -v10
	v_fmac_f32_e32 v11, v17, v12
	v_add_f32_e32 v24, v34, v24
	v_add_f32_e32 v34, v14, v10
	v_add_f32_e32 v35, v15, v11
	ds_read2_b64 v[10:13], v20 offset0:64 offset1:80
	v_add_f32_e32 v37, v39, v37
	v_add_f32_e32 v22, v22, v38
	s_waitcnt lgkmcnt(0)
	v_mul_f32_e32 v14, v27, v11
	v_mul_f32_e32 v15, v26, v11
	v_fma_f32 v14, v26, v10, -v14
	v_fmac_f32_e32 v15, v27, v10
	v_add_f32_e32 v36, v36, v14
	v_add_f32_e32 v37, v37, v15
	v_mul_f32_e32 v14, v27, v13
	v_mul_f32_e32 v15, v26, v13
	v_fma_f32 v14, v26, v12, -v14
	v_fmac_f32_e32 v15, v27, v12
	v_add_f32_e32 v22, v22, v14
	v_add_f32_e32 v23, v23, v15
	ds_read_b128 v[14:17], v21 offset:1040
	s_waitcnt lgkmcnt(0)
	v_mul_f32_e32 v26, v15, v11
	v_mul_f32_e32 v11, v14, v11
	v_fmac_f32_e32 v11, v15, v10
	v_fma_f32 v26, v14, v10, -v26
	v_add_f32_e32 v25, v25, v11
	v_mul_f32_e32 v10, v15, v13
	v_mul_f32_e32 v11, v14, v13
	v_fma_f32 v10, v14, v12, -v10
	v_fmac_f32_e32 v11, v15, v12
	v_add_f32_e32 v14, v34, v10
	v_add_f32_e32 v15, v35, v11
	ds_read2_b64 v[10:13], v20 offset0:96 offset1:112
	v_add_f32_e32 v24, v24, v26
	s_waitcnt lgkmcnt(0)
	v_mul_f32_e32 v26, v29, v11
	v_mul_f32_e32 v34, v29, v13
	v_fma_f32 v26, v28, v10, -v26
	v_mul_f32_e32 v27, v28, v11
	v_fma_f32 v34, v28, v12, -v34
	v_mul_f32_e32 v28, v28, v13
	v_fmac_f32_e32 v28, v29, v12
	v_add_f32_e32 v23, v23, v28
	v_mul_f32_e32 v28, v17, v11
	v_mul_f32_e32 v11, v16, v11
	v_fmac_f32_e32 v11, v17, v10
	v_fmac_f32_e32 v27, v29, v10
	v_fma_f32 v28, v16, v10, -v28
	v_add_f32_e32 v25, v25, v11
	v_mul_f32_e32 v10, v17, v13
	v_mul_f32_e32 v11, v16, v13
	v_fma_f32 v10, v16, v12, -v10
	v_fmac_f32_e32 v11, v17, v12
	v_add_f32_e32 v24, v24, v28
	v_add_f32_e32 v28, v14, v10
	;; [unrolled: 1-line block ×3, first 2 shown]
	ds_read2_b64 v[10:13], v20 offset0:128 offset1:144
	v_add_f32_e32 v26, v36, v26
	v_add_f32_e32 v27, v37, v27
	;; [unrolled: 1-line block ×3, first 2 shown]
	s_waitcnt lgkmcnt(0)
	v_mul_f32_e32 v14, v31, v11
	v_mul_f32_e32 v15, v30, v11
	v_fma_f32 v14, v30, v10, -v14
	v_fmac_f32_e32 v15, v31, v10
	v_add_f32_e32 v26, v26, v14
	v_add_f32_e32 v27, v27, v15
	v_mul_f32_e32 v14, v31, v13
	v_mul_f32_e32 v15, v30, v13
	v_fma_f32 v14, v30, v12, -v14
	v_fmac_f32_e32 v15, v31, v12
	v_add_f32_e32 v22, v22, v14
	v_add_f32_e32 v23, v23, v15
	ds_read_b128 v[14:17], v21 offset:1056
	s_waitcnt lgkmcnt(0)
	v_mul_f32_e32 v30, v15, v11
	v_mul_f32_e32 v11, v14, v11
	v_fmac_f32_e32 v11, v15, v10
	v_fma_f32 v30, v14, v10, -v30
	v_add_f32_e32 v25, v25, v11
	v_mul_f32_e32 v10, v15, v13
	v_mul_f32_e32 v11, v14, v13
	v_fma_f32 v10, v14, v12, -v10
	v_fmac_f32_e32 v11, v15, v12
	v_add_f32_e32 v14, v28, v10
	v_add_f32_e32 v15, v29, v11
	ds_read2_b64 v[10:13], v20 offset0:160 offset1:176
	v_add_f32_e32 v24, v24, v30
	s_waitcnt lgkmcnt(0)
	v_mul_f32_e32 v28, v33, v11
	v_fma_f32 v28, v32, v10, -v28
	v_mul_f32_e32 v29, v32, v11
	v_add_f32_e32 v26, v26, v28
	v_mul_f32_e32 v28, v33, v13
	v_fmac_f32_e32 v29, v33, v10
	v_fma_f32 v28, v32, v12, -v28
	v_add_f32_e32 v27, v27, v29
	v_mul_f32_e32 v29, v32, v13
	v_add_f32_e32 v22, v22, v28
	v_mul_f32_e32 v28, v17, v11
	v_mul_f32_e32 v11, v16, v11
	v_fmac_f32_e32 v29, v33, v12
	v_fmac_f32_e32 v11, v17, v10
	v_add_f32_e32 v23, v23, v29
	v_fma_f32 v28, v16, v10, -v28
	v_add_f32_e32 v29, v25, v11
	v_mul_f32_e32 v10, v17, v13
	v_mul_f32_e32 v11, v16, v13
	v_fma_f32 v10, v16, v12, -v10
	v_fmac_f32_e32 v11, v17, v12
	v_add_f32_e32 v14, v14, v10
	v_add_f32_e32 v15, v15, v11
	ds_read2_b64 v[10:13], v20 offset0:192 offset1:208
	v_add_f32_e32 v28, v24, v28
	s_waitcnt lgkmcnt(0)
	v_mul_f32_e32 v16, v3, v11
	v_mul_f32_e32 v24, v3, v13
	v_fma_f32 v16, v2, v10, -v16
	v_mul_f32_e32 v17, v2, v11
	v_fma_f32 v24, v2, v12, -v24
	v_mul_f32_e32 v2, v2, v13
	v_fmac_f32_e32 v2, v3, v12
	v_fmac_f32_e32 v17, v3, v10
	v_add_f32_e32 v3, v22, v24
	v_add_f32_e32 v2, v23, v2
	ds_read_b128 v[22:25], v21 offset:1072
	v_add_f32_e32 v16, v26, v16
	v_add_f32_e32 v17, v27, v17
	s_waitcnt lgkmcnt(0)
	v_mul_f32_e32 v26, v23, v11
	v_fma_f32 v26, v22, v10, -v26
	v_mul_f32_e32 v11, v22, v11
	v_fmac_f32_e32 v11, v23, v10
	v_add_f32_e32 v10, v28, v26
	v_mul_f32_e32 v26, v23, v13
	v_fma_f32 v26, v22, v12, -v26
	v_add_f32_e32 v11, v29, v11
	v_mul_f32_e32 v13, v22, v13
	v_add_f32_e32 v22, v14, v26
	ds_read2_b64 v[26:29], v20 offset0:224 offset1:240
	v_fmac_f32_e32 v13, v23, v12
	v_add_f32_e32 v23, v15, v13
	s_waitcnt lgkmcnt(0)
	s_barrier
	v_mul_f32_e32 v12, v5, v27
	v_fma_f32 v12, v4, v26, -v12
	v_add_f32_e32 v16, v16, v12
	v_mul_f32_e32 v12, v5, v29
	v_mul_f32_e32 v13, v4, v27
	v_fma_f32 v12, v4, v28, -v12
	v_mul_f32_e32 v4, v4, v29
	v_fmac_f32_e32 v4, v5, v28
	v_add_f32_e32 v14, v3, v12
	v_add_f32_e32 v15, v2, v4
	v_mul_f32_e32 v2, v25, v27
	v_mul_f32_e32 v3, v24, v27
	v_fmac_f32_e32 v13, v5, v26
	v_fma_f32 v2, v24, v26, -v2
	v_fmac_f32_e32 v3, v25, v26
	v_add_f32_e32 v17, v17, v13
	v_add_f32_e32 v12, v10, v2
	;; [unrolled: 1-line block ×3, first 2 shown]
	v_mul_f32_e32 v2, v25, v29
	v_mul_f32_e32 v3, v24, v29
	v_fma_f32 v2, v24, v28, -v2
	v_fmac_f32_e32 v3, v25, v28
	v_add_f32_e32 v10, v22, v2
	v_add_f32_e32 v11, v23, v3
	s_cbranch_scc0 .LBB168_2
	s_branch .LBB168_4
.LBB168_3:
	v_mov_b32_e32 v16, 0
	v_mov_b32_e32 v17, 0
	;; [unrolled: 1-line block ×8, first 2 shown]
.LBB168_4:
	s_load_dwordx2 s[0:1], s[4:5], 0x48
	s_load_dword s9, s[4:5], 0x40
	v_add_u32_e32 v4, s7, v1
	v_add_u32_e32 v0, s6, v0
	s_waitcnt lgkmcnt(0)
	s_mul_i32 s1, s1, s8
	s_mul_hi_u32 s4, s0, s8
	s_add_i32 s1, s4, s1
	v_mad_i64_i32 v[1:2], s[4:5], v4, s9, 0
	s_mul_i32 s0, s0, s8
	s_lshl_b64 s[0:1], s[0:1], 3
	s_add_u32 s7, s2, s0
	v_lshlrev_b64 v[1:2], 3, v[1:2]
	s_addc_u32 s8, s3, s1
	v_mov_b32_e32 v3, s8
	v_add_co_u32_e32 v5, vcc, s7, v1
	v_addc_co_u32_e32 v6, vcc, v3, v2, vcc
	v_cmp_le_i32_e64 s[0:1], v4, v0
	v_cmp_gt_i32_e32 vcc, s10, v0
	s_and_b64 s[0:1], s[0:1], vcc
	s_and_saveexec_b64 s[2:3], s[0:1]
	s_cbranch_execz .LBB168_6
; %bb.5:
	v_ashrrev_i32_e32 v1, 31, v0
	v_lshlrev_b64 v[1:2], 3, v[0:1]
	v_add_co_u32_e64 v1, s[0:1], v5, v1
	v_addc_co_u32_e64 v2, s[0:1], v6, v2, s[0:1]
	global_store_dwordx2 v[1:2], v[16:17], off
.LBB168_6:
	s_or_b64 exec, exec, s[2:3]
	v_add_u32_e32 v2, 16, v0
	v_cmp_le_i32_e64 s[2:3], v4, v2
	v_cmp_gt_i32_e64 s[0:1], s10, v2
	s_and_b64 s[2:3], s[2:3], s[0:1]
	s_and_saveexec_b64 s[4:5], s[2:3]
	s_cbranch_execz .LBB168_8
; %bb.7:
	v_ashrrev_i32_e32 v3, 31, v2
	v_lshlrev_b64 v[7:8], 3, v[2:3]
	v_add_co_u32_e64 v5, s[2:3], v5, v7
	v_addc_co_u32_e64 v6, s[2:3], v6, v8, s[2:3]
	global_store_dwordx2 v[5:6], v[14:15], off
.LBB168_8:
	s_or_b64 exec, exec, s[4:5]
	v_add_u32_e32 v3, 16, v4
	v_mad_i64_i32 v[4:5], s[2:3], v3, s9, 0
	v_mov_b32_e32 v1, s8
	v_lshlrev_b64 v[4:5], 3, v[4:5]
	v_add_co_u32_e64 v4, s[2:3], s7, v4
	v_addc_co_u32_e64 v5, s[2:3], v1, v5, s[2:3]
	v_cmp_le_i32_e64 s[2:3], v3, v0
	s_and_b64 s[4:5], s[2:3], vcc
	s_and_saveexec_b64 s[2:3], s[4:5]
	s_cbranch_execz .LBB168_10
; %bb.9:
	v_ashrrev_i32_e32 v1, 31, v0
	v_lshlrev_b64 v[0:1], 3, v[0:1]
	v_add_co_u32_e32 v0, vcc, v4, v0
	v_addc_co_u32_e32 v1, vcc, v5, v1, vcc
	global_store_dwordx2 v[0:1], v[12:13], off
.LBB168_10:
	s_or_b64 exec, exec, s[2:3]
	v_cmp_le_i32_e32 vcc, v3, v2
	s_and_b64 s[0:1], vcc, s[0:1]
	s_and_saveexec_b64 s[2:3], s[0:1]
	s_cbranch_execz .LBB168_12
; %bb.11:
	v_ashrrev_i32_e32 v3, 31, v2
	v_lshlrev_b64 v[0:1], 3, v[2:3]
	v_add_co_u32_e32 v0, vcc, v4, v0
	v_addc_co_u32_e32 v1, vcc, v5, v1, vcc
	global_store_dwordx2 v[0:1], v[10:11], off
.LBB168_12:
	s_endpgm
	.section	.rodata,"a",@progbits
	.p2align	6, 0x0
	.amdhsa_kernel _ZL37rocblas_syrkx_herkx_restricted_kernelIi19rocblas_complex_numIfELi16ELi32ELi8ELi1ELi0ELb0ELc84ELc76EKS1_S1_EviT_PT9_S3_lS5_S3_lPT10_S3_li
		.amdhsa_group_segment_fixed_size 4096
		.amdhsa_private_segment_fixed_size 0
		.amdhsa_kernarg_size 84
		.amdhsa_user_sgpr_count 6
		.amdhsa_user_sgpr_private_segment_buffer 1
		.amdhsa_user_sgpr_dispatch_ptr 0
		.amdhsa_user_sgpr_queue_ptr 0
		.amdhsa_user_sgpr_kernarg_segment_ptr 1
		.amdhsa_user_sgpr_dispatch_id 0
		.amdhsa_user_sgpr_flat_scratch_init 0
		.amdhsa_user_sgpr_private_segment_size 0
		.amdhsa_uses_dynamic_stack 0
		.amdhsa_system_sgpr_private_segment_wavefront_offset 0
		.amdhsa_system_sgpr_workgroup_id_x 1
		.amdhsa_system_sgpr_workgroup_id_y 1
		.amdhsa_system_sgpr_workgroup_id_z 1
		.amdhsa_system_sgpr_workgroup_info 0
		.amdhsa_system_vgpr_workitem_id 1
		.amdhsa_next_free_vgpr 41
		.amdhsa_next_free_sgpr 22
		.amdhsa_reserve_vcc 1
		.amdhsa_reserve_flat_scratch 0
		.amdhsa_float_round_mode_32 0
		.amdhsa_float_round_mode_16_64 0
		.amdhsa_float_denorm_mode_32 3
		.amdhsa_float_denorm_mode_16_64 3
		.amdhsa_dx10_clamp 1
		.amdhsa_ieee_mode 1
		.amdhsa_fp16_overflow 0
		.amdhsa_exception_fp_ieee_invalid_op 0
		.amdhsa_exception_fp_denorm_src 0
		.amdhsa_exception_fp_ieee_div_zero 0
		.amdhsa_exception_fp_ieee_overflow 0
		.amdhsa_exception_fp_ieee_underflow 0
		.amdhsa_exception_fp_ieee_inexact 0
		.amdhsa_exception_int_div_zero 0
	.end_amdhsa_kernel
	.section	.text._ZL37rocblas_syrkx_herkx_restricted_kernelIi19rocblas_complex_numIfELi16ELi32ELi8ELi1ELi0ELb0ELc84ELc76EKS1_S1_EviT_PT9_S3_lS5_S3_lPT10_S3_li,"axG",@progbits,_ZL37rocblas_syrkx_herkx_restricted_kernelIi19rocblas_complex_numIfELi16ELi32ELi8ELi1ELi0ELb0ELc84ELc76EKS1_S1_EviT_PT9_S3_lS5_S3_lPT10_S3_li,comdat
.Lfunc_end168:
	.size	_ZL37rocblas_syrkx_herkx_restricted_kernelIi19rocblas_complex_numIfELi16ELi32ELi8ELi1ELi0ELb0ELc84ELc76EKS1_S1_EviT_PT9_S3_lS5_S3_lPT10_S3_li, .Lfunc_end168-_ZL37rocblas_syrkx_herkx_restricted_kernelIi19rocblas_complex_numIfELi16ELi32ELi8ELi1ELi0ELb0ELc84ELc76EKS1_S1_EviT_PT9_S3_lS5_S3_lPT10_S3_li
                                        ; -- End function
	.set _ZL37rocblas_syrkx_herkx_restricted_kernelIi19rocblas_complex_numIfELi16ELi32ELi8ELi1ELi0ELb0ELc84ELc76EKS1_S1_EviT_PT9_S3_lS5_S3_lPT10_S3_li.num_vgpr, 41
	.set _ZL37rocblas_syrkx_herkx_restricted_kernelIi19rocblas_complex_numIfELi16ELi32ELi8ELi1ELi0ELb0ELc84ELc76EKS1_S1_EviT_PT9_S3_lS5_S3_lPT10_S3_li.num_agpr, 0
	.set _ZL37rocblas_syrkx_herkx_restricted_kernelIi19rocblas_complex_numIfELi16ELi32ELi8ELi1ELi0ELb0ELc84ELc76EKS1_S1_EviT_PT9_S3_lS5_S3_lPT10_S3_li.numbered_sgpr, 22
	.set _ZL37rocblas_syrkx_herkx_restricted_kernelIi19rocblas_complex_numIfELi16ELi32ELi8ELi1ELi0ELb0ELc84ELc76EKS1_S1_EviT_PT9_S3_lS5_S3_lPT10_S3_li.num_named_barrier, 0
	.set _ZL37rocblas_syrkx_herkx_restricted_kernelIi19rocblas_complex_numIfELi16ELi32ELi8ELi1ELi0ELb0ELc84ELc76EKS1_S1_EviT_PT9_S3_lS5_S3_lPT10_S3_li.private_seg_size, 0
	.set _ZL37rocblas_syrkx_herkx_restricted_kernelIi19rocblas_complex_numIfELi16ELi32ELi8ELi1ELi0ELb0ELc84ELc76EKS1_S1_EviT_PT9_S3_lS5_S3_lPT10_S3_li.uses_vcc, 1
	.set _ZL37rocblas_syrkx_herkx_restricted_kernelIi19rocblas_complex_numIfELi16ELi32ELi8ELi1ELi0ELb0ELc84ELc76EKS1_S1_EviT_PT9_S3_lS5_S3_lPT10_S3_li.uses_flat_scratch, 0
	.set _ZL37rocblas_syrkx_herkx_restricted_kernelIi19rocblas_complex_numIfELi16ELi32ELi8ELi1ELi0ELb0ELc84ELc76EKS1_S1_EviT_PT9_S3_lS5_S3_lPT10_S3_li.has_dyn_sized_stack, 0
	.set _ZL37rocblas_syrkx_herkx_restricted_kernelIi19rocblas_complex_numIfELi16ELi32ELi8ELi1ELi0ELb0ELc84ELc76EKS1_S1_EviT_PT9_S3_lS5_S3_lPT10_S3_li.has_recursion, 0
	.set _ZL37rocblas_syrkx_herkx_restricted_kernelIi19rocblas_complex_numIfELi16ELi32ELi8ELi1ELi0ELb0ELc84ELc76EKS1_S1_EviT_PT9_S3_lS5_S3_lPT10_S3_li.has_indirect_call, 0
	.section	.AMDGPU.csdata,"",@progbits
; Kernel info:
; codeLenInByte = 1872
; TotalNumSgprs: 26
; NumVgprs: 41
; ScratchSize: 0
; MemoryBound: 0
; FloatMode: 240
; IeeeMode: 1
; LDSByteSize: 4096 bytes/workgroup (compile time only)
; SGPRBlocks: 3
; VGPRBlocks: 10
; NumSGPRsForWavesPerEU: 26
; NumVGPRsForWavesPerEU: 41
; Occupancy: 5
; WaveLimiterHint : 0
; COMPUTE_PGM_RSRC2:SCRATCH_EN: 0
; COMPUTE_PGM_RSRC2:USER_SGPR: 6
; COMPUTE_PGM_RSRC2:TRAP_HANDLER: 0
; COMPUTE_PGM_RSRC2:TGID_X_EN: 1
; COMPUTE_PGM_RSRC2:TGID_Y_EN: 1
; COMPUTE_PGM_RSRC2:TGID_Z_EN: 1
; COMPUTE_PGM_RSRC2:TIDIG_COMP_CNT: 1
	.section	.text._ZL37rocblas_syrkx_herkx_restricted_kernelIi19rocblas_complex_numIfELi16ELi32ELi8ELi1ELi0ELb0ELc67ELc76EKS1_S1_EviT_PT9_S3_lS5_S3_lPT10_S3_li,"axG",@progbits,_ZL37rocblas_syrkx_herkx_restricted_kernelIi19rocblas_complex_numIfELi16ELi32ELi8ELi1ELi0ELb0ELc67ELc76EKS1_S1_EviT_PT9_S3_lS5_S3_lPT10_S3_li,comdat
	.globl	_ZL37rocblas_syrkx_herkx_restricted_kernelIi19rocblas_complex_numIfELi16ELi32ELi8ELi1ELi0ELb0ELc67ELc76EKS1_S1_EviT_PT9_S3_lS5_S3_lPT10_S3_li ; -- Begin function _ZL37rocblas_syrkx_herkx_restricted_kernelIi19rocblas_complex_numIfELi16ELi32ELi8ELi1ELi0ELb0ELc67ELc76EKS1_S1_EviT_PT9_S3_lS5_S3_lPT10_S3_li
	.p2align	8
	.type	_ZL37rocblas_syrkx_herkx_restricted_kernelIi19rocblas_complex_numIfELi16ELi32ELi8ELi1ELi0ELb0ELc67ELc76EKS1_S1_EviT_PT9_S3_lS5_S3_lPT10_S3_li,@function
_ZL37rocblas_syrkx_herkx_restricted_kernelIi19rocblas_complex_numIfELi16ELi32ELi8ELi1ELi0ELb0ELc67ELc76EKS1_S1_EviT_PT9_S3_lS5_S3_lPT10_S3_li: ; @_ZL37rocblas_syrkx_herkx_restricted_kernelIi19rocblas_complex_numIfELi16ELi32ELi8ELi1ELi0ELb0ELc67ELc76EKS1_S1_EviT_PT9_S3_lS5_S3_lPT10_S3_li
; %bb.0:
	s_load_dwordx2 s[10:11], s[4:5], 0x0
	s_load_dwordx4 s[0:3], s[4:5], 0x30
	s_lshl_b32 s6, s6, 5
	s_lshl_b32 s7, s7, 5
	s_mov_b32 s9, 0
	s_waitcnt lgkmcnt(0)
	s_cmp_lt_i32 s11, 1
	s_cbranch_scc1 .LBB169_3
; %bb.1:
	v_lshl_add_u32 v4, v1, 4, v0
	v_and_b32_e32 v7, 31, v4
	s_load_dwordx2 s[16:17], s[4:5], 0x8
	s_load_dword s20, s[4:5], 0x10
	s_load_dwordx4 s[12:15], s[4:5], 0x18
	s_load_dword s18, s[4:5], 0x28
	v_lshrrev_b32_e32 v6, 3, v4
	v_and_b32_e32 v10, 7, v0
	v_lshrrev_b32_e32 v4, 5, v4
	v_lshlrev_b32_e32 v8, 3, v7
	v_lshl_or_b32 v18, v4, 8, v8
	v_lshlrev_b32_e32 v8, 3, v10
	v_add_u32_e32 v2, s7, v6
	v_lshl_or_b32 v6, v6, 6, v8
	v_mov_b32_e32 v11, 0
	v_add_u32_e32 v19, 0x800, v6
	v_mov_b32_e32 v6, 0x800
	v_mov_b32_e32 v5, v11
	v_lshl_add_u32 v21, v1, 6, v6
	v_add_u32_e32 v6, s6, v7
	s_waitcnt lgkmcnt(0)
	v_mad_i64_i32 v[2:3], s[18:19], s18, v2, v[10:11]
	v_mad_i64_i32 v[4:5], s[18:19], s20, v6, v[4:5]
	s_mul_i32 s13, s13, s8
	s_mul_hi_u32 s21, s12, s8
	s_add_i32 s13, s21, s13
	s_mul_i32 s12, s12, s8
	s_lshl_b64 s[12:13], s[12:13], 3
	v_lshlrev_b64 v[4:5], 3, v[4:5]
	s_add_u32 s12, s16, s12
	s_addc_u32 s13, s17, s13
	v_add_co_u32_e32 v4, vcc, s12, v4
	s_mul_i32 s1, s1, s8
	s_mul_hi_u32 s12, s0, s8
	v_mov_b32_e32 v6, s13
	s_add_i32 s1, s12, s1
	s_mul_i32 s0, s0, s8
	v_addc_co_u32_e32 v5, vcc, v6, v5, vcc
	s_lshl_b64 s[0:1], s[0:1], 3
	v_add_co_u32_e32 v6, vcc, 4, v4
	v_lshlrev_b64 v[2:3], 3, v[2:3]
	s_add_u32 s0, s14, s0
	v_addc_co_u32_e32 v7, vcc, 0, v5, vcc
	s_addc_u32 s1, s15, s1
	v_mov_b32_e32 v4, s1
	v_add_co_u32_e32 v2, vcc, s0, v2
	v_addc_co_u32_e32 v3, vcc, v4, v3, vcc
	v_add_co_u32_e32 v8, vcc, 4, v2
	v_lshlrev_b32_e32 v20, 3, v0
	v_addc_co_u32_e32 v9, vcc, 0, v3, vcc
	v_mov_b32_e32 v10, v11
	v_mov_b32_e32 v13, v11
	;; [unrolled: 1-line block ×7, first 2 shown]
.LBB169_2:                              ; =>This Inner Loop Header: Depth=1
	global_load_dwordx2 v[2:3], v[6:7], off offset:-4
	v_add_co_u32_e32 v6, vcc, 64, v6
	v_addc_co_u32_e32 v7, vcc, 0, v7, vcc
	s_add_i32 s9, s9, 8
	s_cmp_ge_i32 s9, s11
	s_waitcnt vmcnt(0)
	ds_write_b64 v18, v[2:3]
	global_load_dwordx2 v[2:3], v[8:9], off offset:-4
	v_add_co_u32_e32 v8, vcc, 64, v8
	v_addc_co_u32_e32 v9, vcc, 0, v9, vcc
	s_waitcnt vmcnt(0)
	ds_write_b64 v19, v[2:3]
	s_waitcnt lgkmcnt(0)
	s_barrier
	ds_read_b128 v[22:25], v21
	ds_read_b128 v[26:29], v21 offset:16
	ds_read_b128 v[30:33], v21 offset:32
	;; [unrolled: 1-line block ×3, first 2 shown]
	ds_read2_b64 v[34:37], v20 offset1:16
	s_waitcnt lgkmcnt(0)
	v_mul_f32_e32 v38, v23, v35
	v_mul_f32_e32 v39, v22, v35
	v_fma_f32 v38, v22, v34, -v38
	v_fmac_f32_e32 v39, v23, v34
	v_add_f32_e32 v38, v16, v38
	v_add_f32_e32 v39, v17, v39
	v_mul_f32_e32 v16, v23, v37
	v_mul_f32_e32 v17, v22, v37
	v_fma_f32 v16, v22, v36, -v16
	v_fmac_f32_e32 v17, v23, v36
	v_add_f32_e32 v22, v14, v16
	v_add_f32_e32 v23, v15, v17
	ds_read_b128 v[14:17], v21 offset:1024
	s_waitcnt lgkmcnt(0)
	v_mul_f32_e32 v40, v15, v35
	v_mul_f32_e32 v35, v14, v35
	v_fma_f32 v40, v14, v34, -v40
	v_fmac_f32_e32 v35, v15, v34
	v_add_f32_e32 v34, v12, v40
	v_add_f32_e32 v35, v13, v35
	v_mul_f32_e32 v12, v15, v37
	v_mul_f32_e32 v13, v14, v37
	v_fma_f32 v12, v14, v36, -v12
	v_fmac_f32_e32 v13, v15, v36
	v_add_f32_e32 v14, v10, v12
	v_add_f32_e32 v15, v11, v13
	ds_read2_b64 v[10:13], v20 offset0:32 offset1:48
	s_waitcnt lgkmcnt(0)
	v_mul_f32_e32 v36, v25, v11
	v_fma_f32 v36, v24, v10, -v36
	v_add_f32_e32 v36, v38, v36
	v_mul_f32_e32 v38, v25, v13
	v_mul_f32_e32 v37, v24, v11
	v_fma_f32 v38, v24, v12, -v38
	v_mul_f32_e32 v24, v24, v13
	v_fmac_f32_e32 v24, v25, v12
	v_add_f32_e32 v23, v23, v24
	v_mul_f32_e32 v24, v17, v11
	v_mul_f32_e32 v11, v16, v11
	v_fmac_f32_e32 v11, v17, v10
	v_fmac_f32_e32 v37, v25, v10
	v_fma_f32 v24, v16, v10, -v24
	v_add_f32_e32 v25, v35, v11
	v_mul_f32_e32 v10, v17, v13
	v_mul_f32_e32 v11, v16, v13
	v_fma_f32 v10, v16, v12, -v10
	v_fmac_f32_e32 v11, v17, v12
	v_add_f32_e32 v24, v34, v24
	v_add_f32_e32 v34, v14, v10
	;; [unrolled: 1-line block ×3, first 2 shown]
	ds_read2_b64 v[10:13], v20 offset0:64 offset1:80
	v_add_f32_e32 v37, v39, v37
	v_add_f32_e32 v22, v22, v38
	s_waitcnt lgkmcnt(0)
	v_mul_f32_e32 v14, v27, v11
	v_mul_f32_e32 v15, v26, v11
	v_fma_f32 v14, v26, v10, -v14
	v_fmac_f32_e32 v15, v27, v10
	v_add_f32_e32 v36, v36, v14
	v_add_f32_e32 v37, v37, v15
	v_mul_f32_e32 v14, v27, v13
	v_mul_f32_e32 v15, v26, v13
	v_fma_f32 v14, v26, v12, -v14
	v_fmac_f32_e32 v15, v27, v12
	v_add_f32_e32 v22, v22, v14
	v_add_f32_e32 v23, v23, v15
	ds_read_b128 v[14:17], v21 offset:1040
	s_waitcnt lgkmcnt(0)
	v_mul_f32_e32 v26, v15, v11
	v_mul_f32_e32 v11, v14, v11
	v_fmac_f32_e32 v11, v15, v10
	v_fma_f32 v26, v14, v10, -v26
	v_add_f32_e32 v25, v25, v11
	v_mul_f32_e32 v10, v15, v13
	v_mul_f32_e32 v11, v14, v13
	v_fma_f32 v10, v14, v12, -v10
	v_fmac_f32_e32 v11, v15, v12
	v_add_f32_e32 v14, v34, v10
	v_add_f32_e32 v15, v35, v11
	ds_read2_b64 v[10:13], v20 offset0:96 offset1:112
	v_add_f32_e32 v24, v24, v26
	s_waitcnt lgkmcnt(0)
	v_mul_f32_e32 v26, v29, v11
	v_mul_f32_e32 v34, v29, v13
	v_fma_f32 v26, v28, v10, -v26
	v_mul_f32_e32 v27, v28, v11
	v_fma_f32 v34, v28, v12, -v34
	v_mul_f32_e32 v28, v28, v13
	v_fmac_f32_e32 v28, v29, v12
	v_add_f32_e32 v23, v23, v28
	v_mul_f32_e32 v28, v17, v11
	v_mul_f32_e32 v11, v16, v11
	v_fmac_f32_e32 v11, v17, v10
	v_fmac_f32_e32 v27, v29, v10
	v_fma_f32 v28, v16, v10, -v28
	v_add_f32_e32 v25, v25, v11
	v_mul_f32_e32 v10, v17, v13
	v_mul_f32_e32 v11, v16, v13
	v_fma_f32 v10, v16, v12, -v10
	v_fmac_f32_e32 v11, v17, v12
	v_add_f32_e32 v24, v24, v28
	v_add_f32_e32 v28, v14, v10
	;; [unrolled: 1-line block ×3, first 2 shown]
	ds_read2_b64 v[10:13], v20 offset0:128 offset1:144
	v_add_f32_e32 v26, v36, v26
	v_add_f32_e32 v27, v37, v27
	;; [unrolled: 1-line block ×3, first 2 shown]
	s_waitcnt lgkmcnt(0)
	v_mul_f32_e32 v14, v31, v11
	v_mul_f32_e32 v15, v30, v11
	v_fma_f32 v14, v30, v10, -v14
	v_fmac_f32_e32 v15, v31, v10
	v_add_f32_e32 v26, v26, v14
	v_add_f32_e32 v27, v27, v15
	v_mul_f32_e32 v14, v31, v13
	v_mul_f32_e32 v15, v30, v13
	v_fma_f32 v14, v30, v12, -v14
	v_fmac_f32_e32 v15, v31, v12
	v_add_f32_e32 v22, v22, v14
	v_add_f32_e32 v23, v23, v15
	ds_read_b128 v[14:17], v21 offset:1056
	s_waitcnt lgkmcnt(0)
	v_mul_f32_e32 v30, v15, v11
	v_mul_f32_e32 v11, v14, v11
	v_fmac_f32_e32 v11, v15, v10
	v_fma_f32 v30, v14, v10, -v30
	v_add_f32_e32 v25, v25, v11
	v_mul_f32_e32 v10, v15, v13
	v_mul_f32_e32 v11, v14, v13
	v_fma_f32 v10, v14, v12, -v10
	v_fmac_f32_e32 v11, v15, v12
	v_add_f32_e32 v14, v28, v10
	v_add_f32_e32 v15, v29, v11
	ds_read2_b64 v[10:13], v20 offset0:160 offset1:176
	v_add_f32_e32 v24, v24, v30
	s_waitcnt lgkmcnt(0)
	v_mul_f32_e32 v28, v33, v11
	v_fma_f32 v28, v32, v10, -v28
	v_mul_f32_e32 v29, v32, v11
	v_add_f32_e32 v26, v26, v28
	v_mul_f32_e32 v28, v33, v13
	v_fmac_f32_e32 v29, v33, v10
	v_fma_f32 v28, v32, v12, -v28
	v_add_f32_e32 v27, v27, v29
	v_mul_f32_e32 v29, v32, v13
	v_add_f32_e32 v22, v22, v28
	v_mul_f32_e32 v28, v17, v11
	v_mul_f32_e32 v11, v16, v11
	v_fmac_f32_e32 v29, v33, v12
	v_fmac_f32_e32 v11, v17, v10
	v_add_f32_e32 v23, v23, v29
	v_fma_f32 v28, v16, v10, -v28
	v_add_f32_e32 v29, v25, v11
	v_mul_f32_e32 v10, v17, v13
	v_mul_f32_e32 v11, v16, v13
	v_fma_f32 v10, v16, v12, -v10
	v_fmac_f32_e32 v11, v17, v12
	v_add_f32_e32 v14, v14, v10
	v_add_f32_e32 v15, v15, v11
	ds_read2_b64 v[10:13], v20 offset0:192 offset1:208
	v_add_f32_e32 v28, v24, v28
	s_waitcnt lgkmcnt(0)
	v_mul_f32_e32 v16, v3, v11
	v_mul_f32_e32 v24, v3, v13
	v_fma_f32 v16, v2, v10, -v16
	v_mul_f32_e32 v17, v2, v11
	v_fma_f32 v24, v2, v12, -v24
	v_mul_f32_e32 v2, v2, v13
	v_fmac_f32_e32 v2, v3, v12
	v_fmac_f32_e32 v17, v3, v10
	v_add_f32_e32 v3, v22, v24
	v_add_f32_e32 v2, v23, v2
	ds_read_b128 v[22:25], v21 offset:1072
	v_add_f32_e32 v16, v26, v16
	v_add_f32_e32 v17, v27, v17
	s_waitcnt lgkmcnt(0)
	v_mul_f32_e32 v26, v23, v11
	v_fma_f32 v26, v22, v10, -v26
	v_mul_f32_e32 v11, v22, v11
	v_fmac_f32_e32 v11, v23, v10
	v_add_f32_e32 v10, v28, v26
	v_mul_f32_e32 v26, v23, v13
	v_fma_f32 v26, v22, v12, -v26
	v_add_f32_e32 v11, v29, v11
	v_mul_f32_e32 v13, v22, v13
	v_add_f32_e32 v22, v14, v26
	ds_read2_b64 v[26:29], v20 offset0:224 offset1:240
	v_fmac_f32_e32 v13, v23, v12
	v_add_f32_e32 v23, v15, v13
	s_waitcnt lgkmcnt(0)
	s_barrier
	v_mul_f32_e32 v12, v5, v27
	v_fma_f32 v12, v4, v26, -v12
	v_add_f32_e32 v16, v16, v12
	v_mul_f32_e32 v12, v5, v29
	v_mul_f32_e32 v13, v4, v27
	v_fma_f32 v12, v4, v28, -v12
	v_mul_f32_e32 v4, v4, v29
	v_fmac_f32_e32 v4, v5, v28
	v_add_f32_e32 v14, v3, v12
	v_add_f32_e32 v15, v2, v4
	v_mul_f32_e32 v2, v25, v27
	v_mul_f32_e32 v3, v24, v27
	v_fmac_f32_e32 v13, v5, v26
	v_fma_f32 v2, v24, v26, -v2
	v_fmac_f32_e32 v3, v25, v26
	v_add_f32_e32 v17, v17, v13
	v_add_f32_e32 v12, v10, v2
	;; [unrolled: 1-line block ×3, first 2 shown]
	v_mul_f32_e32 v2, v25, v29
	v_mul_f32_e32 v3, v24, v29
	v_fma_f32 v2, v24, v28, -v2
	v_fmac_f32_e32 v3, v25, v28
	v_add_f32_e32 v10, v22, v2
	v_add_f32_e32 v11, v23, v3
	s_cbranch_scc0 .LBB169_2
	s_branch .LBB169_4
.LBB169_3:
	v_mov_b32_e32 v16, 0
	v_mov_b32_e32 v17, 0
	;; [unrolled: 1-line block ×8, first 2 shown]
.LBB169_4:
	s_load_dwordx2 s[0:1], s[4:5], 0x48
	s_load_dword s9, s[4:5], 0x40
	v_add_u32_e32 v4, s7, v1
	v_add_u32_e32 v0, s6, v0
	s_waitcnt lgkmcnt(0)
	s_mul_i32 s1, s1, s8
	s_mul_hi_u32 s4, s0, s8
	s_add_i32 s1, s4, s1
	v_mad_i64_i32 v[1:2], s[4:5], v4, s9, 0
	s_mul_i32 s0, s0, s8
	s_lshl_b64 s[0:1], s[0:1], 3
	s_add_u32 s7, s2, s0
	v_lshlrev_b64 v[1:2], 3, v[1:2]
	s_addc_u32 s8, s3, s1
	v_mov_b32_e32 v3, s8
	v_add_co_u32_e32 v5, vcc, s7, v1
	v_addc_co_u32_e32 v6, vcc, v3, v2, vcc
	v_cmp_le_i32_e64 s[0:1], v4, v0
	v_cmp_gt_i32_e32 vcc, s10, v0
	s_and_b64 s[0:1], s[0:1], vcc
	s_and_saveexec_b64 s[2:3], s[0:1]
	s_cbranch_execz .LBB169_6
; %bb.5:
	v_ashrrev_i32_e32 v1, 31, v0
	v_lshlrev_b64 v[1:2], 3, v[0:1]
	v_add_co_u32_e64 v1, s[0:1], v5, v1
	v_addc_co_u32_e64 v2, s[0:1], v6, v2, s[0:1]
	global_store_dwordx2 v[1:2], v[16:17], off
.LBB169_6:
	s_or_b64 exec, exec, s[2:3]
	v_add_u32_e32 v2, 16, v0
	v_cmp_le_i32_e64 s[2:3], v4, v2
	v_cmp_gt_i32_e64 s[0:1], s10, v2
	s_and_b64 s[2:3], s[2:3], s[0:1]
	s_and_saveexec_b64 s[4:5], s[2:3]
	s_cbranch_execz .LBB169_8
; %bb.7:
	v_ashrrev_i32_e32 v3, 31, v2
	v_lshlrev_b64 v[7:8], 3, v[2:3]
	v_add_co_u32_e64 v5, s[2:3], v5, v7
	v_addc_co_u32_e64 v6, s[2:3], v6, v8, s[2:3]
	global_store_dwordx2 v[5:6], v[14:15], off
.LBB169_8:
	s_or_b64 exec, exec, s[4:5]
	v_add_u32_e32 v3, 16, v4
	v_mad_i64_i32 v[4:5], s[2:3], v3, s9, 0
	v_mov_b32_e32 v1, s8
	v_lshlrev_b64 v[4:5], 3, v[4:5]
	v_add_co_u32_e64 v4, s[2:3], s7, v4
	v_addc_co_u32_e64 v5, s[2:3], v1, v5, s[2:3]
	v_cmp_le_i32_e64 s[2:3], v3, v0
	s_and_b64 s[4:5], s[2:3], vcc
	s_and_saveexec_b64 s[2:3], s[4:5]
	s_cbranch_execz .LBB169_10
; %bb.9:
	v_ashrrev_i32_e32 v1, 31, v0
	v_lshlrev_b64 v[0:1], 3, v[0:1]
	v_add_co_u32_e32 v0, vcc, v4, v0
	v_addc_co_u32_e32 v1, vcc, v5, v1, vcc
	global_store_dwordx2 v[0:1], v[12:13], off
.LBB169_10:
	s_or_b64 exec, exec, s[2:3]
	v_cmp_le_i32_e32 vcc, v3, v2
	s_and_b64 s[0:1], vcc, s[0:1]
	s_and_saveexec_b64 s[2:3], s[0:1]
	s_cbranch_execz .LBB169_12
; %bb.11:
	v_ashrrev_i32_e32 v3, 31, v2
	v_lshlrev_b64 v[0:1], 3, v[2:3]
	v_add_co_u32_e32 v0, vcc, v4, v0
	v_addc_co_u32_e32 v1, vcc, v5, v1, vcc
	global_store_dwordx2 v[0:1], v[10:11], off
.LBB169_12:
	s_endpgm
	.section	.rodata,"a",@progbits
	.p2align	6, 0x0
	.amdhsa_kernel _ZL37rocblas_syrkx_herkx_restricted_kernelIi19rocblas_complex_numIfELi16ELi32ELi8ELi1ELi0ELb0ELc67ELc76EKS1_S1_EviT_PT9_S3_lS5_S3_lPT10_S3_li
		.amdhsa_group_segment_fixed_size 4096
		.amdhsa_private_segment_fixed_size 0
		.amdhsa_kernarg_size 84
		.amdhsa_user_sgpr_count 6
		.amdhsa_user_sgpr_private_segment_buffer 1
		.amdhsa_user_sgpr_dispatch_ptr 0
		.amdhsa_user_sgpr_queue_ptr 0
		.amdhsa_user_sgpr_kernarg_segment_ptr 1
		.amdhsa_user_sgpr_dispatch_id 0
		.amdhsa_user_sgpr_flat_scratch_init 0
		.amdhsa_user_sgpr_private_segment_size 0
		.amdhsa_uses_dynamic_stack 0
		.amdhsa_system_sgpr_private_segment_wavefront_offset 0
		.amdhsa_system_sgpr_workgroup_id_x 1
		.amdhsa_system_sgpr_workgroup_id_y 1
		.amdhsa_system_sgpr_workgroup_id_z 1
		.amdhsa_system_sgpr_workgroup_info 0
		.amdhsa_system_vgpr_workitem_id 1
		.amdhsa_next_free_vgpr 41
		.amdhsa_next_free_sgpr 22
		.amdhsa_reserve_vcc 1
		.amdhsa_reserve_flat_scratch 0
		.amdhsa_float_round_mode_32 0
		.amdhsa_float_round_mode_16_64 0
		.amdhsa_float_denorm_mode_32 3
		.amdhsa_float_denorm_mode_16_64 3
		.amdhsa_dx10_clamp 1
		.amdhsa_ieee_mode 1
		.amdhsa_fp16_overflow 0
		.amdhsa_exception_fp_ieee_invalid_op 0
		.amdhsa_exception_fp_denorm_src 0
		.amdhsa_exception_fp_ieee_div_zero 0
		.amdhsa_exception_fp_ieee_overflow 0
		.amdhsa_exception_fp_ieee_underflow 0
		.amdhsa_exception_fp_ieee_inexact 0
		.amdhsa_exception_int_div_zero 0
	.end_amdhsa_kernel
	.section	.text._ZL37rocblas_syrkx_herkx_restricted_kernelIi19rocblas_complex_numIfELi16ELi32ELi8ELi1ELi0ELb0ELc67ELc76EKS1_S1_EviT_PT9_S3_lS5_S3_lPT10_S3_li,"axG",@progbits,_ZL37rocblas_syrkx_herkx_restricted_kernelIi19rocblas_complex_numIfELi16ELi32ELi8ELi1ELi0ELb0ELc67ELc76EKS1_S1_EviT_PT9_S3_lS5_S3_lPT10_S3_li,comdat
.Lfunc_end169:
	.size	_ZL37rocblas_syrkx_herkx_restricted_kernelIi19rocblas_complex_numIfELi16ELi32ELi8ELi1ELi0ELb0ELc67ELc76EKS1_S1_EviT_PT9_S3_lS5_S3_lPT10_S3_li, .Lfunc_end169-_ZL37rocblas_syrkx_herkx_restricted_kernelIi19rocblas_complex_numIfELi16ELi32ELi8ELi1ELi0ELb0ELc67ELc76EKS1_S1_EviT_PT9_S3_lS5_S3_lPT10_S3_li
                                        ; -- End function
	.set _ZL37rocblas_syrkx_herkx_restricted_kernelIi19rocblas_complex_numIfELi16ELi32ELi8ELi1ELi0ELb0ELc67ELc76EKS1_S1_EviT_PT9_S3_lS5_S3_lPT10_S3_li.num_vgpr, 41
	.set _ZL37rocblas_syrkx_herkx_restricted_kernelIi19rocblas_complex_numIfELi16ELi32ELi8ELi1ELi0ELb0ELc67ELc76EKS1_S1_EviT_PT9_S3_lS5_S3_lPT10_S3_li.num_agpr, 0
	.set _ZL37rocblas_syrkx_herkx_restricted_kernelIi19rocblas_complex_numIfELi16ELi32ELi8ELi1ELi0ELb0ELc67ELc76EKS1_S1_EviT_PT9_S3_lS5_S3_lPT10_S3_li.numbered_sgpr, 22
	.set _ZL37rocblas_syrkx_herkx_restricted_kernelIi19rocblas_complex_numIfELi16ELi32ELi8ELi1ELi0ELb0ELc67ELc76EKS1_S1_EviT_PT9_S3_lS5_S3_lPT10_S3_li.num_named_barrier, 0
	.set _ZL37rocblas_syrkx_herkx_restricted_kernelIi19rocblas_complex_numIfELi16ELi32ELi8ELi1ELi0ELb0ELc67ELc76EKS1_S1_EviT_PT9_S3_lS5_S3_lPT10_S3_li.private_seg_size, 0
	.set _ZL37rocblas_syrkx_herkx_restricted_kernelIi19rocblas_complex_numIfELi16ELi32ELi8ELi1ELi0ELb0ELc67ELc76EKS1_S1_EviT_PT9_S3_lS5_S3_lPT10_S3_li.uses_vcc, 1
	.set _ZL37rocblas_syrkx_herkx_restricted_kernelIi19rocblas_complex_numIfELi16ELi32ELi8ELi1ELi0ELb0ELc67ELc76EKS1_S1_EviT_PT9_S3_lS5_S3_lPT10_S3_li.uses_flat_scratch, 0
	.set _ZL37rocblas_syrkx_herkx_restricted_kernelIi19rocblas_complex_numIfELi16ELi32ELi8ELi1ELi0ELb0ELc67ELc76EKS1_S1_EviT_PT9_S3_lS5_S3_lPT10_S3_li.has_dyn_sized_stack, 0
	.set _ZL37rocblas_syrkx_herkx_restricted_kernelIi19rocblas_complex_numIfELi16ELi32ELi8ELi1ELi0ELb0ELc67ELc76EKS1_S1_EviT_PT9_S3_lS5_S3_lPT10_S3_li.has_recursion, 0
	.set _ZL37rocblas_syrkx_herkx_restricted_kernelIi19rocblas_complex_numIfELi16ELi32ELi8ELi1ELi0ELb0ELc67ELc76EKS1_S1_EviT_PT9_S3_lS5_S3_lPT10_S3_li.has_indirect_call, 0
	.section	.AMDGPU.csdata,"",@progbits
; Kernel info:
; codeLenInByte = 1872
; TotalNumSgprs: 26
; NumVgprs: 41
; ScratchSize: 0
; MemoryBound: 0
; FloatMode: 240
; IeeeMode: 1
; LDSByteSize: 4096 bytes/workgroup (compile time only)
; SGPRBlocks: 3
; VGPRBlocks: 10
; NumSGPRsForWavesPerEU: 26
; NumVGPRsForWavesPerEU: 41
; Occupancy: 5
; WaveLimiterHint : 0
; COMPUTE_PGM_RSRC2:SCRATCH_EN: 0
; COMPUTE_PGM_RSRC2:USER_SGPR: 6
; COMPUTE_PGM_RSRC2:TRAP_HANDLER: 0
; COMPUTE_PGM_RSRC2:TGID_X_EN: 1
; COMPUTE_PGM_RSRC2:TGID_Y_EN: 1
; COMPUTE_PGM_RSRC2:TGID_Z_EN: 1
; COMPUTE_PGM_RSRC2:TIDIG_COMP_CNT: 1
	.section	.text._ZL37rocblas_syrkx_herkx_restricted_kernelIi19rocblas_complex_numIfELi16ELi32ELi8ELi1ELi0ELb0ELc78ELc76EKS1_S1_EviT_PT9_S3_lS5_S3_lPT10_S3_li,"axG",@progbits,_ZL37rocblas_syrkx_herkx_restricted_kernelIi19rocblas_complex_numIfELi16ELi32ELi8ELi1ELi0ELb0ELc78ELc76EKS1_S1_EviT_PT9_S3_lS5_S3_lPT10_S3_li,comdat
	.globl	_ZL37rocblas_syrkx_herkx_restricted_kernelIi19rocblas_complex_numIfELi16ELi32ELi8ELi1ELi0ELb0ELc78ELc76EKS1_S1_EviT_PT9_S3_lS5_S3_lPT10_S3_li ; -- Begin function _ZL37rocblas_syrkx_herkx_restricted_kernelIi19rocblas_complex_numIfELi16ELi32ELi8ELi1ELi0ELb0ELc78ELc76EKS1_S1_EviT_PT9_S3_lS5_S3_lPT10_S3_li
	.p2align	8
	.type	_ZL37rocblas_syrkx_herkx_restricted_kernelIi19rocblas_complex_numIfELi16ELi32ELi8ELi1ELi0ELb0ELc78ELc76EKS1_S1_EviT_PT9_S3_lS5_S3_lPT10_S3_li,@function
_ZL37rocblas_syrkx_herkx_restricted_kernelIi19rocblas_complex_numIfELi16ELi32ELi8ELi1ELi0ELb0ELc78ELc76EKS1_S1_EviT_PT9_S3_lS5_S3_lPT10_S3_li: ; @_ZL37rocblas_syrkx_herkx_restricted_kernelIi19rocblas_complex_numIfELi16ELi32ELi8ELi1ELi0ELb0ELc78ELc76EKS1_S1_EviT_PT9_S3_lS5_S3_lPT10_S3_li
; %bb.0:
	s_load_dwordx2 s[10:11], s[4:5], 0x0
	s_load_dwordx4 s[0:3], s[4:5], 0x30
	s_lshl_b32 s9, s6, 5
	s_lshl_b32 s16, s7, 5
	s_mov_b32 s17, 0
	s_waitcnt lgkmcnt(0)
	s_cmp_lt_i32 s11, 1
	s_cbranch_scc1 .LBB170_3
; %bb.1:
	v_lshl_add_u32 v5, v1, 4, v0
	s_load_dword s6, s[4:5], 0x10
	s_load_dword s18, s[4:5], 0x28
	s_load_dwordx2 s[20:21], s[4:5], 0x8
	s_load_dwordx4 s[12:15], s[4:5], 0x18
	v_lshrrev_b32_e32 v6, 3, v5
	v_add_u32_e32 v2, s16, v6
	v_and_b32_e32 v4, 7, v0
	v_ashrrev_i32_e32 v3, 31, v2
	s_waitcnt lgkmcnt(0)
	v_mad_i64_i32 v[2:3], s[22:23], s18, v4, v[2:3]
	v_lshlrev_b32_e32 v4, 3, v4
	v_lshl_or_b32 v4, v6, 6, v4
	v_lshrrev_b32_e32 v7, 5, v5
	v_and_b32_e32 v5, 31, v5
	v_add_u32_e32 v19, 0x800, v4
	v_mov_b32_e32 v4, 0x800
	v_lshl_add_u32 v21, v1, 6, v4
	v_add_u32_e32 v4, s9, v5
	v_lshlrev_b32_e32 v8, 3, v5
	v_ashrrev_i32_e32 v5, 31, v4
	v_mad_i64_i32 v[4:5], s[22:23], s6, v7, v[4:5]
	s_mul_i32 s13, s13, s8
	s_mul_hi_u32 s24, s12, s8
	s_add_i32 s13, s24, s13
	s_mul_i32 s12, s12, s8
	s_ashr_i32 s7, s6, 31
	s_ashr_i32 s19, s18, 31
	s_lshl_b64 s[12:13], s[12:13], 3
	v_lshlrev_b64 v[4:5], 3, v[4:5]
	s_add_u32 s12, s20, s12
	s_addc_u32 s13, s21, s13
	v_add_co_u32_e32 v4, vcc, s12, v4
	s_mul_i32 s1, s1, s8
	s_mul_hi_u32 s12, s0, s8
	v_mov_b32_e32 v6, s13
	s_add_i32 s1, s12, s1
	s_mul_i32 s0, s0, s8
	v_addc_co_u32_e32 v5, vcc, v6, v5, vcc
	s_lshl_b64 s[6:7], s[6:7], 6
	s_lshl_b64 s[0:1], s[0:1], 3
	v_add_co_u32_e32 v6, vcc, 4, v4
	v_lshlrev_b64 v[2:3], 3, v[2:3]
	s_add_u32 s0, s14, s0
	v_lshl_or_b32 v18, v7, 8, v8
	v_addc_co_u32_e32 v7, vcc, 0, v5, vcc
	s_addc_u32 s1, s15, s1
	v_mov_b32_e32 v4, s1
	v_add_co_u32_e32 v2, vcc, s0, v2
	v_addc_co_u32_e32 v3, vcc, v4, v3, vcc
	v_add_co_u32_e32 v8, vcc, 4, v2
	s_lshl_b64 s[0:1], s[18:19], 6
	v_lshlrev_b32_e32 v20, 3, v0
	v_addc_co_u32_e32 v9, vcc, 0, v3, vcc
	v_mov_b32_e32 v11, 0
	v_mov_b32_e32 v22, s7
	;; [unrolled: 1-line block ×10, first 2 shown]
.LBB170_2:                              ; =>This Inner Loop Header: Depth=1
	global_load_dwordx2 v[2:3], v[6:7], off offset:-4
	v_add_co_u32_e32 v6, vcc, s6, v6
	v_addc_co_u32_e32 v7, vcc, v7, v22, vcc
	s_add_i32 s17, s17, 8
	s_cmp_ge_i32 s17, s11
	s_waitcnt vmcnt(0)
	ds_write_b64 v18, v[2:3]
	global_load_dwordx2 v[2:3], v[8:9], off offset:-4
	v_add_co_u32_e32 v8, vcc, s0, v8
	v_addc_co_u32_e32 v9, vcc, v9, v23, vcc
	s_waitcnt vmcnt(0)
	ds_write_b64 v19, v[2:3]
	s_waitcnt lgkmcnt(0)
	s_barrier
	ds_read_b128 v[24:27], v21
	ds_read_b128 v[28:31], v21 offset:16
	ds_read_b128 v[32:35], v21 offset:32
	;; [unrolled: 1-line block ×3, first 2 shown]
	ds_read2_b64 v[36:39], v20 offset1:16
	s_waitcnt lgkmcnt(0)
	v_mul_f32_e32 v40, v25, v37
	v_mul_f32_e32 v41, v24, v37
	v_fma_f32 v40, v24, v36, -v40
	v_fmac_f32_e32 v41, v25, v36
	v_add_f32_e32 v40, v16, v40
	v_add_f32_e32 v41, v17, v41
	v_mul_f32_e32 v16, v25, v39
	v_mul_f32_e32 v17, v24, v39
	v_fma_f32 v16, v24, v38, -v16
	v_fmac_f32_e32 v17, v25, v38
	v_add_f32_e32 v24, v14, v16
	v_add_f32_e32 v25, v15, v17
	ds_read_b128 v[14:17], v21 offset:1024
	s_waitcnt lgkmcnt(0)
	v_mul_f32_e32 v42, v15, v37
	v_mul_f32_e32 v37, v14, v37
	v_fma_f32 v42, v14, v36, -v42
	v_fmac_f32_e32 v37, v15, v36
	v_add_f32_e32 v36, v12, v42
	v_add_f32_e32 v37, v13, v37
	v_mul_f32_e32 v12, v15, v39
	v_mul_f32_e32 v13, v14, v39
	v_fma_f32 v12, v14, v38, -v12
	v_fmac_f32_e32 v13, v15, v38
	v_add_f32_e32 v14, v10, v12
	v_add_f32_e32 v15, v11, v13
	ds_read2_b64 v[10:13], v20 offset0:32 offset1:48
	s_waitcnt lgkmcnt(0)
	v_mul_f32_e32 v38, v27, v11
	v_fma_f32 v38, v26, v10, -v38
	v_add_f32_e32 v38, v40, v38
	v_mul_f32_e32 v40, v27, v13
	v_mul_f32_e32 v39, v26, v11
	v_fma_f32 v40, v26, v12, -v40
	v_mul_f32_e32 v26, v26, v13
	v_fmac_f32_e32 v26, v27, v12
	v_add_f32_e32 v25, v25, v26
	v_mul_f32_e32 v26, v17, v11
	v_mul_f32_e32 v11, v16, v11
	v_fmac_f32_e32 v11, v17, v10
	v_fmac_f32_e32 v39, v27, v10
	v_fma_f32 v26, v16, v10, -v26
	v_add_f32_e32 v27, v37, v11
	v_mul_f32_e32 v10, v17, v13
	v_mul_f32_e32 v11, v16, v13
	v_fma_f32 v10, v16, v12, -v10
	v_fmac_f32_e32 v11, v17, v12
	v_add_f32_e32 v26, v36, v26
	v_add_f32_e32 v36, v14, v10
	;; [unrolled: 1-line block ×3, first 2 shown]
	ds_read2_b64 v[10:13], v20 offset0:64 offset1:80
	v_add_f32_e32 v39, v41, v39
	v_add_f32_e32 v24, v24, v40
	s_waitcnt lgkmcnt(0)
	v_mul_f32_e32 v14, v29, v11
	v_mul_f32_e32 v15, v28, v11
	v_fma_f32 v14, v28, v10, -v14
	v_fmac_f32_e32 v15, v29, v10
	v_add_f32_e32 v38, v38, v14
	v_add_f32_e32 v39, v39, v15
	v_mul_f32_e32 v14, v29, v13
	v_mul_f32_e32 v15, v28, v13
	v_fma_f32 v14, v28, v12, -v14
	v_fmac_f32_e32 v15, v29, v12
	v_add_f32_e32 v24, v24, v14
	v_add_f32_e32 v25, v25, v15
	ds_read_b128 v[14:17], v21 offset:1040
	s_waitcnt lgkmcnt(0)
	v_mul_f32_e32 v28, v15, v11
	v_mul_f32_e32 v11, v14, v11
	v_fmac_f32_e32 v11, v15, v10
	v_fma_f32 v28, v14, v10, -v28
	v_add_f32_e32 v27, v27, v11
	v_mul_f32_e32 v10, v15, v13
	v_mul_f32_e32 v11, v14, v13
	v_fma_f32 v10, v14, v12, -v10
	v_fmac_f32_e32 v11, v15, v12
	v_add_f32_e32 v14, v36, v10
	v_add_f32_e32 v15, v37, v11
	ds_read2_b64 v[10:13], v20 offset0:96 offset1:112
	v_add_f32_e32 v26, v26, v28
	s_waitcnt lgkmcnt(0)
	v_mul_f32_e32 v28, v31, v11
	v_mul_f32_e32 v36, v31, v13
	v_fma_f32 v28, v30, v10, -v28
	v_mul_f32_e32 v29, v30, v11
	v_fma_f32 v36, v30, v12, -v36
	v_mul_f32_e32 v30, v30, v13
	v_fmac_f32_e32 v30, v31, v12
	v_add_f32_e32 v25, v25, v30
	v_mul_f32_e32 v30, v17, v11
	v_mul_f32_e32 v11, v16, v11
	v_fmac_f32_e32 v11, v17, v10
	v_fmac_f32_e32 v29, v31, v10
	v_fma_f32 v30, v16, v10, -v30
	v_add_f32_e32 v27, v27, v11
	v_mul_f32_e32 v10, v17, v13
	v_mul_f32_e32 v11, v16, v13
	v_fma_f32 v10, v16, v12, -v10
	v_fmac_f32_e32 v11, v17, v12
	v_add_f32_e32 v26, v26, v30
	v_add_f32_e32 v30, v14, v10
	;; [unrolled: 1-line block ×3, first 2 shown]
	ds_read2_b64 v[10:13], v20 offset0:128 offset1:144
	v_add_f32_e32 v28, v38, v28
	v_add_f32_e32 v29, v39, v29
	;; [unrolled: 1-line block ×3, first 2 shown]
	s_waitcnt lgkmcnt(0)
	v_mul_f32_e32 v14, v33, v11
	v_mul_f32_e32 v15, v32, v11
	v_fma_f32 v14, v32, v10, -v14
	v_fmac_f32_e32 v15, v33, v10
	v_add_f32_e32 v28, v28, v14
	v_add_f32_e32 v29, v29, v15
	v_mul_f32_e32 v14, v33, v13
	v_mul_f32_e32 v15, v32, v13
	v_fma_f32 v14, v32, v12, -v14
	v_fmac_f32_e32 v15, v33, v12
	v_add_f32_e32 v24, v24, v14
	v_add_f32_e32 v25, v25, v15
	ds_read_b128 v[14:17], v21 offset:1056
	s_waitcnt lgkmcnt(0)
	v_mul_f32_e32 v32, v15, v11
	v_mul_f32_e32 v11, v14, v11
	v_fmac_f32_e32 v11, v15, v10
	v_fma_f32 v32, v14, v10, -v32
	v_add_f32_e32 v27, v27, v11
	v_mul_f32_e32 v10, v15, v13
	v_mul_f32_e32 v11, v14, v13
	v_fma_f32 v10, v14, v12, -v10
	v_fmac_f32_e32 v11, v15, v12
	v_add_f32_e32 v14, v30, v10
	v_add_f32_e32 v15, v31, v11
	ds_read2_b64 v[10:13], v20 offset0:160 offset1:176
	v_add_f32_e32 v26, v26, v32
	s_waitcnt lgkmcnt(0)
	v_mul_f32_e32 v30, v35, v11
	v_fma_f32 v30, v34, v10, -v30
	v_mul_f32_e32 v31, v34, v11
	v_add_f32_e32 v28, v28, v30
	v_mul_f32_e32 v30, v35, v13
	v_fmac_f32_e32 v31, v35, v10
	v_fma_f32 v30, v34, v12, -v30
	v_add_f32_e32 v29, v29, v31
	v_mul_f32_e32 v31, v34, v13
	v_add_f32_e32 v24, v24, v30
	v_mul_f32_e32 v30, v17, v11
	v_mul_f32_e32 v11, v16, v11
	v_fmac_f32_e32 v31, v35, v12
	v_fmac_f32_e32 v11, v17, v10
	v_add_f32_e32 v25, v25, v31
	v_fma_f32 v30, v16, v10, -v30
	v_add_f32_e32 v31, v27, v11
	v_mul_f32_e32 v10, v17, v13
	v_mul_f32_e32 v11, v16, v13
	v_fma_f32 v10, v16, v12, -v10
	v_fmac_f32_e32 v11, v17, v12
	v_add_f32_e32 v14, v14, v10
	v_add_f32_e32 v15, v15, v11
	ds_read2_b64 v[10:13], v20 offset0:192 offset1:208
	v_add_f32_e32 v30, v26, v30
	s_waitcnt lgkmcnt(0)
	v_mul_f32_e32 v16, v3, v11
	v_mul_f32_e32 v26, v3, v13
	v_fma_f32 v16, v2, v10, -v16
	v_mul_f32_e32 v17, v2, v11
	v_fma_f32 v26, v2, v12, -v26
	v_mul_f32_e32 v2, v2, v13
	v_fmac_f32_e32 v2, v3, v12
	v_fmac_f32_e32 v17, v3, v10
	v_add_f32_e32 v3, v24, v26
	v_add_f32_e32 v2, v25, v2
	ds_read_b128 v[24:27], v21 offset:1072
	v_add_f32_e32 v16, v28, v16
	v_add_f32_e32 v17, v29, v17
	s_waitcnt lgkmcnt(0)
	v_mul_f32_e32 v28, v25, v11
	v_fma_f32 v28, v24, v10, -v28
	v_mul_f32_e32 v11, v24, v11
	v_fmac_f32_e32 v11, v25, v10
	v_add_f32_e32 v10, v30, v28
	v_mul_f32_e32 v28, v25, v13
	v_fma_f32 v28, v24, v12, -v28
	v_add_f32_e32 v11, v31, v11
	v_mul_f32_e32 v13, v24, v13
	v_add_f32_e32 v24, v14, v28
	ds_read2_b64 v[28:31], v20 offset0:224 offset1:240
	v_fmac_f32_e32 v13, v25, v12
	v_add_f32_e32 v25, v15, v13
	s_waitcnt lgkmcnt(0)
	s_barrier
	v_mul_f32_e32 v12, v5, v29
	v_fma_f32 v12, v4, v28, -v12
	v_add_f32_e32 v16, v16, v12
	v_mul_f32_e32 v12, v5, v31
	v_mul_f32_e32 v13, v4, v29
	v_fma_f32 v12, v4, v30, -v12
	v_mul_f32_e32 v4, v4, v31
	v_fmac_f32_e32 v4, v5, v30
	v_add_f32_e32 v14, v3, v12
	v_add_f32_e32 v15, v2, v4
	v_mul_f32_e32 v2, v27, v29
	v_mul_f32_e32 v3, v26, v29
	v_fmac_f32_e32 v13, v5, v28
	v_fma_f32 v2, v26, v28, -v2
	v_fmac_f32_e32 v3, v27, v28
	v_add_f32_e32 v17, v17, v13
	v_add_f32_e32 v12, v10, v2
	;; [unrolled: 1-line block ×3, first 2 shown]
	v_mul_f32_e32 v2, v27, v31
	v_mul_f32_e32 v3, v26, v31
	v_fma_f32 v2, v26, v30, -v2
	v_fmac_f32_e32 v3, v27, v30
	v_add_f32_e32 v10, v24, v2
	v_add_f32_e32 v11, v25, v3
	s_cbranch_scc0 .LBB170_2
	s_branch .LBB170_4
.LBB170_3:
	v_mov_b32_e32 v16, 0
	v_mov_b32_e32 v17, 0
	;; [unrolled: 1-line block ×8, first 2 shown]
.LBB170_4:
	s_load_dwordx2 s[0:1], s[4:5], 0x48
	s_load_dword s6, s[4:5], 0x40
	v_add_u32_e32 v4, s16, v1
	v_add_u32_e32 v0, s9, v0
	s_waitcnt lgkmcnt(0)
	s_mul_i32 s1, s1, s8
	s_mul_hi_u32 s4, s0, s8
	s_add_i32 s1, s4, s1
	v_mad_i64_i32 v[1:2], s[4:5], v4, s6, 0
	s_mul_i32 s0, s0, s8
	s_lshl_b64 s[0:1], s[0:1], 3
	s_add_u32 s7, s2, s0
	v_lshlrev_b64 v[1:2], 3, v[1:2]
	s_addc_u32 s8, s3, s1
	v_mov_b32_e32 v3, s8
	v_add_co_u32_e32 v5, vcc, s7, v1
	v_addc_co_u32_e32 v6, vcc, v3, v2, vcc
	v_cmp_le_i32_e64 s[0:1], v4, v0
	v_cmp_gt_i32_e32 vcc, s10, v0
	s_and_b64 s[0:1], s[0:1], vcc
	s_and_saveexec_b64 s[2:3], s[0:1]
	s_cbranch_execz .LBB170_6
; %bb.5:
	v_ashrrev_i32_e32 v1, 31, v0
	v_lshlrev_b64 v[1:2], 3, v[0:1]
	v_add_co_u32_e64 v1, s[0:1], v5, v1
	v_addc_co_u32_e64 v2, s[0:1], v6, v2, s[0:1]
	global_store_dwordx2 v[1:2], v[16:17], off
.LBB170_6:
	s_or_b64 exec, exec, s[2:3]
	v_add_u32_e32 v2, 16, v0
	v_cmp_le_i32_e64 s[2:3], v4, v2
	v_cmp_gt_i32_e64 s[0:1], s10, v2
	s_and_b64 s[2:3], s[2:3], s[0:1]
	s_and_saveexec_b64 s[4:5], s[2:3]
	s_cbranch_execz .LBB170_8
; %bb.7:
	v_ashrrev_i32_e32 v3, 31, v2
	v_lshlrev_b64 v[7:8], 3, v[2:3]
	v_add_co_u32_e64 v5, s[2:3], v5, v7
	v_addc_co_u32_e64 v6, s[2:3], v6, v8, s[2:3]
	global_store_dwordx2 v[5:6], v[14:15], off
.LBB170_8:
	s_or_b64 exec, exec, s[4:5]
	v_add_u32_e32 v3, 16, v4
	v_mad_i64_i32 v[4:5], s[2:3], v3, s6, 0
	v_mov_b32_e32 v1, s8
	v_lshlrev_b64 v[4:5], 3, v[4:5]
	v_add_co_u32_e64 v4, s[2:3], s7, v4
	v_addc_co_u32_e64 v5, s[2:3], v1, v5, s[2:3]
	v_cmp_le_i32_e64 s[2:3], v3, v0
	s_and_b64 s[4:5], s[2:3], vcc
	s_and_saveexec_b64 s[2:3], s[4:5]
	s_cbranch_execz .LBB170_10
; %bb.9:
	v_ashrrev_i32_e32 v1, 31, v0
	v_lshlrev_b64 v[0:1], 3, v[0:1]
	v_add_co_u32_e32 v0, vcc, v4, v0
	v_addc_co_u32_e32 v1, vcc, v5, v1, vcc
	global_store_dwordx2 v[0:1], v[12:13], off
.LBB170_10:
	s_or_b64 exec, exec, s[2:3]
	v_cmp_le_i32_e32 vcc, v3, v2
	s_and_b64 s[0:1], vcc, s[0:1]
	s_and_saveexec_b64 s[2:3], s[0:1]
	s_cbranch_execz .LBB170_12
; %bb.11:
	v_ashrrev_i32_e32 v3, 31, v2
	v_lshlrev_b64 v[0:1], 3, v[2:3]
	v_add_co_u32_e32 v0, vcc, v4, v0
	v_addc_co_u32_e32 v1, vcc, v5, v1, vcc
	global_store_dwordx2 v[0:1], v[10:11], off
.LBB170_12:
	s_endpgm
	.section	.rodata,"a",@progbits
	.p2align	6, 0x0
	.amdhsa_kernel _ZL37rocblas_syrkx_herkx_restricted_kernelIi19rocblas_complex_numIfELi16ELi32ELi8ELi1ELi0ELb0ELc78ELc76EKS1_S1_EviT_PT9_S3_lS5_S3_lPT10_S3_li
		.amdhsa_group_segment_fixed_size 4096
		.amdhsa_private_segment_fixed_size 0
		.amdhsa_kernarg_size 84
		.amdhsa_user_sgpr_count 6
		.amdhsa_user_sgpr_private_segment_buffer 1
		.amdhsa_user_sgpr_dispatch_ptr 0
		.amdhsa_user_sgpr_queue_ptr 0
		.amdhsa_user_sgpr_kernarg_segment_ptr 1
		.amdhsa_user_sgpr_dispatch_id 0
		.amdhsa_user_sgpr_flat_scratch_init 0
		.amdhsa_user_sgpr_private_segment_size 0
		.amdhsa_uses_dynamic_stack 0
		.amdhsa_system_sgpr_private_segment_wavefront_offset 0
		.amdhsa_system_sgpr_workgroup_id_x 1
		.amdhsa_system_sgpr_workgroup_id_y 1
		.amdhsa_system_sgpr_workgroup_id_z 1
		.amdhsa_system_sgpr_workgroup_info 0
		.amdhsa_system_vgpr_workitem_id 1
		.amdhsa_next_free_vgpr 43
		.amdhsa_next_free_sgpr 25
		.amdhsa_reserve_vcc 1
		.amdhsa_reserve_flat_scratch 0
		.amdhsa_float_round_mode_32 0
		.amdhsa_float_round_mode_16_64 0
		.amdhsa_float_denorm_mode_32 3
		.amdhsa_float_denorm_mode_16_64 3
		.amdhsa_dx10_clamp 1
		.amdhsa_ieee_mode 1
		.amdhsa_fp16_overflow 0
		.amdhsa_exception_fp_ieee_invalid_op 0
		.amdhsa_exception_fp_denorm_src 0
		.amdhsa_exception_fp_ieee_div_zero 0
		.amdhsa_exception_fp_ieee_overflow 0
		.amdhsa_exception_fp_ieee_underflow 0
		.amdhsa_exception_fp_ieee_inexact 0
		.amdhsa_exception_int_div_zero 0
	.end_amdhsa_kernel
	.section	.text._ZL37rocblas_syrkx_herkx_restricted_kernelIi19rocblas_complex_numIfELi16ELi32ELi8ELi1ELi0ELb0ELc78ELc76EKS1_S1_EviT_PT9_S3_lS5_S3_lPT10_S3_li,"axG",@progbits,_ZL37rocblas_syrkx_herkx_restricted_kernelIi19rocblas_complex_numIfELi16ELi32ELi8ELi1ELi0ELb0ELc78ELc76EKS1_S1_EviT_PT9_S3_lS5_S3_lPT10_S3_li,comdat
.Lfunc_end170:
	.size	_ZL37rocblas_syrkx_herkx_restricted_kernelIi19rocblas_complex_numIfELi16ELi32ELi8ELi1ELi0ELb0ELc78ELc76EKS1_S1_EviT_PT9_S3_lS5_S3_lPT10_S3_li, .Lfunc_end170-_ZL37rocblas_syrkx_herkx_restricted_kernelIi19rocblas_complex_numIfELi16ELi32ELi8ELi1ELi0ELb0ELc78ELc76EKS1_S1_EviT_PT9_S3_lS5_S3_lPT10_S3_li
                                        ; -- End function
	.set _ZL37rocblas_syrkx_herkx_restricted_kernelIi19rocblas_complex_numIfELi16ELi32ELi8ELi1ELi0ELb0ELc78ELc76EKS1_S1_EviT_PT9_S3_lS5_S3_lPT10_S3_li.num_vgpr, 43
	.set _ZL37rocblas_syrkx_herkx_restricted_kernelIi19rocblas_complex_numIfELi16ELi32ELi8ELi1ELi0ELb0ELc78ELc76EKS1_S1_EviT_PT9_S3_lS5_S3_lPT10_S3_li.num_agpr, 0
	.set _ZL37rocblas_syrkx_herkx_restricted_kernelIi19rocblas_complex_numIfELi16ELi32ELi8ELi1ELi0ELb0ELc78ELc76EKS1_S1_EviT_PT9_S3_lS5_S3_lPT10_S3_li.numbered_sgpr, 25
	.set _ZL37rocblas_syrkx_herkx_restricted_kernelIi19rocblas_complex_numIfELi16ELi32ELi8ELi1ELi0ELb0ELc78ELc76EKS1_S1_EviT_PT9_S3_lS5_S3_lPT10_S3_li.num_named_barrier, 0
	.set _ZL37rocblas_syrkx_herkx_restricted_kernelIi19rocblas_complex_numIfELi16ELi32ELi8ELi1ELi0ELb0ELc78ELc76EKS1_S1_EviT_PT9_S3_lS5_S3_lPT10_S3_li.private_seg_size, 0
	.set _ZL37rocblas_syrkx_herkx_restricted_kernelIi19rocblas_complex_numIfELi16ELi32ELi8ELi1ELi0ELb0ELc78ELc76EKS1_S1_EviT_PT9_S3_lS5_S3_lPT10_S3_li.uses_vcc, 1
	.set _ZL37rocblas_syrkx_herkx_restricted_kernelIi19rocblas_complex_numIfELi16ELi32ELi8ELi1ELi0ELb0ELc78ELc76EKS1_S1_EviT_PT9_S3_lS5_S3_lPT10_S3_li.uses_flat_scratch, 0
	.set _ZL37rocblas_syrkx_herkx_restricted_kernelIi19rocblas_complex_numIfELi16ELi32ELi8ELi1ELi0ELb0ELc78ELc76EKS1_S1_EviT_PT9_S3_lS5_S3_lPT10_S3_li.has_dyn_sized_stack, 0
	.set _ZL37rocblas_syrkx_herkx_restricted_kernelIi19rocblas_complex_numIfELi16ELi32ELi8ELi1ELi0ELb0ELc78ELc76EKS1_S1_EviT_PT9_S3_lS5_S3_lPT10_S3_li.has_recursion, 0
	.set _ZL37rocblas_syrkx_herkx_restricted_kernelIi19rocblas_complex_numIfELi16ELi32ELi8ELi1ELi0ELb0ELc78ELc76EKS1_S1_EviT_PT9_S3_lS5_S3_lPT10_S3_li.has_indirect_call, 0
	.section	.AMDGPU.csdata,"",@progbits
; Kernel info:
; codeLenInByte = 1900
; TotalNumSgprs: 29
; NumVgprs: 43
; ScratchSize: 0
; MemoryBound: 0
; FloatMode: 240
; IeeeMode: 1
; LDSByteSize: 4096 bytes/workgroup (compile time only)
; SGPRBlocks: 3
; VGPRBlocks: 10
; NumSGPRsForWavesPerEU: 29
; NumVGPRsForWavesPerEU: 43
; Occupancy: 5
; WaveLimiterHint : 0
; COMPUTE_PGM_RSRC2:SCRATCH_EN: 0
; COMPUTE_PGM_RSRC2:USER_SGPR: 6
; COMPUTE_PGM_RSRC2:TRAP_HANDLER: 0
; COMPUTE_PGM_RSRC2:TGID_X_EN: 1
; COMPUTE_PGM_RSRC2:TGID_Y_EN: 1
; COMPUTE_PGM_RSRC2:TGID_Z_EN: 1
; COMPUTE_PGM_RSRC2:TIDIG_COMP_CNT: 1
	.section	.text._ZL37rocblas_syrkx_herkx_restricted_kernelIi19rocblas_complex_numIfELi16ELi32ELi8ELi1ELi0ELb0ELc84ELc85EKS1_S1_EviT_PT9_S3_lS5_S3_lPT10_S3_li,"axG",@progbits,_ZL37rocblas_syrkx_herkx_restricted_kernelIi19rocblas_complex_numIfELi16ELi32ELi8ELi1ELi0ELb0ELc84ELc85EKS1_S1_EviT_PT9_S3_lS5_S3_lPT10_S3_li,comdat
	.globl	_ZL37rocblas_syrkx_herkx_restricted_kernelIi19rocblas_complex_numIfELi16ELi32ELi8ELi1ELi0ELb0ELc84ELc85EKS1_S1_EviT_PT9_S3_lS5_S3_lPT10_S3_li ; -- Begin function _ZL37rocblas_syrkx_herkx_restricted_kernelIi19rocblas_complex_numIfELi16ELi32ELi8ELi1ELi0ELb0ELc84ELc85EKS1_S1_EviT_PT9_S3_lS5_S3_lPT10_S3_li
	.p2align	8
	.type	_ZL37rocblas_syrkx_herkx_restricted_kernelIi19rocblas_complex_numIfELi16ELi32ELi8ELi1ELi0ELb0ELc84ELc85EKS1_S1_EviT_PT9_S3_lS5_S3_lPT10_S3_li,@function
_ZL37rocblas_syrkx_herkx_restricted_kernelIi19rocblas_complex_numIfELi16ELi32ELi8ELi1ELi0ELb0ELc84ELc85EKS1_S1_EviT_PT9_S3_lS5_S3_lPT10_S3_li: ; @_ZL37rocblas_syrkx_herkx_restricted_kernelIi19rocblas_complex_numIfELi16ELi32ELi8ELi1ELi0ELb0ELc84ELc85EKS1_S1_EviT_PT9_S3_lS5_S3_lPT10_S3_li
; %bb.0:
	s_load_dwordx2 s[10:11], s[4:5], 0x0
	s_load_dwordx4 s[0:3], s[4:5], 0x30
	s_lshl_b32 s6, s6, 5
	s_lshl_b32 s7, s7, 5
	s_mov_b32 s9, 0
	s_waitcnt lgkmcnt(0)
	s_cmp_lt_i32 s11, 1
	s_cbranch_scc1 .LBB171_3
; %bb.1:
	v_lshl_add_u32 v4, v1, 4, v0
	v_and_b32_e32 v7, 31, v4
	s_load_dwordx2 s[16:17], s[4:5], 0x8
	s_load_dword s20, s[4:5], 0x10
	s_load_dwordx4 s[12:15], s[4:5], 0x18
	s_load_dword s18, s[4:5], 0x28
	v_lshrrev_b32_e32 v6, 3, v4
	v_and_b32_e32 v10, 7, v0
	v_lshrrev_b32_e32 v4, 5, v4
	v_lshlrev_b32_e32 v8, 3, v7
	v_lshl_or_b32 v18, v4, 8, v8
	v_lshlrev_b32_e32 v8, 3, v10
	v_add_u32_e32 v2, s7, v6
	v_lshl_or_b32 v6, v6, 6, v8
	v_mov_b32_e32 v11, 0
	v_add_u32_e32 v19, 0x800, v6
	v_mov_b32_e32 v6, 0x800
	v_mov_b32_e32 v5, v11
	v_lshl_add_u32 v21, v1, 6, v6
	v_add_u32_e32 v6, s6, v7
	s_waitcnt lgkmcnt(0)
	v_mad_i64_i32 v[2:3], s[18:19], s18, v2, v[10:11]
	v_mad_i64_i32 v[4:5], s[18:19], s20, v6, v[4:5]
	s_mul_i32 s13, s13, s8
	s_mul_hi_u32 s21, s12, s8
	s_add_i32 s13, s21, s13
	s_mul_i32 s12, s12, s8
	s_lshl_b64 s[12:13], s[12:13], 3
	v_lshlrev_b64 v[4:5], 3, v[4:5]
	s_add_u32 s12, s16, s12
	s_addc_u32 s13, s17, s13
	v_add_co_u32_e32 v4, vcc, s12, v4
	s_mul_i32 s1, s1, s8
	s_mul_hi_u32 s12, s0, s8
	v_mov_b32_e32 v6, s13
	s_add_i32 s1, s12, s1
	s_mul_i32 s0, s0, s8
	v_addc_co_u32_e32 v5, vcc, v6, v5, vcc
	s_lshl_b64 s[0:1], s[0:1], 3
	v_add_co_u32_e32 v6, vcc, 4, v4
	v_lshlrev_b64 v[2:3], 3, v[2:3]
	s_add_u32 s0, s14, s0
	v_addc_co_u32_e32 v7, vcc, 0, v5, vcc
	s_addc_u32 s1, s15, s1
	v_mov_b32_e32 v4, s1
	v_add_co_u32_e32 v2, vcc, s0, v2
	v_addc_co_u32_e32 v3, vcc, v4, v3, vcc
	v_add_co_u32_e32 v8, vcc, 4, v2
	v_lshlrev_b32_e32 v20, 3, v0
	v_addc_co_u32_e32 v9, vcc, 0, v3, vcc
	v_mov_b32_e32 v10, v11
	v_mov_b32_e32 v13, v11
	;; [unrolled: 1-line block ×7, first 2 shown]
.LBB171_2:                              ; =>This Inner Loop Header: Depth=1
	global_load_dwordx2 v[2:3], v[6:7], off offset:-4
	v_add_co_u32_e32 v6, vcc, 64, v6
	v_addc_co_u32_e32 v7, vcc, 0, v7, vcc
	s_add_i32 s9, s9, 8
	s_cmp_ge_i32 s9, s11
	s_waitcnt vmcnt(0)
	ds_write_b64 v18, v[2:3]
	global_load_dwordx2 v[2:3], v[8:9], off offset:-4
	v_add_co_u32_e32 v8, vcc, 64, v8
	v_addc_co_u32_e32 v9, vcc, 0, v9, vcc
	s_waitcnt vmcnt(0)
	ds_write_b64 v19, v[2:3]
	s_waitcnt lgkmcnt(0)
	s_barrier
	ds_read_b128 v[22:25], v21
	ds_read_b128 v[26:29], v21 offset:16
	ds_read_b128 v[30:33], v21 offset:32
	;; [unrolled: 1-line block ×3, first 2 shown]
	ds_read2_b64 v[34:37], v20 offset1:16
	s_waitcnt lgkmcnt(0)
	v_mul_f32_e32 v38, v23, v35
	v_mul_f32_e32 v39, v22, v35
	v_fma_f32 v38, v22, v34, -v38
	v_fmac_f32_e32 v39, v23, v34
	v_add_f32_e32 v38, v16, v38
	v_add_f32_e32 v39, v17, v39
	v_mul_f32_e32 v16, v23, v37
	v_mul_f32_e32 v17, v22, v37
	v_fma_f32 v16, v22, v36, -v16
	v_fmac_f32_e32 v17, v23, v36
	v_add_f32_e32 v22, v14, v16
	v_add_f32_e32 v23, v15, v17
	ds_read_b128 v[14:17], v21 offset:1024
	s_waitcnt lgkmcnt(0)
	v_mul_f32_e32 v40, v15, v35
	v_mul_f32_e32 v35, v14, v35
	v_fma_f32 v40, v14, v34, -v40
	v_fmac_f32_e32 v35, v15, v34
	v_add_f32_e32 v34, v12, v40
	v_add_f32_e32 v35, v13, v35
	v_mul_f32_e32 v12, v15, v37
	v_mul_f32_e32 v13, v14, v37
	v_fma_f32 v12, v14, v36, -v12
	v_fmac_f32_e32 v13, v15, v36
	v_add_f32_e32 v14, v10, v12
	v_add_f32_e32 v15, v11, v13
	ds_read2_b64 v[10:13], v20 offset0:32 offset1:48
	s_waitcnt lgkmcnt(0)
	v_mul_f32_e32 v36, v25, v11
	v_fma_f32 v36, v24, v10, -v36
	v_add_f32_e32 v36, v38, v36
	v_mul_f32_e32 v38, v25, v13
	v_mul_f32_e32 v37, v24, v11
	v_fma_f32 v38, v24, v12, -v38
	v_mul_f32_e32 v24, v24, v13
	v_fmac_f32_e32 v24, v25, v12
	v_add_f32_e32 v23, v23, v24
	v_mul_f32_e32 v24, v17, v11
	v_mul_f32_e32 v11, v16, v11
	v_fmac_f32_e32 v11, v17, v10
	v_fmac_f32_e32 v37, v25, v10
	v_fma_f32 v24, v16, v10, -v24
	v_add_f32_e32 v25, v35, v11
	v_mul_f32_e32 v10, v17, v13
	v_mul_f32_e32 v11, v16, v13
	v_fma_f32 v10, v16, v12, -v10
	v_fmac_f32_e32 v11, v17, v12
	v_add_f32_e32 v24, v34, v24
	v_add_f32_e32 v34, v14, v10
	;; [unrolled: 1-line block ×3, first 2 shown]
	ds_read2_b64 v[10:13], v20 offset0:64 offset1:80
	v_add_f32_e32 v37, v39, v37
	v_add_f32_e32 v22, v22, v38
	s_waitcnt lgkmcnt(0)
	v_mul_f32_e32 v14, v27, v11
	v_mul_f32_e32 v15, v26, v11
	v_fma_f32 v14, v26, v10, -v14
	v_fmac_f32_e32 v15, v27, v10
	v_add_f32_e32 v36, v36, v14
	v_add_f32_e32 v37, v37, v15
	v_mul_f32_e32 v14, v27, v13
	v_mul_f32_e32 v15, v26, v13
	v_fma_f32 v14, v26, v12, -v14
	v_fmac_f32_e32 v15, v27, v12
	v_add_f32_e32 v22, v22, v14
	v_add_f32_e32 v23, v23, v15
	ds_read_b128 v[14:17], v21 offset:1040
	s_waitcnt lgkmcnt(0)
	v_mul_f32_e32 v26, v15, v11
	v_mul_f32_e32 v11, v14, v11
	v_fmac_f32_e32 v11, v15, v10
	v_fma_f32 v26, v14, v10, -v26
	v_add_f32_e32 v25, v25, v11
	v_mul_f32_e32 v10, v15, v13
	v_mul_f32_e32 v11, v14, v13
	v_fma_f32 v10, v14, v12, -v10
	v_fmac_f32_e32 v11, v15, v12
	v_add_f32_e32 v14, v34, v10
	v_add_f32_e32 v15, v35, v11
	ds_read2_b64 v[10:13], v20 offset0:96 offset1:112
	v_add_f32_e32 v24, v24, v26
	s_waitcnt lgkmcnt(0)
	v_mul_f32_e32 v26, v29, v11
	v_mul_f32_e32 v34, v29, v13
	v_fma_f32 v26, v28, v10, -v26
	v_mul_f32_e32 v27, v28, v11
	v_fma_f32 v34, v28, v12, -v34
	v_mul_f32_e32 v28, v28, v13
	v_fmac_f32_e32 v28, v29, v12
	v_add_f32_e32 v23, v23, v28
	v_mul_f32_e32 v28, v17, v11
	v_mul_f32_e32 v11, v16, v11
	v_fmac_f32_e32 v11, v17, v10
	v_fmac_f32_e32 v27, v29, v10
	v_fma_f32 v28, v16, v10, -v28
	v_add_f32_e32 v25, v25, v11
	v_mul_f32_e32 v10, v17, v13
	v_mul_f32_e32 v11, v16, v13
	v_fma_f32 v10, v16, v12, -v10
	v_fmac_f32_e32 v11, v17, v12
	v_add_f32_e32 v24, v24, v28
	v_add_f32_e32 v28, v14, v10
	;; [unrolled: 1-line block ×3, first 2 shown]
	ds_read2_b64 v[10:13], v20 offset0:128 offset1:144
	v_add_f32_e32 v26, v36, v26
	v_add_f32_e32 v27, v37, v27
	;; [unrolled: 1-line block ×3, first 2 shown]
	s_waitcnt lgkmcnt(0)
	v_mul_f32_e32 v14, v31, v11
	v_mul_f32_e32 v15, v30, v11
	v_fma_f32 v14, v30, v10, -v14
	v_fmac_f32_e32 v15, v31, v10
	v_add_f32_e32 v26, v26, v14
	v_add_f32_e32 v27, v27, v15
	v_mul_f32_e32 v14, v31, v13
	v_mul_f32_e32 v15, v30, v13
	v_fma_f32 v14, v30, v12, -v14
	v_fmac_f32_e32 v15, v31, v12
	v_add_f32_e32 v22, v22, v14
	v_add_f32_e32 v23, v23, v15
	ds_read_b128 v[14:17], v21 offset:1056
	s_waitcnt lgkmcnt(0)
	v_mul_f32_e32 v30, v15, v11
	v_mul_f32_e32 v11, v14, v11
	v_fmac_f32_e32 v11, v15, v10
	v_fma_f32 v30, v14, v10, -v30
	v_add_f32_e32 v25, v25, v11
	v_mul_f32_e32 v10, v15, v13
	v_mul_f32_e32 v11, v14, v13
	v_fma_f32 v10, v14, v12, -v10
	v_fmac_f32_e32 v11, v15, v12
	v_add_f32_e32 v14, v28, v10
	v_add_f32_e32 v15, v29, v11
	ds_read2_b64 v[10:13], v20 offset0:160 offset1:176
	v_add_f32_e32 v24, v24, v30
	s_waitcnt lgkmcnt(0)
	v_mul_f32_e32 v28, v33, v11
	v_fma_f32 v28, v32, v10, -v28
	v_mul_f32_e32 v29, v32, v11
	v_add_f32_e32 v26, v26, v28
	v_mul_f32_e32 v28, v33, v13
	v_fmac_f32_e32 v29, v33, v10
	v_fma_f32 v28, v32, v12, -v28
	v_add_f32_e32 v27, v27, v29
	v_mul_f32_e32 v29, v32, v13
	v_add_f32_e32 v22, v22, v28
	v_mul_f32_e32 v28, v17, v11
	v_mul_f32_e32 v11, v16, v11
	v_fmac_f32_e32 v29, v33, v12
	v_fmac_f32_e32 v11, v17, v10
	v_add_f32_e32 v23, v23, v29
	v_fma_f32 v28, v16, v10, -v28
	v_add_f32_e32 v29, v25, v11
	v_mul_f32_e32 v10, v17, v13
	v_mul_f32_e32 v11, v16, v13
	v_fma_f32 v10, v16, v12, -v10
	v_fmac_f32_e32 v11, v17, v12
	v_add_f32_e32 v14, v14, v10
	v_add_f32_e32 v15, v15, v11
	ds_read2_b64 v[10:13], v20 offset0:192 offset1:208
	v_add_f32_e32 v28, v24, v28
	s_waitcnt lgkmcnt(0)
	v_mul_f32_e32 v16, v3, v11
	v_mul_f32_e32 v24, v3, v13
	v_fma_f32 v16, v2, v10, -v16
	v_mul_f32_e32 v17, v2, v11
	v_fma_f32 v24, v2, v12, -v24
	v_mul_f32_e32 v2, v2, v13
	v_fmac_f32_e32 v2, v3, v12
	v_fmac_f32_e32 v17, v3, v10
	v_add_f32_e32 v3, v22, v24
	v_add_f32_e32 v2, v23, v2
	ds_read_b128 v[22:25], v21 offset:1072
	v_add_f32_e32 v16, v26, v16
	v_add_f32_e32 v17, v27, v17
	s_waitcnt lgkmcnt(0)
	v_mul_f32_e32 v26, v23, v11
	v_fma_f32 v26, v22, v10, -v26
	v_mul_f32_e32 v11, v22, v11
	v_fmac_f32_e32 v11, v23, v10
	v_add_f32_e32 v10, v28, v26
	v_mul_f32_e32 v26, v23, v13
	v_fma_f32 v26, v22, v12, -v26
	v_add_f32_e32 v11, v29, v11
	v_mul_f32_e32 v13, v22, v13
	v_add_f32_e32 v22, v14, v26
	ds_read2_b64 v[26:29], v20 offset0:224 offset1:240
	v_fmac_f32_e32 v13, v23, v12
	v_add_f32_e32 v23, v15, v13
	s_waitcnt lgkmcnt(0)
	s_barrier
	v_mul_f32_e32 v12, v5, v27
	v_fma_f32 v12, v4, v26, -v12
	v_add_f32_e32 v16, v16, v12
	v_mul_f32_e32 v12, v5, v29
	v_mul_f32_e32 v13, v4, v27
	v_fma_f32 v12, v4, v28, -v12
	v_mul_f32_e32 v4, v4, v29
	v_fmac_f32_e32 v4, v5, v28
	v_add_f32_e32 v14, v3, v12
	v_add_f32_e32 v15, v2, v4
	v_mul_f32_e32 v2, v25, v27
	v_mul_f32_e32 v3, v24, v27
	v_fmac_f32_e32 v13, v5, v26
	v_fma_f32 v2, v24, v26, -v2
	v_fmac_f32_e32 v3, v25, v26
	v_add_f32_e32 v17, v17, v13
	v_add_f32_e32 v12, v10, v2
	v_add_f32_e32 v13, v11, v3
	v_mul_f32_e32 v2, v25, v29
	v_mul_f32_e32 v3, v24, v29
	v_fma_f32 v2, v24, v28, -v2
	v_fmac_f32_e32 v3, v25, v28
	v_add_f32_e32 v10, v22, v2
	v_add_f32_e32 v11, v23, v3
	s_cbranch_scc0 .LBB171_2
	s_branch .LBB171_4
.LBB171_3:
	v_mov_b32_e32 v16, 0
	v_mov_b32_e32 v17, 0
	;; [unrolled: 1-line block ×8, first 2 shown]
.LBB171_4:
	s_load_dwordx2 s[0:1], s[4:5], 0x48
	s_load_dword s9, s[4:5], 0x40
	v_add_u32_e32 v4, s7, v1
	v_add_u32_e32 v0, s6, v0
	v_cmp_gt_i32_e32 vcc, s10, v4
	s_waitcnt lgkmcnt(0)
	s_mul_i32 s1, s1, s8
	v_mad_i64_i32 v[1:2], s[12:13], v4, s9, 0
	s_mul_hi_u32 s4, s0, s8
	s_mul_i32 s0, s0, s8
	s_add_i32 s1, s4, s1
	s_lshl_b64 s[0:1], s[0:1], 3
	s_add_u32 s4, s2, s0
	v_lshlrev_b64 v[1:2], 3, v[1:2]
	s_addc_u32 s5, s3, s1
	v_mov_b32_e32 v3, s5
	v_add_co_u32_e64 v5, s[0:1], s4, v1
	v_addc_co_u32_e64 v6, s[0:1], v3, v2, s[0:1]
	v_cmp_le_i32_e64 s[0:1], v0, v4
	s_and_b64 s[0:1], vcc, s[0:1]
	s_and_saveexec_b64 s[2:3], s[0:1]
	s_cbranch_execz .LBB171_6
; %bb.5:
	v_ashrrev_i32_e32 v1, 31, v0
	v_lshlrev_b64 v[1:2], 3, v[0:1]
	v_add_co_u32_e64 v1, s[0:1], v5, v1
	v_addc_co_u32_e64 v2, s[0:1], v6, v2, s[0:1]
	global_store_dwordx2 v[1:2], v[16:17], off
.LBB171_6:
	s_or_b64 exec, exec, s[2:3]
	v_add_u32_e32 v2, 16, v0
	v_cmp_le_i32_e64 s[0:1], v2, v4
	s_and_b64 s[2:3], vcc, s[0:1]
	s_and_saveexec_b64 s[0:1], s[2:3]
	s_cbranch_execz .LBB171_8
; %bb.7:
	v_ashrrev_i32_e32 v3, 31, v2
	v_lshlrev_b64 v[7:8], 3, v[2:3]
	v_add_co_u32_e32 v5, vcc, v5, v7
	v_addc_co_u32_e32 v6, vcc, v6, v8, vcc
	global_store_dwordx2 v[5:6], v[14:15], off
.LBB171_8:
	s_or_b64 exec, exec, s[0:1]
	v_add_u32_e32 v3, 16, v4
	v_mad_i64_i32 v[4:5], s[0:1], v3, s9, 0
	v_mov_b32_e32 v1, s5
	v_cmp_gt_i32_e32 vcc, s10, v3
	v_lshlrev_b64 v[4:5], 3, v[4:5]
	v_add_co_u32_e64 v4, s[0:1], s4, v4
	v_addc_co_u32_e64 v5, s[0:1], v1, v5, s[0:1]
	v_cmp_le_i32_e64 s[0:1], v0, v3
	s_and_b64 s[0:1], vcc, s[0:1]
	s_and_saveexec_b64 s[2:3], s[0:1]
	s_cbranch_execz .LBB171_10
; %bb.9:
	v_ashrrev_i32_e32 v1, 31, v0
	v_lshlrev_b64 v[0:1], 3, v[0:1]
	v_add_co_u32_e64 v0, s[0:1], v4, v0
	v_addc_co_u32_e64 v1, s[0:1], v5, v1, s[0:1]
	global_store_dwordx2 v[0:1], v[12:13], off
.LBB171_10:
	s_or_b64 exec, exec, s[2:3]
	v_cmp_le_i32_e64 s[0:1], v2, v3
	s_and_b64 s[0:1], vcc, s[0:1]
	s_and_saveexec_b64 s[2:3], s[0:1]
	s_cbranch_execz .LBB171_12
; %bb.11:
	v_ashrrev_i32_e32 v3, 31, v2
	v_lshlrev_b64 v[0:1], 3, v[2:3]
	v_add_co_u32_e32 v0, vcc, v4, v0
	v_addc_co_u32_e32 v1, vcc, v5, v1, vcc
	global_store_dwordx2 v[0:1], v[10:11], off
.LBB171_12:
	s_endpgm
	.section	.rodata,"a",@progbits
	.p2align	6, 0x0
	.amdhsa_kernel _ZL37rocblas_syrkx_herkx_restricted_kernelIi19rocblas_complex_numIfELi16ELi32ELi8ELi1ELi0ELb0ELc84ELc85EKS1_S1_EviT_PT9_S3_lS5_S3_lPT10_S3_li
		.amdhsa_group_segment_fixed_size 4096
		.amdhsa_private_segment_fixed_size 0
		.amdhsa_kernarg_size 84
		.amdhsa_user_sgpr_count 6
		.amdhsa_user_sgpr_private_segment_buffer 1
		.amdhsa_user_sgpr_dispatch_ptr 0
		.amdhsa_user_sgpr_queue_ptr 0
		.amdhsa_user_sgpr_kernarg_segment_ptr 1
		.amdhsa_user_sgpr_dispatch_id 0
		.amdhsa_user_sgpr_flat_scratch_init 0
		.amdhsa_user_sgpr_private_segment_size 0
		.amdhsa_uses_dynamic_stack 0
		.amdhsa_system_sgpr_private_segment_wavefront_offset 0
		.amdhsa_system_sgpr_workgroup_id_x 1
		.amdhsa_system_sgpr_workgroup_id_y 1
		.amdhsa_system_sgpr_workgroup_id_z 1
		.amdhsa_system_sgpr_workgroup_info 0
		.amdhsa_system_vgpr_workitem_id 1
		.amdhsa_next_free_vgpr 41
		.amdhsa_next_free_sgpr 22
		.amdhsa_reserve_vcc 1
		.amdhsa_reserve_flat_scratch 0
		.amdhsa_float_round_mode_32 0
		.amdhsa_float_round_mode_16_64 0
		.amdhsa_float_denorm_mode_32 3
		.amdhsa_float_denorm_mode_16_64 3
		.amdhsa_dx10_clamp 1
		.amdhsa_ieee_mode 1
		.amdhsa_fp16_overflow 0
		.amdhsa_exception_fp_ieee_invalid_op 0
		.amdhsa_exception_fp_denorm_src 0
		.amdhsa_exception_fp_ieee_div_zero 0
		.amdhsa_exception_fp_ieee_overflow 0
		.amdhsa_exception_fp_ieee_underflow 0
		.amdhsa_exception_fp_ieee_inexact 0
		.amdhsa_exception_int_div_zero 0
	.end_amdhsa_kernel
	.section	.text._ZL37rocblas_syrkx_herkx_restricted_kernelIi19rocblas_complex_numIfELi16ELi32ELi8ELi1ELi0ELb0ELc84ELc85EKS1_S1_EviT_PT9_S3_lS5_S3_lPT10_S3_li,"axG",@progbits,_ZL37rocblas_syrkx_herkx_restricted_kernelIi19rocblas_complex_numIfELi16ELi32ELi8ELi1ELi0ELb0ELc84ELc85EKS1_S1_EviT_PT9_S3_lS5_S3_lPT10_S3_li,comdat
.Lfunc_end171:
	.size	_ZL37rocblas_syrkx_herkx_restricted_kernelIi19rocblas_complex_numIfELi16ELi32ELi8ELi1ELi0ELb0ELc84ELc85EKS1_S1_EviT_PT9_S3_lS5_S3_lPT10_S3_li, .Lfunc_end171-_ZL37rocblas_syrkx_herkx_restricted_kernelIi19rocblas_complex_numIfELi16ELi32ELi8ELi1ELi0ELb0ELc84ELc85EKS1_S1_EviT_PT9_S3_lS5_S3_lPT10_S3_li
                                        ; -- End function
	.set _ZL37rocblas_syrkx_herkx_restricted_kernelIi19rocblas_complex_numIfELi16ELi32ELi8ELi1ELi0ELb0ELc84ELc85EKS1_S1_EviT_PT9_S3_lS5_S3_lPT10_S3_li.num_vgpr, 41
	.set _ZL37rocblas_syrkx_herkx_restricted_kernelIi19rocblas_complex_numIfELi16ELi32ELi8ELi1ELi0ELb0ELc84ELc85EKS1_S1_EviT_PT9_S3_lS5_S3_lPT10_S3_li.num_agpr, 0
	.set _ZL37rocblas_syrkx_herkx_restricted_kernelIi19rocblas_complex_numIfELi16ELi32ELi8ELi1ELi0ELb0ELc84ELc85EKS1_S1_EviT_PT9_S3_lS5_S3_lPT10_S3_li.numbered_sgpr, 22
	.set _ZL37rocblas_syrkx_herkx_restricted_kernelIi19rocblas_complex_numIfELi16ELi32ELi8ELi1ELi0ELb0ELc84ELc85EKS1_S1_EviT_PT9_S3_lS5_S3_lPT10_S3_li.num_named_barrier, 0
	.set _ZL37rocblas_syrkx_herkx_restricted_kernelIi19rocblas_complex_numIfELi16ELi32ELi8ELi1ELi0ELb0ELc84ELc85EKS1_S1_EviT_PT9_S3_lS5_S3_lPT10_S3_li.private_seg_size, 0
	.set _ZL37rocblas_syrkx_herkx_restricted_kernelIi19rocblas_complex_numIfELi16ELi32ELi8ELi1ELi0ELb0ELc84ELc85EKS1_S1_EviT_PT9_S3_lS5_S3_lPT10_S3_li.uses_vcc, 1
	.set _ZL37rocblas_syrkx_herkx_restricted_kernelIi19rocblas_complex_numIfELi16ELi32ELi8ELi1ELi0ELb0ELc84ELc85EKS1_S1_EviT_PT9_S3_lS5_S3_lPT10_S3_li.uses_flat_scratch, 0
	.set _ZL37rocblas_syrkx_herkx_restricted_kernelIi19rocblas_complex_numIfELi16ELi32ELi8ELi1ELi0ELb0ELc84ELc85EKS1_S1_EviT_PT9_S3_lS5_S3_lPT10_S3_li.has_dyn_sized_stack, 0
	.set _ZL37rocblas_syrkx_herkx_restricted_kernelIi19rocblas_complex_numIfELi16ELi32ELi8ELi1ELi0ELb0ELc84ELc85EKS1_S1_EviT_PT9_S3_lS5_S3_lPT10_S3_li.has_recursion, 0
	.set _ZL37rocblas_syrkx_herkx_restricted_kernelIi19rocblas_complex_numIfELi16ELi32ELi8ELi1ELi0ELb0ELc84ELc85EKS1_S1_EviT_PT9_S3_lS5_S3_lPT10_S3_li.has_indirect_call, 0
	.section	.AMDGPU.csdata,"",@progbits
; Kernel info:
; codeLenInByte = 1880
; TotalNumSgprs: 26
; NumVgprs: 41
; ScratchSize: 0
; MemoryBound: 0
; FloatMode: 240
; IeeeMode: 1
; LDSByteSize: 4096 bytes/workgroup (compile time only)
; SGPRBlocks: 3
; VGPRBlocks: 10
; NumSGPRsForWavesPerEU: 26
; NumVGPRsForWavesPerEU: 41
; Occupancy: 5
; WaveLimiterHint : 0
; COMPUTE_PGM_RSRC2:SCRATCH_EN: 0
; COMPUTE_PGM_RSRC2:USER_SGPR: 6
; COMPUTE_PGM_RSRC2:TRAP_HANDLER: 0
; COMPUTE_PGM_RSRC2:TGID_X_EN: 1
; COMPUTE_PGM_RSRC2:TGID_Y_EN: 1
; COMPUTE_PGM_RSRC2:TGID_Z_EN: 1
; COMPUTE_PGM_RSRC2:TIDIG_COMP_CNT: 1
	.section	.text._ZL37rocblas_syrkx_herkx_restricted_kernelIi19rocblas_complex_numIfELi16ELi32ELi8ELi1ELi0ELb0ELc67ELc85EKS1_S1_EviT_PT9_S3_lS5_S3_lPT10_S3_li,"axG",@progbits,_ZL37rocblas_syrkx_herkx_restricted_kernelIi19rocblas_complex_numIfELi16ELi32ELi8ELi1ELi0ELb0ELc67ELc85EKS1_S1_EviT_PT9_S3_lS5_S3_lPT10_S3_li,comdat
	.globl	_ZL37rocblas_syrkx_herkx_restricted_kernelIi19rocblas_complex_numIfELi16ELi32ELi8ELi1ELi0ELb0ELc67ELc85EKS1_S1_EviT_PT9_S3_lS5_S3_lPT10_S3_li ; -- Begin function _ZL37rocblas_syrkx_herkx_restricted_kernelIi19rocblas_complex_numIfELi16ELi32ELi8ELi1ELi0ELb0ELc67ELc85EKS1_S1_EviT_PT9_S3_lS5_S3_lPT10_S3_li
	.p2align	8
	.type	_ZL37rocblas_syrkx_herkx_restricted_kernelIi19rocblas_complex_numIfELi16ELi32ELi8ELi1ELi0ELb0ELc67ELc85EKS1_S1_EviT_PT9_S3_lS5_S3_lPT10_S3_li,@function
_ZL37rocblas_syrkx_herkx_restricted_kernelIi19rocblas_complex_numIfELi16ELi32ELi8ELi1ELi0ELb0ELc67ELc85EKS1_S1_EviT_PT9_S3_lS5_S3_lPT10_S3_li: ; @_ZL37rocblas_syrkx_herkx_restricted_kernelIi19rocblas_complex_numIfELi16ELi32ELi8ELi1ELi0ELb0ELc67ELc85EKS1_S1_EviT_PT9_S3_lS5_S3_lPT10_S3_li
; %bb.0:
	s_load_dwordx2 s[10:11], s[4:5], 0x0
	s_load_dwordx4 s[0:3], s[4:5], 0x30
	s_lshl_b32 s6, s6, 5
	s_lshl_b32 s7, s7, 5
	s_mov_b32 s9, 0
	s_waitcnt lgkmcnt(0)
	s_cmp_lt_i32 s11, 1
	s_cbranch_scc1 .LBB172_3
; %bb.1:
	v_lshl_add_u32 v4, v1, 4, v0
	v_and_b32_e32 v7, 31, v4
	s_load_dwordx2 s[16:17], s[4:5], 0x8
	s_load_dword s20, s[4:5], 0x10
	s_load_dwordx4 s[12:15], s[4:5], 0x18
	s_load_dword s18, s[4:5], 0x28
	v_lshrrev_b32_e32 v6, 3, v4
	v_and_b32_e32 v10, 7, v0
	v_lshrrev_b32_e32 v4, 5, v4
	v_lshlrev_b32_e32 v8, 3, v7
	v_lshl_or_b32 v18, v4, 8, v8
	v_lshlrev_b32_e32 v8, 3, v10
	v_add_u32_e32 v2, s7, v6
	v_lshl_or_b32 v6, v6, 6, v8
	v_mov_b32_e32 v11, 0
	v_add_u32_e32 v19, 0x800, v6
	v_mov_b32_e32 v6, 0x800
	v_mov_b32_e32 v5, v11
	v_lshl_add_u32 v21, v1, 6, v6
	v_add_u32_e32 v6, s6, v7
	s_waitcnt lgkmcnt(0)
	v_mad_i64_i32 v[2:3], s[18:19], s18, v2, v[10:11]
	v_mad_i64_i32 v[4:5], s[18:19], s20, v6, v[4:5]
	s_mul_i32 s13, s13, s8
	s_mul_hi_u32 s21, s12, s8
	s_add_i32 s13, s21, s13
	s_mul_i32 s12, s12, s8
	s_lshl_b64 s[12:13], s[12:13], 3
	v_lshlrev_b64 v[4:5], 3, v[4:5]
	s_add_u32 s12, s16, s12
	s_addc_u32 s13, s17, s13
	v_add_co_u32_e32 v4, vcc, s12, v4
	s_mul_i32 s1, s1, s8
	s_mul_hi_u32 s12, s0, s8
	v_mov_b32_e32 v6, s13
	s_add_i32 s1, s12, s1
	s_mul_i32 s0, s0, s8
	v_addc_co_u32_e32 v5, vcc, v6, v5, vcc
	s_lshl_b64 s[0:1], s[0:1], 3
	v_add_co_u32_e32 v6, vcc, 4, v4
	v_lshlrev_b64 v[2:3], 3, v[2:3]
	s_add_u32 s0, s14, s0
	v_addc_co_u32_e32 v7, vcc, 0, v5, vcc
	s_addc_u32 s1, s15, s1
	v_mov_b32_e32 v4, s1
	v_add_co_u32_e32 v2, vcc, s0, v2
	v_addc_co_u32_e32 v3, vcc, v4, v3, vcc
	v_add_co_u32_e32 v8, vcc, 4, v2
	v_lshlrev_b32_e32 v20, 3, v0
	v_addc_co_u32_e32 v9, vcc, 0, v3, vcc
	v_mov_b32_e32 v10, v11
	v_mov_b32_e32 v13, v11
	;; [unrolled: 1-line block ×7, first 2 shown]
.LBB172_2:                              ; =>This Inner Loop Header: Depth=1
	global_load_dwordx2 v[2:3], v[6:7], off offset:-4
	v_add_co_u32_e32 v6, vcc, 64, v6
	v_addc_co_u32_e32 v7, vcc, 0, v7, vcc
	s_add_i32 s9, s9, 8
	s_cmp_ge_i32 s9, s11
	s_waitcnt vmcnt(0)
	ds_write_b64 v18, v[2:3]
	global_load_dwordx2 v[2:3], v[8:9], off offset:-4
	v_add_co_u32_e32 v8, vcc, 64, v8
	v_addc_co_u32_e32 v9, vcc, 0, v9, vcc
	s_waitcnt vmcnt(0)
	ds_write_b64 v19, v[2:3]
	s_waitcnt lgkmcnt(0)
	s_barrier
	ds_read_b128 v[22:25], v21
	ds_read_b128 v[26:29], v21 offset:16
	ds_read_b128 v[30:33], v21 offset:32
	;; [unrolled: 1-line block ×3, first 2 shown]
	ds_read2_b64 v[34:37], v20 offset1:16
	s_waitcnt lgkmcnt(0)
	v_mul_f32_e32 v38, v23, v35
	v_mul_f32_e32 v39, v22, v35
	v_fma_f32 v38, v22, v34, -v38
	v_fmac_f32_e32 v39, v23, v34
	v_add_f32_e32 v38, v16, v38
	v_add_f32_e32 v39, v17, v39
	v_mul_f32_e32 v16, v23, v37
	v_mul_f32_e32 v17, v22, v37
	v_fma_f32 v16, v22, v36, -v16
	v_fmac_f32_e32 v17, v23, v36
	v_add_f32_e32 v22, v14, v16
	v_add_f32_e32 v23, v15, v17
	ds_read_b128 v[14:17], v21 offset:1024
	s_waitcnt lgkmcnt(0)
	v_mul_f32_e32 v40, v15, v35
	v_mul_f32_e32 v35, v14, v35
	v_fma_f32 v40, v14, v34, -v40
	v_fmac_f32_e32 v35, v15, v34
	v_add_f32_e32 v34, v12, v40
	v_add_f32_e32 v35, v13, v35
	v_mul_f32_e32 v12, v15, v37
	v_mul_f32_e32 v13, v14, v37
	v_fma_f32 v12, v14, v36, -v12
	v_fmac_f32_e32 v13, v15, v36
	v_add_f32_e32 v14, v10, v12
	v_add_f32_e32 v15, v11, v13
	ds_read2_b64 v[10:13], v20 offset0:32 offset1:48
	s_waitcnt lgkmcnt(0)
	v_mul_f32_e32 v36, v25, v11
	v_fma_f32 v36, v24, v10, -v36
	v_add_f32_e32 v36, v38, v36
	v_mul_f32_e32 v38, v25, v13
	v_mul_f32_e32 v37, v24, v11
	v_fma_f32 v38, v24, v12, -v38
	v_mul_f32_e32 v24, v24, v13
	v_fmac_f32_e32 v24, v25, v12
	v_add_f32_e32 v23, v23, v24
	v_mul_f32_e32 v24, v17, v11
	v_mul_f32_e32 v11, v16, v11
	v_fmac_f32_e32 v11, v17, v10
	v_fmac_f32_e32 v37, v25, v10
	v_fma_f32 v24, v16, v10, -v24
	v_add_f32_e32 v25, v35, v11
	v_mul_f32_e32 v10, v17, v13
	v_mul_f32_e32 v11, v16, v13
	v_fma_f32 v10, v16, v12, -v10
	v_fmac_f32_e32 v11, v17, v12
	v_add_f32_e32 v24, v34, v24
	v_add_f32_e32 v34, v14, v10
	v_add_f32_e32 v35, v15, v11
	ds_read2_b64 v[10:13], v20 offset0:64 offset1:80
	v_add_f32_e32 v37, v39, v37
	v_add_f32_e32 v22, v22, v38
	s_waitcnt lgkmcnt(0)
	v_mul_f32_e32 v14, v27, v11
	v_mul_f32_e32 v15, v26, v11
	v_fma_f32 v14, v26, v10, -v14
	v_fmac_f32_e32 v15, v27, v10
	v_add_f32_e32 v36, v36, v14
	v_add_f32_e32 v37, v37, v15
	v_mul_f32_e32 v14, v27, v13
	v_mul_f32_e32 v15, v26, v13
	v_fma_f32 v14, v26, v12, -v14
	v_fmac_f32_e32 v15, v27, v12
	v_add_f32_e32 v22, v22, v14
	v_add_f32_e32 v23, v23, v15
	ds_read_b128 v[14:17], v21 offset:1040
	s_waitcnt lgkmcnt(0)
	v_mul_f32_e32 v26, v15, v11
	v_mul_f32_e32 v11, v14, v11
	v_fmac_f32_e32 v11, v15, v10
	v_fma_f32 v26, v14, v10, -v26
	v_add_f32_e32 v25, v25, v11
	v_mul_f32_e32 v10, v15, v13
	v_mul_f32_e32 v11, v14, v13
	v_fma_f32 v10, v14, v12, -v10
	v_fmac_f32_e32 v11, v15, v12
	v_add_f32_e32 v14, v34, v10
	v_add_f32_e32 v15, v35, v11
	ds_read2_b64 v[10:13], v20 offset0:96 offset1:112
	v_add_f32_e32 v24, v24, v26
	s_waitcnt lgkmcnt(0)
	v_mul_f32_e32 v26, v29, v11
	v_mul_f32_e32 v34, v29, v13
	v_fma_f32 v26, v28, v10, -v26
	v_mul_f32_e32 v27, v28, v11
	v_fma_f32 v34, v28, v12, -v34
	v_mul_f32_e32 v28, v28, v13
	v_fmac_f32_e32 v28, v29, v12
	v_add_f32_e32 v23, v23, v28
	v_mul_f32_e32 v28, v17, v11
	v_mul_f32_e32 v11, v16, v11
	v_fmac_f32_e32 v11, v17, v10
	v_fmac_f32_e32 v27, v29, v10
	v_fma_f32 v28, v16, v10, -v28
	v_add_f32_e32 v25, v25, v11
	v_mul_f32_e32 v10, v17, v13
	v_mul_f32_e32 v11, v16, v13
	v_fma_f32 v10, v16, v12, -v10
	v_fmac_f32_e32 v11, v17, v12
	v_add_f32_e32 v24, v24, v28
	v_add_f32_e32 v28, v14, v10
	;; [unrolled: 1-line block ×3, first 2 shown]
	ds_read2_b64 v[10:13], v20 offset0:128 offset1:144
	v_add_f32_e32 v26, v36, v26
	v_add_f32_e32 v27, v37, v27
	;; [unrolled: 1-line block ×3, first 2 shown]
	s_waitcnt lgkmcnt(0)
	v_mul_f32_e32 v14, v31, v11
	v_mul_f32_e32 v15, v30, v11
	v_fma_f32 v14, v30, v10, -v14
	v_fmac_f32_e32 v15, v31, v10
	v_add_f32_e32 v26, v26, v14
	v_add_f32_e32 v27, v27, v15
	v_mul_f32_e32 v14, v31, v13
	v_mul_f32_e32 v15, v30, v13
	v_fma_f32 v14, v30, v12, -v14
	v_fmac_f32_e32 v15, v31, v12
	v_add_f32_e32 v22, v22, v14
	v_add_f32_e32 v23, v23, v15
	ds_read_b128 v[14:17], v21 offset:1056
	s_waitcnt lgkmcnt(0)
	v_mul_f32_e32 v30, v15, v11
	v_mul_f32_e32 v11, v14, v11
	v_fmac_f32_e32 v11, v15, v10
	v_fma_f32 v30, v14, v10, -v30
	v_add_f32_e32 v25, v25, v11
	v_mul_f32_e32 v10, v15, v13
	v_mul_f32_e32 v11, v14, v13
	v_fma_f32 v10, v14, v12, -v10
	v_fmac_f32_e32 v11, v15, v12
	v_add_f32_e32 v14, v28, v10
	v_add_f32_e32 v15, v29, v11
	ds_read2_b64 v[10:13], v20 offset0:160 offset1:176
	v_add_f32_e32 v24, v24, v30
	s_waitcnt lgkmcnt(0)
	v_mul_f32_e32 v28, v33, v11
	v_fma_f32 v28, v32, v10, -v28
	v_mul_f32_e32 v29, v32, v11
	v_add_f32_e32 v26, v26, v28
	v_mul_f32_e32 v28, v33, v13
	v_fmac_f32_e32 v29, v33, v10
	v_fma_f32 v28, v32, v12, -v28
	v_add_f32_e32 v27, v27, v29
	v_mul_f32_e32 v29, v32, v13
	v_add_f32_e32 v22, v22, v28
	v_mul_f32_e32 v28, v17, v11
	v_mul_f32_e32 v11, v16, v11
	v_fmac_f32_e32 v29, v33, v12
	v_fmac_f32_e32 v11, v17, v10
	v_add_f32_e32 v23, v23, v29
	v_fma_f32 v28, v16, v10, -v28
	v_add_f32_e32 v29, v25, v11
	v_mul_f32_e32 v10, v17, v13
	v_mul_f32_e32 v11, v16, v13
	v_fma_f32 v10, v16, v12, -v10
	v_fmac_f32_e32 v11, v17, v12
	v_add_f32_e32 v14, v14, v10
	v_add_f32_e32 v15, v15, v11
	ds_read2_b64 v[10:13], v20 offset0:192 offset1:208
	v_add_f32_e32 v28, v24, v28
	s_waitcnt lgkmcnt(0)
	v_mul_f32_e32 v16, v3, v11
	v_mul_f32_e32 v24, v3, v13
	v_fma_f32 v16, v2, v10, -v16
	v_mul_f32_e32 v17, v2, v11
	v_fma_f32 v24, v2, v12, -v24
	v_mul_f32_e32 v2, v2, v13
	v_fmac_f32_e32 v2, v3, v12
	v_fmac_f32_e32 v17, v3, v10
	v_add_f32_e32 v3, v22, v24
	v_add_f32_e32 v2, v23, v2
	ds_read_b128 v[22:25], v21 offset:1072
	v_add_f32_e32 v16, v26, v16
	v_add_f32_e32 v17, v27, v17
	s_waitcnt lgkmcnt(0)
	v_mul_f32_e32 v26, v23, v11
	v_fma_f32 v26, v22, v10, -v26
	v_mul_f32_e32 v11, v22, v11
	v_fmac_f32_e32 v11, v23, v10
	v_add_f32_e32 v10, v28, v26
	v_mul_f32_e32 v26, v23, v13
	v_fma_f32 v26, v22, v12, -v26
	v_add_f32_e32 v11, v29, v11
	v_mul_f32_e32 v13, v22, v13
	v_add_f32_e32 v22, v14, v26
	ds_read2_b64 v[26:29], v20 offset0:224 offset1:240
	v_fmac_f32_e32 v13, v23, v12
	v_add_f32_e32 v23, v15, v13
	s_waitcnt lgkmcnt(0)
	s_barrier
	v_mul_f32_e32 v12, v5, v27
	v_fma_f32 v12, v4, v26, -v12
	v_add_f32_e32 v16, v16, v12
	v_mul_f32_e32 v12, v5, v29
	v_mul_f32_e32 v13, v4, v27
	v_fma_f32 v12, v4, v28, -v12
	v_mul_f32_e32 v4, v4, v29
	v_fmac_f32_e32 v4, v5, v28
	v_add_f32_e32 v14, v3, v12
	v_add_f32_e32 v15, v2, v4
	v_mul_f32_e32 v2, v25, v27
	v_mul_f32_e32 v3, v24, v27
	v_fmac_f32_e32 v13, v5, v26
	v_fma_f32 v2, v24, v26, -v2
	v_fmac_f32_e32 v3, v25, v26
	v_add_f32_e32 v17, v17, v13
	v_add_f32_e32 v12, v10, v2
	;; [unrolled: 1-line block ×3, first 2 shown]
	v_mul_f32_e32 v2, v25, v29
	v_mul_f32_e32 v3, v24, v29
	v_fma_f32 v2, v24, v28, -v2
	v_fmac_f32_e32 v3, v25, v28
	v_add_f32_e32 v10, v22, v2
	v_add_f32_e32 v11, v23, v3
	s_cbranch_scc0 .LBB172_2
	s_branch .LBB172_4
.LBB172_3:
	v_mov_b32_e32 v16, 0
	v_mov_b32_e32 v17, 0
	;; [unrolled: 1-line block ×8, first 2 shown]
.LBB172_4:
	s_load_dwordx2 s[0:1], s[4:5], 0x48
	s_load_dword s9, s[4:5], 0x40
	v_add_u32_e32 v4, s7, v1
	v_add_u32_e32 v0, s6, v0
	v_cmp_gt_i32_e32 vcc, s10, v4
	s_waitcnt lgkmcnt(0)
	s_mul_i32 s1, s1, s8
	v_mad_i64_i32 v[1:2], s[12:13], v4, s9, 0
	s_mul_hi_u32 s4, s0, s8
	s_mul_i32 s0, s0, s8
	s_add_i32 s1, s4, s1
	s_lshl_b64 s[0:1], s[0:1], 3
	s_add_u32 s4, s2, s0
	v_lshlrev_b64 v[1:2], 3, v[1:2]
	s_addc_u32 s5, s3, s1
	v_mov_b32_e32 v3, s5
	v_add_co_u32_e64 v5, s[0:1], s4, v1
	v_addc_co_u32_e64 v6, s[0:1], v3, v2, s[0:1]
	v_cmp_le_i32_e64 s[0:1], v0, v4
	s_and_b64 s[0:1], vcc, s[0:1]
	s_and_saveexec_b64 s[2:3], s[0:1]
	s_cbranch_execz .LBB172_6
; %bb.5:
	v_ashrrev_i32_e32 v1, 31, v0
	v_lshlrev_b64 v[1:2], 3, v[0:1]
	v_add_co_u32_e64 v1, s[0:1], v5, v1
	v_addc_co_u32_e64 v2, s[0:1], v6, v2, s[0:1]
	global_store_dwordx2 v[1:2], v[16:17], off
.LBB172_6:
	s_or_b64 exec, exec, s[2:3]
	v_add_u32_e32 v2, 16, v0
	v_cmp_le_i32_e64 s[0:1], v2, v4
	s_and_b64 s[2:3], vcc, s[0:1]
	s_and_saveexec_b64 s[0:1], s[2:3]
	s_cbranch_execz .LBB172_8
; %bb.7:
	v_ashrrev_i32_e32 v3, 31, v2
	v_lshlrev_b64 v[7:8], 3, v[2:3]
	v_add_co_u32_e32 v5, vcc, v5, v7
	v_addc_co_u32_e32 v6, vcc, v6, v8, vcc
	global_store_dwordx2 v[5:6], v[14:15], off
.LBB172_8:
	s_or_b64 exec, exec, s[0:1]
	v_add_u32_e32 v3, 16, v4
	v_mad_i64_i32 v[4:5], s[0:1], v3, s9, 0
	v_mov_b32_e32 v1, s5
	v_cmp_gt_i32_e32 vcc, s10, v3
	v_lshlrev_b64 v[4:5], 3, v[4:5]
	v_add_co_u32_e64 v4, s[0:1], s4, v4
	v_addc_co_u32_e64 v5, s[0:1], v1, v5, s[0:1]
	v_cmp_le_i32_e64 s[0:1], v0, v3
	s_and_b64 s[0:1], vcc, s[0:1]
	s_and_saveexec_b64 s[2:3], s[0:1]
	s_cbranch_execz .LBB172_10
; %bb.9:
	v_ashrrev_i32_e32 v1, 31, v0
	v_lshlrev_b64 v[0:1], 3, v[0:1]
	v_add_co_u32_e64 v0, s[0:1], v4, v0
	v_addc_co_u32_e64 v1, s[0:1], v5, v1, s[0:1]
	global_store_dwordx2 v[0:1], v[12:13], off
.LBB172_10:
	s_or_b64 exec, exec, s[2:3]
	v_cmp_le_i32_e64 s[0:1], v2, v3
	s_and_b64 s[0:1], vcc, s[0:1]
	s_and_saveexec_b64 s[2:3], s[0:1]
	s_cbranch_execz .LBB172_12
; %bb.11:
	v_ashrrev_i32_e32 v3, 31, v2
	v_lshlrev_b64 v[0:1], 3, v[2:3]
	v_add_co_u32_e32 v0, vcc, v4, v0
	v_addc_co_u32_e32 v1, vcc, v5, v1, vcc
	global_store_dwordx2 v[0:1], v[10:11], off
.LBB172_12:
	s_endpgm
	.section	.rodata,"a",@progbits
	.p2align	6, 0x0
	.amdhsa_kernel _ZL37rocblas_syrkx_herkx_restricted_kernelIi19rocblas_complex_numIfELi16ELi32ELi8ELi1ELi0ELb0ELc67ELc85EKS1_S1_EviT_PT9_S3_lS5_S3_lPT10_S3_li
		.amdhsa_group_segment_fixed_size 4096
		.amdhsa_private_segment_fixed_size 0
		.amdhsa_kernarg_size 84
		.amdhsa_user_sgpr_count 6
		.amdhsa_user_sgpr_private_segment_buffer 1
		.amdhsa_user_sgpr_dispatch_ptr 0
		.amdhsa_user_sgpr_queue_ptr 0
		.amdhsa_user_sgpr_kernarg_segment_ptr 1
		.amdhsa_user_sgpr_dispatch_id 0
		.amdhsa_user_sgpr_flat_scratch_init 0
		.amdhsa_user_sgpr_private_segment_size 0
		.amdhsa_uses_dynamic_stack 0
		.amdhsa_system_sgpr_private_segment_wavefront_offset 0
		.amdhsa_system_sgpr_workgroup_id_x 1
		.amdhsa_system_sgpr_workgroup_id_y 1
		.amdhsa_system_sgpr_workgroup_id_z 1
		.amdhsa_system_sgpr_workgroup_info 0
		.amdhsa_system_vgpr_workitem_id 1
		.amdhsa_next_free_vgpr 41
		.amdhsa_next_free_sgpr 22
		.amdhsa_reserve_vcc 1
		.amdhsa_reserve_flat_scratch 0
		.amdhsa_float_round_mode_32 0
		.amdhsa_float_round_mode_16_64 0
		.amdhsa_float_denorm_mode_32 3
		.amdhsa_float_denorm_mode_16_64 3
		.amdhsa_dx10_clamp 1
		.amdhsa_ieee_mode 1
		.amdhsa_fp16_overflow 0
		.amdhsa_exception_fp_ieee_invalid_op 0
		.amdhsa_exception_fp_denorm_src 0
		.amdhsa_exception_fp_ieee_div_zero 0
		.amdhsa_exception_fp_ieee_overflow 0
		.amdhsa_exception_fp_ieee_underflow 0
		.amdhsa_exception_fp_ieee_inexact 0
		.amdhsa_exception_int_div_zero 0
	.end_amdhsa_kernel
	.section	.text._ZL37rocblas_syrkx_herkx_restricted_kernelIi19rocblas_complex_numIfELi16ELi32ELi8ELi1ELi0ELb0ELc67ELc85EKS1_S1_EviT_PT9_S3_lS5_S3_lPT10_S3_li,"axG",@progbits,_ZL37rocblas_syrkx_herkx_restricted_kernelIi19rocblas_complex_numIfELi16ELi32ELi8ELi1ELi0ELb0ELc67ELc85EKS1_S1_EviT_PT9_S3_lS5_S3_lPT10_S3_li,comdat
.Lfunc_end172:
	.size	_ZL37rocblas_syrkx_herkx_restricted_kernelIi19rocblas_complex_numIfELi16ELi32ELi8ELi1ELi0ELb0ELc67ELc85EKS1_S1_EviT_PT9_S3_lS5_S3_lPT10_S3_li, .Lfunc_end172-_ZL37rocblas_syrkx_herkx_restricted_kernelIi19rocblas_complex_numIfELi16ELi32ELi8ELi1ELi0ELb0ELc67ELc85EKS1_S1_EviT_PT9_S3_lS5_S3_lPT10_S3_li
                                        ; -- End function
	.set _ZL37rocblas_syrkx_herkx_restricted_kernelIi19rocblas_complex_numIfELi16ELi32ELi8ELi1ELi0ELb0ELc67ELc85EKS1_S1_EviT_PT9_S3_lS5_S3_lPT10_S3_li.num_vgpr, 41
	.set _ZL37rocblas_syrkx_herkx_restricted_kernelIi19rocblas_complex_numIfELi16ELi32ELi8ELi1ELi0ELb0ELc67ELc85EKS1_S1_EviT_PT9_S3_lS5_S3_lPT10_S3_li.num_agpr, 0
	.set _ZL37rocblas_syrkx_herkx_restricted_kernelIi19rocblas_complex_numIfELi16ELi32ELi8ELi1ELi0ELb0ELc67ELc85EKS1_S1_EviT_PT9_S3_lS5_S3_lPT10_S3_li.numbered_sgpr, 22
	.set _ZL37rocblas_syrkx_herkx_restricted_kernelIi19rocblas_complex_numIfELi16ELi32ELi8ELi1ELi0ELb0ELc67ELc85EKS1_S1_EviT_PT9_S3_lS5_S3_lPT10_S3_li.num_named_barrier, 0
	.set _ZL37rocblas_syrkx_herkx_restricted_kernelIi19rocblas_complex_numIfELi16ELi32ELi8ELi1ELi0ELb0ELc67ELc85EKS1_S1_EviT_PT9_S3_lS5_S3_lPT10_S3_li.private_seg_size, 0
	.set _ZL37rocblas_syrkx_herkx_restricted_kernelIi19rocblas_complex_numIfELi16ELi32ELi8ELi1ELi0ELb0ELc67ELc85EKS1_S1_EviT_PT9_S3_lS5_S3_lPT10_S3_li.uses_vcc, 1
	.set _ZL37rocblas_syrkx_herkx_restricted_kernelIi19rocblas_complex_numIfELi16ELi32ELi8ELi1ELi0ELb0ELc67ELc85EKS1_S1_EviT_PT9_S3_lS5_S3_lPT10_S3_li.uses_flat_scratch, 0
	.set _ZL37rocblas_syrkx_herkx_restricted_kernelIi19rocblas_complex_numIfELi16ELi32ELi8ELi1ELi0ELb0ELc67ELc85EKS1_S1_EviT_PT9_S3_lS5_S3_lPT10_S3_li.has_dyn_sized_stack, 0
	.set _ZL37rocblas_syrkx_herkx_restricted_kernelIi19rocblas_complex_numIfELi16ELi32ELi8ELi1ELi0ELb0ELc67ELc85EKS1_S1_EviT_PT9_S3_lS5_S3_lPT10_S3_li.has_recursion, 0
	.set _ZL37rocblas_syrkx_herkx_restricted_kernelIi19rocblas_complex_numIfELi16ELi32ELi8ELi1ELi0ELb0ELc67ELc85EKS1_S1_EviT_PT9_S3_lS5_S3_lPT10_S3_li.has_indirect_call, 0
	.section	.AMDGPU.csdata,"",@progbits
; Kernel info:
; codeLenInByte = 1880
; TotalNumSgprs: 26
; NumVgprs: 41
; ScratchSize: 0
; MemoryBound: 0
; FloatMode: 240
; IeeeMode: 1
; LDSByteSize: 4096 bytes/workgroup (compile time only)
; SGPRBlocks: 3
; VGPRBlocks: 10
; NumSGPRsForWavesPerEU: 26
; NumVGPRsForWavesPerEU: 41
; Occupancy: 5
; WaveLimiterHint : 0
; COMPUTE_PGM_RSRC2:SCRATCH_EN: 0
; COMPUTE_PGM_RSRC2:USER_SGPR: 6
; COMPUTE_PGM_RSRC2:TRAP_HANDLER: 0
; COMPUTE_PGM_RSRC2:TGID_X_EN: 1
; COMPUTE_PGM_RSRC2:TGID_Y_EN: 1
; COMPUTE_PGM_RSRC2:TGID_Z_EN: 1
; COMPUTE_PGM_RSRC2:TIDIG_COMP_CNT: 1
	.section	.text._ZL37rocblas_syrkx_herkx_restricted_kernelIi19rocblas_complex_numIfELi16ELi32ELi8ELi1ELi0ELb0ELc78ELc85EKS1_S1_EviT_PT9_S3_lS5_S3_lPT10_S3_li,"axG",@progbits,_ZL37rocblas_syrkx_herkx_restricted_kernelIi19rocblas_complex_numIfELi16ELi32ELi8ELi1ELi0ELb0ELc78ELc85EKS1_S1_EviT_PT9_S3_lS5_S3_lPT10_S3_li,comdat
	.globl	_ZL37rocblas_syrkx_herkx_restricted_kernelIi19rocblas_complex_numIfELi16ELi32ELi8ELi1ELi0ELb0ELc78ELc85EKS1_S1_EviT_PT9_S3_lS5_S3_lPT10_S3_li ; -- Begin function _ZL37rocblas_syrkx_herkx_restricted_kernelIi19rocblas_complex_numIfELi16ELi32ELi8ELi1ELi0ELb0ELc78ELc85EKS1_S1_EviT_PT9_S3_lS5_S3_lPT10_S3_li
	.p2align	8
	.type	_ZL37rocblas_syrkx_herkx_restricted_kernelIi19rocblas_complex_numIfELi16ELi32ELi8ELi1ELi0ELb0ELc78ELc85EKS1_S1_EviT_PT9_S3_lS5_S3_lPT10_S3_li,@function
_ZL37rocblas_syrkx_herkx_restricted_kernelIi19rocblas_complex_numIfELi16ELi32ELi8ELi1ELi0ELb0ELc78ELc85EKS1_S1_EviT_PT9_S3_lS5_S3_lPT10_S3_li: ; @_ZL37rocblas_syrkx_herkx_restricted_kernelIi19rocblas_complex_numIfELi16ELi32ELi8ELi1ELi0ELb0ELc78ELc85EKS1_S1_EviT_PT9_S3_lS5_S3_lPT10_S3_li
; %bb.0:
	s_load_dwordx2 s[10:11], s[4:5], 0x0
	s_load_dwordx4 s[0:3], s[4:5], 0x30
	s_lshl_b32 s9, s6, 5
	s_lshl_b32 s16, s7, 5
	s_mov_b32 s17, 0
	s_waitcnt lgkmcnt(0)
	s_cmp_lt_i32 s11, 1
	s_cbranch_scc1 .LBB173_3
; %bb.1:
	v_lshl_add_u32 v5, v1, 4, v0
	s_load_dword s6, s[4:5], 0x10
	s_load_dword s18, s[4:5], 0x28
	s_load_dwordx2 s[20:21], s[4:5], 0x8
	s_load_dwordx4 s[12:15], s[4:5], 0x18
	v_lshrrev_b32_e32 v6, 3, v5
	v_add_u32_e32 v2, s16, v6
	v_and_b32_e32 v4, 7, v0
	v_ashrrev_i32_e32 v3, 31, v2
	s_waitcnt lgkmcnt(0)
	v_mad_i64_i32 v[2:3], s[22:23], s18, v4, v[2:3]
	v_lshlrev_b32_e32 v4, 3, v4
	v_lshl_or_b32 v4, v6, 6, v4
	v_lshrrev_b32_e32 v7, 5, v5
	v_and_b32_e32 v5, 31, v5
	v_add_u32_e32 v19, 0x800, v4
	v_mov_b32_e32 v4, 0x800
	v_lshl_add_u32 v21, v1, 6, v4
	v_add_u32_e32 v4, s9, v5
	v_lshlrev_b32_e32 v8, 3, v5
	v_ashrrev_i32_e32 v5, 31, v4
	v_mad_i64_i32 v[4:5], s[22:23], s6, v7, v[4:5]
	s_mul_i32 s13, s13, s8
	s_mul_hi_u32 s24, s12, s8
	s_add_i32 s13, s24, s13
	s_mul_i32 s12, s12, s8
	s_ashr_i32 s7, s6, 31
	s_ashr_i32 s19, s18, 31
	s_lshl_b64 s[12:13], s[12:13], 3
	v_lshlrev_b64 v[4:5], 3, v[4:5]
	s_add_u32 s12, s20, s12
	s_addc_u32 s13, s21, s13
	v_add_co_u32_e32 v4, vcc, s12, v4
	s_mul_i32 s1, s1, s8
	s_mul_hi_u32 s12, s0, s8
	v_mov_b32_e32 v6, s13
	s_add_i32 s1, s12, s1
	s_mul_i32 s0, s0, s8
	v_addc_co_u32_e32 v5, vcc, v6, v5, vcc
	s_lshl_b64 s[6:7], s[6:7], 6
	s_lshl_b64 s[0:1], s[0:1], 3
	v_add_co_u32_e32 v6, vcc, 4, v4
	v_lshlrev_b64 v[2:3], 3, v[2:3]
	s_add_u32 s0, s14, s0
	v_lshl_or_b32 v18, v7, 8, v8
	v_addc_co_u32_e32 v7, vcc, 0, v5, vcc
	s_addc_u32 s1, s15, s1
	v_mov_b32_e32 v4, s1
	v_add_co_u32_e32 v2, vcc, s0, v2
	v_addc_co_u32_e32 v3, vcc, v4, v3, vcc
	v_add_co_u32_e32 v8, vcc, 4, v2
	s_lshl_b64 s[0:1], s[18:19], 6
	v_lshlrev_b32_e32 v20, 3, v0
	v_addc_co_u32_e32 v9, vcc, 0, v3, vcc
	v_mov_b32_e32 v11, 0
	v_mov_b32_e32 v22, s7
	;; [unrolled: 1-line block ×10, first 2 shown]
.LBB173_2:                              ; =>This Inner Loop Header: Depth=1
	global_load_dwordx2 v[2:3], v[6:7], off offset:-4
	v_add_co_u32_e32 v6, vcc, s6, v6
	v_addc_co_u32_e32 v7, vcc, v7, v22, vcc
	s_add_i32 s17, s17, 8
	s_cmp_ge_i32 s17, s11
	s_waitcnt vmcnt(0)
	ds_write_b64 v18, v[2:3]
	global_load_dwordx2 v[2:3], v[8:9], off offset:-4
	v_add_co_u32_e32 v8, vcc, s0, v8
	v_addc_co_u32_e32 v9, vcc, v9, v23, vcc
	s_waitcnt vmcnt(0)
	ds_write_b64 v19, v[2:3]
	s_waitcnt lgkmcnt(0)
	s_barrier
	ds_read_b128 v[24:27], v21
	ds_read_b128 v[28:31], v21 offset:16
	ds_read_b128 v[32:35], v21 offset:32
	;; [unrolled: 1-line block ×3, first 2 shown]
	ds_read2_b64 v[36:39], v20 offset1:16
	s_waitcnt lgkmcnt(0)
	v_mul_f32_e32 v40, v25, v37
	v_mul_f32_e32 v41, v24, v37
	v_fma_f32 v40, v24, v36, -v40
	v_fmac_f32_e32 v41, v25, v36
	v_add_f32_e32 v40, v16, v40
	v_add_f32_e32 v41, v17, v41
	v_mul_f32_e32 v16, v25, v39
	v_mul_f32_e32 v17, v24, v39
	v_fma_f32 v16, v24, v38, -v16
	v_fmac_f32_e32 v17, v25, v38
	v_add_f32_e32 v24, v14, v16
	v_add_f32_e32 v25, v15, v17
	ds_read_b128 v[14:17], v21 offset:1024
	s_waitcnt lgkmcnt(0)
	v_mul_f32_e32 v42, v15, v37
	v_mul_f32_e32 v37, v14, v37
	v_fma_f32 v42, v14, v36, -v42
	v_fmac_f32_e32 v37, v15, v36
	v_add_f32_e32 v36, v12, v42
	v_add_f32_e32 v37, v13, v37
	v_mul_f32_e32 v12, v15, v39
	v_mul_f32_e32 v13, v14, v39
	v_fma_f32 v12, v14, v38, -v12
	v_fmac_f32_e32 v13, v15, v38
	v_add_f32_e32 v14, v10, v12
	v_add_f32_e32 v15, v11, v13
	ds_read2_b64 v[10:13], v20 offset0:32 offset1:48
	s_waitcnt lgkmcnt(0)
	v_mul_f32_e32 v38, v27, v11
	v_fma_f32 v38, v26, v10, -v38
	v_add_f32_e32 v38, v40, v38
	v_mul_f32_e32 v40, v27, v13
	v_mul_f32_e32 v39, v26, v11
	v_fma_f32 v40, v26, v12, -v40
	v_mul_f32_e32 v26, v26, v13
	v_fmac_f32_e32 v26, v27, v12
	v_add_f32_e32 v25, v25, v26
	v_mul_f32_e32 v26, v17, v11
	v_mul_f32_e32 v11, v16, v11
	v_fmac_f32_e32 v11, v17, v10
	v_fmac_f32_e32 v39, v27, v10
	v_fma_f32 v26, v16, v10, -v26
	v_add_f32_e32 v27, v37, v11
	v_mul_f32_e32 v10, v17, v13
	v_mul_f32_e32 v11, v16, v13
	v_fma_f32 v10, v16, v12, -v10
	v_fmac_f32_e32 v11, v17, v12
	v_add_f32_e32 v26, v36, v26
	v_add_f32_e32 v36, v14, v10
	;; [unrolled: 1-line block ×3, first 2 shown]
	ds_read2_b64 v[10:13], v20 offset0:64 offset1:80
	v_add_f32_e32 v39, v41, v39
	v_add_f32_e32 v24, v24, v40
	s_waitcnt lgkmcnt(0)
	v_mul_f32_e32 v14, v29, v11
	v_mul_f32_e32 v15, v28, v11
	v_fma_f32 v14, v28, v10, -v14
	v_fmac_f32_e32 v15, v29, v10
	v_add_f32_e32 v38, v38, v14
	v_add_f32_e32 v39, v39, v15
	v_mul_f32_e32 v14, v29, v13
	v_mul_f32_e32 v15, v28, v13
	v_fma_f32 v14, v28, v12, -v14
	v_fmac_f32_e32 v15, v29, v12
	v_add_f32_e32 v24, v24, v14
	v_add_f32_e32 v25, v25, v15
	ds_read_b128 v[14:17], v21 offset:1040
	s_waitcnt lgkmcnt(0)
	v_mul_f32_e32 v28, v15, v11
	v_mul_f32_e32 v11, v14, v11
	v_fmac_f32_e32 v11, v15, v10
	v_fma_f32 v28, v14, v10, -v28
	v_add_f32_e32 v27, v27, v11
	v_mul_f32_e32 v10, v15, v13
	v_mul_f32_e32 v11, v14, v13
	v_fma_f32 v10, v14, v12, -v10
	v_fmac_f32_e32 v11, v15, v12
	v_add_f32_e32 v14, v36, v10
	v_add_f32_e32 v15, v37, v11
	ds_read2_b64 v[10:13], v20 offset0:96 offset1:112
	v_add_f32_e32 v26, v26, v28
	s_waitcnt lgkmcnt(0)
	v_mul_f32_e32 v28, v31, v11
	v_mul_f32_e32 v36, v31, v13
	v_fma_f32 v28, v30, v10, -v28
	v_mul_f32_e32 v29, v30, v11
	v_fma_f32 v36, v30, v12, -v36
	v_mul_f32_e32 v30, v30, v13
	v_fmac_f32_e32 v30, v31, v12
	v_add_f32_e32 v25, v25, v30
	v_mul_f32_e32 v30, v17, v11
	v_mul_f32_e32 v11, v16, v11
	v_fmac_f32_e32 v11, v17, v10
	v_fmac_f32_e32 v29, v31, v10
	v_fma_f32 v30, v16, v10, -v30
	v_add_f32_e32 v27, v27, v11
	v_mul_f32_e32 v10, v17, v13
	v_mul_f32_e32 v11, v16, v13
	v_fma_f32 v10, v16, v12, -v10
	v_fmac_f32_e32 v11, v17, v12
	v_add_f32_e32 v26, v26, v30
	v_add_f32_e32 v30, v14, v10
	;; [unrolled: 1-line block ×3, first 2 shown]
	ds_read2_b64 v[10:13], v20 offset0:128 offset1:144
	v_add_f32_e32 v28, v38, v28
	v_add_f32_e32 v29, v39, v29
	;; [unrolled: 1-line block ×3, first 2 shown]
	s_waitcnt lgkmcnt(0)
	v_mul_f32_e32 v14, v33, v11
	v_mul_f32_e32 v15, v32, v11
	v_fma_f32 v14, v32, v10, -v14
	v_fmac_f32_e32 v15, v33, v10
	v_add_f32_e32 v28, v28, v14
	v_add_f32_e32 v29, v29, v15
	v_mul_f32_e32 v14, v33, v13
	v_mul_f32_e32 v15, v32, v13
	v_fma_f32 v14, v32, v12, -v14
	v_fmac_f32_e32 v15, v33, v12
	v_add_f32_e32 v24, v24, v14
	v_add_f32_e32 v25, v25, v15
	ds_read_b128 v[14:17], v21 offset:1056
	s_waitcnt lgkmcnt(0)
	v_mul_f32_e32 v32, v15, v11
	v_mul_f32_e32 v11, v14, v11
	v_fmac_f32_e32 v11, v15, v10
	v_fma_f32 v32, v14, v10, -v32
	v_add_f32_e32 v27, v27, v11
	v_mul_f32_e32 v10, v15, v13
	v_mul_f32_e32 v11, v14, v13
	v_fma_f32 v10, v14, v12, -v10
	v_fmac_f32_e32 v11, v15, v12
	v_add_f32_e32 v14, v30, v10
	v_add_f32_e32 v15, v31, v11
	ds_read2_b64 v[10:13], v20 offset0:160 offset1:176
	v_add_f32_e32 v26, v26, v32
	s_waitcnt lgkmcnt(0)
	v_mul_f32_e32 v30, v35, v11
	v_fma_f32 v30, v34, v10, -v30
	v_mul_f32_e32 v31, v34, v11
	v_add_f32_e32 v28, v28, v30
	v_mul_f32_e32 v30, v35, v13
	v_fmac_f32_e32 v31, v35, v10
	v_fma_f32 v30, v34, v12, -v30
	v_add_f32_e32 v29, v29, v31
	v_mul_f32_e32 v31, v34, v13
	v_add_f32_e32 v24, v24, v30
	v_mul_f32_e32 v30, v17, v11
	v_mul_f32_e32 v11, v16, v11
	v_fmac_f32_e32 v31, v35, v12
	v_fmac_f32_e32 v11, v17, v10
	v_add_f32_e32 v25, v25, v31
	v_fma_f32 v30, v16, v10, -v30
	v_add_f32_e32 v31, v27, v11
	v_mul_f32_e32 v10, v17, v13
	v_mul_f32_e32 v11, v16, v13
	v_fma_f32 v10, v16, v12, -v10
	v_fmac_f32_e32 v11, v17, v12
	v_add_f32_e32 v14, v14, v10
	v_add_f32_e32 v15, v15, v11
	ds_read2_b64 v[10:13], v20 offset0:192 offset1:208
	v_add_f32_e32 v30, v26, v30
	s_waitcnt lgkmcnt(0)
	v_mul_f32_e32 v16, v3, v11
	v_mul_f32_e32 v26, v3, v13
	v_fma_f32 v16, v2, v10, -v16
	v_mul_f32_e32 v17, v2, v11
	v_fma_f32 v26, v2, v12, -v26
	v_mul_f32_e32 v2, v2, v13
	v_fmac_f32_e32 v2, v3, v12
	v_fmac_f32_e32 v17, v3, v10
	v_add_f32_e32 v3, v24, v26
	v_add_f32_e32 v2, v25, v2
	ds_read_b128 v[24:27], v21 offset:1072
	v_add_f32_e32 v16, v28, v16
	v_add_f32_e32 v17, v29, v17
	s_waitcnt lgkmcnt(0)
	v_mul_f32_e32 v28, v25, v11
	v_fma_f32 v28, v24, v10, -v28
	v_mul_f32_e32 v11, v24, v11
	v_fmac_f32_e32 v11, v25, v10
	v_add_f32_e32 v10, v30, v28
	v_mul_f32_e32 v28, v25, v13
	v_fma_f32 v28, v24, v12, -v28
	v_add_f32_e32 v11, v31, v11
	v_mul_f32_e32 v13, v24, v13
	v_add_f32_e32 v24, v14, v28
	ds_read2_b64 v[28:31], v20 offset0:224 offset1:240
	v_fmac_f32_e32 v13, v25, v12
	v_add_f32_e32 v25, v15, v13
	s_waitcnt lgkmcnt(0)
	s_barrier
	v_mul_f32_e32 v12, v5, v29
	v_fma_f32 v12, v4, v28, -v12
	v_add_f32_e32 v16, v16, v12
	v_mul_f32_e32 v12, v5, v31
	v_mul_f32_e32 v13, v4, v29
	v_fma_f32 v12, v4, v30, -v12
	v_mul_f32_e32 v4, v4, v31
	v_fmac_f32_e32 v4, v5, v30
	v_add_f32_e32 v14, v3, v12
	v_add_f32_e32 v15, v2, v4
	v_mul_f32_e32 v2, v27, v29
	v_mul_f32_e32 v3, v26, v29
	v_fmac_f32_e32 v13, v5, v28
	v_fma_f32 v2, v26, v28, -v2
	v_fmac_f32_e32 v3, v27, v28
	v_add_f32_e32 v17, v17, v13
	v_add_f32_e32 v12, v10, v2
	;; [unrolled: 1-line block ×3, first 2 shown]
	v_mul_f32_e32 v2, v27, v31
	v_mul_f32_e32 v3, v26, v31
	v_fma_f32 v2, v26, v30, -v2
	v_fmac_f32_e32 v3, v27, v30
	v_add_f32_e32 v10, v24, v2
	v_add_f32_e32 v11, v25, v3
	s_cbranch_scc0 .LBB173_2
	s_branch .LBB173_4
.LBB173_3:
	v_mov_b32_e32 v16, 0
	v_mov_b32_e32 v17, 0
	;; [unrolled: 1-line block ×8, first 2 shown]
.LBB173_4:
	s_load_dwordx2 s[0:1], s[4:5], 0x48
	s_load_dword s6, s[4:5], 0x40
	v_add_u32_e32 v4, s16, v1
	v_add_u32_e32 v0, s9, v0
	v_cmp_gt_i32_e32 vcc, s10, v4
	s_waitcnt lgkmcnt(0)
	s_mul_i32 s1, s1, s8
	v_mad_i64_i32 v[1:2], s[12:13], v4, s6, 0
	s_mul_hi_u32 s4, s0, s8
	s_mul_i32 s0, s0, s8
	s_add_i32 s1, s4, s1
	s_lshl_b64 s[0:1], s[0:1], 3
	s_add_u32 s4, s2, s0
	v_lshlrev_b64 v[1:2], 3, v[1:2]
	s_addc_u32 s5, s3, s1
	v_mov_b32_e32 v3, s5
	v_add_co_u32_e64 v5, s[0:1], s4, v1
	v_addc_co_u32_e64 v6, s[0:1], v3, v2, s[0:1]
	v_cmp_le_i32_e64 s[0:1], v0, v4
	s_and_b64 s[0:1], vcc, s[0:1]
	s_and_saveexec_b64 s[2:3], s[0:1]
	s_cbranch_execz .LBB173_6
; %bb.5:
	v_ashrrev_i32_e32 v1, 31, v0
	v_lshlrev_b64 v[1:2], 3, v[0:1]
	v_add_co_u32_e64 v1, s[0:1], v5, v1
	v_addc_co_u32_e64 v2, s[0:1], v6, v2, s[0:1]
	global_store_dwordx2 v[1:2], v[16:17], off
.LBB173_6:
	s_or_b64 exec, exec, s[2:3]
	v_add_u32_e32 v2, 16, v0
	v_cmp_le_i32_e64 s[0:1], v2, v4
	s_and_b64 s[2:3], vcc, s[0:1]
	s_and_saveexec_b64 s[0:1], s[2:3]
	s_cbranch_execz .LBB173_8
; %bb.7:
	v_ashrrev_i32_e32 v3, 31, v2
	v_lshlrev_b64 v[7:8], 3, v[2:3]
	v_add_co_u32_e32 v5, vcc, v5, v7
	v_addc_co_u32_e32 v6, vcc, v6, v8, vcc
	global_store_dwordx2 v[5:6], v[14:15], off
.LBB173_8:
	s_or_b64 exec, exec, s[0:1]
	v_add_u32_e32 v3, 16, v4
	v_mad_i64_i32 v[4:5], s[0:1], v3, s6, 0
	v_mov_b32_e32 v1, s5
	v_cmp_gt_i32_e32 vcc, s10, v3
	v_lshlrev_b64 v[4:5], 3, v[4:5]
	v_add_co_u32_e64 v4, s[0:1], s4, v4
	v_addc_co_u32_e64 v5, s[0:1], v1, v5, s[0:1]
	v_cmp_le_i32_e64 s[0:1], v0, v3
	s_and_b64 s[0:1], vcc, s[0:1]
	s_and_saveexec_b64 s[2:3], s[0:1]
	s_cbranch_execz .LBB173_10
; %bb.9:
	v_ashrrev_i32_e32 v1, 31, v0
	v_lshlrev_b64 v[0:1], 3, v[0:1]
	v_add_co_u32_e64 v0, s[0:1], v4, v0
	v_addc_co_u32_e64 v1, s[0:1], v5, v1, s[0:1]
	global_store_dwordx2 v[0:1], v[12:13], off
.LBB173_10:
	s_or_b64 exec, exec, s[2:3]
	v_cmp_le_i32_e64 s[0:1], v2, v3
	s_and_b64 s[0:1], vcc, s[0:1]
	s_and_saveexec_b64 s[2:3], s[0:1]
	s_cbranch_execz .LBB173_12
; %bb.11:
	v_ashrrev_i32_e32 v3, 31, v2
	v_lshlrev_b64 v[0:1], 3, v[2:3]
	v_add_co_u32_e32 v0, vcc, v4, v0
	v_addc_co_u32_e32 v1, vcc, v5, v1, vcc
	global_store_dwordx2 v[0:1], v[10:11], off
.LBB173_12:
	s_endpgm
	.section	.rodata,"a",@progbits
	.p2align	6, 0x0
	.amdhsa_kernel _ZL37rocblas_syrkx_herkx_restricted_kernelIi19rocblas_complex_numIfELi16ELi32ELi8ELi1ELi0ELb0ELc78ELc85EKS1_S1_EviT_PT9_S3_lS5_S3_lPT10_S3_li
		.amdhsa_group_segment_fixed_size 4096
		.amdhsa_private_segment_fixed_size 0
		.amdhsa_kernarg_size 84
		.amdhsa_user_sgpr_count 6
		.amdhsa_user_sgpr_private_segment_buffer 1
		.amdhsa_user_sgpr_dispatch_ptr 0
		.amdhsa_user_sgpr_queue_ptr 0
		.amdhsa_user_sgpr_kernarg_segment_ptr 1
		.amdhsa_user_sgpr_dispatch_id 0
		.amdhsa_user_sgpr_flat_scratch_init 0
		.amdhsa_user_sgpr_private_segment_size 0
		.amdhsa_uses_dynamic_stack 0
		.amdhsa_system_sgpr_private_segment_wavefront_offset 0
		.amdhsa_system_sgpr_workgroup_id_x 1
		.amdhsa_system_sgpr_workgroup_id_y 1
		.amdhsa_system_sgpr_workgroup_id_z 1
		.amdhsa_system_sgpr_workgroup_info 0
		.amdhsa_system_vgpr_workitem_id 1
		.amdhsa_next_free_vgpr 43
		.amdhsa_next_free_sgpr 25
		.amdhsa_reserve_vcc 1
		.amdhsa_reserve_flat_scratch 0
		.amdhsa_float_round_mode_32 0
		.amdhsa_float_round_mode_16_64 0
		.amdhsa_float_denorm_mode_32 3
		.amdhsa_float_denorm_mode_16_64 3
		.amdhsa_dx10_clamp 1
		.amdhsa_ieee_mode 1
		.amdhsa_fp16_overflow 0
		.amdhsa_exception_fp_ieee_invalid_op 0
		.amdhsa_exception_fp_denorm_src 0
		.amdhsa_exception_fp_ieee_div_zero 0
		.amdhsa_exception_fp_ieee_overflow 0
		.amdhsa_exception_fp_ieee_underflow 0
		.amdhsa_exception_fp_ieee_inexact 0
		.amdhsa_exception_int_div_zero 0
	.end_amdhsa_kernel
	.section	.text._ZL37rocblas_syrkx_herkx_restricted_kernelIi19rocblas_complex_numIfELi16ELi32ELi8ELi1ELi0ELb0ELc78ELc85EKS1_S1_EviT_PT9_S3_lS5_S3_lPT10_S3_li,"axG",@progbits,_ZL37rocblas_syrkx_herkx_restricted_kernelIi19rocblas_complex_numIfELi16ELi32ELi8ELi1ELi0ELb0ELc78ELc85EKS1_S1_EviT_PT9_S3_lS5_S3_lPT10_S3_li,comdat
.Lfunc_end173:
	.size	_ZL37rocblas_syrkx_herkx_restricted_kernelIi19rocblas_complex_numIfELi16ELi32ELi8ELi1ELi0ELb0ELc78ELc85EKS1_S1_EviT_PT9_S3_lS5_S3_lPT10_S3_li, .Lfunc_end173-_ZL37rocblas_syrkx_herkx_restricted_kernelIi19rocblas_complex_numIfELi16ELi32ELi8ELi1ELi0ELb0ELc78ELc85EKS1_S1_EviT_PT9_S3_lS5_S3_lPT10_S3_li
                                        ; -- End function
	.set _ZL37rocblas_syrkx_herkx_restricted_kernelIi19rocblas_complex_numIfELi16ELi32ELi8ELi1ELi0ELb0ELc78ELc85EKS1_S1_EviT_PT9_S3_lS5_S3_lPT10_S3_li.num_vgpr, 43
	.set _ZL37rocblas_syrkx_herkx_restricted_kernelIi19rocblas_complex_numIfELi16ELi32ELi8ELi1ELi0ELb0ELc78ELc85EKS1_S1_EviT_PT9_S3_lS5_S3_lPT10_S3_li.num_agpr, 0
	.set _ZL37rocblas_syrkx_herkx_restricted_kernelIi19rocblas_complex_numIfELi16ELi32ELi8ELi1ELi0ELb0ELc78ELc85EKS1_S1_EviT_PT9_S3_lS5_S3_lPT10_S3_li.numbered_sgpr, 25
	.set _ZL37rocblas_syrkx_herkx_restricted_kernelIi19rocblas_complex_numIfELi16ELi32ELi8ELi1ELi0ELb0ELc78ELc85EKS1_S1_EviT_PT9_S3_lS5_S3_lPT10_S3_li.num_named_barrier, 0
	.set _ZL37rocblas_syrkx_herkx_restricted_kernelIi19rocblas_complex_numIfELi16ELi32ELi8ELi1ELi0ELb0ELc78ELc85EKS1_S1_EviT_PT9_S3_lS5_S3_lPT10_S3_li.private_seg_size, 0
	.set _ZL37rocblas_syrkx_herkx_restricted_kernelIi19rocblas_complex_numIfELi16ELi32ELi8ELi1ELi0ELb0ELc78ELc85EKS1_S1_EviT_PT9_S3_lS5_S3_lPT10_S3_li.uses_vcc, 1
	.set _ZL37rocblas_syrkx_herkx_restricted_kernelIi19rocblas_complex_numIfELi16ELi32ELi8ELi1ELi0ELb0ELc78ELc85EKS1_S1_EviT_PT9_S3_lS5_S3_lPT10_S3_li.uses_flat_scratch, 0
	.set _ZL37rocblas_syrkx_herkx_restricted_kernelIi19rocblas_complex_numIfELi16ELi32ELi8ELi1ELi0ELb0ELc78ELc85EKS1_S1_EviT_PT9_S3_lS5_S3_lPT10_S3_li.has_dyn_sized_stack, 0
	.set _ZL37rocblas_syrkx_herkx_restricted_kernelIi19rocblas_complex_numIfELi16ELi32ELi8ELi1ELi0ELb0ELc78ELc85EKS1_S1_EviT_PT9_S3_lS5_S3_lPT10_S3_li.has_recursion, 0
	.set _ZL37rocblas_syrkx_herkx_restricted_kernelIi19rocblas_complex_numIfELi16ELi32ELi8ELi1ELi0ELb0ELc78ELc85EKS1_S1_EviT_PT9_S3_lS5_S3_lPT10_S3_li.has_indirect_call, 0
	.section	.AMDGPU.csdata,"",@progbits
; Kernel info:
; codeLenInByte = 1908
; TotalNumSgprs: 29
; NumVgprs: 43
; ScratchSize: 0
; MemoryBound: 0
; FloatMode: 240
; IeeeMode: 1
; LDSByteSize: 4096 bytes/workgroup (compile time only)
; SGPRBlocks: 3
; VGPRBlocks: 10
; NumSGPRsForWavesPerEU: 29
; NumVGPRsForWavesPerEU: 43
; Occupancy: 5
; WaveLimiterHint : 0
; COMPUTE_PGM_RSRC2:SCRATCH_EN: 0
; COMPUTE_PGM_RSRC2:USER_SGPR: 6
; COMPUTE_PGM_RSRC2:TRAP_HANDLER: 0
; COMPUTE_PGM_RSRC2:TGID_X_EN: 1
; COMPUTE_PGM_RSRC2:TGID_Y_EN: 1
; COMPUTE_PGM_RSRC2:TGID_Z_EN: 1
; COMPUTE_PGM_RSRC2:TIDIG_COMP_CNT: 1
	.section	.text._ZL37rocblas_syrkx_herkx_restricted_kernelIi19rocblas_complex_numIfELi16ELi32ELi8ELin1ELi0ELb0ELc84ELc76EKS1_S1_EviT_PT9_S3_lS5_S3_lPT10_S3_li,"axG",@progbits,_ZL37rocblas_syrkx_herkx_restricted_kernelIi19rocblas_complex_numIfELi16ELi32ELi8ELin1ELi0ELb0ELc84ELc76EKS1_S1_EviT_PT9_S3_lS5_S3_lPT10_S3_li,comdat
	.globl	_ZL37rocblas_syrkx_herkx_restricted_kernelIi19rocblas_complex_numIfELi16ELi32ELi8ELin1ELi0ELb0ELc84ELc76EKS1_S1_EviT_PT9_S3_lS5_S3_lPT10_S3_li ; -- Begin function _ZL37rocblas_syrkx_herkx_restricted_kernelIi19rocblas_complex_numIfELi16ELi32ELi8ELin1ELi0ELb0ELc84ELc76EKS1_S1_EviT_PT9_S3_lS5_S3_lPT10_S3_li
	.p2align	8
	.type	_ZL37rocblas_syrkx_herkx_restricted_kernelIi19rocblas_complex_numIfELi16ELi32ELi8ELin1ELi0ELb0ELc84ELc76EKS1_S1_EviT_PT9_S3_lS5_S3_lPT10_S3_li,@function
_ZL37rocblas_syrkx_herkx_restricted_kernelIi19rocblas_complex_numIfELi16ELi32ELi8ELin1ELi0ELb0ELc84ELc76EKS1_S1_EviT_PT9_S3_lS5_S3_lPT10_S3_li: ; @_ZL37rocblas_syrkx_herkx_restricted_kernelIi19rocblas_complex_numIfELi16ELi32ELi8ELin1ELi0ELb0ELc84ELc76EKS1_S1_EviT_PT9_S3_lS5_S3_lPT10_S3_li
; %bb.0:
	s_load_dwordx2 s[10:11], s[4:5], 0x0
	s_load_dwordx4 s[0:3], s[4:5], 0x30
	s_lshl_b32 s6, s6, 5
	s_lshl_b32 s7, s7, 5
	s_mov_b32 s9, 0
	s_waitcnt lgkmcnt(0)
	s_cmp_lt_i32 s11, 1
	s_cbranch_scc1 .LBB174_3
; %bb.1:
	v_lshl_add_u32 v4, v1, 4, v0
	v_and_b32_e32 v7, 31, v4
	s_load_dwordx2 s[16:17], s[4:5], 0x8
	s_load_dword s20, s[4:5], 0x10
	s_load_dwordx4 s[12:15], s[4:5], 0x18
	s_load_dword s18, s[4:5], 0x28
	v_lshrrev_b32_e32 v6, 3, v4
	v_and_b32_e32 v9, 7, v0
	v_lshrrev_b32_e32 v4, 5, v4
	v_lshlrev_b32_e32 v8, 3, v7
	v_lshl_or_b32 v11, v4, 8, v8
	v_lshlrev_b32_e32 v8, 3, v9
	v_add_u32_e32 v2, s7, v6
	v_lshl_or_b32 v6, v6, 6, v8
	v_mov_b32_e32 v10, 0
	v_add_u32_e32 v12, 0x800, v6
	v_mov_b32_e32 v6, 0x800
	v_mov_b32_e32 v5, v10
	v_lshl_add_u32 v14, v1, 6, v6
	v_add_u32_e32 v6, s6, v7
	s_waitcnt lgkmcnt(0)
	v_mad_i64_i32 v[2:3], s[18:19], s18, v2, v[9:10]
	v_mad_i64_i32 v[4:5], s[18:19], s20, v6, v[4:5]
	s_mul_i32 s13, s13, s8
	s_mul_hi_u32 s21, s12, s8
	s_add_i32 s13, s21, s13
	s_mul_i32 s12, s12, s8
	s_lshl_b64 s[12:13], s[12:13], 3
	v_lshlrev_b64 v[4:5], 3, v[4:5]
	s_add_u32 s12, s16, s12
	s_addc_u32 s13, s17, s13
	v_add_co_u32_e32 v4, vcc, s12, v4
	s_mul_i32 s1, s1, s8
	s_mul_hi_u32 s12, s0, s8
	v_mov_b32_e32 v6, s13
	s_add_i32 s1, s12, s1
	s_mul_i32 s0, s0, s8
	v_addc_co_u32_e32 v5, vcc, v6, v5, vcc
	s_lshl_b64 s[0:1], s[0:1], 3
	v_add_co_u32_e32 v6, vcc, 4, v4
	v_lshlrev_b64 v[2:3], 3, v[2:3]
	s_add_u32 s0, s14, s0
	v_addc_co_u32_e32 v7, vcc, 0, v5, vcc
	s_addc_u32 s1, s15, s1
	v_mov_b32_e32 v4, s1
	v_add_co_u32_e32 v2, vcc, s0, v2
	v_addc_co_u32_e32 v3, vcc, v4, v3, vcc
	v_add_co_u32_e32 v8, vcc, 4, v2
	v_lshlrev_b32_e32 v13, 3, v0
	v_addc_co_u32_e32 v9, vcc, 0, v3, vcc
	v_mov_b32_e32 v15, v10
	v_mov_b32_e32 v16, v10
	;; [unrolled: 1-line block ×7, first 2 shown]
.LBB174_2:                              ; =>This Inner Loop Header: Depth=1
	global_load_dwordx2 v[2:3], v[6:7], off offset:-4
	v_add_co_u32_e32 v6, vcc, 64, v6
	v_addc_co_u32_e32 v7, vcc, 0, v7, vcc
	s_add_i32 s9, s9, 8
	s_cmp_ge_i32 s9, s11
	s_waitcnt vmcnt(0)
	ds_write_b64 v11, v[2:3]
	global_load_dwordx2 v[2:3], v[8:9], off offset:-4
	v_add_co_u32_e32 v8, vcc, 64, v8
	v_addc_co_u32_e32 v9, vcc, 0, v9, vcc
	s_waitcnt vmcnt(0)
	ds_write_b64 v12, v[2:3]
	s_waitcnt lgkmcnt(0)
	s_barrier
	ds_read_b128 v[22:25], v14
	ds_read_b128 v[26:29], v14 offset:16
	ds_read_b128 v[30:33], v14 offset:32
	;; [unrolled: 1-line block ×3, first 2 shown]
	ds_read2_b64 v[34:37], v13 offset1:16
	s_waitcnt lgkmcnt(0)
	v_mul_f32_e32 v38, v23, v35
	v_mul_f32_e32 v39, v22, v35
	v_fma_f32 v38, v22, v34, -v38
	v_fmac_f32_e32 v39, v23, v34
	v_add_f32_e32 v38, v20, v38
	v_add_f32_e32 v39, v21, v39
	v_mul_f32_e32 v20, v23, v37
	v_mul_f32_e32 v21, v22, v37
	v_fma_f32 v20, v22, v36, -v20
	v_fmac_f32_e32 v21, v23, v36
	v_add_f32_e32 v22, v19, v20
	v_add_f32_e32 v23, v18, v21
	ds_read_b128 v[18:21], v14 offset:1024
	s_waitcnt lgkmcnt(0)
	v_mul_f32_e32 v40, v19, v35
	v_mul_f32_e32 v35, v18, v35
	v_fma_f32 v40, v18, v34, -v40
	v_fmac_f32_e32 v35, v19, v34
	v_add_f32_e32 v34, v17, v40
	v_add_f32_e32 v35, v16, v35
	v_mul_f32_e32 v16, v19, v37
	v_mul_f32_e32 v17, v18, v37
	v_fma_f32 v16, v18, v36, -v16
	v_fmac_f32_e32 v17, v19, v36
	v_add_f32_e32 v19, v15, v16
	v_add_f32_e32 v10, v10, v17
	ds_read2_b64 v[15:18], v13 offset0:32 offset1:48
	s_waitcnt lgkmcnt(0)
	v_mul_f32_e32 v36, v25, v16
	v_fma_f32 v36, v24, v15, -v36
	v_add_f32_e32 v36, v38, v36
	v_mul_f32_e32 v38, v25, v18
	v_mul_f32_e32 v37, v24, v16
	v_fma_f32 v38, v24, v17, -v38
	v_mul_f32_e32 v24, v24, v18
	v_fmac_f32_e32 v24, v25, v17
	v_add_f32_e32 v23, v23, v24
	v_mul_f32_e32 v24, v21, v16
	v_mul_f32_e32 v16, v20, v16
	v_fmac_f32_e32 v16, v21, v15
	v_fmac_f32_e32 v37, v25, v15
	v_fma_f32 v24, v20, v15, -v24
	v_add_f32_e32 v25, v35, v16
	v_mul_f32_e32 v15, v21, v18
	v_mul_f32_e32 v16, v20, v18
	v_fma_f32 v15, v20, v17, -v15
	v_fmac_f32_e32 v16, v21, v17
	v_add_f32_e32 v24, v34, v24
	v_add_f32_e32 v34, v19, v15
	;; [unrolled: 1-line block ×3, first 2 shown]
	ds_read2_b64 v[15:18], v13 offset0:64 offset1:80
	v_add_f32_e32 v37, v39, v37
	v_add_f32_e32 v22, v22, v38
	s_waitcnt lgkmcnt(0)
	v_mul_f32_e32 v19, v27, v16
	v_mul_f32_e32 v20, v26, v16
	v_fma_f32 v19, v26, v15, -v19
	v_fmac_f32_e32 v20, v27, v15
	v_add_f32_e32 v35, v36, v19
	v_add_f32_e32 v36, v37, v20
	v_mul_f32_e32 v19, v27, v18
	v_mul_f32_e32 v20, v26, v18
	v_fma_f32 v19, v26, v17, -v19
	v_fmac_f32_e32 v20, v27, v17
	v_add_f32_e32 v26, v22, v19
	v_add_f32_e32 v23, v23, v20
	ds_read_b128 v[19:22], v14 offset:1040
	s_waitcnt lgkmcnt(0)
	v_mul_f32_e32 v27, v20, v16
	v_mul_f32_e32 v16, v19, v16
	v_fmac_f32_e32 v16, v20, v15
	v_fma_f32 v27, v19, v15, -v27
	v_add_f32_e32 v25, v25, v16
	v_mul_f32_e32 v15, v20, v18
	v_mul_f32_e32 v16, v19, v18
	v_fma_f32 v15, v19, v17, -v15
	v_fmac_f32_e32 v16, v20, v17
	v_add_f32_e32 v19, v34, v15
	v_add_f32_e32 v10, v10, v16
	ds_read2_b64 v[15:18], v13 offset0:96 offset1:112
	v_add_f32_e32 v24, v24, v27
	s_waitcnt lgkmcnt(0)
	v_mul_f32_e32 v20, v29, v16
	v_mul_f32_e32 v34, v29, v18
	v_fma_f32 v20, v28, v15, -v20
	v_mul_f32_e32 v27, v28, v16
	v_fma_f32 v34, v28, v17, -v34
	v_mul_f32_e32 v28, v28, v18
	v_fmac_f32_e32 v28, v29, v17
	v_add_f32_e32 v23, v23, v28
	v_mul_f32_e32 v28, v22, v16
	v_mul_f32_e32 v16, v21, v16
	v_fmac_f32_e32 v16, v22, v15
	v_fmac_f32_e32 v27, v29, v15
	v_fma_f32 v28, v21, v15, -v28
	v_add_f32_e32 v25, v25, v16
	v_mul_f32_e32 v15, v22, v18
	v_mul_f32_e32 v16, v21, v18
	v_fma_f32 v15, v21, v17, -v15
	v_fmac_f32_e32 v16, v22, v17
	v_add_f32_e32 v24, v24, v28
	v_add_f32_e32 v28, v19, v15
	;; [unrolled: 1-line block ×3, first 2 shown]
	ds_read2_b64 v[15:18], v13 offset0:128 offset1:144
	v_add_f32_e32 v20, v35, v20
	v_add_f32_e32 v27, v36, v27
	;; [unrolled: 1-line block ×3, first 2 shown]
	s_waitcnt lgkmcnt(0)
	v_mul_f32_e32 v19, v31, v16
	v_fma_f32 v19, v30, v15, -v19
	v_mul_f32_e32 v21, v30, v16
	v_add_f32_e32 v29, v20, v19
	v_mul_f32_e32 v19, v31, v18
	v_mul_f32_e32 v20, v30, v18
	v_fmac_f32_e32 v21, v31, v15
	v_fma_f32 v19, v30, v17, -v19
	v_fmac_f32_e32 v20, v31, v17
	v_add_f32_e32 v27, v27, v21
	v_add_f32_e32 v26, v26, v19
	;; [unrolled: 1-line block ×3, first 2 shown]
	ds_read_b128 v[19:22], v14 offset:1056
	s_waitcnt lgkmcnt(0)
	v_mul_f32_e32 v30, v20, v16
	v_mul_f32_e32 v16, v19, v16
	v_fmac_f32_e32 v16, v20, v15
	v_fma_f32 v30, v19, v15, -v30
	v_add_f32_e32 v25, v25, v16
	v_mul_f32_e32 v15, v20, v18
	v_mul_f32_e32 v16, v19, v18
	v_fma_f32 v15, v19, v17, -v15
	v_fmac_f32_e32 v16, v20, v17
	v_add_f32_e32 v19, v28, v15
	v_add_f32_e32 v10, v10, v16
	ds_read2_b64 v[15:18], v13 offset0:160 offset1:176
	v_add_f32_e32 v24, v24, v30
	s_waitcnt lgkmcnt(0)
	v_mul_f32_e32 v28, v32, v16
	v_fmac_f32_e32 v28, v33, v15
	v_add_f32_e32 v27, v27, v28
	v_mul_f32_e32 v28, v33, v18
	v_fma_f32 v28, v32, v17, -v28
	v_mul_f32_e32 v20, v33, v16
	v_add_f32_e32 v26, v26, v28
	v_mul_f32_e32 v28, v22, v16
	v_mul_f32_e32 v16, v21, v16
	v_fmac_f32_e32 v16, v22, v15
	v_fma_f32 v20, v32, v15, -v20
	v_fma_f32 v28, v21, v15, -v28
	v_add_f32_e32 v25, v25, v16
	v_mul_f32_e32 v15, v22, v18
	v_mul_f32_e32 v16, v21, v18
	v_add_f32_e32 v20, v29, v20
	v_mul_f32_e32 v29, v32, v18
	v_fma_f32 v15, v21, v17, -v15
	v_fmac_f32_e32 v16, v22, v17
	v_fmac_f32_e32 v29, v33, v17
	v_add_f32_e32 v19, v19, v15
	v_add_f32_e32 v10, v10, v16
	ds_read2_b64 v[15:18], v13 offset0:192 offset1:208
	v_add_f32_e32 v24, v24, v28
	v_add_f32_e32 v23, v23, v29
	s_waitcnt lgkmcnt(0)
	v_mul_f32_e32 v21, v3, v16
	v_fma_f32 v21, v2, v15, -v21
	v_add_f32_e32 v28, v20, v21
	v_mul_f32_e32 v20, v3, v18
	v_mul_f32_e32 v22, v2, v16
	v_fma_f32 v20, v2, v17, -v20
	v_mul_f32_e32 v2, v2, v18
	v_fmac_f32_e32 v22, v3, v15
	v_fmac_f32_e32 v2, v3, v17
	v_add_f32_e32 v29, v27, v22
	v_add_f32_e32 v3, v26, v20
	;; [unrolled: 1-line block ×3, first 2 shown]
	ds_read_b128 v[20:23], v14 offset:1072
	s_waitcnt lgkmcnt(0)
	v_mul_f32_e32 v26, v21, v16
	v_fma_f32 v26, v20, v15, -v26
	v_mul_f32_e32 v16, v20, v16
	v_fmac_f32_e32 v16, v21, v15
	v_add_f32_e32 v15, v24, v26
	v_mul_f32_e32 v24, v21, v18
	v_fma_f32 v24, v20, v17, -v24
	v_add_f32_e32 v16, v25, v16
	v_add_f32_e32 v30, v19, v24
	ds_read2_b64 v[24:27], v13 offset0:224 offset1:240
	v_mul_f32_e32 v18, v20, v18
	v_fmac_f32_e32 v18, v21, v17
	v_add_f32_e32 v10, v10, v18
	s_waitcnt lgkmcnt(0)
	v_mul_f32_e32 v17, v5, v25
	v_fma_f32 v17, v4, v24, -v17
	v_add_f32_e32 v20, v28, v17
	v_mul_f32_e32 v17, v5, v27
	v_mul_f32_e32 v18, v4, v25
	v_fma_f32 v17, v4, v26, -v17
	v_mul_f32_e32 v4, v4, v27
	v_fmac_f32_e32 v18, v5, v24
	v_fmac_f32_e32 v4, v5, v26
	v_add_f32_e32 v21, v29, v18
	v_add_f32_e32 v19, v3, v17
	v_add_f32_e32 v18, v2, v4
	v_mul_f32_e32 v2, v23, v25
	v_mul_f32_e32 v3, v22, v25
	v_fma_f32 v2, v22, v24, -v2
	v_fmac_f32_e32 v3, v23, v24
	v_add_f32_e32 v17, v15, v2
	v_add_f32_e32 v16, v16, v3
	v_mul_f32_e32 v2, v23, v27
	v_mul_f32_e32 v3, v22, v27
	v_fma_f32 v2, v22, v26, -v2
	v_fmac_f32_e32 v3, v23, v26
	v_add_f32_e32 v15, v30, v2
	v_add_f32_e32 v10, v10, v3
	s_barrier
	s_cbranch_scc0 .LBB174_2
	s_branch .LBB174_4
.LBB174_3:
	v_mov_b32_e32 v20, 0
	v_mov_b32_e32 v21, 0
	;; [unrolled: 1-line block ×8, first 2 shown]
.LBB174_4:
	s_load_dwordx2 s[0:1], s[4:5], 0x48
	s_load_dword s9, s[4:5], 0x40
	v_add_u32_e32 v4, s7, v1
	v_add_u32_e32 v0, s6, v0
	s_waitcnt lgkmcnt(0)
	s_mul_i32 s1, s1, s8
	s_mul_hi_u32 s4, s0, s8
	s_add_i32 s1, s4, s1
	v_mad_i64_i32 v[1:2], s[4:5], v4, s9, 0
	s_mul_i32 s0, s0, s8
	s_lshl_b64 s[0:1], s[0:1], 3
	s_add_u32 s7, s2, s0
	v_lshlrev_b64 v[1:2], 3, v[1:2]
	s_addc_u32 s8, s3, s1
	v_mov_b32_e32 v3, s8
	v_add_co_u32_e32 v5, vcc, s7, v1
	v_addc_co_u32_e32 v6, vcc, v3, v2, vcc
	v_cmp_le_i32_e64 s[0:1], v4, v0
	v_cmp_gt_i32_e32 vcc, s10, v0
	s_and_b64 s[0:1], s[0:1], vcc
	s_and_saveexec_b64 s[2:3], s[0:1]
	s_cbranch_execz .LBB174_6
; %bb.5:
	v_ashrrev_i32_e32 v1, 31, v0
	v_lshlrev_b64 v[7:8], 3, v[0:1]
	v_xor_b32_e32 v2, 0x80000000, v20
	v_add_co_u32_e64 v7, s[0:1], v5, v7
	v_xor_b32_e32 v3, 0x80000000, v21
	v_addc_co_u32_e64 v8, s[0:1], v6, v8, s[0:1]
	global_store_dwordx2 v[7:8], v[2:3], off
.LBB174_6:
	s_or_b64 exec, exec, s[2:3]
	v_add_u32_e32 v2, 16, v0
	v_cmp_le_i32_e64 s[2:3], v4, v2
	v_cmp_gt_i32_e64 s[0:1], s10, v2
	s_and_b64 s[2:3], s[2:3], s[0:1]
	s_and_saveexec_b64 s[4:5], s[2:3]
	s_cbranch_execz .LBB174_8
; %bb.7:
	v_ashrrev_i32_e32 v3, 31, v2
	v_lshlrev_b64 v[11:12], 3, v[2:3]
	v_xor_b32_e32 v7, 0x80000000, v19
	v_add_co_u32_e64 v5, s[2:3], v5, v11
	v_xor_b32_e32 v8, 0x80000000, v18
	v_addc_co_u32_e64 v6, s[2:3], v6, v12, s[2:3]
	global_store_dwordx2 v[5:6], v[7:8], off
.LBB174_8:
	s_or_b64 exec, exec, s[4:5]
	v_add_u32_e32 v3, 16, v4
	v_mad_i64_i32 v[4:5], s[2:3], v3, s9, 0
	v_mov_b32_e32 v1, s8
	v_lshlrev_b64 v[4:5], 3, v[4:5]
	v_add_co_u32_e64 v4, s[2:3], s7, v4
	v_addc_co_u32_e64 v5, s[2:3], v1, v5, s[2:3]
	v_cmp_le_i32_e64 s[2:3], v3, v0
	s_and_b64 s[4:5], s[2:3], vcc
	s_and_saveexec_b64 s[2:3], s[4:5]
	s_cbranch_execz .LBB174_10
; %bb.9:
	v_ashrrev_i32_e32 v1, 31, v0
	v_lshlrev_b64 v[0:1], 3, v[0:1]
	v_xor_b32_e32 v6, 0x80000000, v17
	v_add_co_u32_e32 v0, vcc, v4, v0
	v_xor_b32_e32 v7, 0x80000000, v16
	v_addc_co_u32_e32 v1, vcc, v5, v1, vcc
	global_store_dwordx2 v[0:1], v[6:7], off
.LBB174_10:
	s_or_b64 exec, exec, s[2:3]
	v_cmp_le_i32_e32 vcc, v3, v2
	s_and_b64 s[0:1], vcc, s[0:1]
	s_and_saveexec_b64 s[2:3], s[0:1]
	s_cbranch_execz .LBB174_12
; %bb.11:
	v_ashrrev_i32_e32 v3, 31, v2
	v_lshlrev_b64 v[2:3], 3, v[2:3]
	v_xor_b32_e32 v0, 0x80000000, v15
	v_add_co_u32_e32 v2, vcc, v4, v2
	v_xor_b32_e32 v1, 0x80000000, v10
	v_addc_co_u32_e32 v3, vcc, v5, v3, vcc
	global_store_dwordx2 v[2:3], v[0:1], off
.LBB174_12:
	s_endpgm
	.section	.rodata,"a",@progbits
	.p2align	6, 0x0
	.amdhsa_kernel _ZL37rocblas_syrkx_herkx_restricted_kernelIi19rocblas_complex_numIfELi16ELi32ELi8ELin1ELi0ELb0ELc84ELc76EKS1_S1_EviT_PT9_S3_lS5_S3_lPT10_S3_li
		.amdhsa_group_segment_fixed_size 4096
		.amdhsa_private_segment_fixed_size 0
		.amdhsa_kernarg_size 84
		.amdhsa_user_sgpr_count 6
		.amdhsa_user_sgpr_private_segment_buffer 1
		.amdhsa_user_sgpr_dispatch_ptr 0
		.amdhsa_user_sgpr_queue_ptr 0
		.amdhsa_user_sgpr_kernarg_segment_ptr 1
		.amdhsa_user_sgpr_dispatch_id 0
		.amdhsa_user_sgpr_flat_scratch_init 0
		.amdhsa_user_sgpr_private_segment_size 0
		.amdhsa_uses_dynamic_stack 0
		.amdhsa_system_sgpr_private_segment_wavefront_offset 0
		.amdhsa_system_sgpr_workgroup_id_x 1
		.amdhsa_system_sgpr_workgroup_id_y 1
		.amdhsa_system_sgpr_workgroup_id_z 1
		.amdhsa_system_sgpr_workgroup_info 0
		.amdhsa_system_vgpr_workitem_id 1
		.amdhsa_next_free_vgpr 41
		.amdhsa_next_free_sgpr 22
		.amdhsa_reserve_vcc 1
		.amdhsa_reserve_flat_scratch 0
		.amdhsa_float_round_mode_32 0
		.amdhsa_float_round_mode_16_64 0
		.amdhsa_float_denorm_mode_32 3
		.amdhsa_float_denorm_mode_16_64 3
		.amdhsa_dx10_clamp 1
		.amdhsa_ieee_mode 1
		.amdhsa_fp16_overflow 0
		.amdhsa_exception_fp_ieee_invalid_op 0
		.amdhsa_exception_fp_denorm_src 0
		.amdhsa_exception_fp_ieee_div_zero 0
		.amdhsa_exception_fp_ieee_overflow 0
		.amdhsa_exception_fp_ieee_underflow 0
		.amdhsa_exception_fp_ieee_inexact 0
		.amdhsa_exception_int_div_zero 0
	.end_amdhsa_kernel
	.section	.text._ZL37rocblas_syrkx_herkx_restricted_kernelIi19rocblas_complex_numIfELi16ELi32ELi8ELin1ELi0ELb0ELc84ELc76EKS1_S1_EviT_PT9_S3_lS5_S3_lPT10_S3_li,"axG",@progbits,_ZL37rocblas_syrkx_herkx_restricted_kernelIi19rocblas_complex_numIfELi16ELi32ELi8ELin1ELi0ELb0ELc84ELc76EKS1_S1_EviT_PT9_S3_lS5_S3_lPT10_S3_li,comdat
.Lfunc_end174:
	.size	_ZL37rocblas_syrkx_herkx_restricted_kernelIi19rocblas_complex_numIfELi16ELi32ELi8ELin1ELi0ELb0ELc84ELc76EKS1_S1_EviT_PT9_S3_lS5_S3_lPT10_S3_li, .Lfunc_end174-_ZL37rocblas_syrkx_herkx_restricted_kernelIi19rocblas_complex_numIfELi16ELi32ELi8ELin1ELi0ELb0ELc84ELc76EKS1_S1_EviT_PT9_S3_lS5_S3_lPT10_S3_li
                                        ; -- End function
	.set _ZL37rocblas_syrkx_herkx_restricted_kernelIi19rocblas_complex_numIfELi16ELi32ELi8ELin1ELi0ELb0ELc84ELc76EKS1_S1_EviT_PT9_S3_lS5_S3_lPT10_S3_li.num_vgpr, 41
	.set _ZL37rocblas_syrkx_herkx_restricted_kernelIi19rocblas_complex_numIfELi16ELi32ELi8ELin1ELi0ELb0ELc84ELc76EKS1_S1_EviT_PT9_S3_lS5_S3_lPT10_S3_li.num_agpr, 0
	.set _ZL37rocblas_syrkx_herkx_restricted_kernelIi19rocblas_complex_numIfELi16ELi32ELi8ELin1ELi0ELb0ELc84ELc76EKS1_S1_EviT_PT9_S3_lS5_S3_lPT10_S3_li.numbered_sgpr, 22
	.set _ZL37rocblas_syrkx_herkx_restricted_kernelIi19rocblas_complex_numIfELi16ELi32ELi8ELin1ELi0ELb0ELc84ELc76EKS1_S1_EviT_PT9_S3_lS5_S3_lPT10_S3_li.num_named_barrier, 0
	.set _ZL37rocblas_syrkx_herkx_restricted_kernelIi19rocblas_complex_numIfELi16ELi32ELi8ELin1ELi0ELb0ELc84ELc76EKS1_S1_EviT_PT9_S3_lS5_S3_lPT10_S3_li.private_seg_size, 0
	.set _ZL37rocblas_syrkx_herkx_restricted_kernelIi19rocblas_complex_numIfELi16ELi32ELi8ELin1ELi0ELb0ELc84ELc76EKS1_S1_EviT_PT9_S3_lS5_S3_lPT10_S3_li.uses_vcc, 1
	.set _ZL37rocblas_syrkx_herkx_restricted_kernelIi19rocblas_complex_numIfELi16ELi32ELi8ELin1ELi0ELb0ELc84ELc76EKS1_S1_EviT_PT9_S3_lS5_S3_lPT10_S3_li.uses_flat_scratch, 0
	.set _ZL37rocblas_syrkx_herkx_restricted_kernelIi19rocblas_complex_numIfELi16ELi32ELi8ELin1ELi0ELb0ELc84ELc76EKS1_S1_EviT_PT9_S3_lS5_S3_lPT10_S3_li.has_dyn_sized_stack, 0
	.set _ZL37rocblas_syrkx_herkx_restricted_kernelIi19rocblas_complex_numIfELi16ELi32ELi8ELin1ELi0ELb0ELc84ELc76EKS1_S1_EviT_PT9_S3_lS5_S3_lPT10_S3_li.has_recursion, 0
	.set _ZL37rocblas_syrkx_herkx_restricted_kernelIi19rocblas_complex_numIfELi16ELi32ELi8ELin1ELi0ELb0ELc84ELc76EKS1_S1_EviT_PT9_S3_lS5_S3_lPT10_S3_li.has_indirect_call, 0
	.section	.AMDGPU.csdata,"",@progbits
; Kernel info:
; codeLenInByte = 1936
; TotalNumSgprs: 26
; NumVgprs: 41
; ScratchSize: 0
; MemoryBound: 0
; FloatMode: 240
; IeeeMode: 1
; LDSByteSize: 4096 bytes/workgroup (compile time only)
; SGPRBlocks: 3
; VGPRBlocks: 10
; NumSGPRsForWavesPerEU: 26
; NumVGPRsForWavesPerEU: 41
; Occupancy: 5
; WaveLimiterHint : 0
; COMPUTE_PGM_RSRC2:SCRATCH_EN: 0
; COMPUTE_PGM_RSRC2:USER_SGPR: 6
; COMPUTE_PGM_RSRC2:TRAP_HANDLER: 0
; COMPUTE_PGM_RSRC2:TGID_X_EN: 1
; COMPUTE_PGM_RSRC2:TGID_Y_EN: 1
; COMPUTE_PGM_RSRC2:TGID_Z_EN: 1
; COMPUTE_PGM_RSRC2:TIDIG_COMP_CNT: 1
	.section	.text._ZL37rocblas_syrkx_herkx_restricted_kernelIi19rocblas_complex_numIfELi16ELi32ELi8ELin1ELi0ELb0ELc67ELc76EKS1_S1_EviT_PT9_S3_lS5_S3_lPT10_S3_li,"axG",@progbits,_ZL37rocblas_syrkx_herkx_restricted_kernelIi19rocblas_complex_numIfELi16ELi32ELi8ELin1ELi0ELb0ELc67ELc76EKS1_S1_EviT_PT9_S3_lS5_S3_lPT10_S3_li,comdat
	.globl	_ZL37rocblas_syrkx_herkx_restricted_kernelIi19rocblas_complex_numIfELi16ELi32ELi8ELin1ELi0ELb0ELc67ELc76EKS1_S1_EviT_PT9_S3_lS5_S3_lPT10_S3_li ; -- Begin function _ZL37rocblas_syrkx_herkx_restricted_kernelIi19rocblas_complex_numIfELi16ELi32ELi8ELin1ELi0ELb0ELc67ELc76EKS1_S1_EviT_PT9_S3_lS5_S3_lPT10_S3_li
	.p2align	8
	.type	_ZL37rocblas_syrkx_herkx_restricted_kernelIi19rocblas_complex_numIfELi16ELi32ELi8ELin1ELi0ELb0ELc67ELc76EKS1_S1_EviT_PT9_S3_lS5_S3_lPT10_S3_li,@function
_ZL37rocblas_syrkx_herkx_restricted_kernelIi19rocblas_complex_numIfELi16ELi32ELi8ELin1ELi0ELb0ELc67ELc76EKS1_S1_EviT_PT9_S3_lS5_S3_lPT10_S3_li: ; @_ZL37rocblas_syrkx_herkx_restricted_kernelIi19rocblas_complex_numIfELi16ELi32ELi8ELin1ELi0ELb0ELc67ELc76EKS1_S1_EviT_PT9_S3_lS5_S3_lPT10_S3_li
; %bb.0:
	s_load_dwordx2 s[10:11], s[4:5], 0x0
	s_load_dwordx4 s[0:3], s[4:5], 0x30
	s_lshl_b32 s6, s6, 5
	s_lshl_b32 s7, s7, 5
	s_mov_b32 s9, 0
	s_waitcnt lgkmcnt(0)
	s_cmp_lt_i32 s11, 1
	s_cbranch_scc1 .LBB175_3
; %bb.1:
	v_lshl_add_u32 v4, v1, 4, v0
	v_and_b32_e32 v7, 31, v4
	s_load_dwordx2 s[16:17], s[4:5], 0x8
	s_load_dword s20, s[4:5], 0x10
	s_load_dwordx4 s[12:15], s[4:5], 0x18
	s_load_dword s18, s[4:5], 0x28
	v_lshrrev_b32_e32 v6, 3, v4
	v_and_b32_e32 v9, 7, v0
	v_lshrrev_b32_e32 v4, 5, v4
	v_lshlrev_b32_e32 v8, 3, v7
	v_lshl_or_b32 v11, v4, 8, v8
	v_lshlrev_b32_e32 v8, 3, v9
	v_add_u32_e32 v2, s7, v6
	v_lshl_or_b32 v6, v6, 6, v8
	v_mov_b32_e32 v10, 0
	v_add_u32_e32 v12, 0x800, v6
	v_mov_b32_e32 v6, 0x800
	v_mov_b32_e32 v5, v10
	v_lshl_add_u32 v14, v1, 6, v6
	v_add_u32_e32 v6, s6, v7
	s_waitcnt lgkmcnt(0)
	v_mad_i64_i32 v[2:3], s[18:19], s18, v2, v[9:10]
	v_mad_i64_i32 v[4:5], s[18:19], s20, v6, v[4:5]
	s_mul_i32 s13, s13, s8
	s_mul_hi_u32 s21, s12, s8
	s_add_i32 s13, s21, s13
	s_mul_i32 s12, s12, s8
	s_lshl_b64 s[12:13], s[12:13], 3
	v_lshlrev_b64 v[4:5], 3, v[4:5]
	s_add_u32 s12, s16, s12
	s_addc_u32 s13, s17, s13
	v_add_co_u32_e32 v4, vcc, s12, v4
	s_mul_i32 s1, s1, s8
	s_mul_hi_u32 s12, s0, s8
	v_mov_b32_e32 v6, s13
	s_add_i32 s1, s12, s1
	s_mul_i32 s0, s0, s8
	v_addc_co_u32_e32 v5, vcc, v6, v5, vcc
	s_lshl_b64 s[0:1], s[0:1], 3
	v_add_co_u32_e32 v6, vcc, 4, v4
	v_lshlrev_b64 v[2:3], 3, v[2:3]
	s_add_u32 s0, s14, s0
	v_addc_co_u32_e32 v7, vcc, 0, v5, vcc
	s_addc_u32 s1, s15, s1
	v_mov_b32_e32 v4, s1
	v_add_co_u32_e32 v2, vcc, s0, v2
	v_addc_co_u32_e32 v3, vcc, v4, v3, vcc
	v_add_co_u32_e32 v8, vcc, 4, v2
	v_lshlrev_b32_e32 v13, 3, v0
	v_addc_co_u32_e32 v9, vcc, 0, v3, vcc
	v_mov_b32_e32 v15, v10
	v_mov_b32_e32 v16, v10
	;; [unrolled: 1-line block ×7, first 2 shown]
.LBB175_2:                              ; =>This Inner Loop Header: Depth=1
	global_load_dwordx2 v[2:3], v[6:7], off offset:-4
	v_add_co_u32_e32 v6, vcc, 64, v6
	v_addc_co_u32_e32 v7, vcc, 0, v7, vcc
	s_add_i32 s9, s9, 8
	s_cmp_ge_i32 s9, s11
	s_waitcnt vmcnt(0)
	ds_write_b64 v11, v[2:3]
	global_load_dwordx2 v[2:3], v[8:9], off offset:-4
	v_add_co_u32_e32 v8, vcc, 64, v8
	v_addc_co_u32_e32 v9, vcc, 0, v9, vcc
	s_waitcnt vmcnt(0)
	ds_write_b64 v12, v[2:3]
	s_waitcnt lgkmcnt(0)
	s_barrier
	ds_read_b128 v[22:25], v14
	ds_read_b128 v[26:29], v14 offset:16
	ds_read_b128 v[30:33], v14 offset:32
	;; [unrolled: 1-line block ×3, first 2 shown]
	ds_read2_b64 v[34:37], v13 offset1:16
	s_waitcnt lgkmcnt(0)
	v_mul_f32_e32 v38, v23, v35
	v_mul_f32_e32 v39, v22, v35
	v_fma_f32 v38, v22, v34, -v38
	v_fmac_f32_e32 v39, v23, v34
	v_add_f32_e32 v38, v20, v38
	v_add_f32_e32 v39, v21, v39
	v_mul_f32_e32 v20, v23, v37
	v_mul_f32_e32 v21, v22, v37
	v_fma_f32 v20, v22, v36, -v20
	v_fmac_f32_e32 v21, v23, v36
	v_add_f32_e32 v22, v19, v20
	v_add_f32_e32 v23, v18, v21
	ds_read_b128 v[18:21], v14 offset:1024
	s_waitcnt lgkmcnt(0)
	v_mul_f32_e32 v40, v19, v35
	v_mul_f32_e32 v35, v18, v35
	v_fma_f32 v40, v18, v34, -v40
	v_fmac_f32_e32 v35, v19, v34
	v_add_f32_e32 v34, v17, v40
	v_add_f32_e32 v35, v16, v35
	v_mul_f32_e32 v16, v19, v37
	v_mul_f32_e32 v17, v18, v37
	v_fma_f32 v16, v18, v36, -v16
	v_fmac_f32_e32 v17, v19, v36
	v_add_f32_e32 v19, v15, v16
	v_add_f32_e32 v10, v10, v17
	ds_read2_b64 v[15:18], v13 offset0:32 offset1:48
	s_waitcnt lgkmcnt(0)
	v_mul_f32_e32 v36, v25, v16
	v_fma_f32 v36, v24, v15, -v36
	v_add_f32_e32 v36, v38, v36
	v_mul_f32_e32 v38, v25, v18
	v_mul_f32_e32 v37, v24, v16
	v_fma_f32 v38, v24, v17, -v38
	v_mul_f32_e32 v24, v24, v18
	v_fmac_f32_e32 v24, v25, v17
	v_add_f32_e32 v23, v23, v24
	v_mul_f32_e32 v24, v21, v16
	v_mul_f32_e32 v16, v20, v16
	v_fmac_f32_e32 v16, v21, v15
	v_fmac_f32_e32 v37, v25, v15
	v_fma_f32 v24, v20, v15, -v24
	v_add_f32_e32 v25, v35, v16
	v_mul_f32_e32 v15, v21, v18
	v_mul_f32_e32 v16, v20, v18
	v_fma_f32 v15, v20, v17, -v15
	v_fmac_f32_e32 v16, v21, v17
	v_add_f32_e32 v24, v34, v24
	v_add_f32_e32 v34, v19, v15
	;; [unrolled: 1-line block ×3, first 2 shown]
	ds_read2_b64 v[15:18], v13 offset0:64 offset1:80
	v_add_f32_e32 v37, v39, v37
	v_add_f32_e32 v22, v22, v38
	s_waitcnt lgkmcnt(0)
	v_mul_f32_e32 v19, v27, v16
	v_mul_f32_e32 v20, v26, v16
	v_fma_f32 v19, v26, v15, -v19
	v_fmac_f32_e32 v20, v27, v15
	v_add_f32_e32 v35, v36, v19
	v_add_f32_e32 v36, v37, v20
	v_mul_f32_e32 v19, v27, v18
	v_mul_f32_e32 v20, v26, v18
	v_fma_f32 v19, v26, v17, -v19
	v_fmac_f32_e32 v20, v27, v17
	v_add_f32_e32 v26, v22, v19
	v_add_f32_e32 v23, v23, v20
	ds_read_b128 v[19:22], v14 offset:1040
	s_waitcnt lgkmcnt(0)
	v_mul_f32_e32 v27, v20, v16
	v_mul_f32_e32 v16, v19, v16
	v_fmac_f32_e32 v16, v20, v15
	v_fma_f32 v27, v19, v15, -v27
	v_add_f32_e32 v25, v25, v16
	v_mul_f32_e32 v15, v20, v18
	v_mul_f32_e32 v16, v19, v18
	v_fma_f32 v15, v19, v17, -v15
	v_fmac_f32_e32 v16, v20, v17
	v_add_f32_e32 v19, v34, v15
	v_add_f32_e32 v10, v10, v16
	ds_read2_b64 v[15:18], v13 offset0:96 offset1:112
	v_add_f32_e32 v24, v24, v27
	s_waitcnt lgkmcnt(0)
	v_mul_f32_e32 v20, v29, v16
	v_mul_f32_e32 v34, v29, v18
	v_fma_f32 v20, v28, v15, -v20
	v_mul_f32_e32 v27, v28, v16
	v_fma_f32 v34, v28, v17, -v34
	v_mul_f32_e32 v28, v28, v18
	v_fmac_f32_e32 v28, v29, v17
	v_add_f32_e32 v23, v23, v28
	v_mul_f32_e32 v28, v22, v16
	v_mul_f32_e32 v16, v21, v16
	v_fmac_f32_e32 v16, v22, v15
	v_fmac_f32_e32 v27, v29, v15
	v_fma_f32 v28, v21, v15, -v28
	v_add_f32_e32 v25, v25, v16
	v_mul_f32_e32 v15, v22, v18
	v_mul_f32_e32 v16, v21, v18
	v_fma_f32 v15, v21, v17, -v15
	v_fmac_f32_e32 v16, v22, v17
	v_add_f32_e32 v24, v24, v28
	v_add_f32_e32 v28, v19, v15
	;; [unrolled: 1-line block ×3, first 2 shown]
	ds_read2_b64 v[15:18], v13 offset0:128 offset1:144
	v_add_f32_e32 v20, v35, v20
	v_add_f32_e32 v27, v36, v27
	;; [unrolled: 1-line block ×3, first 2 shown]
	s_waitcnt lgkmcnt(0)
	v_mul_f32_e32 v19, v31, v16
	v_fma_f32 v19, v30, v15, -v19
	v_mul_f32_e32 v21, v30, v16
	v_add_f32_e32 v29, v20, v19
	v_mul_f32_e32 v19, v31, v18
	v_mul_f32_e32 v20, v30, v18
	v_fmac_f32_e32 v21, v31, v15
	v_fma_f32 v19, v30, v17, -v19
	v_fmac_f32_e32 v20, v31, v17
	v_add_f32_e32 v27, v27, v21
	v_add_f32_e32 v26, v26, v19
	;; [unrolled: 1-line block ×3, first 2 shown]
	ds_read_b128 v[19:22], v14 offset:1056
	s_waitcnt lgkmcnt(0)
	v_mul_f32_e32 v30, v20, v16
	v_mul_f32_e32 v16, v19, v16
	v_fmac_f32_e32 v16, v20, v15
	v_fma_f32 v30, v19, v15, -v30
	v_add_f32_e32 v25, v25, v16
	v_mul_f32_e32 v15, v20, v18
	v_mul_f32_e32 v16, v19, v18
	v_fma_f32 v15, v19, v17, -v15
	v_fmac_f32_e32 v16, v20, v17
	v_add_f32_e32 v19, v28, v15
	v_add_f32_e32 v10, v10, v16
	ds_read2_b64 v[15:18], v13 offset0:160 offset1:176
	v_add_f32_e32 v24, v24, v30
	s_waitcnt lgkmcnt(0)
	v_mul_f32_e32 v28, v32, v16
	v_fmac_f32_e32 v28, v33, v15
	v_add_f32_e32 v27, v27, v28
	v_mul_f32_e32 v28, v33, v18
	v_fma_f32 v28, v32, v17, -v28
	v_mul_f32_e32 v20, v33, v16
	v_add_f32_e32 v26, v26, v28
	v_mul_f32_e32 v28, v22, v16
	v_mul_f32_e32 v16, v21, v16
	v_fmac_f32_e32 v16, v22, v15
	v_fma_f32 v20, v32, v15, -v20
	v_fma_f32 v28, v21, v15, -v28
	v_add_f32_e32 v25, v25, v16
	v_mul_f32_e32 v15, v22, v18
	v_mul_f32_e32 v16, v21, v18
	v_add_f32_e32 v20, v29, v20
	v_mul_f32_e32 v29, v32, v18
	v_fma_f32 v15, v21, v17, -v15
	v_fmac_f32_e32 v16, v22, v17
	v_fmac_f32_e32 v29, v33, v17
	v_add_f32_e32 v19, v19, v15
	v_add_f32_e32 v10, v10, v16
	ds_read2_b64 v[15:18], v13 offset0:192 offset1:208
	v_add_f32_e32 v24, v24, v28
	v_add_f32_e32 v23, v23, v29
	s_waitcnt lgkmcnt(0)
	v_mul_f32_e32 v21, v3, v16
	v_fma_f32 v21, v2, v15, -v21
	v_add_f32_e32 v28, v20, v21
	v_mul_f32_e32 v20, v3, v18
	v_mul_f32_e32 v22, v2, v16
	v_fma_f32 v20, v2, v17, -v20
	v_mul_f32_e32 v2, v2, v18
	v_fmac_f32_e32 v22, v3, v15
	v_fmac_f32_e32 v2, v3, v17
	v_add_f32_e32 v29, v27, v22
	v_add_f32_e32 v3, v26, v20
	;; [unrolled: 1-line block ×3, first 2 shown]
	ds_read_b128 v[20:23], v14 offset:1072
	s_waitcnt lgkmcnt(0)
	v_mul_f32_e32 v26, v21, v16
	v_fma_f32 v26, v20, v15, -v26
	v_mul_f32_e32 v16, v20, v16
	v_fmac_f32_e32 v16, v21, v15
	v_add_f32_e32 v15, v24, v26
	v_mul_f32_e32 v24, v21, v18
	v_fma_f32 v24, v20, v17, -v24
	v_add_f32_e32 v16, v25, v16
	v_add_f32_e32 v30, v19, v24
	ds_read2_b64 v[24:27], v13 offset0:224 offset1:240
	v_mul_f32_e32 v18, v20, v18
	v_fmac_f32_e32 v18, v21, v17
	v_add_f32_e32 v10, v10, v18
	s_waitcnt lgkmcnt(0)
	v_mul_f32_e32 v17, v5, v25
	v_fma_f32 v17, v4, v24, -v17
	v_add_f32_e32 v20, v28, v17
	v_mul_f32_e32 v17, v5, v27
	v_mul_f32_e32 v18, v4, v25
	v_fma_f32 v17, v4, v26, -v17
	v_mul_f32_e32 v4, v4, v27
	v_fmac_f32_e32 v18, v5, v24
	v_fmac_f32_e32 v4, v5, v26
	v_add_f32_e32 v21, v29, v18
	v_add_f32_e32 v19, v3, v17
	;; [unrolled: 1-line block ×3, first 2 shown]
	v_mul_f32_e32 v2, v23, v25
	v_mul_f32_e32 v3, v22, v25
	v_fma_f32 v2, v22, v24, -v2
	v_fmac_f32_e32 v3, v23, v24
	v_add_f32_e32 v17, v15, v2
	v_add_f32_e32 v16, v16, v3
	v_mul_f32_e32 v2, v23, v27
	v_mul_f32_e32 v3, v22, v27
	v_fma_f32 v2, v22, v26, -v2
	v_fmac_f32_e32 v3, v23, v26
	v_add_f32_e32 v15, v30, v2
	v_add_f32_e32 v10, v10, v3
	s_barrier
	s_cbranch_scc0 .LBB175_2
	s_branch .LBB175_4
.LBB175_3:
	v_mov_b32_e32 v20, 0
	v_mov_b32_e32 v21, 0
	;; [unrolled: 1-line block ×8, first 2 shown]
.LBB175_4:
	s_load_dwordx2 s[0:1], s[4:5], 0x48
	s_load_dword s9, s[4:5], 0x40
	v_add_u32_e32 v4, s7, v1
	v_add_u32_e32 v0, s6, v0
	s_waitcnt lgkmcnt(0)
	s_mul_i32 s1, s1, s8
	s_mul_hi_u32 s4, s0, s8
	s_add_i32 s1, s4, s1
	v_mad_i64_i32 v[1:2], s[4:5], v4, s9, 0
	s_mul_i32 s0, s0, s8
	s_lshl_b64 s[0:1], s[0:1], 3
	s_add_u32 s7, s2, s0
	v_lshlrev_b64 v[1:2], 3, v[1:2]
	s_addc_u32 s8, s3, s1
	v_mov_b32_e32 v3, s8
	v_add_co_u32_e32 v5, vcc, s7, v1
	v_addc_co_u32_e32 v6, vcc, v3, v2, vcc
	v_cmp_le_i32_e64 s[0:1], v4, v0
	v_cmp_gt_i32_e32 vcc, s10, v0
	s_and_b64 s[0:1], s[0:1], vcc
	s_and_saveexec_b64 s[2:3], s[0:1]
	s_cbranch_execz .LBB175_6
; %bb.5:
	v_ashrrev_i32_e32 v1, 31, v0
	v_lshlrev_b64 v[7:8], 3, v[0:1]
	v_xor_b32_e32 v2, 0x80000000, v20
	v_add_co_u32_e64 v7, s[0:1], v5, v7
	v_xor_b32_e32 v3, 0x80000000, v21
	v_addc_co_u32_e64 v8, s[0:1], v6, v8, s[0:1]
	global_store_dwordx2 v[7:8], v[2:3], off
.LBB175_6:
	s_or_b64 exec, exec, s[2:3]
	v_add_u32_e32 v2, 16, v0
	v_cmp_le_i32_e64 s[2:3], v4, v2
	v_cmp_gt_i32_e64 s[0:1], s10, v2
	s_and_b64 s[2:3], s[2:3], s[0:1]
	s_and_saveexec_b64 s[4:5], s[2:3]
	s_cbranch_execz .LBB175_8
; %bb.7:
	v_ashrrev_i32_e32 v3, 31, v2
	v_lshlrev_b64 v[11:12], 3, v[2:3]
	v_xor_b32_e32 v7, 0x80000000, v19
	v_add_co_u32_e64 v5, s[2:3], v5, v11
	v_xor_b32_e32 v8, 0x80000000, v18
	v_addc_co_u32_e64 v6, s[2:3], v6, v12, s[2:3]
	global_store_dwordx2 v[5:6], v[7:8], off
.LBB175_8:
	s_or_b64 exec, exec, s[4:5]
	v_add_u32_e32 v3, 16, v4
	v_mad_i64_i32 v[4:5], s[2:3], v3, s9, 0
	v_mov_b32_e32 v1, s8
	v_lshlrev_b64 v[4:5], 3, v[4:5]
	v_add_co_u32_e64 v4, s[2:3], s7, v4
	v_addc_co_u32_e64 v5, s[2:3], v1, v5, s[2:3]
	v_cmp_le_i32_e64 s[2:3], v3, v0
	s_and_b64 s[4:5], s[2:3], vcc
	s_and_saveexec_b64 s[2:3], s[4:5]
	s_cbranch_execz .LBB175_10
; %bb.9:
	v_ashrrev_i32_e32 v1, 31, v0
	v_lshlrev_b64 v[0:1], 3, v[0:1]
	v_xor_b32_e32 v6, 0x80000000, v17
	v_add_co_u32_e32 v0, vcc, v4, v0
	v_xor_b32_e32 v7, 0x80000000, v16
	v_addc_co_u32_e32 v1, vcc, v5, v1, vcc
	global_store_dwordx2 v[0:1], v[6:7], off
.LBB175_10:
	s_or_b64 exec, exec, s[2:3]
	v_cmp_le_i32_e32 vcc, v3, v2
	s_and_b64 s[0:1], vcc, s[0:1]
	s_and_saveexec_b64 s[2:3], s[0:1]
	s_cbranch_execz .LBB175_12
; %bb.11:
	v_ashrrev_i32_e32 v3, 31, v2
	v_lshlrev_b64 v[2:3], 3, v[2:3]
	v_xor_b32_e32 v0, 0x80000000, v15
	v_add_co_u32_e32 v2, vcc, v4, v2
	v_xor_b32_e32 v1, 0x80000000, v10
	v_addc_co_u32_e32 v3, vcc, v5, v3, vcc
	global_store_dwordx2 v[2:3], v[0:1], off
.LBB175_12:
	s_endpgm
	.section	.rodata,"a",@progbits
	.p2align	6, 0x0
	.amdhsa_kernel _ZL37rocblas_syrkx_herkx_restricted_kernelIi19rocblas_complex_numIfELi16ELi32ELi8ELin1ELi0ELb0ELc67ELc76EKS1_S1_EviT_PT9_S3_lS5_S3_lPT10_S3_li
		.amdhsa_group_segment_fixed_size 4096
		.amdhsa_private_segment_fixed_size 0
		.amdhsa_kernarg_size 84
		.amdhsa_user_sgpr_count 6
		.amdhsa_user_sgpr_private_segment_buffer 1
		.amdhsa_user_sgpr_dispatch_ptr 0
		.amdhsa_user_sgpr_queue_ptr 0
		.amdhsa_user_sgpr_kernarg_segment_ptr 1
		.amdhsa_user_sgpr_dispatch_id 0
		.amdhsa_user_sgpr_flat_scratch_init 0
		.amdhsa_user_sgpr_private_segment_size 0
		.amdhsa_uses_dynamic_stack 0
		.amdhsa_system_sgpr_private_segment_wavefront_offset 0
		.amdhsa_system_sgpr_workgroup_id_x 1
		.amdhsa_system_sgpr_workgroup_id_y 1
		.amdhsa_system_sgpr_workgroup_id_z 1
		.amdhsa_system_sgpr_workgroup_info 0
		.amdhsa_system_vgpr_workitem_id 1
		.amdhsa_next_free_vgpr 41
		.amdhsa_next_free_sgpr 22
		.amdhsa_reserve_vcc 1
		.amdhsa_reserve_flat_scratch 0
		.amdhsa_float_round_mode_32 0
		.amdhsa_float_round_mode_16_64 0
		.amdhsa_float_denorm_mode_32 3
		.amdhsa_float_denorm_mode_16_64 3
		.amdhsa_dx10_clamp 1
		.amdhsa_ieee_mode 1
		.amdhsa_fp16_overflow 0
		.amdhsa_exception_fp_ieee_invalid_op 0
		.amdhsa_exception_fp_denorm_src 0
		.amdhsa_exception_fp_ieee_div_zero 0
		.amdhsa_exception_fp_ieee_overflow 0
		.amdhsa_exception_fp_ieee_underflow 0
		.amdhsa_exception_fp_ieee_inexact 0
		.amdhsa_exception_int_div_zero 0
	.end_amdhsa_kernel
	.section	.text._ZL37rocblas_syrkx_herkx_restricted_kernelIi19rocblas_complex_numIfELi16ELi32ELi8ELin1ELi0ELb0ELc67ELc76EKS1_S1_EviT_PT9_S3_lS5_S3_lPT10_S3_li,"axG",@progbits,_ZL37rocblas_syrkx_herkx_restricted_kernelIi19rocblas_complex_numIfELi16ELi32ELi8ELin1ELi0ELb0ELc67ELc76EKS1_S1_EviT_PT9_S3_lS5_S3_lPT10_S3_li,comdat
.Lfunc_end175:
	.size	_ZL37rocblas_syrkx_herkx_restricted_kernelIi19rocblas_complex_numIfELi16ELi32ELi8ELin1ELi0ELb0ELc67ELc76EKS1_S1_EviT_PT9_S3_lS5_S3_lPT10_S3_li, .Lfunc_end175-_ZL37rocblas_syrkx_herkx_restricted_kernelIi19rocblas_complex_numIfELi16ELi32ELi8ELin1ELi0ELb0ELc67ELc76EKS1_S1_EviT_PT9_S3_lS5_S3_lPT10_S3_li
                                        ; -- End function
	.set _ZL37rocblas_syrkx_herkx_restricted_kernelIi19rocblas_complex_numIfELi16ELi32ELi8ELin1ELi0ELb0ELc67ELc76EKS1_S1_EviT_PT9_S3_lS5_S3_lPT10_S3_li.num_vgpr, 41
	.set _ZL37rocblas_syrkx_herkx_restricted_kernelIi19rocblas_complex_numIfELi16ELi32ELi8ELin1ELi0ELb0ELc67ELc76EKS1_S1_EviT_PT9_S3_lS5_S3_lPT10_S3_li.num_agpr, 0
	.set _ZL37rocblas_syrkx_herkx_restricted_kernelIi19rocblas_complex_numIfELi16ELi32ELi8ELin1ELi0ELb0ELc67ELc76EKS1_S1_EviT_PT9_S3_lS5_S3_lPT10_S3_li.numbered_sgpr, 22
	.set _ZL37rocblas_syrkx_herkx_restricted_kernelIi19rocblas_complex_numIfELi16ELi32ELi8ELin1ELi0ELb0ELc67ELc76EKS1_S1_EviT_PT9_S3_lS5_S3_lPT10_S3_li.num_named_barrier, 0
	.set _ZL37rocblas_syrkx_herkx_restricted_kernelIi19rocblas_complex_numIfELi16ELi32ELi8ELin1ELi0ELb0ELc67ELc76EKS1_S1_EviT_PT9_S3_lS5_S3_lPT10_S3_li.private_seg_size, 0
	.set _ZL37rocblas_syrkx_herkx_restricted_kernelIi19rocblas_complex_numIfELi16ELi32ELi8ELin1ELi0ELb0ELc67ELc76EKS1_S1_EviT_PT9_S3_lS5_S3_lPT10_S3_li.uses_vcc, 1
	.set _ZL37rocblas_syrkx_herkx_restricted_kernelIi19rocblas_complex_numIfELi16ELi32ELi8ELin1ELi0ELb0ELc67ELc76EKS1_S1_EviT_PT9_S3_lS5_S3_lPT10_S3_li.uses_flat_scratch, 0
	.set _ZL37rocblas_syrkx_herkx_restricted_kernelIi19rocblas_complex_numIfELi16ELi32ELi8ELin1ELi0ELb0ELc67ELc76EKS1_S1_EviT_PT9_S3_lS5_S3_lPT10_S3_li.has_dyn_sized_stack, 0
	.set _ZL37rocblas_syrkx_herkx_restricted_kernelIi19rocblas_complex_numIfELi16ELi32ELi8ELin1ELi0ELb0ELc67ELc76EKS1_S1_EviT_PT9_S3_lS5_S3_lPT10_S3_li.has_recursion, 0
	.set _ZL37rocblas_syrkx_herkx_restricted_kernelIi19rocblas_complex_numIfELi16ELi32ELi8ELin1ELi0ELb0ELc67ELc76EKS1_S1_EviT_PT9_S3_lS5_S3_lPT10_S3_li.has_indirect_call, 0
	.section	.AMDGPU.csdata,"",@progbits
; Kernel info:
; codeLenInByte = 1936
; TotalNumSgprs: 26
; NumVgprs: 41
; ScratchSize: 0
; MemoryBound: 0
; FloatMode: 240
; IeeeMode: 1
; LDSByteSize: 4096 bytes/workgroup (compile time only)
; SGPRBlocks: 3
; VGPRBlocks: 10
; NumSGPRsForWavesPerEU: 26
; NumVGPRsForWavesPerEU: 41
; Occupancy: 5
; WaveLimiterHint : 0
; COMPUTE_PGM_RSRC2:SCRATCH_EN: 0
; COMPUTE_PGM_RSRC2:USER_SGPR: 6
; COMPUTE_PGM_RSRC2:TRAP_HANDLER: 0
; COMPUTE_PGM_RSRC2:TGID_X_EN: 1
; COMPUTE_PGM_RSRC2:TGID_Y_EN: 1
; COMPUTE_PGM_RSRC2:TGID_Z_EN: 1
; COMPUTE_PGM_RSRC2:TIDIG_COMP_CNT: 1
	.section	.text._ZL37rocblas_syrkx_herkx_restricted_kernelIi19rocblas_complex_numIfELi16ELi32ELi8ELin1ELi0ELb0ELc78ELc76EKS1_S1_EviT_PT9_S3_lS5_S3_lPT10_S3_li,"axG",@progbits,_ZL37rocblas_syrkx_herkx_restricted_kernelIi19rocblas_complex_numIfELi16ELi32ELi8ELin1ELi0ELb0ELc78ELc76EKS1_S1_EviT_PT9_S3_lS5_S3_lPT10_S3_li,comdat
	.globl	_ZL37rocblas_syrkx_herkx_restricted_kernelIi19rocblas_complex_numIfELi16ELi32ELi8ELin1ELi0ELb0ELc78ELc76EKS1_S1_EviT_PT9_S3_lS5_S3_lPT10_S3_li ; -- Begin function _ZL37rocblas_syrkx_herkx_restricted_kernelIi19rocblas_complex_numIfELi16ELi32ELi8ELin1ELi0ELb0ELc78ELc76EKS1_S1_EviT_PT9_S3_lS5_S3_lPT10_S3_li
	.p2align	8
	.type	_ZL37rocblas_syrkx_herkx_restricted_kernelIi19rocblas_complex_numIfELi16ELi32ELi8ELin1ELi0ELb0ELc78ELc76EKS1_S1_EviT_PT9_S3_lS5_S3_lPT10_S3_li,@function
_ZL37rocblas_syrkx_herkx_restricted_kernelIi19rocblas_complex_numIfELi16ELi32ELi8ELin1ELi0ELb0ELc78ELc76EKS1_S1_EviT_PT9_S3_lS5_S3_lPT10_S3_li: ; @_ZL37rocblas_syrkx_herkx_restricted_kernelIi19rocblas_complex_numIfELi16ELi32ELi8ELin1ELi0ELb0ELc78ELc76EKS1_S1_EviT_PT9_S3_lS5_S3_lPT10_S3_li
; %bb.0:
	s_load_dwordx2 s[10:11], s[4:5], 0x0
	s_load_dwordx4 s[0:3], s[4:5], 0x30
	s_lshl_b32 s9, s6, 5
	s_lshl_b32 s16, s7, 5
	s_mov_b32 s17, 0
	s_waitcnt lgkmcnt(0)
	s_cmp_lt_i32 s11, 1
	s_cbranch_scc1 .LBB176_3
; %bb.1:
	v_lshl_add_u32 v5, v1, 4, v0
	s_load_dword s6, s[4:5], 0x10
	s_load_dword s18, s[4:5], 0x28
	s_load_dwordx2 s[20:21], s[4:5], 0x8
	s_load_dwordx4 s[12:15], s[4:5], 0x18
	v_lshrrev_b32_e32 v6, 3, v5
	v_add_u32_e32 v2, s16, v6
	v_and_b32_e32 v4, 7, v0
	v_ashrrev_i32_e32 v3, 31, v2
	s_waitcnt lgkmcnt(0)
	v_mad_i64_i32 v[2:3], s[22:23], s18, v4, v[2:3]
	v_lshlrev_b32_e32 v4, 3, v4
	v_lshl_or_b32 v4, v6, 6, v4
	v_lshrrev_b32_e32 v7, 5, v5
	v_and_b32_e32 v5, 31, v5
	v_add_u32_e32 v11, 0x800, v4
	v_mov_b32_e32 v4, 0x800
	v_lshl_add_u32 v13, v1, 6, v4
	v_add_u32_e32 v4, s9, v5
	v_lshlrev_b32_e32 v8, 3, v5
	v_ashrrev_i32_e32 v5, 31, v4
	v_mad_i64_i32 v[4:5], s[22:23], s6, v7, v[4:5]
	s_mul_i32 s13, s13, s8
	s_mul_hi_u32 s24, s12, s8
	s_add_i32 s13, s24, s13
	s_mul_i32 s12, s12, s8
	s_ashr_i32 s7, s6, 31
	s_ashr_i32 s19, s18, 31
	s_lshl_b64 s[12:13], s[12:13], 3
	v_lshlrev_b64 v[4:5], 3, v[4:5]
	s_add_u32 s12, s20, s12
	s_addc_u32 s13, s21, s13
	v_add_co_u32_e32 v4, vcc, s12, v4
	s_mul_i32 s1, s1, s8
	s_mul_hi_u32 s12, s0, s8
	v_mov_b32_e32 v6, s13
	s_add_i32 s1, s12, s1
	s_mul_i32 s0, s0, s8
	v_addc_co_u32_e32 v5, vcc, v6, v5, vcc
	s_lshl_b64 s[6:7], s[6:7], 6
	s_lshl_b64 s[0:1], s[0:1], 3
	v_add_co_u32_e32 v6, vcc, 4, v4
	v_lshlrev_b64 v[2:3], 3, v[2:3]
	s_add_u32 s0, s14, s0
	v_lshl_or_b32 v10, v7, 8, v8
	v_addc_co_u32_e32 v7, vcc, 0, v5, vcc
	s_addc_u32 s1, s15, s1
	v_mov_b32_e32 v4, s1
	v_add_co_u32_e32 v2, vcc, s0, v2
	v_addc_co_u32_e32 v3, vcc, v4, v3, vcc
	v_add_co_u32_e32 v8, vcc, 4, v2
	s_lshl_b64 s[0:1], s[18:19], 6
	v_lshlrev_b32_e32 v12, 3, v0
	v_addc_co_u32_e32 v9, vcc, 0, v3, vcc
	v_mov_b32_e32 v16, 0
	v_mov_b32_e32 v14, s7
	;; [unrolled: 1-line block ×10, first 2 shown]
.LBB176_2:                              ; =>This Inner Loop Header: Depth=1
	global_load_dwordx2 v[2:3], v[6:7], off offset:-4
	v_add_co_u32_e32 v6, vcc, s6, v6
	v_addc_co_u32_e32 v7, vcc, v7, v14, vcc
	s_add_i32 s17, s17, 8
	s_cmp_ge_i32 s17, s11
	s_waitcnt vmcnt(0)
	ds_write_b64 v10, v[2:3]
	global_load_dwordx2 v[2:3], v[8:9], off offset:-4
	v_add_co_u32_e32 v8, vcc, s0, v8
	v_addc_co_u32_e32 v9, vcc, v9, v15, vcc
	s_waitcnt vmcnt(0)
	ds_write_b64 v11, v[2:3]
	s_waitcnt lgkmcnt(0)
	s_barrier
	ds_read_b128 v[24:27], v13
	ds_read_b128 v[28:31], v13 offset:16
	ds_read_b128 v[32:35], v13 offset:32
	;; [unrolled: 1-line block ×3, first 2 shown]
	ds_read2_b64 v[36:39], v12 offset1:16
	s_waitcnt lgkmcnt(0)
	v_mul_f32_e32 v40, v25, v37
	v_mul_f32_e32 v41, v24, v37
	v_fma_f32 v40, v24, v36, -v40
	v_fmac_f32_e32 v41, v25, v36
	v_add_f32_e32 v40, v22, v40
	v_add_f32_e32 v41, v23, v41
	v_mul_f32_e32 v22, v25, v39
	v_mul_f32_e32 v23, v24, v39
	v_fma_f32 v22, v24, v38, -v22
	v_fmac_f32_e32 v23, v25, v38
	v_add_f32_e32 v24, v21, v22
	v_add_f32_e32 v25, v20, v23
	ds_read_b128 v[20:23], v13 offset:1024
	s_waitcnt lgkmcnt(0)
	v_mul_f32_e32 v42, v21, v37
	v_mul_f32_e32 v37, v20, v37
	v_fma_f32 v42, v20, v36, -v42
	v_fmac_f32_e32 v37, v21, v36
	v_add_f32_e32 v36, v19, v42
	v_add_f32_e32 v37, v18, v37
	v_mul_f32_e32 v18, v21, v39
	v_mul_f32_e32 v19, v20, v39
	v_fma_f32 v18, v20, v38, -v18
	v_fmac_f32_e32 v19, v21, v38
	v_add_f32_e32 v20, v17, v18
	v_add_f32_e32 v21, v16, v19
	ds_read2_b64 v[16:19], v12 offset0:32 offset1:48
	s_waitcnt lgkmcnt(0)
	v_mul_f32_e32 v38, v27, v17
	v_fma_f32 v38, v26, v16, -v38
	v_add_f32_e32 v38, v40, v38
	v_mul_f32_e32 v40, v27, v19
	v_mul_f32_e32 v39, v26, v17
	v_fma_f32 v40, v26, v18, -v40
	v_mul_f32_e32 v26, v26, v19
	v_fmac_f32_e32 v26, v27, v18
	v_add_f32_e32 v25, v25, v26
	v_mul_f32_e32 v26, v23, v17
	v_mul_f32_e32 v17, v22, v17
	v_fmac_f32_e32 v17, v23, v16
	v_fmac_f32_e32 v39, v27, v16
	v_fma_f32 v26, v22, v16, -v26
	v_add_f32_e32 v27, v37, v17
	v_mul_f32_e32 v16, v23, v19
	v_mul_f32_e32 v17, v22, v19
	v_fma_f32 v16, v22, v18, -v16
	v_fmac_f32_e32 v17, v23, v18
	v_add_f32_e32 v26, v36, v26
	v_add_f32_e32 v36, v20, v16
	;; [unrolled: 1-line block ×3, first 2 shown]
	ds_read2_b64 v[16:19], v12 offset0:64 offset1:80
	v_add_f32_e32 v39, v41, v39
	v_add_f32_e32 v24, v24, v40
	s_waitcnt lgkmcnt(0)
	v_mul_f32_e32 v20, v29, v17
	v_mul_f32_e32 v21, v28, v17
	v_fma_f32 v20, v28, v16, -v20
	v_fmac_f32_e32 v21, v29, v16
	v_add_f32_e32 v38, v38, v20
	v_add_f32_e32 v39, v39, v21
	v_mul_f32_e32 v20, v29, v19
	v_mul_f32_e32 v21, v28, v19
	v_fma_f32 v20, v28, v18, -v20
	v_fmac_f32_e32 v21, v29, v18
	v_add_f32_e32 v24, v24, v20
	v_add_f32_e32 v25, v25, v21
	ds_read_b128 v[20:23], v13 offset:1040
	s_waitcnt lgkmcnt(0)
	v_mul_f32_e32 v28, v21, v17
	v_mul_f32_e32 v17, v20, v17
	v_fmac_f32_e32 v17, v21, v16
	v_fma_f32 v28, v20, v16, -v28
	v_add_f32_e32 v27, v27, v17
	v_mul_f32_e32 v16, v21, v19
	v_mul_f32_e32 v17, v20, v19
	v_fma_f32 v16, v20, v18, -v16
	v_fmac_f32_e32 v17, v21, v18
	v_add_f32_e32 v20, v36, v16
	v_add_f32_e32 v21, v37, v17
	ds_read2_b64 v[16:19], v12 offset0:96 offset1:112
	v_add_f32_e32 v26, v26, v28
	s_waitcnt lgkmcnt(0)
	v_mul_f32_e32 v28, v31, v17
	v_mul_f32_e32 v36, v31, v19
	v_fma_f32 v28, v30, v16, -v28
	v_mul_f32_e32 v29, v30, v17
	v_fma_f32 v36, v30, v18, -v36
	v_mul_f32_e32 v30, v30, v19
	v_fmac_f32_e32 v30, v31, v18
	v_add_f32_e32 v25, v25, v30
	v_mul_f32_e32 v30, v23, v17
	v_mul_f32_e32 v17, v22, v17
	v_fmac_f32_e32 v17, v23, v16
	v_fmac_f32_e32 v29, v31, v16
	v_fma_f32 v30, v22, v16, -v30
	v_add_f32_e32 v27, v27, v17
	v_mul_f32_e32 v16, v23, v19
	v_mul_f32_e32 v17, v22, v19
	v_fma_f32 v16, v22, v18, -v16
	v_fmac_f32_e32 v17, v23, v18
	v_add_f32_e32 v26, v26, v30
	v_add_f32_e32 v30, v20, v16
	v_add_f32_e32 v31, v21, v17
	ds_read2_b64 v[16:19], v12 offset0:128 offset1:144
	v_add_f32_e32 v28, v38, v28
	v_add_f32_e32 v29, v39, v29
	;; [unrolled: 1-line block ×3, first 2 shown]
	s_waitcnt lgkmcnt(0)
	v_mul_f32_e32 v20, v33, v17
	v_mul_f32_e32 v21, v32, v17
	v_fma_f32 v20, v32, v16, -v20
	v_fmac_f32_e32 v21, v33, v16
	v_add_f32_e32 v28, v28, v20
	v_add_f32_e32 v29, v29, v21
	v_mul_f32_e32 v20, v33, v19
	v_mul_f32_e32 v21, v32, v19
	v_fma_f32 v20, v32, v18, -v20
	v_fmac_f32_e32 v21, v33, v18
	v_add_f32_e32 v24, v24, v20
	v_add_f32_e32 v25, v25, v21
	ds_read_b128 v[20:23], v13 offset:1056
	s_waitcnt lgkmcnt(0)
	v_mul_f32_e32 v32, v21, v17
	v_mul_f32_e32 v17, v20, v17
	v_fmac_f32_e32 v17, v21, v16
	v_fma_f32 v32, v20, v16, -v32
	v_add_f32_e32 v27, v27, v17
	v_mul_f32_e32 v16, v21, v19
	v_mul_f32_e32 v17, v20, v19
	v_fma_f32 v16, v20, v18, -v16
	v_fmac_f32_e32 v17, v21, v18
	v_add_f32_e32 v20, v30, v16
	v_add_f32_e32 v21, v31, v17
	ds_read2_b64 v[16:19], v12 offset0:160 offset1:176
	v_add_f32_e32 v26, v26, v32
	s_waitcnt lgkmcnt(0)
	v_mul_f32_e32 v30, v35, v17
	v_fma_f32 v30, v34, v16, -v30
	v_add_f32_e32 v28, v28, v30
	v_mul_f32_e32 v30, v35, v19
	v_fma_f32 v30, v34, v18, -v30
	v_mul_f32_e32 v31, v34, v17
	v_add_f32_e32 v24, v24, v30
	v_mul_f32_e32 v30, v23, v17
	v_mul_f32_e32 v17, v22, v17
	v_fmac_f32_e32 v17, v23, v16
	v_fmac_f32_e32 v31, v35, v16
	v_fma_f32 v30, v22, v16, -v30
	v_add_f32_e32 v27, v27, v17
	v_mul_f32_e32 v16, v23, v19
	v_mul_f32_e32 v17, v22, v19
	v_add_f32_e32 v29, v29, v31
	v_mul_f32_e32 v31, v34, v19
	v_fma_f32 v16, v22, v18, -v16
	v_fmac_f32_e32 v17, v23, v18
	v_fmac_f32_e32 v31, v35, v18
	v_add_f32_e32 v20, v20, v16
	v_add_f32_e32 v21, v21, v17
	ds_read2_b64 v[16:19], v12 offset0:192 offset1:208
	v_add_f32_e32 v26, v26, v30
	v_add_f32_e32 v25, v25, v31
	s_waitcnt lgkmcnt(0)
	v_mul_f32_e32 v22, v3, v17
	v_fma_f32 v22, v2, v16, -v22
	v_add_f32_e32 v30, v28, v22
	v_mul_f32_e32 v22, v3, v19
	v_mul_f32_e32 v23, v2, v17
	v_fma_f32 v22, v2, v18, -v22
	v_mul_f32_e32 v2, v2, v19
	v_fmac_f32_e32 v23, v3, v16
	v_fmac_f32_e32 v2, v3, v18
	v_add_f32_e32 v31, v29, v23
	v_add_f32_e32 v3, v24, v22
	;; [unrolled: 1-line block ×3, first 2 shown]
	ds_read_b128 v[22:25], v13 offset:1072
	s_waitcnt lgkmcnt(0)
	v_mul_f32_e32 v28, v23, v17
	v_fma_f32 v28, v22, v16, -v28
	v_mul_f32_e32 v17, v22, v17
	v_fmac_f32_e32 v17, v23, v16
	v_add_f32_e32 v16, v26, v28
	v_mul_f32_e32 v26, v23, v19
	v_fma_f32 v26, v22, v18, -v26
	v_add_f32_e32 v17, v27, v17
	v_add_f32_e32 v32, v20, v26
	ds_read2_b64 v[26:29], v12 offset0:224 offset1:240
	v_mul_f32_e32 v19, v22, v19
	v_fmac_f32_e32 v19, v23, v18
	v_add_f32_e32 v33, v21, v19
	s_waitcnt lgkmcnt(0)
	v_mul_f32_e32 v18, v5, v27
	v_fma_f32 v18, v4, v26, -v18
	v_add_f32_e32 v22, v30, v18
	v_mul_f32_e32 v18, v5, v29
	v_mul_f32_e32 v19, v4, v27
	v_fma_f32 v18, v4, v28, -v18
	v_mul_f32_e32 v4, v4, v29
	v_fmac_f32_e32 v4, v5, v28
	v_add_f32_e32 v21, v3, v18
	v_add_f32_e32 v20, v2, v4
	v_mul_f32_e32 v2, v25, v27
	v_mul_f32_e32 v3, v24, v27
	v_fmac_f32_e32 v19, v5, v26
	v_fma_f32 v2, v24, v26, -v2
	v_fmac_f32_e32 v3, v25, v26
	v_add_f32_e32 v23, v31, v19
	v_add_f32_e32 v19, v16, v2
	;; [unrolled: 1-line block ×3, first 2 shown]
	v_mul_f32_e32 v2, v25, v29
	v_mul_f32_e32 v3, v24, v29
	v_fma_f32 v2, v24, v28, -v2
	v_fmac_f32_e32 v3, v25, v28
	v_add_f32_e32 v17, v32, v2
	v_add_f32_e32 v16, v33, v3
	s_barrier
	s_cbranch_scc0 .LBB176_2
	s_branch .LBB176_4
.LBB176_3:
	v_mov_b32_e32 v22, 0
	v_mov_b32_e32 v23, 0
	;; [unrolled: 1-line block ×8, first 2 shown]
.LBB176_4:
	s_load_dwordx2 s[0:1], s[4:5], 0x48
	s_load_dword s6, s[4:5], 0x40
	v_add_u32_e32 v4, s16, v1
	v_add_u32_e32 v0, s9, v0
	s_waitcnt lgkmcnt(0)
	s_mul_i32 s1, s1, s8
	s_mul_hi_u32 s4, s0, s8
	s_add_i32 s1, s4, s1
	v_mad_i64_i32 v[1:2], s[4:5], v4, s6, 0
	s_mul_i32 s0, s0, s8
	s_lshl_b64 s[0:1], s[0:1], 3
	s_add_u32 s7, s2, s0
	v_lshlrev_b64 v[1:2], 3, v[1:2]
	s_addc_u32 s8, s3, s1
	v_mov_b32_e32 v3, s8
	v_add_co_u32_e32 v5, vcc, s7, v1
	v_addc_co_u32_e32 v6, vcc, v3, v2, vcc
	v_cmp_le_i32_e64 s[0:1], v4, v0
	v_cmp_gt_i32_e32 vcc, s10, v0
	s_and_b64 s[0:1], s[0:1], vcc
	s_and_saveexec_b64 s[2:3], s[0:1]
	s_cbranch_execz .LBB176_6
; %bb.5:
	v_ashrrev_i32_e32 v1, 31, v0
	v_lshlrev_b64 v[7:8], 3, v[0:1]
	v_xor_b32_e32 v2, 0x80000000, v22
	v_add_co_u32_e64 v7, s[0:1], v5, v7
	v_xor_b32_e32 v3, 0x80000000, v23
	v_addc_co_u32_e64 v8, s[0:1], v6, v8, s[0:1]
	global_store_dwordx2 v[7:8], v[2:3], off
.LBB176_6:
	s_or_b64 exec, exec, s[2:3]
	v_add_u32_e32 v2, 16, v0
	v_cmp_le_i32_e64 s[2:3], v4, v2
	v_cmp_gt_i32_e64 s[0:1], s10, v2
	s_and_b64 s[2:3], s[2:3], s[0:1]
	s_and_saveexec_b64 s[4:5], s[2:3]
	s_cbranch_execz .LBB176_8
; %bb.7:
	v_ashrrev_i32_e32 v3, 31, v2
	v_lshlrev_b64 v[9:10], 3, v[2:3]
	v_xor_b32_e32 v7, 0x80000000, v21
	v_add_co_u32_e64 v5, s[2:3], v5, v9
	v_xor_b32_e32 v8, 0x80000000, v20
	v_addc_co_u32_e64 v6, s[2:3], v6, v10, s[2:3]
	global_store_dwordx2 v[5:6], v[7:8], off
.LBB176_8:
	s_or_b64 exec, exec, s[4:5]
	v_add_u32_e32 v3, 16, v4
	v_mad_i64_i32 v[4:5], s[2:3], v3, s6, 0
	v_mov_b32_e32 v1, s8
	v_lshlrev_b64 v[4:5], 3, v[4:5]
	v_add_co_u32_e64 v4, s[2:3], s7, v4
	v_addc_co_u32_e64 v5, s[2:3], v1, v5, s[2:3]
	v_cmp_le_i32_e64 s[2:3], v3, v0
	s_and_b64 s[4:5], s[2:3], vcc
	s_and_saveexec_b64 s[2:3], s[4:5]
	s_cbranch_execz .LBB176_10
; %bb.9:
	v_ashrrev_i32_e32 v1, 31, v0
	v_lshlrev_b64 v[0:1], 3, v[0:1]
	v_xor_b32_e32 v6, 0x80000000, v19
	v_add_co_u32_e32 v0, vcc, v4, v0
	v_xor_b32_e32 v7, 0x80000000, v18
	v_addc_co_u32_e32 v1, vcc, v5, v1, vcc
	global_store_dwordx2 v[0:1], v[6:7], off
.LBB176_10:
	s_or_b64 exec, exec, s[2:3]
	v_cmp_le_i32_e32 vcc, v3, v2
	s_and_b64 s[0:1], vcc, s[0:1]
	s_and_saveexec_b64 s[2:3], s[0:1]
	s_cbranch_execz .LBB176_12
; %bb.11:
	v_ashrrev_i32_e32 v3, 31, v2
	v_lshlrev_b64 v[2:3], 3, v[2:3]
	v_xor_b32_e32 v0, 0x80000000, v17
	v_add_co_u32_e32 v2, vcc, v4, v2
	v_xor_b32_e32 v1, 0x80000000, v16
	v_addc_co_u32_e32 v3, vcc, v5, v3, vcc
	global_store_dwordx2 v[2:3], v[0:1], off
.LBB176_12:
	s_endpgm
	.section	.rodata,"a",@progbits
	.p2align	6, 0x0
	.amdhsa_kernel _ZL37rocblas_syrkx_herkx_restricted_kernelIi19rocblas_complex_numIfELi16ELi32ELi8ELin1ELi0ELb0ELc78ELc76EKS1_S1_EviT_PT9_S3_lS5_S3_lPT10_S3_li
		.amdhsa_group_segment_fixed_size 4096
		.amdhsa_private_segment_fixed_size 0
		.amdhsa_kernarg_size 84
		.amdhsa_user_sgpr_count 6
		.amdhsa_user_sgpr_private_segment_buffer 1
		.amdhsa_user_sgpr_dispatch_ptr 0
		.amdhsa_user_sgpr_queue_ptr 0
		.amdhsa_user_sgpr_kernarg_segment_ptr 1
		.amdhsa_user_sgpr_dispatch_id 0
		.amdhsa_user_sgpr_flat_scratch_init 0
		.amdhsa_user_sgpr_private_segment_size 0
		.amdhsa_uses_dynamic_stack 0
		.amdhsa_system_sgpr_private_segment_wavefront_offset 0
		.amdhsa_system_sgpr_workgroup_id_x 1
		.amdhsa_system_sgpr_workgroup_id_y 1
		.amdhsa_system_sgpr_workgroup_id_z 1
		.amdhsa_system_sgpr_workgroup_info 0
		.amdhsa_system_vgpr_workitem_id 1
		.amdhsa_next_free_vgpr 43
		.amdhsa_next_free_sgpr 25
		.amdhsa_reserve_vcc 1
		.amdhsa_reserve_flat_scratch 0
		.amdhsa_float_round_mode_32 0
		.amdhsa_float_round_mode_16_64 0
		.amdhsa_float_denorm_mode_32 3
		.amdhsa_float_denorm_mode_16_64 3
		.amdhsa_dx10_clamp 1
		.amdhsa_ieee_mode 1
		.amdhsa_fp16_overflow 0
		.amdhsa_exception_fp_ieee_invalid_op 0
		.amdhsa_exception_fp_denorm_src 0
		.amdhsa_exception_fp_ieee_div_zero 0
		.amdhsa_exception_fp_ieee_overflow 0
		.amdhsa_exception_fp_ieee_underflow 0
		.amdhsa_exception_fp_ieee_inexact 0
		.amdhsa_exception_int_div_zero 0
	.end_amdhsa_kernel
	.section	.text._ZL37rocblas_syrkx_herkx_restricted_kernelIi19rocblas_complex_numIfELi16ELi32ELi8ELin1ELi0ELb0ELc78ELc76EKS1_S1_EviT_PT9_S3_lS5_S3_lPT10_S3_li,"axG",@progbits,_ZL37rocblas_syrkx_herkx_restricted_kernelIi19rocblas_complex_numIfELi16ELi32ELi8ELin1ELi0ELb0ELc78ELc76EKS1_S1_EviT_PT9_S3_lS5_S3_lPT10_S3_li,comdat
.Lfunc_end176:
	.size	_ZL37rocblas_syrkx_herkx_restricted_kernelIi19rocblas_complex_numIfELi16ELi32ELi8ELin1ELi0ELb0ELc78ELc76EKS1_S1_EviT_PT9_S3_lS5_S3_lPT10_S3_li, .Lfunc_end176-_ZL37rocblas_syrkx_herkx_restricted_kernelIi19rocblas_complex_numIfELi16ELi32ELi8ELin1ELi0ELb0ELc78ELc76EKS1_S1_EviT_PT9_S3_lS5_S3_lPT10_S3_li
                                        ; -- End function
	.set _ZL37rocblas_syrkx_herkx_restricted_kernelIi19rocblas_complex_numIfELi16ELi32ELi8ELin1ELi0ELb0ELc78ELc76EKS1_S1_EviT_PT9_S3_lS5_S3_lPT10_S3_li.num_vgpr, 43
	.set _ZL37rocblas_syrkx_herkx_restricted_kernelIi19rocblas_complex_numIfELi16ELi32ELi8ELin1ELi0ELb0ELc78ELc76EKS1_S1_EviT_PT9_S3_lS5_S3_lPT10_S3_li.num_agpr, 0
	.set _ZL37rocblas_syrkx_herkx_restricted_kernelIi19rocblas_complex_numIfELi16ELi32ELi8ELin1ELi0ELb0ELc78ELc76EKS1_S1_EviT_PT9_S3_lS5_S3_lPT10_S3_li.numbered_sgpr, 25
	.set _ZL37rocblas_syrkx_herkx_restricted_kernelIi19rocblas_complex_numIfELi16ELi32ELi8ELin1ELi0ELb0ELc78ELc76EKS1_S1_EviT_PT9_S3_lS5_S3_lPT10_S3_li.num_named_barrier, 0
	.set _ZL37rocblas_syrkx_herkx_restricted_kernelIi19rocblas_complex_numIfELi16ELi32ELi8ELin1ELi0ELb0ELc78ELc76EKS1_S1_EviT_PT9_S3_lS5_S3_lPT10_S3_li.private_seg_size, 0
	.set _ZL37rocblas_syrkx_herkx_restricted_kernelIi19rocblas_complex_numIfELi16ELi32ELi8ELin1ELi0ELb0ELc78ELc76EKS1_S1_EviT_PT9_S3_lS5_S3_lPT10_S3_li.uses_vcc, 1
	.set _ZL37rocblas_syrkx_herkx_restricted_kernelIi19rocblas_complex_numIfELi16ELi32ELi8ELin1ELi0ELb0ELc78ELc76EKS1_S1_EviT_PT9_S3_lS5_S3_lPT10_S3_li.uses_flat_scratch, 0
	.set _ZL37rocblas_syrkx_herkx_restricted_kernelIi19rocblas_complex_numIfELi16ELi32ELi8ELin1ELi0ELb0ELc78ELc76EKS1_S1_EviT_PT9_S3_lS5_S3_lPT10_S3_li.has_dyn_sized_stack, 0
	.set _ZL37rocblas_syrkx_herkx_restricted_kernelIi19rocblas_complex_numIfELi16ELi32ELi8ELin1ELi0ELb0ELc78ELc76EKS1_S1_EviT_PT9_S3_lS5_S3_lPT10_S3_li.has_recursion, 0
	.set _ZL37rocblas_syrkx_herkx_restricted_kernelIi19rocblas_complex_numIfELi16ELi32ELi8ELin1ELi0ELb0ELc78ELc76EKS1_S1_EviT_PT9_S3_lS5_S3_lPT10_S3_li.has_indirect_call, 0
	.section	.AMDGPU.csdata,"",@progbits
; Kernel info:
; codeLenInByte = 1964
; TotalNumSgprs: 29
; NumVgprs: 43
; ScratchSize: 0
; MemoryBound: 0
; FloatMode: 240
; IeeeMode: 1
; LDSByteSize: 4096 bytes/workgroup (compile time only)
; SGPRBlocks: 3
; VGPRBlocks: 10
; NumSGPRsForWavesPerEU: 29
; NumVGPRsForWavesPerEU: 43
; Occupancy: 5
; WaveLimiterHint : 0
; COMPUTE_PGM_RSRC2:SCRATCH_EN: 0
; COMPUTE_PGM_RSRC2:USER_SGPR: 6
; COMPUTE_PGM_RSRC2:TRAP_HANDLER: 0
; COMPUTE_PGM_RSRC2:TGID_X_EN: 1
; COMPUTE_PGM_RSRC2:TGID_Y_EN: 1
; COMPUTE_PGM_RSRC2:TGID_Z_EN: 1
; COMPUTE_PGM_RSRC2:TIDIG_COMP_CNT: 1
	.section	.text._ZL37rocblas_syrkx_herkx_restricted_kernelIi19rocblas_complex_numIfELi16ELi32ELi8ELin1ELi0ELb0ELc84ELc85EKS1_S1_EviT_PT9_S3_lS5_S3_lPT10_S3_li,"axG",@progbits,_ZL37rocblas_syrkx_herkx_restricted_kernelIi19rocblas_complex_numIfELi16ELi32ELi8ELin1ELi0ELb0ELc84ELc85EKS1_S1_EviT_PT9_S3_lS5_S3_lPT10_S3_li,comdat
	.globl	_ZL37rocblas_syrkx_herkx_restricted_kernelIi19rocblas_complex_numIfELi16ELi32ELi8ELin1ELi0ELb0ELc84ELc85EKS1_S1_EviT_PT9_S3_lS5_S3_lPT10_S3_li ; -- Begin function _ZL37rocblas_syrkx_herkx_restricted_kernelIi19rocblas_complex_numIfELi16ELi32ELi8ELin1ELi0ELb0ELc84ELc85EKS1_S1_EviT_PT9_S3_lS5_S3_lPT10_S3_li
	.p2align	8
	.type	_ZL37rocblas_syrkx_herkx_restricted_kernelIi19rocblas_complex_numIfELi16ELi32ELi8ELin1ELi0ELb0ELc84ELc85EKS1_S1_EviT_PT9_S3_lS5_S3_lPT10_S3_li,@function
_ZL37rocblas_syrkx_herkx_restricted_kernelIi19rocblas_complex_numIfELi16ELi32ELi8ELin1ELi0ELb0ELc84ELc85EKS1_S1_EviT_PT9_S3_lS5_S3_lPT10_S3_li: ; @_ZL37rocblas_syrkx_herkx_restricted_kernelIi19rocblas_complex_numIfELi16ELi32ELi8ELin1ELi0ELb0ELc84ELc85EKS1_S1_EviT_PT9_S3_lS5_S3_lPT10_S3_li
; %bb.0:
	s_load_dwordx2 s[10:11], s[4:5], 0x0
	s_load_dwordx4 s[0:3], s[4:5], 0x30
	s_lshl_b32 s6, s6, 5
	s_lshl_b32 s7, s7, 5
	s_mov_b32 s9, 0
	s_waitcnt lgkmcnt(0)
	s_cmp_lt_i32 s11, 1
	s_cbranch_scc1 .LBB177_3
; %bb.1:
	v_lshl_add_u32 v4, v1, 4, v0
	v_and_b32_e32 v7, 31, v4
	s_load_dwordx2 s[16:17], s[4:5], 0x8
	s_load_dword s20, s[4:5], 0x10
	s_load_dwordx4 s[12:15], s[4:5], 0x18
	s_load_dword s18, s[4:5], 0x28
	v_lshrrev_b32_e32 v6, 3, v4
	v_and_b32_e32 v9, 7, v0
	v_lshrrev_b32_e32 v4, 5, v4
	v_lshlrev_b32_e32 v8, 3, v7
	v_lshl_or_b32 v11, v4, 8, v8
	v_lshlrev_b32_e32 v8, 3, v9
	v_add_u32_e32 v2, s7, v6
	v_lshl_or_b32 v6, v6, 6, v8
	v_mov_b32_e32 v10, 0
	v_add_u32_e32 v12, 0x800, v6
	v_mov_b32_e32 v6, 0x800
	v_mov_b32_e32 v5, v10
	v_lshl_add_u32 v14, v1, 6, v6
	v_add_u32_e32 v6, s6, v7
	s_waitcnt lgkmcnt(0)
	v_mad_i64_i32 v[2:3], s[18:19], s18, v2, v[9:10]
	v_mad_i64_i32 v[4:5], s[18:19], s20, v6, v[4:5]
	s_mul_i32 s13, s13, s8
	s_mul_hi_u32 s21, s12, s8
	s_add_i32 s13, s21, s13
	s_mul_i32 s12, s12, s8
	s_lshl_b64 s[12:13], s[12:13], 3
	v_lshlrev_b64 v[4:5], 3, v[4:5]
	s_add_u32 s12, s16, s12
	s_addc_u32 s13, s17, s13
	v_add_co_u32_e32 v4, vcc, s12, v4
	s_mul_i32 s1, s1, s8
	s_mul_hi_u32 s12, s0, s8
	v_mov_b32_e32 v6, s13
	s_add_i32 s1, s12, s1
	s_mul_i32 s0, s0, s8
	v_addc_co_u32_e32 v5, vcc, v6, v5, vcc
	s_lshl_b64 s[0:1], s[0:1], 3
	v_add_co_u32_e32 v6, vcc, 4, v4
	v_lshlrev_b64 v[2:3], 3, v[2:3]
	s_add_u32 s0, s14, s0
	v_addc_co_u32_e32 v7, vcc, 0, v5, vcc
	s_addc_u32 s1, s15, s1
	v_mov_b32_e32 v4, s1
	v_add_co_u32_e32 v2, vcc, s0, v2
	v_addc_co_u32_e32 v3, vcc, v4, v3, vcc
	v_add_co_u32_e32 v8, vcc, 4, v2
	v_lshlrev_b32_e32 v13, 3, v0
	v_addc_co_u32_e32 v9, vcc, 0, v3, vcc
	v_mov_b32_e32 v15, v10
	v_mov_b32_e32 v16, v10
	;; [unrolled: 1-line block ×7, first 2 shown]
.LBB177_2:                              ; =>This Inner Loop Header: Depth=1
	global_load_dwordx2 v[2:3], v[6:7], off offset:-4
	v_add_co_u32_e32 v6, vcc, 64, v6
	v_addc_co_u32_e32 v7, vcc, 0, v7, vcc
	s_add_i32 s9, s9, 8
	s_cmp_ge_i32 s9, s11
	s_waitcnt vmcnt(0)
	ds_write_b64 v11, v[2:3]
	global_load_dwordx2 v[2:3], v[8:9], off offset:-4
	v_add_co_u32_e32 v8, vcc, 64, v8
	v_addc_co_u32_e32 v9, vcc, 0, v9, vcc
	s_waitcnt vmcnt(0)
	ds_write_b64 v12, v[2:3]
	s_waitcnt lgkmcnt(0)
	s_barrier
	ds_read_b128 v[22:25], v14
	ds_read_b128 v[26:29], v14 offset:16
	ds_read_b128 v[30:33], v14 offset:32
	;; [unrolled: 1-line block ×3, first 2 shown]
	ds_read2_b64 v[34:37], v13 offset1:16
	s_waitcnt lgkmcnt(0)
	v_mul_f32_e32 v38, v23, v35
	v_mul_f32_e32 v39, v22, v35
	v_fma_f32 v38, v22, v34, -v38
	v_fmac_f32_e32 v39, v23, v34
	v_add_f32_e32 v38, v20, v38
	v_add_f32_e32 v39, v21, v39
	v_mul_f32_e32 v20, v23, v37
	v_mul_f32_e32 v21, v22, v37
	v_fma_f32 v20, v22, v36, -v20
	v_fmac_f32_e32 v21, v23, v36
	v_add_f32_e32 v22, v19, v20
	v_add_f32_e32 v23, v18, v21
	ds_read_b128 v[18:21], v14 offset:1024
	s_waitcnt lgkmcnt(0)
	v_mul_f32_e32 v40, v19, v35
	v_mul_f32_e32 v35, v18, v35
	v_fma_f32 v40, v18, v34, -v40
	v_fmac_f32_e32 v35, v19, v34
	v_add_f32_e32 v34, v17, v40
	v_add_f32_e32 v35, v16, v35
	v_mul_f32_e32 v16, v19, v37
	v_mul_f32_e32 v17, v18, v37
	v_fma_f32 v16, v18, v36, -v16
	v_fmac_f32_e32 v17, v19, v36
	v_add_f32_e32 v19, v15, v16
	v_add_f32_e32 v10, v10, v17
	ds_read2_b64 v[15:18], v13 offset0:32 offset1:48
	s_waitcnt lgkmcnt(0)
	v_mul_f32_e32 v36, v25, v16
	v_fma_f32 v36, v24, v15, -v36
	v_add_f32_e32 v36, v38, v36
	v_mul_f32_e32 v38, v25, v18
	v_mul_f32_e32 v37, v24, v16
	v_fma_f32 v38, v24, v17, -v38
	v_mul_f32_e32 v24, v24, v18
	v_fmac_f32_e32 v24, v25, v17
	v_add_f32_e32 v23, v23, v24
	v_mul_f32_e32 v24, v21, v16
	v_mul_f32_e32 v16, v20, v16
	v_fmac_f32_e32 v16, v21, v15
	v_fmac_f32_e32 v37, v25, v15
	v_fma_f32 v24, v20, v15, -v24
	v_add_f32_e32 v25, v35, v16
	v_mul_f32_e32 v15, v21, v18
	v_mul_f32_e32 v16, v20, v18
	v_fma_f32 v15, v20, v17, -v15
	v_fmac_f32_e32 v16, v21, v17
	v_add_f32_e32 v24, v34, v24
	v_add_f32_e32 v34, v19, v15
	;; [unrolled: 1-line block ×3, first 2 shown]
	ds_read2_b64 v[15:18], v13 offset0:64 offset1:80
	v_add_f32_e32 v37, v39, v37
	v_add_f32_e32 v22, v22, v38
	s_waitcnt lgkmcnt(0)
	v_mul_f32_e32 v19, v27, v16
	v_mul_f32_e32 v20, v26, v16
	v_fma_f32 v19, v26, v15, -v19
	v_fmac_f32_e32 v20, v27, v15
	v_add_f32_e32 v35, v36, v19
	v_add_f32_e32 v36, v37, v20
	v_mul_f32_e32 v19, v27, v18
	v_mul_f32_e32 v20, v26, v18
	v_fma_f32 v19, v26, v17, -v19
	v_fmac_f32_e32 v20, v27, v17
	v_add_f32_e32 v26, v22, v19
	v_add_f32_e32 v23, v23, v20
	ds_read_b128 v[19:22], v14 offset:1040
	s_waitcnt lgkmcnt(0)
	v_mul_f32_e32 v27, v20, v16
	v_mul_f32_e32 v16, v19, v16
	v_fmac_f32_e32 v16, v20, v15
	v_fma_f32 v27, v19, v15, -v27
	v_add_f32_e32 v25, v25, v16
	v_mul_f32_e32 v15, v20, v18
	v_mul_f32_e32 v16, v19, v18
	v_fma_f32 v15, v19, v17, -v15
	v_fmac_f32_e32 v16, v20, v17
	v_add_f32_e32 v19, v34, v15
	v_add_f32_e32 v10, v10, v16
	ds_read2_b64 v[15:18], v13 offset0:96 offset1:112
	v_add_f32_e32 v24, v24, v27
	s_waitcnt lgkmcnt(0)
	v_mul_f32_e32 v20, v29, v16
	v_mul_f32_e32 v34, v29, v18
	v_fma_f32 v20, v28, v15, -v20
	v_mul_f32_e32 v27, v28, v16
	v_fma_f32 v34, v28, v17, -v34
	v_mul_f32_e32 v28, v28, v18
	v_fmac_f32_e32 v28, v29, v17
	v_add_f32_e32 v23, v23, v28
	v_mul_f32_e32 v28, v22, v16
	v_mul_f32_e32 v16, v21, v16
	v_fmac_f32_e32 v16, v22, v15
	v_fmac_f32_e32 v27, v29, v15
	v_fma_f32 v28, v21, v15, -v28
	v_add_f32_e32 v25, v25, v16
	v_mul_f32_e32 v15, v22, v18
	v_mul_f32_e32 v16, v21, v18
	v_fma_f32 v15, v21, v17, -v15
	v_fmac_f32_e32 v16, v22, v17
	v_add_f32_e32 v24, v24, v28
	v_add_f32_e32 v28, v19, v15
	;; [unrolled: 1-line block ×3, first 2 shown]
	ds_read2_b64 v[15:18], v13 offset0:128 offset1:144
	v_add_f32_e32 v20, v35, v20
	v_add_f32_e32 v27, v36, v27
	;; [unrolled: 1-line block ×3, first 2 shown]
	s_waitcnt lgkmcnt(0)
	v_mul_f32_e32 v19, v31, v16
	v_fma_f32 v19, v30, v15, -v19
	v_mul_f32_e32 v21, v30, v16
	v_add_f32_e32 v29, v20, v19
	v_mul_f32_e32 v19, v31, v18
	v_mul_f32_e32 v20, v30, v18
	v_fmac_f32_e32 v21, v31, v15
	v_fma_f32 v19, v30, v17, -v19
	v_fmac_f32_e32 v20, v31, v17
	v_add_f32_e32 v27, v27, v21
	v_add_f32_e32 v26, v26, v19
	;; [unrolled: 1-line block ×3, first 2 shown]
	ds_read_b128 v[19:22], v14 offset:1056
	s_waitcnt lgkmcnt(0)
	v_mul_f32_e32 v30, v20, v16
	v_mul_f32_e32 v16, v19, v16
	v_fmac_f32_e32 v16, v20, v15
	v_fma_f32 v30, v19, v15, -v30
	v_add_f32_e32 v25, v25, v16
	v_mul_f32_e32 v15, v20, v18
	v_mul_f32_e32 v16, v19, v18
	v_fma_f32 v15, v19, v17, -v15
	v_fmac_f32_e32 v16, v20, v17
	v_add_f32_e32 v19, v28, v15
	v_add_f32_e32 v10, v10, v16
	ds_read2_b64 v[15:18], v13 offset0:160 offset1:176
	v_add_f32_e32 v24, v24, v30
	s_waitcnt lgkmcnt(0)
	v_mul_f32_e32 v28, v32, v16
	v_fmac_f32_e32 v28, v33, v15
	v_add_f32_e32 v27, v27, v28
	v_mul_f32_e32 v28, v33, v18
	v_fma_f32 v28, v32, v17, -v28
	v_mul_f32_e32 v20, v33, v16
	v_add_f32_e32 v26, v26, v28
	v_mul_f32_e32 v28, v22, v16
	v_mul_f32_e32 v16, v21, v16
	v_fmac_f32_e32 v16, v22, v15
	v_fma_f32 v20, v32, v15, -v20
	v_fma_f32 v28, v21, v15, -v28
	v_add_f32_e32 v25, v25, v16
	v_mul_f32_e32 v15, v22, v18
	v_mul_f32_e32 v16, v21, v18
	v_add_f32_e32 v20, v29, v20
	v_mul_f32_e32 v29, v32, v18
	v_fma_f32 v15, v21, v17, -v15
	v_fmac_f32_e32 v16, v22, v17
	v_fmac_f32_e32 v29, v33, v17
	v_add_f32_e32 v19, v19, v15
	v_add_f32_e32 v10, v10, v16
	ds_read2_b64 v[15:18], v13 offset0:192 offset1:208
	v_add_f32_e32 v24, v24, v28
	v_add_f32_e32 v23, v23, v29
	s_waitcnt lgkmcnt(0)
	v_mul_f32_e32 v21, v3, v16
	v_fma_f32 v21, v2, v15, -v21
	v_add_f32_e32 v28, v20, v21
	v_mul_f32_e32 v20, v3, v18
	v_mul_f32_e32 v22, v2, v16
	v_fma_f32 v20, v2, v17, -v20
	v_mul_f32_e32 v2, v2, v18
	v_fmac_f32_e32 v22, v3, v15
	v_fmac_f32_e32 v2, v3, v17
	v_add_f32_e32 v29, v27, v22
	v_add_f32_e32 v3, v26, v20
	;; [unrolled: 1-line block ×3, first 2 shown]
	ds_read_b128 v[20:23], v14 offset:1072
	s_waitcnt lgkmcnt(0)
	v_mul_f32_e32 v26, v21, v16
	v_fma_f32 v26, v20, v15, -v26
	v_mul_f32_e32 v16, v20, v16
	v_fmac_f32_e32 v16, v21, v15
	v_add_f32_e32 v15, v24, v26
	v_mul_f32_e32 v24, v21, v18
	v_fma_f32 v24, v20, v17, -v24
	v_add_f32_e32 v16, v25, v16
	v_add_f32_e32 v30, v19, v24
	ds_read2_b64 v[24:27], v13 offset0:224 offset1:240
	v_mul_f32_e32 v18, v20, v18
	v_fmac_f32_e32 v18, v21, v17
	v_add_f32_e32 v10, v10, v18
	s_waitcnt lgkmcnt(0)
	v_mul_f32_e32 v17, v5, v25
	v_fma_f32 v17, v4, v24, -v17
	v_add_f32_e32 v20, v28, v17
	v_mul_f32_e32 v17, v5, v27
	v_mul_f32_e32 v18, v4, v25
	v_fma_f32 v17, v4, v26, -v17
	v_mul_f32_e32 v4, v4, v27
	v_fmac_f32_e32 v18, v5, v24
	v_fmac_f32_e32 v4, v5, v26
	v_add_f32_e32 v21, v29, v18
	v_add_f32_e32 v19, v3, v17
	;; [unrolled: 1-line block ×3, first 2 shown]
	v_mul_f32_e32 v2, v23, v25
	v_mul_f32_e32 v3, v22, v25
	v_fma_f32 v2, v22, v24, -v2
	v_fmac_f32_e32 v3, v23, v24
	v_add_f32_e32 v17, v15, v2
	v_add_f32_e32 v16, v16, v3
	v_mul_f32_e32 v2, v23, v27
	v_mul_f32_e32 v3, v22, v27
	v_fma_f32 v2, v22, v26, -v2
	v_fmac_f32_e32 v3, v23, v26
	v_add_f32_e32 v15, v30, v2
	v_add_f32_e32 v10, v10, v3
	s_barrier
	s_cbranch_scc0 .LBB177_2
	s_branch .LBB177_4
.LBB177_3:
	v_mov_b32_e32 v20, 0
	v_mov_b32_e32 v21, 0
	v_mov_b32_e32 v19, 0
	v_mov_b32_e32 v18, 0
	v_mov_b32_e32 v17, 0
	v_mov_b32_e32 v16, 0
	v_mov_b32_e32 v15, 0
	v_mov_b32_e32 v10, 0
.LBB177_4:
	s_load_dwordx2 s[0:1], s[4:5], 0x48
	s_load_dword s9, s[4:5], 0x40
	v_add_u32_e32 v4, s7, v1
	v_add_u32_e32 v0, s6, v0
	v_cmp_gt_i32_e32 vcc, s10, v4
	s_waitcnt lgkmcnt(0)
	s_mul_i32 s1, s1, s8
	v_mad_i64_i32 v[1:2], s[12:13], v4, s9, 0
	s_mul_hi_u32 s4, s0, s8
	s_mul_i32 s0, s0, s8
	s_add_i32 s1, s4, s1
	s_lshl_b64 s[0:1], s[0:1], 3
	s_add_u32 s4, s2, s0
	v_lshlrev_b64 v[1:2], 3, v[1:2]
	s_addc_u32 s5, s3, s1
	v_mov_b32_e32 v3, s5
	v_add_co_u32_e64 v5, s[0:1], s4, v1
	v_addc_co_u32_e64 v6, s[0:1], v3, v2, s[0:1]
	v_cmp_le_i32_e64 s[0:1], v0, v4
	s_and_b64 s[0:1], vcc, s[0:1]
	s_and_saveexec_b64 s[2:3], s[0:1]
	s_cbranch_execz .LBB177_6
; %bb.5:
	v_ashrrev_i32_e32 v1, 31, v0
	v_lshlrev_b64 v[7:8], 3, v[0:1]
	v_xor_b32_e32 v2, 0x80000000, v20
	v_add_co_u32_e64 v7, s[0:1], v5, v7
	v_xor_b32_e32 v3, 0x80000000, v21
	v_addc_co_u32_e64 v8, s[0:1], v6, v8, s[0:1]
	global_store_dwordx2 v[7:8], v[2:3], off
.LBB177_6:
	s_or_b64 exec, exec, s[2:3]
	v_add_u32_e32 v2, 16, v0
	v_cmp_le_i32_e64 s[0:1], v2, v4
	s_and_b64 s[2:3], vcc, s[0:1]
	s_and_saveexec_b64 s[0:1], s[2:3]
	s_cbranch_execz .LBB177_8
; %bb.7:
	v_ashrrev_i32_e32 v3, 31, v2
	v_lshlrev_b64 v[11:12], 3, v[2:3]
	v_xor_b32_e32 v7, 0x80000000, v19
	v_add_co_u32_e32 v5, vcc, v5, v11
	v_xor_b32_e32 v8, 0x80000000, v18
	v_addc_co_u32_e32 v6, vcc, v6, v12, vcc
	global_store_dwordx2 v[5:6], v[7:8], off
.LBB177_8:
	s_or_b64 exec, exec, s[0:1]
	v_add_u32_e32 v3, 16, v4
	v_mad_i64_i32 v[4:5], s[0:1], v3, s9, 0
	v_mov_b32_e32 v1, s5
	v_cmp_gt_i32_e32 vcc, s10, v3
	v_lshlrev_b64 v[4:5], 3, v[4:5]
	v_add_co_u32_e64 v4, s[0:1], s4, v4
	v_addc_co_u32_e64 v5, s[0:1], v1, v5, s[0:1]
	v_cmp_le_i32_e64 s[0:1], v0, v3
	s_and_b64 s[0:1], vcc, s[0:1]
	s_and_saveexec_b64 s[2:3], s[0:1]
	s_cbranch_execz .LBB177_10
; %bb.9:
	v_ashrrev_i32_e32 v1, 31, v0
	v_lshlrev_b64 v[0:1], 3, v[0:1]
	v_xor_b32_e32 v6, 0x80000000, v17
	v_add_co_u32_e64 v0, s[0:1], v4, v0
	v_xor_b32_e32 v7, 0x80000000, v16
	v_addc_co_u32_e64 v1, s[0:1], v5, v1, s[0:1]
	global_store_dwordx2 v[0:1], v[6:7], off
.LBB177_10:
	s_or_b64 exec, exec, s[2:3]
	v_cmp_le_i32_e64 s[0:1], v2, v3
	s_and_b64 s[0:1], vcc, s[0:1]
	s_and_saveexec_b64 s[2:3], s[0:1]
	s_cbranch_execz .LBB177_12
; %bb.11:
	v_ashrrev_i32_e32 v3, 31, v2
	v_lshlrev_b64 v[2:3], 3, v[2:3]
	v_xor_b32_e32 v0, 0x80000000, v15
	v_add_co_u32_e32 v2, vcc, v4, v2
	v_xor_b32_e32 v1, 0x80000000, v10
	v_addc_co_u32_e32 v3, vcc, v5, v3, vcc
	global_store_dwordx2 v[2:3], v[0:1], off
.LBB177_12:
	s_endpgm
	.section	.rodata,"a",@progbits
	.p2align	6, 0x0
	.amdhsa_kernel _ZL37rocblas_syrkx_herkx_restricted_kernelIi19rocblas_complex_numIfELi16ELi32ELi8ELin1ELi0ELb0ELc84ELc85EKS1_S1_EviT_PT9_S3_lS5_S3_lPT10_S3_li
		.amdhsa_group_segment_fixed_size 4096
		.amdhsa_private_segment_fixed_size 0
		.amdhsa_kernarg_size 84
		.amdhsa_user_sgpr_count 6
		.amdhsa_user_sgpr_private_segment_buffer 1
		.amdhsa_user_sgpr_dispatch_ptr 0
		.amdhsa_user_sgpr_queue_ptr 0
		.amdhsa_user_sgpr_kernarg_segment_ptr 1
		.amdhsa_user_sgpr_dispatch_id 0
		.amdhsa_user_sgpr_flat_scratch_init 0
		.amdhsa_user_sgpr_private_segment_size 0
		.amdhsa_uses_dynamic_stack 0
		.amdhsa_system_sgpr_private_segment_wavefront_offset 0
		.amdhsa_system_sgpr_workgroup_id_x 1
		.amdhsa_system_sgpr_workgroup_id_y 1
		.amdhsa_system_sgpr_workgroup_id_z 1
		.amdhsa_system_sgpr_workgroup_info 0
		.amdhsa_system_vgpr_workitem_id 1
		.amdhsa_next_free_vgpr 41
		.amdhsa_next_free_sgpr 22
		.amdhsa_reserve_vcc 1
		.amdhsa_reserve_flat_scratch 0
		.amdhsa_float_round_mode_32 0
		.amdhsa_float_round_mode_16_64 0
		.amdhsa_float_denorm_mode_32 3
		.amdhsa_float_denorm_mode_16_64 3
		.amdhsa_dx10_clamp 1
		.amdhsa_ieee_mode 1
		.amdhsa_fp16_overflow 0
		.amdhsa_exception_fp_ieee_invalid_op 0
		.amdhsa_exception_fp_denorm_src 0
		.amdhsa_exception_fp_ieee_div_zero 0
		.amdhsa_exception_fp_ieee_overflow 0
		.amdhsa_exception_fp_ieee_underflow 0
		.amdhsa_exception_fp_ieee_inexact 0
		.amdhsa_exception_int_div_zero 0
	.end_amdhsa_kernel
	.section	.text._ZL37rocblas_syrkx_herkx_restricted_kernelIi19rocblas_complex_numIfELi16ELi32ELi8ELin1ELi0ELb0ELc84ELc85EKS1_S1_EviT_PT9_S3_lS5_S3_lPT10_S3_li,"axG",@progbits,_ZL37rocblas_syrkx_herkx_restricted_kernelIi19rocblas_complex_numIfELi16ELi32ELi8ELin1ELi0ELb0ELc84ELc85EKS1_S1_EviT_PT9_S3_lS5_S3_lPT10_S3_li,comdat
.Lfunc_end177:
	.size	_ZL37rocblas_syrkx_herkx_restricted_kernelIi19rocblas_complex_numIfELi16ELi32ELi8ELin1ELi0ELb0ELc84ELc85EKS1_S1_EviT_PT9_S3_lS5_S3_lPT10_S3_li, .Lfunc_end177-_ZL37rocblas_syrkx_herkx_restricted_kernelIi19rocblas_complex_numIfELi16ELi32ELi8ELin1ELi0ELb0ELc84ELc85EKS1_S1_EviT_PT9_S3_lS5_S3_lPT10_S3_li
                                        ; -- End function
	.set _ZL37rocblas_syrkx_herkx_restricted_kernelIi19rocblas_complex_numIfELi16ELi32ELi8ELin1ELi0ELb0ELc84ELc85EKS1_S1_EviT_PT9_S3_lS5_S3_lPT10_S3_li.num_vgpr, 41
	.set _ZL37rocblas_syrkx_herkx_restricted_kernelIi19rocblas_complex_numIfELi16ELi32ELi8ELin1ELi0ELb0ELc84ELc85EKS1_S1_EviT_PT9_S3_lS5_S3_lPT10_S3_li.num_agpr, 0
	.set _ZL37rocblas_syrkx_herkx_restricted_kernelIi19rocblas_complex_numIfELi16ELi32ELi8ELin1ELi0ELb0ELc84ELc85EKS1_S1_EviT_PT9_S3_lS5_S3_lPT10_S3_li.numbered_sgpr, 22
	.set _ZL37rocblas_syrkx_herkx_restricted_kernelIi19rocblas_complex_numIfELi16ELi32ELi8ELin1ELi0ELb0ELc84ELc85EKS1_S1_EviT_PT9_S3_lS5_S3_lPT10_S3_li.num_named_barrier, 0
	.set _ZL37rocblas_syrkx_herkx_restricted_kernelIi19rocblas_complex_numIfELi16ELi32ELi8ELin1ELi0ELb0ELc84ELc85EKS1_S1_EviT_PT9_S3_lS5_S3_lPT10_S3_li.private_seg_size, 0
	.set _ZL37rocblas_syrkx_herkx_restricted_kernelIi19rocblas_complex_numIfELi16ELi32ELi8ELin1ELi0ELb0ELc84ELc85EKS1_S1_EviT_PT9_S3_lS5_S3_lPT10_S3_li.uses_vcc, 1
	.set _ZL37rocblas_syrkx_herkx_restricted_kernelIi19rocblas_complex_numIfELi16ELi32ELi8ELin1ELi0ELb0ELc84ELc85EKS1_S1_EviT_PT9_S3_lS5_S3_lPT10_S3_li.uses_flat_scratch, 0
	.set _ZL37rocblas_syrkx_herkx_restricted_kernelIi19rocblas_complex_numIfELi16ELi32ELi8ELin1ELi0ELb0ELc84ELc85EKS1_S1_EviT_PT9_S3_lS5_S3_lPT10_S3_li.has_dyn_sized_stack, 0
	.set _ZL37rocblas_syrkx_herkx_restricted_kernelIi19rocblas_complex_numIfELi16ELi32ELi8ELin1ELi0ELb0ELc84ELc85EKS1_S1_EviT_PT9_S3_lS5_S3_lPT10_S3_li.has_recursion, 0
	.set _ZL37rocblas_syrkx_herkx_restricted_kernelIi19rocblas_complex_numIfELi16ELi32ELi8ELin1ELi0ELb0ELc84ELc85EKS1_S1_EviT_PT9_S3_lS5_S3_lPT10_S3_li.has_indirect_call, 0
	.section	.AMDGPU.csdata,"",@progbits
; Kernel info:
; codeLenInByte = 1944
; TotalNumSgprs: 26
; NumVgprs: 41
; ScratchSize: 0
; MemoryBound: 0
; FloatMode: 240
; IeeeMode: 1
; LDSByteSize: 4096 bytes/workgroup (compile time only)
; SGPRBlocks: 3
; VGPRBlocks: 10
; NumSGPRsForWavesPerEU: 26
; NumVGPRsForWavesPerEU: 41
; Occupancy: 5
; WaveLimiterHint : 0
; COMPUTE_PGM_RSRC2:SCRATCH_EN: 0
; COMPUTE_PGM_RSRC2:USER_SGPR: 6
; COMPUTE_PGM_RSRC2:TRAP_HANDLER: 0
; COMPUTE_PGM_RSRC2:TGID_X_EN: 1
; COMPUTE_PGM_RSRC2:TGID_Y_EN: 1
; COMPUTE_PGM_RSRC2:TGID_Z_EN: 1
; COMPUTE_PGM_RSRC2:TIDIG_COMP_CNT: 1
	.section	.text._ZL37rocblas_syrkx_herkx_restricted_kernelIi19rocblas_complex_numIfELi16ELi32ELi8ELin1ELi0ELb0ELc67ELc85EKS1_S1_EviT_PT9_S3_lS5_S3_lPT10_S3_li,"axG",@progbits,_ZL37rocblas_syrkx_herkx_restricted_kernelIi19rocblas_complex_numIfELi16ELi32ELi8ELin1ELi0ELb0ELc67ELc85EKS1_S1_EviT_PT9_S3_lS5_S3_lPT10_S3_li,comdat
	.globl	_ZL37rocblas_syrkx_herkx_restricted_kernelIi19rocblas_complex_numIfELi16ELi32ELi8ELin1ELi0ELb0ELc67ELc85EKS1_S1_EviT_PT9_S3_lS5_S3_lPT10_S3_li ; -- Begin function _ZL37rocblas_syrkx_herkx_restricted_kernelIi19rocblas_complex_numIfELi16ELi32ELi8ELin1ELi0ELb0ELc67ELc85EKS1_S1_EviT_PT9_S3_lS5_S3_lPT10_S3_li
	.p2align	8
	.type	_ZL37rocblas_syrkx_herkx_restricted_kernelIi19rocblas_complex_numIfELi16ELi32ELi8ELin1ELi0ELb0ELc67ELc85EKS1_S1_EviT_PT9_S3_lS5_S3_lPT10_S3_li,@function
_ZL37rocblas_syrkx_herkx_restricted_kernelIi19rocblas_complex_numIfELi16ELi32ELi8ELin1ELi0ELb0ELc67ELc85EKS1_S1_EviT_PT9_S3_lS5_S3_lPT10_S3_li: ; @_ZL37rocblas_syrkx_herkx_restricted_kernelIi19rocblas_complex_numIfELi16ELi32ELi8ELin1ELi0ELb0ELc67ELc85EKS1_S1_EviT_PT9_S3_lS5_S3_lPT10_S3_li
; %bb.0:
	s_load_dwordx2 s[10:11], s[4:5], 0x0
	s_load_dwordx4 s[0:3], s[4:5], 0x30
	s_lshl_b32 s6, s6, 5
	s_lshl_b32 s7, s7, 5
	s_mov_b32 s9, 0
	s_waitcnt lgkmcnt(0)
	s_cmp_lt_i32 s11, 1
	s_cbranch_scc1 .LBB178_3
; %bb.1:
	v_lshl_add_u32 v4, v1, 4, v0
	v_and_b32_e32 v7, 31, v4
	s_load_dwordx2 s[16:17], s[4:5], 0x8
	s_load_dword s20, s[4:5], 0x10
	s_load_dwordx4 s[12:15], s[4:5], 0x18
	s_load_dword s18, s[4:5], 0x28
	v_lshrrev_b32_e32 v6, 3, v4
	v_and_b32_e32 v9, 7, v0
	v_lshrrev_b32_e32 v4, 5, v4
	v_lshlrev_b32_e32 v8, 3, v7
	v_lshl_or_b32 v11, v4, 8, v8
	v_lshlrev_b32_e32 v8, 3, v9
	v_add_u32_e32 v2, s7, v6
	v_lshl_or_b32 v6, v6, 6, v8
	v_mov_b32_e32 v10, 0
	v_add_u32_e32 v12, 0x800, v6
	v_mov_b32_e32 v6, 0x800
	v_mov_b32_e32 v5, v10
	v_lshl_add_u32 v14, v1, 6, v6
	v_add_u32_e32 v6, s6, v7
	s_waitcnt lgkmcnt(0)
	v_mad_i64_i32 v[2:3], s[18:19], s18, v2, v[9:10]
	v_mad_i64_i32 v[4:5], s[18:19], s20, v6, v[4:5]
	s_mul_i32 s13, s13, s8
	s_mul_hi_u32 s21, s12, s8
	s_add_i32 s13, s21, s13
	s_mul_i32 s12, s12, s8
	s_lshl_b64 s[12:13], s[12:13], 3
	v_lshlrev_b64 v[4:5], 3, v[4:5]
	s_add_u32 s12, s16, s12
	s_addc_u32 s13, s17, s13
	v_add_co_u32_e32 v4, vcc, s12, v4
	s_mul_i32 s1, s1, s8
	s_mul_hi_u32 s12, s0, s8
	v_mov_b32_e32 v6, s13
	s_add_i32 s1, s12, s1
	s_mul_i32 s0, s0, s8
	v_addc_co_u32_e32 v5, vcc, v6, v5, vcc
	s_lshl_b64 s[0:1], s[0:1], 3
	v_add_co_u32_e32 v6, vcc, 4, v4
	v_lshlrev_b64 v[2:3], 3, v[2:3]
	s_add_u32 s0, s14, s0
	v_addc_co_u32_e32 v7, vcc, 0, v5, vcc
	s_addc_u32 s1, s15, s1
	v_mov_b32_e32 v4, s1
	v_add_co_u32_e32 v2, vcc, s0, v2
	v_addc_co_u32_e32 v3, vcc, v4, v3, vcc
	v_add_co_u32_e32 v8, vcc, 4, v2
	v_lshlrev_b32_e32 v13, 3, v0
	v_addc_co_u32_e32 v9, vcc, 0, v3, vcc
	v_mov_b32_e32 v15, v10
	v_mov_b32_e32 v16, v10
	;; [unrolled: 1-line block ×7, first 2 shown]
.LBB178_2:                              ; =>This Inner Loop Header: Depth=1
	global_load_dwordx2 v[2:3], v[6:7], off offset:-4
	v_add_co_u32_e32 v6, vcc, 64, v6
	v_addc_co_u32_e32 v7, vcc, 0, v7, vcc
	s_add_i32 s9, s9, 8
	s_cmp_ge_i32 s9, s11
	s_waitcnt vmcnt(0)
	ds_write_b64 v11, v[2:3]
	global_load_dwordx2 v[2:3], v[8:9], off offset:-4
	v_add_co_u32_e32 v8, vcc, 64, v8
	v_addc_co_u32_e32 v9, vcc, 0, v9, vcc
	s_waitcnt vmcnt(0)
	ds_write_b64 v12, v[2:3]
	s_waitcnt lgkmcnt(0)
	s_barrier
	ds_read_b128 v[22:25], v14
	ds_read_b128 v[26:29], v14 offset:16
	ds_read_b128 v[30:33], v14 offset:32
	;; [unrolled: 1-line block ×3, first 2 shown]
	ds_read2_b64 v[34:37], v13 offset1:16
	s_waitcnt lgkmcnt(0)
	v_mul_f32_e32 v38, v23, v35
	v_mul_f32_e32 v39, v22, v35
	v_fma_f32 v38, v22, v34, -v38
	v_fmac_f32_e32 v39, v23, v34
	v_add_f32_e32 v38, v20, v38
	v_add_f32_e32 v39, v21, v39
	v_mul_f32_e32 v20, v23, v37
	v_mul_f32_e32 v21, v22, v37
	v_fma_f32 v20, v22, v36, -v20
	v_fmac_f32_e32 v21, v23, v36
	v_add_f32_e32 v22, v19, v20
	v_add_f32_e32 v23, v18, v21
	ds_read_b128 v[18:21], v14 offset:1024
	s_waitcnt lgkmcnt(0)
	v_mul_f32_e32 v40, v19, v35
	v_mul_f32_e32 v35, v18, v35
	v_fma_f32 v40, v18, v34, -v40
	v_fmac_f32_e32 v35, v19, v34
	v_add_f32_e32 v34, v17, v40
	v_add_f32_e32 v35, v16, v35
	v_mul_f32_e32 v16, v19, v37
	v_mul_f32_e32 v17, v18, v37
	v_fma_f32 v16, v18, v36, -v16
	v_fmac_f32_e32 v17, v19, v36
	v_add_f32_e32 v19, v15, v16
	v_add_f32_e32 v10, v10, v17
	ds_read2_b64 v[15:18], v13 offset0:32 offset1:48
	s_waitcnt lgkmcnt(0)
	v_mul_f32_e32 v36, v25, v16
	v_fma_f32 v36, v24, v15, -v36
	v_add_f32_e32 v36, v38, v36
	v_mul_f32_e32 v38, v25, v18
	v_mul_f32_e32 v37, v24, v16
	v_fma_f32 v38, v24, v17, -v38
	v_mul_f32_e32 v24, v24, v18
	v_fmac_f32_e32 v24, v25, v17
	v_add_f32_e32 v23, v23, v24
	v_mul_f32_e32 v24, v21, v16
	v_mul_f32_e32 v16, v20, v16
	v_fmac_f32_e32 v16, v21, v15
	v_fmac_f32_e32 v37, v25, v15
	v_fma_f32 v24, v20, v15, -v24
	v_add_f32_e32 v25, v35, v16
	v_mul_f32_e32 v15, v21, v18
	v_mul_f32_e32 v16, v20, v18
	v_fma_f32 v15, v20, v17, -v15
	v_fmac_f32_e32 v16, v21, v17
	v_add_f32_e32 v24, v34, v24
	v_add_f32_e32 v34, v19, v15
	;; [unrolled: 1-line block ×3, first 2 shown]
	ds_read2_b64 v[15:18], v13 offset0:64 offset1:80
	v_add_f32_e32 v37, v39, v37
	v_add_f32_e32 v22, v22, v38
	s_waitcnt lgkmcnt(0)
	v_mul_f32_e32 v19, v27, v16
	v_mul_f32_e32 v20, v26, v16
	v_fma_f32 v19, v26, v15, -v19
	v_fmac_f32_e32 v20, v27, v15
	v_add_f32_e32 v35, v36, v19
	v_add_f32_e32 v36, v37, v20
	v_mul_f32_e32 v19, v27, v18
	v_mul_f32_e32 v20, v26, v18
	v_fma_f32 v19, v26, v17, -v19
	v_fmac_f32_e32 v20, v27, v17
	v_add_f32_e32 v26, v22, v19
	v_add_f32_e32 v23, v23, v20
	ds_read_b128 v[19:22], v14 offset:1040
	s_waitcnt lgkmcnt(0)
	v_mul_f32_e32 v27, v20, v16
	v_mul_f32_e32 v16, v19, v16
	v_fmac_f32_e32 v16, v20, v15
	v_fma_f32 v27, v19, v15, -v27
	v_add_f32_e32 v25, v25, v16
	v_mul_f32_e32 v15, v20, v18
	v_mul_f32_e32 v16, v19, v18
	v_fma_f32 v15, v19, v17, -v15
	v_fmac_f32_e32 v16, v20, v17
	v_add_f32_e32 v19, v34, v15
	v_add_f32_e32 v10, v10, v16
	ds_read2_b64 v[15:18], v13 offset0:96 offset1:112
	v_add_f32_e32 v24, v24, v27
	s_waitcnt lgkmcnt(0)
	v_mul_f32_e32 v20, v29, v16
	v_mul_f32_e32 v34, v29, v18
	v_fma_f32 v20, v28, v15, -v20
	v_mul_f32_e32 v27, v28, v16
	v_fma_f32 v34, v28, v17, -v34
	v_mul_f32_e32 v28, v28, v18
	v_fmac_f32_e32 v28, v29, v17
	v_add_f32_e32 v23, v23, v28
	v_mul_f32_e32 v28, v22, v16
	v_mul_f32_e32 v16, v21, v16
	v_fmac_f32_e32 v16, v22, v15
	v_fmac_f32_e32 v27, v29, v15
	v_fma_f32 v28, v21, v15, -v28
	v_add_f32_e32 v25, v25, v16
	v_mul_f32_e32 v15, v22, v18
	v_mul_f32_e32 v16, v21, v18
	v_fma_f32 v15, v21, v17, -v15
	v_fmac_f32_e32 v16, v22, v17
	v_add_f32_e32 v24, v24, v28
	v_add_f32_e32 v28, v19, v15
	;; [unrolled: 1-line block ×3, first 2 shown]
	ds_read2_b64 v[15:18], v13 offset0:128 offset1:144
	v_add_f32_e32 v20, v35, v20
	v_add_f32_e32 v27, v36, v27
	;; [unrolled: 1-line block ×3, first 2 shown]
	s_waitcnt lgkmcnt(0)
	v_mul_f32_e32 v19, v31, v16
	v_fma_f32 v19, v30, v15, -v19
	v_mul_f32_e32 v21, v30, v16
	v_add_f32_e32 v29, v20, v19
	v_mul_f32_e32 v19, v31, v18
	v_mul_f32_e32 v20, v30, v18
	v_fmac_f32_e32 v21, v31, v15
	v_fma_f32 v19, v30, v17, -v19
	v_fmac_f32_e32 v20, v31, v17
	v_add_f32_e32 v27, v27, v21
	v_add_f32_e32 v26, v26, v19
	v_add_f32_e32 v23, v23, v20
	ds_read_b128 v[19:22], v14 offset:1056
	s_waitcnt lgkmcnt(0)
	v_mul_f32_e32 v30, v20, v16
	v_mul_f32_e32 v16, v19, v16
	v_fmac_f32_e32 v16, v20, v15
	v_fma_f32 v30, v19, v15, -v30
	v_add_f32_e32 v25, v25, v16
	v_mul_f32_e32 v15, v20, v18
	v_mul_f32_e32 v16, v19, v18
	v_fma_f32 v15, v19, v17, -v15
	v_fmac_f32_e32 v16, v20, v17
	v_add_f32_e32 v19, v28, v15
	v_add_f32_e32 v10, v10, v16
	ds_read2_b64 v[15:18], v13 offset0:160 offset1:176
	v_add_f32_e32 v24, v24, v30
	s_waitcnt lgkmcnt(0)
	v_mul_f32_e32 v28, v32, v16
	v_fmac_f32_e32 v28, v33, v15
	v_add_f32_e32 v27, v27, v28
	v_mul_f32_e32 v28, v33, v18
	v_fma_f32 v28, v32, v17, -v28
	v_mul_f32_e32 v20, v33, v16
	v_add_f32_e32 v26, v26, v28
	v_mul_f32_e32 v28, v22, v16
	v_mul_f32_e32 v16, v21, v16
	v_fmac_f32_e32 v16, v22, v15
	v_fma_f32 v20, v32, v15, -v20
	v_fma_f32 v28, v21, v15, -v28
	v_add_f32_e32 v25, v25, v16
	v_mul_f32_e32 v15, v22, v18
	v_mul_f32_e32 v16, v21, v18
	v_add_f32_e32 v20, v29, v20
	v_mul_f32_e32 v29, v32, v18
	v_fma_f32 v15, v21, v17, -v15
	v_fmac_f32_e32 v16, v22, v17
	v_fmac_f32_e32 v29, v33, v17
	v_add_f32_e32 v19, v19, v15
	v_add_f32_e32 v10, v10, v16
	ds_read2_b64 v[15:18], v13 offset0:192 offset1:208
	v_add_f32_e32 v24, v24, v28
	v_add_f32_e32 v23, v23, v29
	s_waitcnt lgkmcnt(0)
	v_mul_f32_e32 v21, v3, v16
	v_fma_f32 v21, v2, v15, -v21
	v_add_f32_e32 v28, v20, v21
	v_mul_f32_e32 v20, v3, v18
	v_mul_f32_e32 v22, v2, v16
	v_fma_f32 v20, v2, v17, -v20
	v_mul_f32_e32 v2, v2, v18
	v_fmac_f32_e32 v22, v3, v15
	v_fmac_f32_e32 v2, v3, v17
	v_add_f32_e32 v29, v27, v22
	v_add_f32_e32 v3, v26, v20
	;; [unrolled: 1-line block ×3, first 2 shown]
	ds_read_b128 v[20:23], v14 offset:1072
	s_waitcnt lgkmcnt(0)
	v_mul_f32_e32 v26, v21, v16
	v_fma_f32 v26, v20, v15, -v26
	v_mul_f32_e32 v16, v20, v16
	v_fmac_f32_e32 v16, v21, v15
	v_add_f32_e32 v15, v24, v26
	v_mul_f32_e32 v24, v21, v18
	v_fma_f32 v24, v20, v17, -v24
	v_add_f32_e32 v16, v25, v16
	v_add_f32_e32 v30, v19, v24
	ds_read2_b64 v[24:27], v13 offset0:224 offset1:240
	v_mul_f32_e32 v18, v20, v18
	v_fmac_f32_e32 v18, v21, v17
	v_add_f32_e32 v10, v10, v18
	s_waitcnt lgkmcnt(0)
	v_mul_f32_e32 v17, v5, v25
	v_fma_f32 v17, v4, v24, -v17
	v_add_f32_e32 v20, v28, v17
	v_mul_f32_e32 v17, v5, v27
	v_mul_f32_e32 v18, v4, v25
	v_fma_f32 v17, v4, v26, -v17
	v_mul_f32_e32 v4, v4, v27
	v_fmac_f32_e32 v18, v5, v24
	v_fmac_f32_e32 v4, v5, v26
	v_add_f32_e32 v21, v29, v18
	v_add_f32_e32 v19, v3, v17
	;; [unrolled: 1-line block ×3, first 2 shown]
	v_mul_f32_e32 v2, v23, v25
	v_mul_f32_e32 v3, v22, v25
	v_fma_f32 v2, v22, v24, -v2
	v_fmac_f32_e32 v3, v23, v24
	v_add_f32_e32 v17, v15, v2
	v_add_f32_e32 v16, v16, v3
	v_mul_f32_e32 v2, v23, v27
	v_mul_f32_e32 v3, v22, v27
	v_fma_f32 v2, v22, v26, -v2
	v_fmac_f32_e32 v3, v23, v26
	v_add_f32_e32 v15, v30, v2
	v_add_f32_e32 v10, v10, v3
	s_barrier
	s_cbranch_scc0 .LBB178_2
	s_branch .LBB178_4
.LBB178_3:
	v_mov_b32_e32 v20, 0
	v_mov_b32_e32 v21, 0
	;; [unrolled: 1-line block ×8, first 2 shown]
.LBB178_4:
	s_load_dwordx2 s[0:1], s[4:5], 0x48
	s_load_dword s9, s[4:5], 0x40
	v_add_u32_e32 v4, s7, v1
	v_add_u32_e32 v0, s6, v0
	v_cmp_gt_i32_e32 vcc, s10, v4
	s_waitcnt lgkmcnt(0)
	s_mul_i32 s1, s1, s8
	v_mad_i64_i32 v[1:2], s[12:13], v4, s9, 0
	s_mul_hi_u32 s4, s0, s8
	s_mul_i32 s0, s0, s8
	s_add_i32 s1, s4, s1
	s_lshl_b64 s[0:1], s[0:1], 3
	s_add_u32 s4, s2, s0
	v_lshlrev_b64 v[1:2], 3, v[1:2]
	s_addc_u32 s5, s3, s1
	v_mov_b32_e32 v3, s5
	v_add_co_u32_e64 v5, s[0:1], s4, v1
	v_addc_co_u32_e64 v6, s[0:1], v3, v2, s[0:1]
	v_cmp_le_i32_e64 s[0:1], v0, v4
	s_and_b64 s[0:1], vcc, s[0:1]
	s_and_saveexec_b64 s[2:3], s[0:1]
	s_cbranch_execz .LBB178_6
; %bb.5:
	v_ashrrev_i32_e32 v1, 31, v0
	v_lshlrev_b64 v[7:8], 3, v[0:1]
	v_xor_b32_e32 v2, 0x80000000, v20
	v_add_co_u32_e64 v7, s[0:1], v5, v7
	v_xor_b32_e32 v3, 0x80000000, v21
	v_addc_co_u32_e64 v8, s[0:1], v6, v8, s[0:1]
	global_store_dwordx2 v[7:8], v[2:3], off
.LBB178_6:
	s_or_b64 exec, exec, s[2:3]
	v_add_u32_e32 v2, 16, v0
	v_cmp_le_i32_e64 s[0:1], v2, v4
	s_and_b64 s[2:3], vcc, s[0:1]
	s_and_saveexec_b64 s[0:1], s[2:3]
	s_cbranch_execz .LBB178_8
; %bb.7:
	v_ashrrev_i32_e32 v3, 31, v2
	v_lshlrev_b64 v[11:12], 3, v[2:3]
	v_xor_b32_e32 v7, 0x80000000, v19
	v_add_co_u32_e32 v5, vcc, v5, v11
	v_xor_b32_e32 v8, 0x80000000, v18
	v_addc_co_u32_e32 v6, vcc, v6, v12, vcc
	global_store_dwordx2 v[5:6], v[7:8], off
.LBB178_8:
	s_or_b64 exec, exec, s[0:1]
	v_add_u32_e32 v3, 16, v4
	v_mad_i64_i32 v[4:5], s[0:1], v3, s9, 0
	v_mov_b32_e32 v1, s5
	v_cmp_gt_i32_e32 vcc, s10, v3
	v_lshlrev_b64 v[4:5], 3, v[4:5]
	v_add_co_u32_e64 v4, s[0:1], s4, v4
	v_addc_co_u32_e64 v5, s[0:1], v1, v5, s[0:1]
	v_cmp_le_i32_e64 s[0:1], v0, v3
	s_and_b64 s[0:1], vcc, s[0:1]
	s_and_saveexec_b64 s[2:3], s[0:1]
	s_cbranch_execz .LBB178_10
; %bb.9:
	v_ashrrev_i32_e32 v1, 31, v0
	v_lshlrev_b64 v[0:1], 3, v[0:1]
	v_xor_b32_e32 v6, 0x80000000, v17
	v_add_co_u32_e64 v0, s[0:1], v4, v0
	v_xor_b32_e32 v7, 0x80000000, v16
	v_addc_co_u32_e64 v1, s[0:1], v5, v1, s[0:1]
	global_store_dwordx2 v[0:1], v[6:7], off
.LBB178_10:
	s_or_b64 exec, exec, s[2:3]
	v_cmp_le_i32_e64 s[0:1], v2, v3
	s_and_b64 s[0:1], vcc, s[0:1]
	s_and_saveexec_b64 s[2:3], s[0:1]
	s_cbranch_execz .LBB178_12
; %bb.11:
	v_ashrrev_i32_e32 v3, 31, v2
	v_lshlrev_b64 v[2:3], 3, v[2:3]
	v_xor_b32_e32 v0, 0x80000000, v15
	v_add_co_u32_e32 v2, vcc, v4, v2
	v_xor_b32_e32 v1, 0x80000000, v10
	v_addc_co_u32_e32 v3, vcc, v5, v3, vcc
	global_store_dwordx2 v[2:3], v[0:1], off
.LBB178_12:
	s_endpgm
	.section	.rodata,"a",@progbits
	.p2align	6, 0x0
	.amdhsa_kernel _ZL37rocblas_syrkx_herkx_restricted_kernelIi19rocblas_complex_numIfELi16ELi32ELi8ELin1ELi0ELb0ELc67ELc85EKS1_S1_EviT_PT9_S3_lS5_S3_lPT10_S3_li
		.amdhsa_group_segment_fixed_size 4096
		.amdhsa_private_segment_fixed_size 0
		.amdhsa_kernarg_size 84
		.amdhsa_user_sgpr_count 6
		.amdhsa_user_sgpr_private_segment_buffer 1
		.amdhsa_user_sgpr_dispatch_ptr 0
		.amdhsa_user_sgpr_queue_ptr 0
		.amdhsa_user_sgpr_kernarg_segment_ptr 1
		.amdhsa_user_sgpr_dispatch_id 0
		.amdhsa_user_sgpr_flat_scratch_init 0
		.amdhsa_user_sgpr_private_segment_size 0
		.amdhsa_uses_dynamic_stack 0
		.amdhsa_system_sgpr_private_segment_wavefront_offset 0
		.amdhsa_system_sgpr_workgroup_id_x 1
		.amdhsa_system_sgpr_workgroup_id_y 1
		.amdhsa_system_sgpr_workgroup_id_z 1
		.amdhsa_system_sgpr_workgroup_info 0
		.amdhsa_system_vgpr_workitem_id 1
		.amdhsa_next_free_vgpr 41
		.amdhsa_next_free_sgpr 22
		.amdhsa_reserve_vcc 1
		.amdhsa_reserve_flat_scratch 0
		.amdhsa_float_round_mode_32 0
		.amdhsa_float_round_mode_16_64 0
		.amdhsa_float_denorm_mode_32 3
		.amdhsa_float_denorm_mode_16_64 3
		.amdhsa_dx10_clamp 1
		.amdhsa_ieee_mode 1
		.amdhsa_fp16_overflow 0
		.amdhsa_exception_fp_ieee_invalid_op 0
		.amdhsa_exception_fp_denorm_src 0
		.amdhsa_exception_fp_ieee_div_zero 0
		.amdhsa_exception_fp_ieee_overflow 0
		.amdhsa_exception_fp_ieee_underflow 0
		.amdhsa_exception_fp_ieee_inexact 0
		.amdhsa_exception_int_div_zero 0
	.end_amdhsa_kernel
	.section	.text._ZL37rocblas_syrkx_herkx_restricted_kernelIi19rocblas_complex_numIfELi16ELi32ELi8ELin1ELi0ELb0ELc67ELc85EKS1_S1_EviT_PT9_S3_lS5_S3_lPT10_S3_li,"axG",@progbits,_ZL37rocblas_syrkx_herkx_restricted_kernelIi19rocblas_complex_numIfELi16ELi32ELi8ELin1ELi0ELb0ELc67ELc85EKS1_S1_EviT_PT9_S3_lS5_S3_lPT10_S3_li,comdat
.Lfunc_end178:
	.size	_ZL37rocblas_syrkx_herkx_restricted_kernelIi19rocblas_complex_numIfELi16ELi32ELi8ELin1ELi0ELb0ELc67ELc85EKS1_S1_EviT_PT9_S3_lS5_S3_lPT10_S3_li, .Lfunc_end178-_ZL37rocblas_syrkx_herkx_restricted_kernelIi19rocblas_complex_numIfELi16ELi32ELi8ELin1ELi0ELb0ELc67ELc85EKS1_S1_EviT_PT9_S3_lS5_S3_lPT10_S3_li
                                        ; -- End function
	.set _ZL37rocblas_syrkx_herkx_restricted_kernelIi19rocblas_complex_numIfELi16ELi32ELi8ELin1ELi0ELb0ELc67ELc85EKS1_S1_EviT_PT9_S3_lS5_S3_lPT10_S3_li.num_vgpr, 41
	.set _ZL37rocblas_syrkx_herkx_restricted_kernelIi19rocblas_complex_numIfELi16ELi32ELi8ELin1ELi0ELb0ELc67ELc85EKS1_S1_EviT_PT9_S3_lS5_S3_lPT10_S3_li.num_agpr, 0
	.set _ZL37rocblas_syrkx_herkx_restricted_kernelIi19rocblas_complex_numIfELi16ELi32ELi8ELin1ELi0ELb0ELc67ELc85EKS1_S1_EviT_PT9_S3_lS5_S3_lPT10_S3_li.numbered_sgpr, 22
	.set _ZL37rocblas_syrkx_herkx_restricted_kernelIi19rocblas_complex_numIfELi16ELi32ELi8ELin1ELi0ELb0ELc67ELc85EKS1_S1_EviT_PT9_S3_lS5_S3_lPT10_S3_li.num_named_barrier, 0
	.set _ZL37rocblas_syrkx_herkx_restricted_kernelIi19rocblas_complex_numIfELi16ELi32ELi8ELin1ELi0ELb0ELc67ELc85EKS1_S1_EviT_PT9_S3_lS5_S3_lPT10_S3_li.private_seg_size, 0
	.set _ZL37rocblas_syrkx_herkx_restricted_kernelIi19rocblas_complex_numIfELi16ELi32ELi8ELin1ELi0ELb0ELc67ELc85EKS1_S1_EviT_PT9_S3_lS5_S3_lPT10_S3_li.uses_vcc, 1
	.set _ZL37rocblas_syrkx_herkx_restricted_kernelIi19rocblas_complex_numIfELi16ELi32ELi8ELin1ELi0ELb0ELc67ELc85EKS1_S1_EviT_PT9_S3_lS5_S3_lPT10_S3_li.uses_flat_scratch, 0
	.set _ZL37rocblas_syrkx_herkx_restricted_kernelIi19rocblas_complex_numIfELi16ELi32ELi8ELin1ELi0ELb0ELc67ELc85EKS1_S1_EviT_PT9_S3_lS5_S3_lPT10_S3_li.has_dyn_sized_stack, 0
	.set _ZL37rocblas_syrkx_herkx_restricted_kernelIi19rocblas_complex_numIfELi16ELi32ELi8ELin1ELi0ELb0ELc67ELc85EKS1_S1_EviT_PT9_S3_lS5_S3_lPT10_S3_li.has_recursion, 0
	.set _ZL37rocblas_syrkx_herkx_restricted_kernelIi19rocblas_complex_numIfELi16ELi32ELi8ELin1ELi0ELb0ELc67ELc85EKS1_S1_EviT_PT9_S3_lS5_S3_lPT10_S3_li.has_indirect_call, 0
	.section	.AMDGPU.csdata,"",@progbits
; Kernel info:
; codeLenInByte = 1944
; TotalNumSgprs: 26
; NumVgprs: 41
; ScratchSize: 0
; MemoryBound: 0
; FloatMode: 240
; IeeeMode: 1
; LDSByteSize: 4096 bytes/workgroup (compile time only)
; SGPRBlocks: 3
; VGPRBlocks: 10
; NumSGPRsForWavesPerEU: 26
; NumVGPRsForWavesPerEU: 41
; Occupancy: 5
; WaveLimiterHint : 0
; COMPUTE_PGM_RSRC2:SCRATCH_EN: 0
; COMPUTE_PGM_RSRC2:USER_SGPR: 6
; COMPUTE_PGM_RSRC2:TRAP_HANDLER: 0
; COMPUTE_PGM_RSRC2:TGID_X_EN: 1
; COMPUTE_PGM_RSRC2:TGID_Y_EN: 1
; COMPUTE_PGM_RSRC2:TGID_Z_EN: 1
; COMPUTE_PGM_RSRC2:TIDIG_COMP_CNT: 1
	.section	.text._ZL37rocblas_syrkx_herkx_restricted_kernelIi19rocblas_complex_numIfELi16ELi32ELi8ELin1ELi0ELb0ELc78ELc85EKS1_S1_EviT_PT9_S3_lS5_S3_lPT10_S3_li,"axG",@progbits,_ZL37rocblas_syrkx_herkx_restricted_kernelIi19rocblas_complex_numIfELi16ELi32ELi8ELin1ELi0ELb0ELc78ELc85EKS1_S1_EviT_PT9_S3_lS5_S3_lPT10_S3_li,comdat
	.globl	_ZL37rocblas_syrkx_herkx_restricted_kernelIi19rocblas_complex_numIfELi16ELi32ELi8ELin1ELi0ELb0ELc78ELc85EKS1_S1_EviT_PT9_S3_lS5_S3_lPT10_S3_li ; -- Begin function _ZL37rocblas_syrkx_herkx_restricted_kernelIi19rocblas_complex_numIfELi16ELi32ELi8ELin1ELi0ELb0ELc78ELc85EKS1_S1_EviT_PT9_S3_lS5_S3_lPT10_S3_li
	.p2align	8
	.type	_ZL37rocblas_syrkx_herkx_restricted_kernelIi19rocblas_complex_numIfELi16ELi32ELi8ELin1ELi0ELb0ELc78ELc85EKS1_S1_EviT_PT9_S3_lS5_S3_lPT10_S3_li,@function
_ZL37rocblas_syrkx_herkx_restricted_kernelIi19rocblas_complex_numIfELi16ELi32ELi8ELin1ELi0ELb0ELc78ELc85EKS1_S1_EviT_PT9_S3_lS5_S3_lPT10_S3_li: ; @_ZL37rocblas_syrkx_herkx_restricted_kernelIi19rocblas_complex_numIfELi16ELi32ELi8ELin1ELi0ELb0ELc78ELc85EKS1_S1_EviT_PT9_S3_lS5_S3_lPT10_S3_li
; %bb.0:
	s_load_dwordx2 s[10:11], s[4:5], 0x0
	s_load_dwordx4 s[0:3], s[4:5], 0x30
	s_lshl_b32 s9, s6, 5
	s_lshl_b32 s16, s7, 5
	s_mov_b32 s17, 0
	s_waitcnt lgkmcnt(0)
	s_cmp_lt_i32 s11, 1
	s_cbranch_scc1 .LBB179_3
; %bb.1:
	v_lshl_add_u32 v5, v1, 4, v0
	s_load_dword s6, s[4:5], 0x10
	s_load_dword s18, s[4:5], 0x28
	s_load_dwordx2 s[20:21], s[4:5], 0x8
	s_load_dwordx4 s[12:15], s[4:5], 0x18
	v_lshrrev_b32_e32 v6, 3, v5
	v_add_u32_e32 v2, s16, v6
	v_and_b32_e32 v4, 7, v0
	v_ashrrev_i32_e32 v3, 31, v2
	s_waitcnt lgkmcnt(0)
	v_mad_i64_i32 v[2:3], s[22:23], s18, v4, v[2:3]
	v_lshlrev_b32_e32 v4, 3, v4
	v_lshl_or_b32 v4, v6, 6, v4
	v_lshrrev_b32_e32 v7, 5, v5
	v_and_b32_e32 v5, 31, v5
	v_add_u32_e32 v11, 0x800, v4
	v_mov_b32_e32 v4, 0x800
	v_lshl_add_u32 v13, v1, 6, v4
	v_add_u32_e32 v4, s9, v5
	v_lshlrev_b32_e32 v8, 3, v5
	v_ashrrev_i32_e32 v5, 31, v4
	v_mad_i64_i32 v[4:5], s[22:23], s6, v7, v[4:5]
	s_mul_i32 s13, s13, s8
	s_mul_hi_u32 s24, s12, s8
	s_add_i32 s13, s24, s13
	s_mul_i32 s12, s12, s8
	s_ashr_i32 s7, s6, 31
	s_ashr_i32 s19, s18, 31
	s_lshl_b64 s[12:13], s[12:13], 3
	v_lshlrev_b64 v[4:5], 3, v[4:5]
	s_add_u32 s12, s20, s12
	s_addc_u32 s13, s21, s13
	v_add_co_u32_e32 v4, vcc, s12, v4
	s_mul_i32 s1, s1, s8
	s_mul_hi_u32 s12, s0, s8
	v_mov_b32_e32 v6, s13
	s_add_i32 s1, s12, s1
	s_mul_i32 s0, s0, s8
	v_addc_co_u32_e32 v5, vcc, v6, v5, vcc
	s_lshl_b64 s[6:7], s[6:7], 6
	s_lshl_b64 s[0:1], s[0:1], 3
	v_add_co_u32_e32 v6, vcc, 4, v4
	v_lshlrev_b64 v[2:3], 3, v[2:3]
	s_add_u32 s0, s14, s0
	v_lshl_or_b32 v10, v7, 8, v8
	v_addc_co_u32_e32 v7, vcc, 0, v5, vcc
	s_addc_u32 s1, s15, s1
	v_mov_b32_e32 v4, s1
	v_add_co_u32_e32 v2, vcc, s0, v2
	v_addc_co_u32_e32 v3, vcc, v4, v3, vcc
	v_add_co_u32_e32 v8, vcc, 4, v2
	s_lshl_b64 s[0:1], s[18:19], 6
	v_lshlrev_b32_e32 v12, 3, v0
	v_addc_co_u32_e32 v9, vcc, 0, v3, vcc
	v_mov_b32_e32 v16, 0
	v_mov_b32_e32 v14, s7
	;; [unrolled: 1-line block ×10, first 2 shown]
.LBB179_2:                              ; =>This Inner Loop Header: Depth=1
	global_load_dwordx2 v[2:3], v[6:7], off offset:-4
	v_add_co_u32_e32 v6, vcc, s6, v6
	v_addc_co_u32_e32 v7, vcc, v7, v14, vcc
	s_add_i32 s17, s17, 8
	s_cmp_ge_i32 s17, s11
	s_waitcnt vmcnt(0)
	ds_write_b64 v10, v[2:3]
	global_load_dwordx2 v[2:3], v[8:9], off offset:-4
	v_add_co_u32_e32 v8, vcc, s0, v8
	v_addc_co_u32_e32 v9, vcc, v9, v15, vcc
	s_waitcnt vmcnt(0)
	ds_write_b64 v11, v[2:3]
	s_waitcnt lgkmcnt(0)
	s_barrier
	ds_read_b128 v[24:27], v13
	ds_read_b128 v[28:31], v13 offset:16
	ds_read_b128 v[32:35], v13 offset:32
	;; [unrolled: 1-line block ×3, first 2 shown]
	ds_read2_b64 v[36:39], v12 offset1:16
	s_waitcnt lgkmcnt(0)
	v_mul_f32_e32 v40, v25, v37
	v_mul_f32_e32 v41, v24, v37
	v_fma_f32 v40, v24, v36, -v40
	v_fmac_f32_e32 v41, v25, v36
	v_add_f32_e32 v40, v22, v40
	v_add_f32_e32 v41, v23, v41
	v_mul_f32_e32 v22, v25, v39
	v_mul_f32_e32 v23, v24, v39
	v_fma_f32 v22, v24, v38, -v22
	v_fmac_f32_e32 v23, v25, v38
	v_add_f32_e32 v24, v21, v22
	v_add_f32_e32 v25, v20, v23
	ds_read_b128 v[20:23], v13 offset:1024
	s_waitcnt lgkmcnt(0)
	v_mul_f32_e32 v42, v21, v37
	v_mul_f32_e32 v37, v20, v37
	v_fma_f32 v42, v20, v36, -v42
	v_fmac_f32_e32 v37, v21, v36
	v_add_f32_e32 v36, v19, v42
	v_add_f32_e32 v37, v18, v37
	v_mul_f32_e32 v18, v21, v39
	v_mul_f32_e32 v19, v20, v39
	v_fma_f32 v18, v20, v38, -v18
	v_fmac_f32_e32 v19, v21, v38
	v_add_f32_e32 v20, v17, v18
	v_add_f32_e32 v21, v16, v19
	ds_read2_b64 v[16:19], v12 offset0:32 offset1:48
	s_waitcnt lgkmcnt(0)
	v_mul_f32_e32 v38, v27, v17
	v_fma_f32 v38, v26, v16, -v38
	v_add_f32_e32 v38, v40, v38
	v_mul_f32_e32 v40, v27, v19
	v_mul_f32_e32 v39, v26, v17
	v_fma_f32 v40, v26, v18, -v40
	v_mul_f32_e32 v26, v26, v19
	v_fmac_f32_e32 v26, v27, v18
	v_add_f32_e32 v25, v25, v26
	v_mul_f32_e32 v26, v23, v17
	v_mul_f32_e32 v17, v22, v17
	v_fmac_f32_e32 v17, v23, v16
	v_fmac_f32_e32 v39, v27, v16
	v_fma_f32 v26, v22, v16, -v26
	v_add_f32_e32 v27, v37, v17
	v_mul_f32_e32 v16, v23, v19
	v_mul_f32_e32 v17, v22, v19
	v_fma_f32 v16, v22, v18, -v16
	v_fmac_f32_e32 v17, v23, v18
	v_add_f32_e32 v26, v36, v26
	v_add_f32_e32 v36, v20, v16
	;; [unrolled: 1-line block ×3, first 2 shown]
	ds_read2_b64 v[16:19], v12 offset0:64 offset1:80
	v_add_f32_e32 v39, v41, v39
	v_add_f32_e32 v24, v24, v40
	s_waitcnt lgkmcnt(0)
	v_mul_f32_e32 v20, v29, v17
	v_mul_f32_e32 v21, v28, v17
	v_fma_f32 v20, v28, v16, -v20
	v_fmac_f32_e32 v21, v29, v16
	v_add_f32_e32 v38, v38, v20
	v_add_f32_e32 v39, v39, v21
	v_mul_f32_e32 v20, v29, v19
	v_mul_f32_e32 v21, v28, v19
	v_fma_f32 v20, v28, v18, -v20
	v_fmac_f32_e32 v21, v29, v18
	v_add_f32_e32 v24, v24, v20
	v_add_f32_e32 v25, v25, v21
	ds_read_b128 v[20:23], v13 offset:1040
	s_waitcnt lgkmcnt(0)
	v_mul_f32_e32 v28, v21, v17
	v_mul_f32_e32 v17, v20, v17
	v_fmac_f32_e32 v17, v21, v16
	v_fma_f32 v28, v20, v16, -v28
	v_add_f32_e32 v27, v27, v17
	v_mul_f32_e32 v16, v21, v19
	v_mul_f32_e32 v17, v20, v19
	v_fma_f32 v16, v20, v18, -v16
	v_fmac_f32_e32 v17, v21, v18
	v_add_f32_e32 v20, v36, v16
	v_add_f32_e32 v21, v37, v17
	ds_read2_b64 v[16:19], v12 offset0:96 offset1:112
	v_add_f32_e32 v26, v26, v28
	s_waitcnt lgkmcnt(0)
	v_mul_f32_e32 v28, v31, v17
	v_mul_f32_e32 v36, v31, v19
	v_fma_f32 v28, v30, v16, -v28
	v_mul_f32_e32 v29, v30, v17
	v_fma_f32 v36, v30, v18, -v36
	v_mul_f32_e32 v30, v30, v19
	v_fmac_f32_e32 v30, v31, v18
	v_add_f32_e32 v25, v25, v30
	v_mul_f32_e32 v30, v23, v17
	v_mul_f32_e32 v17, v22, v17
	v_fmac_f32_e32 v17, v23, v16
	v_fmac_f32_e32 v29, v31, v16
	v_fma_f32 v30, v22, v16, -v30
	v_add_f32_e32 v27, v27, v17
	v_mul_f32_e32 v16, v23, v19
	v_mul_f32_e32 v17, v22, v19
	v_fma_f32 v16, v22, v18, -v16
	v_fmac_f32_e32 v17, v23, v18
	v_add_f32_e32 v26, v26, v30
	v_add_f32_e32 v30, v20, v16
	v_add_f32_e32 v31, v21, v17
	ds_read2_b64 v[16:19], v12 offset0:128 offset1:144
	v_add_f32_e32 v28, v38, v28
	v_add_f32_e32 v29, v39, v29
	;; [unrolled: 1-line block ×3, first 2 shown]
	s_waitcnt lgkmcnt(0)
	v_mul_f32_e32 v20, v33, v17
	v_mul_f32_e32 v21, v32, v17
	v_fma_f32 v20, v32, v16, -v20
	v_fmac_f32_e32 v21, v33, v16
	v_add_f32_e32 v28, v28, v20
	v_add_f32_e32 v29, v29, v21
	v_mul_f32_e32 v20, v33, v19
	v_mul_f32_e32 v21, v32, v19
	v_fma_f32 v20, v32, v18, -v20
	v_fmac_f32_e32 v21, v33, v18
	v_add_f32_e32 v24, v24, v20
	v_add_f32_e32 v25, v25, v21
	ds_read_b128 v[20:23], v13 offset:1056
	s_waitcnt lgkmcnt(0)
	v_mul_f32_e32 v32, v21, v17
	v_mul_f32_e32 v17, v20, v17
	v_fmac_f32_e32 v17, v21, v16
	v_fma_f32 v32, v20, v16, -v32
	v_add_f32_e32 v27, v27, v17
	v_mul_f32_e32 v16, v21, v19
	v_mul_f32_e32 v17, v20, v19
	v_fma_f32 v16, v20, v18, -v16
	v_fmac_f32_e32 v17, v21, v18
	v_add_f32_e32 v20, v30, v16
	v_add_f32_e32 v21, v31, v17
	ds_read2_b64 v[16:19], v12 offset0:160 offset1:176
	v_add_f32_e32 v26, v26, v32
	s_waitcnt lgkmcnt(0)
	v_mul_f32_e32 v30, v35, v17
	v_fma_f32 v30, v34, v16, -v30
	v_add_f32_e32 v28, v28, v30
	v_mul_f32_e32 v30, v35, v19
	v_fma_f32 v30, v34, v18, -v30
	v_mul_f32_e32 v31, v34, v17
	v_add_f32_e32 v24, v24, v30
	v_mul_f32_e32 v30, v23, v17
	v_mul_f32_e32 v17, v22, v17
	v_fmac_f32_e32 v17, v23, v16
	v_fmac_f32_e32 v31, v35, v16
	v_fma_f32 v30, v22, v16, -v30
	v_add_f32_e32 v27, v27, v17
	v_mul_f32_e32 v16, v23, v19
	v_mul_f32_e32 v17, v22, v19
	v_add_f32_e32 v29, v29, v31
	v_mul_f32_e32 v31, v34, v19
	v_fma_f32 v16, v22, v18, -v16
	v_fmac_f32_e32 v17, v23, v18
	v_fmac_f32_e32 v31, v35, v18
	v_add_f32_e32 v20, v20, v16
	v_add_f32_e32 v21, v21, v17
	ds_read2_b64 v[16:19], v12 offset0:192 offset1:208
	v_add_f32_e32 v26, v26, v30
	v_add_f32_e32 v25, v25, v31
	s_waitcnt lgkmcnt(0)
	v_mul_f32_e32 v22, v3, v17
	v_fma_f32 v22, v2, v16, -v22
	v_add_f32_e32 v30, v28, v22
	v_mul_f32_e32 v22, v3, v19
	v_mul_f32_e32 v23, v2, v17
	v_fma_f32 v22, v2, v18, -v22
	v_mul_f32_e32 v2, v2, v19
	v_fmac_f32_e32 v23, v3, v16
	v_fmac_f32_e32 v2, v3, v18
	v_add_f32_e32 v31, v29, v23
	v_add_f32_e32 v3, v24, v22
	;; [unrolled: 1-line block ×3, first 2 shown]
	ds_read_b128 v[22:25], v13 offset:1072
	s_waitcnt lgkmcnt(0)
	v_mul_f32_e32 v28, v23, v17
	v_fma_f32 v28, v22, v16, -v28
	v_mul_f32_e32 v17, v22, v17
	v_fmac_f32_e32 v17, v23, v16
	v_add_f32_e32 v16, v26, v28
	v_mul_f32_e32 v26, v23, v19
	v_fma_f32 v26, v22, v18, -v26
	v_add_f32_e32 v17, v27, v17
	v_add_f32_e32 v32, v20, v26
	ds_read2_b64 v[26:29], v12 offset0:224 offset1:240
	v_mul_f32_e32 v19, v22, v19
	v_fmac_f32_e32 v19, v23, v18
	v_add_f32_e32 v33, v21, v19
	s_waitcnt lgkmcnt(0)
	v_mul_f32_e32 v18, v5, v27
	v_fma_f32 v18, v4, v26, -v18
	v_add_f32_e32 v22, v30, v18
	v_mul_f32_e32 v18, v5, v29
	v_mul_f32_e32 v19, v4, v27
	v_fma_f32 v18, v4, v28, -v18
	v_mul_f32_e32 v4, v4, v29
	v_fmac_f32_e32 v4, v5, v28
	v_add_f32_e32 v21, v3, v18
	v_add_f32_e32 v20, v2, v4
	v_mul_f32_e32 v2, v25, v27
	v_mul_f32_e32 v3, v24, v27
	v_fmac_f32_e32 v19, v5, v26
	v_fma_f32 v2, v24, v26, -v2
	v_fmac_f32_e32 v3, v25, v26
	v_add_f32_e32 v23, v31, v19
	v_add_f32_e32 v19, v16, v2
	;; [unrolled: 1-line block ×3, first 2 shown]
	v_mul_f32_e32 v2, v25, v29
	v_mul_f32_e32 v3, v24, v29
	v_fma_f32 v2, v24, v28, -v2
	v_fmac_f32_e32 v3, v25, v28
	v_add_f32_e32 v17, v32, v2
	v_add_f32_e32 v16, v33, v3
	s_barrier
	s_cbranch_scc0 .LBB179_2
	s_branch .LBB179_4
.LBB179_3:
	v_mov_b32_e32 v22, 0
	v_mov_b32_e32 v23, 0
	;; [unrolled: 1-line block ×8, first 2 shown]
.LBB179_4:
	s_load_dwordx2 s[0:1], s[4:5], 0x48
	s_load_dword s6, s[4:5], 0x40
	v_add_u32_e32 v4, s16, v1
	v_add_u32_e32 v0, s9, v0
	v_cmp_gt_i32_e32 vcc, s10, v4
	s_waitcnt lgkmcnt(0)
	s_mul_i32 s1, s1, s8
	v_mad_i64_i32 v[1:2], s[12:13], v4, s6, 0
	s_mul_hi_u32 s4, s0, s8
	s_mul_i32 s0, s0, s8
	s_add_i32 s1, s4, s1
	s_lshl_b64 s[0:1], s[0:1], 3
	s_add_u32 s4, s2, s0
	v_lshlrev_b64 v[1:2], 3, v[1:2]
	s_addc_u32 s5, s3, s1
	v_mov_b32_e32 v3, s5
	v_add_co_u32_e64 v5, s[0:1], s4, v1
	v_addc_co_u32_e64 v6, s[0:1], v3, v2, s[0:1]
	v_cmp_le_i32_e64 s[0:1], v0, v4
	s_and_b64 s[0:1], vcc, s[0:1]
	s_and_saveexec_b64 s[2:3], s[0:1]
	s_cbranch_execz .LBB179_6
; %bb.5:
	v_ashrrev_i32_e32 v1, 31, v0
	v_lshlrev_b64 v[7:8], 3, v[0:1]
	v_xor_b32_e32 v2, 0x80000000, v22
	v_add_co_u32_e64 v7, s[0:1], v5, v7
	v_xor_b32_e32 v3, 0x80000000, v23
	v_addc_co_u32_e64 v8, s[0:1], v6, v8, s[0:1]
	global_store_dwordx2 v[7:8], v[2:3], off
.LBB179_6:
	s_or_b64 exec, exec, s[2:3]
	v_add_u32_e32 v2, 16, v0
	v_cmp_le_i32_e64 s[0:1], v2, v4
	s_and_b64 s[2:3], vcc, s[0:1]
	s_and_saveexec_b64 s[0:1], s[2:3]
	s_cbranch_execz .LBB179_8
; %bb.7:
	v_ashrrev_i32_e32 v3, 31, v2
	v_lshlrev_b64 v[9:10], 3, v[2:3]
	v_xor_b32_e32 v7, 0x80000000, v21
	v_add_co_u32_e32 v5, vcc, v5, v9
	v_xor_b32_e32 v8, 0x80000000, v20
	v_addc_co_u32_e32 v6, vcc, v6, v10, vcc
	global_store_dwordx2 v[5:6], v[7:8], off
.LBB179_8:
	s_or_b64 exec, exec, s[0:1]
	v_add_u32_e32 v3, 16, v4
	v_mad_i64_i32 v[4:5], s[0:1], v3, s6, 0
	v_mov_b32_e32 v1, s5
	v_cmp_gt_i32_e32 vcc, s10, v3
	v_lshlrev_b64 v[4:5], 3, v[4:5]
	v_add_co_u32_e64 v4, s[0:1], s4, v4
	v_addc_co_u32_e64 v5, s[0:1], v1, v5, s[0:1]
	v_cmp_le_i32_e64 s[0:1], v0, v3
	s_and_b64 s[0:1], vcc, s[0:1]
	s_and_saveexec_b64 s[2:3], s[0:1]
	s_cbranch_execz .LBB179_10
; %bb.9:
	v_ashrrev_i32_e32 v1, 31, v0
	v_lshlrev_b64 v[0:1], 3, v[0:1]
	v_xor_b32_e32 v6, 0x80000000, v19
	v_add_co_u32_e64 v0, s[0:1], v4, v0
	v_xor_b32_e32 v7, 0x80000000, v18
	v_addc_co_u32_e64 v1, s[0:1], v5, v1, s[0:1]
	global_store_dwordx2 v[0:1], v[6:7], off
.LBB179_10:
	s_or_b64 exec, exec, s[2:3]
	v_cmp_le_i32_e64 s[0:1], v2, v3
	s_and_b64 s[0:1], vcc, s[0:1]
	s_and_saveexec_b64 s[2:3], s[0:1]
	s_cbranch_execz .LBB179_12
; %bb.11:
	v_ashrrev_i32_e32 v3, 31, v2
	v_lshlrev_b64 v[2:3], 3, v[2:3]
	v_xor_b32_e32 v0, 0x80000000, v17
	v_add_co_u32_e32 v2, vcc, v4, v2
	v_xor_b32_e32 v1, 0x80000000, v16
	v_addc_co_u32_e32 v3, vcc, v5, v3, vcc
	global_store_dwordx2 v[2:3], v[0:1], off
.LBB179_12:
	s_endpgm
	.section	.rodata,"a",@progbits
	.p2align	6, 0x0
	.amdhsa_kernel _ZL37rocblas_syrkx_herkx_restricted_kernelIi19rocblas_complex_numIfELi16ELi32ELi8ELin1ELi0ELb0ELc78ELc85EKS1_S1_EviT_PT9_S3_lS5_S3_lPT10_S3_li
		.amdhsa_group_segment_fixed_size 4096
		.amdhsa_private_segment_fixed_size 0
		.amdhsa_kernarg_size 84
		.amdhsa_user_sgpr_count 6
		.amdhsa_user_sgpr_private_segment_buffer 1
		.amdhsa_user_sgpr_dispatch_ptr 0
		.amdhsa_user_sgpr_queue_ptr 0
		.amdhsa_user_sgpr_kernarg_segment_ptr 1
		.amdhsa_user_sgpr_dispatch_id 0
		.amdhsa_user_sgpr_flat_scratch_init 0
		.amdhsa_user_sgpr_private_segment_size 0
		.amdhsa_uses_dynamic_stack 0
		.amdhsa_system_sgpr_private_segment_wavefront_offset 0
		.amdhsa_system_sgpr_workgroup_id_x 1
		.amdhsa_system_sgpr_workgroup_id_y 1
		.amdhsa_system_sgpr_workgroup_id_z 1
		.amdhsa_system_sgpr_workgroup_info 0
		.amdhsa_system_vgpr_workitem_id 1
		.amdhsa_next_free_vgpr 43
		.amdhsa_next_free_sgpr 25
		.amdhsa_reserve_vcc 1
		.amdhsa_reserve_flat_scratch 0
		.amdhsa_float_round_mode_32 0
		.amdhsa_float_round_mode_16_64 0
		.amdhsa_float_denorm_mode_32 3
		.amdhsa_float_denorm_mode_16_64 3
		.amdhsa_dx10_clamp 1
		.amdhsa_ieee_mode 1
		.amdhsa_fp16_overflow 0
		.amdhsa_exception_fp_ieee_invalid_op 0
		.amdhsa_exception_fp_denorm_src 0
		.amdhsa_exception_fp_ieee_div_zero 0
		.amdhsa_exception_fp_ieee_overflow 0
		.amdhsa_exception_fp_ieee_underflow 0
		.amdhsa_exception_fp_ieee_inexact 0
		.amdhsa_exception_int_div_zero 0
	.end_amdhsa_kernel
	.section	.text._ZL37rocblas_syrkx_herkx_restricted_kernelIi19rocblas_complex_numIfELi16ELi32ELi8ELin1ELi0ELb0ELc78ELc85EKS1_S1_EviT_PT9_S3_lS5_S3_lPT10_S3_li,"axG",@progbits,_ZL37rocblas_syrkx_herkx_restricted_kernelIi19rocblas_complex_numIfELi16ELi32ELi8ELin1ELi0ELb0ELc78ELc85EKS1_S1_EviT_PT9_S3_lS5_S3_lPT10_S3_li,comdat
.Lfunc_end179:
	.size	_ZL37rocblas_syrkx_herkx_restricted_kernelIi19rocblas_complex_numIfELi16ELi32ELi8ELin1ELi0ELb0ELc78ELc85EKS1_S1_EviT_PT9_S3_lS5_S3_lPT10_S3_li, .Lfunc_end179-_ZL37rocblas_syrkx_herkx_restricted_kernelIi19rocblas_complex_numIfELi16ELi32ELi8ELin1ELi0ELb0ELc78ELc85EKS1_S1_EviT_PT9_S3_lS5_S3_lPT10_S3_li
                                        ; -- End function
	.set _ZL37rocblas_syrkx_herkx_restricted_kernelIi19rocblas_complex_numIfELi16ELi32ELi8ELin1ELi0ELb0ELc78ELc85EKS1_S1_EviT_PT9_S3_lS5_S3_lPT10_S3_li.num_vgpr, 43
	.set _ZL37rocblas_syrkx_herkx_restricted_kernelIi19rocblas_complex_numIfELi16ELi32ELi8ELin1ELi0ELb0ELc78ELc85EKS1_S1_EviT_PT9_S3_lS5_S3_lPT10_S3_li.num_agpr, 0
	.set _ZL37rocblas_syrkx_herkx_restricted_kernelIi19rocblas_complex_numIfELi16ELi32ELi8ELin1ELi0ELb0ELc78ELc85EKS1_S1_EviT_PT9_S3_lS5_S3_lPT10_S3_li.numbered_sgpr, 25
	.set _ZL37rocblas_syrkx_herkx_restricted_kernelIi19rocblas_complex_numIfELi16ELi32ELi8ELin1ELi0ELb0ELc78ELc85EKS1_S1_EviT_PT9_S3_lS5_S3_lPT10_S3_li.num_named_barrier, 0
	.set _ZL37rocblas_syrkx_herkx_restricted_kernelIi19rocblas_complex_numIfELi16ELi32ELi8ELin1ELi0ELb0ELc78ELc85EKS1_S1_EviT_PT9_S3_lS5_S3_lPT10_S3_li.private_seg_size, 0
	.set _ZL37rocblas_syrkx_herkx_restricted_kernelIi19rocblas_complex_numIfELi16ELi32ELi8ELin1ELi0ELb0ELc78ELc85EKS1_S1_EviT_PT9_S3_lS5_S3_lPT10_S3_li.uses_vcc, 1
	.set _ZL37rocblas_syrkx_herkx_restricted_kernelIi19rocblas_complex_numIfELi16ELi32ELi8ELin1ELi0ELb0ELc78ELc85EKS1_S1_EviT_PT9_S3_lS5_S3_lPT10_S3_li.uses_flat_scratch, 0
	.set _ZL37rocblas_syrkx_herkx_restricted_kernelIi19rocblas_complex_numIfELi16ELi32ELi8ELin1ELi0ELb0ELc78ELc85EKS1_S1_EviT_PT9_S3_lS5_S3_lPT10_S3_li.has_dyn_sized_stack, 0
	.set _ZL37rocblas_syrkx_herkx_restricted_kernelIi19rocblas_complex_numIfELi16ELi32ELi8ELin1ELi0ELb0ELc78ELc85EKS1_S1_EviT_PT9_S3_lS5_S3_lPT10_S3_li.has_recursion, 0
	.set _ZL37rocblas_syrkx_herkx_restricted_kernelIi19rocblas_complex_numIfELi16ELi32ELi8ELin1ELi0ELb0ELc78ELc85EKS1_S1_EviT_PT9_S3_lS5_S3_lPT10_S3_li.has_indirect_call, 0
	.section	.AMDGPU.csdata,"",@progbits
; Kernel info:
; codeLenInByte = 1972
; TotalNumSgprs: 29
; NumVgprs: 43
; ScratchSize: 0
; MemoryBound: 0
; FloatMode: 240
; IeeeMode: 1
; LDSByteSize: 4096 bytes/workgroup (compile time only)
; SGPRBlocks: 3
; VGPRBlocks: 10
; NumSGPRsForWavesPerEU: 29
; NumVGPRsForWavesPerEU: 43
; Occupancy: 5
; WaveLimiterHint : 0
; COMPUTE_PGM_RSRC2:SCRATCH_EN: 0
; COMPUTE_PGM_RSRC2:USER_SGPR: 6
; COMPUTE_PGM_RSRC2:TRAP_HANDLER: 0
; COMPUTE_PGM_RSRC2:TGID_X_EN: 1
; COMPUTE_PGM_RSRC2:TGID_Y_EN: 1
; COMPUTE_PGM_RSRC2:TGID_Z_EN: 1
; COMPUTE_PGM_RSRC2:TIDIG_COMP_CNT: 1
	.section	.text._ZL37rocblas_syrkx_herkx_restricted_kernelIi19rocblas_complex_numIfELi16ELi32ELi8ELb1ELb0ELc84ELc76EKS1_S1_EviT_T0_PT8_S3_lS6_S3_lS4_PT9_S3_li,"axG",@progbits,_ZL37rocblas_syrkx_herkx_restricted_kernelIi19rocblas_complex_numIfELi16ELi32ELi8ELb1ELb0ELc84ELc76EKS1_S1_EviT_T0_PT8_S3_lS6_S3_lS4_PT9_S3_li,comdat
	.globl	_ZL37rocblas_syrkx_herkx_restricted_kernelIi19rocblas_complex_numIfELi16ELi32ELi8ELb1ELb0ELc84ELc76EKS1_S1_EviT_T0_PT8_S3_lS6_S3_lS4_PT9_S3_li ; -- Begin function _ZL37rocblas_syrkx_herkx_restricted_kernelIi19rocblas_complex_numIfELi16ELi32ELi8ELb1ELb0ELc84ELc76EKS1_S1_EviT_T0_PT8_S3_lS6_S3_lS4_PT9_S3_li
	.p2align	8
	.type	_ZL37rocblas_syrkx_herkx_restricted_kernelIi19rocblas_complex_numIfELi16ELi32ELi8ELb1ELb0ELc84ELc76EKS1_S1_EviT_T0_PT8_S3_lS6_S3_lS4_PT9_S3_li,@function
_ZL37rocblas_syrkx_herkx_restricted_kernelIi19rocblas_complex_numIfELi16ELi32ELi8ELb1ELb0ELc84ELc76EKS1_S1_EviT_T0_PT8_S3_lS6_S3_lS4_PT9_S3_li: ; @_ZL37rocblas_syrkx_herkx_restricted_kernelIi19rocblas_complex_numIfELi16ELi32ELi8ELb1ELb0ELc84ELc76EKS1_S1_EviT_T0_PT8_S3_lS6_S3_lS4_PT9_S3_li
; %bb.0:
	s_load_dwordx2 s[10:11], s[4:5], 0x0
	s_load_dwordx4 s[12:15], s[4:5], 0x8
	s_lshl_b32 s6, s6, 5
	s_lshl_b32 s7, s7, 5
	s_mov_b32 s9, 0
	s_waitcnt lgkmcnt(0)
	s_cmp_lt_i32 s11, 1
	s_cbranch_scc1 .LBB180_3
; %bb.1:
	v_lshl_add_u32 v3, v1, 4, v0
	v_and_b32_e32 v7, 31, v3
	s_load_dword s20, s[4:5], 0x18
	s_load_dwordx4 s[0:3], s[4:5], 0x20
	s_load_dword s18, s[4:5], 0x30
	s_load_dwordx2 s[16:17], s[4:5], 0x38
	v_lshrrev_b32_e32 v2, 5, v3
	v_and_b32_e32 v9, 7, v0
	v_lshlrev_b32_e32 v8, 3, v7
	v_lshrrev_b32_e32 v6, 3, v3
	v_lshl_or_b32 v11, v2, 8, v8
	v_lshlrev_b32_e32 v8, 3, v9
	v_add_u32_e32 v3, s7, v6
	v_lshl_or_b32 v6, v6, 6, v8
	v_mov_b32_e32 v10, 0
	v_add_u32_e32 v12, 0x800, v6
	v_mov_b32_e32 v6, 0x800
	s_waitcnt lgkmcnt(0)
	v_mad_i64_i32 v[4:5], s[18:19], s18, v3, v[9:10]
	v_mov_b32_e32 v3, v10
	v_lshl_add_u32 v14, v1, 6, v6
	v_add_u32_e32 v6, s6, v7
	v_mad_i64_i32 v[2:3], s[18:19], s20, v6, v[2:3]
	s_mul_i32 s1, s1, s8
	s_mul_hi_u32 s21, s0, s8
	s_add_i32 s1, s21, s1
	s_mul_i32 s0, s0, s8
	s_lshl_b64 s[0:1], s[0:1], 3
	v_lshlrev_b64 v[2:3], 3, v[2:3]
	s_add_u32 s0, s14, s0
	s_addc_u32 s1, s15, s1
	v_mov_b32_e32 v6, s1
	v_add_co_u32_e32 v2, vcc, s0, v2
	s_mul_i32 s0, s17, s8
	s_mul_hi_u32 s1, s16, s8
	v_addc_co_u32_e32 v3, vcc, v6, v3, vcc
	s_add_i32 s1, s1, s0
	s_mul_i32 s0, s16, s8
	v_add_co_u32_e32 v6, vcc, 4, v2
	s_lshl_b64 s[0:1], s[0:1], 3
	v_addc_co_u32_e32 v7, vcc, 0, v3, vcc
	v_lshlrev_b64 v[2:3], 3, v[4:5]
	s_add_u32 s0, s2, s0
	s_addc_u32 s1, s3, s1
	v_mov_b32_e32 v4, s1
	v_add_co_u32_e32 v2, vcc, s0, v2
	v_addc_co_u32_e32 v3, vcc, v4, v3, vcc
	v_add_co_u32_e32 v8, vcc, 4, v2
	v_lshlrev_b32_e32 v13, 3, v0
	v_addc_co_u32_e32 v9, vcc, 0, v3, vcc
	v_mov_b32_e32 v15, v10
	v_mov_b32_e32 v17, v10
	v_mov_b32_e32 v16, v10
	v_mov_b32_e32 v19, v10
	v_mov_b32_e32 v18, v10
	v_mov_b32_e32 v21, v10
	v_mov_b32_e32 v20, v10
.LBB180_2:                              ; =>This Inner Loop Header: Depth=1
	global_load_dwordx2 v[2:3], v[6:7], off offset:-4
	v_add_co_u32_e32 v6, vcc, 64, v6
	v_addc_co_u32_e32 v7, vcc, 0, v7, vcc
	s_add_i32 s9, s9, 8
	s_cmp_ge_i32 s9, s11
	s_waitcnt vmcnt(0)
	ds_write_b64 v11, v[2:3]
	global_load_dwordx2 v[2:3], v[8:9], off offset:-4
	v_add_co_u32_e32 v8, vcc, 64, v8
	v_addc_co_u32_e32 v9, vcc, 0, v9, vcc
	s_waitcnt vmcnt(0)
	ds_write_b64 v12, v[2:3]
	s_waitcnt lgkmcnt(0)
	s_barrier
	ds_read_b128 v[22:25], v14
	ds_read_b128 v[26:29], v14 offset:16
	ds_read_b128 v[30:33], v14 offset:32
	ds_read_b128 v[2:5], v14 offset:48
	ds_read2_b64 v[34:37], v13 offset1:16
	s_waitcnt lgkmcnt(0)
	v_mul_f32_e32 v38, v23, v35
	v_mul_f32_e32 v39, v22, v35
	v_fma_f32 v38, v22, v34, -v38
	v_fmac_f32_e32 v39, v23, v34
	v_add_f32_e32 v38, v20, v38
	v_add_f32_e32 v39, v21, v39
	v_mul_f32_e32 v20, v23, v37
	v_mul_f32_e32 v21, v22, v37
	v_fma_f32 v20, v22, v36, -v20
	v_fmac_f32_e32 v21, v23, v36
	v_add_f32_e32 v22, v18, v20
	v_add_f32_e32 v23, v19, v21
	ds_read_b128 v[18:21], v14 offset:1024
	s_waitcnt lgkmcnt(0)
	v_mul_f32_e32 v40, v19, v35
	v_mul_f32_e32 v35, v18, v35
	v_fma_f32 v40, v18, v34, -v40
	v_fmac_f32_e32 v35, v19, v34
	v_add_f32_e32 v34, v16, v40
	v_add_f32_e32 v35, v17, v35
	v_mul_f32_e32 v16, v19, v37
	v_mul_f32_e32 v17, v18, v37
	v_fma_f32 v16, v18, v36, -v16
	v_fmac_f32_e32 v17, v19, v36
	v_add_f32_e32 v19, v15, v16
	v_add_f32_e32 v10, v10, v17
	ds_read2_b64 v[15:18], v13 offset0:32 offset1:48
	s_waitcnt lgkmcnt(0)
	v_mul_f32_e32 v36, v25, v16
	v_fma_f32 v36, v24, v15, -v36
	v_add_f32_e32 v36, v38, v36
	v_mul_f32_e32 v38, v25, v18
	v_mul_f32_e32 v37, v24, v16
	v_fma_f32 v38, v24, v17, -v38
	v_mul_f32_e32 v24, v24, v18
	v_fmac_f32_e32 v24, v25, v17
	v_add_f32_e32 v23, v23, v24
	v_mul_f32_e32 v24, v21, v16
	v_mul_f32_e32 v16, v20, v16
	v_fmac_f32_e32 v16, v21, v15
	v_fmac_f32_e32 v37, v25, v15
	v_fma_f32 v24, v20, v15, -v24
	v_add_f32_e32 v25, v35, v16
	v_mul_f32_e32 v15, v21, v18
	v_mul_f32_e32 v16, v20, v18
	v_fma_f32 v15, v20, v17, -v15
	v_fmac_f32_e32 v16, v21, v17
	v_add_f32_e32 v24, v34, v24
	v_add_f32_e32 v34, v19, v15
	;; [unrolled: 1-line block ×3, first 2 shown]
	ds_read2_b64 v[15:18], v13 offset0:64 offset1:80
	v_add_f32_e32 v37, v39, v37
	v_add_f32_e32 v22, v22, v38
	s_waitcnt lgkmcnt(0)
	v_mul_f32_e32 v19, v27, v16
	v_mul_f32_e32 v20, v26, v16
	v_fma_f32 v19, v26, v15, -v19
	v_fmac_f32_e32 v20, v27, v15
	v_add_f32_e32 v35, v36, v19
	v_add_f32_e32 v36, v37, v20
	v_mul_f32_e32 v19, v27, v18
	v_mul_f32_e32 v20, v26, v18
	v_fma_f32 v19, v26, v17, -v19
	v_fmac_f32_e32 v20, v27, v17
	v_add_f32_e32 v26, v22, v19
	v_add_f32_e32 v23, v23, v20
	ds_read_b128 v[19:22], v14 offset:1040
	s_waitcnt lgkmcnt(0)
	v_mul_f32_e32 v27, v20, v16
	v_mul_f32_e32 v16, v19, v16
	v_fmac_f32_e32 v16, v20, v15
	v_fma_f32 v27, v19, v15, -v27
	v_add_f32_e32 v25, v25, v16
	v_mul_f32_e32 v15, v20, v18
	v_mul_f32_e32 v16, v19, v18
	v_fma_f32 v15, v19, v17, -v15
	v_fmac_f32_e32 v16, v20, v17
	v_add_f32_e32 v19, v34, v15
	v_add_f32_e32 v10, v10, v16
	ds_read2_b64 v[15:18], v13 offset0:96 offset1:112
	v_add_f32_e32 v24, v24, v27
	s_waitcnt lgkmcnt(0)
	v_mul_f32_e32 v20, v29, v16
	v_mul_f32_e32 v34, v29, v18
	v_fma_f32 v20, v28, v15, -v20
	v_mul_f32_e32 v27, v28, v16
	v_fma_f32 v34, v28, v17, -v34
	v_mul_f32_e32 v28, v28, v18
	v_fmac_f32_e32 v28, v29, v17
	v_add_f32_e32 v23, v23, v28
	v_mul_f32_e32 v28, v22, v16
	v_mul_f32_e32 v16, v21, v16
	v_fmac_f32_e32 v16, v22, v15
	v_fmac_f32_e32 v27, v29, v15
	v_fma_f32 v28, v21, v15, -v28
	v_add_f32_e32 v25, v25, v16
	v_mul_f32_e32 v15, v22, v18
	v_mul_f32_e32 v16, v21, v18
	v_fma_f32 v15, v21, v17, -v15
	v_fmac_f32_e32 v16, v22, v17
	v_add_f32_e32 v24, v24, v28
	v_add_f32_e32 v28, v19, v15
	;; [unrolled: 1-line block ×3, first 2 shown]
	ds_read2_b64 v[15:18], v13 offset0:128 offset1:144
	v_add_f32_e32 v20, v35, v20
	v_add_f32_e32 v27, v36, v27
	;; [unrolled: 1-line block ×3, first 2 shown]
	s_waitcnt lgkmcnt(0)
	v_mul_f32_e32 v19, v31, v16
	v_fma_f32 v19, v30, v15, -v19
	v_mul_f32_e32 v21, v30, v16
	v_add_f32_e32 v29, v20, v19
	v_mul_f32_e32 v19, v31, v18
	v_mul_f32_e32 v20, v30, v18
	v_fmac_f32_e32 v21, v31, v15
	v_fma_f32 v19, v30, v17, -v19
	v_fmac_f32_e32 v20, v31, v17
	v_add_f32_e32 v27, v27, v21
	v_add_f32_e32 v26, v26, v19
	;; [unrolled: 1-line block ×3, first 2 shown]
	ds_read_b128 v[19:22], v14 offset:1056
	s_waitcnt lgkmcnt(0)
	v_mul_f32_e32 v30, v20, v16
	v_mul_f32_e32 v16, v19, v16
	v_fmac_f32_e32 v16, v20, v15
	v_fma_f32 v30, v19, v15, -v30
	v_add_f32_e32 v25, v25, v16
	v_mul_f32_e32 v15, v20, v18
	v_mul_f32_e32 v16, v19, v18
	v_fma_f32 v15, v19, v17, -v15
	v_fmac_f32_e32 v16, v20, v17
	v_add_f32_e32 v19, v28, v15
	v_add_f32_e32 v10, v10, v16
	ds_read2_b64 v[15:18], v13 offset0:160 offset1:176
	v_add_f32_e32 v24, v24, v30
	s_waitcnt lgkmcnt(0)
	v_mul_f32_e32 v28, v32, v16
	v_fmac_f32_e32 v28, v33, v15
	v_add_f32_e32 v27, v27, v28
	v_mul_f32_e32 v28, v33, v18
	v_fma_f32 v28, v32, v17, -v28
	v_mul_f32_e32 v20, v33, v16
	v_add_f32_e32 v26, v26, v28
	v_mul_f32_e32 v28, v22, v16
	v_mul_f32_e32 v16, v21, v16
	v_fmac_f32_e32 v16, v22, v15
	v_fma_f32 v20, v32, v15, -v20
	v_fma_f32 v28, v21, v15, -v28
	v_add_f32_e32 v25, v25, v16
	v_mul_f32_e32 v15, v22, v18
	v_mul_f32_e32 v16, v21, v18
	v_add_f32_e32 v20, v29, v20
	v_mul_f32_e32 v29, v32, v18
	v_fma_f32 v15, v21, v17, -v15
	v_fmac_f32_e32 v16, v22, v17
	v_fmac_f32_e32 v29, v33, v17
	v_add_f32_e32 v19, v19, v15
	v_add_f32_e32 v10, v10, v16
	ds_read2_b64 v[15:18], v13 offset0:192 offset1:208
	v_add_f32_e32 v24, v24, v28
	v_add_f32_e32 v23, v23, v29
	s_waitcnt lgkmcnt(0)
	v_mul_f32_e32 v21, v3, v16
	v_fma_f32 v21, v2, v15, -v21
	v_add_f32_e32 v28, v20, v21
	v_mul_f32_e32 v20, v3, v18
	v_mul_f32_e32 v22, v2, v16
	v_fma_f32 v20, v2, v17, -v20
	v_mul_f32_e32 v2, v2, v18
	v_fmac_f32_e32 v22, v3, v15
	v_fmac_f32_e32 v2, v3, v17
	v_add_f32_e32 v29, v27, v22
	v_add_f32_e32 v3, v26, v20
	;; [unrolled: 1-line block ×3, first 2 shown]
	ds_read_b128 v[20:23], v14 offset:1072
	s_waitcnt lgkmcnt(0)
	v_mul_f32_e32 v26, v21, v16
	v_mul_f32_e32 v16, v20, v16
	v_fma_f32 v26, v20, v15, -v26
	v_fmac_f32_e32 v16, v21, v15
	v_add_f32_e32 v15, v24, v26
	v_add_f32_e32 v30, v25, v16
	ds_read2_b64 v[24:27], v13 offset0:224 offset1:240
	v_mul_f32_e32 v16, v21, v18
	v_fma_f32 v16, v20, v17, -v16
	v_add_f32_e32 v31, v19, v16
	v_mul_f32_e32 v18, v20, v18
	s_waitcnt lgkmcnt(0)
	v_mul_f32_e32 v16, v5, v25
	v_fma_f32 v16, v4, v24, -v16
	v_add_f32_e32 v20, v28, v16
	v_mul_f32_e32 v16, v5, v27
	v_fmac_f32_e32 v18, v21, v17
	v_mul_f32_e32 v17, v4, v25
	v_fma_f32 v16, v4, v26, -v16
	v_mul_f32_e32 v4, v4, v27
	v_fmac_f32_e32 v4, v5, v26
	v_add_f32_e32 v10, v10, v18
	v_add_f32_e32 v18, v3, v16
	;; [unrolled: 1-line block ×3, first 2 shown]
	v_mul_f32_e32 v2, v23, v25
	v_mul_f32_e32 v3, v22, v25
	v_fmac_f32_e32 v17, v5, v24
	v_fma_f32 v2, v22, v24, -v2
	v_fmac_f32_e32 v3, v23, v24
	v_add_f32_e32 v21, v29, v17
	v_add_f32_e32 v16, v15, v2
	;; [unrolled: 1-line block ×3, first 2 shown]
	v_mul_f32_e32 v2, v23, v27
	v_mul_f32_e32 v3, v22, v27
	v_fma_f32 v2, v22, v26, -v2
	v_fmac_f32_e32 v3, v23, v26
	v_add_f32_e32 v15, v31, v2
	v_add_f32_e32 v10, v10, v3
	s_barrier
	s_cbranch_scc0 .LBB180_2
	s_branch .LBB180_4
.LBB180_3:
	v_mov_b32_e32 v20, 0
	v_mov_b32_e32 v21, 0
	;; [unrolled: 1-line block ×8, first 2 shown]
.LBB180_4:
	s_load_dwordx2 s[0:1], s[4:5], 0x58
	s_load_dwordx2 s[2:3], s[4:5], 0x48
	s_load_dword s9, s[4:5], 0x50
	v_add_u32_e32 v4, s7, v1
	v_add_u32_e32 v0, s6, v0
	s_waitcnt lgkmcnt(0)
	s_mul_i32 s1, s1, s8
	s_mul_hi_u32 s4, s0, s8
	s_add_i32 s1, s4, s1
	v_mad_i64_i32 v[1:2], s[4:5], v4, s9, 0
	s_mul_i32 s0, s0, s8
	s_lshl_b64 s[0:1], s[0:1], 3
	s_add_u32 s7, s2, s0
	v_lshlrev_b64 v[1:2], 3, v[1:2]
	s_addc_u32 s8, s3, s1
	v_mov_b32_e32 v3, s8
	v_add_co_u32_e32 v5, vcc, s7, v1
	v_addc_co_u32_e32 v6, vcc, v3, v2, vcc
	v_cmp_le_i32_e64 s[0:1], v4, v0
	v_cmp_gt_i32_e32 vcc, s10, v0
	s_and_b64 s[0:1], s[0:1], vcc
	s_and_saveexec_b64 s[2:3], s[0:1]
	s_cbranch_execz .LBB180_6
; %bb.5:
	v_mul_f32_e32 v1, s13, v21
	v_fma_f32 v2, v20, s12, -v1
	v_ashrrev_i32_e32 v1, 31, v0
	v_lshlrev_b64 v[7:8], 3, v[0:1]
	v_mul_f32_e32 v3, s12, v21
	v_add_co_u32_e64 v7, s[0:1], v5, v7
	v_fmac_f32_e32 v3, s13, v20
	v_addc_co_u32_e64 v8, s[0:1], v6, v8, s[0:1]
	global_store_dwordx2 v[7:8], v[2:3], off
.LBB180_6:
	s_or_b64 exec, exec, s[2:3]
	v_add_u32_e32 v2, 16, v0
	v_cmp_le_i32_e64 s[2:3], v4, v2
	v_cmp_gt_i32_e64 s[0:1], s10, v2
	s_and_b64 s[2:3], s[2:3], s[0:1]
	s_and_saveexec_b64 s[4:5], s[2:3]
	s_cbranch_execz .LBB180_8
; %bb.7:
	v_ashrrev_i32_e32 v3, 31, v2
	v_lshlrev_b64 v[11:12], 3, v[2:3]
	v_mul_f32_e32 v1, s13, v19
	v_mul_f32_e32 v8, s12, v19
	v_add_co_u32_e64 v5, s[2:3], v5, v11
	v_fma_f32 v7, v18, s12, -v1
	v_fmac_f32_e32 v8, s13, v18
	v_addc_co_u32_e64 v6, s[2:3], v6, v12, s[2:3]
	global_store_dwordx2 v[5:6], v[7:8], off
.LBB180_8:
	s_or_b64 exec, exec, s[4:5]
	v_add_u32_e32 v3, 16, v4
	v_mad_i64_i32 v[4:5], s[2:3], v3, s9, 0
	v_mov_b32_e32 v1, s8
	v_lshlrev_b64 v[4:5], 3, v[4:5]
	v_add_co_u32_e64 v4, s[2:3], s7, v4
	v_addc_co_u32_e64 v5, s[2:3], v1, v5, s[2:3]
	v_cmp_le_i32_e64 s[2:3], v3, v0
	s_and_b64 s[4:5], s[2:3], vcc
	s_and_saveexec_b64 s[2:3], s[4:5]
	s_cbranch_execz .LBB180_10
; %bb.9:
	v_mul_f32_e32 v1, s13, v17
	v_fma_f32 v6, v16, s12, -v1
	v_ashrrev_i32_e32 v1, 31, v0
	v_lshlrev_b64 v[0:1], 3, v[0:1]
	v_mul_f32_e32 v7, s12, v17
	v_add_co_u32_e32 v0, vcc, v4, v0
	v_fmac_f32_e32 v7, s13, v16
	v_addc_co_u32_e32 v1, vcc, v5, v1, vcc
	global_store_dwordx2 v[0:1], v[6:7], off
.LBB180_10:
	s_or_b64 exec, exec, s[2:3]
	v_cmp_le_i32_e32 vcc, v3, v2
	s_and_b64 s[0:1], vcc, s[0:1]
	s_and_saveexec_b64 s[2:3], s[0:1]
	s_cbranch_execz .LBB180_12
; %bb.11:
	v_ashrrev_i32_e32 v3, 31, v2
	v_lshlrev_b64 v[2:3], 3, v[2:3]
	v_mul_f32_e32 v0, s13, v10
	v_mul_f32_e32 v1, s12, v10
	v_add_co_u32_e32 v2, vcc, v4, v2
	v_fma_f32 v0, v15, s12, -v0
	v_fmac_f32_e32 v1, s13, v15
	v_addc_co_u32_e32 v3, vcc, v5, v3, vcc
	global_store_dwordx2 v[2:3], v[0:1], off
.LBB180_12:
	s_endpgm
	.section	.rodata,"a",@progbits
	.p2align	6, 0x0
	.amdhsa_kernel _ZL37rocblas_syrkx_herkx_restricted_kernelIi19rocblas_complex_numIfELi16ELi32ELi8ELb1ELb0ELc84ELc76EKS1_S1_EviT_T0_PT8_S3_lS6_S3_lS4_PT9_S3_li
		.amdhsa_group_segment_fixed_size 4096
		.amdhsa_private_segment_fixed_size 0
		.amdhsa_kernarg_size 100
		.amdhsa_user_sgpr_count 6
		.amdhsa_user_sgpr_private_segment_buffer 1
		.amdhsa_user_sgpr_dispatch_ptr 0
		.amdhsa_user_sgpr_queue_ptr 0
		.amdhsa_user_sgpr_kernarg_segment_ptr 1
		.amdhsa_user_sgpr_dispatch_id 0
		.amdhsa_user_sgpr_flat_scratch_init 0
		.amdhsa_user_sgpr_private_segment_size 0
		.amdhsa_uses_dynamic_stack 0
		.amdhsa_system_sgpr_private_segment_wavefront_offset 0
		.amdhsa_system_sgpr_workgroup_id_x 1
		.amdhsa_system_sgpr_workgroup_id_y 1
		.amdhsa_system_sgpr_workgroup_id_z 1
		.amdhsa_system_sgpr_workgroup_info 0
		.amdhsa_system_vgpr_workitem_id 1
		.amdhsa_next_free_vgpr 41
		.amdhsa_next_free_sgpr 22
		.amdhsa_reserve_vcc 1
		.amdhsa_reserve_flat_scratch 0
		.amdhsa_float_round_mode_32 0
		.amdhsa_float_round_mode_16_64 0
		.amdhsa_float_denorm_mode_32 3
		.amdhsa_float_denorm_mode_16_64 3
		.amdhsa_dx10_clamp 1
		.amdhsa_ieee_mode 1
		.amdhsa_fp16_overflow 0
		.amdhsa_exception_fp_ieee_invalid_op 0
		.amdhsa_exception_fp_denorm_src 0
		.amdhsa_exception_fp_ieee_div_zero 0
		.amdhsa_exception_fp_ieee_overflow 0
		.amdhsa_exception_fp_ieee_underflow 0
		.amdhsa_exception_fp_ieee_inexact 0
		.amdhsa_exception_int_div_zero 0
	.end_amdhsa_kernel
	.section	.text._ZL37rocblas_syrkx_herkx_restricted_kernelIi19rocblas_complex_numIfELi16ELi32ELi8ELb1ELb0ELc84ELc76EKS1_S1_EviT_T0_PT8_S3_lS6_S3_lS4_PT9_S3_li,"axG",@progbits,_ZL37rocblas_syrkx_herkx_restricted_kernelIi19rocblas_complex_numIfELi16ELi32ELi8ELb1ELb0ELc84ELc76EKS1_S1_EviT_T0_PT8_S3_lS6_S3_lS4_PT9_S3_li,comdat
.Lfunc_end180:
	.size	_ZL37rocblas_syrkx_herkx_restricted_kernelIi19rocblas_complex_numIfELi16ELi32ELi8ELb1ELb0ELc84ELc76EKS1_S1_EviT_T0_PT8_S3_lS6_S3_lS4_PT9_S3_li, .Lfunc_end180-_ZL37rocblas_syrkx_herkx_restricted_kernelIi19rocblas_complex_numIfELi16ELi32ELi8ELb1ELb0ELc84ELc76EKS1_S1_EviT_T0_PT8_S3_lS6_S3_lS4_PT9_S3_li
                                        ; -- End function
	.set _ZL37rocblas_syrkx_herkx_restricted_kernelIi19rocblas_complex_numIfELi16ELi32ELi8ELb1ELb0ELc84ELc76EKS1_S1_EviT_T0_PT8_S3_lS6_S3_lS4_PT9_S3_li.num_vgpr, 41
	.set _ZL37rocblas_syrkx_herkx_restricted_kernelIi19rocblas_complex_numIfELi16ELi32ELi8ELb1ELb0ELc84ELc76EKS1_S1_EviT_T0_PT8_S3_lS6_S3_lS4_PT9_S3_li.num_agpr, 0
	.set _ZL37rocblas_syrkx_herkx_restricted_kernelIi19rocblas_complex_numIfELi16ELi32ELi8ELb1ELb0ELc84ELc76EKS1_S1_EviT_T0_PT8_S3_lS6_S3_lS4_PT9_S3_li.numbered_sgpr, 22
	.set _ZL37rocblas_syrkx_herkx_restricted_kernelIi19rocblas_complex_numIfELi16ELi32ELi8ELb1ELb0ELc84ELc76EKS1_S1_EviT_T0_PT8_S3_lS6_S3_lS4_PT9_S3_li.num_named_barrier, 0
	.set _ZL37rocblas_syrkx_herkx_restricted_kernelIi19rocblas_complex_numIfELi16ELi32ELi8ELb1ELb0ELc84ELc76EKS1_S1_EviT_T0_PT8_S3_lS6_S3_lS4_PT9_S3_li.private_seg_size, 0
	.set _ZL37rocblas_syrkx_herkx_restricted_kernelIi19rocblas_complex_numIfELi16ELi32ELi8ELb1ELb0ELc84ELc76EKS1_S1_EviT_T0_PT8_S3_lS6_S3_lS4_PT9_S3_li.uses_vcc, 1
	.set _ZL37rocblas_syrkx_herkx_restricted_kernelIi19rocblas_complex_numIfELi16ELi32ELi8ELb1ELb0ELc84ELc76EKS1_S1_EviT_T0_PT8_S3_lS6_S3_lS4_PT9_S3_li.uses_flat_scratch, 0
	.set _ZL37rocblas_syrkx_herkx_restricted_kernelIi19rocblas_complex_numIfELi16ELi32ELi8ELb1ELb0ELc84ELc76EKS1_S1_EviT_T0_PT8_S3_lS6_S3_lS4_PT9_S3_li.has_dyn_sized_stack, 0
	.set _ZL37rocblas_syrkx_herkx_restricted_kernelIi19rocblas_complex_numIfELi16ELi32ELi8ELb1ELb0ELc84ELc76EKS1_S1_EviT_T0_PT8_S3_lS6_S3_lS4_PT9_S3_li.has_recursion, 0
	.set _ZL37rocblas_syrkx_herkx_restricted_kernelIi19rocblas_complex_numIfELi16ELi32ELi8ELb1ELb0ELc84ELc76EKS1_S1_EviT_T0_PT8_S3_lS6_S3_lS4_PT9_S3_li.has_indirect_call, 0
	.section	.AMDGPU.csdata,"",@progbits
; Kernel info:
; codeLenInByte = 1960
; TotalNumSgprs: 26
; NumVgprs: 41
; ScratchSize: 0
; MemoryBound: 0
; FloatMode: 240
; IeeeMode: 1
; LDSByteSize: 4096 bytes/workgroup (compile time only)
; SGPRBlocks: 3
; VGPRBlocks: 10
; NumSGPRsForWavesPerEU: 26
; NumVGPRsForWavesPerEU: 41
; Occupancy: 5
; WaveLimiterHint : 0
; COMPUTE_PGM_RSRC2:SCRATCH_EN: 0
; COMPUTE_PGM_RSRC2:USER_SGPR: 6
; COMPUTE_PGM_RSRC2:TRAP_HANDLER: 0
; COMPUTE_PGM_RSRC2:TGID_X_EN: 1
; COMPUTE_PGM_RSRC2:TGID_Y_EN: 1
; COMPUTE_PGM_RSRC2:TGID_Z_EN: 1
; COMPUTE_PGM_RSRC2:TIDIG_COMP_CNT: 1
	.section	.text._ZL37rocblas_syrkx_herkx_restricted_kernelIi19rocblas_complex_numIfELi16ELi32ELi8ELb1ELb0ELc67ELc76EKS1_S1_EviT_T0_PT8_S3_lS6_S3_lS4_PT9_S3_li,"axG",@progbits,_ZL37rocblas_syrkx_herkx_restricted_kernelIi19rocblas_complex_numIfELi16ELi32ELi8ELb1ELb0ELc67ELc76EKS1_S1_EviT_T0_PT8_S3_lS6_S3_lS4_PT9_S3_li,comdat
	.globl	_ZL37rocblas_syrkx_herkx_restricted_kernelIi19rocblas_complex_numIfELi16ELi32ELi8ELb1ELb0ELc67ELc76EKS1_S1_EviT_T0_PT8_S3_lS6_S3_lS4_PT9_S3_li ; -- Begin function _ZL37rocblas_syrkx_herkx_restricted_kernelIi19rocblas_complex_numIfELi16ELi32ELi8ELb1ELb0ELc67ELc76EKS1_S1_EviT_T0_PT8_S3_lS6_S3_lS4_PT9_S3_li
	.p2align	8
	.type	_ZL37rocblas_syrkx_herkx_restricted_kernelIi19rocblas_complex_numIfELi16ELi32ELi8ELb1ELb0ELc67ELc76EKS1_S1_EviT_T0_PT8_S3_lS6_S3_lS4_PT9_S3_li,@function
_ZL37rocblas_syrkx_herkx_restricted_kernelIi19rocblas_complex_numIfELi16ELi32ELi8ELb1ELb0ELc67ELc76EKS1_S1_EviT_T0_PT8_S3_lS6_S3_lS4_PT9_S3_li: ; @_ZL37rocblas_syrkx_herkx_restricted_kernelIi19rocblas_complex_numIfELi16ELi32ELi8ELb1ELb0ELc67ELc76EKS1_S1_EviT_T0_PT8_S3_lS6_S3_lS4_PT9_S3_li
; %bb.0:
	s_load_dwordx2 s[10:11], s[4:5], 0x0
	s_load_dwordx4 s[12:15], s[4:5], 0x8
	s_lshl_b32 s6, s6, 5
	s_lshl_b32 s7, s7, 5
	s_mov_b32 s9, 0
	s_waitcnt lgkmcnt(0)
	s_cmp_lt_i32 s11, 1
	s_cbranch_scc1 .LBB181_3
; %bb.1:
	v_lshl_add_u32 v3, v1, 4, v0
	v_and_b32_e32 v7, 31, v3
	s_load_dword s20, s[4:5], 0x18
	s_load_dwordx4 s[0:3], s[4:5], 0x20
	s_load_dword s18, s[4:5], 0x30
	s_load_dwordx2 s[16:17], s[4:5], 0x38
	v_lshrrev_b32_e32 v2, 5, v3
	v_and_b32_e32 v9, 7, v0
	v_lshlrev_b32_e32 v8, 3, v7
	v_lshrrev_b32_e32 v6, 3, v3
	v_lshl_or_b32 v11, v2, 8, v8
	v_lshlrev_b32_e32 v8, 3, v9
	v_add_u32_e32 v3, s7, v6
	v_lshl_or_b32 v6, v6, 6, v8
	v_mov_b32_e32 v10, 0
	v_add_u32_e32 v12, 0x800, v6
	v_mov_b32_e32 v6, 0x800
	s_waitcnt lgkmcnt(0)
	v_mad_i64_i32 v[4:5], s[18:19], s18, v3, v[9:10]
	v_mov_b32_e32 v3, v10
	v_lshl_add_u32 v14, v1, 6, v6
	v_add_u32_e32 v6, s6, v7
	v_mad_i64_i32 v[2:3], s[18:19], s20, v6, v[2:3]
	s_mul_i32 s1, s1, s8
	s_mul_hi_u32 s21, s0, s8
	s_add_i32 s1, s21, s1
	s_mul_i32 s0, s0, s8
	s_lshl_b64 s[0:1], s[0:1], 3
	v_lshlrev_b64 v[2:3], 3, v[2:3]
	s_add_u32 s0, s14, s0
	s_addc_u32 s1, s15, s1
	v_mov_b32_e32 v6, s1
	v_add_co_u32_e32 v2, vcc, s0, v2
	s_mul_i32 s0, s17, s8
	s_mul_hi_u32 s1, s16, s8
	v_addc_co_u32_e32 v3, vcc, v6, v3, vcc
	s_add_i32 s1, s1, s0
	s_mul_i32 s0, s16, s8
	v_add_co_u32_e32 v6, vcc, 4, v2
	s_lshl_b64 s[0:1], s[0:1], 3
	v_addc_co_u32_e32 v7, vcc, 0, v3, vcc
	v_lshlrev_b64 v[2:3], 3, v[4:5]
	s_add_u32 s0, s2, s0
	s_addc_u32 s1, s3, s1
	v_mov_b32_e32 v4, s1
	v_add_co_u32_e32 v2, vcc, s0, v2
	v_addc_co_u32_e32 v3, vcc, v4, v3, vcc
	v_add_co_u32_e32 v8, vcc, 4, v2
	v_lshlrev_b32_e32 v13, 3, v0
	v_addc_co_u32_e32 v9, vcc, 0, v3, vcc
	v_mov_b32_e32 v15, v10
	v_mov_b32_e32 v17, v10
	;; [unrolled: 1-line block ×7, first 2 shown]
.LBB181_2:                              ; =>This Inner Loop Header: Depth=1
	global_load_dwordx2 v[2:3], v[6:7], off offset:-4
	v_add_co_u32_e32 v6, vcc, 64, v6
	v_addc_co_u32_e32 v7, vcc, 0, v7, vcc
	s_add_i32 s9, s9, 8
	s_cmp_ge_i32 s9, s11
	s_waitcnt vmcnt(0)
	ds_write_b64 v11, v[2:3]
	global_load_dwordx2 v[2:3], v[8:9], off offset:-4
	v_add_co_u32_e32 v8, vcc, 64, v8
	v_addc_co_u32_e32 v9, vcc, 0, v9, vcc
	s_waitcnt vmcnt(0)
	ds_write_b64 v12, v[2:3]
	s_waitcnt lgkmcnt(0)
	s_barrier
	ds_read_b128 v[22:25], v14
	ds_read_b128 v[26:29], v14 offset:16
	ds_read_b128 v[30:33], v14 offset:32
	;; [unrolled: 1-line block ×3, first 2 shown]
	ds_read2_b64 v[34:37], v13 offset1:16
	s_waitcnt lgkmcnt(0)
	v_mul_f32_e32 v38, v23, v35
	v_mul_f32_e32 v39, v22, v35
	v_fma_f32 v38, v22, v34, -v38
	v_fmac_f32_e32 v39, v23, v34
	v_add_f32_e32 v38, v20, v38
	v_add_f32_e32 v39, v21, v39
	v_mul_f32_e32 v20, v23, v37
	v_mul_f32_e32 v21, v22, v37
	v_fma_f32 v20, v22, v36, -v20
	v_fmac_f32_e32 v21, v23, v36
	v_add_f32_e32 v22, v18, v20
	v_add_f32_e32 v23, v19, v21
	ds_read_b128 v[18:21], v14 offset:1024
	s_waitcnt lgkmcnt(0)
	v_mul_f32_e32 v40, v19, v35
	v_mul_f32_e32 v35, v18, v35
	v_fma_f32 v40, v18, v34, -v40
	v_fmac_f32_e32 v35, v19, v34
	v_add_f32_e32 v34, v16, v40
	v_add_f32_e32 v35, v17, v35
	v_mul_f32_e32 v16, v19, v37
	v_mul_f32_e32 v17, v18, v37
	v_fma_f32 v16, v18, v36, -v16
	v_fmac_f32_e32 v17, v19, v36
	v_add_f32_e32 v19, v15, v16
	v_add_f32_e32 v10, v10, v17
	ds_read2_b64 v[15:18], v13 offset0:32 offset1:48
	s_waitcnt lgkmcnt(0)
	v_mul_f32_e32 v36, v25, v16
	v_fma_f32 v36, v24, v15, -v36
	v_add_f32_e32 v36, v38, v36
	v_mul_f32_e32 v38, v25, v18
	v_mul_f32_e32 v37, v24, v16
	v_fma_f32 v38, v24, v17, -v38
	v_mul_f32_e32 v24, v24, v18
	v_fmac_f32_e32 v24, v25, v17
	v_add_f32_e32 v23, v23, v24
	v_mul_f32_e32 v24, v21, v16
	v_mul_f32_e32 v16, v20, v16
	v_fmac_f32_e32 v16, v21, v15
	v_fmac_f32_e32 v37, v25, v15
	v_fma_f32 v24, v20, v15, -v24
	v_add_f32_e32 v25, v35, v16
	v_mul_f32_e32 v15, v21, v18
	v_mul_f32_e32 v16, v20, v18
	v_fma_f32 v15, v20, v17, -v15
	v_fmac_f32_e32 v16, v21, v17
	v_add_f32_e32 v24, v34, v24
	v_add_f32_e32 v34, v19, v15
	v_add_f32_e32 v10, v10, v16
	ds_read2_b64 v[15:18], v13 offset0:64 offset1:80
	v_add_f32_e32 v37, v39, v37
	v_add_f32_e32 v22, v22, v38
	s_waitcnt lgkmcnt(0)
	v_mul_f32_e32 v19, v27, v16
	v_mul_f32_e32 v20, v26, v16
	v_fma_f32 v19, v26, v15, -v19
	v_fmac_f32_e32 v20, v27, v15
	v_add_f32_e32 v35, v36, v19
	v_add_f32_e32 v36, v37, v20
	v_mul_f32_e32 v19, v27, v18
	v_mul_f32_e32 v20, v26, v18
	v_fma_f32 v19, v26, v17, -v19
	v_fmac_f32_e32 v20, v27, v17
	v_add_f32_e32 v26, v22, v19
	v_add_f32_e32 v23, v23, v20
	ds_read_b128 v[19:22], v14 offset:1040
	s_waitcnt lgkmcnt(0)
	v_mul_f32_e32 v27, v20, v16
	v_mul_f32_e32 v16, v19, v16
	v_fmac_f32_e32 v16, v20, v15
	v_fma_f32 v27, v19, v15, -v27
	v_add_f32_e32 v25, v25, v16
	v_mul_f32_e32 v15, v20, v18
	v_mul_f32_e32 v16, v19, v18
	v_fma_f32 v15, v19, v17, -v15
	v_fmac_f32_e32 v16, v20, v17
	v_add_f32_e32 v19, v34, v15
	v_add_f32_e32 v10, v10, v16
	ds_read2_b64 v[15:18], v13 offset0:96 offset1:112
	v_add_f32_e32 v24, v24, v27
	s_waitcnt lgkmcnt(0)
	v_mul_f32_e32 v20, v29, v16
	v_mul_f32_e32 v34, v29, v18
	v_fma_f32 v20, v28, v15, -v20
	v_mul_f32_e32 v27, v28, v16
	v_fma_f32 v34, v28, v17, -v34
	v_mul_f32_e32 v28, v28, v18
	v_fmac_f32_e32 v28, v29, v17
	v_add_f32_e32 v23, v23, v28
	v_mul_f32_e32 v28, v22, v16
	v_mul_f32_e32 v16, v21, v16
	v_fmac_f32_e32 v16, v22, v15
	v_fmac_f32_e32 v27, v29, v15
	v_fma_f32 v28, v21, v15, -v28
	v_add_f32_e32 v25, v25, v16
	v_mul_f32_e32 v15, v22, v18
	v_mul_f32_e32 v16, v21, v18
	v_fma_f32 v15, v21, v17, -v15
	v_fmac_f32_e32 v16, v22, v17
	v_add_f32_e32 v24, v24, v28
	v_add_f32_e32 v28, v19, v15
	;; [unrolled: 1-line block ×3, first 2 shown]
	ds_read2_b64 v[15:18], v13 offset0:128 offset1:144
	v_add_f32_e32 v20, v35, v20
	v_add_f32_e32 v27, v36, v27
	;; [unrolled: 1-line block ×3, first 2 shown]
	s_waitcnt lgkmcnt(0)
	v_mul_f32_e32 v19, v31, v16
	v_fma_f32 v19, v30, v15, -v19
	v_mul_f32_e32 v21, v30, v16
	v_add_f32_e32 v29, v20, v19
	v_mul_f32_e32 v19, v31, v18
	v_mul_f32_e32 v20, v30, v18
	v_fmac_f32_e32 v21, v31, v15
	v_fma_f32 v19, v30, v17, -v19
	v_fmac_f32_e32 v20, v31, v17
	v_add_f32_e32 v27, v27, v21
	v_add_f32_e32 v26, v26, v19
	;; [unrolled: 1-line block ×3, first 2 shown]
	ds_read_b128 v[19:22], v14 offset:1056
	s_waitcnt lgkmcnt(0)
	v_mul_f32_e32 v30, v20, v16
	v_mul_f32_e32 v16, v19, v16
	v_fmac_f32_e32 v16, v20, v15
	v_fma_f32 v30, v19, v15, -v30
	v_add_f32_e32 v25, v25, v16
	v_mul_f32_e32 v15, v20, v18
	v_mul_f32_e32 v16, v19, v18
	v_fma_f32 v15, v19, v17, -v15
	v_fmac_f32_e32 v16, v20, v17
	v_add_f32_e32 v19, v28, v15
	v_add_f32_e32 v10, v10, v16
	ds_read2_b64 v[15:18], v13 offset0:160 offset1:176
	v_add_f32_e32 v24, v24, v30
	s_waitcnt lgkmcnt(0)
	v_mul_f32_e32 v28, v32, v16
	v_fmac_f32_e32 v28, v33, v15
	v_add_f32_e32 v27, v27, v28
	v_mul_f32_e32 v28, v33, v18
	v_fma_f32 v28, v32, v17, -v28
	v_mul_f32_e32 v20, v33, v16
	v_add_f32_e32 v26, v26, v28
	v_mul_f32_e32 v28, v22, v16
	v_mul_f32_e32 v16, v21, v16
	v_fmac_f32_e32 v16, v22, v15
	v_fma_f32 v20, v32, v15, -v20
	v_fma_f32 v28, v21, v15, -v28
	v_add_f32_e32 v25, v25, v16
	v_mul_f32_e32 v15, v22, v18
	v_mul_f32_e32 v16, v21, v18
	v_add_f32_e32 v20, v29, v20
	v_mul_f32_e32 v29, v32, v18
	v_fma_f32 v15, v21, v17, -v15
	v_fmac_f32_e32 v16, v22, v17
	v_fmac_f32_e32 v29, v33, v17
	v_add_f32_e32 v19, v19, v15
	v_add_f32_e32 v10, v10, v16
	ds_read2_b64 v[15:18], v13 offset0:192 offset1:208
	v_add_f32_e32 v24, v24, v28
	v_add_f32_e32 v23, v23, v29
	s_waitcnt lgkmcnt(0)
	v_mul_f32_e32 v21, v3, v16
	v_fma_f32 v21, v2, v15, -v21
	v_add_f32_e32 v28, v20, v21
	v_mul_f32_e32 v20, v3, v18
	v_mul_f32_e32 v22, v2, v16
	v_fma_f32 v20, v2, v17, -v20
	v_mul_f32_e32 v2, v2, v18
	v_fmac_f32_e32 v22, v3, v15
	v_fmac_f32_e32 v2, v3, v17
	v_add_f32_e32 v29, v27, v22
	v_add_f32_e32 v3, v26, v20
	;; [unrolled: 1-line block ×3, first 2 shown]
	ds_read_b128 v[20:23], v14 offset:1072
	s_waitcnt lgkmcnt(0)
	v_mul_f32_e32 v26, v21, v16
	v_mul_f32_e32 v16, v20, v16
	v_fma_f32 v26, v20, v15, -v26
	v_fmac_f32_e32 v16, v21, v15
	v_add_f32_e32 v15, v24, v26
	v_add_f32_e32 v30, v25, v16
	ds_read2_b64 v[24:27], v13 offset0:224 offset1:240
	v_mul_f32_e32 v16, v21, v18
	v_fma_f32 v16, v20, v17, -v16
	v_add_f32_e32 v31, v19, v16
	v_mul_f32_e32 v18, v20, v18
	s_waitcnt lgkmcnt(0)
	v_mul_f32_e32 v16, v5, v25
	v_fma_f32 v16, v4, v24, -v16
	v_add_f32_e32 v20, v28, v16
	v_mul_f32_e32 v16, v5, v27
	v_fmac_f32_e32 v18, v21, v17
	v_mul_f32_e32 v17, v4, v25
	v_fma_f32 v16, v4, v26, -v16
	v_mul_f32_e32 v4, v4, v27
	v_fmac_f32_e32 v4, v5, v26
	v_add_f32_e32 v10, v10, v18
	v_add_f32_e32 v18, v3, v16
	;; [unrolled: 1-line block ×3, first 2 shown]
	v_mul_f32_e32 v2, v23, v25
	v_mul_f32_e32 v3, v22, v25
	v_fmac_f32_e32 v17, v5, v24
	v_fma_f32 v2, v22, v24, -v2
	v_fmac_f32_e32 v3, v23, v24
	v_add_f32_e32 v21, v29, v17
	v_add_f32_e32 v16, v15, v2
	;; [unrolled: 1-line block ×3, first 2 shown]
	v_mul_f32_e32 v2, v23, v27
	v_mul_f32_e32 v3, v22, v27
	v_fma_f32 v2, v22, v26, -v2
	v_fmac_f32_e32 v3, v23, v26
	v_add_f32_e32 v15, v31, v2
	v_add_f32_e32 v10, v10, v3
	s_barrier
	s_cbranch_scc0 .LBB181_2
	s_branch .LBB181_4
.LBB181_3:
	v_mov_b32_e32 v20, 0
	v_mov_b32_e32 v21, 0
	;; [unrolled: 1-line block ×8, first 2 shown]
.LBB181_4:
	s_load_dwordx2 s[0:1], s[4:5], 0x58
	s_load_dwordx2 s[2:3], s[4:5], 0x48
	s_load_dword s9, s[4:5], 0x50
	v_add_u32_e32 v4, s7, v1
	v_add_u32_e32 v0, s6, v0
	s_waitcnt lgkmcnt(0)
	s_mul_i32 s1, s1, s8
	s_mul_hi_u32 s4, s0, s8
	s_add_i32 s1, s4, s1
	v_mad_i64_i32 v[1:2], s[4:5], v4, s9, 0
	s_mul_i32 s0, s0, s8
	s_lshl_b64 s[0:1], s[0:1], 3
	s_add_u32 s7, s2, s0
	v_lshlrev_b64 v[1:2], 3, v[1:2]
	s_addc_u32 s8, s3, s1
	v_mov_b32_e32 v3, s8
	v_add_co_u32_e32 v5, vcc, s7, v1
	v_addc_co_u32_e32 v6, vcc, v3, v2, vcc
	v_cmp_le_i32_e64 s[0:1], v4, v0
	v_cmp_gt_i32_e32 vcc, s10, v0
	s_and_b64 s[0:1], s[0:1], vcc
	s_and_saveexec_b64 s[2:3], s[0:1]
	s_cbranch_execz .LBB181_6
; %bb.5:
	v_mul_f32_e32 v1, s13, v21
	v_fma_f32 v2, v20, s12, -v1
	v_ashrrev_i32_e32 v1, 31, v0
	v_lshlrev_b64 v[7:8], 3, v[0:1]
	v_mul_f32_e32 v3, s12, v21
	v_add_co_u32_e64 v7, s[0:1], v5, v7
	v_fmac_f32_e32 v3, s13, v20
	v_addc_co_u32_e64 v8, s[0:1], v6, v8, s[0:1]
	global_store_dwordx2 v[7:8], v[2:3], off
.LBB181_6:
	s_or_b64 exec, exec, s[2:3]
	v_add_u32_e32 v2, 16, v0
	v_cmp_le_i32_e64 s[2:3], v4, v2
	v_cmp_gt_i32_e64 s[0:1], s10, v2
	s_and_b64 s[2:3], s[2:3], s[0:1]
	s_and_saveexec_b64 s[4:5], s[2:3]
	s_cbranch_execz .LBB181_8
; %bb.7:
	v_ashrrev_i32_e32 v3, 31, v2
	v_lshlrev_b64 v[11:12], 3, v[2:3]
	v_mul_f32_e32 v1, s13, v19
	v_mul_f32_e32 v8, s12, v19
	v_add_co_u32_e64 v5, s[2:3], v5, v11
	v_fma_f32 v7, v18, s12, -v1
	v_fmac_f32_e32 v8, s13, v18
	v_addc_co_u32_e64 v6, s[2:3], v6, v12, s[2:3]
	global_store_dwordx2 v[5:6], v[7:8], off
.LBB181_8:
	s_or_b64 exec, exec, s[4:5]
	v_add_u32_e32 v3, 16, v4
	v_mad_i64_i32 v[4:5], s[2:3], v3, s9, 0
	v_mov_b32_e32 v1, s8
	v_lshlrev_b64 v[4:5], 3, v[4:5]
	v_add_co_u32_e64 v4, s[2:3], s7, v4
	v_addc_co_u32_e64 v5, s[2:3], v1, v5, s[2:3]
	v_cmp_le_i32_e64 s[2:3], v3, v0
	s_and_b64 s[4:5], s[2:3], vcc
	s_and_saveexec_b64 s[2:3], s[4:5]
	s_cbranch_execz .LBB181_10
; %bb.9:
	v_mul_f32_e32 v1, s13, v17
	v_fma_f32 v6, v16, s12, -v1
	v_ashrrev_i32_e32 v1, 31, v0
	v_lshlrev_b64 v[0:1], 3, v[0:1]
	v_mul_f32_e32 v7, s12, v17
	v_add_co_u32_e32 v0, vcc, v4, v0
	v_fmac_f32_e32 v7, s13, v16
	v_addc_co_u32_e32 v1, vcc, v5, v1, vcc
	global_store_dwordx2 v[0:1], v[6:7], off
.LBB181_10:
	s_or_b64 exec, exec, s[2:3]
	v_cmp_le_i32_e32 vcc, v3, v2
	s_and_b64 s[0:1], vcc, s[0:1]
	s_and_saveexec_b64 s[2:3], s[0:1]
	s_cbranch_execz .LBB181_12
; %bb.11:
	v_ashrrev_i32_e32 v3, 31, v2
	v_lshlrev_b64 v[2:3], 3, v[2:3]
	v_mul_f32_e32 v0, s13, v10
	v_mul_f32_e32 v1, s12, v10
	v_add_co_u32_e32 v2, vcc, v4, v2
	v_fma_f32 v0, v15, s12, -v0
	v_fmac_f32_e32 v1, s13, v15
	v_addc_co_u32_e32 v3, vcc, v5, v3, vcc
	global_store_dwordx2 v[2:3], v[0:1], off
.LBB181_12:
	s_endpgm
	.section	.rodata,"a",@progbits
	.p2align	6, 0x0
	.amdhsa_kernel _ZL37rocblas_syrkx_herkx_restricted_kernelIi19rocblas_complex_numIfELi16ELi32ELi8ELb1ELb0ELc67ELc76EKS1_S1_EviT_T0_PT8_S3_lS6_S3_lS4_PT9_S3_li
		.amdhsa_group_segment_fixed_size 4096
		.amdhsa_private_segment_fixed_size 0
		.amdhsa_kernarg_size 100
		.amdhsa_user_sgpr_count 6
		.amdhsa_user_sgpr_private_segment_buffer 1
		.amdhsa_user_sgpr_dispatch_ptr 0
		.amdhsa_user_sgpr_queue_ptr 0
		.amdhsa_user_sgpr_kernarg_segment_ptr 1
		.amdhsa_user_sgpr_dispatch_id 0
		.amdhsa_user_sgpr_flat_scratch_init 0
		.amdhsa_user_sgpr_private_segment_size 0
		.amdhsa_uses_dynamic_stack 0
		.amdhsa_system_sgpr_private_segment_wavefront_offset 0
		.amdhsa_system_sgpr_workgroup_id_x 1
		.amdhsa_system_sgpr_workgroup_id_y 1
		.amdhsa_system_sgpr_workgroup_id_z 1
		.amdhsa_system_sgpr_workgroup_info 0
		.amdhsa_system_vgpr_workitem_id 1
		.amdhsa_next_free_vgpr 41
		.amdhsa_next_free_sgpr 22
		.amdhsa_reserve_vcc 1
		.amdhsa_reserve_flat_scratch 0
		.amdhsa_float_round_mode_32 0
		.amdhsa_float_round_mode_16_64 0
		.amdhsa_float_denorm_mode_32 3
		.amdhsa_float_denorm_mode_16_64 3
		.amdhsa_dx10_clamp 1
		.amdhsa_ieee_mode 1
		.amdhsa_fp16_overflow 0
		.amdhsa_exception_fp_ieee_invalid_op 0
		.amdhsa_exception_fp_denorm_src 0
		.amdhsa_exception_fp_ieee_div_zero 0
		.amdhsa_exception_fp_ieee_overflow 0
		.amdhsa_exception_fp_ieee_underflow 0
		.amdhsa_exception_fp_ieee_inexact 0
		.amdhsa_exception_int_div_zero 0
	.end_amdhsa_kernel
	.section	.text._ZL37rocblas_syrkx_herkx_restricted_kernelIi19rocblas_complex_numIfELi16ELi32ELi8ELb1ELb0ELc67ELc76EKS1_S1_EviT_T0_PT8_S3_lS6_S3_lS4_PT9_S3_li,"axG",@progbits,_ZL37rocblas_syrkx_herkx_restricted_kernelIi19rocblas_complex_numIfELi16ELi32ELi8ELb1ELb0ELc67ELc76EKS1_S1_EviT_T0_PT8_S3_lS6_S3_lS4_PT9_S3_li,comdat
.Lfunc_end181:
	.size	_ZL37rocblas_syrkx_herkx_restricted_kernelIi19rocblas_complex_numIfELi16ELi32ELi8ELb1ELb0ELc67ELc76EKS1_S1_EviT_T0_PT8_S3_lS6_S3_lS4_PT9_S3_li, .Lfunc_end181-_ZL37rocblas_syrkx_herkx_restricted_kernelIi19rocblas_complex_numIfELi16ELi32ELi8ELb1ELb0ELc67ELc76EKS1_S1_EviT_T0_PT8_S3_lS6_S3_lS4_PT9_S3_li
                                        ; -- End function
	.set _ZL37rocblas_syrkx_herkx_restricted_kernelIi19rocblas_complex_numIfELi16ELi32ELi8ELb1ELb0ELc67ELc76EKS1_S1_EviT_T0_PT8_S3_lS6_S3_lS4_PT9_S3_li.num_vgpr, 41
	.set _ZL37rocblas_syrkx_herkx_restricted_kernelIi19rocblas_complex_numIfELi16ELi32ELi8ELb1ELb0ELc67ELc76EKS1_S1_EviT_T0_PT8_S3_lS6_S3_lS4_PT9_S3_li.num_agpr, 0
	.set _ZL37rocblas_syrkx_herkx_restricted_kernelIi19rocblas_complex_numIfELi16ELi32ELi8ELb1ELb0ELc67ELc76EKS1_S1_EviT_T0_PT8_S3_lS6_S3_lS4_PT9_S3_li.numbered_sgpr, 22
	.set _ZL37rocblas_syrkx_herkx_restricted_kernelIi19rocblas_complex_numIfELi16ELi32ELi8ELb1ELb0ELc67ELc76EKS1_S1_EviT_T0_PT8_S3_lS6_S3_lS4_PT9_S3_li.num_named_barrier, 0
	.set _ZL37rocblas_syrkx_herkx_restricted_kernelIi19rocblas_complex_numIfELi16ELi32ELi8ELb1ELb0ELc67ELc76EKS1_S1_EviT_T0_PT8_S3_lS6_S3_lS4_PT9_S3_li.private_seg_size, 0
	.set _ZL37rocblas_syrkx_herkx_restricted_kernelIi19rocblas_complex_numIfELi16ELi32ELi8ELb1ELb0ELc67ELc76EKS1_S1_EviT_T0_PT8_S3_lS6_S3_lS4_PT9_S3_li.uses_vcc, 1
	.set _ZL37rocblas_syrkx_herkx_restricted_kernelIi19rocblas_complex_numIfELi16ELi32ELi8ELb1ELb0ELc67ELc76EKS1_S1_EviT_T0_PT8_S3_lS6_S3_lS4_PT9_S3_li.uses_flat_scratch, 0
	.set _ZL37rocblas_syrkx_herkx_restricted_kernelIi19rocblas_complex_numIfELi16ELi32ELi8ELb1ELb0ELc67ELc76EKS1_S1_EviT_T0_PT8_S3_lS6_S3_lS4_PT9_S3_li.has_dyn_sized_stack, 0
	.set _ZL37rocblas_syrkx_herkx_restricted_kernelIi19rocblas_complex_numIfELi16ELi32ELi8ELb1ELb0ELc67ELc76EKS1_S1_EviT_T0_PT8_S3_lS6_S3_lS4_PT9_S3_li.has_recursion, 0
	.set _ZL37rocblas_syrkx_herkx_restricted_kernelIi19rocblas_complex_numIfELi16ELi32ELi8ELb1ELb0ELc67ELc76EKS1_S1_EviT_T0_PT8_S3_lS6_S3_lS4_PT9_S3_li.has_indirect_call, 0
	.section	.AMDGPU.csdata,"",@progbits
; Kernel info:
; codeLenInByte = 1960
; TotalNumSgprs: 26
; NumVgprs: 41
; ScratchSize: 0
; MemoryBound: 0
; FloatMode: 240
; IeeeMode: 1
; LDSByteSize: 4096 bytes/workgroup (compile time only)
; SGPRBlocks: 3
; VGPRBlocks: 10
; NumSGPRsForWavesPerEU: 26
; NumVGPRsForWavesPerEU: 41
; Occupancy: 5
; WaveLimiterHint : 0
; COMPUTE_PGM_RSRC2:SCRATCH_EN: 0
; COMPUTE_PGM_RSRC2:USER_SGPR: 6
; COMPUTE_PGM_RSRC2:TRAP_HANDLER: 0
; COMPUTE_PGM_RSRC2:TGID_X_EN: 1
; COMPUTE_PGM_RSRC2:TGID_Y_EN: 1
; COMPUTE_PGM_RSRC2:TGID_Z_EN: 1
; COMPUTE_PGM_RSRC2:TIDIG_COMP_CNT: 1
	.section	.text._ZL37rocblas_syrkx_herkx_restricted_kernelIi19rocblas_complex_numIfELi16ELi32ELi8ELb1ELb0ELc78ELc76EKS1_S1_EviT_T0_PT8_S3_lS6_S3_lS4_PT9_S3_li,"axG",@progbits,_ZL37rocblas_syrkx_herkx_restricted_kernelIi19rocblas_complex_numIfELi16ELi32ELi8ELb1ELb0ELc78ELc76EKS1_S1_EviT_T0_PT8_S3_lS6_S3_lS4_PT9_S3_li,comdat
	.globl	_ZL37rocblas_syrkx_herkx_restricted_kernelIi19rocblas_complex_numIfELi16ELi32ELi8ELb1ELb0ELc78ELc76EKS1_S1_EviT_T0_PT8_S3_lS6_S3_lS4_PT9_S3_li ; -- Begin function _ZL37rocblas_syrkx_herkx_restricted_kernelIi19rocblas_complex_numIfELi16ELi32ELi8ELb1ELb0ELc78ELc76EKS1_S1_EviT_T0_PT8_S3_lS6_S3_lS4_PT9_S3_li
	.p2align	8
	.type	_ZL37rocblas_syrkx_herkx_restricted_kernelIi19rocblas_complex_numIfELi16ELi32ELi8ELb1ELb0ELc78ELc76EKS1_S1_EviT_T0_PT8_S3_lS6_S3_lS4_PT9_S3_li,@function
_ZL37rocblas_syrkx_herkx_restricted_kernelIi19rocblas_complex_numIfELi16ELi32ELi8ELb1ELb0ELc78ELc76EKS1_S1_EviT_T0_PT8_S3_lS6_S3_lS4_PT9_S3_li: ; @_ZL37rocblas_syrkx_herkx_restricted_kernelIi19rocblas_complex_numIfELi16ELi32ELi8ELb1ELb0ELc78ELc76EKS1_S1_EviT_T0_PT8_S3_lS6_S3_lS4_PT9_S3_li
; %bb.0:
	s_load_dwordx2 s[10:11], s[4:5], 0x0
	s_load_dwordx4 s[12:15], s[4:5], 0x8
	s_lshl_b32 s6, s6, 5
	s_lshl_b32 s7, s7, 5
	s_mov_b32 s9, 0
	s_waitcnt lgkmcnt(0)
	s_cmp_lt_i32 s11, 1
	s_cbranch_scc1 .LBB182_3
; %bb.1:
	v_lshl_add_u32 v2, v1, 4, v0
	s_load_dword s16, s[4:5], 0x18
	s_load_dword s18, s[4:5], 0x30
	s_load_dwordx2 s[20:21], s[4:5], 0x38
	s_load_dwordx4 s[0:3], s[4:5], 0x20
	v_lshrrev_b32_e32 v4, 3, v2
	v_lshrrev_b32_e32 v6, 5, v2
	v_and_b32_e32 v7, 31, v2
	v_add_u32_e32 v2, s7, v4
	v_and_b32_e32 v5, 7, v0
	v_ashrrev_i32_e32 v3, 31, v2
	s_waitcnt lgkmcnt(0)
	v_mad_i64_i32 v[2:3], s[22:23], s18, v5, v[2:3]
	v_lshlrev_b32_e32 v5, 3, v5
	v_lshl_or_b32 v4, v4, 6, v5
	v_add_u32_e32 v11, 0x800, v4
	v_mov_b32_e32 v4, 0x800
	v_lshl_add_u32 v13, v1, 6, v4
	v_add_u32_e32 v4, s6, v7
	v_ashrrev_i32_e32 v5, 31, v4
	v_mad_i64_i32 v[4:5], s[22:23], s16, v6, v[4:5]
	s_mul_i32 s1, s1, s8
	s_mul_hi_u32 s24, s0, s8
	s_add_i32 s1, s24, s1
	s_mul_i32 s0, s0, s8
	s_ashr_i32 s17, s16, 31
	s_ashr_i32 s19, s18, 31
	s_lshl_b64 s[0:1], s[0:1], 3
	v_lshlrev_b64 v[4:5], 3, v[4:5]
	s_add_u32 s0, s14, s0
	v_lshlrev_b32_e32 v8, 3, v7
	s_addc_u32 s1, s15, s1
	s_mul_i32 s14, s21, s8
	s_mul_hi_u32 s15, s20, s8
	v_lshl_or_b32 v10, v6, 8, v8
	v_mov_b32_e32 v6, s1
	v_add_co_u32_e32 v4, vcc, s0, v4
	s_add_i32 s15, s15, s14
	s_mul_i32 s14, s20, s8
	v_addc_co_u32_e32 v5, vcc, v6, v5, vcc
	s_lshl_b64 s[0:1], s[16:17], 6
	s_lshl_b64 s[14:15], s[14:15], 3
	v_add_co_u32_e32 v6, vcc, 4, v4
	v_lshlrev_b64 v[2:3], 3, v[2:3]
	s_add_u32 s2, s2, s14
	v_addc_co_u32_e32 v7, vcc, 0, v5, vcc
	s_addc_u32 s3, s3, s15
	v_mov_b32_e32 v4, s3
	v_add_co_u32_e32 v2, vcc, s2, v2
	v_addc_co_u32_e32 v3, vcc, v4, v3, vcc
	v_add_co_u32_e32 v8, vcc, 4, v2
	s_lshl_b64 s[2:3], s[18:19], 6
	v_lshlrev_b32_e32 v12, 3, v0
	v_addc_co_u32_e32 v9, vcc, 0, v3, vcc
	v_mov_b32_e32 v16, 0
	v_mov_b32_e32 v14, s1
	;; [unrolled: 1-line block ×10, first 2 shown]
.LBB182_2:                              ; =>This Inner Loop Header: Depth=1
	global_load_dwordx2 v[2:3], v[6:7], off offset:-4
	v_add_co_u32_e32 v6, vcc, s0, v6
	v_addc_co_u32_e32 v7, vcc, v7, v14, vcc
	s_add_i32 s9, s9, 8
	s_cmp_ge_i32 s9, s11
	s_waitcnt vmcnt(0)
	ds_write_b64 v10, v[2:3]
	global_load_dwordx2 v[2:3], v[8:9], off offset:-4
	v_add_co_u32_e32 v8, vcc, s2, v8
	v_addc_co_u32_e32 v9, vcc, v9, v15, vcc
	s_waitcnt vmcnt(0)
	ds_write_b64 v11, v[2:3]
	s_waitcnt lgkmcnt(0)
	s_barrier
	ds_read_b128 v[24:27], v13
	ds_read_b128 v[28:31], v13 offset:16
	ds_read_b128 v[32:35], v13 offset:32
	;; [unrolled: 1-line block ×3, first 2 shown]
	ds_read2_b64 v[36:39], v12 offset1:16
	s_waitcnt lgkmcnt(0)
	v_mul_f32_e32 v40, v25, v37
	v_mul_f32_e32 v41, v24, v37
	v_fma_f32 v40, v24, v36, -v40
	v_fmac_f32_e32 v41, v25, v36
	v_add_f32_e32 v40, v22, v40
	v_add_f32_e32 v41, v23, v41
	v_mul_f32_e32 v22, v25, v39
	v_mul_f32_e32 v23, v24, v39
	v_fma_f32 v22, v24, v38, -v22
	v_fmac_f32_e32 v23, v25, v38
	v_add_f32_e32 v24, v20, v22
	v_add_f32_e32 v25, v21, v23
	ds_read_b128 v[20:23], v13 offset:1024
	s_waitcnt lgkmcnt(0)
	v_mul_f32_e32 v42, v21, v37
	v_mul_f32_e32 v37, v20, v37
	v_fma_f32 v42, v20, v36, -v42
	v_fmac_f32_e32 v37, v21, v36
	v_add_f32_e32 v36, v18, v42
	v_add_f32_e32 v37, v19, v37
	v_mul_f32_e32 v18, v21, v39
	v_mul_f32_e32 v19, v20, v39
	v_fma_f32 v18, v20, v38, -v18
	v_fmac_f32_e32 v19, v21, v38
	v_add_f32_e32 v20, v17, v18
	v_add_f32_e32 v21, v16, v19
	ds_read2_b64 v[16:19], v12 offset0:32 offset1:48
	s_waitcnt lgkmcnt(0)
	v_mul_f32_e32 v38, v27, v17
	v_fma_f32 v38, v26, v16, -v38
	v_add_f32_e32 v38, v40, v38
	v_mul_f32_e32 v40, v27, v19
	v_mul_f32_e32 v39, v26, v17
	v_fma_f32 v40, v26, v18, -v40
	v_mul_f32_e32 v26, v26, v19
	v_fmac_f32_e32 v26, v27, v18
	v_add_f32_e32 v25, v25, v26
	v_mul_f32_e32 v26, v23, v17
	v_mul_f32_e32 v17, v22, v17
	v_fmac_f32_e32 v17, v23, v16
	v_fmac_f32_e32 v39, v27, v16
	v_fma_f32 v26, v22, v16, -v26
	v_add_f32_e32 v27, v37, v17
	v_mul_f32_e32 v16, v23, v19
	v_mul_f32_e32 v17, v22, v19
	v_fma_f32 v16, v22, v18, -v16
	v_fmac_f32_e32 v17, v23, v18
	v_add_f32_e32 v26, v36, v26
	v_add_f32_e32 v36, v20, v16
	;; [unrolled: 1-line block ×3, first 2 shown]
	ds_read2_b64 v[16:19], v12 offset0:64 offset1:80
	v_add_f32_e32 v39, v41, v39
	v_add_f32_e32 v24, v24, v40
	s_waitcnt lgkmcnt(0)
	v_mul_f32_e32 v20, v29, v17
	v_mul_f32_e32 v21, v28, v17
	v_fma_f32 v20, v28, v16, -v20
	v_fmac_f32_e32 v21, v29, v16
	v_add_f32_e32 v38, v38, v20
	v_add_f32_e32 v39, v39, v21
	v_mul_f32_e32 v20, v29, v19
	v_mul_f32_e32 v21, v28, v19
	v_fma_f32 v20, v28, v18, -v20
	v_fmac_f32_e32 v21, v29, v18
	v_add_f32_e32 v24, v24, v20
	v_add_f32_e32 v25, v25, v21
	ds_read_b128 v[20:23], v13 offset:1040
	s_waitcnt lgkmcnt(0)
	v_mul_f32_e32 v28, v21, v17
	v_mul_f32_e32 v17, v20, v17
	v_fmac_f32_e32 v17, v21, v16
	v_fma_f32 v28, v20, v16, -v28
	v_add_f32_e32 v27, v27, v17
	v_mul_f32_e32 v16, v21, v19
	v_mul_f32_e32 v17, v20, v19
	v_fma_f32 v16, v20, v18, -v16
	v_fmac_f32_e32 v17, v21, v18
	v_add_f32_e32 v20, v36, v16
	v_add_f32_e32 v21, v37, v17
	ds_read2_b64 v[16:19], v12 offset0:96 offset1:112
	v_add_f32_e32 v26, v26, v28
	s_waitcnt lgkmcnt(0)
	v_mul_f32_e32 v28, v31, v17
	v_mul_f32_e32 v36, v31, v19
	v_fma_f32 v28, v30, v16, -v28
	v_mul_f32_e32 v29, v30, v17
	v_fma_f32 v36, v30, v18, -v36
	v_mul_f32_e32 v30, v30, v19
	v_fmac_f32_e32 v30, v31, v18
	v_add_f32_e32 v25, v25, v30
	v_mul_f32_e32 v30, v23, v17
	v_mul_f32_e32 v17, v22, v17
	v_fmac_f32_e32 v17, v23, v16
	v_fmac_f32_e32 v29, v31, v16
	v_fma_f32 v30, v22, v16, -v30
	v_add_f32_e32 v27, v27, v17
	v_mul_f32_e32 v16, v23, v19
	v_mul_f32_e32 v17, v22, v19
	v_fma_f32 v16, v22, v18, -v16
	v_fmac_f32_e32 v17, v23, v18
	v_add_f32_e32 v26, v26, v30
	v_add_f32_e32 v30, v20, v16
	;; [unrolled: 1-line block ×3, first 2 shown]
	ds_read2_b64 v[16:19], v12 offset0:128 offset1:144
	v_add_f32_e32 v28, v38, v28
	v_add_f32_e32 v29, v39, v29
	;; [unrolled: 1-line block ×3, first 2 shown]
	s_waitcnt lgkmcnt(0)
	v_mul_f32_e32 v20, v33, v17
	v_mul_f32_e32 v21, v32, v17
	v_fma_f32 v20, v32, v16, -v20
	v_fmac_f32_e32 v21, v33, v16
	v_add_f32_e32 v28, v28, v20
	v_add_f32_e32 v29, v29, v21
	v_mul_f32_e32 v20, v33, v19
	v_mul_f32_e32 v21, v32, v19
	v_fma_f32 v20, v32, v18, -v20
	v_fmac_f32_e32 v21, v33, v18
	v_add_f32_e32 v24, v24, v20
	v_add_f32_e32 v25, v25, v21
	ds_read_b128 v[20:23], v13 offset:1056
	s_waitcnt lgkmcnt(0)
	v_mul_f32_e32 v32, v21, v17
	v_mul_f32_e32 v17, v20, v17
	v_fmac_f32_e32 v17, v21, v16
	v_fma_f32 v32, v20, v16, -v32
	v_add_f32_e32 v27, v27, v17
	v_mul_f32_e32 v16, v21, v19
	v_mul_f32_e32 v17, v20, v19
	v_fma_f32 v16, v20, v18, -v16
	v_fmac_f32_e32 v17, v21, v18
	v_add_f32_e32 v20, v30, v16
	v_add_f32_e32 v21, v31, v17
	ds_read2_b64 v[16:19], v12 offset0:160 offset1:176
	v_add_f32_e32 v26, v26, v32
	s_waitcnt lgkmcnt(0)
	v_mul_f32_e32 v30, v35, v17
	v_fma_f32 v30, v34, v16, -v30
	v_add_f32_e32 v28, v28, v30
	v_mul_f32_e32 v30, v35, v19
	v_fma_f32 v30, v34, v18, -v30
	v_mul_f32_e32 v31, v34, v17
	v_add_f32_e32 v24, v24, v30
	v_mul_f32_e32 v30, v23, v17
	v_mul_f32_e32 v17, v22, v17
	v_fmac_f32_e32 v17, v23, v16
	v_fmac_f32_e32 v31, v35, v16
	v_fma_f32 v30, v22, v16, -v30
	v_add_f32_e32 v27, v27, v17
	v_mul_f32_e32 v16, v23, v19
	v_mul_f32_e32 v17, v22, v19
	v_add_f32_e32 v29, v29, v31
	v_mul_f32_e32 v31, v34, v19
	v_fma_f32 v16, v22, v18, -v16
	v_fmac_f32_e32 v17, v23, v18
	v_fmac_f32_e32 v31, v35, v18
	v_add_f32_e32 v20, v20, v16
	v_add_f32_e32 v21, v21, v17
	ds_read2_b64 v[16:19], v12 offset0:192 offset1:208
	v_add_f32_e32 v26, v26, v30
	v_add_f32_e32 v25, v25, v31
	s_waitcnt lgkmcnt(0)
	v_mul_f32_e32 v22, v3, v17
	v_fma_f32 v22, v2, v16, -v22
	v_add_f32_e32 v30, v28, v22
	v_mul_f32_e32 v22, v3, v19
	v_mul_f32_e32 v23, v2, v17
	v_fma_f32 v22, v2, v18, -v22
	v_mul_f32_e32 v2, v2, v19
	v_fmac_f32_e32 v23, v3, v16
	v_fmac_f32_e32 v2, v3, v18
	v_add_f32_e32 v31, v29, v23
	v_add_f32_e32 v3, v24, v22
	;; [unrolled: 1-line block ×3, first 2 shown]
	ds_read_b128 v[22:25], v13 offset:1072
	s_waitcnt lgkmcnt(0)
	v_mul_f32_e32 v28, v23, v17
	v_fma_f32 v28, v22, v16, -v28
	v_mul_f32_e32 v17, v22, v17
	v_fmac_f32_e32 v17, v23, v16
	v_add_f32_e32 v16, v26, v28
	v_mul_f32_e32 v26, v23, v19
	v_fma_f32 v26, v22, v18, -v26
	v_add_f32_e32 v17, v27, v17
	v_add_f32_e32 v32, v20, v26
	ds_read2_b64 v[26:29], v12 offset0:224 offset1:240
	v_mul_f32_e32 v19, v22, v19
	v_fmac_f32_e32 v19, v23, v18
	v_add_f32_e32 v33, v21, v19
	s_waitcnt lgkmcnt(0)
	v_mul_f32_e32 v18, v5, v27
	v_fma_f32 v18, v4, v26, -v18
	v_add_f32_e32 v22, v30, v18
	v_mul_f32_e32 v18, v5, v29
	v_mul_f32_e32 v19, v4, v27
	v_fma_f32 v18, v4, v28, -v18
	v_mul_f32_e32 v4, v4, v29
	v_fmac_f32_e32 v4, v5, v28
	v_add_f32_e32 v20, v3, v18
	v_add_f32_e32 v21, v2, v4
	v_mul_f32_e32 v2, v25, v27
	v_mul_f32_e32 v3, v24, v27
	v_fmac_f32_e32 v19, v5, v26
	v_fma_f32 v2, v24, v26, -v2
	v_fmac_f32_e32 v3, v25, v26
	v_add_f32_e32 v23, v31, v19
	v_add_f32_e32 v18, v16, v2
	;; [unrolled: 1-line block ×3, first 2 shown]
	v_mul_f32_e32 v2, v25, v29
	v_mul_f32_e32 v3, v24, v29
	v_fma_f32 v2, v24, v28, -v2
	v_fmac_f32_e32 v3, v25, v28
	v_add_f32_e32 v17, v32, v2
	v_add_f32_e32 v16, v33, v3
	s_barrier
	s_cbranch_scc0 .LBB182_2
	s_branch .LBB182_4
.LBB182_3:
	v_mov_b32_e32 v22, 0
	v_mov_b32_e32 v23, 0
	;; [unrolled: 1-line block ×8, first 2 shown]
.LBB182_4:
	s_load_dwordx2 s[0:1], s[4:5], 0x58
	s_load_dwordx2 s[2:3], s[4:5], 0x48
	s_load_dword s9, s[4:5], 0x50
	v_add_u32_e32 v4, s7, v1
	v_add_u32_e32 v0, s6, v0
	s_waitcnt lgkmcnt(0)
	s_mul_i32 s1, s1, s8
	s_mul_hi_u32 s4, s0, s8
	s_add_i32 s1, s4, s1
	v_mad_i64_i32 v[1:2], s[4:5], v4, s9, 0
	s_mul_i32 s0, s0, s8
	s_lshl_b64 s[0:1], s[0:1], 3
	s_add_u32 s7, s2, s0
	v_lshlrev_b64 v[1:2], 3, v[1:2]
	s_addc_u32 s8, s3, s1
	v_mov_b32_e32 v3, s8
	v_add_co_u32_e32 v5, vcc, s7, v1
	v_addc_co_u32_e32 v6, vcc, v3, v2, vcc
	v_cmp_le_i32_e64 s[0:1], v4, v0
	v_cmp_gt_i32_e32 vcc, s10, v0
	s_and_b64 s[0:1], s[0:1], vcc
	s_and_saveexec_b64 s[2:3], s[0:1]
	s_cbranch_execz .LBB182_6
; %bb.5:
	v_mul_f32_e32 v1, s13, v23
	v_fma_f32 v2, v22, s12, -v1
	v_ashrrev_i32_e32 v1, 31, v0
	v_lshlrev_b64 v[7:8], 3, v[0:1]
	v_mul_f32_e32 v3, s12, v23
	v_add_co_u32_e64 v7, s[0:1], v5, v7
	v_fmac_f32_e32 v3, s13, v22
	v_addc_co_u32_e64 v8, s[0:1], v6, v8, s[0:1]
	global_store_dwordx2 v[7:8], v[2:3], off
.LBB182_6:
	s_or_b64 exec, exec, s[2:3]
	v_add_u32_e32 v2, 16, v0
	v_cmp_le_i32_e64 s[2:3], v4, v2
	v_cmp_gt_i32_e64 s[0:1], s10, v2
	s_and_b64 s[2:3], s[2:3], s[0:1]
	s_and_saveexec_b64 s[4:5], s[2:3]
	s_cbranch_execz .LBB182_8
; %bb.7:
	v_ashrrev_i32_e32 v3, 31, v2
	v_lshlrev_b64 v[9:10], 3, v[2:3]
	v_mul_f32_e32 v1, s13, v21
	v_mul_f32_e32 v8, s12, v21
	v_add_co_u32_e64 v5, s[2:3], v5, v9
	v_fma_f32 v7, v20, s12, -v1
	v_fmac_f32_e32 v8, s13, v20
	v_addc_co_u32_e64 v6, s[2:3], v6, v10, s[2:3]
	global_store_dwordx2 v[5:6], v[7:8], off
.LBB182_8:
	s_or_b64 exec, exec, s[4:5]
	v_add_u32_e32 v3, 16, v4
	v_mad_i64_i32 v[4:5], s[2:3], v3, s9, 0
	v_mov_b32_e32 v1, s8
	v_lshlrev_b64 v[4:5], 3, v[4:5]
	v_add_co_u32_e64 v4, s[2:3], s7, v4
	v_addc_co_u32_e64 v5, s[2:3], v1, v5, s[2:3]
	v_cmp_le_i32_e64 s[2:3], v3, v0
	s_and_b64 s[4:5], s[2:3], vcc
	s_and_saveexec_b64 s[2:3], s[4:5]
	s_cbranch_execz .LBB182_10
; %bb.9:
	v_mul_f32_e32 v1, s13, v19
	v_fma_f32 v6, v18, s12, -v1
	v_ashrrev_i32_e32 v1, 31, v0
	v_lshlrev_b64 v[0:1], 3, v[0:1]
	v_mul_f32_e32 v7, s12, v19
	v_add_co_u32_e32 v0, vcc, v4, v0
	v_fmac_f32_e32 v7, s13, v18
	v_addc_co_u32_e32 v1, vcc, v5, v1, vcc
	global_store_dwordx2 v[0:1], v[6:7], off
.LBB182_10:
	s_or_b64 exec, exec, s[2:3]
	v_cmp_le_i32_e32 vcc, v3, v2
	s_and_b64 s[0:1], vcc, s[0:1]
	s_and_saveexec_b64 s[2:3], s[0:1]
	s_cbranch_execz .LBB182_12
; %bb.11:
	v_ashrrev_i32_e32 v3, 31, v2
	v_lshlrev_b64 v[2:3], 3, v[2:3]
	v_mul_f32_e32 v0, s13, v16
	v_mul_f32_e32 v1, s12, v16
	v_add_co_u32_e32 v2, vcc, v4, v2
	v_fma_f32 v0, v17, s12, -v0
	v_fmac_f32_e32 v1, s13, v17
	v_addc_co_u32_e32 v3, vcc, v5, v3, vcc
	global_store_dwordx2 v[2:3], v[0:1], off
.LBB182_12:
	s_endpgm
	.section	.rodata,"a",@progbits
	.p2align	6, 0x0
	.amdhsa_kernel _ZL37rocblas_syrkx_herkx_restricted_kernelIi19rocblas_complex_numIfELi16ELi32ELi8ELb1ELb0ELc78ELc76EKS1_S1_EviT_T0_PT8_S3_lS6_S3_lS4_PT9_S3_li
		.amdhsa_group_segment_fixed_size 4096
		.amdhsa_private_segment_fixed_size 0
		.amdhsa_kernarg_size 100
		.amdhsa_user_sgpr_count 6
		.amdhsa_user_sgpr_private_segment_buffer 1
		.amdhsa_user_sgpr_dispatch_ptr 0
		.amdhsa_user_sgpr_queue_ptr 0
		.amdhsa_user_sgpr_kernarg_segment_ptr 1
		.amdhsa_user_sgpr_dispatch_id 0
		.amdhsa_user_sgpr_flat_scratch_init 0
		.amdhsa_user_sgpr_private_segment_size 0
		.amdhsa_uses_dynamic_stack 0
		.amdhsa_system_sgpr_private_segment_wavefront_offset 0
		.amdhsa_system_sgpr_workgroup_id_x 1
		.amdhsa_system_sgpr_workgroup_id_y 1
		.amdhsa_system_sgpr_workgroup_id_z 1
		.amdhsa_system_sgpr_workgroup_info 0
		.amdhsa_system_vgpr_workitem_id 1
		.amdhsa_next_free_vgpr 43
		.amdhsa_next_free_sgpr 25
		.amdhsa_reserve_vcc 1
		.amdhsa_reserve_flat_scratch 0
		.amdhsa_float_round_mode_32 0
		.amdhsa_float_round_mode_16_64 0
		.amdhsa_float_denorm_mode_32 3
		.amdhsa_float_denorm_mode_16_64 3
		.amdhsa_dx10_clamp 1
		.amdhsa_ieee_mode 1
		.amdhsa_fp16_overflow 0
		.amdhsa_exception_fp_ieee_invalid_op 0
		.amdhsa_exception_fp_denorm_src 0
		.amdhsa_exception_fp_ieee_div_zero 0
		.amdhsa_exception_fp_ieee_overflow 0
		.amdhsa_exception_fp_ieee_underflow 0
		.amdhsa_exception_fp_ieee_inexact 0
		.amdhsa_exception_int_div_zero 0
	.end_amdhsa_kernel
	.section	.text._ZL37rocblas_syrkx_herkx_restricted_kernelIi19rocblas_complex_numIfELi16ELi32ELi8ELb1ELb0ELc78ELc76EKS1_S1_EviT_T0_PT8_S3_lS6_S3_lS4_PT9_S3_li,"axG",@progbits,_ZL37rocblas_syrkx_herkx_restricted_kernelIi19rocblas_complex_numIfELi16ELi32ELi8ELb1ELb0ELc78ELc76EKS1_S1_EviT_T0_PT8_S3_lS6_S3_lS4_PT9_S3_li,comdat
.Lfunc_end182:
	.size	_ZL37rocblas_syrkx_herkx_restricted_kernelIi19rocblas_complex_numIfELi16ELi32ELi8ELb1ELb0ELc78ELc76EKS1_S1_EviT_T0_PT8_S3_lS6_S3_lS4_PT9_S3_li, .Lfunc_end182-_ZL37rocblas_syrkx_herkx_restricted_kernelIi19rocblas_complex_numIfELi16ELi32ELi8ELb1ELb0ELc78ELc76EKS1_S1_EviT_T0_PT8_S3_lS6_S3_lS4_PT9_S3_li
                                        ; -- End function
	.set _ZL37rocblas_syrkx_herkx_restricted_kernelIi19rocblas_complex_numIfELi16ELi32ELi8ELb1ELb0ELc78ELc76EKS1_S1_EviT_T0_PT8_S3_lS6_S3_lS4_PT9_S3_li.num_vgpr, 43
	.set _ZL37rocblas_syrkx_herkx_restricted_kernelIi19rocblas_complex_numIfELi16ELi32ELi8ELb1ELb0ELc78ELc76EKS1_S1_EviT_T0_PT8_S3_lS6_S3_lS4_PT9_S3_li.num_agpr, 0
	.set _ZL37rocblas_syrkx_herkx_restricted_kernelIi19rocblas_complex_numIfELi16ELi32ELi8ELb1ELb0ELc78ELc76EKS1_S1_EviT_T0_PT8_S3_lS6_S3_lS4_PT9_S3_li.numbered_sgpr, 25
	.set _ZL37rocblas_syrkx_herkx_restricted_kernelIi19rocblas_complex_numIfELi16ELi32ELi8ELb1ELb0ELc78ELc76EKS1_S1_EviT_T0_PT8_S3_lS6_S3_lS4_PT9_S3_li.num_named_barrier, 0
	.set _ZL37rocblas_syrkx_herkx_restricted_kernelIi19rocblas_complex_numIfELi16ELi32ELi8ELb1ELb0ELc78ELc76EKS1_S1_EviT_T0_PT8_S3_lS6_S3_lS4_PT9_S3_li.private_seg_size, 0
	.set _ZL37rocblas_syrkx_herkx_restricted_kernelIi19rocblas_complex_numIfELi16ELi32ELi8ELb1ELb0ELc78ELc76EKS1_S1_EviT_T0_PT8_S3_lS6_S3_lS4_PT9_S3_li.uses_vcc, 1
	.set _ZL37rocblas_syrkx_herkx_restricted_kernelIi19rocblas_complex_numIfELi16ELi32ELi8ELb1ELb0ELc78ELc76EKS1_S1_EviT_T0_PT8_S3_lS6_S3_lS4_PT9_S3_li.uses_flat_scratch, 0
	.set _ZL37rocblas_syrkx_herkx_restricted_kernelIi19rocblas_complex_numIfELi16ELi32ELi8ELb1ELb0ELc78ELc76EKS1_S1_EviT_T0_PT8_S3_lS6_S3_lS4_PT9_S3_li.has_dyn_sized_stack, 0
	.set _ZL37rocblas_syrkx_herkx_restricted_kernelIi19rocblas_complex_numIfELi16ELi32ELi8ELb1ELb0ELc78ELc76EKS1_S1_EviT_T0_PT8_S3_lS6_S3_lS4_PT9_S3_li.has_recursion, 0
	.set _ZL37rocblas_syrkx_herkx_restricted_kernelIi19rocblas_complex_numIfELi16ELi32ELi8ELb1ELb0ELc78ELc76EKS1_S1_EviT_T0_PT8_S3_lS6_S3_lS4_PT9_S3_li.has_indirect_call, 0
	.section	.AMDGPU.csdata,"",@progbits
; Kernel info:
; codeLenInByte = 1988
; TotalNumSgprs: 29
; NumVgprs: 43
; ScratchSize: 0
; MemoryBound: 0
; FloatMode: 240
; IeeeMode: 1
; LDSByteSize: 4096 bytes/workgroup (compile time only)
; SGPRBlocks: 3
; VGPRBlocks: 10
; NumSGPRsForWavesPerEU: 29
; NumVGPRsForWavesPerEU: 43
; Occupancy: 5
; WaveLimiterHint : 0
; COMPUTE_PGM_RSRC2:SCRATCH_EN: 0
; COMPUTE_PGM_RSRC2:USER_SGPR: 6
; COMPUTE_PGM_RSRC2:TRAP_HANDLER: 0
; COMPUTE_PGM_RSRC2:TGID_X_EN: 1
; COMPUTE_PGM_RSRC2:TGID_Y_EN: 1
; COMPUTE_PGM_RSRC2:TGID_Z_EN: 1
; COMPUTE_PGM_RSRC2:TIDIG_COMP_CNT: 1
	.section	.text._ZL37rocblas_syrkx_herkx_restricted_kernelIi19rocblas_complex_numIfELi16ELi32ELi8ELb1ELb0ELc84ELc85EKS1_S1_EviT_T0_PT8_S3_lS6_S3_lS4_PT9_S3_li,"axG",@progbits,_ZL37rocblas_syrkx_herkx_restricted_kernelIi19rocblas_complex_numIfELi16ELi32ELi8ELb1ELb0ELc84ELc85EKS1_S1_EviT_T0_PT8_S3_lS6_S3_lS4_PT9_S3_li,comdat
	.globl	_ZL37rocblas_syrkx_herkx_restricted_kernelIi19rocblas_complex_numIfELi16ELi32ELi8ELb1ELb0ELc84ELc85EKS1_S1_EviT_T0_PT8_S3_lS6_S3_lS4_PT9_S3_li ; -- Begin function _ZL37rocblas_syrkx_herkx_restricted_kernelIi19rocblas_complex_numIfELi16ELi32ELi8ELb1ELb0ELc84ELc85EKS1_S1_EviT_T0_PT8_S3_lS6_S3_lS4_PT9_S3_li
	.p2align	8
	.type	_ZL37rocblas_syrkx_herkx_restricted_kernelIi19rocblas_complex_numIfELi16ELi32ELi8ELb1ELb0ELc84ELc85EKS1_S1_EviT_T0_PT8_S3_lS6_S3_lS4_PT9_S3_li,@function
_ZL37rocblas_syrkx_herkx_restricted_kernelIi19rocblas_complex_numIfELi16ELi32ELi8ELb1ELb0ELc84ELc85EKS1_S1_EviT_T0_PT8_S3_lS6_S3_lS4_PT9_S3_li: ; @_ZL37rocblas_syrkx_herkx_restricted_kernelIi19rocblas_complex_numIfELi16ELi32ELi8ELb1ELb0ELc84ELc85EKS1_S1_EviT_T0_PT8_S3_lS6_S3_lS4_PT9_S3_li
; %bb.0:
	s_load_dwordx2 s[10:11], s[4:5], 0x0
	s_load_dwordx4 s[12:15], s[4:5], 0x8
	s_lshl_b32 s6, s6, 5
	s_lshl_b32 s7, s7, 5
	s_mov_b32 s9, 0
	s_waitcnt lgkmcnt(0)
	s_cmp_lt_i32 s11, 1
	s_cbranch_scc1 .LBB183_3
; %bb.1:
	v_lshl_add_u32 v3, v1, 4, v0
	v_and_b32_e32 v7, 31, v3
	s_load_dword s20, s[4:5], 0x18
	s_load_dwordx4 s[0:3], s[4:5], 0x20
	s_load_dword s18, s[4:5], 0x30
	s_load_dwordx2 s[16:17], s[4:5], 0x38
	v_lshrrev_b32_e32 v2, 5, v3
	v_and_b32_e32 v9, 7, v0
	v_lshlrev_b32_e32 v8, 3, v7
	v_lshrrev_b32_e32 v6, 3, v3
	v_lshl_or_b32 v11, v2, 8, v8
	v_lshlrev_b32_e32 v8, 3, v9
	v_add_u32_e32 v3, s7, v6
	v_lshl_or_b32 v6, v6, 6, v8
	v_mov_b32_e32 v10, 0
	v_add_u32_e32 v12, 0x800, v6
	v_mov_b32_e32 v6, 0x800
	s_waitcnt lgkmcnt(0)
	v_mad_i64_i32 v[4:5], s[18:19], s18, v3, v[9:10]
	v_mov_b32_e32 v3, v10
	v_lshl_add_u32 v14, v1, 6, v6
	v_add_u32_e32 v6, s6, v7
	v_mad_i64_i32 v[2:3], s[18:19], s20, v6, v[2:3]
	s_mul_i32 s1, s1, s8
	s_mul_hi_u32 s21, s0, s8
	s_add_i32 s1, s21, s1
	s_mul_i32 s0, s0, s8
	s_lshl_b64 s[0:1], s[0:1], 3
	v_lshlrev_b64 v[2:3], 3, v[2:3]
	s_add_u32 s0, s14, s0
	s_addc_u32 s1, s15, s1
	v_mov_b32_e32 v6, s1
	v_add_co_u32_e32 v2, vcc, s0, v2
	s_mul_i32 s0, s17, s8
	s_mul_hi_u32 s1, s16, s8
	v_addc_co_u32_e32 v3, vcc, v6, v3, vcc
	s_add_i32 s1, s1, s0
	s_mul_i32 s0, s16, s8
	v_add_co_u32_e32 v6, vcc, 4, v2
	s_lshl_b64 s[0:1], s[0:1], 3
	v_addc_co_u32_e32 v7, vcc, 0, v3, vcc
	v_lshlrev_b64 v[2:3], 3, v[4:5]
	s_add_u32 s0, s2, s0
	s_addc_u32 s1, s3, s1
	v_mov_b32_e32 v4, s1
	v_add_co_u32_e32 v2, vcc, s0, v2
	v_addc_co_u32_e32 v3, vcc, v4, v3, vcc
	v_add_co_u32_e32 v8, vcc, 4, v2
	v_lshlrev_b32_e32 v13, 3, v0
	v_addc_co_u32_e32 v9, vcc, 0, v3, vcc
	v_mov_b32_e32 v15, v10
	v_mov_b32_e32 v17, v10
	;; [unrolled: 1-line block ×7, first 2 shown]
.LBB183_2:                              ; =>This Inner Loop Header: Depth=1
	global_load_dwordx2 v[2:3], v[6:7], off offset:-4
	v_add_co_u32_e32 v6, vcc, 64, v6
	v_addc_co_u32_e32 v7, vcc, 0, v7, vcc
	s_add_i32 s9, s9, 8
	s_cmp_ge_i32 s9, s11
	s_waitcnt vmcnt(0)
	ds_write_b64 v11, v[2:3]
	global_load_dwordx2 v[2:3], v[8:9], off offset:-4
	v_add_co_u32_e32 v8, vcc, 64, v8
	v_addc_co_u32_e32 v9, vcc, 0, v9, vcc
	s_waitcnt vmcnt(0)
	ds_write_b64 v12, v[2:3]
	s_waitcnt lgkmcnt(0)
	s_barrier
	ds_read_b128 v[22:25], v14
	ds_read_b128 v[26:29], v14 offset:16
	ds_read_b128 v[30:33], v14 offset:32
	ds_read_b128 v[2:5], v14 offset:48
	ds_read2_b64 v[34:37], v13 offset1:16
	s_waitcnt lgkmcnt(0)
	v_mul_f32_e32 v38, v23, v35
	v_mul_f32_e32 v39, v22, v35
	v_fma_f32 v38, v22, v34, -v38
	v_fmac_f32_e32 v39, v23, v34
	v_add_f32_e32 v38, v20, v38
	v_add_f32_e32 v39, v21, v39
	v_mul_f32_e32 v20, v23, v37
	v_mul_f32_e32 v21, v22, v37
	v_fma_f32 v20, v22, v36, -v20
	v_fmac_f32_e32 v21, v23, v36
	v_add_f32_e32 v22, v18, v20
	v_add_f32_e32 v23, v19, v21
	ds_read_b128 v[18:21], v14 offset:1024
	s_waitcnt lgkmcnt(0)
	v_mul_f32_e32 v40, v19, v35
	v_mul_f32_e32 v35, v18, v35
	v_fma_f32 v40, v18, v34, -v40
	v_fmac_f32_e32 v35, v19, v34
	v_add_f32_e32 v34, v16, v40
	v_add_f32_e32 v35, v17, v35
	v_mul_f32_e32 v16, v19, v37
	v_mul_f32_e32 v17, v18, v37
	v_fma_f32 v16, v18, v36, -v16
	v_fmac_f32_e32 v17, v19, v36
	v_add_f32_e32 v19, v15, v16
	v_add_f32_e32 v10, v10, v17
	ds_read2_b64 v[15:18], v13 offset0:32 offset1:48
	s_waitcnt lgkmcnt(0)
	v_mul_f32_e32 v36, v25, v16
	v_fma_f32 v36, v24, v15, -v36
	v_add_f32_e32 v36, v38, v36
	v_mul_f32_e32 v38, v25, v18
	v_mul_f32_e32 v37, v24, v16
	v_fma_f32 v38, v24, v17, -v38
	v_mul_f32_e32 v24, v24, v18
	v_fmac_f32_e32 v24, v25, v17
	v_add_f32_e32 v23, v23, v24
	v_mul_f32_e32 v24, v21, v16
	v_mul_f32_e32 v16, v20, v16
	v_fmac_f32_e32 v16, v21, v15
	v_fmac_f32_e32 v37, v25, v15
	v_fma_f32 v24, v20, v15, -v24
	v_add_f32_e32 v25, v35, v16
	v_mul_f32_e32 v15, v21, v18
	v_mul_f32_e32 v16, v20, v18
	v_fma_f32 v15, v20, v17, -v15
	v_fmac_f32_e32 v16, v21, v17
	v_add_f32_e32 v24, v34, v24
	v_add_f32_e32 v34, v19, v15
	;; [unrolled: 1-line block ×3, first 2 shown]
	ds_read2_b64 v[15:18], v13 offset0:64 offset1:80
	v_add_f32_e32 v37, v39, v37
	v_add_f32_e32 v22, v22, v38
	s_waitcnt lgkmcnt(0)
	v_mul_f32_e32 v19, v27, v16
	v_mul_f32_e32 v20, v26, v16
	v_fma_f32 v19, v26, v15, -v19
	v_fmac_f32_e32 v20, v27, v15
	v_add_f32_e32 v35, v36, v19
	v_add_f32_e32 v36, v37, v20
	v_mul_f32_e32 v19, v27, v18
	v_mul_f32_e32 v20, v26, v18
	v_fma_f32 v19, v26, v17, -v19
	v_fmac_f32_e32 v20, v27, v17
	v_add_f32_e32 v26, v22, v19
	v_add_f32_e32 v23, v23, v20
	ds_read_b128 v[19:22], v14 offset:1040
	s_waitcnt lgkmcnt(0)
	v_mul_f32_e32 v27, v20, v16
	v_mul_f32_e32 v16, v19, v16
	v_fmac_f32_e32 v16, v20, v15
	v_fma_f32 v27, v19, v15, -v27
	v_add_f32_e32 v25, v25, v16
	v_mul_f32_e32 v15, v20, v18
	v_mul_f32_e32 v16, v19, v18
	v_fma_f32 v15, v19, v17, -v15
	v_fmac_f32_e32 v16, v20, v17
	v_add_f32_e32 v19, v34, v15
	v_add_f32_e32 v10, v10, v16
	ds_read2_b64 v[15:18], v13 offset0:96 offset1:112
	v_add_f32_e32 v24, v24, v27
	s_waitcnt lgkmcnt(0)
	v_mul_f32_e32 v20, v29, v16
	v_mul_f32_e32 v34, v29, v18
	v_fma_f32 v20, v28, v15, -v20
	v_mul_f32_e32 v27, v28, v16
	v_fma_f32 v34, v28, v17, -v34
	v_mul_f32_e32 v28, v28, v18
	v_fmac_f32_e32 v28, v29, v17
	v_add_f32_e32 v23, v23, v28
	v_mul_f32_e32 v28, v22, v16
	v_mul_f32_e32 v16, v21, v16
	v_fmac_f32_e32 v16, v22, v15
	v_fmac_f32_e32 v27, v29, v15
	v_fma_f32 v28, v21, v15, -v28
	v_add_f32_e32 v25, v25, v16
	v_mul_f32_e32 v15, v22, v18
	v_mul_f32_e32 v16, v21, v18
	v_fma_f32 v15, v21, v17, -v15
	v_fmac_f32_e32 v16, v22, v17
	v_add_f32_e32 v24, v24, v28
	v_add_f32_e32 v28, v19, v15
	;; [unrolled: 1-line block ×3, first 2 shown]
	ds_read2_b64 v[15:18], v13 offset0:128 offset1:144
	v_add_f32_e32 v20, v35, v20
	v_add_f32_e32 v27, v36, v27
	;; [unrolled: 1-line block ×3, first 2 shown]
	s_waitcnt lgkmcnt(0)
	v_mul_f32_e32 v19, v31, v16
	v_fma_f32 v19, v30, v15, -v19
	v_mul_f32_e32 v21, v30, v16
	v_add_f32_e32 v29, v20, v19
	v_mul_f32_e32 v19, v31, v18
	v_mul_f32_e32 v20, v30, v18
	v_fmac_f32_e32 v21, v31, v15
	v_fma_f32 v19, v30, v17, -v19
	v_fmac_f32_e32 v20, v31, v17
	v_add_f32_e32 v27, v27, v21
	v_add_f32_e32 v26, v26, v19
	;; [unrolled: 1-line block ×3, first 2 shown]
	ds_read_b128 v[19:22], v14 offset:1056
	s_waitcnt lgkmcnt(0)
	v_mul_f32_e32 v30, v20, v16
	v_mul_f32_e32 v16, v19, v16
	v_fmac_f32_e32 v16, v20, v15
	v_fma_f32 v30, v19, v15, -v30
	v_add_f32_e32 v25, v25, v16
	v_mul_f32_e32 v15, v20, v18
	v_mul_f32_e32 v16, v19, v18
	v_fma_f32 v15, v19, v17, -v15
	v_fmac_f32_e32 v16, v20, v17
	v_add_f32_e32 v19, v28, v15
	v_add_f32_e32 v10, v10, v16
	ds_read2_b64 v[15:18], v13 offset0:160 offset1:176
	v_add_f32_e32 v24, v24, v30
	s_waitcnt lgkmcnt(0)
	v_mul_f32_e32 v28, v32, v16
	v_fmac_f32_e32 v28, v33, v15
	v_add_f32_e32 v27, v27, v28
	v_mul_f32_e32 v28, v33, v18
	v_fma_f32 v28, v32, v17, -v28
	v_mul_f32_e32 v20, v33, v16
	v_add_f32_e32 v26, v26, v28
	v_mul_f32_e32 v28, v22, v16
	v_mul_f32_e32 v16, v21, v16
	v_fmac_f32_e32 v16, v22, v15
	v_fma_f32 v20, v32, v15, -v20
	v_fma_f32 v28, v21, v15, -v28
	v_add_f32_e32 v25, v25, v16
	v_mul_f32_e32 v15, v22, v18
	v_mul_f32_e32 v16, v21, v18
	v_add_f32_e32 v20, v29, v20
	v_mul_f32_e32 v29, v32, v18
	v_fma_f32 v15, v21, v17, -v15
	v_fmac_f32_e32 v16, v22, v17
	v_fmac_f32_e32 v29, v33, v17
	v_add_f32_e32 v19, v19, v15
	v_add_f32_e32 v10, v10, v16
	ds_read2_b64 v[15:18], v13 offset0:192 offset1:208
	v_add_f32_e32 v24, v24, v28
	v_add_f32_e32 v23, v23, v29
	s_waitcnt lgkmcnt(0)
	v_mul_f32_e32 v21, v3, v16
	v_fma_f32 v21, v2, v15, -v21
	v_add_f32_e32 v28, v20, v21
	v_mul_f32_e32 v20, v3, v18
	v_mul_f32_e32 v22, v2, v16
	v_fma_f32 v20, v2, v17, -v20
	v_mul_f32_e32 v2, v2, v18
	v_fmac_f32_e32 v22, v3, v15
	v_fmac_f32_e32 v2, v3, v17
	v_add_f32_e32 v29, v27, v22
	v_add_f32_e32 v3, v26, v20
	v_add_f32_e32 v2, v23, v2
	ds_read_b128 v[20:23], v14 offset:1072
	s_waitcnt lgkmcnt(0)
	v_mul_f32_e32 v26, v21, v16
	v_mul_f32_e32 v16, v20, v16
	v_fma_f32 v26, v20, v15, -v26
	v_fmac_f32_e32 v16, v21, v15
	v_add_f32_e32 v15, v24, v26
	v_add_f32_e32 v30, v25, v16
	ds_read2_b64 v[24:27], v13 offset0:224 offset1:240
	v_mul_f32_e32 v16, v21, v18
	v_fma_f32 v16, v20, v17, -v16
	v_add_f32_e32 v31, v19, v16
	v_mul_f32_e32 v18, v20, v18
	s_waitcnt lgkmcnt(0)
	v_mul_f32_e32 v16, v5, v25
	v_fma_f32 v16, v4, v24, -v16
	v_add_f32_e32 v20, v28, v16
	v_mul_f32_e32 v16, v5, v27
	v_fmac_f32_e32 v18, v21, v17
	v_mul_f32_e32 v17, v4, v25
	v_fma_f32 v16, v4, v26, -v16
	v_mul_f32_e32 v4, v4, v27
	v_fmac_f32_e32 v4, v5, v26
	v_add_f32_e32 v10, v10, v18
	v_add_f32_e32 v18, v3, v16
	;; [unrolled: 1-line block ×3, first 2 shown]
	v_mul_f32_e32 v2, v23, v25
	v_mul_f32_e32 v3, v22, v25
	v_fmac_f32_e32 v17, v5, v24
	v_fma_f32 v2, v22, v24, -v2
	v_fmac_f32_e32 v3, v23, v24
	v_add_f32_e32 v21, v29, v17
	v_add_f32_e32 v16, v15, v2
	;; [unrolled: 1-line block ×3, first 2 shown]
	v_mul_f32_e32 v2, v23, v27
	v_mul_f32_e32 v3, v22, v27
	v_fma_f32 v2, v22, v26, -v2
	v_fmac_f32_e32 v3, v23, v26
	v_add_f32_e32 v15, v31, v2
	v_add_f32_e32 v10, v10, v3
	s_barrier
	s_cbranch_scc0 .LBB183_2
	s_branch .LBB183_4
.LBB183_3:
	v_mov_b32_e32 v20, 0
	v_mov_b32_e32 v21, 0
	v_mov_b32_e32 v18, 0
	v_mov_b32_e32 v19, 0
	v_mov_b32_e32 v16, 0
	v_mov_b32_e32 v17, 0
	v_mov_b32_e32 v15, 0
	v_mov_b32_e32 v10, 0
.LBB183_4:
	s_load_dwordx2 s[0:1], s[4:5], 0x58
	s_load_dwordx2 s[2:3], s[4:5], 0x48
	s_load_dword s9, s[4:5], 0x50
	v_add_u32_e32 v4, s7, v1
	v_add_u32_e32 v0, s6, v0
	s_waitcnt lgkmcnt(0)
	s_mul_i32 s1, s1, s8
	s_mul_hi_u32 s4, s0, s8
	v_mad_i64_i32 v[1:2], s[14:15], v4, s9, 0
	s_mul_i32 s0, s0, s8
	s_add_i32 s1, s4, s1
	s_lshl_b64 s[0:1], s[0:1], 3
	s_add_u32 s4, s2, s0
	v_lshlrev_b64 v[1:2], 3, v[1:2]
	s_addc_u32 s5, s3, s1
	v_mov_b32_e32 v3, s5
	v_add_co_u32_e64 v5, s[0:1], s4, v1
	v_addc_co_u32_e64 v6, s[0:1], v3, v2, s[0:1]
	v_cmp_gt_i32_e32 vcc, s10, v4
	v_cmp_le_i32_e64 s[0:1], v0, v4
	s_and_b64 s[0:1], vcc, s[0:1]
	s_and_saveexec_b64 s[2:3], s[0:1]
	s_cbranch_execz .LBB183_6
; %bb.5:
	v_mul_f32_e32 v1, s13, v21
	v_fma_f32 v2, v20, s12, -v1
	v_ashrrev_i32_e32 v1, 31, v0
	v_lshlrev_b64 v[7:8], 3, v[0:1]
	v_mul_f32_e32 v3, s12, v21
	v_add_co_u32_e64 v7, s[0:1], v5, v7
	v_fmac_f32_e32 v3, s13, v20
	v_addc_co_u32_e64 v8, s[0:1], v6, v8, s[0:1]
	global_store_dwordx2 v[7:8], v[2:3], off
.LBB183_6:
	s_or_b64 exec, exec, s[2:3]
	v_add_u32_e32 v2, 16, v0
	v_cmp_le_i32_e64 s[0:1], v2, v4
	s_and_b64 s[2:3], vcc, s[0:1]
	s_and_saveexec_b64 s[0:1], s[2:3]
	s_cbranch_execz .LBB183_8
; %bb.7:
	v_ashrrev_i32_e32 v3, 31, v2
	v_lshlrev_b64 v[11:12], 3, v[2:3]
	v_mul_f32_e32 v1, s13, v19
	v_mul_f32_e32 v8, s12, v19
	v_add_co_u32_e32 v5, vcc, v5, v11
	v_fma_f32 v7, v18, s12, -v1
	v_fmac_f32_e32 v8, s13, v18
	v_addc_co_u32_e32 v6, vcc, v6, v12, vcc
	global_store_dwordx2 v[5:6], v[7:8], off
.LBB183_8:
	s_or_b64 exec, exec, s[0:1]
	v_add_u32_e32 v3, 16, v4
	v_mad_i64_i32 v[4:5], s[0:1], v3, s9, 0
	v_mov_b32_e32 v1, s5
	v_cmp_gt_i32_e32 vcc, s10, v3
	v_lshlrev_b64 v[4:5], 3, v[4:5]
	v_add_co_u32_e64 v4, s[0:1], s4, v4
	v_addc_co_u32_e64 v5, s[0:1], v1, v5, s[0:1]
	v_cmp_le_i32_e64 s[0:1], v0, v3
	s_and_b64 s[0:1], vcc, s[0:1]
	s_and_saveexec_b64 s[2:3], s[0:1]
	s_cbranch_execz .LBB183_10
; %bb.9:
	v_mul_f32_e32 v1, s13, v17
	v_fma_f32 v6, v16, s12, -v1
	v_ashrrev_i32_e32 v1, 31, v0
	v_lshlrev_b64 v[0:1], 3, v[0:1]
	v_mul_f32_e32 v7, s12, v17
	v_add_co_u32_e64 v0, s[0:1], v4, v0
	v_fmac_f32_e32 v7, s13, v16
	v_addc_co_u32_e64 v1, s[0:1], v5, v1, s[0:1]
	global_store_dwordx2 v[0:1], v[6:7], off
.LBB183_10:
	s_or_b64 exec, exec, s[2:3]
	v_cmp_le_i32_e64 s[0:1], v2, v3
	s_and_b64 s[0:1], vcc, s[0:1]
	s_and_saveexec_b64 s[2:3], s[0:1]
	s_cbranch_execz .LBB183_12
; %bb.11:
	v_ashrrev_i32_e32 v3, 31, v2
	v_lshlrev_b64 v[2:3], 3, v[2:3]
	v_mul_f32_e32 v0, s13, v10
	v_mul_f32_e32 v1, s12, v10
	v_add_co_u32_e32 v2, vcc, v4, v2
	v_fma_f32 v0, v15, s12, -v0
	v_fmac_f32_e32 v1, s13, v15
	v_addc_co_u32_e32 v3, vcc, v5, v3, vcc
	global_store_dwordx2 v[2:3], v[0:1], off
.LBB183_12:
	s_endpgm
	.section	.rodata,"a",@progbits
	.p2align	6, 0x0
	.amdhsa_kernel _ZL37rocblas_syrkx_herkx_restricted_kernelIi19rocblas_complex_numIfELi16ELi32ELi8ELb1ELb0ELc84ELc85EKS1_S1_EviT_T0_PT8_S3_lS6_S3_lS4_PT9_S3_li
		.amdhsa_group_segment_fixed_size 4096
		.amdhsa_private_segment_fixed_size 0
		.amdhsa_kernarg_size 100
		.amdhsa_user_sgpr_count 6
		.amdhsa_user_sgpr_private_segment_buffer 1
		.amdhsa_user_sgpr_dispatch_ptr 0
		.amdhsa_user_sgpr_queue_ptr 0
		.amdhsa_user_sgpr_kernarg_segment_ptr 1
		.amdhsa_user_sgpr_dispatch_id 0
		.amdhsa_user_sgpr_flat_scratch_init 0
		.amdhsa_user_sgpr_private_segment_size 0
		.amdhsa_uses_dynamic_stack 0
		.amdhsa_system_sgpr_private_segment_wavefront_offset 0
		.amdhsa_system_sgpr_workgroup_id_x 1
		.amdhsa_system_sgpr_workgroup_id_y 1
		.amdhsa_system_sgpr_workgroup_id_z 1
		.amdhsa_system_sgpr_workgroup_info 0
		.amdhsa_system_vgpr_workitem_id 1
		.amdhsa_next_free_vgpr 41
		.amdhsa_next_free_sgpr 22
		.amdhsa_reserve_vcc 1
		.amdhsa_reserve_flat_scratch 0
		.amdhsa_float_round_mode_32 0
		.amdhsa_float_round_mode_16_64 0
		.amdhsa_float_denorm_mode_32 3
		.amdhsa_float_denorm_mode_16_64 3
		.amdhsa_dx10_clamp 1
		.amdhsa_ieee_mode 1
		.amdhsa_fp16_overflow 0
		.amdhsa_exception_fp_ieee_invalid_op 0
		.amdhsa_exception_fp_denorm_src 0
		.amdhsa_exception_fp_ieee_div_zero 0
		.amdhsa_exception_fp_ieee_overflow 0
		.amdhsa_exception_fp_ieee_underflow 0
		.amdhsa_exception_fp_ieee_inexact 0
		.amdhsa_exception_int_div_zero 0
	.end_amdhsa_kernel
	.section	.text._ZL37rocblas_syrkx_herkx_restricted_kernelIi19rocblas_complex_numIfELi16ELi32ELi8ELb1ELb0ELc84ELc85EKS1_S1_EviT_T0_PT8_S3_lS6_S3_lS4_PT9_S3_li,"axG",@progbits,_ZL37rocblas_syrkx_herkx_restricted_kernelIi19rocblas_complex_numIfELi16ELi32ELi8ELb1ELb0ELc84ELc85EKS1_S1_EviT_T0_PT8_S3_lS6_S3_lS4_PT9_S3_li,comdat
.Lfunc_end183:
	.size	_ZL37rocblas_syrkx_herkx_restricted_kernelIi19rocblas_complex_numIfELi16ELi32ELi8ELb1ELb0ELc84ELc85EKS1_S1_EviT_T0_PT8_S3_lS6_S3_lS4_PT9_S3_li, .Lfunc_end183-_ZL37rocblas_syrkx_herkx_restricted_kernelIi19rocblas_complex_numIfELi16ELi32ELi8ELb1ELb0ELc84ELc85EKS1_S1_EviT_T0_PT8_S3_lS6_S3_lS4_PT9_S3_li
                                        ; -- End function
	.set _ZL37rocblas_syrkx_herkx_restricted_kernelIi19rocblas_complex_numIfELi16ELi32ELi8ELb1ELb0ELc84ELc85EKS1_S1_EviT_T0_PT8_S3_lS6_S3_lS4_PT9_S3_li.num_vgpr, 41
	.set _ZL37rocblas_syrkx_herkx_restricted_kernelIi19rocblas_complex_numIfELi16ELi32ELi8ELb1ELb0ELc84ELc85EKS1_S1_EviT_T0_PT8_S3_lS6_S3_lS4_PT9_S3_li.num_agpr, 0
	.set _ZL37rocblas_syrkx_herkx_restricted_kernelIi19rocblas_complex_numIfELi16ELi32ELi8ELb1ELb0ELc84ELc85EKS1_S1_EviT_T0_PT8_S3_lS6_S3_lS4_PT9_S3_li.numbered_sgpr, 22
	.set _ZL37rocblas_syrkx_herkx_restricted_kernelIi19rocblas_complex_numIfELi16ELi32ELi8ELb1ELb0ELc84ELc85EKS1_S1_EviT_T0_PT8_S3_lS6_S3_lS4_PT9_S3_li.num_named_barrier, 0
	.set _ZL37rocblas_syrkx_herkx_restricted_kernelIi19rocblas_complex_numIfELi16ELi32ELi8ELb1ELb0ELc84ELc85EKS1_S1_EviT_T0_PT8_S3_lS6_S3_lS4_PT9_S3_li.private_seg_size, 0
	.set _ZL37rocblas_syrkx_herkx_restricted_kernelIi19rocblas_complex_numIfELi16ELi32ELi8ELb1ELb0ELc84ELc85EKS1_S1_EviT_T0_PT8_S3_lS6_S3_lS4_PT9_S3_li.uses_vcc, 1
	.set _ZL37rocblas_syrkx_herkx_restricted_kernelIi19rocblas_complex_numIfELi16ELi32ELi8ELb1ELb0ELc84ELc85EKS1_S1_EviT_T0_PT8_S3_lS6_S3_lS4_PT9_S3_li.uses_flat_scratch, 0
	.set _ZL37rocblas_syrkx_herkx_restricted_kernelIi19rocblas_complex_numIfELi16ELi32ELi8ELb1ELb0ELc84ELc85EKS1_S1_EviT_T0_PT8_S3_lS6_S3_lS4_PT9_S3_li.has_dyn_sized_stack, 0
	.set _ZL37rocblas_syrkx_herkx_restricted_kernelIi19rocblas_complex_numIfELi16ELi32ELi8ELb1ELb0ELc84ELc85EKS1_S1_EviT_T0_PT8_S3_lS6_S3_lS4_PT9_S3_li.has_recursion, 0
	.set _ZL37rocblas_syrkx_herkx_restricted_kernelIi19rocblas_complex_numIfELi16ELi32ELi8ELb1ELb0ELc84ELc85EKS1_S1_EviT_T0_PT8_S3_lS6_S3_lS4_PT9_S3_li.has_indirect_call, 0
	.section	.AMDGPU.csdata,"",@progbits
; Kernel info:
; codeLenInByte = 1968
; TotalNumSgprs: 26
; NumVgprs: 41
; ScratchSize: 0
; MemoryBound: 0
; FloatMode: 240
; IeeeMode: 1
; LDSByteSize: 4096 bytes/workgroup (compile time only)
; SGPRBlocks: 3
; VGPRBlocks: 10
; NumSGPRsForWavesPerEU: 26
; NumVGPRsForWavesPerEU: 41
; Occupancy: 5
; WaveLimiterHint : 0
; COMPUTE_PGM_RSRC2:SCRATCH_EN: 0
; COMPUTE_PGM_RSRC2:USER_SGPR: 6
; COMPUTE_PGM_RSRC2:TRAP_HANDLER: 0
; COMPUTE_PGM_RSRC2:TGID_X_EN: 1
; COMPUTE_PGM_RSRC2:TGID_Y_EN: 1
; COMPUTE_PGM_RSRC2:TGID_Z_EN: 1
; COMPUTE_PGM_RSRC2:TIDIG_COMP_CNT: 1
	.section	.text._ZL37rocblas_syrkx_herkx_restricted_kernelIi19rocblas_complex_numIfELi16ELi32ELi8ELb1ELb0ELc67ELc85EKS1_S1_EviT_T0_PT8_S3_lS6_S3_lS4_PT9_S3_li,"axG",@progbits,_ZL37rocblas_syrkx_herkx_restricted_kernelIi19rocblas_complex_numIfELi16ELi32ELi8ELb1ELb0ELc67ELc85EKS1_S1_EviT_T0_PT8_S3_lS6_S3_lS4_PT9_S3_li,comdat
	.globl	_ZL37rocblas_syrkx_herkx_restricted_kernelIi19rocblas_complex_numIfELi16ELi32ELi8ELb1ELb0ELc67ELc85EKS1_S1_EviT_T0_PT8_S3_lS6_S3_lS4_PT9_S3_li ; -- Begin function _ZL37rocblas_syrkx_herkx_restricted_kernelIi19rocblas_complex_numIfELi16ELi32ELi8ELb1ELb0ELc67ELc85EKS1_S1_EviT_T0_PT8_S3_lS6_S3_lS4_PT9_S3_li
	.p2align	8
	.type	_ZL37rocblas_syrkx_herkx_restricted_kernelIi19rocblas_complex_numIfELi16ELi32ELi8ELb1ELb0ELc67ELc85EKS1_S1_EviT_T0_PT8_S3_lS6_S3_lS4_PT9_S3_li,@function
_ZL37rocblas_syrkx_herkx_restricted_kernelIi19rocblas_complex_numIfELi16ELi32ELi8ELb1ELb0ELc67ELc85EKS1_S1_EviT_T0_PT8_S3_lS6_S3_lS4_PT9_S3_li: ; @_ZL37rocblas_syrkx_herkx_restricted_kernelIi19rocblas_complex_numIfELi16ELi32ELi8ELb1ELb0ELc67ELc85EKS1_S1_EviT_T0_PT8_S3_lS6_S3_lS4_PT9_S3_li
; %bb.0:
	s_load_dwordx2 s[10:11], s[4:5], 0x0
	s_load_dwordx4 s[12:15], s[4:5], 0x8
	s_lshl_b32 s6, s6, 5
	s_lshl_b32 s7, s7, 5
	s_mov_b32 s9, 0
	s_waitcnt lgkmcnt(0)
	s_cmp_lt_i32 s11, 1
	s_cbranch_scc1 .LBB184_3
; %bb.1:
	v_lshl_add_u32 v3, v1, 4, v0
	v_and_b32_e32 v7, 31, v3
	s_load_dword s20, s[4:5], 0x18
	s_load_dwordx4 s[0:3], s[4:5], 0x20
	s_load_dword s18, s[4:5], 0x30
	s_load_dwordx2 s[16:17], s[4:5], 0x38
	v_lshrrev_b32_e32 v2, 5, v3
	v_and_b32_e32 v9, 7, v0
	v_lshlrev_b32_e32 v8, 3, v7
	v_lshrrev_b32_e32 v6, 3, v3
	v_lshl_or_b32 v11, v2, 8, v8
	v_lshlrev_b32_e32 v8, 3, v9
	v_add_u32_e32 v3, s7, v6
	v_lshl_or_b32 v6, v6, 6, v8
	v_mov_b32_e32 v10, 0
	v_add_u32_e32 v12, 0x800, v6
	v_mov_b32_e32 v6, 0x800
	s_waitcnt lgkmcnt(0)
	v_mad_i64_i32 v[4:5], s[18:19], s18, v3, v[9:10]
	v_mov_b32_e32 v3, v10
	v_lshl_add_u32 v14, v1, 6, v6
	v_add_u32_e32 v6, s6, v7
	v_mad_i64_i32 v[2:3], s[18:19], s20, v6, v[2:3]
	s_mul_i32 s1, s1, s8
	s_mul_hi_u32 s21, s0, s8
	s_add_i32 s1, s21, s1
	s_mul_i32 s0, s0, s8
	s_lshl_b64 s[0:1], s[0:1], 3
	v_lshlrev_b64 v[2:3], 3, v[2:3]
	s_add_u32 s0, s14, s0
	s_addc_u32 s1, s15, s1
	v_mov_b32_e32 v6, s1
	v_add_co_u32_e32 v2, vcc, s0, v2
	s_mul_i32 s0, s17, s8
	s_mul_hi_u32 s1, s16, s8
	v_addc_co_u32_e32 v3, vcc, v6, v3, vcc
	s_add_i32 s1, s1, s0
	s_mul_i32 s0, s16, s8
	v_add_co_u32_e32 v6, vcc, 4, v2
	s_lshl_b64 s[0:1], s[0:1], 3
	v_addc_co_u32_e32 v7, vcc, 0, v3, vcc
	v_lshlrev_b64 v[2:3], 3, v[4:5]
	s_add_u32 s0, s2, s0
	s_addc_u32 s1, s3, s1
	v_mov_b32_e32 v4, s1
	v_add_co_u32_e32 v2, vcc, s0, v2
	v_addc_co_u32_e32 v3, vcc, v4, v3, vcc
	v_add_co_u32_e32 v8, vcc, 4, v2
	v_lshlrev_b32_e32 v13, 3, v0
	v_addc_co_u32_e32 v9, vcc, 0, v3, vcc
	v_mov_b32_e32 v15, v10
	v_mov_b32_e32 v17, v10
	;; [unrolled: 1-line block ×7, first 2 shown]
.LBB184_2:                              ; =>This Inner Loop Header: Depth=1
	global_load_dwordx2 v[2:3], v[6:7], off offset:-4
	v_add_co_u32_e32 v6, vcc, 64, v6
	v_addc_co_u32_e32 v7, vcc, 0, v7, vcc
	s_add_i32 s9, s9, 8
	s_cmp_ge_i32 s9, s11
	s_waitcnt vmcnt(0)
	ds_write_b64 v11, v[2:3]
	global_load_dwordx2 v[2:3], v[8:9], off offset:-4
	v_add_co_u32_e32 v8, vcc, 64, v8
	v_addc_co_u32_e32 v9, vcc, 0, v9, vcc
	s_waitcnt vmcnt(0)
	ds_write_b64 v12, v[2:3]
	s_waitcnt lgkmcnt(0)
	s_barrier
	ds_read_b128 v[22:25], v14
	ds_read_b128 v[26:29], v14 offset:16
	ds_read_b128 v[30:33], v14 offset:32
	;; [unrolled: 1-line block ×3, first 2 shown]
	ds_read2_b64 v[34:37], v13 offset1:16
	s_waitcnt lgkmcnt(0)
	v_mul_f32_e32 v38, v23, v35
	v_mul_f32_e32 v39, v22, v35
	v_fma_f32 v38, v22, v34, -v38
	v_fmac_f32_e32 v39, v23, v34
	v_add_f32_e32 v38, v20, v38
	v_add_f32_e32 v39, v21, v39
	v_mul_f32_e32 v20, v23, v37
	v_mul_f32_e32 v21, v22, v37
	v_fma_f32 v20, v22, v36, -v20
	v_fmac_f32_e32 v21, v23, v36
	v_add_f32_e32 v22, v18, v20
	v_add_f32_e32 v23, v19, v21
	ds_read_b128 v[18:21], v14 offset:1024
	s_waitcnt lgkmcnt(0)
	v_mul_f32_e32 v40, v19, v35
	v_mul_f32_e32 v35, v18, v35
	v_fma_f32 v40, v18, v34, -v40
	v_fmac_f32_e32 v35, v19, v34
	v_add_f32_e32 v34, v16, v40
	v_add_f32_e32 v35, v17, v35
	v_mul_f32_e32 v16, v19, v37
	v_mul_f32_e32 v17, v18, v37
	v_fma_f32 v16, v18, v36, -v16
	v_fmac_f32_e32 v17, v19, v36
	v_add_f32_e32 v19, v15, v16
	v_add_f32_e32 v10, v10, v17
	ds_read2_b64 v[15:18], v13 offset0:32 offset1:48
	s_waitcnt lgkmcnt(0)
	v_mul_f32_e32 v36, v25, v16
	v_fma_f32 v36, v24, v15, -v36
	v_add_f32_e32 v36, v38, v36
	v_mul_f32_e32 v38, v25, v18
	v_mul_f32_e32 v37, v24, v16
	v_fma_f32 v38, v24, v17, -v38
	v_mul_f32_e32 v24, v24, v18
	v_fmac_f32_e32 v24, v25, v17
	v_add_f32_e32 v23, v23, v24
	v_mul_f32_e32 v24, v21, v16
	v_mul_f32_e32 v16, v20, v16
	v_fmac_f32_e32 v16, v21, v15
	v_fmac_f32_e32 v37, v25, v15
	v_fma_f32 v24, v20, v15, -v24
	v_add_f32_e32 v25, v35, v16
	v_mul_f32_e32 v15, v21, v18
	v_mul_f32_e32 v16, v20, v18
	v_fma_f32 v15, v20, v17, -v15
	v_fmac_f32_e32 v16, v21, v17
	v_add_f32_e32 v24, v34, v24
	v_add_f32_e32 v34, v19, v15
	;; [unrolled: 1-line block ×3, first 2 shown]
	ds_read2_b64 v[15:18], v13 offset0:64 offset1:80
	v_add_f32_e32 v37, v39, v37
	v_add_f32_e32 v22, v22, v38
	s_waitcnt lgkmcnt(0)
	v_mul_f32_e32 v19, v27, v16
	v_mul_f32_e32 v20, v26, v16
	v_fma_f32 v19, v26, v15, -v19
	v_fmac_f32_e32 v20, v27, v15
	v_add_f32_e32 v35, v36, v19
	v_add_f32_e32 v36, v37, v20
	v_mul_f32_e32 v19, v27, v18
	v_mul_f32_e32 v20, v26, v18
	v_fma_f32 v19, v26, v17, -v19
	v_fmac_f32_e32 v20, v27, v17
	v_add_f32_e32 v26, v22, v19
	v_add_f32_e32 v23, v23, v20
	ds_read_b128 v[19:22], v14 offset:1040
	s_waitcnt lgkmcnt(0)
	v_mul_f32_e32 v27, v20, v16
	v_mul_f32_e32 v16, v19, v16
	v_fmac_f32_e32 v16, v20, v15
	v_fma_f32 v27, v19, v15, -v27
	v_add_f32_e32 v25, v25, v16
	v_mul_f32_e32 v15, v20, v18
	v_mul_f32_e32 v16, v19, v18
	v_fma_f32 v15, v19, v17, -v15
	v_fmac_f32_e32 v16, v20, v17
	v_add_f32_e32 v19, v34, v15
	v_add_f32_e32 v10, v10, v16
	ds_read2_b64 v[15:18], v13 offset0:96 offset1:112
	v_add_f32_e32 v24, v24, v27
	s_waitcnt lgkmcnt(0)
	v_mul_f32_e32 v20, v29, v16
	v_mul_f32_e32 v34, v29, v18
	v_fma_f32 v20, v28, v15, -v20
	v_mul_f32_e32 v27, v28, v16
	v_fma_f32 v34, v28, v17, -v34
	v_mul_f32_e32 v28, v28, v18
	v_fmac_f32_e32 v28, v29, v17
	v_add_f32_e32 v23, v23, v28
	v_mul_f32_e32 v28, v22, v16
	v_mul_f32_e32 v16, v21, v16
	v_fmac_f32_e32 v16, v22, v15
	v_fmac_f32_e32 v27, v29, v15
	v_fma_f32 v28, v21, v15, -v28
	v_add_f32_e32 v25, v25, v16
	v_mul_f32_e32 v15, v22, v18
	v_mul_f32_e32 v16, v21, v18
	v_fma_f32 v15, v21, v17, -v15
	v_fmac_f32_e32 v16, v22, v17
	v_add_f32_e32 v24, v24, v28
	v_add_f32_e32 v28, v19, v15
	v_add_f32_e32 v10, v10, v16
	ds_read2_b64 v[15:18], v13 offset0:128 offset1:144
	v_add_f32_e32 v20, v35, v20
	v_add_f32_e32 v27, v36, v27
	;; [unrolled: 1-line block ×3, first 2 shown]
	s_waitcnt lgkmcnt(0)
	v_mul_f32_e32 v19, v31, v16
	v_fma_f32 v19, v30, v15, -v19
	v_mul_f32_e32 v21, v30, v16
	v_add_f32_e32 v29, v20, v19
	v_mul_f32_e32 v19, v31, v18
	v_mul_f32_e32 v20, v30, v18
	v_fmac_f32_e32 v21, v31, v15
	v_fma_f32 v19, v30, v17, -v19
	v_fmac_f32_e32 v20, v31, v17
	v_add_f32_e32 v27, v27, v21
	v_add_f32_e32 v26, v26, v19
	;; [unrolled: 1-line block ×3, first 2 shown]
	ds_read_b128 v[19:22], v14 offset:1056
	s_waitcnt lgkmcnt(0)
	v_mul_f32_e32 v30, v20, v16
	v_mul_f32_e32 v16, v19, v16
	v_fmac_f32_e32 v16, v20, v15
	v_fma_f32 v30, v19, v15, -v30
	v_add_f32_e32 v25, v25, v16
	v_mul_f32_e32 v15, v20, v18
	v_mul_f32_e32 v16, v19, v18
	v_fma_f32 v15, v19, v17, -v15
	v_fmac_f32_e32 v16, v20, v17
	v_add_f32_e32 v19, v28, v15
	v_add_f32_e32 v10, v10, v16
	ds_read2_b64 v[15:18], v13 offset0:160 offset1:176
	v_add_f32_e32 v24, v24, v30
	s_waitcnt lgkmcnt(0)
	v_mul_f32_e32 v28, v32, v16
	v_fmac_f32_e32 v28, v33, v15
	v_add_f32_e32 v27, v27, v28
	v_mul_f32_e32 v28, v33, v18
	v_fma_f32 v28, v32, v17, -v28
	v_mul_f32_e32 v20, v33, v16
	v_add_f32_e32 v26, v26, v28
	v_mul_f32_e32 v28, v22, v16
	v_mul_f32_e32 v16, v21, v16
	v_fmac_f32_e32 v16, v22, v15
	v_fma_f32 v20, v32, v15, -v20
	v_fma_f32 v28, v21, v15, -v28
	v_add_f32_e32 v25, v25, v16
	v_mul_f32_e32 v15, v22, v18
	v_mul_f32_e32 v16, v21, v18
	v_add_f32_e32 v20, v29, v20
	v_mul_f32_e32 v29, v32, v18
	v_fma_f32 v15, v21, v17, -v15
	v_fmac_f32_e32 v16, v22, v17
	v_fmac_f32_e32 v29, v33, v17
	v_add_f32_e32 v19, v19, v15
	v_add_f32_e32 v10, v10, v16
	ds_read2_b64 v[15:18], v13 offset0:192 offset1:208
	v_add_f32_e32 v24, v24, v28
	v_add_f32_e32 v23, v23, v29
	s_waitcnt lgkmcnt(0)
	v_mul_f32_e32 v21, v3, v16
	v_fma_f32 v21, v2, v15, -v21
	v_add_f32_e32 v28, v20, v21
	v_mul_f32_e32 v20, v3, v18
	v_mul_f32_e32 v22, v2, v16
	v_fma_f32 v20, v2, v17, -v20
	v_mul_f32_e32 v2, v2, v18
	v_fmac_f32_e32 v22, v3, v15
	v_fmac_f32_e32 v2, v3, v17
	v_add_f32_e32 v29, v27, v22
	v_add_f32_e32 v3, v26, v20
	;; [unrolled: 1-line block ×3, first 2 shown]
	ds_read_b128 v[20:23], v14 offset:1072
	s_waitcnt lgkmcnt(0)
	v_mul_f32_e32 v26, v21, v16
	v_mul_f32_e32 v16, v20, v16
	v_fma_f32 v26, v20, v15, -v26
	v_fmac_f32_e32 v16, v21, v15
	v_add_f32_e32 v15, v24, v26
	v_add_f32_e32 v30, v25, v16
	ds_read2_b64 v[24:27], v13 offset0:224 offset1:240
	v_mul_f32_e32 v16, v21, v18
	v_fma_f32 v16, v20, v17, -v16
	v_add_f32_e32 v31, v19, v16
	v_mul_f32_e32 v18, v20, v18
	s_waitcnt lgkmcnt(0)
	v_mul_f32_e32 v16, v5, v25
	v_fma_f32 v16, v4, v24, -v16
	v_add_f32_e32 v20, v28, v16
	v_mul_f32_e32 v16, v5, v27
	v_fmac_f32_e32 v18, v21, v17
	v_mul_f32_e32 v17, v4, v25
	v_fma_f32 v16, v4, v26, -v16
	v_mul_f32_e32 v4, v4, v27
	v_fmac_f32_e32 v4, v5, v26
	v_add_f32_e32 v10, v10, v18
	v_add_f32_e32 v18, v3, v16
	;; [unrolled: 1-line block ×3, first 2 shown]
	v_mul_f32_e32 v2, v23, v25
	v_mul_f32_e32 v3, v22, v25
	v_fmac_f32_e32 v17, v5, v24
	v_fma_f32 v2, v22, v24, -v2
	v_fmac_f32_e32 v3, v23, v24
	v_add_f32_e32 v21, v29, v17
	v_add_f32_e32 v16, v15, v2
	v_add_f32_e32 v17, v30, v3
	v_mul_f32_e32 v2, v23, v27
	v_mul_f32_e32 v3, v22, v27
	v_fma_f32 v2, v22, v26, -v2
	v_fmac_f32_e32 v3, v23, v26
	v_add_f32_e32 v15, v31, v2
	v_add_f32_e32 v10, v10, v3
	s_barrier
	s_cbranch_scc0 .LBB184_2
	s_branch .LBB184_4
.LBB184_3:
	v_mov_b32_e32 v20, 0
	v_mov_b32_e32 v21, 0
	;; [unrolled: 1-line block ×8, first 2 shown]
.LBB184_4:
	s_load_dwordx2 s[0:1], s[4:5], 0x58
	s_load_dwordx2 s[2:3], s[4:5], 0x48
	s_load_dword s9, s[4:5], 0x50
	v_add_u32_e32 v4, s7, v1
	v_add_u32_e32 v0, s6, v0
	s_waitcnt lgkmcnt(0)
	s_mul_i32 s1, s1, s8
	s_mul_hi_u32 s4, s0, s8
	v_mad_i64_i32 v[1:2], s[14:15], v4, s9, 0
	s_mul_i32 s0, s0, s8
	s_add_i32 s1, s4, s1
	s_lshl_b64 s[0:1], s[0:1], 3
	s_add_u32 s4, s2, s0
	v_lshlrev_b64 v[1:2], 3, v[1:2]
	s_addc_u32 s5, s3, s1
	v_mov_b32_e32 v3, s5
	v_add_co_u32_e64 v5, s[0:1], s4, v1
	v_addc_co_u32_e64 v6, s[0:1], v3, v2, s[0:1]
	v_cmp_gt_i32_e32 vcc, s10, v4
	v_cmp_le_i32_e64 s[0:1], v0, v4
	s_and_b64 s[0:1], vcc, s[0:1]
	s_and_saveexec_b64 s[2:3], s[0:1]
	s_cbranch_execz .LBB184_6
; %bb.5:
	v_mul_f32_e32 v1, s13, v21
	v_fma_f32 v2, v20, s12, -v1
	v_ashrrev_i32_e32 v1, 31, v0
	v_lshlrev_b64 v[7:8], 3, v[0:1]
	v_mul_f32_e32 v3, s12, v21
	v_add_co_u32_e64 v7, s[0:1], v5, v7
	v_fmac_f32_e32 v3, s13, v20
	v_addc_co_u32_e64 v8, s[0:1], v6, v8, s[0:1]
	global_store_dwordx2 v[7:8], v[2:3], off
.LBB184_6:
	s_or_b64 exec, exec, s[2:3]
	v_add_u32_e32 v2, 16, v0
	v_cmp_le_i32_e64 s[0:1], v2, v4
	s_and_b64 s[2:3], vcc, s[0:1]
	s_and_saveexec_b64 s[0:1], s[2:3]
	s_cbranch_execz .LBB184_8
; %bb.7:
	v_ashrrev_i32_e32 v3, 31, v2
	v_lshlrev_b64 v[11:12], 3, v[2:3]
	v_mul_f32_e32 v1, s13, v19
	v_mul_f32_e32 v8, s12, v19
	v_add_co_u32_e32 v5, vcc, v5, v11
	v_fma_f32 v7, v18, s12, -v1
	v_fmac_f32_e32 v8, s13, v18
	v_addc_co_u32_e32 v6, vcc, v6, v12, vcc
	global_store_dwordx2 v[5:6], v[7:8], off
.LBB184_8:
	s_or_b64 exec, exec, s[0:1]
	v_add_u32_e32 v3, 16, v4
	v_mad_i64_i32 v[4:5], s[0:1], v3, s9, 0
	v_mov_b32_e32 v1, s5
	v_cmp_gt_i32_e32 vcc, s10, v3
	v_lshlrev_b64 v[4:5], 3, v[4:5]
	v_add_co_u32_e64 v4, s[0:1], s4, v4
	v_addc_co_u32_e64 v5, s[0:1], v1, v5, s[0:1]
	v_cmp_le_i32_e64 s[0:1], v0, v3
	s_and_b64 s[0:1], vcc, s[0:1]
	s_and_saveexec_b64 s[2:3], s[0:1]
	s_cbranch_execz .LBB184_10
; %bb.9:
	v_mul_f32_e32 v1, s13, v17
	v_fma_f32 v6, v16, s12, -v1
	v_ashrrev_i32_e32 v1, 31, v0
	v_lshlrev_b64 v[0:1], 3, v[0:1]
	v_mul_f32_e32 v7, s12, v17
	v_add_co_u32_e64 v0, s[0:1], v4, v0
	v_fmac_f32_e32 v7, s13, v16
	v_addc_co_u32_e64 v1, s[0:1], v5, v1, s[0:1]
	global_store_dwordx2 v[0:1], v[6:7], off
.LBB184_10:
	s_or_b64 exec, exec, s[2:3]
	v_cmp_le_i32_e64 s[0:1], v2, v3
	s_and_b64 s[0:1], vcc, s[0:1]
	s_and_saveexec_b64 s[2:3], s[0:1]
	s_cbranch_execz .LBB184_12
; %bb.11:
	v_ashrrev_i32_e32 v3, 31, v2
	v_lshlrev_b64 v[2:3], 3, v[2:3]
	v_mul_f32_e32 v0, s13, v10
	v_mul_f32_e32 v1, s12, v10
	v_add_co_u32_e32 v2, vcc, v4, v2
	v_fma_f32 v0, v15, s12, -v0
	v_fmac_f32_e32 v1, s13, v15
	v_addc_co_u32_e32 v3, vcc, v5, v3, vcc
	global_store_dwordx2 v[2:3], v[0:1], off
.LBB184_12:
	s_endpgm
	.section	.rodata,"a",@progbits
	.p2align	6, 0x0
	.amdhsa_kernel _ZL37rocblas_syrkx_herkx_restricted_kernelIi19rocblas_complex_numIfELi16ELi32ELi8ELb1ELb0ELc67ELc85EKS1_S1_EviT_T0_PT8_S3_lS6_S3_lS4_PT9_S3_li
		.amdhsa_group_segment_fixed_size 4096
		.amdhsa_private_segment_fixed_size 0
		.amdhsa_kernarg_size 100
		.amdhsa_user_sgpr_count 6
		.amdhsa_user_sgpr_private_segment_buffer 1
		.amdhsa_user_sgpr_dispatch_ptr 0
		.amdhsa_user_sgpr_queue_ptr 0
		.amdhsa_user_sgpr_kernarg_segment_ptr 1
		.amdhsa_user_sgpr_dispatch_id 0
		.amdhsa_user_sgpr_flat_scratch_init 0
		.amdhsa_user_sgpr_private_segment_size 0
		.amdhsa_uses_dynamic_stack 0
		.amdhsa_system_sgpr_private_segment_wavefront_offset 0
		.amdhsa_system_sgpr_workgroup_id_x 1
		.amdhsa_system_sgpr_workgroup_id_y 1
		.amdhsa_system_sgpr_workgroup_id_z 1
		.amdhsa_system_sgpr_workgroup_info 0
		.amdhsa_system_vgpr_workitem_id 1
		.amdhsa_next_free_vgpr 41
		.amdhsa_next_free_sgpr 22
		.amdhsa_reserve_vcc 1
		.amdhsa_reserve_flat_scratch 0
		.amdhsa_float_round_mode_32 0
		.amdhsa_float_round_mode_16_64 0
		.amdhsa_float_denorm_mode_32 3
		.amdhsa_float_denorm_mode_16_64 3
		.amdhsa_dx10_clamp 1
		.amdhsa_ieee_mode 1
		.amdhsa_fp16_overflow 0
		.amdhsa_exception_fp_ieee_invalid_op 0
		.amdhsa_exception_fp_denorm_src 0
		.amdhsa_exception_fp_ieee_div_zero 0
		.amdhsa_exception_fp_ieee_overflow 0
		.amdhsa_exception_fp_ieee_underflow 0
		.amdhsa_exception_fp_ieee_inexact 0
		.amdhsa_exception_int_div_zero 0
	.end_amdhsa_kernel
	.section	.text._ZL37rocblas_syrkx_herkx_restricted_kernelIi19rocblas_complex_numIfELi16ELi32ELi8ELb1ELb0ELc67ELc85EKS1_S1_EviT_T0_PT8_S3_lS6_S3_lS4_PT9_S3_li,"axG",@progbits,_ZL37rocblas_syrkx_herkx_restricted_kernelIi19rocblas_complex_numIfELi16ELi32ELi8ELb1ELb0ELc67ELc85EKS1_S1_EviT_T0_PT8_S3_lS6_S3_lS4_PT9_S3_li,comdat
.Lfunc_end184:
	.size	_ZL37rocblas_syrkx_herkx_restricted_kernelIi19rocblas_complex_numIfELi16ELi32ELi8ELb1ELb0ELc67ELc85EKS1_S1_EviT_T0_PT8_S3_lS6_S3_lS4_PT9_S3_li, .Lfunc_end184-_ZL37rocblas_syrkx_herkx_restricted_kernelIi19rocblas_complex_numIfELi16ELi32ELi8ELb1ELb0ELc67ELc85EKS1_S1_EviT_T0_PT8_S3_lS6_S3_lS4_PT9_S3_li
                                        ; -- End function
	.set _ZL37rocblas_syrkx_herkx_restricted_kernelIi19rocblas_complex_numIfELi16ELi32ELi8ELb1ELb0ELc67ELc85EKS1_S1_EviT_T0_PT8_S3_lS6_S3_lS4_PT9_S3_li.num_vgpr, 41
	.set _ZL37rocblas_syrkx_herkx_restricted_kernelIi19rocblas_complex_numIfELi16ELi32ELi8ELb1ELb0ELc67ELc85EKS1_S1_EviT_T0_PT8_S3_lS6_S3_lS4_PT9_S3_li.num_agpr, 0
	.set _ZL37rocblas_syrkx_herkx_restricted_kernelIi19rocblas_complex_numIfELi16ELi32ELi8ELb1ELb0ELc67ELc85EKS1_S1_EviT_T0_PT8_S3_lS6_S3_lS4_PT9_S3_li.numbered_sgpr, 22
	.set _ZL37rocblas_syrkx_herkx_restricted_kernelIi19rocblas_complex_numIfELi16ELi32ELi8ELb1ELb0ELc67ELc85EKS1_S1_EviT_T0_PT8_S3_lS6_S3_lS4_PT9_S3_li.num_named_barrier, 0
	.set _ZL37rocblas_syrkx_herkx_restricted_kernelIi19rocblas_complex_numIfELi16ELi32ELi8ELb1ELb0ELc67ELc85EKS1_S1_EviT_T0_PT8_S3_lS6_S3_lS4_PT9_S3_li.private_seg_size, 0
	.set _ZL37rocblas_syrkx_herkx_restricted_kernelIi19rocblas_complex_numIfELi16ELi32ELi8ELb1ELb0ELc67ELc85EKS1_S1_EviT_T0_PT8_S3_lS6_S3_lS4_PT9_S3_li.uses_vcc, 1
	.set _ZL37rocblas_syrkx_herkx_restricted_kernelIi19rocblas_complex_numIfELi16ELi32ELi8ELb1ELb0ELc67ELc85EKS1_S1_EviT_T0_PT8_S3_lS6_S3_lS4_PT9_S3_li.uses_flat_scratch, 0
	.set _ZL37rocblas_syrkx_herkx_restricted_kernelIi19rocblas_complex_numIfELi16ELi32ELi8ELb1ELb0ELc67ELc85EKS1_S1_EviT_T0_PT8_S3_lS6_S3_lS4_PT9_S3_li.has_dyn_sized_stack, 0
	.set _ZL37rocblas_syrkx_herkx_restricted_kernelIi19rocblas_complex_numIfELi16ELi32ELi8ELb1ELb0ELc67ELc85EKS1_S1_EviT_T0_PT8_S3_lS6_S3_lS4_PT9_S3_li.has_recursion, 0
	.set _ZL37rocblas_syrkx_herkx_restricted_kernelIi19rocblas_complex_numIfELi16ELi32ELi8ELb1ELb0ELc67ELc85EKS1_S1_EviT_T0_PT8_S3_lS6_S3_lS4_PT9_S3_li.has_indirect_call, 0
	.section	.AMDGPU.csdata,"",@progbits
; Kernel info:
; codeLenInByte = 1968
; TotalNumSgprs: 26
; NumVgprs: 41
; ScratchSize: 0
; MemoryBound: 0
; FloatMode: 240
; IeeeMode: 1
; LDSByteSize: 4096 bytes/workgroup (compile time only)
; SGPRBlocks: 3
; VGPRBlocks: 10
; NumSGPRsForWavesPerEU: 26
; NumVGPRsForWavesPerEU: 41
; Occupancy: 5
; WaveLimiterHint : 0
; COMPUTE_PGM_RSRC2:SCRATCH_EN: 0
; COMPUTE_PGM_RSRC2:USER_SGPR: 6
; COMPUTE_PGM_RSRC2:TRAP_HANDLER: 0
; COMPUTE_PGM_RSRC2:TGID_X_EN: 1
; COMPUTE_PGM_RSRC2:TGID_Y_EN: 1
; COMPUTE_PGM_RSRC2:TGID_Z_EN: 1
; COMPUTE_PGM_RSRC2:TIDIG_COMP_CNT: 1
	.section	.text._ZL37rocblas_syrkx_herkx_restricted_kernelIi19rocblas_complex_numIfELi16ELi32ELi8ELb1ELb0ELc78ELc85EKS1_S1_EviT_T0_PT8_S3_lS6_S3_lS4_PT9_S3_li,"axG",@progbits,_ZL37rocblas_syrkx_herkx_restricted_kernelIi19rocblas_complex_numIfELi16ELi32ELi8ELb1ELb0ELc78ELc85EKS1_S1_EviT_T0_PT8_S3_lS6_S3_lS4_PT9_S3_li,comdat
	.globl	_ZL37rocblas_syrkx_herkx_restricted_kernelIi19rocblas_complex_numIfELi16ELi32ELi8ELb1ELb0ELc78ELc85EKS1_S1_EviT_T0_PT8_S3_lS6_S3_lS4_PT9_S3_li ; -- Begin function _ZL37rocblas_syrkx_herkx_restricted_kernelIi19rocblas_complex_numIfELi16ELi32ELi8ELb1ELb0ELc78ELc85EKS1_S1_EviT_T0_PT8_S3_lS6_S3_lS4_PT9_S3_li
	.p2align	8
	.type	_ZL37rocblas_syrkx_herkx_restricted_kernelIi19rocblas_complex_numIfELi16ELi32ELi8ELb1ELb0ELc78ELc85EKS1_S1_EviT_T0_PT8_S3_lS6_S3_lS4_PT9_S3_li,@function
_ZL37rocblas_syrkx_herkx_restricted_kernelIi19rocblas_complex_numIfELi16ELi32ELi8ELb1ELb0ELc78ELc85EKS1_S1_EviT_T0_PT8_S3_lS6_S3_lS4_PT9_S3_li: ; @_ZL37rocblas_syrkx_herkx_restricted_kernelIi19rocblas_complex_numIfELi16ELi32ELi8ELb1ELb0ELc78ELc85EKS1_S1_EviT_T0_PT8_S3_lS6_S3_lS4_PT9_S3_li
; %bb.0:
	s_load_dwordx2 s[10:11], s[4:5], 0x0
	s_load_dwordx4 s[12:15], s[4:5], 0x8
	s_lshl_b32 s6, s6, 5
	s_lshl_b32 s7, s7, 5
	s_mov_b32 s9, 0
	s_waitcnt lgkmcnt(0)
	s_cmp_lt_i32 s11, 1
	s_cbranch_scc1 .LBB185_3
; %bb.1:
	v_lshl_add_u32 v2, v1, 4, v0
	s_load_dword s16, s[4:5], 0x18
	s_load_dword s18, s[4:5], 0x30
	s_load_dwordx2 s[20:21], s[4:5], 0x38
	s_load_dwordx4 s[0:3], s[4:5], 0x20
	v_lshrrev_b32_e32 v4, 3, v2
	v_lshrrev_b32_e32 v6, 5, v2
	v_and_b32_e32 v7, 31, v2
	v_add_u32_e32 v2, s7, v4
	v_and_b32_e32 v5, 7, v0
	v_ashrrev_i32_e32 v3, 31, v2
	s_waitcnt lgkmcnt(0)
	v_mad_i64_i32 v[2:3], s[22:23], s18, v5, v[2:3]
	v_lshlrev_b32_e32 v5, 3, v5
	v_lshl_or_b32 v4, v4, 6, v5
	v_add_u32_e32 v11, 0x800, v4
	v_mov_b32_e32 v4, 0x800
	v_lshl_add_u32 v13, v1, 6, v4
	v_add_u32_e32 v4, s6, v7
	v_ashrrev_i32_e32 v5, 31, v4
	v_mad_i64_i32 v[4:5], s[22:23], s16, v6, v[4:5]
	s_mul_i32 s1, s1, s8
	s_mul_hi_u32 s24, s0, s8
	s_add_i32 s1, s24, s1
	s_mul_i32 s0, s0, s8
	s_ashr_i32 s17, s16, 31
	s_ashr_i32 s19, s18, 31
	s_lshl_b64 s[0:1], s[0:1], 3
	v_lshlrev_b64 v[4:5], 3, v[4:5]
	s_add_u32 s0, s14, s0
	v_lshlrev_b32_e32 v8, 3, v7
	s_addc_u32 s1, s15, s1
	s_mul_i32 s14, s21, s8
	s_mul_hi_u32 s15, s20, s8
	v_lshl_or_b32 v10, v6, 8, v8
	v_mov_b32_e32 v6, s1
	v_add_co_u32_e32 v4, vcc, s0, v4
	s_add_i32 s15, s15, s14
	s_mul_i32 s14, s20, s8
	v_addc_co_u32_e32 v5, vcc, v6, v5, vcc
	s_lshl_b64 s[0:1], s[16:17], 6
	s_lshl_b64 s[14:15], s[14:15], 3
	v_add_co_u32_e32 v6, vcc, 4, v4
	v_lshlrev_b64 v[2:3], 3, v[2:3]
	s_add_u32 s2, s2, s14
	v_addc_co_u32_e32 v7, vcc, 0, v5, vcc
	s_addc_u32 s3, s3, s15
	v_mov_b32_e32 v4, s3
	v_add_co_u32_e32 v2, vcc, s2, v2
	v_addc_co_u32_e32 v3, vcc, v4, v3, vcc
	v_add_co_u32_e32 v8, vcc, 4, v2
	s_lshl_b64 s[2:3], s[18:19], 6
	v_lshlrev_b32_e32 v12, 3, v0
	v_addc_co_u32_e32 v9, vcc, 0, v3, vcc
	v_mov_b32_e32 v16, 0
	v_mov_b32_e32 v14, s1
	;; [unrolled: 1-line block ×10, first 2 shown]
.LBB185_2:                              ; =>This Inner Loop Header: Depth=1
	global_load_dwordx2 v[2:3], v[6:7], off offset:-4
	v_add_co_u32_e32 v6, vcc, s0, v6
	v_addc_co_u32_e32 v7, vcc, v7, v14, vcc
	s_add_i32 s9, s9, 8
	s_cmp_ge_i32 s9, s11
	s_waitcnt vmcnt(0)
	ds_write_b64 v10, v[2:3]
	global_load_dwordx2 v[2:3], v[8:9], off offset:-4
	v_add_co_u32_e32 v8, vcc, s2, v8
	v_addc_co_u32_e32 v9, vcc, v9, v15, vcc
	s_waitcnt vmcnt(0)
	ds_write_b64 v11, v[2:3]
	s_waitcnt lgkmcnt(0)
	s_barrier
	ds_read_b128 v[24:27], v13
	ds_read_b128 v[28:31], v13 offset:16
	ds_read_b128 v[32:35], v13 offset:32
	;; [unrolled: 1-line block ×3, first 2 shown]
	ds_read2_b64 v[36:39], v12 offset1:16
	s_waitcnt lgkmcnt(0)
	v_mul_f32_e32 v40, v25, v37
	v_mul_f32_e32 v41, v24, v37
	v_fma_f32 v40, v24, v36, -v40
	v_fmac_f32_e32 v41, v25, v36
	v_add_f32_e32 v40, v22, v40
	v_add_f32_e32 v41, v23, v41
	v_mul_f32_e32 v22, v25, v39
	v_mul_f32_e32 v23, v24, v39
	v_fma_f32 v22, v24, v38, -v22
	v_fmac_f32_e32 v23, v25, v38
	v_add_f32_e32 v24, v20, v22
	v_add_f32_e32 v25, v21, v23
	ds_read_b128 v[20:23], v13 offset:1024
	s_waitcnt lgkmcnt(0)
	v_mul_f32_e32 v42, v21, v37
	v_mul_f32_e32 v37, v20, v37
	v_fma_f32 v42, v20, v36, -v42
	v_fmac_f32_e32 v37, v21, v36
	v_add_f32_e32 v36, v18, v42
	v_add_f32_e32 v37, v19, v37
	v_mul_f32_e32 v18, v21, v39
	v_mul_f32_e32 v19, v20, v39
	v_fma_f32 v18, v20, v38, -v18
	v_fmac_f32_e32 v19, v21, v38
	v_add_f32_e32 v20, v17, v18
	v_add_f32_e32 v21, v16, v19
	ds_read2_b64 v[16:19], v12 offset0:32 offset1:48
	s_waitcnt lgkmcnt(0)
	v_mul_f32_e32 v38, v27, v17
	v_fma_f32 v38, v26, v16, -v38
	v_add_f32_e32 v38, v40, v38
	v_mul_f32_e32 v40, v27, v19
	v_mul_f32_e32 v39, v26, v17
	v_fma_f32 v40, v26, v18, -v40
	v_mul_f32_e32 v26, v26, v19
	v_fmac_f32_e32 v26, v27, v18
	v_add_f32_e32 v25, v25, v26
	v_mul_f32_e32 v26, v23, v17
	v_mul_f32_e32 v17, v22, v17
	v_fmac_f32_e32 v17, v23, v16
	v_fmac_f32_e32 v39, v27, v16
	v_fma_f32 v26, v22, v16, -v26
	v_add_f32_e32 v27, v37, v17
	v_mul_f32_e32 v16, v23, v19
	v_mul_f32_e32 v17, v22, v19
	v_fma_f32 v16, v22, v18, -v16
	v_fmac_f32_e32 v17, v23, v18
	v_add_f32_e32 v26, v36, v26
	v_add_f32_e32 v36, v20, v16
	;; [unrolled: 1-line block ×3, first 2 shown]
	ds_read2_b64 v[16:19], v12 offset0:64 offset1:80
	v_add_f32_e32 v39, v41, v39
	v_add_f32_e32 v24, v24, v40
	s_waitcnt lgkmcnt(0)
	v_mul_f32_e32 v20, v29, v17
	v_mul_f32_e32 v21, v28, v17
	v_fma_f32 v20, v28, v16, -v20
	v_fmac_f32_e32 v21, v29, v16
	v_add_f32_e32 v38, v38, v20
	v_add_f32_e32 v39, v39, v21
	v_mul_f32_e32 v20, v29, v19
	v_mul_f32_e32 v21, v28, v19
	v_fma_f32 v20, v28, v18, -v20
	v_fmac_f32_e32 v21, v29, v18
	v_add_f32_e32 v24, v24, v20
	v_add_f32_e32 v25, v25, v21
	ds_read_b128 v[20:23], v13 offset:1040
	s_waitcnt lgkmcnt(0)
	v_mul_f32_e32 v28, v21, v17
	v_mul_f32_e32 v17, v20, v17
	v_fmac_f32_e32 v17, v21, v16
	v_fma_f32 v28, v20, v16, -v28
	v_add_f32_e32 v27, v27, v17
	v_mul_f32_e32 v16, v21, v19
	v_mul_f32_e32 v17, v20, v19
	v_fma_f32 v16, v20, v18, -v16
	v_fmac_f32_e32 v17, v21, v18
	v_add_f32_e32 v20, v36, v16
	v_add_f32_e32 v21, v37, v17
	ds_read2_b64 v[16:19], v12 offset0:96 offset1:112
	v_add_f32_e32 v26, v26, v28
	s_waitcnt lgkmcnt(0)
	v_mul_f32_e32 v28, v31, v17
	v_mul_f32_e32 v36, v31, v19
	v_fma_f32 v28, v30, v16, -v28
	v_mul_f32_e32 v29, v30, v17
	v_fma_f32 v36, v30, v18, -v36
	v_mul_f32_e32 v30, v30, v19
	v_fmac_f32_e32 v30, v31, v18
	v_add_f32_e32 v25, v25, v30
	v_mul_f32_e32 v30, v23, v17
	v_mul_f32_e32 v17, v22, v17
	v_fmac_f32_e32 v17, v23, v16
	v_fmac_f32_e32 v29, v31, v16
	v_fma_f32 v30, v22, v16, -v30
	v_add_f32_e32 v27, v27, v17
	v_mul_f32_e32 v16, v23, v19
	v_mul_f32_e32 v17, v22, v19
	v_fma_f32 v16, v22, v18, -v16
	v_fmac_f32_e32 v17, v23, v18
	v_add_f32_e32 v26, v26, v30
	v_add_f32_e32 v30, v20, v16
	;; [unrolled: 1-line block ×3, first 2 shown]
	ds_read2_b64 v[16:19], v12 offset0:128 offset1:144
	v_add_f32_e32 v28, v38, v28
	v_add_f32_e32 v29, v39, v29
	;; [unrolled: 1-line block ×3, first 2 shown]
	s_waitcnt lgkmcnt(0)
	v_mul_f32_e32 v20, v33, v17
	v_mul_f32_e32 v21, v32, v17
	v_fma_f32 v20, v32, v16, -v20
	v_fmac_f32_e32 v21, v33, v16
	v_add_f32_e32 v28, v28, v20
	v_add_f32_e32 v29, v29, v21
	v_mul_f32_e32 v20, v33, v19
	v_mul_f32_e32 v21, v32, v19
	v_fma_f32 v20, v32, v18, -v20
	v_fmac_f32_e32 v21, v33, v18
	v_add_f32_e32 v24, v24, v20
	v_add_f32_e32 v25, v25, v21
	ds_read_b128 v[20:23], v13 offset:1056
	s_waitcnt lgkmcnt(0)
	v_mul_f32_e32 v32, v21, v17
	v_mul_f32_e32 v17, v20, v17
	v_fmac_f32_e32 v17, v21, v16
	v_fma_f32 v32, v20, v16, -v32
	v_add_f32_e32 v27, v27, v17
	v_mul_f32_e32 v16, v21, v19
	v_mul_f32_e32 v17, v20, v19
	v_fma_f32 v16, v20, v18, -v16
	v_fmac_f32_e32 v17, v21, v18
	v_add_f32_e32 v20, v30, v16
	v_add_f32_e32 v21, v31, v17
	ds_read2_b64 v[16:19], v12 offset0:160 offset1:176
	v_add_f32_e32 v26, v26, v32
	s_waitcnt lgkmcnt(0)
	v_mul_f32_e32 v30, v35, v17
	v_fma_f32 v30, v34, v16, -v30
	v_add_f32_e32 v28, v28, v30
	v_mul_f32_e32 v30, v35, v19
	v_fma_f32 v30, v34, v18, -v30
	v_mul_f32_e32 v31, v34, v17
	v_add_f32_e32 v24, v24, v30
	v_mul_f32_e32 v30, v23, v17
	v_mul_f32_e32 v17, v22, v17
	v_fmac_f32_e32 v17, v23, v16
	v_fmac_f32_e32 v31, v35, v16
	v_fma_f32 v30, v22, v16, -v30
	v_add_f32_e32 v27, v27, v17
	v_mul_f32_e32 v16, v23, v19
	v_mul_f32_e32 v17, v22, v19
	v_add_f32_e32 v29, v29, v31
	v_mul_f32_e32 v31, v34, v19
	v_fma_f32 v16, v22, v18, -v16
	v_fmac_f32_e32 v17, v23, v18
	v_fmac_f32_e32 v31, v35, v18
	v_add_f32_e32 v20, v20, v16
	v_add_f32_e32 v21, v21, v17
	ds_read2_b64 v[16:19], v12 offset0:192 offset1:208
	v_add_f32_e32 v26, v26, v30
	v_add_f32_e32 v25, v25, v31
	s_waitcnt lgkmcnt(0)
	v_mul_f32_e32 v22, v3, v17
	v_fma_f32 v22, v2, v16, -v22
	v_add_f32_e32 v30, v28, v22
	v_mul_f32_e32 v22, v3, v19
	v_mul_f32_e32 v23, v2, v17
	v_fma_f32 v22, v2, v18, -v22
	v_mul_f32_e32 v2, v2, v19
	v_fmac_f32_e32 v23, v3, v16
	v_fmac_f32_e32 v2, v3, v18
	v_add_f32_e32 v31, v29, v23
	v_add_f32_e32 v3, v24, v22
	;; [unrolled: 1-line block ×3, first 2 shown]
	ds_read_b128 v[22:25], v13 offset:1072
	s_waitcnt lgkmcnt(0)
	v_mul_f32_e32 v28, v23, v17
	v_fma_f32 v28, v22, v16, -v28
	v_mul_f32_e32 v17, v22, v17
	v_fmac_f32_e32 v17, v23, v16
	v_add_f32_e32 v16, v26, v28
	v_mul_f32_e32 v26, v23, v19
	v_fma_f32 v26, v22, v18, -v26
	v_add_f32_e32 v17, v27, v17
	v_add_f32_e32 v32, v20, v26
	ds_read2_b64 v[26:29], v12 offset0:224 offset1:240
	v_mul_f32_e32 v19, v22, v19
	v_fmac_f32_e32 v19, v23, v18
	v_add_f32_e32 v33, v21, v19
	s_waitcnt lgkmcnt(0)
	v_mul_f32_e32 v18, v5, v27
	v_fma_f32 v18, v4, v26, -v18
	v_add_f32_e32 v22, v30, v18
	v_mul_f32_e32 v18, v5, v29
	v_mul_f32_e32 v19, v4, v27
	v_fma_f32 v18, v4, v28, -v18
	v_mul_f32_e32 v4, v4, v29
	v_fmac_f32_e32 v4, v5, v28
	v_add_f32_e32 v20, v3, v18
	v_add_f32_e32 v21, v2, v4
	v_mul_f32_e32 v2, v25, v27
	v_mul_f32_e32 v3, v24, v27
	v_fmac_f32_e32 v19, v5, v26
	v_fma_f32 v2, v24, v26, -v2
	v_fmac_f32_e32 v3, v25, v26
	v_add_f32_e32 v23, v31, v19
	v_add_f32_e32 v18, v16, v2
	;; [unrolled: 1-line block ×3, first 2 shown]
	v_mul_f32_e32 v2, v25, v29
	v_mul_f32_e32 v3, v24, v29
	v_fma_f32 v2, v24, v28, -v2
	v_fmac_f32_e32 v3, v25, v28
	v_add_f32_e32 v17, v32, v2
	v_add_f32_e32 v16, v33, v3
	s_barrier
	s_cbranch_scc0 .LBB185_2
	s_branch .LBB185_4
.LBB185_3:
	v_mov_b32_e32 v22, 0
	v_mov_b32_e32 v23, 0
	;; [unrolled: 1-line block ×8, first 2 shown]
.LBB185_4:
	s_load_dwordx2 s[0:1], s[4:5], 0x58
	s_load_dwordx2 s[2:3], s[4:5], 0x48
	s_load_dword s9, s[4:5], 0x50
	v_add_u32_e32 v4, s7, v1
	v_add_u32_e32 v0, s6, v0
	s_waitcnt lgkmcnt(0)
	s_mul_i32 s1, s1, s8
	s_mul_hi_u32 s4, s0, s8
	v_mad_i64_i32 v[1:2], s[14:15], v4, s9, 0
	s_mul_i32 s0, s0, s8
	s_add_i32 s1, s4, s1
	s_lshl_b64 s[0:1], s[0:1], 3
	s_add_u32 s4, s2, s0
	v_lshlrev_b64 v[1:2], 3, v[1:2]
	s_addc_u32 s5, s3, s1
	v_mov_b32_e32 v3, s5
	v_add_co_u32_e64 v5, s[0:1], s4, v1
	v_addc_co_u32_e64 v6, s[0:1], v3, v2, s[0:1]
	v_cmp_gt_i32_e32 vcc, s10, v4
	v_cmp_le_i32_e64 s[0:1], v0, v4
	s_and_b64 s[0:1], vcc, s[0:1]
	s_and_saveexec_b64 s[2:3], s[0:1]
	s_cbranch_execz .LBB185_6
; %bb.5:
	v_mul_f32_e32 v1, s13, v23
	v_fma_f32 v2, v22, s12, -v1
	v_ashrrev_i32_e32 v1, 31, v0
	v_lshlrev_b64 v[7:8], 3, v[0:1]
	v_mul_f32_e32 v3, s12, v23
	v_add_co_u32_e64 v7, s[0:1], v5, v7
	v_fmac_f32_e32 v3, s13, v22
	v_addc_co_u32_e64 v8, s[0:1], v6, v8, s[0:1]
	global_store_dwordx2 v[7:8], v[2:3], off
.LBB185_6:
	s_or_b64 exec, exec, s[2:3]
	v_add_u32_e32 v2, 16, v0
	v_cmp_le_i32_e64 s[0:1], v2, v4
	s_and_b64 s[2:3], vcc, s[0:1]
	s_and_saveexec_b64 s[0:1], s[2:3]
	s_cbranch_execz .LBB185_8
; %bb.7:
	v_ashrrev_i32_e32 v3, 31, v2
	v_lshlrev_b64 v[9:10], 3, v[2:3]
	v_mul_f32_e32 v1, s13, v21
	v_mul_f32_e32 v8, s12, v21
	v_add_co_u32_e32 v5, vcc, v5, v9
	v_fma_f32 v7, v20, s12, -v1
	v_fmac_f32_e32 v8, s13, v20
	v_addc_co_u32_e32 v6, vcc, v6, v10, vcc
	global_store_dwordx2 v[5:6], v[7:8], off
.LBB185_8:
	s_or_b64 exec, exec, s[0:1]
	v_add_u32_e32 v3, 16, v4
	v_mad_i64_i32 v[4:5], s[0:1], v3, s9, 0
	v_mov_b32_e32 v1, s5
	v_cmp_gt_i32_e32 vcc, s10, v3
	v_lshlrev_b64 v[4:5], 3, v[4:5]
	v_add_co_u32_e64 v4, s[0:1], s4, v4
	v_addc_co_u32_e64 v5, s[0:1], v1, v5, s[0:1]
	v_cmp_le_i32_e64 s[0:1], v0, v3
	s_and_b64 s[0:1], vcc, s[0:1]
	s_and_saveexec_b64 s[2:3], s[0:1]
	s_cbranch_execz .LBB185_10
; %bb.9:
	v_mul_f32_e32 v1, s13, v19
	v_fma_f32 v6, v18, s12, -v1
	v_ashrrev_i32_e32 v1, 31, v0
	v_lshlrev_b64 v[0:1], 3, v[0:1]
	v_mul_f32_e32 v7, s12, v19
	v_add_co_u32_e64 v0, s[0:1], v4, v0
	v_fmac_f32_e32 v7, s13, v18
	v_addc_co_u32_e64 v1, s[0:1], v5, v1, s[0:1]
	global_store_dwordx2 v[0:1], v[6:7], off
.LBB185_10:
	s_or_b64 exec, exec, s[2:3]
	v_cmp_le_i32_e64 s[0:1], v2, v3
	s_and_b64 s[0:1], vcc, s[0:1]
	s_and_saveexec_b64 s[2:3], s[0:1]
	s_cbranch_execz .LBB185_12
; %bb.11:
	v_ashrrev_i32_e32 v3, 31, v2
	v_lshlrev_b64 v[2:3], 3, v[2:3]
	v_mul_f32_e32 v0, s13, v16
	v_mul_f32_e32 v1, s12, v16
	v_add_co_u32_e32 v2, vcc, v4, v2
	v_fma_f32 v0, v17, s12, -v0
	v_fmac_f32_e32 v1, s13, v17
	v_addc_co_u32_e32 v3, vcc, v5, v3, vcc
	global_store_dwordx2 v[2:3], v[0:1], off
.LBB185_12:
	s_endpgm
	.section	.rodata,"a",@progbits
	.p2align	6, 0x0
	.amdhsa_kernel _ZL37rocblas_syrkx_herkx_restricted_kernelIi19rocblas_complex_numIfELi16ELi32ELi8ELb1ELb0ELc78ELc85EKS1_S1_EviT_T0_PT8_S3_lS6_S3_lS4_PT9_S3_li
		.amdhsa_group_segment_fixed_size 4096
		.amdhsa_private_segment_fixed_size 0
		.amdhsa_kernarg_size 100
		.amdhsa_user_sgpr_count 6
		.amdhsa_user_sgpr_private_segment_buffer 1
		.amdhsa_user_sgpr_dispatch_ptr 0
		.amdhsa_user_sgpr_queue_ptr 0
		.amdhsa_user_sgpr_kernarg_segment_ptr 1
		.amdhsa_user_sgpr_dispatch_id 0
		.amdhsa_user_sgpr_flat_scratch_init 0
		.amdhsa_user_sgpr_private_segment_size 0
		.amdhsa_uses_dynamic_stack 0
		.amdhsa_system_sgpr_private_segment_wavefront_offset 0
		.amdhsa_system_sgpr_workgroup_id_x 1
		.amdhsa_system_sgpr_workgroup_id_y 1
		.amdhsa_system_sgpr_workgroup_id_z 1
		.amdhsa_system_sgpr_workgroup_info 0
		.amdhsa_system_vgpr_workitem_id 1
		.amdhsa_next_free_vgpr 43
		.amdhsa_next_free_sgpr 25
		.amdhsa_reserve_vcc 1
		.amdhsa_reserve_flat_scratch 0
		.amdhsa_float_round_mode_32 0
		.amdhsa_float_round_mode_16_64 0
		.amdhsa_float_denorm_mode_32 3
		.amdhsa_float_denorm_mode_16_64 3
		.amdhsa_dx10_clamp 1
		.amdhsa_ieee_mode 1
		.amdhsa_fp16_overflow 0
		.amdhsa_exception_fp_ieee_invalid_op 0
		.amdhsa_exception_fp_denorm_src 0
		.amdhsa_exception_fp_ieee_div_zero 0
		.amdhsa_exception_fp_ieee_overflow 0
		.amdhsa_exception_fp_ieee_underflow 0
		.amdhsa_exception_fp_ieee_inexact 0
		.amdhsa_exception_int_div_zero 0
	.end_amdhsa_kernel
	.section	.text._ZL37rocblas_syrkx_herkx_restricted_kernelIi19rocblas_complex_numIfELi16ELi32ELi8ELb1ELb0ELc78ELc85EKS1_S1_EviT_T0_PT8_S3_lS6_S3_lS4_PT9_S3_li,"axG",@progbits,_ZL37rocblas_syrkx_herkx_restricted_kernelIi19rocblas_complex_numIfELi16ELi32ELi8ELb1ELb0ELc78ELc85EKS1_S1_EviT_T0_PT8_S3_lS6_S3_lS4_PT9_S3_li,comdat
.Lfunc_end185:
	.size	_ZL37rocblas_syrkx_herkx_restricted_kernelIi19rocblas_complex_numIfELi16ELi32ELi8ELb1ELb0ELc78ELc85EKS1_S1_EviT_T0_PT8_S3_lS6_S3_lS4_PT9_S3_li, .Lfunc_end185-_ZL37rocblas_syrkx_herkx_restricted_kernelIi19rocblas_complex_numIfELi16ELi32ELi8ELb1ELb0ELc78ELc85EKS1_S1_EviT_T0_PT8_S3_lS6_S3_lS4_PT9_S3_li
                                        ; -- End function
	.set _ZL37rocblas_syrkx_herkx_restricted_kernelIi19rocblas_complex_numIfELi16ELi32ELi8ELb1ELb0ELc78ELc85EKS1_S1_EviT_T0_PT8_S3_lS6_S3_lS4_PT9_S3_li.num_vgpr, 43
	.set _ZL37rocblas_syrkx_herkx_restricted_kernelIi19rocblas_complex_numIfELi16ELi32ELi8ELb1ELb0ELc78ELc85EKS1_S1_EviT_T0_PT8_S3_lS6_S3_lS4_PT9_S3_li.num_agpr, 0
	.set _ZL37rocblas_syrkx_herkx_restricted_kernelIi19rocblas_complex_numIfELi16ELi32ELi8ELb1ELb0ELc78ELc85EKS1_S1_EviT_T0_PT8_S3_lS6_S3_lS4_PT9_S3_li.numbered_sgpr, 25
	.set _ZL37rocblas_syrkx_herkx_restricted_kernelIi19rocblas_complex_numIfELi16ELi32ELi8ELb1ELb0ELc78ELc85EKS1_S1_EviT_T0_PT8_S3_lS6_S3_lS4_PT9_S3_li.num_named_barrier, 0
	.set _ZL37rocblas_syrkx_herkx_restricted_kernelIi19rocblas_complex_numIfELi16ELi32ELi8ELb1ELb0ELc78ELc85EKS1_S1_EviT_T0_PT8_S3_lS6_S3_lS4_PT9_S3_li.private_seg_size, 0
	.set _ZL37rocblas_syrkx_herkx_restricted_kernelIi19rocblas_complex_numIfELi16ELi32ELi8ELb1ELb0ELc78ELc85EKS1_S1_EviT_T0_PT8_S3_lS6_S3_lS4_PT9_S3_li.uses_vcc, 1
	.set _ZL37rocblas_syrkx_herkx_restricted_kernelIi19rocblas_complex_numIfELi16ELi32ELi8ELb1ELb0ELc78ELc85EKS1_S1_EviT_T0_PT8_S3_lS6_S3_lS4_PT9_S3_li.uses_flat_scratch, 0
	.set _ZL37rocblas_syrkx_herkx_restricted_kernelIi19rocblas_complex_numIfELi16ELi32ELi8ELb1ELb0ELc78ELc85EKS1_S1_EviT_T0_PT8_S3_lS6_S3_lS4_PT9_S3_li.has_dyn_sized_stack, 0
	.set _ZL37rocblas_syrkx_herkx_restricted_kernelIi19rocblas_complex_numIfELi16ELi32ELi8ELb1ELb0ELc78ELc85EKS1_S1_EviT_T0_PT8_S3_lS6_S3_lS4_PT9_S3_li.has_recursion, 0
	.set _ZL37rocblas_syrkx_herkx_restricted_kernelIi19rocblas_complex_numIfELi16ELi32ELi8ELb1ELb0ELc78ELc85EKS1_S1_EviT_T0_PT8_S3_lS6_S3_lS4_PT9_S3_li.has_indirect_call, 0
	.section	.AMDGPU.csdata,"",@progbits
; Kernel info:
; codeLenInByte = 1996
; TotalNumSgprs: 29
; NumVgprs: 43
; ScratchSize: 0
; MemoryBound: 0
; FloatMode: 240
; IeeeMode: 1
; LDSByteSize: 4096 bytes/workgroup (compile time only)
; SGPRBlocks: 3
; VGPRBlocks: 10
; NumSGPRsForWavesPerEU: 29
; NumVGPRsForWavesPerEU: 43
; Occupancy: 5
; WaveLimiterHint : 0
; COMPUTE_PGM_RSRC2:SCRATCH_EN: 0
; COMPUTE_PGM_RSRC2:USER_SGPR: 6
; COMPUTE_PGM_RSRC2:TRAP_HANDLER: 0
; COMPUTE_PGM_RSRC2:TGID_X_EN: 1
; COMPUTE_PGM_RSRC2:TGID_Y_EN: 1
; COMPUTE_PGM_RSRC2:TGID_Z_EN: 1
; COMPUTE_PGM_RSRC2:TIDIG_COMP_CNT: 1
	.section	.text._ZL37rocblas_syrkx_herkx_restricted_kernelIi19rocblas_complex_numIfELi16ELi32ELi8ELb0ELb0ELc84ELc76EKS1_S1_EviT_T0_PT8_S3_lS6_S3_lS4_PT9_S3_li,"axG",@progbits,_ZL37rocblas_syrkx_herkx_restricted_kernelIi19rocblas_complex_numIfELi16ELi32ELi8ELb0ELb0ELc84ELc76EKS1_S1_EviT_T0_PT8_S3_lS6_S3_lS4_PT9_S3_li,comdat
	.globl	_ZL37rocblas_syrkx_herkx_restricted_kernelIi19rocblas_complex_numIfELi16ELi32ELi8ELb0ELb0ELc84ELc76EKS1_S1_EviT_T0_PT8_S3_lS6_S3_lS4_PT9_S3_li ; -- Begin function _ZL37rocblas_syrkx_herkx_restricted_kernelIi19rocblas_complex_numIfELi16ELi32ELi8ELb0ELb0ELc84ELc76EKS1_S1_EviT_T0_PT8_S3_lS6_S3_lS4_PT9_S3_li
	.p2align	8
	.type	_ZL37rocblas_syrkx_herkx_restricted_kernelIi19rocblas_complex_numIfELi16ELi32ELi8ELb0ELb0ELc84ELc76EKS1_S1_EviT_T0_PT8_S3_lS6_S3_lS4_PT9_S3_li,@function
_ZL37rocblas_syrkx_herkx_restricted_kernelIi19rocblas_complex_numIfELi16ELi32ELi8ELb0ELb0ELc84ELc76EKS1_S1_EviT_T0_PT8_S3_lS6_S3_lS4_PT9_S3_li: ; @_ZL37rocblas_syrkx_herkx_restricted_kernelIi19rocblas_complex_numIfELi16ELi32ELi8ELb0ELb0ELc84ELc76EKS1_S1_EviT_T0_PT8_S3_lS6_S3_lS4_PT9_S3_li
; %bb.0:
	s_load_dwordx2 s[10:11], s[4:5], 0x0
	s_load_dwordx4 s[16:19], s[4:5], 0x8
	s_load_dwordx4 s[12:15], s[4:5], 0x38
	s_load_dwordx2 s[20:21], s[4:5], 0x48
	s_lshl_b32 s6, s6, 5
	s_lshl_b32 s7, s7, 5
	s_waitcnt lgkmcnt(0)
	s_cmp_lt_i32 s11, 1
	s_mov_b32 s9, 0
	s_cbranch_scc1 .LBB186_3
; %bb.1:
	v_lshl_add_u32 v3, v1, 4, v0
	s_load_dword s24, s[4:5], 0x18
	s_load_dwordx4 s[0:3], s[4:5], 0x20
	s_load_dword s22, s[4:5], 0x30
	v_and_b32_e32 v7, 31, v3
	v_lshrrev_b32_e32 v2, 5, v3
	v_and_b32_e32 v9, 7, v0
	v_lshlrev_b32_e32 v8, 3, v7
	v_lshrrev_b32_e32 v6, 3, v3
	v_lshl_or_b32 v11, v2, 8, v8
	v_lshlrev_b32_e32 v8, 3, v9
	v_add_u32_e32 v3, s7, v6
	v_lshl_or_b32 v6, v6, 6, v8
	v_mov_b32_e32 v10, 0
	v_add_u32_e32 v12, 0x800, v6
	v_mov_b32_e32 v6, 0x800
	s_waitcnt lgkmcnt(0)
	v_mad_i64_i32 v[4:5], s[22:23], s22, v3, v[9:10]
	v_mov_b32_e32 v3, v10
	v_lshl_add_u32 v14, v1, 6, v6
	v_add_u32_e32 v6, s6, v7
	v_mad_i64_i32 v[2:3], s[22:23], s24, v6, v[2:3]
	s_mul_i32 s1, s1, s8
	s_mul_hi_u32 s25, s0, s8
	s_add_i32 s1, s25, s1
	s_mul_i32 s0, s0, s8
	s_lshl_b64 s[0:1], s[0:1], 3
	v_lshlrev_b64 v[2:3], 3, v[2:3]
	s_add_u32 s0, s18, s0
	s_addc_u32 s1, s19, s1
	v_mov_b32_e32 v6, s1
	v_add_co_u32_e32 v2, vcc, s0, v2
	s_mul_i32 s0, s13, s8
	s_mul_hi_u32 s1, s12, s8
	v_addc_co_u32_e32 v3, vcc, v6, v3, vcc
	s_add_i32 s1, s1, s0
	s_mul_i32 s0, s12, s8
	v_add_co_u32_e32 v6, vcc, 4, v2
	s_lshl_b64 s[0:1], s[0:1], 3
	v_addc_co_u32_e32 v7, vcc, 0, v3, vcc
	v_lshlrev_b64 v[2:3], 3, v[4:5]
	s_add_u32 s0, s2, s0
	s_addc_u32 s1, s3, s1
	v_mov_b32_e32 v4, s1
	v_add_co_u32_e32 v2, vcc, s0, v2
	v_addc_co_u32_e32 v3, vcc, v4, v3, vcc
	v_add_co_u32_e32 v8, vcc, 4, v2
	v_lshlrev_b32_e32 v13, 3, v0
	v_addc_co_u32_e32 v9, vcc, 0, v3, vcc
	v_mov_b32_e32 v15, v10
	v_mov_b32_e32 v17, v10
	;; [unrolled: 1-line block ×7, first 2 shown]
.LBB186_2:                              ; =>This Inner Loop Header: Depth=1
	global_load_dwordx2 v[2:3], v[6:7], off offset:-4
	v_add_co_u32_e32 v6, vcc, 64, v6
	v_addc_co_u32_e32 v7, vcc, 0, v7, vcc
	s_add_i32 s9, s9, 8
	s_cmp_ge_i32 s9, s11
	s_waitcnt vmcnt(0)
	ds_write_b64 v11, v[2:3]
	global_load_dwordx2 v[2:3], v[8:9], off offset:-4
	v_add_co_u32_e32 v8, vcc, 64, v8
	v_addc_co_u32_e32 v9, vcc, 0, v9, vcc
	s_waitcnt vmcnt(0)
	ds_write_b64 v12, v[2:3]
	s_waitcnt lgkmcnt(0)
	s_barrier
	ds_read_b128 v[22:25], v14
	ds_read_b128 v[26:29], v14 offset:16
	ds_read_b128 v[30:33], v14 offset:32
	;; [unrolled: 1-line block ×3, first 2 shown]
	ds_read2_b64 v[34:37], v13 offset1:16
	s_waitcnt lgkmcnt(0)
	v_mul_f32_e32 v38, v23, v35
	v_mul_f32_e32 v39, v22, v35
	v_fma_f32 v38, v22, v34, -v38
	v_fmac_f32_e32 v39, v23, v34
	v_add_f32_e32 v38, v20, v38
	v_add_f32_e32 v39, v21, v39
	v_mul_f32_e32 v20, v23, v37
	v_mul_f32_e32 v21, v22, v37
	v_fma_f32 v20, v22, v36, -v20
	v_fmac_f32_e32 v21, v23, v36
	v_add_f32_e32 v22, v18, v20
	v_add_f32_e32 v23, v19, v21
	ds_read_b128 v[18:21], v14 offset:1024
	s_waitcnt lgkmcnt(0)
	v_mul_f32_e32 v40, v19, v35
	v_mul_f32_e32 v35, v18, v35
	v_fma_f32 v40, v18, v34, -v40
	v_fmac_f32_e32 v35, v19, v34
	v_add_f32_e32 v34, v16, v40
	v_add_f32_e32 v35, v17, v35
	v_mul_f32_e32 v16, v19, v37
	v_mul_f32_e32 v17, v18, v37
	v_fma_f32 v16, v18, v36, -v16
	v_fmac_f32_e32 v17, v19, v36
	v_add_f32_e32 v19, v15, v16
	v_add_f32_e32 v10, v10, v17
	ds_read2_b64 v[15:18], v13 offset0:32 offset1:48
	s_waitcnt lgkmcnt(0)
	v_mul_f32_e32 v36, v25, v16
	v_fma_f32 v36, v24, v15, -v36
	v_add_f32_e32 v36, v38, v36
	v_mul_f32_e32 v38, v25, v18
	v_mul_f32_e32 v37, v24, v16
	v_fma_f32 v38, v24, v17, -v38
	v_mul_f32_e32 v24, v24, v18
	v_fmac_f32_e32 v24, v25, v17
	v_add_f32_e32 v23, v23, v24
	v_mul_f32_e32 v24, v21, v16
	v_mul_f32_e32 v16, v20, v16
	v_fmac_f32_e32 v16, v21, v15
	v_fmac_f32_e32 v37, v25, v15
	v_fma_f32 v24, v20, v15, -v24
	v_add_f32_e32 v25, v35, v16
	v_mul_f32_e32 v15, v21, v18
	v_mul_f32_e32 v16, v20, v18
	v_fma_f32 v15, v20, v17, -v15
	v_fmac_f32_e32 v16, v21, v17
	v_add_f32_e32 v24, v34, v24
	v_add_f32_e32 v34, v19, v15
	;; [unrolled: 1-line block ×3, first 2 shown]
	ds_read2_b64 v[15:18], v13 offset0:64 offset1:80
	v_add_f32_e32 v37, v39, v37
	v_add_f32_e32 v22, v22, v38
	s_waitcnt lgkmcnt(0)
	v_mul_f32_e32 v19, v27, v16
	v_mul_f32_e32 v20, v26, v16
	v_fma_f32 v19, v26, v15, -v19
	v_fmac_f32_e32 v20, v27, v15
	v_add_f32_e32 v35, v36, v19
	v_add_f32_e32 v36, v37, v20
	v_mul_f32_e32 v19, v27, v18
	v_mul_f32_e32 v20, v26, v18
	v_fma_f32 v19, v26, v17, -v19
	v_fmac_f32_e32 v20, v27, v17
	v_add_f32_e32 v26, v22, v19
	v_add_f32_e32 v23, v23, v20
	ds_read_b128 v[19:22], v14 offset:1040
	s_waitcnt lgkmcnt(0)
	v_mul_f32_e32 v27, v20, v16
	v_mul_f32_e32 v16, v19, v16
	v_fmac_f32_e32 v16, v20, v15
	v_fma_f32 v27, v19, v15, -v27
	v_add_f32_e32 v25, v25, v16
	v_mul_f32_e32 v15, v20, v18
	v_mul_f32_e32 v16, v19, v18
	v_fma_f32 v15, v19, v17, -v15
	v_fmac_f32_e32 v16, v20, v17
	v_add_f32_e32 v19, v34, v15
	v_add_f32_e32 v10, v10, v16
	ds_read2_b64 v[15:18], v13 offset0:96 offset1:112
	v_add_f32_e32 v24, v24, v27
	s_waitcnt lgkmcnt(0)
	v_mul_f32_e32 v20, v29, v16
	v_mul_f32_e32 v34, v29, v18
	v_fma_f32 v20, v28, v15, -v20
	v_mul_f32_e32 v27, v28, v16
	v_fma_f32 v34, v28, v17, -v34
	v_mul_f32_e32 v28, v28, v18
	v_fmac_f32_e32 v28, v29, v17
	v_add_f32_e32 v23, v23, v28
	v_mul_f32_e32 v28, v22, v16
	v_mul_f32_e32 v16, v21, v16
	v_fmac_f32_e32 v16, v22, v15
	v_fmac_f32_e32 v27, v29, v15
	v_fma_f32 v28, v21, v15, -v28
	v_add_f32_e32 v25, v25, v16
	v_mul_f32_e32 v15, v22, v18
	v_mul_f32_e32 v16, v21, v18
	v_fma_f32 v15, v21, v17, -v15
	v_fmac_f32_e32 v16, v22, v17
	v_add_f32_e32 v24, v24, v28
	v_add_f32_e32 v28, v19, v15
	;; [unrolled: 1-line block ×3, first 2 shown]
	ds_read2_b64 v[15:18], v13 offset0:128 offset1:144
	v_add_f32_e32 v20, v35, v20
	v_add_f32_e32 v27, v36, v27
	;; [unrolled: 1-line block ×3, first 2 shown]
	s_waitcnt lgkmcnt(0)
	v_mul_f32_e32 v19, v31, v16
	v_fma_f32 v19, v30, v15, -v19
	v_mul_f32_e32 v21, v30, v16
	v_add_f32_e32 v29, v20, v19
	v_mul_f32_e32 v19, v31, v18
	v_mul_f32_e32 v20, v30, v18
	v_fmac_f32_e32 v21, v31, v15
	v_fma_f32 v19, v30, v17, -v19
	v_fmac_f32_e32 v20, v31, v17
	v_add_f32_e32 v27, v27, v21
	v_add_f32_e32 v26, v26, v19
	;; [unrolled: 1-line block ×3, first 2 shown]
	ds_read_b128 v[19:22], v14 offset:1056
	s_waitcnt lgkmcnt(0)
	v_mul_f32_e32 v30, v20, v16
	v_mul_f32_e32 v16, v19, v16
	v_fmac_f32_e32 v16, v20, v15
	v_fma_f32 v30, v19, v15, -v30
	v_add_f32_e32 v25, v25, v16
	v_mul_f32_e32 v15, v20, v18
	v_mul_f32_e32 v16, v19, v18
	v_fma_f32 v15, v19, v17, -v15
	v_fmac_f32_e32 v16, v20, v17
	v_add_f32_e32 v19, v28, v15
	v_add_f32_e32 v10, v10, v16
	ds_read2_b64 v[15:18], v13 offset0:160 offset1:176
	v_add_f32_e32 v24, v24, v30
	s_waitcnt lgkmcnt(0)
	v_mul_f32_e32 v28, v32, v16
	v_fmac_f32_e32 v28, v33, v15
	v_add_f32_e32 v27, v27, v28
	v_mul_f32_e32 v28, v33, v18
	v_fma_f32 v28, v32, v17, -v28
	v_mul_f32_e32 v20, v33, v16
	v_add_f32_e32 v26, v26, v28
	v_mul_f32_e32 v28, v22, v16
	v_mul_f32_e32 v16, v21, v16
	v_fmac_f32_e32 v16, v22, v15
	v_fma_f32 v20, v32, v15, -v20
	v_fma_f32 v28, v21, v15, -v28
	v_add_f32_e32 v25, v25, v16
	v_mul_f32_e32 v15, v22, v18
	v_mul_f32_e32 v16, v21, v18
	v_add_f32_e32 v20, v29, v20
	v_mul_f32_e32 v29, v32, v18
	v_fma_f32 v15, v21, v17, -v15
	v_fmac_f32_e32 v16, v22, v17
	v_fmac_f32_e32 v29, v33, v17
	v_add_f32_e32 v19, v19, v15
	v_add_f32_e32 v10, v10, v16
	ds_read2_b64 v[15:18], v13 offset0:192 offset1:208
	v_add_f32_e32 v24, v24, v28
	v_add_f32_e32 v23, v23, v29
	s_waitcnt lgkmcnt(0)
	v_mul_f32_e32 v21, v3, v16
	v_fma_f32 v21, v2, v15, -v21
	v_add_f32_e32 v28, v20, v21
	v_mul_f32_e32 v20, v3, v18
	v_mul_f32_e32 v22, v2, v16
	v_fma_f32 v20, v2, v17, -v20
	v_mul_f32_e32 v2, v2, v18
	v_fmac_f32_e32 v22, v3, v15
	v_fmac_f32_e32 v2, v3, v17
	v_add_f32_e32 v29, v27, v22
	v_add_f32_e32 v3, v26, v20
	;; [unrolled: 1-line block ×3, first 2 shown]
	ds_read_b128 v[20:23], v14 offset:1072
	s_waitcnt lgkmcnt(0)
	v_mul_f32_e32 v26, v21, v16
	v_mul_f32_e32 v16, v20, v16
	v_fma_f32 v26, v20, v15, -v26
	v_fmac_f32_e32 v16, v21, v15
	v_add_f32_e32 v15, v24, v26
	v_add_f32_e32 v30, v25, v16
	ds_read2_b64 v[24:27], v13 offset0:224 offset1:240
	v_mul_f32_e32 v16, v21, v18
	v_fma_f32 v16, v20, v17, -v16
	v_add_f32_e32 v31, v19, v16
	v_mul_f32_e32 v18, v20, v18
	s_waitcnt lgkmcnt(0)
	v_mul_f32_e32 v16, v5, v25
	v_fma_f32 v16, v4, v24, -v16
	v_add_f32_e32 v20, v28, v16
	v_mul_f32_e32 v16, v5, v27
	v_fmac_f32_e32 v18, v21, v17
	v_mul_f32_e32 v17, v4, v25
	v_fma_f32 v16, v4, v26, -v16
	v_mul_f32_e32 v4, v4, v27
	v_fmac_f32_e32 v4, v5, v26
	v_add_f32_e32 v10, v10, v18
	v_add_f32_e32 v18, v3, v16
	;; [unrolled: 1-line block ×3, first 2 shown]
	v_mul_f32_e32 v2, v23, v25
	v_mul_f32_e32 v3, v22, v25
	v_fmac_f32_e32 v17, v5, v24
	v_fma_f32 v2, v22, v24, -v2
	v_fmac_f32_e32 v3, v23, v24
	v_add_f32_e32 v21, v29, v17
	v_add_f32_e32 v16, v15, v2
	;; [unrolled: 1-line block ×3, first 2 shown]
	v_mul_f32_e32 v2, v23, v27
	v_mul_f32_e32 v3, v22, v27
	v_fma_f32 v2, v22, v26, -v2
	v_fmac_f32_e32 v3, v23, v26
	v_add_f32_e32 v15, v31, v2
	v_add_f32_e32 v10, v10, v3
	s_barrier
	s_cbranch_scc0 .LBB186_2
	s_branch .LBB186_4
.LBB186_3:
	v_mov_b32_e32 v20, 0
	v_mov_b32_e32 v21, 0
	v_mov_b32_e32 v18, 0
	v_mov_b32_e32 v19, 0
	v_mov_b32_e32 v16, 0
	v_mov_b32_e32 v17, 0
	v_mov_b32_e32 v15, 0
	v_mov_b32_e32 v10, 0
.LBB186_4:
	s_load_dwordx2 s[0:1], s[4:5], 0x58
	s_load_dword s9, s[4:5], 0x50
	v_add_u32_e32 v4, s7, v1
	v_add_u32_e32 v0, s6, v0
	s_waitcnt lgkmcnt(0)
	s_mul_i32 s1, s1, s8
	s_mul_hi_u32 s2, s0, s8
	s_add_i32 s1, s2, s1
	v_mad_i64_i32 v[1:2], s[2:3], v4, s9, 0
	s_mul_i32 s0, s0, s8
	s_lshl_b64 s[0:1], s[0:1], 3
	s_add_u32 s7, s20, s0
	v_lshlrev_b64 v[1:2], 3, v[1:2]
	s_addc_u32 s8, s21, s1
	v_mov_b32_e32 v3, s8
	v_add_co_u32_e32 v5, vcc, s7, v1
	v_addc_co_u32_e32 v6, vcc, v3, v2, vcc
	v_cmp_le_i32_e64 s[0:1], v4, v0
	v_cmp_gt_i32_e32 vcc, s10, v0
	s_and_b64 s[0:1], s[0:1], vcc
	s_and_saveexec_b64 s[2:3], s[0:1]
	s_cbranch_execz .LBB186_6
; %bb.5:
	v_ashrrev_i32_e32 v1, 31, v0
	v_lshlrev_b64 v[1:2], 3, v[0:1]
	v_mul_f32_e32 v3, s17, v21
	v_add_co_u32_e64 v1, s[0:1], v5, v1
	v_addc_co_u32_e64 v2, s[0:1], v6, v2, s[0:1]
	global_load_dwordx2 v[7:8], v[1:2], off
	v_mul_f32_e32 v9, s16, v21
	v_fma_f32 v3, v20, s16, -v3
	v_fmac_f32_e32 v9, s17, v20
	s_waitcnt vmcnt(0)
	v_mul_f32_e32 v11, s15, v8
	v_mul_f32_e32 v8, s14, v8
	v_fma_f32 v11, v7, s14, -v11
	v_fmac_f32_e32 v8, s15, v7
	v_add_f32_e32 v7, v3, v11
	v_add_f32_e32 v8, v9, v8
	global_store_dwordx2 v[1:2], v[7:8], off
.LBB186_6:
	s_or_b64 exec, exec, s[2:3]
	v_add_u32_e32 v2, 16, v0
	v_cmp_le_i32_e64 s[2:3], v4, v2
	v_cmp_gt_i32_e64 s[0:1], s10, v2
	s_and_b64 s[2:3], s[2:3], s[0:1]
	s_and_saveexec_b64 s[4:5], s[2:3]
	s_cbranch_execz .LBB186_8
; %bb.7:
	v_ashrrev_i32_e32 v3, 31, v2
	v_lshlrev_b64 v[7:8], 3, v[2:3]
	v_mul_f32_e32 v1, s17, v19
	v_add_co_u32_e64 v5, s[2:3], v5, v7
	v_addc_co_u32_e64 v6, s[2:3], v6, v8, s[2:3]
	global_load_dwordx2 v[7:8], v[5:6], off
	v_mul_f32_e32 v3, s16, v19
	v_fma_f32 v1, v18, s16, -v1
	v_fmac_f32_e32 v3, s17, v18
	s_waitcnt vmcnt(0)
	v_mul_f32_e32 v9, s15, v8
	v_mul_f32_e32 v8, s14, v8
	v_fma_f32 v9, v7, s14, -v9
	v_fmac_f32_e32 v8, s15, v7
	v_add_f32_e32 v7, v1, v9
	v_add_f32_e32 v8, v3, v8
	global_store_dwordx2 v[5:6], v[7:8], off
.LBB186_8:
	s_or_b64 exec, exec, s[4:5]
	v_add_u32_e32 v3, 16, v4
	v_mad_i64_i32 v[4:5], s[2:3], v3, s9, 0
	v_mov_b32_e32 v1, s8
	v_lshlrev_b64 v[4:5], 3, v[4:5]
	v_add_co_u32_e64 v4, s[2:3], s7, v4
	v_addc_co_u32_e64 v5, s[2:3], v1, v5, s[2:3]
	v_cmp_le_i32_e64 s[2:3], v3, v0
	s_and_b64 s[4:5], s[2:3], vcc
	s_and_saveexec_b64 s[2:3], s[4:5]
	s_cbranch_execz .LBB186_10
; %bb.9:
	v_ashrrev_i32_e32 v1, 31, v0
	v_lshlrev_b64 v[0:1], 3, v[0:1]
	v_mul_f32_e32 v8, s17, v17
	v_add_co_u32_e32 v0, vcc, v4, v0
	v_addc_co_u32_e32 v1, vcc, v5, v1, vcc
	global_load_dwordx2 v[6:7], v[0:1], off
	v_mul_f32_e32 v9, s16, v17
	v_fma_f32 v8, v16, s16, -v8
	v_fmac_f32_e32 v9, s17, v16
	s_waitcnt vmcnt(0)
	v_mul_f32_e32 v11, s15, v7
	v_mul_f32_e32 v7, s14, v7
	v_fma_f32 v11, v6, s14, -v11
	v_fmac_f32_e32 v7, s15, v6
	v_add_f32_e32 v6, v8, v11
	v_add_f32_e32 v7, v9, v7
	global_store_dwordx2 v[0:1], v[6:7], off
.LBB186_10:
	s_or_b64 exec, exec, s[2:3]
	v_cmp_le_i32_e32 vcc, v3, v2
	s_and_b64 s[0:1], vcc, s[0:1]
	s_and_saveexec_b64 s[2:3], s[0:1]
	s_cbranch_execz .LBB186_12
; %bb.11:
	v_ashrrev_i32_e32 v3, 31, v2
	v_lshlrev_b64 v[0:1], 3, v[2:3]
	v_add_co_u32_e32 v0, vcc, v4, v0
	v_addc_co_u32_e32 v1, vcc, v5, v1, vcc
	global_load_dwordx2 v[2:3], v[0:1], off
	v_mul_f32_e32 v4, s17, v10
	v_mul_f32_e32 v5, s16, v10
	v_fma_f32 v4, v15, s16, -v4
	v_fmac_f32_e32 v5, s17, v15
	s_waitcnt vmcnt(0)
	v_mul_f32_e32 v6, s15, v3
	v_mul_f32_e32 v3, s14, v3
	v_fma_f32 v6, v2, s14, -v6
	v_fmac_f32_e32 v3, s15, v2
	v_add_f32_e32 v2, v4, v6
	v_add_f32_e32 v3, v5, v3
	global_store_dwordx2 v[0:1], v[2:3], off
.LBB186_12:
	s_endpgm
	.section	.rodata,"a",@progbits
	.p2align	6, 0x0
	.amdhsa_kernel _ZL37rocblas_syrkx_herkx_restricted_kernelIi19rocblas_complex_numIfELi16ELi32ELi8ELb0ELb0ELc84ELc76EKS1_S1_EviT_T0_PT8_S3_lS6_S3_lS4_PT9_S3_li
		.amdhsa_group_segment_fixed_size 4096
		.amdhsa_private_segment_fixed_size 0
		.amdhsa_kernarg_size 100
		.amdhsa_user_sgpr_count 6
		.amdhsa_user_sgpr_private_segment_buffer 1
		.amdhsa_user_sgpr_dispatch_ptr 0
		.amdhsa_user_sgpr_queue_ptr 0
		.amdhsa_user_sgpr_kernarg_segment_ptr 1
		.amdhsa_user_sgpr_dispatch_id 0
		.amdhsa_user_sgpr_flat_scratch_init 0
		.amdhsa_user_sgpr_private_segment_size 0
		.amdhsa_uses_dynamic_stack 0
		.amdhsa_system_sgpr_private_segment_wavefront_offset 0
		.amdhsa_system_sgpr_workgroup_id_x 1
		.amdhsa_system_sgpr_workgroup_id_y 1
		.amdhsa_system_sgpr_workgroup_id_z 1
		.amdhsa_system_sgpr_workgroup_info 0
		.amdhsa_system_vgpr_workitem_id 1
		.amdhsa_next_free_vgpr 41
		.amdhsa_next_free_sgpr 26
		.amdhsa_reserve_vcc 1
		.amdhsa_reserve_flat_scratch 0
		.amdhsa_float_round_mode_32 0
		.amdhsa_float_round_mode_16_64 0
		.amdhsa_float_denorm_mode_32 3
		.amdhsa_float_denorm_mode_16_64 3
		.amdhsa_dx10_clamp 1
		.amdhsa_ieee_mode 1
		.amdhsa_fp16_overflow 0
		.amdhsa_exception_fp_ieee_invalid_op 0
		.amdhsa_exception_fp_denorm_src 0
		.amdhsa_exception_fp_ieee_div_zero 0
		.amdhsa_exception_fp_ieee_overflow 0
		.amdhsa_exception_fp_ieee_underflow 0
		.amdhsa_exception_fp_ieee_inexact 0
		.amdhsa_exception_int_div_zero 0
	.end_amdhsa_kernel
	.section	.text._ZL37rocblas_syrkx_herkx_restricted_kernelIi19rocblas_complex_numIfELi16ELi32ELi8ELb0ELb0ELc84ELc76EKS1_S1_EviT_T0_PT8_S3_lS6_S3_lS4_PT9_S3_li,"axG",@progbits,_ZL37rocblas_syrkx_herkx_restricted_kernelIi19rocblas_complex_numIfELi16ELi32ELi8ELb0ELb0ELc84ELc76EKS1_S1_EviT_T0_PT8_S3_lS6_S3_lS4_PT9_S3_li,comdat
.Lfunc_end186:
	.size	_ZL37rocblas_syrkx_herkx_restricted_kernelIi19rocblas_complex_numIfELi16ELi32ELi8ELb0ELb0ELc84ELc76EKS1_S1_EviT_T0_PT8_S3_lS6_S3_lS4_PT9_S3_li, .Lfunc_end186-_ZL37rocblas_syrkx_herkx_restricted_kernelIi19rocblas_complex_numIfELi16ELi32ELi8ELb0ELb0ELc84ELc76EKS1_S1_EviT_T0_PT8_S3_lS6_S3_lS4_PT9_S3_li
                                        ; -- End function
	.set _ZL37rocblas_syrkx_herkx_restricted_kernelIi19rocblas_complex_numIfELi16ELi32ELi8ELb0ELb0ELc84ELc76EKS1_S1_EviT_T0_PT8_S3_lS6_S3_lS4_PT9_S3_li.num_vgpr, 41
	.set _ZL37rocblas_syrkx_herkx_restricted_kernelIi19rocblas_complex_numIfELi16ELi32ELi8ELb0ELb0ELc84ELc76EKS1_S1_EviT_T0_PT8_S3_lS6_S3_lS4_PT9_S3_li.num_agpr, 0
	.set _ZL37rocblas_syrkx_herkx_restricted_kernelIi19rocblas_complex_numIfELi16ELi32ELi8ELb0ELb0ELc84ELc76EKS1_S1_EviT_T0_PT8_S3_lS6_S3_lS4_PT9_S3_li.numbered_sgpr, 26
	.set _ZL37rocblas_syrkx_herkx_restricted_kernelIi19rocblas_complex_numIfELi16ELi32ELi8ELb0ELb0ELc84ELc76EKS1_S1_EviT_T0_PT8_S3_lS6_S3_lS4_PT9_S3_li.num_named_barrier, 0
	.set _ZL37rocblas_syrkx_herkx_restricted_kernelIi19rocblas_complex_numIfELi16ELi32ELi8ELb0ELb0ELc84ELc76EKS1_S1_EviT_T0_PT8_S3_lS6_S3_lS4_PT9_S3_li.private_seg_size, 0
	.set _ZL37rocblas_syrkx_herkx_restricted_kernelIi19rocblas_complex_numIfELi16ELi32ELi8ELb0ELb0ELc84ELc76EKS1_S1_EviT_T0_PT8_S3_lS6_S3_lS4_PT9_S3_li.uses_vcc, 1
	.set _ZL37rocblas_syrkx_herkx_restricted_kernelIi19rocblas_complex_numIfELi16ELi32ELi8ELb0ELb0ELc84ELc76EKS1_S1_EviT_T0_PT8_S3_lS6_S3_lS4_PT9_S3_li.uses_flat_scratch, 0
	.set _ZL37rocblas_syrkx_herkx_restricted_kernelIi19rocblas_complex_numIfELi16ELi32ELi8ELb0ELb0ELc84ELc76EKS1_S1_EviT_T0_PT8_S3_lS6_S3_lS4_PT9_S3_li.has_dyn_sized_stack, 0
	.set _ZL37rocblas_syrkx_herkx_restricted_kernelIi19rocblas_complex_numIfELi16ELi32ELi8ELb0ELb0ELc84ELc76EKS1_S1_EviT_T0_PT8_S3_lS6_S3_lS4_PT9_S3_li.has_recursion, 0
	.set _ZL37rocblas_syrkx_herkx_restricted_kernelIi19rocblas_complex_numIfELi16ELi32ELi8ELb0ELb0ELc84ELc76EKS1_S1_EviT_T0_PT8_S3_lS6_S3_lS4_PT9_S3_li.has_indirect_call, 0
	.section	.AMDGPU.csdata,"",@progbits
; Kernel info:
; codeLenInByte = 2120
; TotalNumSgprs: 30
; NumVgprs: 41
; ScratchSize: 0
; MemoryBound: 0
; FloatMode: 240
; IeeeMode: 1
; LDSByteSize: 4096 bytes/workgroup (compile time only)
; SGPRBlocks: 3
; VGPRBlocks: 10
; NumSGPRsForWavesPerEU: 30
; NumVGPRsForWavesPerEU: 41
; Occupancy: 5
; WaveLimiterHint : 0
; COMPUTE_PGM_RSRC2:SCRATCH_EN: 0
; COMPUTE_PGM_RSRC2:USER_SGPR: 6
; COMPUTE_PGM_RSRC2:TRAP_HANDLER: 0
; COMPUTE_PGM_RSRC2:TGID_X_EN: 1
; COMPUTE_PGM_RSRC2:TGID_Y_EN: 1
; COMPUTE_PGM_RSRC2:TGID_Z_EN: 1
; COMPUTE_PGM_RSRC2:TIDIG_COMP_CNT: 1
	.section	.text._ZL37rocblas_syrkx_herkx_restricted_kernelIi19rocblas_complex_numIfELi16ELi32ELi8ELb0ELb0ELc67ELc76EKS1_S1_EviT_T0_PT8_S3_lS6_S3_lS4_PT9_S3_li,"axG",@progbits,_ZL37rocblas_syrkx_herkx_restricted_kernelIi19rocblas_complex_numIfELi16ELi32ELi8ELb0ELb0ELc67ELc76EKS1_S1_EviT_T0_PT8_S3_lS6_S3_lS4_PT9_S3_li,comdat
	.globl	_ZL37rocblas_syrkx_herkx_restricted_kernelIi19rocblas_complex_numIfELi16ELi32ELi8ELb0ELb0ELc67ELc76EKS1_S1_EviT_T0_PT8_S3_lS6_S3_lS4_PT9_S3_li ; -- Begin function _ZL37rocblas_syrkx_herkx_restricted_kernelIi19rocblas_complex_numIfELi16ELi32ELi8ELb0ELb0ELc67ELc76EKS1_S1_EviT_T0_PT8_S3_lS6_S3_lS4_PT9_S3_li
	.p2align	8
	.type	_ZL37rocblas_syrkx_herkx_restricted_kernelIi19rocblas_complex_numIfELi16ELi32ELi8ELb0ELb0ELc67ELc76EKS1_S1_EviT_T0_PT8_S3_lS6_S3_lS4_PT9_S3_li,@function
_ZL37rocblas_syrkx_herkx_restricted_kernelIi19rocblas_complex_numIfELi16ELi32ELi8ELb0ELb0ELc67ELc76EKS1_S1_EviT_T0_PT8_S3_lS6_S3_lS4_PT9_S3_li: ; @_ZL37rocblas_syrkx_herkx_restricted_kernelIi19rocblas_complex_numIfELi16ELi32ELi8ELb0ELb0ELc67ELc76EKS1_S1_EviT_T0_PT8_S3_lS6_S3_lS4_PT9_S3_li
; %bb.0:
	s_load_dwordx2 s[10:11], s[4:5], 0x0
	s_load_dwordx4 s[16:19], s[4:5], 0x8
	s_load_dwordx4 s[12:15], s[4:5], 0x38
	s_load_dwordx2 s[20:21], s[4:5], 0x48
	s_lshl_b32 s6, s6, 5
	s_lshl_b32 s7, s7, 5
	s_waitcnt lgkmcnt(0)
	s_cmp_lt_i32 s11, 1
	s_mov_b32 s9, 0
	s_cbranch_scc1 .LBB187_3
; %bb.1:
	v_lshl_add_u32 v3, v1, 4, v0
	s_load_dword s24, s[4:5], 0x18
	s_load_dwordx4 s[0:3], s[4:5], 0x20
	s_load_dword s22, s[4:5], 0x30
	v_and_b32_e32 v7, 31, v3
	v_lshrrev_b32_e32 v2, 5, v3
	v_and_b32_e32 v9, 7, v0
	v_lshlrev_b32_e32 v8, 3, v7
	v_lshrrev_b32_e32 v6, 3, v3
	v_lshl_or_b32 v11, v2, 8, v8
	v_lshlrev_b32_e32 v8, 3, v9
	v_add_u32_e32 v3, s7, v6
	v_lshl_or_b32 v6, v6, 6, v8
	v_mov_b32_e32 v10, 0
	v_add_u32_e32 v12, 0x800, v6
	v_mov_b32_e32 v6, 0x800
	s_waitcnt lgkmcnt(0)
	v_mad_i64_i32 v[4:5], s[22:23], s22, v3, v[9:10]
	v_mov_b32_e32 v3, v10
	v_lshl_add_u32 v14, v1, 6, v6
	v_add_u32_e32 v6, s6, v7
	v_mad_i64_i32 v[2:3], s[22:23], s24, v6, v[2:3]
	s_mul_i32 s1, s1, s8
	s_mul_hi_u32 s25, s0, s8
	s_add_i32 s1, s25, s1
	s_mul_i32 s0, s0, s8
	s_lshl_b64 s[0:1], s[0:1], 3
	v_lshlrev_b64 v[2:3], 3, v[2:3]
	s_add_u32 s0, s18, s0
	s_addc_u32 s1, s19, s1
	v_mov_b32_e32 v6, s1
	v_add_co_u32_e32 v2, vcc, s0, v2
	s_mul_i32 s0, s13, s8
	s_mul_hi_u32 s1, s12, s8
	v_addc_co_u32_e32 v3, vcc, v6, v3, vcc
	s_add_i32 s1, s1, s0
	s_mul_i32 s0, s12, s8
	v_add_co_u32_e32 v6, vcc, 4, v2
	s_lshl_b64 s[0:1], s[0:1], 3
	v_addc_co_u32_e32 v7, vcc, 0, v3, vcc
	v_lshlrev_b64 v[2:3], 3, v[4:5]
	s_add_u32 s0, s2, s0
	s_addc_u32 s1, s3, s1
	v_mov_b32_e32 v4, s1
	v_add_co_u32_e32 v2, vcc, s0, v2
	v_addc_co_u32_e32 v3, vcc, v4, v3, vcc
	v_add_co_u32_e32 v8, vcc, 4, v2
	v_lshlrev_b32_e32 v13, 3, v0
	v_addc_co_u32_e32 v9, vcc, 0, v3, vcc
	v_mov_b32_e32 v15, v10
	v_mov_b32_e32 v17, v10
	v_mov_b32_e32 v16, v10
	v_mov_b32_e32 v19, v10
	v_mov_b32_e32 v18, v10
	v_mov_b32_e32 v21, v10
	v_mov_b32_e32 v20, v10
.LBB187_2:                              ; =>This Inner Loop Header: Depth=1
	global_load_dwordx2 v[2:3], v[6:7], off offset:-4
	v_add_co_u32_e32 v6, vcc, 64, v6
	v_addc_co_u32_e32 v7, vcc, 0, v7, vcc
	s_add_i32 s9, s9, 8
	s_cmp_ge_i32 s9, s11
	s_waitcnt vmcnt(0)
	ds_write_b64 v11, v[2:3]
	global_load_dwordx2 v[2:3], v[8:9], off offset:-4
	v_add_co_u32_e32 v8, vcc, 64, v8
	v_addc_co_u32_e32 v9, vcc, 0, v9, vcc
	s_waitcnt vmcnt(0)
	ds_write_b64 v12, v[2:3]
	s_waitcnt lgkmcnt(0)
	s_barrier
	ds_read_b128 v[22:25], v14
	ds_read_b128 v[26:29], v14 offset:16
	ds_read_b128 v[30:33], v14 offset:32
	;; [unrolled: 1-line block ×3, first 2 shown]
	ds_read2_b64 v[34:37], v13 offset1:16
	s_waitcnt lgkmcnt(0)
	v_mul_f32_e32 v38, v23, v35
	v_mul_f32_e32 v39, v22, v35
	v_fma_f32 v38, v22, v34, -v38
	v_fmac_f32_e32 v39, v23, v34
	v_add_f32_e32 v38, v20, v38
	v_add_f32_e32 v39, v21, v39
	v_mul_f32_e32 v20, v23, v37
	v_mul_f32_e32 v21, v22, v37
	v_fma_f32 v20, v22, v36, -v20
	v_fmac_f32_e32 v21, v23, v36
	v_add_f32_e32 v22, v18, v20
	v_add_f32_e32 v23, v19, v21
	ds_read_b128 v[18:21], v14 offset:1024
	s_waitcnt lgkmcnt(0)
	v_mul_f32_e32 v40, v19, v35
	v_mul_f32_e32 v35, v18, v35
	v_fma_f32 v40, v18, v34, -v40
	v_fmac_f32_e32 v35, v19, v34
	v_add_f32_e32 v34, v16, v40
	v_add_f32_e32 v35, v17, v35
	v_mul_f32_e32 v16, v19, v37
	v_mul_f32_e32 v17, v18, v37
	v_fma_f32 v16, v18, v36, -v16
	v_fmac_f32_e32 v17, v19, v36
	v_add_f32_e32 v19, v15, v16
	v_add_f32_e32 v10, v10, v17
	ds_read2_b64 v[15:18], v13 offset0:32 offset1:48
	s_waitcnt lgkmcnt(0)
	v_mul_f32_e32 v36, v25, v16
	v_fma_f32 v36, v24, v15, -v36
	v_add_f32_e32 v36, v38, v36
	v_mul_f32_e32 v38, v25, v18
	v_mul_f32_e32 v37, v24, v16
	v_fma_f32 v38, v24, v17, -v38
	v_mul_f32_e32 v24, v24, v18
	v_fmac_f32_e32 v24, v25, v17
	v_add_f32_e32 v23, v23, v24
	v_mul_f32_e32 v24, v21, v16
	v_mul_f32_e32 v16, v20, v16
	v_fmac_f32_e32 v16, v21, v15
	v_fmac_f32_e32 v37, v25, v15
	v_fma_f32 v24, v20, v15, -v24
	v_add_f32_e32 v25, v35, v16
	v_mul_f32_e32 v15, v21, v18
	v_mul_f32_e32 v16, v20, v18
	v_fma_f32 v15, v20, v17, -v15
	v_fmac_f32_e32 v16, v21, v17
	v_add_f32_e32 v24, v34, v24
	v_add_f32_e32 v34, v19, v15
	;; [unrolled: 1-line block ×3, first 2 shown]
	ds_read2_b64 v[15:18], v13 offset0:64 offset1:80
	v_add_f32_e32 v37, v39, v37
	v_add_f32_e32 v22, v22, v38
	s_waitcnt lgkmcnt(0)
	v_mul_f32_e32 v19, v27, v16
	v_mul_f32_e32 v20, v26, v16
	v_fma_f32 v19, v26, v15, -v19
	v_fmac_f32_e32 v20, v27, v15
	v_add_f32_e32 v35, v36, v19
	v_add_f32_e32 v36, v37, v20
	v_mul_f32_e32 v19, v27, v18
	v_mul_f32_e32 v20, v26, v18
	v_fma_f32 v19, v26, v17, -v19
	v_fmac_f32_e32 v20, v27, v17
	v_add_f32_e32 v26, v22, v19
	v_add_f32_e32 v23, v23, v20
	ds_read_b128 v[19:22], v14 offset:1040
	s_waitcnt lgkmcnt(0)
	v_mul_f32_e32 v27, v20, v16
	v_mul_f32_e32 v16, v19, v16
	v_fmac_f32_e32 v16, v20, v15
	v_fma_f32 v27, v19, v15, -v27
	v_add_f32_e32 v25, v25, v16
	v_mul_f32_e32 v15, v20, v18
	v_mul_f32_e32 v16, v19, v18
	v_fma_f32 v15, v19, v17, -v15
	v_fmac_f32_e32 v16, v20, v17
	v_add_f32_e32 v19, v34, v15
	v_add_f32_e32 v10, v10, v16
	ds_read2_b64 v[15:18], v13 offset0:96 offset1:112
	v_add_f32_e32 v24, v24, v27
	s_waitcnt lgkmcnt(0)
	v_mul_f32_e32 v20, v29, v16
	v_mul_f32_e32 v34, v29, v18
	v_fma_f32 v20, v28, v15, -v20
	v_mul_f32_e32 v27, v28, v16
	v_fma_f32 v34, v28, v17, -v34
	v_mul_f32_e32 v28, v28, v18
	v_fmac_f32_e32 v28, v29, v17
	v_add_f32_e32 v23, v23, v28
	v_mul_f32_e32 v28, v22, v16
	v_mul_f32_e32 v16, v21, v16
	v_fmac_f32_e32 v16, v22, v15
	v_fmac_f32_e32 v27, v29, v15
	v_fma_f32 v28, v21, v15, -v28
	v_add_f32_e32 v25, v25, v16
	v_mul_f32_e32 v15, v22, v18
	v_mul_f32_e32 v16, v21, v18
	v_fma_f32 v15, v21, v17, -v15
	v_fmac_f32_e32 v16, v22, v17
	v_add_f32_e32 v24, v24, v28
	v_add_f32_e32 v28, v19, v15
	;; [unrolled: 1-line block ×3, first 2 shown]
	ds_read2_b64 v[15:18], v13 offset0:128 offset1:144
	v_add_f32_e32 v20, v35, v20
	v_add_f32_e32 v27, v36, v27
	;; [unrolled: 1-line block ×3, first 2 shown]
	s_waitcnt lgkmcnt(0)
	v_mul_f32_e32 v19, v31, v16
	v_fma_f32 v19, v30, v15, -v19
	v_mul_f32_e32 v21, v30, v16
	v_add_f32_e32 v29, v20, v19
	v_mul_f32_e32 v19, v31, v18
	v_mul_f32_e32 v20, v30, v18
	v_fmac_f32_e32 v21, v31, v15
	v_fma_f32 v19, v30, v17, -v19
	v_fmac_f32_e32 v20, v31, v17
	v_add_f32_e32 v27, v27, v21
	v_add_f32_e32 v26, v26, v19
	;; [unrolled: 1-line block ×3, first 2 shown]
	ds_read_b128 v[19:22], v14 offset:1056
	s_waitcnt lgkmcnt(0)
	v_mul_f32_e32 v30, v20, v16
	v_mul_f32_e32 v16, v19, v16
	v_fmac_f32_e32 v16, v20, v15
	v_fma_f32 v30, v19, v15, -v30
	v_add_f32_e32 v25, v25, v16
	v_mul_f32_e32 v15, v20, v18
	v_mul_f32_e32 v16, v19, v18
	v_fma_f32 v15, v19, v17, -v15
	v_fmac_f32_e32 v16, v20, v17
	v_add_f32_e32 v19, v28, v15
	v_add_f32_e32 v10, v10, v16
	ds_read2_b64 v[15:18], v13 offset0:160 offset1:176
	v_add_f32_e32 v24, v24, v30
	s_waitcnt lgkmcnt(0)
	v_mul_f32_e32 v28, v32, v16
	v_fmac_f32_e32 v28, v33, v15
	v_add_f32_e32 v27, v27, v28
	v_mul_f32_e32 v28, v33, v18
	v_fma_f32 v28, v32, v17, -v28
	v_mul_f32_e32 v20, v33, v16
	v_add_f32_e32 v26, v26, v28
	v_mul_f32_e32 v28, v22, v16
	v_mul_f32_e32 v16, v21, v16
	v_fmac_f32_e32 v16, v22, v15
	v_fma_f32 v20, v32, v15, -v20
	v_fma_f32 v28, v21, v15, -v28
	v_add_f32_e32 v25, v25, v16
	v_mul_f32_e32 v15, v22, v18
	v_mul_f32_e32 v16, v21, v18
	v_add_f32_e32 v20, v29, v20
	v_mul_f32_e32 v29, v32, v18
	v_fma_f32 v15, v21, v17, -v15
	v_fmac_f32_e32 v16, v22, v17
	v_fmac_f32_e32 v29, v33, v17
	v_add_f32_e32 v19, v19, v15
	v_add_f32_e32 v10, v10, v16
	ds_read2_b64 v[15:18], v13 offset0:192 offset1:208
	v_add_f32_e32 v24, v24, v28
	v_add_f32_e32 v23, v23, v29
	s_waitcnt lgkmcnt(0)
	v_mul_f32_e32 v21, v3, v16
	v_fma_f32 v21, v2, v15, -v21
	v_add_f32_e32 v28, v20, v21
	v_mul_f32_e32 v20, v3, v18
	v_mul_f32_e32 v22, v2, v16
	v_fma_f32 v20, v2, v17, -v20
	v_mul_f32_e32 v2, v2, v18
	v_fmac_f32_e32 v22, v3, v15
	v_fmac_f32_e32 v2, v3, v17
	v_add_f32_e32 v29, v27, v22
	v_add_f32_e32 v3, v26, v20
	;; [unrolled: 1-line block ×3, first 2 shown]
	ds_read_b128 v[20:23], v14 offset:1072
	s_waitcnt lgkmcnt(0)
	v_mul_f32_e32 v26, v21, v16
	v_mul_f32_e32 v16, v20, v16
	v_fma_f32 v26, v20, v15, -v26
	v_fmac_f32_e32 v16, v21, v15
	v_add_f32_e32 v15, v24, v26
	v_add_f32_e32 v30, v25, v16
	ds_read2_b64 v[24:27], v13 offset0:224 offset1:240
	v_mul_f32_e32 v16, v21, v18
	v_fma_f32 v16, v20, v17, -v16
	v_add_f32_e32 v31, v19, v16
	v_mul_f32_e32 v18, v20, v18
	s_waitcnt lgkmcnt(0)
	v_mul_f32_e32 v16, v5, v25
	v_fma_f32 v16, v4, v24, -v16
	v_add_f32_e32 v20, v28, v16
	v_mul_f32_e32 v16, v5, v27
	v_fmac_f32_e32 v18, v21, v17
	v_mul_f32_e32 v17, v4, v25
	v_fma_f32 v16, v4, v26, -v16
	v_mul_f32_e32 v4, v4, v27
	v_fmac_f32_e32 v4, v5, v26
	v_add_f32_e32 v10, v10, v18
	v_add_f32_e32 v18, v3, v16
	;; [unrolled: 1-line block ×3, first 2 shown]
	v_mul_f32_e32 v2, v23, v25
	v_mul_f32_e32 v3, v22, v25
	v_fmac_f32_e32 v17, v5, v24
	v_fma_f32 v2, v22, v24, -v2
	v_fmac_f32_e32 v3, v23, v24
	v_add_f32_e32 v21, v29, v17
	v_add_f32_e32 v16, v15, v2
	;; [unrolled: 1-line block ×3, first 2 shown]
	v_mul_f32_e32 v2, v23, v27
	v_mul_f32_e32 v3, v22, v27
	v_fma_f32 v2, v22, v26, -v2
	v_fmac_f32_e32 v3, v23, v26
	v_add_f32_e32 v15, v31, v2
	v_add_f32_e32 v10, v10, v3
	s_barrier
	s_cbranch_scc0 .LBB187_2
	s_branch .LBB187_4
.LBB187_3:
	v_mov_b32_e32 v20, 0
	v_mov_b32_e32 v21, 0
	;; [unrolled: 1-line block ×8, first 2 shown]
.LBB187_4:
	s_load_dwordx2 s[0:1], s[4:5], 0x58
	s_load_dword s9, s[4:5], 0x50
	v_add_u32_e32 v4, s7, v1
	v_add_u32_e32 v0, s6, v0
	s_waitcnt lgkmcnt(0)
	s_mul_i32 s1, s1, s8
	s_mul_hi_u32 s2, s0, s8
	s_add_i32 s1, s2, s1
	v_mad_i64_i32 v[1:2], s[2:3], v4, s9, 0
	s_mul_i32 s0, s0, s8
	s_lshl_b64 s[0:1], s[0:1], 3
	s_add_u32 s7, s20, s0
	v_lshlrev_b64 v[1:2], 3, v[1:2]
	s_addc_u32 s8, s21, s1
	v_mov_b32_e32 v3, s8
	v_add_co_u32_e32 v5, vcc, s7, v1
	v_addc_co_u32_e32 v6, vcc, v3, v2, vcc
	v_cmp_le_i32_e64 s[0:1], v4, v0
	v_cmp_gt_i32_e32 vcc, s10, v0
	s_and_b64 s[0:1], s[0:1], vcc
	s_and_saveexec_b64 s[2:3], s[0:1]
	s_cbranch_execz .LBB187_6
; %bb.5:
	v_ashrrev_i32_e32 v1, 31, v0
	v_lshlrev_b64 v[1:2], 3, v[0:1]
	v_mul_f32_e32 v3, s17, v21
	v_add_co_u32_e64 v1, s[0:1], v5, v1
	v_addc_co_u32_e64 v2, s[0:1], v6, v2, s[0:1]
	global_load_dwordx2 v[7:8], v[1:2], off
	v_mul_f32_e32 v9, s16, v21
	v_fma_f32 v3, v20, s16, -v3
	v_fmac_f32_e32 v9, s17, v20
	s_waitcnt vmcnt(0)
	v_mul_f32_e32 v11, s15, v8
	v_mul_f32_e32 v8, s14, v8
	v_fma_f32 v11, v7, s14, -v11
	v_fmac_f32_e32 v8, s15, v7
	v_add_f32_e32 v7, v3, v11
	v_add_f32_e32 v8, v9, v8
	global_store_dwordx2 v[1:2], v[7:8], off
.LBB187_6:
	s_or_b64 exec, exec, s[2:3]
	v_add_u32_e32 v2, 16, v0
	v_cmp_le_i32_e64 s[2:3], v4, v2
	v_cmp_gt_i32_e64 s[0:1], s10, v2
	s_and_b64 s[2:3], s[2:3], s[0:1]
	s_and_saveexec_b64 s[4:5], s[2:3]
	s_cbranch_execz .LBB187_8
; %bb.7:
	v_ashrrev_i32_e32 v3, 31, v2
	v_lshlrev_b64 v[7:8], 3, v[2:3]
	v_mul_f32_e32 v1, s17, v19
	v_add_co_u32_e64 v5, s[2:3], v5, v7
	v_addc_co_u32_e64 v6, s[2:3], v6, v8, s[2:3]
	global_load_dwordx2 v[7:8], v[5:6], off
	v_mul_f32_e32 v3, s16, v19
	v_fma_f32 v1, v18, s16, -v1
	v_fmac_f32_e32 v3, s17, v18
	s_waitcnt vmcnt(0)
	v_mul_f32_e32 v9, s15, v8
	v_mul_f32_e32 v8, s14, v8
	v_fma_f32 v9, v7, s14, -v9
	v_fmac_f32_e32 v8, s15, v7
	v_add_f32_e32 v7, v1, v9
	v_add_f32_e32 v8, v3, v8
	global_store_dwordx2 v[5:6], v[7:8], off
.LBB187_8:
	s_or_b64 exec, exec, s[4:5]
	v_add_u32_e32 v3, 16, v4
	v_mad_i64_i32 v[4:5], s[2:3], v3, s9, 0
	v_mov_b32_e32 v1, s8
	v_lshlrev_b64 v[4:5], 3, v[4:5]
	v_add_co_u32_e64 v4, s[2:3], s7, v4
	v_addc_co_u32_e64 v5, s[2:3], v1, v5, s[2:3]
	v_cmp_le_i32_e64 s[2:3], v3, v0
	s_and_b64 s[4:5], s[2:3], vcc
	s_and_saveexec_b64 s[2:3], s[4:5]
	s_cbranch_execz .LBB187_10
; %bb.9:
	v_ashrrev_i32_e32 v1, 31, v0
	v_lshlrev_b64 v[0:1], 3, v[0:1]
	v_mul_f32_e32 v8, s17, v17
	v_add_co_u32_e32 v0, vcc, v4, v0
	v_addc_co_u32_e32 v1, vcc, v5, v1, vcc
	global_load_dwordx2 v[6:7], v[0:1], off
	v_mul_f32_e32 v9, s16, v17
	v_fma_f32 v8, v16, s16, -v8
	v_fmac_f32_e32 v9, s17, v16
	s_waitcnt vmcnt(0)
	v_mul_f32_e32 v11, s15, v7
	v_mul_f32_e32 v7, s14, v7
	v_fma_f32 v11, v6, s14, -v11
	v_fmac_f32_e32 v7, s15, v6
	v_add_f32_e32 v6, v8, v11
	v_add_f32_e32 v7, v9, v7
	global_store_dwordx2 v[0:1], v[6:7], off
.LBB187_10:
	s_or_b64 exec, exec, s[2:3]
	v_cmp_le_i32_e32 vcc, v3, v2
	s_and_b64 s[0:1], vcc, s[0:1]
	s_and_saveexec_b64 s[2:3], s[0:1]
	s_cbranch_execz .LBB187_12
; %bb.11:
	v_ashrrev_i32_e32 v3, 31, v2
	v_lshlrev_b64 v[0:1], 3, v[2:3]
	v_add_co_u32_e32 v0, vcc, v4, v0
	v_addc_co_u32_e32 v1, vcc, v5, v1, vcc
	global_load_dwordx2 v[2:3], v[0:1], off
	v_mul_f32_e32 v4, s17, v10
	v_mul_f32_e32 v5, s16, v10
	v_fma_f32 v4, v15, s16, -v4
	v_fmac_f32_e32 v5, s17, v15
	s_waitcnt vmcnt(0)
	v_mul_f32_e32 v6, s15, v3
	v_mul_f32_e32 v3, s14, v3
	v_fma_f32 v6, v2, s14, -v6
	v_fmac_f32_e32 v3, s15, v2
	v_add_f32_e32 v2, v4, v6
	v_add_f32_e32 v3, v5, v3
	global_store_dwordx2 v[0:1], v[2:3], off
.LBB187_12:
	s_endpgm
	.section	.rodata,"a",@progbits
	.p2align	6, 0x0
	.amdhsa_kernel _ZL37rocblas_syrkx_herkx_restricted_kernelIi19rocblas_complex_numIfELi16ELi32ELi8ELb0ELb0ELc67ELc76EKS1_S1_EviT_T0_PT8_S3_lS6_S3_lS4_PT9_S3_li
		.amdhsa_group_segment_fixed_size 4096
		.amdhsa_private_segment_fixed_size 0
		.amdhsa_kernarg_size 100
		.amdhsa_user_sgpr_count 6
		.amdhsa_user_sgpr_private_segment_buffer 1
		.amdhsa_user_sgpr_dispatch_ptr 0
		.amdhsa_user_sgpr_queue_ptr 0
		.amdhsa_user_sgpr_kernarg_segment_ptr 1
		.amdhsa_user_sgpr_dispatch_id 0
		.amdhsa_user_sgpr_flat_scratch_init 0
		.amdhsa_user_sgpr_private_segment_size 0
		.amdhsa_uses_dynamic_stack 0
		.amdhsa_system_sgpr_private_segment_wavefront_offset 0
		.amdhsa_system_sgpr_workgroup_id_x 1
		.amdhsa_system_sgpr_workgroup_id_y 1
		.amdhsa_system_sgpr_workgroup_id_z 1
		.amdhsa_system_sgpr_workgroup_info 0
		.amdhsa_system_vgpr_workitem_id 1
		.amdhsa_next_free_vgpr 41
		.amdhsa_next_free_sgpr 26
		.amdhsa_reserve_vcc 1
		.amdhsa_reserve_flat_scratch 0
		.amdhsa_float_round_mode_32 0
		.amdhsa_float_round_mode_16_64 0
		.amdhsa_float_denorm_mode_32 3
		.amdhsa_float_denorm_mode_16_64 3
		.amdhsa_dx10_clamp 1
		.amdhsa_ieee_mode 1
		.amdhsa_fp16_overflow 0
		.amdhsa_exception_fp_ieee_invalid_op 0
		.amdhsa_exception_fp_denorm_src 0
		.amdhsa_exception_fp_ieee_div_zero 0
		.amdhsa_exception_fp_ieee_overflow 0
		.amdhsa_exception_fp_ieee_underflow 0
		.amdhsa_exception_fp_ieee_inexact 0
		.amdhsa_exception_int_div_zero 0
	.end_amdhsa_kernel
	.section	.text._ZL37rocblas_syrkx_herkx_restricted_kernelIi19rocblas_complex_numIfELi16ELi32ELi8ELb0ELb0ELc67ELc76EKS1_S1_EviT_T0_PT8_S3_lS6_S3_lS4_PT9_S3_li,"axG",@progbits,_ZL37rocblas_syrkx_herkx_restricted_kernelIi19rocblas_complex_numIfELi16ELi32ELi8ELb0ELb0ELc67ELc76EKS1_S1_EviT_T0_PT8_S3_lS6_S3_lS4_PT9_S3_li,comdat
.Lfunc_end187:
	.size	_ZL37rocblas_syrkx_herkx_restricted_kernelIi19rocblas_complex_numIfELi16ELi32ELi8ELb0ELb0ELc67ELc76EKS1_S1_EviT_T0_PT8_S3_lS6_S3_lS4_PT9_S3_li, .Lfunc_end187-_ZL37rocblas_syrkx_herkx_restricted_kernelIi19rocblas_complex_numIfELi16ELi32ELi8ELb0ELb0ELc67ELc76EKS1_S1_EviT_T0_PT8_S3_lS6_S3_lS4_PT9_S3_li
                                        ; -- End function
	.set _ZL37rocblas_syrkx_herkx_restricted_kernelIi19rocblas_complex_numIfELi16ELi32ELi8ELb0ELb0ELc67ELc76EKS1_S1_EviT_T0_PT8_S3_lS6_S3_lS4_PT9_S3_li.num_vgpr, 41
	.set _ZL37rocblas_syrkx_herkx_restricted_kernelIi19rocblas_complex_numIfELi16ELi32ELi8ELb0ELb0ELc67ELc76EKS1_S1_EviT_T0_PT8_S3_lS6_S3_lS4_PT9_S3_li.num_agpr, 0
	.set _ZL37rocblas_syrkx_herkx_restricted_kernelIi19rocblas_complex_numIfELi16ELi32ELi8ELb0ELb0ELc67ELc76EKS1_S1_EviT_T0_PT8_S3_lS6_S3_lS4_PT9_S3_li.numbered_sgpr, 26
	.set _ZL37rocblas_syrkx_herkx_restricted_kernelIi19rocblas_complex_numIfELi16ELi32ELi8ELb0ELb0ELc67ELc76EKS1_S1_EviT_T0_PT8_S3_lS6_S3_lS4_PT9_S3_li.num_named_barrier, 0
	.set _ZL37rocblas_syrkx_herkx_restricted_kernelIi19rocblas_complex_numIfELi16ELi32ELi8ELb0ELb0ELc67ELc76EKS1_S1_EviT_T0_PT8_S3_lS6_S3_lS4_PT9_S3_li.private_seg_size, 0
	.set _ZL37rocblas_syrkx_herkx_restricted_kernelIi19rocblas_complex_numIfELi16ELi32ELi8ELb0ELb0ELc67ELc76EKS1_S1_EviT_T0_PT8_S3_lS6_S3_lS4_PT9_S3_li.uses_vcc, 1
	.set _ZL37rocblas_syrkx_herkx_restricted_kernelIi19rocblas_complex_numIfELi16ELi32ELi8ELb0ELb0ELc67ELc76EKS1_S1_EviT_T0_PT8_S3_lS6_S3_lS4_PT9_S3_li.uses_flat_scratch, 0
	.set _ZL37rocblas_syrkx_herkx_restricted_kernelIi19rocblas_complex_numIfELi16ELi32ELi8ELb0ELb0ELc67ELc76EKS1_S1_EviT_T0_PT8_S3_lS6_S3_lS4_PT9_S3_li.has_dyn_sized_stack, 0
	.set _ZL37rocblas_syrkx_herkx_restricted_kernelIi19rocblas_complex_numIfELi16ELi32ELi8ELb0ELb0ELc67ELc76EKS1_S1_EviT_T0_PT8_S3_lS6_S3_lS4_PT9_S3_li.has_recursion, 0
	.set _ZL37rocblas_syrkx_herkx_restricted_kernelIi19rocblas_complex_numIfELi16ELi32ELi8ELb0ELb0ELc67ELc76EKS1_S1_EviT_T0_PT8_S3_lS6_S3_lS4_PT9_S3_li.has_indirect_call, 0
	.section	.AMDGPU.csdata,"",@progbits
; Kernel info:
; codeLenInByte = 2120
; TotalNumSgprs: 30
; NumVgprs: 41
; ScratchSize: 0
; MemoryBound: 0
; FloatMode: 240
; IeeeMode: 1
; LDSByteSize: 4096 bytes/workgroup (compile time only)
; SGPRBlocks: 3
; VGPRBlocks: 10
; NumSGPRsForWavesPerEU: 30
; NumVGPRsForWavesPerEU: 41
; Occupancy: 5
; WaveLimiterHint : 0
; COMPUTE_PGM_RSRC2:SCRATCH_EN: 0
; COMPUTE_PGM_RSRC2:USER_SGPR: 6
; COMPUTE_PGM_RSRC2:TRAP_HANDLER: 0
; COMPUTE_PGM_RSRC2:TGID_X_EN: 1
; COMPUTE_PGM_RSRC2:TGID_Y_EN: 1
; COMPUTE_PGM_RSRC2:TGID_Z_EN: 1
; COMPUTE_PGM_RSRC2:TIDIG_COMP_CNT: 1
	.section	.text._ZL37rocblas_syrkx_herkx_restricted_kernelIi19rocblas_complex_numIfELi16ELi32ELi8ELb0ELb0ELc78ELc76EKS1_S1_EviT_T0_PT8_S3_lS6_S3_lS4_PT9_S3_li,"axG",@progbits,_ZL37rocblas_syrkx_herkx_restricted_kernelIi19rocblas_complex_numIfELi16ELi32ELi8ELb0ELb0ELc78ELc76EKS1_S1_EviT_T0_PT8_S3_lS6_S3_lS4_PT9_S3_li,comdat
	.globl	_ZL37rocblas_syrkx_herkx_restricted_kernelIi19rocblas_complex_numIfELi16ELi32ELi8ELb0ELb0ELc78ELc76EKS1_S1_EviT_T0_PT8_S3_lS6_S3_lS4_PT9_S3_li ; -- Begin function _ZL37rocblas_syrkx_herkx_restricted_kernelIi19rocblas_complex_numIfELi16ELi32ELi8ELb0ELb0ELc78ELc76EKS1_S1_EviT_T0_PT8_S3_lS6_S3_lS4_PT9_S3_li
	.p2align	8
	.type	_ZL37rocblas_syrkx_herkx_restricted_kernelIi19rocblas_complex_numIfELi16ELi32ELi8ELb0ELb0ELc78ELc76EKS1_S1_EviT_T0_PT8_S3_lS6_S3_lS4_PT9_S3_li,@function
_ZL37rocblas_syrkx_herkx_restricted_kernelIi19rocblas_complex_numIfELi16ELi32ELi8ELb0ELb0ELc78ELc76EKS1_S1_EviT_T0_PT8_S3_lS6_S3_lS4_PT9_S3_li: ; @_ZL37rocblas_syrkx_herkx_restricted_kernelIi19rocblas_complex_numIfELi16ELi32ELi8ELb0ELb0ELc78ELc76EKS1_S1_EviT_T0_PT8_S3_lS6_S3_lS4_PT9_S3_li
; %bb.0:
	s_load_dwordx2 s[10:11], s[4:5], 0x0
	s_load_dwordx4 s[16:19], s[4:5], 0x8
	s_load_dwordx4 s[12:15], s[4:5], 0x38
	s_load_dwordx2 s[20:21], s[4:5], 0x48
	s_lshl_b32 s6, s6, 5
	s_lshl_b32 s7, s7, 5
	s_waitcnt lgkmcnt(0)
	s_cmp_lt_i32 s11, 1
	s_mov_b32 s9, 0
	s_cbranch_scc1 .LBB188_3
; %bb.1:
	s_load_dword s22, s[4:5], 0x18
	s_load_dword s24, s[4:5], 0x30
	s_load_dwordx4 s[0:3], s[4:5], 0x20
	v_lshl_add_u32 v2, v1, 4, v0
	v_lshrrev_b32_e32 v4, 3, v2
	v_lshrrev_b32_e32 v6, 5, v2
	v_and_b32_e32 v7, 31, v2
	v_add_u32_e32 v2, s7, v4
	v_and_b32_e32 v5, 7, v0
	v_ashrrev_i32_e32 v3, 31, v2
	s_waitcnt lgkmcnt(0)
	v_mad_i64_i32 v[2:3], s[26:27], s24, v5, v[2:3]
	v_lshlrev_b32_e32 v5, 3, v5
	v_lshl_or_b32 v4, v4, 6, v5
	v_add_u32_e32 v11, 0x800, v4
	v_mov_b32_e32 v4, 0x800
	v_lshl_add_u32 v13, v1, 6, v4
	v_add_u32_e32 v4, s6, v7
	v_ashrrev_i32_e32 v5, 31, v4
	v_mad_i64_i32 v[4:5], s[26:27], s22, v6, v[4:5]
	s_mul_i32 s1, s1, s8
	s_mul_hi_u32 s28, s0, s8
	s_add_i32 s1, s28, s1
	s_mul_i32 s0, s0, s8
	s_ashr_i32 s23, s22, 31
	s_ashr_i32 s25, s24, 31
	s_lshl_b64 s[0:1], s[0:1], 3
	v_lshlrev_b64 v[4:5], 3, v[4:5]
	s_add_u32 s0, s18, s0
	v_lshlrev_b32_e32 v8, 3, v7
	s_addc_u32 s1, s19, s1
	s_mul_i32 s13, s13, s8
	s_mul_hi_u32 s18, s12, s8
	v_lshl_or_b32 v10, v6, 8, v8
	v_mov_b32_e32 v6, s1
	v_add_co_u32_e32 v4, vcc, s0, v4
	s_add_i32 s13, s18, s13
	s_mul_i32 s12, s12, s8
	v_addc_co_u32_e32 v5, vcc, v6, v5, vcc
	s_lshl_b64 s[0:1], s[22:23], 6
	s_lshl_b64 s[12:13], s[12:13], 3
	v_add_co_u32_e32 v6, vcc, 4, v4
	v_lshlrev_b64 v[2:3], 3, v[2:3]
	s_add_u32 s2, s2, s12
	v_addc_co_u32_e32 v7, vcc, 0, v5, vcc
	s_addc_u32 s3, s3, s13
	v_mov_b32_e32 v4, s3
	v_add_co_u32_e32 v2, vcc, s2, v2
	v_addc_co_u32_e32 v3, vcc, v4, v3, vcc
	v_add_co_u32_e32 v8, vcc, 4, v2
	s_lshl_b64 s[2:3], s[24:25], 6
	v_lshlrev_b32_e32 v12, 3, v0
	v_addc_co_u32_e32 v9, vcc, 0, v3, vcc
	v_mov_b32_e32 v16, 0
	v_mov_b32_e32 v14, s1
	;; [unrolled: 1-line block ×10, first 2 shown]
.LBB188_2:                              ; =>This Inner Loop Header: Depth=1
	global_load_dwordx2 v[2:3], v[6:7], off offset:-4
	v_add_co_u32_e32 v6, vcc, s0, v6
	v_addc_co_u32_e32 v7, vcc, v7, v14, vcc
	s_add_i32 s9, s9, 8
	s_cmp_ge_i32 s9, s11
	s_waitcnt vmcnt(0)
	ds_write_b64 v10, v[2:3]
	global_load_dwordx2 v[2:3], v[8:9], off offset:-4
	v_add_co_u32_e32 v8, vcc, s2, v8
	v_addc_co_u32_e32 v9, vcc, v9, v15, vcc
	s_waitcnt vmcnt(0)
	ds_write_b64 v11, v[2:3]
	s_waitcnt lgkmcnt(0)
	s_barrier
	ds_read_b128 v[24:27], v13
	ds_read_b128 v[28:31], v13 offset:16
	ds_read_b128 v[32:35], v13 offset:32
	;; [unrolled: 1-line block ×3, first 2 shown]
	ds_read2_b64 v[36:39], v12 offset1:16
	s_waitcnt lgkmcnt(0)
	v_mul_f32_e32 v40, v25, v37
	v_mul_f32_e32 v41, v24, v37
	v_fma_f32 v40, v24, v36, -v40
	v_fmac_f32_e32 v41, v25, v36
	v_add_f32_e32 v40, v22, v40
	v_add_f32_e32 v41, v23, v41
	v_mul_f32_e32 v22, v25, v39
	v_mul_f32_e32 v23, v24, v39
	v_fma_f32 v22, v24, v38, -v22
	v_fmac_f32_e32 v23, v25, v38
	v_add_f32_e32 v24, v20, v22
	v_add_f32_e32 v25, v21, v23
	ds_read_b128 v[20:23], v13 offset:1024
	s_waitcnt lgkmcnt(0)
	v_mul_f32_e32 v42, v21, v37
	v_mul_f32_e32 v37, v20, v37
	v_fma_f32 v42, v20, v36, -v42
	v_fmac_f32_e32 v37, v21, v36
	v_add_f32_e32 v36, v18, v42
	v_add_f32_e32 v37, v19, v37
	v_mul_f32_e32 v18, v21, v39
	v_mul_f32_e32 v19, v20, v39
	v_fma_f32 v18, v20, v38, -v18
	v_fmac_f32_e32 v19, v21, v38
	v_add_f32_e32 v20, v17, v18
	v_add_f32_e32 v21, v16, v19
	ds_read2_b64 v[16:19], v12 offset0:32 offset1:48
	s_waitcnt lgkmcnt(0)
	v_mul_f32_e32 v38, v27, v17
	v_fma_f32 v38, v26, v16, -v38
	v_add_f32_e32 v38, v40, v38
	v_mul_f32_e32 v40, v27, v19
	v_mul_f32_e32 v39, v26, v17
	v_fma_f32 v40, v26, v18, -v40
	v_mul_f32_e32 v26, v26, v19
	v_fmac_f32_e32 v26, v27, v18
	v_add_f32_e32 v25, v25, v26
	v_mul_f32_e32 v26, v23, v17
	v_mul_f32_e32 v17, v22, v17
	v_fmac_f32_e32 v17, v23, v16
	v_fmac_f32_e32 v39, v27, v16
	v_fma_f32 v26, v22, v16, -v26
	v_add_f32_e32 v27, v37, v17
	v_mul_f32_e32 v16, v23, v19
	v_mul_f32_e32 v17, v22, v19
	v_fma_f32 v16, v22, v18, -v16
	v_fmac_f32_e32 v17, v23, v18
	v_add_f32_e32 v26, v36, v26
	v_add_f32_e32 v36, v20, v16
	;; [unrolled: 1-line block ×3, first 2 shown]
	ds_read2_b64 v[16:19], v12 offset0:64 offset1:80
	v_add_f32_e32 v39, v41, v39
	v_add_f32_e32 v24, v24, v40
	s_waitcnt lgkmcnt(0)
	v_mul_f32_e32 v20, v29, v17
	v_mul_f32_e32 v21, v28, v17
	v_fma_f32 v20, v28, v16, -v20
	v_fmac_f32_e32 v21, v29, v16
	v_add_f32_e32 v38, v38, v20
	v_add_f32_e32 v39, v39, v21
	v_mul_f32_e32 v20, v29, v19
	v_mul_f32_e32 v21, v28, v19
	v_fma_f32 v20, v28, v18, -v20
	v_fmac_f32_e32 v21, v29, v18
	v_add_f32_e32 v24, v24, v20
	v_add_f32_e32 v25, v25, v21
	ds_read_b128 v[20:23], v13 offset:1040
	s_waitcnt lgkmcnt(0)
	v_mul_f32_e32 v28, v21, v17
	v_mul_f32_e32 v17, v20, v17
	v_fmac_f32_e32 v17, v21, v16
	v_fma_f32 v28, v20, v16, -v28
	v_add_f32_e32 v27, v27, v17
	v_mul_f32_e32 v16, v21, v19
	v_mul_f32_e32 v17, v20, v19
	v_fma_f32 v16, v20, v18, -v16
	v_fmac_f32_e32 v17, v21, v18
	v_add_f32_e32 v20, v36, v16
	v_add_f32_e32 v21, v37, v17
	ds_read2_b64 v[16:19], v12 offset0:96 offset1:112
	v_add_f32_e32 v26, v26, v28
	s_waitcnt lgkmcnt(0)
	v_mul_f32_e32 v28, v31, v17
	v_mul_f32_e32 v36, v31, v19
	v_fma_f32 v28, v30, v16, -v28
	v_mul_f32_e32 v29, v30, v17
	v_fma_f32 v36, v30, v18, -v36
	v_mul_f32_e32 v30, v30, v19
	v_fmac_f32_e32 v30, v31, v18
	v_add_f32_e32 v25, v25, v30
	v_mul_f32_e32 v30, v23, v17
	v_mul_f32_e32 v17, v22, v17
	v_fmac_f32_e32 v17, v23, v16
	v_fmac_f32_e32 v29, v31, v16
	v_fma_f32 v30, v22, v16, -v30
	v_add_f32_e32 v27, v27, v17
	v_mul_f32_e32 v16, v23, v19
	v_mul_f32_e32 v17, v22, v19
	v_fma_f32 v16, v22, v18, -v16
	v_fmac_f32_e32 v17, v23, v18
	v_add_f32_e32 v26, v26, v30
	v_add_f32_e32 v30, v20, v16
	;; [unrolled: 1-line block ×3, first 2 shown]
	ds_read2_b64 v[16:19], v12 offset0:128 offset1:144
	v_add_f32_e32 v28, v38, v28
	v_add_f32_e32 v29, v39, v29
	;; [unrolled: 1-line block ×3, first 2 shown]
	s_waitcnt lgkmcnt(0)
	v_mul_f32_e32 v20, v33, v17
	v_mul_f32_e32 v21, v32, v17
	v_fma_f32 v20, v32, v16, -v20
	v_fmac_f32_e32 v21, v33, v16
	v_add_f32_e32 v28, v28, v20
	v_add_f32_e32 v29, v29, v21
	v_mul_f32_e32 v20, v33, v19
	v_mul_f32_e32 v21, v32, v19
	v_fma_f32 v20, v32, v18, -v20
	v_fmac_f32_e32 v21, v33, v18
	v_add_f32_e32 v24, v24, v20
	v_add_f32_e32 v25, v25, v21
	ds_read_b128 v[20:23], v13 offset:1056
	s_waitcnt lgkmcnt(0)
	v_mul_f32_e32 v32, v21, v17
	v_mul_f32_e32 v17, v20, v17
	v_fmac_f32_e32 v17, v21, v16
	v_fma_f32 v32, v20, v16, -v32
	v_add_f32_e32 v27, v27, v17
	v_mul_f32_e32 v16, v21, v19
	v_mul_f32_e32 v17, v20, v19
	v_fma_f32 v16, v20, v18, -v16
	v_fmac_f32_e32 v17, v21, v18
	v_add_f32_e32 v20, v30, v16
	v_add_f32_e32 v21, v31, v17
	ds_read2_b64 v[16:19], v12 offset0:160 offset1:176
	v_add_f32_e32 v26, v26, v32
	s_waitcnt lgkmcnt(0)
	v_mul_f32_e32 v30, v35, v17
	v_fma_f32 v30, v34, v16, -v30
	v_add_f32_e32 v28, v28, v30
	v_mul_f32_e32 v30, v35, v19
	v_fma_f32 v30, v34, v18, -v30
	v_mul_f32_e32 v31, v34, v17
	v_add_f32_e32 v24, v24, v30
	v_mul_f32_e32 v30, v23, v17
	v_mul_f32_e32 v17, v22, v17
	v_fmac_f32_e32 v17, v23, v16
	v_fmac_f32_e32 v31, v35, v16
	v_fma_f32 v30, v22, v16, -v30
	v_add_f32_e32 v27, v27, v17
	v_mul_f32_e32 v16, v23, v19
	v_mul_f32_e32 v17, v22, v19
	v_add_f32_e32 v29, v29, v31
	v_mul_f32_e32 v31, v34, v19
	v_fma_f32 v16, v22, v18, -v16
	v_fmac_f32_e32 v17, v23, v18
	v_fmac_f32_e32 v31, v35, v18
	v_add_f32_e32 v20, v20, v16
	v_add_f32_e32 v21, v21, v17
	ds_read2_b64 v[16:19], v12 offset0:192 offset1:208
	v_add_f32_e32 v26, v26, v30
	v_add_f32_e32 v25, v25, v31
	s_waitcnt lgkmcnt(0)
	v_mul_f32_e32 v22, v3, v17
	v_fma_f32 v22, v2, v16, -v22
	v_add_f32_e32 v30, v28, v22
	v_mul_f32_e32 v22, v3, v19
	v_mul_f32_e32 v23, v2, v17
	v_fma_f32 v22, v2, v18, -v22
	v_mul_f32_e32 v2, v2, v19
	v_fmac_f32_e32 v23, v3, v16
	v_fmac_f32_e32 v2, v3, v18
	v_add_f32_e32 v31, v29, v23
	v_add_f32_e32 v3, v24, v22
	;; [unrolled: 1-line block ×3, first 2 shown]
	ds_read_b128 v[22:25], v13 offset:1072
	s_waitcnt lgkmcnt(0)
	v_mul_f32_e32 v28, v23, v17
	v_fma_f32 v28, v22, v16, -v28
	v_mul_f32_e32 v17, v22, v17
	v_fmac_f32_e32 v17, v23, v16
	v_add_f32_e32 v16, v26, v28
	v_mul_f32_e32 v26, v23, v19
	v_fma_f32 v26, v22, v18, -v26
	v_add_f32_e32 v17, v27, v17
	v_add_f32_e32 v32, v20, v26
	ds_read2_b64 v[26:29], v12 offset0:224 offset1:240
	v_mul_f32_e32 v19, v22, v19
	v_fmac_f32_e32 v19, v23, v18
	v_add_f32_e32 v33, v21, v19
	s_waitcnt lgkmcnt(0)
	v_mul_f32_e32 v18, v5, v27
	v_fma_f32 v18, v4, v26, -v18
	v_add_f32_e32 v22, v30, v18
	v_mul_f32_e32 v18, v5, v29
	v_mul_f32_e32 v19, v4, v27
	v_fma_f32 v18, v4, v28, -v18
	v_mul_f32_e32 v4, v4, v29
	v_fmac_f32_e32 v4, v5, v28
	v_add_f32_e32 v20, v3, v18
	v_add_f32_e32 v21, v2, v4
	v_mul_f32_e32 v2, v25, v27
	v_mul_f32_e32 v3, v24, v27
	v_fmac_f32_e32 v19, v5, v26
	v_fma_f32 v2, v24, v26, -v2
	v_fmac_f32_e32 v3, v25, v26
	v_add_f32_e32 v23, v31, v19
	v_add_f32_e32 v18, v16, v2
	;; [unrolled: 1-line block ×3, first 2 shown]
	v_mul_f32_e32 v2, v25, v29
	v_mul_f32_e32 v3, v24, v29
	v_fma_f32 v2, v24, v28, -v2
	v_fmac_f32_e32 v3, v25, v28
	v_add_f32_e32 v17, v32, v2
	v_add_f32_e32 v16, v33, v3
	s_barrier
	s_cbranch_scc0 .LBB188_2
	s_branch .LBB188_4
.LBB188_3:
	v_mov_b32_e32 v22, 0
	v_mov_b32_e32 v23, 0
	;; [unrolled: 1-line block ×8, first 2 shown]
.LBB188_4:
	s_load_dwordx2 s[0:1], s[4:5], 0x58
	s_load_dword s9, s[4:5], 0x50
	v_add_u32_e32 v4, s7, v1
	v_add_u32_e32 v0, s6, v0
	s_waitcnt lgkmcnt(0)
	s_mul_i32 s1, s1, s8
	s_mul_hi_u32 s2, s0, s8
	s_add_i32 s1, s2, s1
	v_mad_i64_i32 v[1:2], s[2:3], v4, s9, 0
	s_mul_i32 s0, s0, s8
	s_lshl_b64 s[0:1], s[0:1], 3
	s_add_u32 s7, s20, s0
	v_lshlrev_b64 v[1:2], 3, v[1:2]
	s_addc_u32 s8, s21, s1
	v_mov_b32_e32 v3, s8
	v_add_co_u32_e32 v5, vcc, s7, v1
	v_addc_co_u32_e32 v6, vcc, v3, v2, vcc
	v_cmp_le_i32_e64 s[0:1], v4, v0
	v_cmp_gt_i32_e32 vcc, s10, v0
	s_and_b64 s[0:1], s[0:1], vcc
	s_and_saveexec_b64 s[2:3], s[0:1]
	s_cbranch_execz .LBB188_6
; %bb.5:
	v_ashrrev_i32_e32 v1, 31, v0
	v_lshlrev_b64 v[1:2], 3, v[0:1]
	v_mul_f32_e32 v3, s17, v23
	v_add_co_u32_e64 v1, s[0:1], v5, v1
	v_addc_co_u32_e64 v2, s[0:1], v6, v2, s[0:1]
	global_load_dwordx2 v[7:8], v[1:2], off
	v_mul_f32_e32 v9, s16, v23
	v_fma_f32 v3, v22, s16, -v3
	v_fmac_f32_e32 v9, s17, v22
	s_waitcnt vmcnt(0)
	v_mul_f32_e32 v10, s15, v8
	v_mul_f32_e32 v8, s14, v8
	v_fma_f32 v10, v7, s14, -v10
	v_fmac_f32_e32 v8, s15, v7
	v_add_f32_e32 v7, v3, v10
	v_add_f32_e32 v8, v9, v8
	global_store_dwordx2 v[1:2], v[7:8], off
.LBB188_6:
	s_or_b64 exec, exec, s[2:3]
	v_add_u32_e32 v2, 16, v0
	v_cmp_le_i32_e64 s[2:3], v4, v2
	v_cmp_gt_i32_e64 s[0:1], s10, v2
	s_and_b64 s[2:3], s[2:3], s[0:1]
	s_and_saveexec_b64 s[4:5], s[2:3]
	s_cbranch_execz .LBB188_8
; %bb.7:
	v_ashrrev_i32_e32 v3, 31, v2
	v_lshlrev_b64 v[7:8], 3, v[2:3]
	v_mul_f32_e32 v1, s17, v21
	v_add_co_u32_e64 v5, s[2:3], v5, v7
	v_addc_co_u32_e64 v6, s[2:3], v6, v8, s[2:3]
	global_load_dwordx2 v[7:8], v[5:6], off
	v_mul_f32_e32 v3, s16, v21
	v_fma_f32 v1, v20, s16, -v1
	v_fmac_f32_e32 v3, s17, v20
	s_waitcnt vmcnt(0)
	v_mul_f32_e32 v9, s15, v8
	v_mul_f32_e32 v8, s14, v8
	v_fma_f32 v9, v7, s14, -v9
	v_fmac_f32_e32 v8, s15, v7
	v_add_f32_e32 v7, v1, v9
	v_add_f32_e32 v8, v3, v8
	global_store_dwordx2 v[5:6], v[7:8], off
.LBB188_8:
	s_or_b64 exec, exec, s[4:5]
	v_add_u32_e32 v3, 16, v4
	v_mad_i64_i32 v[4:5], s[2:3], v3, s9, 0
	v_mov_b32_e32 v1, s8
	v_lshlrev_b64 v[4:5], 3, v[4:5]
	v_add_co_u32_e64 v4, s[2:3], s7, v4
	v_addc_co_u32_e64 v5, s[2:3], v1, v5, s[2:3]
	v_cmp_le_i32_e64 s[2:3], v3, v0
	s_and_b64 s[4:5], s[2:3], vcc
	s_and_saveexec_b64 s[2:3], s[4:5]
	s_cbranch_execz .LBB188_10
; %bb.9:
	v_ashrrev_i32_e32 v1, 31, v0
	v_lshlrev_b64 v[0:1], 3, v[0:1]
	v_mul_f32_e32 v8, s17, v19
	v_add_co_u32_e32 v0, vcc, v4, v0
	v_addc_co_u32_e32 v1, vcc, v5, v1, vcc
	global_load_dwordx2 v[6:7], v[0:1], off
	v_mul_f32_e32 v9, s16, v19
	v_fma_f32 v8, v18, s16, -v8
	v_fmac_f32_e32 v9, s17, v18
	s_waitcnt vmcnt(0)
	v_mul_f32_e32 v10, s15, v7
	v_mul_f32_e32 v7, s14, v7
	v_fma_f32 v10, v6, s14, -v10
	v_fmac_f32_e32 v7, s15, v6
	v_add_f32_e32 v6, v8, v10
	v_add_f32_e32 v7, v9, v7
	global_store_dwordx2 v[0:1], v[6:7], off
.LBB188_10:
	s_or_b64 exec, exec, s[2:3]
	v_cmp_le_i32_e32 vcc, v3, v2
	s_and_b64 s[0:1], vcc, s[0:1]
	s_and_saveexec_b64 s[2:3], s[0:1]
	s_cbranch_execz .LBB188_12
; %bb.11:
	v_ashrrev_i32_e32 v3, 31, v2
	v_lshlrev_b64 v[0:1], 3, v[2:3]
	v_add_co_u32_e32 v0, vcc, v4, v0
	v_addc_co_u32_e32 v1, vcc, v5, v1, vcc
	global_load_dwordx2 v[2:3], v[0:1], off
	v_mul_f32_e32 v4, s17, v16
	v_mul_f32_e32 v5, s16, v16
	v_fma_f32 v4, v17, s16, -v4
	v_fmac_f32_e32 v5, s17, v17
	s_waitcnt vmcnt(0)
	v_mul_f32_e32 v6, s15, v3
	v_mul_f32_e32 v3, s14, v3
	v_fma_f32 v6, v2, s14, -v6
	v_fmac_f32_e32 v3, s15, v2
	v_add_f32_e32 v2, v4, v6
	v_add_f32_e32 v3, v5, v3
	global_store_dwordx2 v[0:1], v[2:3], off
.LBB188_12:
	s_endpgm
	.section	.rodata,"a",@progbits
	.p2align	6, 0x0
	.amdhsa_kernel _ZL37rocblas_syrkx_herkx_restricted_kernelIi19rocblas_complex_numIfELi16ELi32ELi8ELb0ELb0ELc78ELc76EKS1_S1_EviT_T0_PT8_S3_lS6_S3_lS4_PT9_S3_li
		.amdhsa_group_segment_fixed_size 4096
		.amdhsa_private_segment_fixed_size 0
		.amdhsa_kernarg_size 100
		.amdhsa_user_sgpr_count 6
		.amdhsa_user_sgpr_private_segment_buffer 1
		.amdhsa_user_sgpr_dispatch_ptr 0
		.amdhsa_user_sgpr_queue_ptr 0
		.amdhsa_user_sgpr_kernarg_segment_ptr 1
		.amdhsa_user_sgpr_dispatch_id 0
		.amdhsa_user_sgpr_flat_scratch_init 0
		.amdhsa_user_sgpr_private_segment_size 0
		.amdhsa_uses_dynamic_stack 0
		.amdhsa_system_sgpr_private_segment_wavefront_offset 0
		.amdhsa_system_sgpr_workgroup_id_x 1
		.amdhsa_system_sgpr_workgroup_id_y 1
		.amdhsa_system_sgpr_workgroup_id_z 1
		.amdhsa_system_sgpr_workgroup_info 0
		.amdhsa_system_vgpr_workitem_id 1
		.amdhsa_next_free_vgpr 43
		.amdhsa_next_free_sgpr 29
		.amdhsa_reserve_vcc 1
		.amdhsa_reserve_flat_scratch 0
		.amdhsa_float_round_mode_32 0
		.amdhsa_float_round_mode_16_64 0
		.amdhsa_float_denorm_mode_32 3
		.amdhsa_float_denorm_mode_16_64 3
		.amdhsa_dx10_clamp 1
		.amdhsa_ieee_mode 1
		.amdhsa_fp16_overflow 0
		.amdhsa_exception_fp_ieee_invalid_op 0
		.amdhsa_exception_fp_denorm_src 0
		.amdhsa_exception_fp_ieee_div_zero 0
		.amdhsa_exception_fp_ieee_overflow 0
		.amdhsa_exception_fp_ieee_underflow 0
		.amdhsa_exception_fp_ieee_inexact 0
		.amdhsa_exception_int_div_zero 0
	.end_amdhsa_kernel
	.section	.text._ZL37rocblas_syrkx_herkx_restricted_kernelIi19rocblas_complex_numIfELi16ELi32ELi8ELb0ELb0ELc78ELc76EKS1_S1_EviT_T0_PT8_S3_lS6_S3_lS4_PT9_S3_li,"axG",@progbits,_ZL37rocblas_syrkx_herkx_restricted_kernelIi19rocblas_complex_numIfELi16ELi32ELi8ELb0ELb0ELc78ELc76EKS1_S1_EviT_T0_PT8_S3_lS6_S3_lS4_PT9_S3_li,comdat
.Lfunc_end188:
	.size	_ZL37rocblas_syrkx_herkx_restricted_kernelIi19rocblas_complex_numIfELi16ELi32ELi8ELb0ELb0ELc78ELc76EKS1_S1_EviT_T0_PT8_S3_lS6_S3_lS4_PT9_S3_li, .Lfunc_end188-_ZL37rocblas_syrkx_herkx_restricted_kernelIi19rocblas_complex_numIfELi16ELi32ELi8ELb0ELb0ELc78ELc76EKS1_S1_EviT_T0_PT8_S3_lS6_S3_lS4_PT9_S3_li
                                        ; -- End function
	.set _ZL37rocblas_syrkx_herkx_restricted_kernelIi19rocblas_complex_numIfELi16ELi32ELi8ELb0ELb0ELc78ELc76EKS1_S1_EviT_T0_PT8_S3_lS6_S3_lS4_PT9_S3_li.num_vgpr, 43
	.set _ZL37rocblas_syrkx_herkx_restricted_kernelIi19rocblas_complex_numIfELi16ELi32ELi8ELb0ELb0ELc78ELc76EKS1_S1_EviT_T0_PT8_S3_lS6_S3_lS4_PT9_S3_li.num_agpr, 0
	.set _ZL37rocblas_syrkx_herkx_restricted_kernelIi19rocblas_complex_numIfELi16ELi32ELi8ELb0ELb0ELc78ELc76EKS1_S1_EviT_T0_PT8_S3_lS6_S3_lS4_PT9_S3_li.numbered_sgpr, 29
	.set _ZL37rocblas_syrkx_herkx_restricted_kernelIi19rocblas_complex_numIfELi16ELi32ELi8ELb0ELb0ELc78ELc76EKS1_S1_EviT_T0_PT8_S3_lS6_S3_lS4_PT9_S3_li.num_named_barrier, 0
	.set _ZL37rocblas_syrkx_herkx_restricted_kernelIi19rocblas_complex_numIfELi16ELi32ELi8ELb0ELb0ELc78ELc76EKS1_S1_EviT_T0_PT8_S3_lS6_S3_lS4_PT9_S3_li.private_seg_size, 0
	.set _ZL37rocblas_syrkx_herkx_restricted_kernelIi19rocblas_complex_numIfELi16ELi32ELi8ELb0ELb0ELc78ELc76EKS1_S1_EviT_T0_PT8_S3_lS6_S3_lS4_PT9_S3_li.uses_vcc, 1
	.set _ZL37rocblas_syrkx_herkx_restricted_kernelIi19rocblas_complex_numIfELi16ELi32ELi8ELb0ELb0ELc78ELc76EKS1_S1_EviT_T0_PT8_S3_lS6_S3_lS4_PT9_S3_li.uses_flat_scratch, 0
	.set _ZL37rocblas_syrkx_herkx_restricted_kernelIi19rocblas_complex_numIfELi16ELi32ELi8ELb0ELb0ELc78ELc76EKS1_S1_EviT_T0_PT8_S3_lS6_S3_lS4_PT9_S3_li.has_dyn_sized_stack, 0
	.set _ZL37rocblas_syrkx_herkx_restricted_kernelIi19rocblas_complex_numIfELi16ELi32ELi8ELb0ELb0ELc78ELc76EKS1_S1_EviT_T0_PT8_S3_lS6_S3_lS4_PT9_S3_li.has_recursion, 0
	.set _ZL37rocblas_syrkx_herkx_restricted_kernelIi19rocblas_complex_numIfELi16ELi32ELi8ELb0ELb0ELc78ELc76EKS1_S1_EviT_T0_PT8_S3_lS6_S3_lS4_PT9_S3_li.has_indirect_call, 0
	.section	.AMDGPU.csdata,"",@progbits
; Kernel info:
; codeLenInByte = 2148
; TotalNumSgprs: 33
; NumVgprs: 43
; ScratchSize: 0
; MemoryBound: 0
; FloatMode: 240
; IeeeMode: 1
; LDSByteSize: 4096 bytes/workgroup (compile time only)
; SGPRBlocks: 4
; VGPRBlocks: 10
; NumSGPRsForWavesPerEU: 33
; NumVGPRsForWavesPerEU: 43
; Occupancy: 5
; WaveLimiterHint : 0
; COMPUTE_PGM_RSRC2:SCRATCH_EN: 0
; COMPUTE_PGM_RSRC2:USER_SGPR: 6
; COMPUTE_PGM_RSRC2:TRAP_HANDLER: 0
; COMPUTE_PGM_RSRC2:TGID_X_EN: 1
; COMPUTE_PGM_RSRC2:TGID_Y_EN: 1
; COMPUTE_PGM_RSRC2:TGID_Z_EN: 1
; COMPUTE_PGM_RSRC2:TIDIG_COMP_CNT: 1
	.section	.text._ZL37rocblas_syrkx_herkx_restricted_kernelIi19rocblas_complex_numIfELi16ELi32ELi8ELb0ELb0ELc84ELc85EKS1_S1_EviT_T0_PT8_S3_lS6_S3_lS4_PT9_S3_li,"axG",@progbits,_ZL37rocblas_syrkx_herkx_restricted_kernelIi19rocblas_complex_numIfELi16ELi32ELi8ELb0ELb0ELc84ELc85EKS1_S1_EviT_T0_PT8_S3_lS6_S3_lS4_PT9_S3_li,comdat
	.globl	_ZL37rocblas_syrkx_herkx_restricted_kernelIi19rocblas_complex_numIfELi16ELi32ELi8ELb0ELb0ELc84ELc85EKS1_S1_EviT_T0_PT8_S3_lS6_S3_lS4_PT9_S3_li ; -- Begin function _ZL37rocblas_syrkx_herkx_restricted_kernelIi19rocblas_complex_numIfELi16ELi32ELi8ELb0ELb0ELc84ELc85EKS1_S1_EviT_T0_PT8_S3_lS6_S3_lS4_PT9_S3_li
	.p2align	8
	.type	_ZL37rocblas_syrkx_herkx_restricted_kernelIi19rocblas_complex_numIfELi16ELi32ELi8ELb0ELb0ELc84ELc85EKS1_S1_EviT_T0_PT8_S3_lS6_S3_lS4_PT9_S3_li,@function
_ZL37rocblas_syrkx_herkx_restricted_kernelIi19rocblas_complex_numIfELi16ELi32ELi8ELb0ELb0ELc84ELc85EKS1_S1_EviT_T0_PT8_S3_lS6_S3_lS4_PT9_S3_li: ; @_ZL37rocblas_syrkx_herkx_restricted_kernelIi19rocblas_complex_numIfELi16ELi32ELi8ELb0ELb0ELc84ELc85EKS1_S1_EviT_T0_PT8_S3_lS6_S3_lS4_PT9_S3_li
; %bb.0:
	s_load_dwordx2 s[10:11], s[4:5], 0x0
	s_load_dwordx4 s[12:15], s[4:5], 0x8
	s_load_dwordx4 s[0:3], s[4:5], 0x38
	s_load_dwordx2 s[20:21], s[4:5], 0x48
	s_lshl_b32 s6, s6, 5
	s_lshl_b32 s7, s7, 5
	s_waitcnt lgkmcnt(0)
	s_cmp_lt_i32 s11, 1
	s_mov_b32 s9, 0
	s_cbranch_scc1 .LBB189_3
; %bb.1:
	v_lshl_add_u32 v3, v1, 4, v0
	s_load_dword s24, s[4:5], 0x18
	s_load_dwordx4 s[16:19], s[4:5], 0x20
	s_load_dword s22, s[4:5], 0x30
	v_and_b32_e32 v7, 31, v3
	v_lshrrev_b32_e32 v2, 5, v3
	v_and_b32_e32 v9, 7, v0
	v_lshlrev_b32_e32 v8, 3, v7
	v_lshrrev_b32_e32 v6, 3, v3
	v_lshl_or_b32 v11, v2, 8, v8
	v_lshlrev_b32_e32 v8, 3, v9
	v_add_u32_e32 v3, s7, v6
	v_lshl_or_b32 v6, v6, 6, v8
	v_mov_b32_e32 v10, 0
	v_add_u32_e32 v12, 0x800, v6
	v_mov_b32_e32 v6, 0x800
	s_waitcnt lgkmcnt(0)
	v_mad_i64_i32 v[4:5], s[22:23], s22, v3, v[9:10]
	v_mov_b32_e32 v3, v10
	v_lshl_add_u32 v14, v1, 6, v6
	v_add_u32_e32 v6, s6, v7
	v_mad_i64_i32 v[2:3], s[22:23], s24, v6, v[2:3]
	s_mul_i32 s17, s17, s8
	s_mul_hi_u32 s25, s16, s8
	s_add_i32 s17, s25, s17
	s_mul_i32 s16, s16, s8
	s_lshl_b64 s[16:17], s[16:17], 3
	v_lshlrev_b64 v[2:3], 3, v[2:3]
	s_add_u32 s14, s14, s16
	s_addc_u32 s15, s15, s17
	v_mov_b32_e32 v6, s15
	v_add_co_u32_e32 v2, vcc, s14, v2
	s_mul_i32 s1, s1, s8
	s_mul_hi_u32 s14, s0, s8
	v_addc_co_u32_e32 v3, vcc, v6, v3, vcc
	s_add_i32 s1, s14, s1
	s_mul_i32 s0, s0, s8
	v_add_co_u32_e32 v6, vcc, 4, v2
	s_lshl_b64 s[0:1], s[0:1], 3
	v_addc_co_u32_e32 v7, vcc, 0, v3, vcc
	v_lshlrev_b64 v[2:3], 3, v[4:5]
	s_add_u32 s0, s18, s0
	s_addc_u32 s1, s19, s1
	v_mov_b32_e32 v4, s1
	v_add_co_u32_e32 v2, vcc, s0, v2
	v_addc_co_u32_e32 v3, vcc, v4, v3, vcc
	v_add_co_u32_e32 v8, vcc, 4, v2
	v_lshlrev_b32_e32 v13, 3, v0
	v_addc_co_u32_e32 v9, vcc, 0, v3, vcc
	v_mov_b32_e32 v15, v10
	v_mov_b32_e32 v17, v10
	;; [unrolled: 1-line block ×7, first 2 shown]
.LBB189_2:                              ; =>This Inner Loop Header: Depth=1
	global_load_dwordx2 v[2:3], v[6:7], off offset:-4
	v_add_co_u32_e32 v6, vcc, 64, v6
	v_addc_co_u32_e32 v7, vcc, 0, v7, vcc
	s_add_i32 s9, s9, 8
	s_cmp_ge_i32 s9, s11
	s_waitcnt vmcnt(0)
	ds_write_b64 v11, v[2:3]
	global_load_dwordx2 v[2:3], v[8:9], off offset:-4
	v_add_co_u32_e32 v8, vcc, 64, v8
	v_addc_co_u32_e32 v9, vcc, 0, v9, vcc
	s_waitcnt vmcnt(0)
	ds_write_b64 v12, v[2:3]
	s_waitcnt lgkmcnt(0)
	s_barrier
	ds_read_b128 v[22:25], v14
	ds_read_b128 v[26:29], v14 offset:16
	ds_read_b128 v[30:33], v14 offset:32
	ds_read_b128 v[2:5], v14 offset:48
	ds_read2_b64 v[34:37], v13 offset1:16
	s_waitcnt lgkmcnt(0)
	v_mul_f32_e32 v38, v23, v35
	v_mul_f32_e32 v39, v22, v35
	v_fma_f32 v38, v22, v34, -v38
	v_fmac_f32_e32 v39, v23, v34
	v_add_f32_e32 v38, v20, v38
	v_add_f32_e32 v39, v21, v39
	v_mul_f32_e32 v20, v23, v37
	v_mul_f32_e32 v21, v22, v37
	v_fma_f32 v20, v22, v36, -v20
	v_fmac_f32_e32 v21, v23, v36
	v_add_f32_e32 v22, v18, v20
	v_add_f32_e32 v23, v19, v21
	ds_read_b128 v[18:21], v14 offset:1024
	s_waitcnt lgkmcnt(0)
	v_mul_f32_e32 v40, v19, v35
	v_mul_f32_e32 v35, v18, v35
	v_fma_f32 v40, v18, v34, -v40
	v_fmac_f32_e32 v35, v19, v34
	v_add_f32_e32 v34, v16, v40
	v_add_f32_e32 v35, v17, v35
	v_mul_f32_e32 v16, v19, v37
	v_mul_f32_e32 v17, v18, v37
	v_fma_f32 v16, v18, v36, -v16
	v_fmac_f32_e32 v17, v19, v36
	v_add_f32_e32 v19, v15, v16
	v_add_f32_e32 v10, v10, v17
	ds_read2_b64 v[15:18], v13 offset0:32 offset1:48
	s_waitcnt lgkmcnt(0)
	v_mul_f32_e32 v36, v25, v16
	v_fma_f32 v36, v24, v15, -v36
	v_add_f32_e32 v36, v38, v36
	v_mul_f32_e32 v38, v25, v18
	v_mul_f32_e32 v37, v24, v16
	v_fma_f32 v38, v24, v17, -v38
	v_mul_f32_e32 v24, v24, v18
	v_fmac_f32_e32 v24, v25, v17
	v_add_f32_e32 v23, v23, v24
	v_mul_f32_e32 v24, v21, v16
	v_mul_f32_e32 v16, v20, v16
	v_fmac_f32_e32 v16, v21, v15
	v_fmac_f32_e32 v37, v25, v15
	v_fma_f32 v24, v20, v15, -v24
	v_add_f32_e32 v25, v35, v16
	v_mul_f32_e32 v15, v21, v18
	v_mul_f32_e32 v16, v20, v18
	v_fma_f32 v15, v20, v17, -v15
	v_fmac_f32_e32 v16, v21, v17
	v_add_f32_e32 v24, v34, v24
	v_add_f32_e32 v34, v19, v15
	v_add_f32_e32 v10, v10, v16
	ds_read2_b64 v[15:18], v13 offset0:64 offset1:80
	v_add_f32_e32 v37, v39, v37
	v_add_f32_e32 v22, v22, v38
	s_waitcnt lgkmcnt(0)
	v_mul_f32_e32 v19, v27, v16
	v_mul_f32_e32 v20, v26, v16
	v_fma_f32 v19, v26, v15, -v19
	v_fmac_f32_e32 v20, v27, v15
	v_add_f32_e32 v35, v36, v19
	v_add_f32_e32 v36, v37, v20
	v_mul_f32_e32 v19, v27, v18
	v_mul_f32_e32 v20, v26, v18
	v_fma_f32 v19, v26, v17, -v19
	v_fmac_f32_e32 v20, v27, v17
	v_add_f32_e32 v26, v22, v19
	v_add_f32_e32 v23, v23, v20
	ds_read_b128 v[19:22], v14 offset:1040
	s_waitcnt lgkmcnt(0)
	v_mul_f32_e32 v27, v20, v16
	v_mul_f32_e32 v16, v19, v16
	v_fmac_f32_e32 v16, v20, v15
	v_fma_f32 v27, v19, v15, -v27
	v_add_f32_e32 v25, v25, v16
	v_mul_f32_e32 v15, v20, v18
	v_mul_f32_e32 v16, v19, v18
	v_fma_f32 v15, v19, v17, -v15
	v_fmac_f32_e32 v16, v20, v17
	v_add_f32_e32 v19, v34, v15
	v_add_f32_e32 v10, v10, v16
	ds_read2_b64 v[15:18], v13 offset0:96 offset1:112
	v_add_f32_e32 v24, v24, v27
	s_waitcnt lgkmcnt(0)
	v_mul_f32_e32 v20, v29, v16
	v_mul_f32_e32 v34, v29, v18
	v_fma_f32 v20, v28, v15, -v20
	v_mul_f32_e32 v27, v28, v16
	v_fma_f32 v34, v28, v17, -v34
	v_mul_f32_e32 v28, v28, v18
	v_fmac_f32_e32 v28, v29, v17
	v_add_f32_e32 v23, v23, v28
	v_mul_f32_e32 v28, v22, v16
	v_mul_f32_e32 v16, v21, v16
	v_fmac_f32_e32 v16, v22, v15
	v_fmac_f32_e32 v27, v29, v15
	v_fma_f32 v28, v21, v15, -v28
	v_add_f32_e32 v25, v25, v16
	v_mul_f32_e32 v15, v22, v18
	v_mul_f32_e32 v16, v21, v18
	v_fma_f32 v15, v21, v17, -v15
	v_fmac_f32_e32 v16, v22, v17
	v_add_f32_e32 v24, v24, v28
	v_add_f32_e32 v28, v19, v15
	v_add_f32_e32 v10, v10, v16
	ds_read2_b64 v[15:18], v13 offset0:128 offset1:144
	v_add_f32_e32 v20, v35, v20
	v_add_f32_e32 v27, v36, v27
	;; [unrolled: 1-line block ×3, first 2 shown]
	s_waitcnt lgkmcnt(0)
	v_mul_f32_e32 v19, v31, v16
	v_fma_f32 v19, v30, v15, -v19
	v_mul_f32_e32 v21, v30, v16
	v_add_f32_e32 v29, v20, v19
	v_mul_f32_e32 v19, v31, v18
	v_mul_f32_e32 v20, v30, v18
	v_fmac_f32_e32 v21, v31, v15
	v_fma_f32 v19, v30, v17, -v19
	v_fmac_f32_e32 v20, v31, v17
	v_add_f32_e32 v27, v27, v21
	v_add_f32_e32 v26, v26, v19
	;; [unrolled: 1-line block ×3, first 2 shown]
	ds_read_b128 v[19:22], v14 offset:1056
	s_waitcnt lgkmcnt(0)
	v_mul_f32_e32 v30, v20, v16
	v_mul_f32_e32 v16, v19, v16
	v_fmac_f32_e32 v16, v20, v15
	v_fma_f32 v30, v19, v15, -v30
	v_add_f32_e32 v25, v25, v16
	v_mul_f32_e32 v15, v20, v18
	v_mul_f32_e32 v16, v19, v18
	v_fma_f32 v15, v19, v17, -v15
	v_fmac_f32_e32 v16, v20, v17
	v_add_f32_e32 v19, v28, v15
	v_add_f32_e32 v10, v10, v16
	ds_read2_b64 v[15:18], v13 offset0:160 offset1:176
	v_add_f32_e32 v24, v24, v30
	s_waitcnt lgkmcnt(0)
	v_mul_f32_e32 v28, v32, v16
	v_fmac_f32_e32 v28, v33, v15
	v_add_f32_e32 v27, v27, v28
	v_mul_f32_e32 v28, v33, v18
	v_fma_f32 v28, v32, v17, -v28
	v_mul_f32_e32 v20, v33, v16
	v_add_f32_e32 v26, v26, v28
	v_mul_f32_e32 v28, v22, v16
	v_mul_f32_e32 v16, v21, v16
	v_fmac_f32_e32 v16, v22, v15
	v_fma_f32 v20, v32, v15, -v20
	v_fma_f32 v28, v21, v15, -v28
	v_add_f32_e32 v25, v25, v16
	v_mul_f32_e32 v15, v22, v18
	v_mul_f32_e32 v16, v21, v18
	v_add_f32_e32 v20, v29, v20
	v_mul_f32_e32 v29, v32, v18
	v_fma_f32 v15, v21, v17, -v15
	v_fmac_f32_e32 v16, v22, v17
	v_fmac_f32_e32 v29, v33, v17
	v_add_f32_e32 v19, v19, v15
	v_add_f32_e32 v10, v10, v16
	ds_read2_b64 v[15:18], v13 offset0:192 offset1:208
	v_add_f32_e32 v24, v24, v28
	v_add_f32_e32 v23, v23, v29
	s_waitcnt lgkmcnt(0)
	v_mul_f32_e32 v21, v3, v16
	v_fma_f32 v21, v2, v15, -v21
	v_add_f32_e32 v28, v20, v21
	v_mul_f32_e32 v20, v3, v18
	v_mul_f32_e32 v22, v2, v16
	v_fma_f32 v20, v2, v17, -v20
	v_mul_f32_e32 v2, v2, v18
	v_fmac_f32_e32 v22, v3, v15
	v_fmac_f32_e32 v2, v3, v17
	v_add_f32_e32 v29, v27, v22
	v_add_f32_e32 v3, v26, v20
	;; [unrolled: 1-line block ×3, first 2 shown]
	ds_read_b128 v[20:23], v14 offset:1072
	s_waitcnt lgkmcnt(0)
	v_mul_f32_e32 v26, v21, v16
	v_mul_f32_e32 v16, v20, v16
	v_fma_f32 v26, v20, v15, -v26
	v_fmac_f32_e32 v16, v21, v15
	v_add_f32_e32 v15, v24, v26
	v_add_f32_e32 v30, v25, v16
	ds_read2_b64 v[24:27], v13 offset0:224 offset1:240
	v_mul_f32_e32 v16, v21, v18
	v_fma_f32 v16, v20, v17, -v16
	v_add_f32_e32 v31, v19, v16
	v_mul_f32_e32 v18, v20, v18
	s_waitcnt lgkmcnt(0)
	v_mul_f32_e32 v16, v5, v25
	v_fma_f32 v16, v4, v24, -v16
	v_add_f32_e32 v20, v28, v16
	v_mul_f32_e32 v16, v5, v27
	v_fmac_f32_e32 v18, v21, v17
	v_mul_f32_e32 v17, v4, v25
	v_fma_f32 v16, v4, v26, -v16
	v_mul_f32_e32 v4, v4, v27
	v_fmac_f32_e32 v4, v5, v26
	v_add_f32_e32 v10, v10, v18
	v_add_f32_e32 v18, v3, v16
	;; [unrolled: 1-line block ×3, first 2 shown]
	v_mul_f32_e32 v2, v23, v25
	v_mul_f32_e32 v3, v22, v25
	v_fmac_f32_e32 v17, v5, v24
	v_fma_f32 v2, v22, v24, -v2
	v_fmac_f32_e32 v3, v23, v24
	v_add_f32_e32 v21, v29, v17
	v_add_f32_e32 v16, v15, v2
	v_add_f32_e32 v17, v30, v3
	v_mul_f32_e32 v2, v23, v27
	v_mul_f32_e32 v3, v22, v27
	v_fma_f32 v2, v22, v26, -v2
	v_fmac_f32_e32 v3, v23, v26
	v_add_f32_e32 v15, v31, v2
	v_add_f32_e32 v10, v10, v3
	s_barrier
	s_cbranch_scc0 .LBB189_2
	s_branch .LBB189_4
.LBB189_3:
	v_mov_b32_e32 v20, 0
	v_mov_b32_e32 v21, 0
	;; [unrolled: 1-line block ×8, first 2 shown]
.LBB189_4:
	s_load_dwordx2 s[0:1], s[4:5], 0x58
	s_load_dword s9, s[4:5], 0x50
	v_add_u32_e32 v4, s7, v1
	v_add_u32_e32 v0, s6, v0
	v_cmp_gt_i32_e32 vcc, s10, v4
	s_waitcnt lgkmcnt(0)
	s_mul_i32 s1, s1, s8
	s_mul_hi_u32 s4, s0, s8
	s_add_i32 s1, s4, s1
	v_mad_i64_i32 v[1:2], s[4:5], v4, s9, 0
	s_mul_i32 s0, s0, s8
	s_lshl_b64 s[0:1], s[0:1], 3
	s_add_u32 s7, s20, s0
	v_lshlrev_b64 v[1:2], 3, v[1:2]
	s_addc_u32 s8, s21, s1
	v_mov_b32_e32 v3, s8
	v_add_co_u32_e64 v5, s[0:1], s7, v1
	v_addc_co_u32_e64 v6, s[0:1], v3, v2, s[0:1]
	v_cmp_le_i32_e64 s[0:1], v0, v4
	s_and_b64 s[0:1], vcc, s[0:1]
	s_and_saveexec_b64 s[4:5], s[0:1]
	s_cbranch_execz .LBB189_6
; %bb.5:
	v_ashrrev_i32_e32 v1, 31, v0
	v_lshlrev_b64 v[1:2], 3, v[0:1]
	v_mul_f32_e32 v3, s13, v21
	v_add_co_u32_e64 v1, s[0:1], v5, v1
	v_addc_co_u32_e64 v2, s[0:1], v6, v2, s[0:1]
	global_load_dwordx2 v[7:8], v[1:2], off
	v_mul_f32_e32 v9, s12, v21
	v_fma_f32 v3, v20, s12, -v3
	v_fmac_f32_e32 v9, s13, v20
	s_waitcnt vmcnt(0)
	v_mul_f32_e32 v11, s3, v8
	v_mul_f32_e32 v8, s2, v8
	v_fma_f32 v11, v7, s2, -v11
	v_fmac_f32_e32 v8, s3, v7
	v_add_f32_e32 v7, v3, v11
	v_add_f32_e32 v8, v9, v8
	global_store_dwordx2 v[1:2], v[7:8], off
.LBB189_6:
	s_or_b64 exec, exec, s[4:5]
	v_add_u32_e32 v2, 16, v0
	v_cmp_le_i32_e64 s[0:1], v2, v4
	s_and_b64 s[4:5], vcc, s[0:1]
	s_and_saveexec_b64 s[0:1], s[4:5]
	s_cbranch_execz .LBB189_8
; %bb.7:
	v_ashrrev_i32_e32 v3, 31, v2
	v_lshlrev_b64 v[7:8], 3, v[2:3]
	v_mul_f32_e32 v1, s13, v19
	v_add_co_u32_e32 v5, vcc, v5, v7
	v_addc_co_u32_e32 v6, vcc, v6, v8, vcc
	global_load_dwordx2 v[7:8], v[5:6], off
	v_mul_f32_e32 v3, s12, v19
	v_fma_f32 v1, v18, s12, -v1
	v_fmac_f32_e32 v3, s13, v18
	s_waitcnt vmcnt(0)
	v_mul_f32_e32 v9, s3, v8
	v_mul_f32_e32 v8, s2, v8
	v_fma_f32 v9, v7, s2, -v9
	v_fmac_f32_e32 v8, s3, v7
	v_add_f32_e32 v7, v1, v9
	v_add_f32_e32 v8, v3, v8
	global_store_dwordx2 v[5:6], v[7:8], off
.LBB189_8:
	s_or_b64 exec, exec, s[0:1]
	v_add_u32_e32 v3, 16, v4
	v_mad_i64_i32 v[4:5], s[0:1], v3, s9, 0
	v_mov_b32_e32 v1, s8
	v_cmp_gt_i32_e32 vcc, s10, v3
	v_lshlrev_b64 v[4:5], 3, v[4:5]
	v_add_co_u32_e64 v4, s[0:1], s7, v4
	v_addc_co_u32_e64 v5, s[0:1], v1, v5, s[0:1]
	v_cmp_le_i32_e64 s[0:1], v0, v3
	s_and_b64 s[0:1], vcc, s[0:1]
	s_and_saveexec_b64 s[4:5], s[0:1]
	s_cbranch_execz .LBB189_10
; %bb.9:
	v_ashrrev_i32_e32 v1, 31, v0
	v_lshlrev_b64 v[0:1], 3, v[0:1]
	v_mul_f32_e32 v8, s13, v17
	v_add_co_u32_e64 v0, s[0:1], v4, v0
	v_addc_co_u32_e64 v1, s[0:1], v5, v1, s[0:1]
	global_load_dwordx2 v[6:7], v[0:1], off
	v_mul_f32_e32 v9, s12, v17
	v_fma_f32 v8, v16, s12, -v8
	v_fmac_f32_e32 v9, s13, v16
	s_waitcnt vmcnt(0)
	v_mul_f32_e32 v11, s3, v7
	v_mul_f32_e32 v7, s2, v7
	v_fma_f32 v11, v6, s2, -v11
	v_fmac_f32_e32 v7, s3, v6
	v_add_f32_e32 v6, v8, v11
	v_add_f32_e32 v7, v9, v7
	global_store_dwordx2 v[0:1], v[6:7], off
.LBB189_10:
	s_or_b64 exec, exec, s[4:5]
	v_cmp_le_i32_e64 s[0:1], v2, v3
	s_and_b64 s[0:1], vcc, s[0:1]
	s_and_saveexec_b64 s[4:5], s[0:1]
	s_cbranch_execz .LBB189_12
; %bb.11:
	v_ashrrev_i32_e32 v3, 31, v2
	v_lshlrev_b64 v[0:1], 3, v[2:3]
	v_add_co_u32_e32 v0, vcc, v4, v0
	v_addc_co_u32_e32 v1, vcc, v5, v1, vcc
	global_load_dwordx2 v[2:3], v[0:1], off
	v_mul_f32_e32 v4, s13, v10
	v_mul_f32_e32 v5, s12, v10
	v_fma_f32 v4, v15, s12, -v4
	v_fmac_f32_e32 v5, s13, v15
	s_waitcnt vmcnt(0)
	v_mul_f32_e32 v6, s3, v3
	v_mul_f32_e32 v3, s2, v3
	v_fma_f32 v6, v2, s2, -v6
	v_fmac_f32_e32 v3, s3, v2
	v_add_f32_e32 v2, v4, v6
	v_add_f32_e32 v3, v5, v3
	global_store_dwordx2 v[0:1], v[2:3], off
.LBB189_12:
	s_endpgm
	.section	.rodata,"a",@progbits
	.p2align	6, 0x0
	.amdhsa_kernel _ZL37rocblas_syrkx_herkx_restricted_kernelIi19rocblas_complex_numIfELi16ELi32ELi8ELb0ELb0ELc84ELc85EKS1_S1_EviT_T0_PT8_S3_lS6_S3_lS4_PT9_S3_li
		.amdhsa_group_segment_fixed_size 4096
		.amdhsa_private_segment_fixed_size 0
		.amdhsa_kernarg_size 100
		.amdhsa_user_sgpr_count 6
		.amdhsa_user_sgpr_private_segment_buffer 1
		.amdhsa_user_sgpr_dispatch_ptr 0
		.amdhsa_user_sgpr_queue_ptr 0
		.amdhsa_user_sgpr_kernarg_segment_ptr 1
		.amdhsa_user_sgpr_dispatch_id 0
		.amdhsa_user_sgpr_flat_scratch_init 0
		.amdhsa_user_sgpr_private_segment_size 0
		.amdhsa_uses_dynamic_stack 0
		.amdhsa_system_sgpr_private_segment_wavefront_offset 0
		.amdhsa_system_sgpr_workgroup_id_x 1
		.amdhsa_system_sgpr_workgroup_id_y 1
		.amdhsa_system_sgpr_workgroup_id_z 1
		.amdhsa_system_sgpr_workgroup_info 0
		.amdhsa_system_vgpr_workitem_id 1
		.amdhsa_next_free_vgpr 41
		.amdhsa_next_free_sgpr 26
		.amdhsa_reserve_vcc 1
		.amdhsa_reserve_flat_scratch 0
		.amdhsa_float_round_mode_32 0
		.amdhsa_float_round_mode_16_64 0
		.amdhsa_float_denorm_mode_32 3
		.amdhsa_float_denorm_mode_16_64 3
		.amdhsa_dx10_clamp 1
		.amdhsa_ieee_mode 1
		.amdhsa_fp16_overflow 0
		.amdhsa_exception_fp_ieee_invalid_op 0
		.amdhsa_exception_fp_denorm_src 0
		.amdhsa_exception_fp_ieee_div_zero 0
		.amdhsa_exception_fp_ieee_overflow 0
		.amdhsa_exception_fp_ieee_underflow 0
		.amdhsa_exception_fp_ieee_inexact 0
		.amdhsa_exception_int_div_zero 0
	.end_amdhsa_kernel
	.section	.text._ZL37rocblas_syrkx_herkx_restricted_kernelIi19rocblas_complex_numIfELi16ELi32ELi8ELb0ELb0ELc84ELc85EKS1_S1_EviT_T0_PT8_S3_lS6_S3_lS4_PT9_S3_li,"axG",@progbits,_ZL37rocblas_syrkx_herkx_restricted_kernelIi19rocblas_complex_numIfELi16ELi32ELi8ELb0ELb0ELc84ELc85EKS1_S1_EviT_T0_PT8_S3_lS6_S3_lS4_PT9_S3_li,comdat
.Lfunc_end189:
	.size	_ZL37rocblas_syrkx_herkx_restricted_kernelIi19rocblas_complex_numIfELi16ELi32ELi8ELb0ELb0ELc84ELc85EKS1_S1_EviT_T0_PT8_S3_lS6_S3_lS4_PT9_S3_li, .Lfunc_end189-_ZL37rocblas_syrkx_herkx_restricted_kernelIi19rocblas_complex_numIfELi16ELi32ELi8ELb0ELb0ELc84ELc85EKS1_S1_EviT_T0_PT8_S3_lS6_S3_lS4_PT9_S3_li
                                        ; -- End function
	.set _ZL37rocblas_syrkx_herkx_restricted_kernelIi19rocblas_complex_numIfELi16ELi32ELi8ELb0ELb0ELc84ELc85EKS1_S1_EviT_T0_PT8_S3_lS6_S3_lS4_PT9_S3_li.num_vgpr, 41
	.set _ZL37rocblas_syrkx_herkx_restricted_kernelIi19rocblas_complex_numIfELi16ELi32ELi8ELb0ELb0ELc84ELc85EKS1_S1_EviT_T0_PT8_S3_lS6_S3_lS4_PT9_S3_li.num_agpr, 0
	.set _ZL37rocblas_syrkx_herkx_restricted_kernelIi19rocblas_complex_numIfELi16ELi32ELi8ELb0ELb0ELc84ELc85EKS1_S1_EviT_T0_PT8_S3_lS6_S3_lS4_PT9_S3_li.numbered_sgpr, 26
	.set _ZL37rocblas_syrkx_herkx_restricted_kernelIi19rocblas_complex_numIfELi16ELi32ELi8ELb0ELb0ELc84ELc85EKS1_S1_EviT_T0_PT8_S3_lS6_S3_lS4_PT9_S3_li.num_named_barrier, 0
	.set _ZL37rocblas_syrkx_herkx_restricted_kernelIi19rocblas_complex_numIfELi16ELi32ELi8ELb0ELb0ELc84ELc85EKS1_S1_EviT_T0_PT8_S3_lS6_S3_lS4_PT9_S3_li.private_seg_size, 0
	.set _ZL37rocblas_syrkx_herkx_restricted_kernelIi19rocblas_complex_numIfELi16ELi32ELi8ELb0ELb0ELc84ELc85EKS1_S1_EviT_T0_PT8_S3_lS6_S3_lS4_PT9_S3_li.uses_vcc, 1
	.set _ZL37rocblas_syrkx_herkx_restricted_kernelIi19rocblas_complex_numIfELi16ELi32ELi8ELb0ELb0ELc84ELc85EKS1_S1_EviT_T0_PT8_S3_lS6_S3_lS4_PT9_S3_li.uses_flat_scratch, 0
	.set _ZL37rocblas_syrkx_herkx_restricted_kernelIi19rocblas_complex_numIfELi16ELi32ELi8ELb0ELb0ELc84ELc85EKS1_S1_EviT_T0_PT8_S3_lS6_S3_lS4_PT9_S3_li.has_dyn_sized_stack, 0
	.set _ZL37rocblas_syrkx_herkx_restricted_kernelIi19rocblas_complex_numIfELi16ELi32ELi8ELb0ELb0ELc84ELc85EKS1_S1_EviT_T0_PT8_S3_lS6_S3_lS4_PT9_S3_li.has_recursion, 0
	.set _ZL37rocblas_syrkx_herkx_restricted_kernelIi19rocblas_complex_numIfELi16ELi32ELi8ELb0ELb0ELc84ELc85EKS1_S1_EviT_T0_PT8_S3_lS6_S3_lS4_PT9_S3_li.has_indirect_call, 0
	.section	.AMDGPU.csdata,"",@progbits
; Kernel info:
; codeLenInByte = 2128
; TotalNumSgprs: 30
; NumVgprs: 41
; ScratchSize: 0
; MemoryBound: 0
; FloatMode: 240
; IeeeMode: 1
; LDSByteSize: 4096 bytes/workgroup (compile time only)
; SGPRBlocks: 3
; VGPRBlocks: 10
; NumSGPRsForWavesPerEU: 30
; NumVGPRsForWavesPerEU: 41
; Occupancy: 5
; WaveLimiterHint : 0
; COMPUTE_PGM_RSRC2:SCRATCH_EN: 0
; COMPUTE_PGM_RSRC2:USER_SGPR: 6
; COMPUTE_PGM_RSRC2:TRAP_HANDLER: 0
; COMPUTE_PGM_RSRC2:TGID_X_EN: 1
; COMPUTE_PGM_RSRC2:TGID_Y_EN: 1
; COMPUTE_PGM_RSRC2:TGID_Z_EN: 1
; COMPUTE_PGM_RSRC2:TIDIG_COMP_CNT: 1
	.section	.text._ZL37rocblas_syrkx_herkx_restricted_kernelIi19rocblas_complex_numIfELi16ELi32ELi8ELb0ELb0ELc67ELc85EKS1_S1_EviT_T0_PT8_S3_lS6_S3_lS4_PT9_S3_li,"axG",@progbits,_ZL37rocblas_syrkx_herkx_restricted_kernelIi19rocblas_complex_numIfELi16ELi32ELi8ELb0ELb0ELc67ELc85EKS1_S1_EviT_T0_PT8_S3_lS6_S3_lS4_PT9_S3_li,comdat
	.globl	_ZL37rocblas_syrkx_herkx_restricted_kernelIi19rocblas_complex_numIfELi16ELi32ELi8ELb0ELb0ELc67ELc85EKS1_S1_EviT_T0_PT8_S3_lS6_S3_lS4_PT9_S3_li ; -- Begin function _ZL37rocblas_syrkx_herkx_restricted_kernelIi19rocblas_complex_numIfELi16ELi32ELi8ELb0ELb0ELc67ELc85EKS1_S1_EviT_T0_PT8_S3_lS6_S3_lS4_PT9_S3_li
	.p2align	8
	.type	_ZL37rocblas_syrkx_herkx_restricted_kernelIi19rocblas_complex_numIfELi16ELi32ELi8ELb0ELb0ELc67ELc85EKS1_S1_EviT_T0_PT8_S3_lS6_S3_lS4_PT9_S3_li,@function
_ZL37rocblas_syrkx_herkx_restricted_kernelIi19rocblas_complex_numIfELi16ELi32ELi8ELb0ELb0ELc67ELc85EKS1_S1_EviT_T0_PT8_S3_lS6_S3_lS4_PT9_S3_li: ; @_ZL37rocblas_syrkx_herkx_restricted_kernelIi19rocblas_complex_numIfELi16ELi32ELi8ELb0ELb0ELc67ELc85EKS1_S1_EviT_T0_PT8_S3_lS6_S3_lS4_PT9_S3_li
; %bb.0:
	s_load_dwordx2 s[10:11], s[4:5], 0x0
	s_load_dwordx4 s[12:15], s[4:5], 0x8
	s_load_dwordx4 s[0:3], s[4:5], 0x38
	s_load_dwordx2 s[20:21], s[4:5], 0x48
	s_lshl_b32 s6, s6, 5
	s_lshl_b32 s7, s7, 5
	s_waitcnt lgkmcnt(0)
	s_cmp_lt_i32 s11, 1
	s_mov_b32 s9, 0
	s_cbranch_scc1 .LBB190_3
; %bb.1:
	v_lshl_add_u32 v3, v1, 4, v0
	s_load_dword s24, s[4:5], 0x18
	s_load_dwordx4 s[16:19], s[4:5], 0x20
	s_load_dword s22, s[4:5], 0x30
	v_and_b32_e32 v7, 31, v3
	v_lshrrev_b32_e32 v2, 5, v3
	v_and_b32_e32 v9, 7, v0
	v_lshlrev_b32_e32 v8, 3, v7
	v_lshrrev_b32_e32 v6, 3, v3
	v_lshl_or_b32 v11, v2, 8, v8
	v_lshlrev_b32_e32 v8, 3, v9
	v_add_u32_e32 v3, s7, v6
	v_lshl_or_b32 v6, v6, 6, v8
	v_mov_b32_e32 v10, 0
	v_add_u32_e32 v12, 0x800, v6
	v_mov_b32_e32 v6, 0x800
	s_waitcnt lgkmcnt(0)
	v_mad_i64_i32 v[4:5], s[22:23], s22, v3, v[9:10]
	v_mov_b32_e32 v3, v10
	v_lshl_add_u32 v14, v1, 6, v6
	v_add_u32_e32 v6, s6, v7
	v_mad_i64_i32 v[2:3], s[22:23], s24, v6, v[2:3]
	s_mul_i32 s17, s17, s8
	s_mul_hi_u32 s25, s16, s8
	s_add_i32 s17, s25, s17
	s_mul_i32 s16, s16, s8
	s_lshl_b64 s[16:17], s[16:17], 3
	v_lshlrev_b64 v[2:3], 3, v[2:3]
	s_add_u32 s14, s14, s16
	s_addc_u32 s15, s15, s17
	v_mov_b32_e32 v6, s15
	v_add_co_u32_e32 v2, vcc, s14, v2
	s_mul_i32 s1, s1, s8
	s_mul_hi_u32 s14, s0, s8
	v_addc_co_u32_e32 v3, vcc, v6, v3, vcc
	s_add_i32 s1, s14, s1
	s_mul_i32 s0, s0, s8
	v_add_co_u32_e32 v6, vcc, 4, v2
	s_lshl_b64 s[0:1], s[0:1], 3
	v_addc_co_u32_e32 v7, vcc, 0, v3, vcc
	v_lshlrev_b64 v[2:3], 3, v[4:5]
	s_add_u32 s0, s18, s0
	s_addc_u32 s1, s19, s1
	v_mov_b32_e32 v4, s1
	v_add_co_u32_e32 v2, vcc, s0, v2
	v_addc_co_u32_e32 v3, vcc, v4, v3, vcc
	v_add_co_u32_e32 v8, vcc, 4, v2
	v_lshlrev_b32_e32 v13, 3, v0
	v_addc_co_u32_e32 v9, vcc, 0, v3, vcc
	v_mov_b32_e32 v15, v10
	v_mov_b32_e32 v17, v10
	;; [unrolled: 1-line block ×7, first 2 shown]
.LBB190_2:                              ; =>This Inner Loop Header: Depth=1
	global_load_dwordx2 v[2:3], v[6:7], off offset:-4
	v_add_co_u32_e32 v6, vcc, 64, v6
	v_addc_co_u32_e32 v7, vcc, 0, v7, vcc
	s_add_i32 s9, s9, 8
	s_cmp_ge_i32 s9, s11
	s_waitcnt vmcnt(0)
	ds_write_b64 v11, v[2:3]
	global_load_dwordx2 v[2:3], v[8:9], off offset:-4
	v_add_co_u32_e32 v8, vcc, 64, v8
	v_addc_co_u32_e32 v9, vcc, 0, v9, vcc
	s_waitcnt vmcnt(0)
	ds_write_b64 v12, v[2:3]
	s_waitcnt lgkmcnt(0)
	s_barrier
	ds_read_b128 v[22:25], v14
	ds_read_b128 v[26:29], v14 offset:16
	ds_read_b128 v[30:33], v14 offset:32
	;; [unrolled: 1-line block ×3, first 2 shown]
	ds_read2_b64 v[34:37], v13 offset1:16
	s_waitcnt lgkmcnt(0)
	v_mul_f32_e32 v38, v23, v35
	v_mul_f32_e32 v39, v22, v35
	v_fma_f32 v38, v22, v34, -v38
	v_fmac_f32_e32 v39, v23, v34
	v_add_f32_e32 v38, v20, v38
	v_add_f32_e32 v39, v21, v39
	v_mul_f32_e32 v20, v23, v37
	v_mul_f32_e32 v21, v22, v37
	v_fma_f32 v20, v22, v36, -v20
	v_fmac_f32_e32 v21, v23, v36
	v_add_f32_e32 v22, v18, v20
	v_add_f32_e32 v23, v19, v21
	ds_read_b128 v[18:21], v14 offset:1024
	s_waitcnt lgkmcnt(0)
	v_mul_f32_e32 v40, v19, v35
	v_mul_f32_e32 v35, v18, v35
	v_fma_f32 v40, v18, v34, -v40
	v_fmac_f32_e32 v35, v19, v34
	v_add_f32_e32 v34, v16, v40
	v_add_f32_e32 v35, v17, v35
	v_mul_f32_e32 v16, v19, v37
	v_mul_f32_e32 v17, v18, v37
	v_fma_f32 v16, v18, v36, -v16
	v_fmac_f32_e32 v17, v19, v36
	v_add_f32_e32 v19, v15, v16
	v_add_f32_e32 v10, v10, v17
	ds_read2_b64 v[15:18], v13 offset0:32 offset1:48
	s_waitcnt lgkmcnt(0)
	v_mul_f32_e32 v36, v25, v16
	v_fma_f32 v36, v24, v15, -v36
	v_add_f32_e32 v36, v38, v36
	v_mul_f32_e32 v38, v25, v18
	v_mul_f32_e32 v37, v24, v16
	v_fma_f32 v38, v24, v17, -v38
	v_mul_f32_e32 v24, v24, v18
	v_fmac_f32_e32 v24, v25, v17
	v_add_f32_e32 v23, v23, v24
	v_mul_f32_e32 v24, v21, v16
	v_mul_f32_e32 v16, v20, v16
	v_fmac_f32_e32 v16, v21, v15
	v_fmac_f32_e32 v37, v25, v15
	v_fma_f32 v24, v20, v15, -v24
	v_add_f32_e32 v25, v35, v16
	v_mul_f32_e32 v15, v21, v18
	v_mul_f32_e32 v16, v20, v18
	v_fma_f32 v15, v20, v17, -v15
	v_fmac_f32_e32 v16, v21, v17
	v_add_f32_e32 v24, v34, v24
	v_add_f32_e32 v34, v19, v15
	;; [unrolled: 1-line block ×3, first 2 shown]
	ds_read2_b64 v[15:18], v13 offset0:64 offset1:80
	v_add_f32_e32 v37, v39, v37
	v_add_f32_e32 v22, v22, v38
	s_waitcnt lgkmcnt(0)
	v_mul_f32_e32 v19, v27, v16
	v_mul_f32_e32 v20, v26, v16
	v_fma_f32 v19, v26, v15, -v19
	v_fmac_f32_e32 v20, v27, v15
	v_add_f32_e32 v35, v36, v19
	v_add_f32_e32 v36, v37, v20
	v_mul_f32_e32 v19, v27, v18
	v_mul_f32_e32 v20, v26, v18
	v_fma_f32 v19, v26, v17, -v19
	v_fmac_f32_e32 v20, v27, v17
	v_add_f32_e32 v26, v22, v19
	v_add_f32_e32 v23, v23, v20
	ds_read_b128 v[19:22], v14 offset:1040
	s_waitcnt lgkmcnt(0)
	v_mul_f32_e32 v27, v20, v16
	v_mul_f32_e32 v16, v19, v16
	v_fmac_f32_e32 v16, v20, v15
	v_fma_f32 v27, v19, v15, -v27
	v_add_f32_e32 v25, v25, v16
	v_mul_f32_e32 v15, v20, v18
	v_mul_f32_e32 v16, v19, v18
	v_fma_f32 v15, v19, v17, -v15
	v_fmac_f32_e32 v16, v20, v17
	v_add_f32_e32 v19, v34, v15
	v_add_f32_e32 v10, v10, v16
	ds_read2_b64 v[15:18], v13 offset0:96 offset1:112
	v_add_f32_e32 v24, v24, v27
	s_waitcnt lgkmcnt(0)
	v_mul_f32_e32 v20, v29, v16
	v_mul_f32_e32 v34, v29, v18
	v_fma_f32 v20, v28, v15, -v20
	v_mul_f32_e32 v27, v28, v16
	v_fma_f32 v34, v28, v17, -v34
	v_mul_f32_e32 v28, v28, v18
	v_fmac_f32_e32 v28, v29, v17
	v_add_f32_e32 v23, v23, v28
	v_mul_f32_e32 v28, v22, v16
	v_mul_f32_e32 v16, v21, v16
	v_fmac_f32_e32 v16, v22, v15
	v_fmac_f32_e32 v27, v29, v15
	v_fma_f32 v28, v21, v15, -v28
	v_add_f32_e32 v25, v25, v16
	v_mul_f32_e32 v15, v22, v18
	v_mul_f32_e32 v16, v21, v18
	v_fma_f32 v15, v21, v17, -v15
	v_fmac_f32_e32 v16, v22, v17
	v_add_f32_e32 v24, v24, v28
	v_add_f32_e32 v28, v19, v15
	;; [unrolled: 1-line block ×3, first 2 shown]
	ds_read2_b64 v[15:18], v13 offset0:128 offset1:144
	v_add_f32_e32 v20, v35, v20
	v_add_f32_e32 v27, v36, v27
	;; [unrolled: 1-line block ×3, first 2 shown]
	s_waitcnt lgkmcnt(0)
	v_mul_f32_e32 v19, v31, v16
	v_fma_f32 v19, v30, v15, -v19
	v_mul_f32_e32 v21, v30, v16
	v_add_f32_e32 v29, v20, v19
	v_mul_f32_e32 v19, v31, v18
	v_mul_f32_e32 v20, v30, v18
	v_fmac_f32_e32 v21, v31, v15
	v_fma_f32 v19, v30, v17, -v19
	v_fmac_f32_e32 v20, v31, v17
	v_add_f32_e32 v27, v27, v21
	v_add_f32_e32 v26, v26, v19
	;; [unrolled: 1-line block ×3, first 2 shown]
	ds_read_b128 v[19:22], v14 offset:1056
	s_waitcnt lgkmcnt(0)
	v_mul_f32_e32 v30, v20, v16
	v_mul_f32_e32 v16, v19, v16
	v_fmac_f32_e32 v16, v20, v15
	v_fma_f32 v30, v19, v15, -v30
	v_add_f32_e32 v25, v25, v16
	v_mul_f32_e32 v15, v20, v18
	v_mul_f32_e32 v16, v19, v18
	v_fma_f32 v15, v19, v17, -v15
	v_fmac_f32_e32 v16, v20, v17
	v_add_f32_e32 v19, v28, v15
	v_add_f32_e32 v10, v10, v16
	ds_read2_b64 v[15:18], v13 offset0:160 offset1:176
	v_add_f32_e32 v24, v24, v30
	s_waitcnt lgkmcnt(0)
	v_mul_f32_e32 v28, v32, v16
	v_fmac_f32_e32 v28, v33, v15
	v_add_f32_e32 v27, v27, v28
	v_mul_f32_e32 v28, v33, v18
	v_fma_f32 v28, v32, v17, -v28
	v_mul_f32_e32 v20, v33, v16
	v_add_f32_e32 v26, v26, v28
	v_mul_f32_e32 v28, v22, v16
	v_mul_f32_e32 v16, v21, v16
	v_fmac_f32_e32 v16, v22, v15
	v_fma_f32 v20, v32, v15, -v20
	v_fma_f32 v28, v21, v15, -v28
	v_add_f32_e32 v25, v25, v16
	v_mul_f32_e32 v15, v22, v18
	v_mul_f32_e32 v16, v21, v18
	v_add_f32_e32 v20, v29, v20
	v_mul_f32_e32 v29, v32, v18
	v_fma_f32 v15, v21, v17, -v15
	v_fmac_f32_e32 v16, v22, v17
	v_fmac_f32_e32 v29, v33, v17
	v_add_f32_e32 v19, v19, v15
	v_add_f32_e32 v10, v10, v16
	ds_read2_b64 v[15:18], v13 offset0:192 offset1:208
	v_add_f32_e32 v24, v24, v28
	v_add_f32_e32 v23, v23, v29
	s_waitcnt lgkmcnt(0)
	v_mul_f32_e32 v21, v3, v16
	v_fma_f32 v21, v2, v15, -v21
	v_add_f32_e32 v28, v20, v21
	v_mul_f32_e32 v20, v3, v18
	v_mul_f32_e32 v22, v2, v16
	v_fma_f32 v20, v2, v17, -v20
	v_mul_f32_e32 v2, v2, v18
	v_fmac_f32_e32 v22, v3, v15
	v_fmac_f32_e32 v2, v3, v17
	v_add_f32_e32 v29, v27, v22
	v_add_f32_e32 v3, v26, v20
	;; [unrolled: 1-line block ×3, first 2 shown]
	ds_read_b128 v[20:23], v14 offset:1072
	s_waitcnt lgkmcnt(0)
	v_mul_f32_e32 v26, v21, v16
	v_mul_f32_e32 v16, v20, v16
	v_fma_f32 v26, v20, v15, -v26
	v_fmac_f32_e32 v16, v21, v15
	v_add_f32_e32 v15, v24, v26
	v_add_f32_e32 v30, v25, v16
	ds_read2_b64 v[24:27], v13 offset0:224 offset1:240
	v_mul_f32_e32 v16, v21, v18
	v_fma_f32 v16, v20, v17, -v16
	v_add_f32_e32 v31, v19, v16
	v_mul_f32_e32 v18, v20, v18
	s_waitcnt lgkmcnt(0)
	v_mul_f32_e32 v16, v5, v25
	v_fma_f32 v16, v4, v24, -v16
	v_add_f32_e32 v20, v28, v16
	v_mul_f32_e32 v16, v5, v27
	v_fmac_f32_e32 v18, v21, v17
	v_mul_f32_e32 v17, v4, v25
	v_fma_f32 v16, v4, v26, -v16
	v_mul_f32_e32 v4, v4, v27
	v_fmac_f32_e32 v4, v5, v26
	v_add_f32_e32 v10, v10, v18
	v_add_f32_e32 v18, v3, v16
	;; [unrolled: 1-line block ×3, first 2 shown]
	v_mul_f32_e32 v2, v23, v25
	v_mul_f32_e32 v3, v22, v25
	v_fmac_f32_e32 v17, v5, v24
	v_fma_f32 v2, v22, v24, -v2
	v_fmac_f32_e32 v3, v23, v24
	v_add_f32_e32 v21, v29, v17
	v_add_f32_e32 v16, v15, v2
	;; [unrolled: 1-line block ×3, first 2 shown]
	v_mul_f32_e32 v2, v23, v27
	v_mul_f32_e32 v3, v22, v27
	v_fma_f32 v2, v22, v26, -v2
	v_fmac_f32_e32 v3, v23, v26
	v_add_f32_e32 v15, v31, v2
	v_add_f32_e32 v10, v10, v3
	s_barrier
	s_cbranch_scc0 .LBB190_2
	s_branch .LBB190_4
.LBB190_3:
	v_mov_b32_e32 v20, 0
	v_mov_b32_e32 v21, 0
	;; [unrolled: 1-line block ×8, first 2 shown]
.LBB190_4:
	s_load_dwordx2 s[0:1], s[4:5], 0x58
	s_load_dword s9, s[4:5], 0x50
	v_add_u32_e32 v4, s7, v1
	v_add_u32_e32 v0, s6, v0
	v_cmp_gt_i32_e32 vcc, s10, v4
	s_waitcnt lgkmcnt(0)
	s_mul_i32 s1, s1, s8
	s_mul_hi_u32 s4, s0, s8
	s_add_i32 s1, s4, s1
	v_mad_i64_i32 v[1:2], s[4:5], v4, s9, 0
	s_mul_i32 s0, s0, s8
	s_lshl_b64 s[0:1], s[0:1], 3
	s_add_u32 s7, s20, s0
	v_lshlrev_b64 v[1:2], 3, v[1:2]
	s_addc_u32 s8, s21, s1
	v_mov_b32_e32 v3, s8
	v_add_co_u32_e64 v5, s[0:1], s7, v1
	v_addc_co_u32_e64 v6, s[0:1], v3, v2, s[0:1]
	v_cmp_le_i32_e64 s[0:1], v0, v4
	s_and_b64 s[0:1], vcc, s[0:1]
	s_and_saveexec_b64 s[4:5], s[0:1]
	s_cbranch_execz .LBB190_6
; %bb.5:
	v_ashrrev_i32_e32 v1, 31, v0
	v_lshlrev_b64 v[1:2], 3, v[0:1]
	v_mul_f32_e32 v3, s13, v21
	v_add_co_u32_e64 v1, s[0:1], v5, v1
	v_addc_co_u32_e64 v2, s[0:1], v6, v2, s[0:1]
	global_load_dwordx2 v[7:8], v[1:2], off
	v_mul_f32_e32 v9, s12, v21
	v_fma_f32 v3, v20, s12, -v3
	v_fmac_f32_e32 v9, s13, v20
	s_waitcnt vmcnt(0)
	v_mul_f32_e32 v11, s3, v8
	v_mul_f32_e32 v8, s2, v8
	v_fma_f32 v11, v7, s2, -v11
	v_fmac_f32_e32 v8, s3, v7
	v_add_f32_e32 v7, v3, v11
	v_add_f32_e32 v8, v9, v8
	global_store_dwordx2 v[1:2], v[7:8], off
.LBB190_6:
	s_or_b64 exec, exec, s[4:5]
	v_add_u32_e32 v2, 16, v0
	v_cmp_le_i32_e64 s[0:1], v2, v4
	s_and_b64 s[4:5], vcc, s[0:1]
	s_and_saveexec_b64 s[0:1], s[4:5]
	s_cbranch_execz .LBB190_8
; %bb.7:
	v_ashrrev_i32_e32 v3, 31, v2
	v_lshlrev_b64 v[7:8], 3, v[2:3]
	v_mul_f32_e32 v1, s13, v19
	v_add_co_u32_e32 v5, vcc, v5, v7
	v_addc_co_u32_e32 v6, vcc, v6, v8, vcc
	global_load_dwordx2 v[7:8], v[5:6], off
	v_mul_f32_e32 v3, s12, v19
	v_fma_f32 v1, v18, s12, -v1
	v_fmac_f32_e32 v3, s13, v18
	s_waitcnt vmcnt(0)
	v_mul_f32_e32 v9, s3, v8
	v_mul_f32_e32 v8, s2, v8
	v_fma_f32 v9, v7, s2, -v9
	v_fmac_f32_e32 v8, s3, v7
	v_add_f32_e32 v7, v1, v9
	v_add_f32_e32 v8, v3, v8
	global_store_dwordx2 v[5:6], v[7:8], off
.LBB190_8:
	s_or_b64 exec, exec, s[0:1]
	v_add_u32_e32 v3, 16, v4
	v_mad_i64_i32 v[4:5], s[0:1], v3, s9, 0
	v_mov_b32_e32 v1, s8
	v_cmp_gt_i32_e32 vcc, s10, v3
	v_lshlrev_b64 v[4:5], 3, v[4:5]
	v_add_co_u32_e64 v4, s[0:1], s7, v4
	v_addc_co_u32_e64 v5, s[0:1], v1, v5, s[0:1]
	v_cmp_le_i32_e64 s[0:1], v0, v3
	s_and_b64 s[0:1], vcc, s[0:1]
	s_and_saveexec_b64 s[4:5], s[0:1]
	s_cbranch_execz .LBB190_10
; %bb.9:
	v_ashrrev_i32_e32 v1, 31, v0
	v_lshlrev_b64 v[0:1], 3, v[0:1]
	v_mul_f32_e32 v8, s13, v17
	v_add_co_u32_e64 v0, s[0:1], v4, v0
	v_addc_co_u32_e64 v1, s[0:1], v5, v1, s[0:1]
	global_load_dwordx2 v[6:7], v[0:1], off
	v_mul_f32_e32 v9, s12, v17
	v_fma_f32 v8, v16, s12, -v8
	v_fmac_f32_e32 v9, s13, v16
	s_waitcnt vmcnt(0)
	v_mul_f32_e32 v11, s3, v7
	v_mul_f32_e32 v7, s2, v7
	v_fma_f32 v11, v6, s2, -v11
	v_fmac_f32_e32 v7, s3, v6
	v_add_f32_e32 v6, v8, v11
	v_add_f32_e32 v7, v9, v7
	global_store_dwordx2 v[0:1], v[6:7], off
.LBB190_10:
	s_or_b64 exec, exec, s[4:5]
	v_cmp_le_i32_e64 s[0:1], v2, v3
	s_and_b64 s[0:1], vcc, s[0:1]
	s_and_saveexec_b64 s[4:5], s[0:1]
	s_cbranch_execz .LBB190_12
; %bb.11:
	v_ashrrev_i32_e32 v3, 31, v2
	v_lshlrev_b64 v[0:1], 3, v[2:3]
	v_add_co_u32_e32 v0, vcc, v4, v0
	v_addc_co_u32_e32 v1, vcc, v5, v1, vcc
	global_load_dwordx2 v[2:3], v[0:1], off
	v_mul_f32_e32 v4, s13, v10
	v_mul_f32_e32 v5, s12, v10
	v_fma_f32 v4, v15, s12, -v4
	v_fmac_f32_e32 v5, s13, v15
	s_waitcnt vmcnt(0)
	v_mul_f32_e32 v6, s3, v3
	v_mul_f32_e32 v3, s2, v3
	v_fma_f32 v6, v2, s2, -v6
	v_fmac_f32_e32 v3, s3, v2
	v_add_f32_e32 v2, v4, v6
	v_add_f32_e32 v3, v5, v3
	global_store_dwordx2 v[0:1], v[2:3], off
.LBB190_12:
	s_endpgm
	.section	.rodata,"a",@progbits
	.p2align	6, 0x0
	.amdhsa_kernel _ZL37rocblas_syrkx_herkx_restricted_kernelIi19rocblas_complex_numIfELi16ELi32ELi8ELb0ELb0ELc67ELc85EKS1_S1_EviT_T0_PT8_S3_lS6_S3_lS4_PT9_S3_li
		.amdhsa_group_segment_fixed_size 4096
		.amdhsa_private_segment_fixed_size 0
		.amdhsa_kernarg_size 100
		.amdhsa_user_sgpr_count 6
		.amdhsa_user_sgpr_private_segment_buffer 1
		.amdhsa_user_sgpr_dispatch_ptr 0
		.amdhsa_user_sgpr_queue_ptr 0
		.amdhsa_user_sgpr_kernarg_segment_ptr 1
		.amdhsa_user_sgpr_dispatch_id 0
		.amdhsa_user_sgpr_flat_scratch_init 0
		.amdhsa_user_sgpr_private_segment_size 0
		.amdhsa_uses_dynamic_stack 0
		.amdhsa_system_sgpr_private_segment_wavefront_offset 0
		.amdhsa_system_sgpr_workgroup_id_x 1
		.amdhsa_system_sgpr_workgroup_id_y 1
		.amdhsa_system_sgpr_workgroup_id_z 1
		.amdhsa_system_sgpr_workgroup_info 0
		.amdhsa_system_vgpr_workitem_id 1
		.amdhsa_next_free_vgpr 41
		.amdhsa_next_free_sgpr 26
		.amdhsa_reserve_vcc 1
		.amdhsa_reserve_flat_scratch 0
		.amdhsa_float_round_mode_32 0
		.amdhsa_float_round_mode_16_64 0
		.amdhsa_float_denorm_mode_32 3
		.amdhsa_float_denorm_mode_16_64 3
		.amdhsa_dx10_clamp 1
		.amdhsa_ieee_mode 1
		.amdhsa_fp16_overflow 0
		.amdhsa_exception_fp_ieee_invalid_op 0
		.amdhsa_exception_fp_denorm_src 0
		.amdhsa_exception_fp_ieee_div_zero 0
		.amdhsa_exception_fp_ieee_overflow 0
		.amdhsa_exception_fp_ieee_underflow 0
		.amdhsa_exception_fp_ieee_inexact 0
		.amdhsa_exception_int_div_zero 0
	.end_amdhsa_kernel
	.section	.text._ZL37rocblas_syrkx_herkx_restricted_kernelIi19rocblas_complex_numIfELi16ELi32ELi8ELb0ELb0ELc67ELc85EKS1_S1_EviT_T0_PT8_S3_lS6_S3_lS4_PT9_S3_li,"axG",@progbits,_ZL37rocblas_syrkx_herkx_restricted_kernelIi19rocblas_complex_numIfELi16ELi32ELi8ELb0ELb0ELc67ELc85EKS1_S1_EviT_T0_PT8_S3_lS6_S3_lS4_PT9_S3_li,comdat
.Lfunc_end190:
	.size	_ZL37rocblas_syrkx_herkx_restricted_kernelIi19rocblas_complex_numIfELi16ELi32ELi8ELb0ELb0ELc67ELc85EKS1_S1_EviT_T0_PT8_S3_lS6_S3_lS4_PT9_S3_li, .Lfunc_end190-_ZL37rocblas_syrkx_herkx_restricted_kernelIi19rocblas_complex_numIfELi16ELi32ELi8ELb0ELb0ELc67ELc85EKS1_S1_EviT_T0_PT8_S3_lS6_S3_lS4_PT9_S3_li
                                        ; -- End function
	.set _ZL37rocblas_syrkx_herkx_restricted_kernelIi19rocblas_complex_numIfELi16ELi32ELi8ELb0ELb0ELc67ELc85EKS1_S1_EviT_T0_PT8_S3_lS6_S3_lS4_PT9_S3_li.num_vgpr, 41
	.set _ZL37rocblas_syrkx_herkx_restricted_kernelIi19rocblas_complex_numIfELi16ELi32ELi8ELb0ELb0ELc67ELc85EKS1_S1_EviT_T0_PT8_S3_lS6_S3_lS4_PT9_S3_li.num_agpr, 0
	.set _ZL37rocblas_syrkx_herkx_restricted_kernelIi19rocblas_complex_numIfELi16ELi32ELi8ELb0ELb0ELc67ELc85EKS1_S1_EviT_T0_PT8_S3_lS6_S3_lS4_PT9_S3_li.numbered_sgpr, 26
	.set _ZL37rocblas_syrkx_herkx_restricted_kernelIi19rocblas_complex_numIfELi16ELi32ELi8ELb0ELb0ELc67ELc85EKS1_S1_EviT_T0_PT8_S3_lS6_S3_lS4_PT9_S3_li.num_named_barrier, 0
	.set _ZL37rocblas_syrkx_herkx_restricted_kernelIi19rocblas_complex_numIfELi16ELi32ELi8ELb0ELb0ELc67ELc85EKS1_S1_EviT_T0_PT8_S3_lS6_S3_lS4_PT9_S3_li.private_seg_size, 0
	.set _ZL37rocblas_syrkx_herkx_restricted_kernelIi19rocblas_complex_numIfELi16ELi32ELi8ELb0ELb0ELc67ELc85EKS1_S1_EviT_T0_PT8_S3_lS6_S3_lS4_PT9_S3_li.uses_vcc, 1
	.set _ZL37rocblas_syrkx_herkx_restricted_kernelIi19rocblas_complex_numIfELi16ELi32ELi8ELb0ELb0ELc67ELc85EKS1_S1_EviT_T0_PT8_S3_lS6_S3_lS4_PT9_S3_li.uses_flat_scratch, 0
	.set _ZL37rocblas_syrkx_herkx_restricted_kernelIi19rocblas_complex_numIfELi16ELi32ELi8ELb0ELb0ELc67ELc85EKS1_S1_EviT_T0_PT8_S3_lS6_S3_lS4_PT9_S3_li.has_dyn_sized_stack, 0
	.set _ZL37rocblas_syrkx_herkx_restricted_kernelIi19rocblas_complex_numIfELi16ELi32ELi8ELb0ELb0ELc67ELc85EKS1_S1_EviT_T0_PT8_S3_lS6_S3_lS4_PT9_S3_li.has_recursion, 0
	.set _ZL37rocblas_syrkx_herkx_restricted_kernelIi19rocblas_complex_numIfELi16ELi32ELi8ELb0ELb0ELc67ELc85EKS1_S1_EviT_T0_PT8_S3_lS6_S3_lS4_PT9_S3_li.has_indirect_call, 0
	.section	.AMDGPU.csdata,"",@progbits
; Kernel info:
; codeLenInByte = 2128
; TotalNumSgprs: 30
; NumVgprs: 41
; ScratchSize: 0
; MemoryBound: 0
; FloatMode: 240
; IeeeMode: 1
; LDSByteSize: 4096 bytes/workgroup (compile time only)
; SGPRBlocks: 3
; VGPRBlocks: 10
; NumSGPRsForWavesPerEU: 30
; NumVGPRsForWavesPerEU: 41
; Occupancy: 5
; WaveLimiterHint : 0
; COMPUTE_PGM_RSRC2:SCRATCH_EN: 0
; COMPUTE_PGM_RSRC2:USER_SGPR: 6
; COMPUTE_PGM_RSRC2:TRAP_HANDLER: 0
; COMPUTE_PGM_RSRC2:TGID_X_EN: 1
; COMPUTE_PGM_RSRC2:TGID_Y_EN: 1
; COMPUTE_PGM_RSRC2:TGID_Z_EN: 1
; COMPUTE_PGM_RSRC2:TIDIG_COMP_CNT: 1
	.section	.text._ZL37rocblas_syrkx_herkx_restricted_kernelIi19rocblas_complex_numIfELi16ELi32ELi8ELb0ELb0ELc78ELc85EKS1_S1_EviT_T0_PT8_S3_lS6_S3_lS4_PT9_S3_li,"axG",@progbits,_ZL37rocblas_syrkx_herkx_restricted_kernelIi19rocblas_complex_numIfELi16ELi32ELi8ELb0ELb0ELc78ELc85EKS1_S1_EviT_T0_PT8_S3_lS6_S3_lS4_PT9_S3_li,comdat
	.globl	_ZL37rocblas_syrkx_herkx_restricted_kernelIi19rocblas_complex_numIfELi16ELi32ELi8ELb0ELb0ELc78ELc85EKS1_S1_EviT_T0_PT8_S3_lS6_S3_lS4_PT9_S3_li ; -- Begin function _ZL37rocblas_syrkx_herkx_restricted_kernelIi19rocblas_complex_numIfELi16ELi32ELi8ELb0ELb0ELc78ELc85EKS1_S1_EviT_T0_PT8_S3_lS6_S3_lS4_PT9_S3_li
	.p2align	8
	.type	_ZL37rocblas_syrkx_herkx_restricted_kernelIi19rocblas_complex_numIfELi16ELi32ELi8ELb0ELb0ELc78ELc85EKS1_S1_EviT_T0_PT8_S3_lS6_S3_lS4_PT9_S3_li,@function
_ZL37rocblas_syrkx_herkx_restricted_kernelIi19rocblas_complex_numIfELi16ELi32ELi8ELb0ELb0ELc78ELc85EKS1_S1_EviT_T0_PT8_S3_lS6_S3_lS4_PT9_S3_li: ; @_ZL37rocblas_syrkx_herkx_restricted_kernelIi19rocblas_complex_numIfELi16ELi32ELi8ELb0ELb0ELc78ELc85EKS1_S1_EviT_T0_PT8_S3_lS6_S3_lS4_PT9_S3_li
; %bb.0:
	s_load_dwordx2 s[10:11], s[4:5], 0x0
	s_load_dwordx4 s[12:15], s[4:5], 0x8
	s_load_dwordx4 s[0:3], s[4:5], 0x38
	s_load_dwordx2 s[20:21], s[4:5], 0x48
	s_lshl_b32 s9, s6, 5
	s_lshl_b32 s22, s7, 5
	s_waitcnt lgkmcnt(0)
	s_cmp_lt_i32 s11, 1
	s_mov_b32 s23, 0
	s_cbranch_scc1 .LBB191_3
; %bb.1:
	s_load_dword s6, s[4:5], 0x18
	s_load_dword s24, s[4:5], 0x30
	s_load_dwordx4 s[16:19], s[4:5], 0x20
	v_lshl_add_u32 v2, v1, 4, v0
	v_lshrrev_b32_e32 v4, 3, v2
	v_lshrrev_b32_e32 v6, 5, v2
	v_and_b32_e32 v7, 31, v2
	v_add_u32_e32 v2, s22, v4
	v_and_b32_e32 v5, 7, v0
	v_ashrrev_i32_e32 v3, 31, v2
	s_waitcnt lgkmcnt(0)
	v_mad_i64_i32 v[2:3], s[26:27], s24, v5, v[2:3]
	v_lshlrev_b32_e32 v5, 3, v5
	v_lshl_or_b32 v4, v4, 6, v5
	v_add_u32_e32 v11, 0x800, v4
	v_mov_b32_e32 v4, 0x800
	v_lshl_add_u32 v13, v1, 6, v4
	v_add_u32_e32 v4, s9, v7
	v_ashrrev_i32_e32 v5, 31, v4
	v_mad_i64_i32 v[4:5], s[26:27], s6, v6, v[4:5]
	s_mul_i32 s17, s17, s8
	s_mul_hi_u32 s28, s16, s8
	s_add_i32 s17, s28, s17
	s_mul_i32 s16, s16, s8
	s_ashr_i32 s7, s6, 31
	s_ashr_i32 s25, s24, 31
	s_lshl_b64 s[16:17], s[16:17], 3
	v_lshlrev_b64 v[4:5], 3, v[4:5]
	s_add_u32 s14, s14, s16
	v_lshlrev_b32_e32 v8, 3, v7
	s_addc_u32 s15, s15, s17
	v_add_co_u32_e32 v4, vcc, s14, v4
	s_mul_i32 s1, s1, s8
	s_mul_hi_u32 s14, s0, s8
	v_lshl_or_b32 v10, v6, 8, v8
	v_mov_b32_e32 v6, s15
	s_add_i32 s1, s14, s1
	s_mul_i32 s0, s0, s8
	v_addc_co_u32_e32 v5, vcc, v6, v5, vcc
	s_lshl_b64 s[6:7], s[6:7], 6
	s_lshl_b64 s[0:1], s[0:1], 3
	v_add_co_u32_e32 v6, vcc, 4, v4
	v_lshlrev_b64 v[2:3], 3, v[2:3]
	s_add_u32 s0, s18, s0
	v_addc_co_u32_e32 v7, vcc, 0, v5, vcc
	s_addc_u32 s1, s19, s1
	v_mov_b32_e32 v4, s1
	v_add_co_u32_e32 v2, vcc, s0, v2
	v_addc_co_u32_e32 v3, vcc, v4, v3, vcc
	v_add_co_u32_e32 v8, vcc, 4, v2
	s_lshl_b64 s[0:1], s[24:25], 6
	v_lshlrev_b32_e32 v12, 3, v0
	v_addc_co_u32_e32 v9, vcc, 0, v3, vcc
	v_mov_b32_e32 v16, 0
	v_mov_b32_e32 v14, s7
	;; [unrolled: 1-line block ×10, first 2 shown]
.LBB191_2:                              ; =>This Inner Loop Header: Depth=1
	global_load_dwordx2 v[2:3], v[6:7], off offset:-4
	v_add_co_u32_e32 v6, vcc, s6, v6
	v_addc_co_u32_e32 v7, vcc, v7, v14, vcc
	s_add_i32 s23, s23, 8
	s_cmp_ge_i32 s23, s11
	s_waitcnt vmcnt(0)
	ds_write_b64 v10, v[2:3]
	global_load_dwordx2 v[2:3], v[8:9], off offset:-4
	v_add_co_u32_e32 v8, vcc, s0, v8
	v_addc_co_u32_e32 v9, vcc, v9, v15, vcc
	s_waitcnt vmcnt(0)
	ds_write_b64 v11, v[2:3]
	s_waitcnt lgkmcnt(0)
	s_barrier
	ds_read_b128 v[24:27], v13
	ds_read_b128 v[28:31], v13 offset:16
	ds_read_b128 v[32:35], v13 offset:32
	;; [unrolled: 1-line block ×3, first 2 shown]
	ds_read2_b64 v[36:39], v12 offset1:16
	s_waitcnt lgkmcnt(0)
	v_mul_f32_e32 v40, v25, v37
	v_mul_f32_e32 v41, v24, v37
	v_fma_f32 v40, v24, v36, -v40
	v_fmac_f32_e32 v41, v25, v36
	v_add_f32_e32 v40, v22, v40
	v_add_f32_e32 v41, v23, v41
	v_mul_f32_e32 v22, v25, v39
	v_mul_f32_e32 v23, v24, v39
	v_fma_f32 v22, v24, v38, -v22
	v_fmac_f32_e32 v23, v25, v38
	v_add_f32_e32 v24, v20, v22
	v_add_f32_e32 v25, v21, v23
	ds_read_b128 v[20:23], v13 offset:1024
	s_waitcnt lgkmcnt(0)
	v_mul_f32_e32 v42, v21, v37
	v_mul_f32_e32 v37, v20, v37
	v_fma_f32 v42, v20, v36, -v42
	v_fmac_f32_e32 v37, v21, v36
	v_add_f32_e32 v36, v18, v42
	v_add_f32_e32 v37, v19, v37
	v_mul_f32_e32 v18, v21, v39
	v_mul_f32_e32 v19, v20, v39
	v_fma_f32 v18, v20, v38, -v18
	v_fmac_f32_e32 v19, v21, v38
	v_add_f32_e32 v20, v17, v18
	v_add_f32_e32 v21, v16, v19
	ds_read2_b64 v[16:19], v12 offset0:32 offset1:48
	s_waitcnt lgkmcnt(0)
	v_mul_f32_e32 v38, v27, v17
	v_fma_f32 v38, v26, v16, -v38
	v_add_f32_e32 v38, v40, v38
	v_mul_f32_e32 v40, v27, v19
	v_mul_f32_e32 v39, v26, v17
	v_fma_f32 v40, v26, v18, -v40
	v_mul_f32_e32 v26, v26, v19
	v_fmac_f32_e32 v26, v27, v18
	v_add_f32_e32 v25, v25, v26
	v_mul_f32_e32 v26, v23, v17
	v_mul_f32_e32 v17, v22, v17
	v_fmac_f32_e32 v17, v23, v16
	v_fmac_f32_e32 v39, v27, v16
	v_fma_f32 v26, v22, v16, -v26
	v_add_f32_e32 v27, v37, v17
	v_mul_f32_e32 v16, v23, v19
	v_mul_f32_e32 v17, v22, v19
	v_fma_f32 v16, v22, v18, -v16
	v_fmac_f32_e32 v17, v23, v18
	v_add_f32_e32 v26, v36, v26
	v_add_f32_e32 v36, v20, v16
	;; [unrolled: 1-line block ×3, first 2 shown]
	ds_read2_b64 v[16:19], v12 offset0:64 offset1:80
	v_add_f32_e32 v39, v41, v39
	v_add_f32_e32 v24, v24, v40
	s_waitcnt lgkmcnt(0)
	v_mul_f32_e32 v20, v29, v17
	v_mul_f32_e32 v21, v28, v17
	v_fma_f32 v20, v28, v16, -v20
	v_fmac_f32_e32 v21, v29, v16
	v_add_f32_e32 v38, v38, v20
	v_add_f32_e32 v39, v39, v21
	v_mul_f32_e32 v20, v29, v19
	v_mul_f32_e32 v21, v28, v19
	v_fma_f32 v20, v28, v18, -v20
	v_fmac_f32_e32 v21, v29, v18
	v_add_f32_e32 v24, v24, v20
	v_add_f32_e32 v25, v25, v21
	ds_read_b128 v[20:23], v13 offset:1040
	s_waitcnt lgkmcnt(0)
	v_mul_f32_e32 v28, v21, v17
	v_mul_f32_e32 v17, v20, v17
	v_fmac_f32_e32 v17, v21, v16
	v_fma_f32 v28, v20, v16, -v28
	v_add_f32_e32 v27, v27, v17
	v_mul_f32_e32 v16, v21, v19
	v_mul_f32_e32 v17, v20, v19
	v_fma_f32 v16, v20, v18, -v16
	v_fmac_f32_e32 v17, v21, v18
	v_add_f32_e32 v20, v36, v16
	v_add_f32_e32 v21, v37, v17
	ds_read2_b64 v[16:19], v12 offset0:96 offset1:112
	v_add_f32_e32 v26, v26, v28
	s_waitcnt lgkmcnt(0)
	v_mul_f32_e32 v28, v31, v17
	v_mul_f32_e32 v36, v31, v19
	v_fma_f32 v28, v30, v16, -v28
	v_mul_f32_e32 v29, v30, v17
	v_fma_f32 v36, v30, v18, -v36
	v_mul_f32_e32 v30, v30, v19
	v_fmac_f32_e32 v30, v31, v18
	v_add_f32_e32 v25, v25, v30
	v_mul_f32_e32 v30, v23, v17
	v_mul_f32_e32 v17, v22, v17
	v_fmac_f32_e32 v17, v23, v16
	v_fmac_f32_e32 v29, v31, v16
	v_fma_f32 v30, v22, v16, -v30
	v_add_f32_e32 v27, v27, v17
	v_mul_f32_e32 v16, v23, v19
	v_mul_f32_e32 v17, v22, v19
	v_fma_f32 v16, v22, v18, -v16
	v_fmac_f32_e32 v17, v23, v18
	v_add_f32_e32 v26, v26, v30
	v_add_f32_e32 v30, v20, v16
	;; [unrolled: 1-line block ×3, first 2 shown]
	ds_read2_b64 v[16:19], v12 offset0:128 offset1:144
	v_add_f32_e32 v28, v38, v28
	v_add_f32_e32 v29, v39, v29
	;; [unrolled: 1-line block ×3, first 2 shown]
	s_waitcnt lgkmcnt(0)
	v_mul_f32_e32 v20, v33, v17
	v_mul_f32_e32 v21, v32, v17
	v_fma_f32 v20, v32, v16, -v20
	v_fmac_f32_e32 v21, v33, v16
	v_add_f32_e32 v28, v28, v20
	v_add_f32_e32 v29, v29, v21
	v_mul_f32_e32 v20, v33, v19
	v_mul_f32_e32 v21, v32, v19
	v_fma_f32 v20, v32, v18, -v20
	v_fmac_f32_e32 v21, v33, v18
	v_add_f32_e32 v24, v24, v20
	v_add_f32_e32 v25, v25, v21
	ds_read_b128 v[20:23], v13 offset:1056
	s_waitcnt lgkmcnt(0)
	v_mul_f32_e32 v32, v21, v17
	v_mul_f32_e32 v17, v20, v17
	v_fmac_f32_e32 v17, v21, v16
	v_fma_f32 v32, v20, v16, -v32
	v_add_f32_e32 v27, v27, v17
	v_mul_f32_e32 v16, v21, v19
	v_mul_f32_e32 v17, v20, v19
	v_fma_f32 v16, v20, v18, -v16
	v_fmac_f32_e32 v17, v21, v18
	v_add_f32_e32 v20, v30, v16
	v_add_f32_e32 v21, v31, v17
	ds_read2_b64 v[16:19], v12 offset0:160 offset1:176
	v_add_f32_e32 v26, v26, v32
	s_waitcnt lgkmcnt(0)
	v_mul_f32_e32 v30, v35, v17
	v_fma_f32 v30, v34, v16, -v30
	v_add_f32_e32 v28, v28, v30
	v_mul_f32_e32 v30, v35, v19
	v_fma_f32 v30, v34, v18, -v30
	v_mul_f32_e32 v31, v34, v17
	v_add_f32_e32 v24, v24, v30
	v_mul_f32_e32 v30, v23, v17
	v_mul_f32_e32 v17, v22, v17
	v_fmac_f32_e32 v17, v23, v16
	v_fmac_f32_e32 v31, v35, v16
	v_fma_f32 v30, v22, v16, -v30
	v_add_f32_e32 v27, v27, v17
	v_mul_f32_e32 v16, v23, v19
	v_mul_f32_e32 v17, v22, v19
	v_add_f32_e32 v29, v29, v31
	v_mul_f32_e32 v31, v34, v19
	v_fma_f32 v16, v22, v18, -v16
	v_fmac_f32_e32 v17, v23, v18
	v_fmac_f32_e32 v31, v35, v18
	v_add_f32_e32 v20, v20, v16
	v_add_f32_e32 v21, v21, v17
	ds_read2_b64 v[16:19], v12 offset0:192 offset1:208
	v_add_f32_e32 v26, v26, v30
	v_add_f32_e32 v25, v25, v31
	s_waitcnt lgkmcnt(0)
	v_mul_f32_e32 v22, v3, v17
	v_fma_f32 v22, v2, v16, -v22
	v_add_f32_e32 v30, v28, v22
	v_mul_f32_e32 v22, v3, v19
	v_mul_f32_e32 v23, v2, v17
	v_fma_f32 v22, v2, v18, -v22
	v_mul_f32_e32 v2, v2, v19
	v_fmac_f32_e32 v23, v3, v16
	v_fmac_f32_e32 v2, v3, v18
	v_add_f32_e32 v31, v29, v23
	v_add_f32_e32 v3, v24, v22
	;; [unrolled: 1-line block ×3, first 2 shown]
	ds_read_b128 v[22:25], v13 offset:1072
	s_waitcnt lgkmcnt(0)
	v_mul_f32_e32 v28, v23, v17
	v_fma_f32 v28, v22, v16, -v28
	v_mul_f32_e32 v17, v22, v17
	v_fmac_f32_e32 v17, v23, v16
	v_add_f32_e32 v16, v26, v28
	v_mul_f32_e32 v26, v23, v19
	v_fma_f32 v26, v22, v18, -v26
	v_add_f32_e32 v17, v27, v17
	v_add_f32_e32 v32, v20, v26
	ds_read2_b64 v[26:29], v12 offset0:224 offset1:240
	v_mul_f32_e32 v19, v22, v19
	v_fmac_f32_e32 v19, v23, v18
	v_add_f32_e32 v33, v21, v19
	s_waitcnt lgkmcnt(0)
	v_mul_f32_e32 v18, v5, v27
	v_fma_f32 v18, v4, v26, -v18
	v_add_f32_e32 v22, v30, v18
	v_mul_f32_e32 v18, v5, v29
	v_mul_f32_e32 v19, v4, v27
	v_fma_f32 v18, v4, v28, -v18
	v_mul_f32_e32 v4, v4, v29
	v_fmac_f32_e32 v4, v5, v28
	v_add_f32_e32 v20, v3, v18
	v_add_f32_e32 v21, v2, v4
	v_mul_f32_e32 v2, v25, v27
	v_mul_f32_e32 v3, v24, v27
	v_fmac_f32_e32 v19, v5, v26
	v_fma_f32 v2, v24, v26, -v2
	v_fmac_f32_e32 v3, v25, v26
	v_add_f32_e32 v23, v31, v19
	v_add_f32_e32 v18, v16, v2
	;; [unrolled: 1-line block ×3, first 2 shown]
	v_mul_f32_e32 v2, v25, v29
	v_mul_f32_e32 v3, v24, v29
	v_fma_f32 v2, v24, v28, -v2
	v_fmac_f32_e32 v3, v25, v28
	v_add_f32_e32 v17, v32, v2
	v_add_f32_e32 v16, v33, v3
	s_barrier
	s_cbranch_scc0 .LBB191_2
	s_branch .LBB191_4
.LBB191_3:
	v_mov_b32_e32 v22, 0
	v_mov_b32_e32 v23, 0
	;; [unrolled: 1-line block ×8, first 2 shown]
.LBB191_4:
	s_load_dwordx2 s[0:1], s[4:5], 0x58
	s_load_dword s6, s[4:5], 0x50
	v_add_u32_e32 v4, s22, v1
	v_add_u32_e32 v0, s9, v0
	v_cmp_gt_i32_e32 vcc, s10, v4
	s_waitcnt lgkmcnt(0)
	s_mul_i32 s1, s1, s8
	s_mul_hi_u32 s4, s0, s8
	s_add_i32 s1, s4, s1
	v_mad_i64_i32 v[1:2], s[4:5], v4, s6, 0
	s_mul_i32 s0, s0, s8
	s_lshl_b64 s[0:1], s[0:1], 3
	s_add_u32 s7, s20, s0
	v_lshlrev_b64 v[1:2], 3, v[1:2]
	s_addc_u32 s8, s21, s1
	v_mov_b32_e32 v3, s8
	v_add_co_u32_e64 v5, s[0:1], s7, v1
	v_addc_co_u32_e64 v6, s[0:1], v3, v2, s[0:1]
	v_cmp_le_i32_e64 s[0:1], v0, v4
	s_and_b64 s[0:1], vcc, s[0:1]
	s_and_saveexec_b64 s[4:5], s[0:1]
	s_cbranch_execz .LBB191_6
; %bb.5:
	v_ashrrev_i32_e32 v1, 31, v0
	v_lshlrev_b64 v[1:2], 3, v[0:1]
	v_mul_f32_e32 v3, s13, v23
	v_add_co_u32_e64 v1, s[0:1], v5, v1
	v_addc_co_u32_e64 v2, s[0:1], v6, v2, s[0:1]
	global_load_dwordx2 v[7:8], v[1:2], off
	v_mul_f32_e32 v9, s12, v23
	v_fma_f32 v3, v22, s12, -v3
	v_fmac_f32_e32 v9, s13, v22
	s_waitcnt vmcnt(0)
	v_mul_f32_e32 v10, s3, v8
	v_mul_f32_e32 v8, s2, v8
	v_fma_f32 v10, v7, s2, -v10
	v_fmac_f32_e32 v8, s3, v7
	v_add_f32_e32 v7, v3, v10
	v_add_f32_e32 v8, v9, v8
	global_store_dwordx2 v[1:2], v[7:8], off
.LBB191_6:
	s_or_b64 exec, exec, s[4:5]
	v_add_u32_e32 v2, 16, v0
	v_cmp_le_i32_e64 s[0:1], v2, v4
	s_and_b64 s[4:5], vcc, s[0:1]
	s_and_saveexec_b64 s[0:1], s[4:5]
	s_cbranch_execz .LBB191_8
; %bb.7:
	v_ashrrev_i32_e32 v3, 31, v2
	v_lshlrev_b64 v[7:8], 3, v[2:3]
	v_mul_f32_e32 v1, s13, v21
	v_add_co_u32_e32 v5, vcc, v5, v7
	v_addc_co_u32_e32 v6, vcc, v6, v8, vcc
	global_load_dwordx2 v[7:8], v[5:6], off
	v_mul_f32_e32 v3, s12, v21
	v_fma_f32 v1, v20, s12, -v1
	v_fmac_f32_e32 v3, s13, v20
	s_waitcnt vmcnt(0)
	v_mul_f32_e32 v9, s3, v8
	v_mul_f32_e32 v8, s2, v8
	v_fma_f32 v9, v7, s2, -v9
	v_fmac_f32_e32 v8, s3, v7
	v_add_f32_e32 v7, v1, v9
	v_add_f32_e32 v8, v3, v8
	global_store_dwordx2 v[5:6], v[7:8], off
.LBB191_8:
	s_or_b64 exec, exec, s[0:1]
	v_add_u32_e32 v3, 16, v4
	v_mad_i64_i32 v[4:5], s[0:1], v3, s6, 0
	v_mov_b32_e32 v1, s8
	v_cmp_gt_i32_e32 vcc, s10, v3
	v_lshlrev_b64 v[4:5], 3, v[4:5]
	v_add_co_u32_e64 v4, s[0:1], s7, v4
	v_addc_co_u32_e64 v5, s[0:1], v1, v5, s[0:1]
	v_cmp_le_i32_e64 s[0:1], v0, v3
	s_and_b64 s[0:1], vcc, s[0:1]
	s_and_saveexec_b64 s[4:5], s[0:1]
	s_cbranch_execz .LBB191_10
; %bb.9:
	v_ashrrev_i32_e32 v1, 31, v0
	v_lshlrev_b64 v[0:1], 3, v[0:1]
	v_mul_f32_e32 v8, s13, v19
	v_add_co_u32_e64 v0, s[0:1], v4, v0
	v_addc_co_u32_e64 v1, s[0:1], v5, v1, s[0:1]
	global_load_dwordx2 v[6:7], v[0:1], off
	v_mul_f32_e32 v9, s12, v19
	v_fma_f32 v8, v18, s12, -v8
	v_fmac_f32_e32 v9, s13, v18
	s_waitcnt vmcnt(0)
	v_mul_f32_e32 v10, s3, v7
	v_mul_f32_e32 v7, s2, v7
	v_fma_f32 v10, v6, s2, -v10
	v_fmac_f32_e32 v7, s3, v6
	v_add_f32_e32 v6, v8, v10
	v_add_f32_e32 v7, v9, v7
	global_store_dwordx2 v[0:1], v[6:7], off
.LBB191_10:
	s_or_b64 exec, exec, s[4:5]
	v_cmp_le_i32_e64 s[0:1], v2, v3
	s_and_b64 s[0:1], vcc, s[0:1]
	s_and_saveexec_b64 s[4:5], s[0:1]
	s_cbranch_execz .LBB191_12
; %bb.11:
	v_ashrrev_i32_e32 v3, 31, v2
	v_lshlrev_b64 v[0:1], 3, v[2:3]
	v_add_co_u32_e32 v0, vcc, v4, v0
	v_addc_co_u32_e32 v1, vcc, v5, v1, vcc
	global_load_dwordx2 v[2:3], v[0:1], off
	v_mul_f32_e32 v4, s13, v16
	v_mul_f32_e32 v5, s12, v16
	v_fma_f32 v4, v17, s12, -v4
	v_fmac_f32_e32 v5, s13, v17
	s_waitcnt vmcnt(0)
	v_mul_f32_e32 v6, s3, v3
	v_mul_f32_e32 v3, s2, v3
	v_fma_f32 v6, v2, s2, -v6
	v_fmac_f32_e32 v3, s3, v2
	v_add_f32_e32 v2, v4, v6
	v_add_f32_e32 v3, v5, v3
	global_store_dwordx2 v[0:1], v[2:3], off
.LBB191_12:
	s_endpgm
	.section	.rodata,"a",@progbits
	.p2align	6, 0x0
	.amdhsa_kernel _ZL37rocblas_syrkx_herkx_restricted_kernelIi19rocblas_complex_numIfELi16ELi32ELi8ELb0ELb0ELc78ELc85EKS1_S1_EviT_T0_PT8_S3_lS6_S3_lS4_PT9_S3_li
		.amdhsa_group_segment_fixed_size 4096
		.amdhsa_private_segment_fixed_size 0
		.amdhsa_kernarg_size 100
		.amdhsa_user_sgpr_count 6
		.amdhsa_user_sgpr_private_segment_buffer 1
		.amdhsa_user_sgpr_dispatch_ptr 0
		.amdhsa_user_sgpr_queue_ptr 0
		.amdhsa_user_sgpr_kernarg_segment_ptr 1
		.amdhsa_user_sgpr_dispatch_id 0
		.amdhsa_user_sgpr_flat_scratch_init 0
		.amdhsa_user_sgpr_private_segment_size 0
		.amdhsa_uses_dynamic_stack 0
		.amdhsa_system_sgpr_private_segment_wavefront_offset 0
		.amdhsa_system_sgpr_workgroup_id_x 1
		.amdhsa_system_sgpr_workgroup_id_y 1
		.amdhsa_system_sgpr_workgroup_id_z 1
		.amdhsa_system_sgpr_workgroup_info 0
		.amdhsa_system_vgpr_workitem_id 1
		.amdhsa_next_free_vgpr 43
		.amdhsa_next_free_sgpr 29
		.amdhsa_reserve_vcc 1
		.amdhsa_reserve_flat_scratch 0
		.amdhsa_float_round_mode_32 0
		.amdhsa_float_round_mode_16_64 0
		.amdhsa_float_denorm_mode_32 3
		.amdhsa_float_denorm_mode_16_64 3
		.amdhsa_dx10_clamp 1
		.amdhsa_ieee_mode 1
		.amdhsa_fp16_overflow 0
		.amdhsa_exception_fp_ieee_invalid_op 0
		.amdhsa_exception_fp_denorm_src 0
		.amdhsa_exception_fp_ieee_div_zero 0
		.amdhsa_exception_fp_ieee_overflow 0
		.amdhsa_exception_fp_ieee_underflow 0
		.amdhsa_exception_fp_ieee_inexact 0
		.amdhsa_exception_int_div_zero 0
	.end_amdhsa_kernel
	.section	.text._ZL37rocblas_syrkx_herkx_restricted_kernelIi19rocblas_complex_numIfELi16ELi32ELi8ELb0ELb0ELc78ELc85EKS1_S1_EviT_T0_PT8_S3_lS6_S3_lS4_PT9_S3_li,"axG",@progbits,_ZL37rocblas_syrkx_herkx_restricted_kernelIi19rocblas_complex_numIfELi16ELi32ELi8ELb0ELb0ELc78ELc85EKS1_S1_EviT_T0_PT8_S3_lS6_S3_lS4_PT9_S3_li,comdat
.Lfunc_end191:
	.size	_ZL37rocblas_syrkx_herkx_restricted_kernelIi19rocblas_complex_numIfELi16ELi32ELi8ELb0ELb0ELc78ELc85EKS1_S1_EviT_T0_PT8_S3_lS6_S3_lS4_PT9_S3_li, .Lfunc_end191-_ZL37rocblas_syrkx_herkx_restricted_kernelIi19rocblas_complex_numIfELi16ELi32ELi8ELb0ELb0ELc78ELc85EKS1_S1_EviT_T0_PT8_S3_lS6_S3_lS4_PT9_S3_li
                                        ; -- End function
	.set _ZL37rocblas_syrkx_herkx_restricted_kernelIi19rocblas_complex_numIfELi16ELi32ELi8ELb0ELb0ELc78ELc85EKS1_S1_EviT_T0_PT8_S3_lS6_S3_lS4_PT9_S3_li.num_vgpr, 43
	.set _ZL37rocblas_syrkx_herkx_restricted_kernelIi19rocblas_complex_numIfELi16ELi32ELi8ELb0ELb0ELc78ELc85EKS1_S1_EviT_T0_PT8_S3_lS6_S3_lS4_PT9_S3_li.num_agpr, 0
	.set _ZL37rocblas_syrkx_herkx_restricted_kernelIi19rocblas_complex_numIfELi16ELi32ELi8ELb0ELb0ELc78ELc85EKS1_S1_EviT_T0_PT8_S3_lS6_S3_lS4_PT9_S3_li.numbered_sgpr, 29
	.set _ZL37rocblas_syrkx_herkx_restricted_kernelIi19rocblas_complex_numIfELi16ELi32ELi8ELb0ELb0ELc78ELc85EKS1_S1_EviT_T0_PT8_S3_lS6_S3_lS4_PT9_S3_li.num_named_barrier, 0
	.set _ZL37rocblas_syrkx_herkx_restricted_kernelIi19rocblas_complex_numIfELi16ELi32ELi8ELb0ELb0ELc78ELc85EKS1_S1_EviT_T0_PT8_S3_lS6_S3_lS4_PT9_S3_li.private_seg_size, 0
	.set _ZL37rocblas_syrkx_herkx_restricted_kernelIi19rocblas_complex_numIfELi16ELi32ELi8ELb0ELb0ELc78ELc85EKS1_S1_EviT_T0_PT8_S3_lS6_S3_lS4_PT9_S3_li.uses_vcc, 1
	.set _ZL37rocblas_syrkx_herkx_restricted_kernelIi19rocblas_complex_numIfELi16ELi32ELi8ELb0ELb0ELc78ELc85EKS1_S1_EviT_T0_PT8_S3_lS6_S3_lS4_PT9_S3_li.uses_flat_scratch, 0
	.set _ZL37rocblas_syrkx_herkx_restricted_kernelIi19rocblas_complex_numIfELi16ELi32ELi8ELb0ELb0ELc78ELc85EKS1_S1_EviT_T0_PT8_S3_lS6_S3_lS4_PT9_S3_li.has_dyn_sized_stack, 0
	.set _ZL37rocblas_syrkx_herkx_restricted_kernelIi19rocblas_complex_numIfELi16ELi32ELi8ELb0ELb0ELc78ELc85EKS1_S1_EviT_T0_PT8_S3_lS6_S3_lS4_PT9_S3_li.has_recursion, 0
	.set _ZL37rocblas_syrkx_herkx_restricted_kernelIi19rocblas_complex_numIfELi16ELi32ELi8ELb0ELb0ELc78ELc85EKS1_S1_EviT_T0_PT8_S3_lS6_S3_lS4_PT9_S3_li.has_indirect_call, 0
	.section	.AMDGPU.csdata,"",@progbits
; Kernel info:
; codeLenInByte = 2156
; TotalNumSgprs: 33
; NumVgprs: 43
; ScratchSize: 0
; MemoryBound: 0
; FloatMode: 240
; IeeeMode: 1
; LDSByteSize: 4096 bytes/workgroup (compile time only)
; SGPRBlocks: 4
; VGPRBlocks: 10
; NumSGPRsForWavesPerEU: 33
; NumVGPRsForWavesPerEU: 43
; Occupancy: 5
; WaveLimiterHint : 0
; COMPUTE_PGM_RSRC2:SCRATCH_EN: 0
; COMPUTE_PGM_RSRC2:USER_SGPR: 6
; COMPUTE_PGM_RSRC2:TRAP_HANDLER: 0
; COMPUTE_PGM_RSRC2:TGID_X_EN: 1
; COMPUTE_PGM_RSRC2:TGID_Y_EN: 1
; COMPUTE_PGM_RSRC2:TGID_Z_EN: 1
; COMPUTE_PGM_RSRC2:TIDIG_COMP_CNT: 1
	.section	.text._ZL41rocblas_syrkx_herkx_small_restrict_kernelIi19rocblas_complex_numIfELi16ELb1ELb0ELc84ELc76EKS1_S1_EviT_T0_PT6_S3_lS6_S3_lS4_PT7_S3_li,"axG",@progbits,_ZL41rocblas_syrkx_herkx_small_restrict_kernelIi19rocblas_complex_numIfELi16ELb1ELb0ELc84ELc76EKS1_S1_EviT_T0_PT6_S3_lS6_S3_lS4_PT7_S3_li,comdat
	.globl	_ZL41rocblas_syrkx_herkx_small_restrict_kernelIi19rocblas_complex_numIfELi16ELb1ELb0ELc84ELc76EKS1_S1_EviT_T0_PT6_S3_lS6_S3_lS4_PT7_S3_li ; -- Begin function _ZL41rocblas_syrkx_herkx_small_restrict_kernelIi19rocblas_complex_numIfELi16ELb1ELb0ELc84ELc76EKS1_S1_EviT_T0_PT6_S3_lS6_S3_lS4_PT7_S3_li
	.p2align	8
	.type	_ZL41rocblas_syrkx_herkx_small_restrict_kernelIi19rocblas_complex_numIfELi16ELb1ELb0ELc84ELc76EKS1_S1_EviT_T0_PT6_S3_lS6_S3_lS4_PT7_S3_li,@function
_ZL41rocblas_syrkx_herkx_small_restrict_kernelIi19rocblas_complex_numIfELi16ELb1ELb0ELc84ELc76EKS1_S1_EviT_T0_PT6_S3_lS6_S3_lS4_PT7_S3_li: ; @_ZL41rocblas_syrkx_herkx_small_restrict_kernelIi19rocblas_complex_numIfELi16ELb1ELb0ELc84ELc76EKS1_S1_EviT_T0_PT6_S3_lS6_S3_lS4_PT7_S3_li
; %bb.0:
	s_load_dword s9, s[4:5], 0x4
	s_load_dwordx4 s[0:3], s[4:5], 0x8
	s_mov_b32 s10, 0
	v_lshl_add_u32 v2, s6, 4, v0
	v_lshl_add_u32 v5, s7, 4, v1
	s_waitcnt lgkmcnt(0)
	s_cmp_lt_i32 s9, 1
	s_cbranch_scc1 .LBB192_6
; %bb.1:
	s_load_dword s11, s[4:5], 0x18
	s_load_dwordx4 s[12:15], s[4:5], 0x20
	s_load_dword s16, s[4:5], 0x30
	s_load_dwordx2 s[6:7], s[4:5], 0x38
	v_lshlrev_b32_e32 v6, 3, v0
	v_lshlrev_b32_e32 v8, 7, v1
	v_lshlrev_b32_e32 v1, 3, v1
	s_waitcnt lgkmcnt(0)
	v_mad_i64_i32 v[3:4], s[16:17], s16, v5, 0
	s_mul_i32 s7, s7, s8
	s_mul_hi_u32 s16, s6, s8
	v_lshlrev_b64 v[3:4], 3, v[3:4]
	s_add_i32 s7, s16, s7
	s_mul_i32 s6, s6, s8
	s_lshl_b64 s[6:7], s[6:7], 3
	v_mov_b32_e32 v0, s7
	v_add_co_u32_e32 v3, vcc, s6, v3
	v_mad_i64_i32 v[11:12], s[6:7], s11, v2, 0
	v_addc_co_u32_e32 v0, vcc, v4, v0, vcc
	v_add_co_u32_e32 v3, vcc, v3, v6
	v_addc_co_u32_e32 v0, vcc, 0, v0, vcc
	s_mul_i32 s6, s13, s8
	s_mul_hi_u32 s7, s12, s8
	v_mov_b32_e32 v4, s15
	v_add_co_u32_e32 v3, vcc, s14, v3
	v_lshlrev_b64 v[11:12], 3, v[11:12]
	s_add_i32 s7, s7, s6
	s_mul_i32 s6, s12, s8
	v_addc_co_u32_e32 v4, vcc, v4, v0, vcc
	s_lshl_b64 s[6:7], s[6:7], 3
	v_mov_b32_e32 v0, s7
	v_add_co_u32_e32 v11, vcc, s6, v11
	v_addc_co_u32_e32 v0, vcc, v12, v0, vcc
	v_add_co_u32_e32 v1, vcc, v11, v1
	v_addc_co_u32_e32 v11, vcc, 0, v0, vcc
	v_add_u32_e32 v7, v6, v8
	v_add_u32_e32 v8, 0x800, v8
	v_mov_b32_e32 v12, s3
	v_add_co_u32_e32 v0, vcc, s2, v1
	v_add_u32_e32 v9, v8, v6
	v_mov_b32_e32 v10, 0
	v_addc_co_u32_e32 v1, vcc, v12, v11, vcc
	v_mov_b32_e32 v11, 0
.LBB192_2:                              ; =>This Inner Loop Header: Depth=1
	global_load_dwordx2 v[12:13], v[0:1], off
	s_add_i32 s10, s10, 16
	s_cmp_lt_i32 s10, s9
	s_waitcnt vmcnt(0)
	ds_write_b64 v7, v[12:13]
	global_load_dwordx2 v[12:13], v[3:4], off
	v_add_co_u32_e32 v3, vcc, 0x80, v3
	v_addc_co_u32_e32 v4, vcc, 0, v4, vcc
	v_add_co_u32_e32 v0, vcc, 0x80, v0
	v_addc_co_u32_e32 v1, vcc, 0, v1, vcc
	s_waitcnt vmcnt(0)
	ds_write_b64 v9, v[12:13]
	s_waitcnt lgkmcnt(0)
	s_barrier
	ds_read2_b64 v[12:15], v6 offset1:16
	ds_read_b128 v[16:19], v8
	ds_read_b128 v[20:23], v8 offset:16
	ds_read_b128 v[24:27], v8 offset:32
	;; [unrolled: 1-line block ×3, first 2 shown]
	s_waitcnt lgkmcnt(3)
	v_mul_f32_e32 v32, v17, v13
	v_mul_f32_e32 v13, v16, v13
	v_fmac_f32_e32 v13, v17, v12
	v_fma_f32 v32, v16, v12, -v32
	v_add_f32_e32 v10, v10, v13
	v_mul_f32_e32 v12, v19, v15
	v_mul_f32_e32 v13, v18, v15
	v_add_f32_e32 v11, v11, v32
	v_fma_f32 v12, v18, v14, -v12
	v_fmac_f32_e32 v13, v19, v14
	v_add_f32_e32 v14, v11, v12
	v_add_f32_e32 v15, v10, v13
	ds_read2_b64 v[10:13], v6 offset0:32 offset1:48
	s_waitcnt lgkmcnt(0)
	v_mul_f32_e32 v16, v21, v11
	v_fma_f32 v16, v20, v10, -v16
	v_mul_f32_e32 v11, v20, v11
	v_fmac_f32_e32 v11, v21, v10
	v_add_f32_e32 v10, v14, v16
	v_mul_f32_e32 v14, v23, v13
	v_mul_f32_e32 v13, v22, v13
	v_add_f32_e32 v11, v15, v11
	v_fma_f32 v14, v22, v12, -v14
	v_fmac_f32_e32 v13, v23, v12
	v_add_f32_e32 v14, v10, v14
	v_add_f32_e32 v15, v11, v13
	ds_read2_b64 v[10:13], v6 offset0:64 offset1:80
	s_waitcnt lgkmcnt(0)
	v_mul_f32_e32 v16, v25, v11
	v_fma_f32 v16, v24, v10, -v16
	v_mul_f32_e32 v11, v24, v11
	v_fmac_f32_e32 v11, v25, v10
	;; [unrolled: 14-line block ×3, first 2 shown]
	v_add_f32_e32 v10, v14, v16
	v_mul_f32_e32 v14, v31, v13
	v_mul_f32_e32 v13, v30, v13
	v_add_f32_e32 v11, v15, v11
	v_fma_f32 v14, v30, v12, -v14
	v_fmac_f32_e32 v13, v31, v12
	v_add_f32_e32 v18, v10, v14
	v_add_f32_e32 v19, v11, v13
	ds_read2_b64 v[10:13], v6 offset0:128 offset1:144
	ds_read_b128 v[14:17], v8 offset:64
	s_waitcnt lgkmcnt(0)
	v_mul_f32_e32 v20, v15, v11
	v_mul_f32_e32 v11, v14, v11
	v_fma_f32 v20, v14, v10, -v20
	v_fmac_f32_e32 v11, v15, v10
	v_mul_f32_e32 v14, v17, v13
	v_mul_f32_e32 v13, v16, v13
	v_add_f32_e32 v10, v18, v20
	v_add_f32_e32 v11, v19, v11
	v_fma_f32 v14, v16, v12, -v14
	v_fmac_f32_e32 v13, v17, v12
	v_add_f32_e32 v18, v10, v14
	v_add_f32_e32 v19, v11, v13
	ds_read2_b64 v[10:13], v6 offset0:160 offset1:176
	ds_read_b128 v[14:17], v8 offset:80
	s_waitcnt lgkmcnt(0)
	v_mul_f32_e32 v20, v15, v11
	v_mul_f32_e32 v11, v14, v11
	v_fma_f32 v20, v14, v10, -v20
	v_fmac_f32_e32 v11, v15, v10
	v_mul_f32_e32 v14, v17, v13
	v_mul_f32_e32 v13, v16, v13
	v_add_f32_e32 v10, v18, v20
	;; [unrolled: 15-line block ×3, first 2 shown]
	v_add_f32_e32 v11, v19, v11
	v_fma_f32 v14, v16, v12, -v14
	v_fmac_f32_e32 v13, v17, v12
	v_add_f32_e32 v18, v10, v14
	v_add_f32_e32 v19, v11, v13
	ds_read2_b64 v[10:13], v6 offset0:224 offset1:240
	ds_read_b128 v[14:17], v8 offset:112
	s_waitcnt lgkmcnt(0)
	s_barrier
	v_mul_f32_e32 v20, v15, v11
	v_mul_f32_e32 v11, v14, v11
	v_fmac_f32_e32 v11, v15, v10
	v_fma_f32 v20, v14, v10, -v20
	v_add_f32_e32 v14, v19, v11
	v_mul_f32_e32 v11, v17, v13
	v_mul_f32_e32 v13, v16, v13
	v_add_f32_e32 v10, v18, v20
	v_fma_f32 v11, v16, v12, -v11
	v_fmac_f32_e32 v13, v17, v12
	v_add_f32_e32 v11, v10, v11
	v_add_f32_e32 v10, v14, v13
	s_cbranch_scc1 .LBB192_2
; %bb.3:
	v_cmp_le_i32_e32 vcc, v5, v2
	s_and_saveexec_b64 s[2:3], vcc
	s_cbranch_execz .LBB192_5
.LBB192_4:
	s_load_dwordx2 s[2:3], s[4:5], 0x58
	s_load_dwordx2 s[6:7], s[4:5], 0x48
	s_load_dword s9, s[4:5], 0x50
	v_ashrrev_i32_e32 v3, 31, v2
	v_lshlrev_b64 v[2:3], 3, v[2:3]
	s_waitcnt lgkmcnt(0)
	s_mul_i32 s3, s3, s8
	s_mul_hi_u32 s4, s2, s8
	s_mul_i32 s2, s2, s8
	s_add_i32 s3, s4, s3
	s_lshl_b64 s[2:3], s[2:3], 3
	s_add_u32 s4, s6, s2
	s_addc_u32 s5, s7, s3
	v_mad_i64_i32 v[4:5], s[2:3], s9, v5, 0
	v_mov_b32_e32 v6, s5
	v_mul_f32_e32 v0, s1, v10
	v_lshlrev_b64 v[4:5], 3, v[4:5]
	v_mul_f32_e32 v1, s0, v10
	v_add_co_u32_e32 v4, vcc, s4, v4
	v_addc_co_u32_e32 v5, vcc, v6, v5, vcc
	v_add_co_u32_e32 v2, vcc, v4, v2
	v_fma_f32 v0, v11, s0, -v0
	v_fmac_f32_e32 v1, s1, v11
	v_addc_co_u32_e32 v3, vcc, v5, v3, vcc
	global_store_dwordx2 v[2:3], v[0:1], off
.LBB192_5:
	s_endpgm
.LBB192_6:
	v_mov_b32_e32 v10, 0
	v_mov_b32_e32 v11, 0
	v_cmp_le_i32_e32 vcc, v5, v2
	s_and_saveexec_b64 s[2:3], vcc
	s_cbranch_execnz .LBB192_4
	s_branch .LBB192_5
	.section	.rodata,"a",@progbits
	.p2align	6, 0x0
	.amdhsa_kernel _ZL41rocblas_syrkx_herkx_small_restrict_kernelIi19rocblas_complex_numIfELi16ELb1ELb0ELc84ELc76EKS1_S1_EviT_T0_PT6_S3_lS6_S3_lS4_PT7_S3_li
		.amdhsa_group_segment_fixed_size 4096
		.amdhsa_private_segment_fixed_size 0
		.amdhsa_kernarg_size 100
		.amdhsa_user_sgpr_count 6
		.amdhsa_user_sgpr_private_segment_buffer 1
		.amdhsa_user_sgpr_dispatch_ptr 0
		.amdhsa_user_sgpr_queue_ptr 0
		.amdhsa_user_sgpr_kernarg_segment_ptr 1
		.amdhsa_user_sgpr_dispatch_id 0
		.amdhsa_user_sgpr_flat_scratch_init 0
		.amdhsa_user_sgpr_private_segment_size 0
		.amdhsa_uses_dynamic_stack 0
		.amdhsa_system_sgpr_private_segment_wavefront_offset 0
		.amdhsa_system_sgpr_workgroup_id_x 1
		.amdhsa_system_sgpr_workgroup_id_y 1
		.amdhsa_system_sgpr_workgroup_id_z 1
		.amdhsa_system_sgpr_workgroup_info 0
		.amdhsa_system_vgpr_workitem_id 1
		.amdhsa_next_free_vgpr 33
		.amdhsa_next_free_sgpr 18
		.amdhsa_reserve_vcc 1
		.amdhsa_reserve_flat_scratch 0
		.amdhsa_float_round_mode_32 0
		.amdhsa_float_round_mode_16_64 0
		.amdhsa_float_denorm_mode_32 3
		.amdhsa_float_denorm_mode_16_64 3
		.amdhsa_dx10_clamp 1
		.amdhsa_ieee_mode 1
		.amdhsa_fp16_overflow 0
		.amdhsa_exception_fp_ieee_invalid_op 0
		.amdhsa_exception_fp_denorm_src 0
		.amdhsa_exception_fp_ieee_div_zero 0
		.amdhsa_exception_fp_ieee_overflow 0
		.amdhsa_exception_fp_ieee_underflow 0
		.amdhsa_exception_fp_ieee_inexact 0
		.amdhsa_exception_int_div_zero 0
	.end_amdhsa_kernel
	.section	.text._ZL41rocblas_syrkx_herkx_small_restrict_kernelIi19rocblas_complex_numIfELi16ELb1ELb0ELc84ELc76EKS1_S1_EviT_T0_PT6_S3_lS6_S3_lS4_PT7_S3_li,"axG",@progbits,_ZL41rocblas_syrkx_herkx_small_restrict_kernelIi19rocblas_complex_numIfELi16ELb1ELb0ELc84ELc76EKS1_S1_EviT_T0_PT6_S3_lS6_S3_lS4_PT7_S3_li,comdat
.Lfunc_end192:
	.size	_ZL41rocblas_syrkx_herkx_small_restrict_kernelIi19rocblas_complex_numIfELi16ELb1ELb0ELc84ELc76EKS1_S1_EviT_T0_PT6_S3_lS6_S3_lS4_PT7_S3_li, .Lfunc_end192-_ZL41rocblas_syrkx_herkx_small_restrict_kernelIi19rocblas_complex_numIfELi16ELb1ELb0ELc84ELc76EKS1_S1_EviT_T0_PT6_S3_lS6_S3_lS4_PT7_S3_li
                                        ; -- End function
	.set _ZL41rocblas_syrkx_herkx_small_restrict_kernelIi19rocblas_complex_numIfELi16ELb1ELb0ELc84ELc76EKS1_S1_EviT_T0_PT6_S3_lS6_S3_lS4_PT7_S3_li.num_vgpr, 33
	.set _ZL41rocblas_syrkx_herkx_small_restrict_kernelIi19rocblas_complex_numIfELi16ELb1ELb0ELc84ELc76EKS1_S1_EviT_T0_PT6_S3_lS6_S3_lS4_PT7_S3_li.num_agpr, 0
	.set _ZL41rocblas_syrkx_herkx_small_restrict_kernelIi19rocblas_complex_numIfELi16ELb1ELb0ELc84ELc76EKS1_S1_EviT_T0_PT6_S3_lS6_S3_lS4_PT7_S3_li.numbered_sgpr, 18
	.set _ZL41rocblas_syrkx_herkx_small_restrict_kernelIi19rocblas_complex_numIfELi16ELb1ELb0ELc84ELc76EKS1_S1_EviT_T0_PT6_S3_lS6_S3_lS4_PT7_S3_li.num_named_barrier, 0
	.set _ZL41rocblas_syrkx_herkx_small_restrict_kernelIi19rocblas_complex_numIfELi16ELb1ELb0ELc84ELc76EKS1_S1_EviT_T0_PT6_S3_lS6_S3_lS4_PT7_S3_li.private_seg_size, 0
	.set _ZL41rocblas_syrkx_herkx_small_restrict_kernelIi19rocblas_complex_numIfELi16ELb1ELb0ELc84ELc76EKS1_S1_EviT_T0_PT6_S3_lS6_S3_lS4_PT7_S3_li.uses_vcc, 1
	.set _ZL41rocblas_syrkx_herkx_small_restrict_kernelIi19rocblas_complex_numIfELi16ELb1ELb0ELc84ELc76EKS1_S1_EviT_T0_PT6_S3_lS6_S3_lS4_PT7_S3_li.uses_flat_scratch, 0
	.set _ZL41rocblas_syrkx_herkx_small_restrict_kernelIi19rocblas_complex_numIfELi16ELb1ELb0ELc84ELc76EKS1_S1_EviT_T0_PT6_S3_lS6_S3_lS4_PT7_S3_li.has_dyn_sized_stack, 0
	.set _ZL41rocblas_syrkx_herkx_small_restrict_kernelIi19rocblas_complex_numIfELi16ELb1ELb0ELc84ELc76EKS1_S1_EviT_T0_PT6_S3_lS6_S3_lS4_PT7_S3_li.has_recursion, 0
	.set _ZL41rocblas_syrkx_herkx_small_restrict_kernelIi19rocblas_complex_numIfELi16ELb1ELb0ELc84ELc76EKS1_S1_EviT_T0_PT6_S3_lS6_S3_lS4_PT7_S3_li.has_indirect_call, 0
	.section	.AMDGPU.csdata,"",@progbits
; Kernel info:
; codeLenInByte = 1124
; TotalNumSgprs: 22
; NumVgprs: 33
; ScratchSize: 0
; MemoryBound: 0
; FloatMode: 240
; IeeeMode: 1
; LDSByteSize: 4096 bytes/workgroup (compile time only)
; SGPRBlocks: 2
; VGPRBlocks: 8
; NumSGPRsForWavesPerEU: 22
; NumVGPRsForWavesPerEU: 33
; Occupancy: 7
; WaveLimiterHint : 0
; COMPUTE_PGM_RSRC2:SCRATCH_EN: 0
; COMPUTE_PGM_RSRC2:USER_SGPR: 6
; COMPUTE_PGM_RSRC2:TRAP_HANDLER: 0
; COMPUTE_PGM_RSRC2:TGID_X_EN: 1
; COMPUTE_PGM_RSRC2:TGID_Y_EN: 1
; COMPUTE_PGM_RSRC2:TGID_Z_EN: 1
; COMPUTE_PGM_RSRC2:TIDIG_COMP_CNT: 1
	.section	.text._ZL41rocblas_syrkx_herkx_small_restrict_kernelIi19rocblas_complex_numIfELi16ELb1ELb0ELc67ELc76EKS1_S1_EviT_T0_PT6_S3_lS6_S3_lS4_PT7_S3_li,"axG",@progbits,_ZL41rocblas_syrkx_herkx_small_restrict_kernelIi19rocblas_complex_numIfELi16ELb1ELb0ELc67ELc76EKS1_S1_EviT_T0_PT6_S3_lS6_S3_lS4_PT7_S3_li,comdat
	.globl	_ZL41rocblas_syrkx_herkx_small_restrict_kernelIi19rocblas_complex_numIfELi16ELb1ELb0ELc67ELc76EKS1_S1_EviT_T0_PT6_S3_lS6_S3_lS4_PT7_S3_li ; -- Begin function _ZL41rocblas_syrkx_herkx_small_restrict_kernelIi19rocblas_complex_numIfELi16ELb1ELb0ELc67ELc76EKS1_S1_EviT_T0_PT6_S3_lS6_S3_lS4_PT7_S3_li
	.p2align	8
	.type	_ZL41rocblas_syrkx_herkx_small_restrict_kernelIi19rocblas_complex_numIfELi16ELb1ELb0ELc67ELc76EKS1_S1_EviT_T0_PT6_S3_lS6_S3_lS4_PT7_S3_li,@function
_ZL41rocblas_syrkx_herkx_small_restrict_kernelIi19rocblas_complex_numIfELi16ELb1ELb0ELc67ELc76EKS1_S1_EviT_T0_PT6_S3_lS6_S3_lS4_PT7_S3_li: ; @_ZL41rocblas_syrkx_herkx_small_restrict_kernelIi19rocblas_complex_numIfELi16ELb1ELb0ELc67ELc76EKS1_S1_EviT_T0_PT6_S3_lS6_S3_lS4_PT7_S3_li
; %bb.0:
	s_load_dword s9, s[4:5], 0x4
	s_load_dwordx4 s[0:3], s[4:5], 0x8
	s_mov_b32 s10, 0
	v_lshl_add_u32 v2, s6, 4, v0
	v_lshl_add_u32 v5, s7, 4, v1
	s_waitcnt lgkmcnt(0)
	s_cmp_lt_i32 s9, 1
	s_cbranch_scc1 .LBB193_6
; %bb.1:
	s_load_dword s11, s[4:5], 0x18
	s_load_dwordx4 s[12:15], s[4:5], 0x20
	s_load_dword s16, s[4:5], 0x30
	s_load_dwordx2 s[6:7], s[4:5], 0x38
	v_lshlrev_b32_e32 v6, 3, v0
	v_lshlrev_b32_e32 v8, 7, v1
	;; [unrolled: 1-line block ×3, first 2 shown]
	s_waitcnt lgkmcnt(0)
	v_mad_i64_i32 v[3:4], s[16:17], s16, v5, 0
	s_mul_i32 s7, s7, s8
	s_mul_hi_u32 s16, s6, s8
	v_lshlrev_b64 v[3:4], 3, v[3:4]
	s_add_i32 s7, s16, s7
	s_mul_i32 s6, s6, s8
	s_lshl_b64 s[6:7], s[6:7], 3
	v_mov_b32_e32 v0, s7
	v_add_co_u32_e32 v3, vcc, s6, v3
	v_mad_i64_i32 v[11:12], s[6:7], s11, v2, 0
	v_addc_co_u32_e32 v0, vcc, v4, v0, vcc
	v_add_co_u32_e32 v3, vcc, v3, v6
	v_addc_co_u32_e32 v0, vcc, 0, v0, vcc
	s_mul_i32 s6, s13, s8
	s_mul_hi_u32 s7, s12, s8
	v_mov_b32_e32 v4, s15
	v_add_co_u32_e32 v3, vcc, s14, v3
	v_lshlrev_b64 v[11:12], 3, v[11:12]
	s_add_i32 s7, s7, s6
	s_mul_i32 s6, s12, s8
	v_addc_co_u32_e32 v4, vcc, v4, v0, vcc
	s_lshl_b64 s[6:7], s[6:7], 3
	v_mov_b32_e32 v0, s7
	v_add_co_u32_e32 v11, vcc, s6, v11
	v_addc_co_u32_e32 v0, vcc, v12, v0, vcc
	v_add_co_u32_e32 v1, vcc, v11, v1
	v_addc_co_u32_e32 v0, vcc, 0, v0, vcc
	v_mov_b32_e32 v11, s3
	v_add_co_u32_e32 v1, vcc, s2, v1
	v_addc_co_u32_e32 v11, vcc, v11, v0, vcc
	v_add_u32_e32 v7, v6, v8
	v_add_u32_e32 v8, 0x800, v8
	v_add_co_u32_e32 v0, vcc, 4, v1
	v_add_u32_e32 v9, v8, v6
	v_mov_b32_e32 v10, 0
	v_addc_co_u32_e32 v1, vcc, 0, v11, vcc
	v_mov_b32_e32 v11, 0
.LBB193_2:                              ; =>This Inner Loop Header: Depth=1
	global_load_dwordx2 v[12:13], v[0:1], off offset:-4
	s_add_i32 s10, s10, 16
	s_cmp_lt_i32 s10, s9
	s_waitcnt vmcnt(0)
	ds_write_b64 v7, v[12:13]
	global_load_dwordx2 v[12:13], v[3:4], off
	v_add_co_u32_e32 v3, vcc, 0x80, v3
	v_addc_co_u32_e32 v4, vcc, 0, v4, vcc
	v_add_co_u32_e32 v0, vcc, 0x80, v0
	v_addc_co_u32_e32 v1, vcc, 0, v1, vcc
	s_waitcnt vmcnt(0)
	ds_write_b64 v9, v[12:13]
	s_waitcnt lgkmcnt(0)
	s_barrier
	ds_read2_b64 v[12:15], v6 offset1:16
	ds_read_b128 v[16:19], v8
	ds_read_b128 v[20:23], v8 offset:16
	ds_read_b128 v[24:27], v8 offset:32
	;; [unrolled: 1-line block ×3, first 2 shown]
	s_waitcnt lgkmcnt(3)
	v_mul_f32_e32 v32, v17, v13
	v_mul_f32_e32 v13, v16, v13
	v_fmac_f32_e32 v13, v17, v12
	v_fma_f32 v32, v16, v12, -v32
	v_add_f32_e32 v10, v10, v13
	v_mul_f32_e32 v12, v19, v15
	v_mul_f32_e32 v13, v18, v15
	v_add_f32_e32 v11, v11, v32
	v_fma_f32 v12, v18, v14, -v12
	v_fmac_f32_e32 v13, v19, v14
	v_add_f32_e32 v14, v11, v12
	v_add_f32_e32 v15, v10, v13
	ds_read2_b64 v[10:13], v6 offset0:32 offset1:48
	s_waitcnt lgkmcnt(0)
	v_mul_f32_e32 v16, v21, v11
	v_fma_f32 v16, v20, v10, -v16
	v_mul_f32_e32 v11, v20, v11
	v_fmac_f32_e32 v11, v21, v10
	v_add_f32_e32 v10, v14, v16
	v_mul_f32_e32 v14, v23, v13
	v_mul_f32_e32 v13, v22, v13
	v_add_f32_e32 v11, v15, v11
	v_fma_f32 v14, v22, v12, -v14
	v_fmac_f32_e32 v13, v23, v12
	v_add_f32_e32 v14, v10, v14
	v_add_f32_e32 v15, v11, v13
	ds_read2_b64 v[10:13], v6 offset0:64 offset1:80
	s_waitcnt lgkmcnt(0)
	v_mul_f32_e32 v16, v25, v11
	v_fma_f32 v16, v24, v10, -v16
	v_mul_f32_e32 v11, v24, v11
	v_fmac_f32_e32 v11, v25, v10
	;; [unrolled: 14-line block ×3, first 2 shown]
	v_add_f32_e32 v10, v14, v16
	v_mul_f32_e32 v14, v31, v13
	v_mul_f32_e32 v13, v30, v13
	v_add_f32_e32 v11, v15, v11
	v_fma_f32 v14, v30, v12, -v14
	v_fmac_f32_e32 v13, v31, v12
	v_add_f32_e32 v18, v10, v14
	v_add_f32_e32 v19, v11, v13
	ds_read2_b64 v[10:13], v6 offset0:128 offset1:144
	ds_read_b128 v[14:17], v8 offset:64
	s_waitcnt lgkmcnt(0)
	v_mul_f32_e32 v20, v15, v11
	v_mul_f32_e32 v11, v14, v11
	v_fma_f32 v20, v14, v10, -v20
	v_fmac_f32_e32 v11, v15, v10
	v_mul_f32_e32 v14, v17, v13
	v_mul_f32_e32 v13, v16, v13
	v_add_f32_e32 v10, v18, v20
	v_add_f32_e32 v11, v19, v11
	v_fma_f32 v14, v16, v12, -v14
	v_fmac_f32_e32 v13, v17, v12
	v_add_f32_e32 v18, v10, v14
	v_add_f32_e32 v19, v11, v13
	ds_read2_b64 v[10:13], v6 offset0:160 offset1:176
	ds_read_b128 v[14:17], v8 offset:80
	s_waitcnt lgkmcnt(0)
	v_mul_f32_e32 v20, v15, v11
	v_mul_f32_e32 v11, v14, v11
	v_fma_f32 v20, v14, v10, -v20
	v_fmac_f32_e32 v11, v15, v10
	v_mul_f32_e32 v14, v17, v13
	v_mul_f32_e32 v13, v16, v13
	v_add_f32_e32 v10, v18, v20
	;; [unrolled: 15-line block ×3, first 2 shown]
	v_add_f32_e32 v11, v19, v11
	v_fma_f32 v14, v16, v12, -v14
	v_fmac_f32_e32 v13, v17, v12
	v_add_f32_e32 v18, v10, v14
	v_add_f32_e32 v19, v11, v13
	ds_read2_b64 v[10:13], v6 offset0:224 offset1:240
	ds_read_b128 v[14:17], v8 offset:112
	s_waitcnt lgkmcnt(0)
	s_barrier
	v_mul_f32_e32 v20, v15, v11
	v_mul_f32_e32 v11, v14, v11
	v_fmac_f32_e32 v11, v15, v10
	v_fma_f32 v20, v14, v10, -v20
	v_add_f32_e32 v14, v19, v11
	v_mul_f32_e32 v11, v17, v13
	v_mul_f32_e32 v13, v16, v13
	v_add_f32_e32 v10, v18, v20
	v_fma_f32 v11, v16, v12, -v11
	v_fmac_f32_e32 v13, v17, v12
	v_add_f32_e32 v11, v10, v11
	v_add_f32_e32 v10, v14, v13
	s_cbranch_scc1 .LBB193_2
; %bb.3:
	v_cmp_le_i32_e32 vcc, v5, v2
	s_and_saveexec_b64 s[2:3], vcc
	s_cbranch_execz .LBB193_5
.LBB193_4:
	s_load_dwordx2 s[2:3], s[4:5], 0x58
	s_load_dwordx2 s[6:7], s[4:5], 0x48
	s_load_dword s9, s[4:5], 0x50
	v_ashrrev_i32_e32 v3, 31, v2
	v_lshlrev_b64 v[2:3], 3, v[2:3]
	s_waitcnt lgkmcnt(0)
	s_mul_i32 s3, s3, s8
	s_mul_hi_u32 s4, s2, s8
	s_mul_i32 s2, s2, s8
	s_add_i32 s3, s4, s3
	s_lshl_b64 s[2:3], s[2:3], 3
	s_add_u32 s4, s6, s2
	s_addc_u32 s5, s7, s3
	v_mad_i64_i32 v[4:5], s[2:3], s9, v5, 0
	v_mov_b32_e32 v6, s5
	v_mul_f32_e32 v0, s1, v10
	v_lshlrev_b64 v[4:5], 3, v[4:5]
	v_mul_f32_e32 v1, s0, v10
	v_add_co_u32_e32 v4, vcc, s4, v4
	v_addc_co_u32_e32 v5, vcc, v6, v5, vcc
	v_add_co_u32_e32 v2, vcc, v4, v2
	v_fma_f32 v0, v11, s0, -v0
	v_fmac_f32_e32 v1, s1, v11
	v_addc_co_u32_e32 v3, vcc, v5, v3, vcc
	global_store_dwordx2 v[2:3], v[0:1], off
.LBB193_5:
	s_endpgm
.LBB193_6:
	v_mov_b32_e32 v10, 0
	v_mov_b32_e32 v11, 0
	v_cmp_le_i32_e32 vcc, v5, v2
	s_and_saveexec_b64 s[2:3], vcc
	s_cbranch_execnz .LBB193_4
	s_branch .LBB193_5
	.section	.rodata,"a",@progbits
	.p2align	6, 0x0
	.amdhsa_kernel _ZL41rocblas_syrkx_herkx_small_restrict_kernelIi19rocblas_complex_numIfELi16ELb1ELb0ELc67ELc76EKS1_S1_EviT_T0_PT6_S3_lS6_S3_lS4_PT7_S3_li
		.amdhsa_group_segment_fixed_size 4096
		.amdhsa_private_segment_fixed_size 0
		.amdhsa_kernarg_size 100
		.amdhsa_user_sgpr_count 6
		.amdhsa_user_sgpr_private_segment_buffer 1
		.amdhsa_user_sgpr_dispatch_ptr 0
		.amdhsa_user_sgpr_queue_ptr 0
		.amdhsa_user_sgpr_kernarg_segment_ptr 1
		.amdhsa_user_sgpr_dispatch_id 0
		.amdhsa_user_sgpr_flat_scratch_init 0
		.amdhsa_user_sgpr_private_segment_size 0
		.amdhsa_uses_dynamic_stack 0
		.amdhsa_system_sgpr_private_segment_wavefront_offset 0
		.amdhsa_system_sgpr_workgroup_id_x 1
		.amdhsa_system_sgpr_workgroup_id_y 1
		.amdhsa_system_sgpr_workgroup_id_z 1
		.amdhsa_system_sgpr_workgroup_info 0
		.amdhsa_system_vgpr_workitem_id 1
		.amdhsa_next_free_vgpr 33
		.amdhsa_next_free_sgpr 18
		.amdhsa_reserve_vcc 1
		.amdhsa_reserve_flat_scratch 0
		.amdhsa_float_round_mode_32 0
		.amdhsa_float_round_mode_16_64 0
		.amdhsa_float_denorm_mode_32 3
		.amdhsa_float_denorm_mode_16_64 3
		.amdhsa_dx10_clamp 1
		.amdhsa_ieee_mode 1
		.amdhsa_fp16_overflow 0
		.amdhsa_exception_fp_ieee_invalid_op 0
		.amdhsa_exception_fp_denorm_src 0
		.amdhsa_exception_fp_ieee_div_zero 0
		.amdhsa_exception_fp_ieee_overflow 0
		.amdhsa_exception_fp_ieee_underflow 0
		.amdhsa_exception_fp_ieee_inexact 0
		.amdhsa_exception_int_div_zero 0
	.end_amdhsa_kernel
	.section	.text._ZL41rocblas_syrkx_herkx_small_restrict_kernelIi19rocblas_complex_numIfELi16ELb1ELb0ELc67ELc76EKS1_S1_EviT_T0_PT6_S3_lS6_S3_lS4_PT7_S3_li,"axG",@progbits,_ZL41rocblas_syrkx_herkx_small_restrict_kernelIi19rocblas_complex_numIfELi16ELb1ELb0ELc67ELc76EKS1_S1_EviT_T0_PT6_S3_lS6_S3_lS4_PT7_S3_li,comdat
.Lfunc_end193:
	.size	_ZL41rocblas_syrkx_herkx_small_restrict_kernelIi19rocblas_complex_numIfELi16ELb1ELb0ELc67ELc76EKS1_S1_EviT_T0_PT6_S3_lS6_S3_lS4_PT7_S3_li, .Lfunc_end193-_ZL41rocblas_syrkx_herkx_small_restrict_kernelIi19rocblas_complex_numIfELi16ELb1ELb0ELc67ELc76EKS1_S1_EviT_T0_PT6_S3_lS6_S3_lS4_PT7_S3_li
                                        ; -- End function
	.set _ZL41rocblas_syrkx_herkx_small_restrict_kernelIi19rocblas_complex_numIfELi16ELb1ELb0ELc67ELc76EKS1_S1_EviT_T0_PT6_S3_lS6_S3_lS4_PT7_S3_li.num_vgpr, 33
	.set _ZL41rocblas_syrkx_herkx_small_restrict_kernelIi19rocblas_complex_numIfELi16ELb1ELb0ELc67ELc76EKS1_S1_EviT_T0_PT6_S3_lS6_S3_lS4_PT7_S3_li.num_agpr, 0
	.set _ZL41rocblas_syrkx_herkx_small_restrict_kernelIi19rocblas_complex_numIfELi16ELb1ELb0ELc67ELc76EKS1_S1_EviT_T0_PT6_S3_lS6_S3_lS4_PT7_S3_li.numbered_sgpr, 18
	.set _ZL41rocblas_syrkx_herkx_small_restrict_kernelIi19rocblas_complex_numIfELi16ELb1ELb0ELc67ELc76EKS1_S1_EviT_T0_PT6_S3_lS6_S3_lS4_PT7_S3_li.num_named_barrier, 0
	.set _ZL41rocblas_syrkx_herkx_small_restrict_kernelIi19rocblas_complex_numIfELi16ELb1ELb0ELc67ELc76EKS1_S1_EviT_T0_PT6_S3_lS6_S3_lS4_PT7_S3_li.private_seg_size, 0
	.set _ZL41rocblas_syrkx_herkx_small_restrict_kernelIi19rocblas_complex_numIfELi16ELb1ELb0ELc67ELc76EKS1_S1_EviT_T0_PT6_S3_lS6_S3_lS4_PT7_S3_li.uses_vcc, 1
	.set _ZL41rocblas_syrkx_herkx_small_restrict_kernelIi19rocblas_complex_numIfELi16ELb1ELb0ELc67ELc76EKS1_S1_EviT_T0_PT6_S3_lS6_S3_lS4_PT7_S3_li.uses_flat_scratch, 0
	.set _ZL41rocblas_syrkx_herkx_small_restrict_kernelIi19rocblas_complex_numIfELi16ELb1ELb0ELc67ELc76EKS1_S1_EviT_T0_PT6_S3_lS6_S3_lS4_PT7_S3_li.has_dyn_sized_stack, 0
	.set _ZL41rocblas_syrkx_herkx_small_restrict_kernelIi19rocblas_complex_numIfELi16ELb1ELb0ELc67ELc76EKS1_S1_EviT_T0_PT6_S3_lS6_S3_lS4_PT7_S3_li.has_recursion, 0
	.set _ZL41rocblas_syrkx_herkx_small_restrict_kernelIi19rocblas_complex_numIfELi16ELb1ELb0ELc67ELc76EKS1_S1_EviT_T0_PT6_S3_lS6_S3_lS4_PT7_S3_li.has_indirect_call, 0
	.section	.AMDGPU.csdata,"",@progbits
; Kernel info:
; codeLenInByte = 1132
; TotalNumSgprs: 22
; NumVgprs: 33
; ScratchSize: 0
; MemoryBound: 0
; FloatMode: 240
; IeeeMode: 1
; LDSByteSize: 4096 bytes/workgroup (compile time only)
; SGPRBlocks: 2
; VGPRBlocks: 8
; NumSGPRsForWavesPerEU: 22
; NumVGPRsForWavesPerEU: 33
; Occupancy: 7
; WaveLimiterHint : 0
; COMPUTE_PGM_RSRC2:SCRATCH_EN: 0
; COMPUTE_PGM_RSRC2:USER_SGPR: 6
; COMPUTE_PGM_RSRC2:TRAP_HANDLER: 0
; COMPUTE_PGM_RSRC2:TGID_X_EN: 1
; COMPUTE_PGM_RSRC2:TGID_Y_EN: 1
; COMPUTE_PGM_RSRC2:TGID_Z_EN: 1
; COMPUTE_PGM_RSRC2:TIDIG_COMP_CNT: 1
	.section	.text._ZL41rocblas_syrkx_herkx_small_restrict_kernelIi19rocblas_complex_numIfELi16ELb1ELb0ELc78ELc76EKS1_S1_EviT_T0_PT6_S3_lS6_S3_lS4_PT7_S3_li,"axG",@progbits,_ZL41rocblas_syrkx_herkx_small_restrict_kernelIi19rocblas_complex_numIfELi16ELb1ELb0ELc78ELc76EKS1_S1_EviT_T0_PT6_S3_lS6_S3_lS4_PT7_S3_li,comdat
	.globl	_ZL41rocblas_syrkx_herkx_small_restrict_kernelIi19rocblas_complex_numIfELi16ELb1ELb0ELc78ELc76EKS1_S1_EviT_T0_PT6_S3_lS6_S3_lS4_PT7_S3_li ; -- Begin function _ZL41rocblas_syrkx_herkx_small_restrict_kernelIi19rocblas_complex_numIfELi16ELb1ELb0ELc78ELc76EKS1_S1_EviT_T0_PT6_S3_lS6_S3_lS4_PT7_S3_li
	.p2align	8
	.type	_ZL41rocblas_syrkx_herkx_small_restrict_kernelIi19rocblas_complex_numIfELi16ELb1ELb0ELc78ELc76EKS1_S1_EviT_T0_PT6_S3_lS6_S3_lS4_PT7_S3_li,@function
_ZL41rocblas_syrkx_herkx_small_restrict_kernelIi19rocblas_complex_numIfELi16ELb1ELb0ELc78ELc76EKS1_S1_EviT_T0_PT6_S3_lS6_S3_lS4_PT7_S3_li: ; @_ZL41rocblas_syrkx_herkx_small_restrict_kernelIi19rocblas_complex_numIfELi16ELb1ELb0ELc78ELc76EKS1_S1_EviT_T0_PT6_S3_lS6_S3_lS4_PT7_S3_li
; %bb.0:
	s_load_dword s9, s[4:5], 0x4
	s_load_dwordx4 s[0:3], s[4:5], 0x8
	v_lshl_add_u32 v2, s6, 4, v0
	s_mov_b32 s10, 0
	v_lshl_add_u32 v4, s7, 4, v1
	s_waitcnt lgkmcnt(0)
	s_cmp_lt_i32 s9, 1
	v_ashrrev_i32_e32 v3, 31, v2
	s_cbranch_scc1 .LBB194_6
; %bb.1:
	s_load_dword s16, s[4:5], 0x18
	s_load_dword s6, s[4:5], 0x30
	s_load_dwordx2 s[18:19], s[4:5], 0x38
	s_load_dwordx4 s[12:15], s[4:5], 0x20
	v_lshlrev_b32_e32 v6, 7, v1
	v_lshlrev_b32_e32 v7, 3, v0
	s_waitcnt lgkmcnt(0)
	v_mad_i64_i32 v[10:11], s[20:21], s6, v0, 0
	s_mul_i32 s11, s19, s8
	s_mul_hi_u32 s19, s18, s8
	s_add_i32 s19, s19, s11
	s_mul_i32 s18, s18, s8
	v_lshlrev_b64 v[10:11], 3, v[10:11]
	v_ashrrev_i32_e32 v5, 31, v4
	s_lshl_b64 s[18:19], s[18:19], 3
	v_add_u32_e32 v8, v7, v6
	v_add_u32_e32 v9, 0x800, v6
	v_mov_b32_e32 v0, s19
	v_add_co_u32_e32 v10, vcc, s18, v10
	v_lshlrev_b64 v[5:6], 3, v[4:5]
	v_addc_co_u32_e32 v0, vcc, v0, v11, vcc
	v_add_co_u32_e32 v5, vcc, v10, v5
	v_addc_co_u32_e32 v0, vcc, v0, v6, vcc
	v_mov_b32_e32 v6, s15
	v_add_co_u32_e32 v5, vcc, s14, v5
	v_addc_co_u32_e32 v0, vcc, v6, v0, vcc
	v_add_co_u32_e32 v5, vcc, 4, v5
	v_addc_co_u32_e32 v6, vcc, 0, v0, vcc
	v_mad_i64_i32 v[0:1], s[14:15], s16, v1, 0
	s_mul_i32 s11, s13, s8
	s_mul_hi_u32 s13, s12, s8
	s_add_i32 s13, s13, s11
	s_mul_i32 s12, s12, s8
	v_lshlrev_b64 v[0:1], 3, v[0:1]
	s_lshl_b64 s[12:13], s[12:13], 3
	v_mov_b32_e32 v10, s13
	v_add_co_u32_e32 v11, vcc, s12, v0
	v_addc_co_u32_e32 v10, vcc, v10, v1, vcc
	v_lshlrev_b64 v[0:1], 3, v[2:3]
	s_ashr_i32 s17, s16, 31
	v_add_co_u32_e32 v0, vcc, v11, v0
	s_ashr_i32 s7, s6, 31
	v_addc_co_u32_e32 v1, vcc, v10, v1, vcc
	s_lshl_b64 s[6:7], s[6:7], 7
	v_mov_b32_e32 v10, s3
	v_add_co_u32_e32 v0, vcc, s2, v0
	s_lshl_b64 s[2:3], s[16:17], 7
	v_addc_co_u32_e32 v1, vcc, v10, v1, vcc
	v_mov_b32_e32 v12, 0
	v_mov_b32_e32 v10, s7
	;; [unrolled: 1-line block ×4, first 2 shown]
.LBB194_2:                              ; =>This Inner Loop Header: Depth=1
	global_load_dwordx2 v[14:15], v[0:1], off
	v_add_u32_e32 v16, v9, v7
	s_add_i32 s10, s10, 16
	s_cmp_lt_i32 s10, s9
	s_waitcnt vmcnt(0)
	ds_write_b64 v8, v[14:15]
	global_load_dwordx2 v[14:15], v[5:6], off offset:-4
	v_add_co_u32_e32 v5, vcc, s6, v5
	v_addc_co_u32_e32 v6, vcc, v6, v10, vcc
	v_add_co_u32_e32 v0, vcc, s2, v0
	v_addc_co_u32_e32 v1, vcc, v1, v11, vcc
	s_waitcnt vmcnt(0)
	ds_write_b64 v16, v[14:15]
	s_waitcnt lgkmcnt(0)
	s_barrier
	ds_read2_b64 v[14:17], v7 offset1:16
	ds_read_b128 v[18:21], v9
	ds_read_b128 v[22:25], v9 offset:16
	ds_read_b128 v[26:29], v9 offset:32
	;; [unrolled: 1-line block ×3, first 2 shown]
	s_waitcnt lgkmcnt(3)
	v_mul_f32_e32 v34, v19, v15
	v_mul_f32_e32 v15, v18, v15
	v_fmac_f32_e32 v15, v19, v14
	v_fma_f32 v34, v18, v14, -v34
	v_add_f32_e32 v12, v12, v15
	v_mul_f32_e32 v14, v21, v17
	v_mul_f32_e32 v15, v20, v17
	v_add_f32_e32 v13, v13, v34
	v_fma_f32 v14, v20, v16, -v14
	v_fmac_f32_e32 v15, v21, v16
	v_add_f32_e32 v16, v13, v14
	v_add_f32_e32 v17, v12, v15
	ds_read2_b64 v[12:15], v7 offset0:32 offset1:48
	s_waitcnt lgkmcnt(0)
	v_mul_f32_e32 v18, v23, v13
	v_fma_f32 v18, v22, v12, -v18
	v_mul_f32_e32 v13, v22, v13
	v_fmac_f32_e32 v13, v23, v12
	v_add_f32_e32 v12, v16, v18
	v_mul_f32_e32 v16, v25, v15
	v_mul_f32_e32 v15, v24, v15
	v_add_f32_e32 v13, v17, v13
	v_fma_f32 v16, v24, v14, -v16
	v_fmac_f32_e32 v15, v25, v14
	v_add_f32_e32 v16, v12, v16
	v_add_f32_e32 v17, v13, v15
	ds_read2_b64 v[12:15], v7 offset0:64 offset1:80
	s_waitcnt lgkmcnt(0)
	v_mul_f32_e32 v18, v27, v13
	v_fma_f32 v18, v26, v12, -v18
	v_mul_f32_e32 v13, v26, v13
	v_fmac_f32_e32 v13, v27, v12
	;; [unrolled: 14-line block ×3, first 2 shown]
	v_add_f32_e32 v12, v16, v18
	v_mul_f32_e32 v16, v33, v15
	v_mul_f32_e32 v15, v32, v15
	v_add_f32_e32 v13, v17, v13
	v_fma_f32 v16, v32, v14, -v16
	v_fmac_f32_e32 v15, v33, v14
	v_add_f32_e32 v20, v12, v16
	v_add_f32_e32 v21, v13, v15
	ds_read2_b64 v[12:15], v7 offset0:128 offset1:144
	ds_read_b128 v[16:19], v9 offset:64
	s_waitcnt lgkmcnt(0)
	v_mul_f32_e32 v22, v17, v13
	v_mul_f32_e32 v13, v16, v13
	v_fma_f32 v22, v16, v12, -v22
	v_fmac_f32_e32 v13, v17, v12
	v_mul_f32_e32 v16, v19, v15
	v_mul_f32_e32 v15, v18, v15
	v_add_f32_e32 v12, v20, v22
	v_add_f32_e32 v13, v21, v13
	v_fma_f32 v16, v18, v14, -v16
	v_fmac_f32_e32 v15, v19, v14
	v_add_f32_e32 v20, v12, v16
	v_add_f32_e32 v21, v13, v15
	ds_read2_b64 v[12:15], v7 offset0:160 offset1:176
	ds_read_b128 v[16:19], v9 offset:80
	s_waitcnt lgkmcnt(0)
	v_mul_f32_e32 v22, v17, v13
	v_mul_f32_e32 v13, v16, v13
	v_fma_f32 v22, v16, v12, -v22
	v_fmac_f32_e32 v13, v17, v12
	v_mul_f32_e32 v16, v19, v15
	v_mul_f32_e32 v15, v18, v15
	v_add_f32_e32 v12, v20, v22
	;; [unrolled: 15-line block ×3, first 2 shown]
	v_add_f32_e32 v13, v21, v13
	v_fma_f32 v16, v18, v14, -v16
	v_fmac_f32_e32 v15, v19, v14
	v_add_f32_e32 v20, v12, v16
	v_add_f32_e32 v21, v13, v15
	ds_read2_b64 v[12:15], v7 offset0:224 offset1:240
	ds_read_b128 v[16:19], v9 offset:112
	s_waitcnt lgkmcnt(0)
	s_barrier
	v_mul_f32_e32 v22, v17, v13
	v_mul_f32_e32 v13, v16, v13
	v_fmac_f32_e32 v13, v17, v12
	v_fma_f32 v22, v16, v12, -v22
	v_add_f32_e32 v16, v21, v13
	v_mul_f32_e32 v13, v19, v15
	v_mul_f32_e32 v15, v18, v15
	v_add_f32_e32 v12, v20, v22
	v_fma_f32 v13, v18, v14, -v13
	v_fmac_f32_e32 v15, v19, v14
	v_add_f32_e32 v13, v12, v13
	v_add_f32_e32 v12, v16, v15
	s_cbranch_scc1 .LBB194_2
; %bb.3:
	v_cmp_le_i32_e32 vcc, v4, v2
	s_and_saveexec_b64 s[2:3], vcc
	s_cbranch_execz .LBB194_5
.LBB194_4:
	s_load_dwordx2 s[2:3], s[4:5], 0x58
	s_load_dwordx2 s[6:7], s[4:5], 0x48
	s_load_dword s9, s[4:5], 0x50
	v_mul_f32_e32 v5, s1, v12
	s_waitcnt lgkmcnt(0)
	s_mul_i32 s3, s3, s8
	s_mul_hi_u32 s4, s2, s8
	s_mul_i32 s2, s2, s8
	s_add_i32 s3, s4, s3
	s_lshl_b64 s[2:3], s[2:3], 3
	s_add_u32 s4, s6, s2
	s_addc_u32 s5, s7, s3
	v_mad_i64_i32 v[0:1], s[2:3], s9, v4, 0
	v_mov_b32_e32 v6, s5
	v_fma_f32 v4, v13, s0, -v5
	v_lshlrev_b64 v[0:1], 3, v[0:1]
	v_mul_f32_e32 v5, s0, v12
	v_add_co_u32_e32 v7, vcc, s4, v0
	v_addc_co_u32_e32 v6, vcc, v6, v1, vcc
	v_lshlrev_b64 v[0:1], 3, v[2:3]
	v_fmac_f32_e32 v5, s1, v13
	v_add_co_u32_e32 v0, vcc, v7, v0
	v_addc_co_u32_e32 v1, vcc, v6, v1, vcc
	global_store_dwordx2 v[0:1], v[4:5], off
.LBB194_5:
	s_endpgm
.LBB194_6:
	v_mov_b32_e32 v12, 0
	v_mov_b32_e32 v13, 0
	v_cmp_le_i32_e32 vcc, v4, v2
	s_and_saveexec_b64 s[2:3], vcc
	s_cbranch_execnz .LBB194_4
	s_branch .LBB194_5
	.section	.rodata,"a",@progbits
	.p2align	6, 0x0
	.amdhsa_kernel _ZL41rocblas_syrkx_herkx_small_restrict_kernelIi19rocblas_complex_numIfELi16ELb1ELb0ELc78ELc76EKS1_S1_EviT_T0_PT6_S3_lS6_S3_lS4_PT7_S3_li
		.amdhsa_group_segment_fixed_size 4096
		.amdhsa_private_segment_fixed_size 0
		.amdhsa_kernarg_size 100
		.amdhsa_user_sgpr_count 6
		.amdhsa_user_sgpr_private_segment_buffer 1
		.amdhsa_user_sgpr_dispatch_ptr 0
		.amdhsa_user_sgpr_queue_ptr 0
		.amdhsa_user_sgpr_kernarg_segment_ptr 1
		.amdhsa_user_sgpr_dispatch_id 0
		.amdhsa_user_sgpr_flat_scratch_init 0
		.amdhsa_user_sgpr_private_segment_size 0
		.amdhsa_uses_dynamic_stack 0
		.amdhsa_system_sgpr_private_segment_wavefront_offset 0
		.amdhsa_system_sgpr_workgroup_id_x 1
		.amdhsa_system_sgpr_workgroup_id_y 1
		.amdhsa_system_sgpr_workgroup_id_z 1
		.amdhsa_system_sgpr_workgroup_info 0
		.amdhsa_system_vgpr_workitem_id 1
		.amdhsa_next_free_vgpr 35
		.amdhsa_next_free_sgpr 22
		.amdhsa_reserve_vcc 1
		.amdhsa_reserve_flat_scratch 0
		.amdhsa_float_round_mode_32 0
		.amdhsa_float_round_mode_16_64 0
		.amdhsa_float_denorm_mode_32 3
		.amdhsa_float_denorm_mode_16_64 3
		.amdhsa_dx10_clamp 1
		.amdhsa_ieee_mode 1
		.amdhsa_fp16_overflow 0
		.amdhsa_exception_fp_ieee_invalid_op 0
		.amdhsa_exception_fp_denorm_src 0
		.amdhsa_exception_fp_ieee_div_zero 0
		.amdhsa_exception_fp_ieee_overflow 0
		.amdhsa_exception_fp_ieee_underflow 0
		.amdhsa_exception_fp_ieee_inexact 0
		.amdhsa_exception_int_div_zero 0
	.end_amdhsa_kernel
	.section	.text._ZL41rocblas_syrkx_herkx_small_restrict_kernelIi19rocblas_complex_numIfELi16ELb1ELb0ELc78ELc76EKS1_S1_EviT_T0_PT6_S3_lS6_S3_lS4_PT7_S3_li,"axG",@progbits,_ZL41rocblas_syrkx_herkx_small_restrict_kernelIi19rocblas_complex_numIfELi16ELb1ELb0ELc78ELc76EKS1_S1_EviT_T0_PT6_S3_lS6_S3_lS4_PT7_S3_li,comdat
.Lfunc_end194:
	.size	_ZL41rocblas_syrkx_herkx_small_restrict_kernelIi19rocblas_complex_numIfELi16ELb1ELb0ELc78ELc76EKS1_S1_EviT_T0_PT6_S3_lS6_S3_lS4_PT7_S3_li, .Lfunc_end194-_ZL41rocblas_syrkx_herkx_small_restrict_kernelIi19rocblas_complex_numIfELi16ELb1ELb0ELc78ELc76EKS1_S1_EviT_T0_PT6_S3_lS6_S3_lS4_PT7_S3_li
                                        ; -- End function
	.set _ZL41rocblas_syrkx_herkx_small_restrict_kernelIi19rocblas_complex_numIfELi16ELb1ELb0ELc78ELc76EKS1_S1_EviT_T0_PT6_S3_lS6_S3_lS4_PT7_S3_li.num_vgpr, 35
	.set _ZL41rocblas_syrkx_herkx_small_restrict_kernelIi19rocblas_complex_numIfELi16ELb1ELb0ELc78ELc76EKS1_S1_EviT_T0_PT6_S3_lS6_S3_lS4_PT7_S3_li.num_agpr, 0
	.set _ZL41rocblas_syrkx_herkx_small_restrict_kernelIi19rocblas_complex_numIfELi16ELb1ELb0ELc78ELc76EKS1_S1_EviT_T0_PT6_S3_lS6_S3_lS4_PT7_S3_li.numbered_sgpr, 22
	.set _ZL41rocblas_syrkx_herkx_small_restrict_kernelIi19rocblas_complex_numIfELi16ELb1ELb0ELc78ELc76EKS1_S1_EviT_T0_PT6_S3_lS6_S3_lS4_PT7_S3_li.num_named_barrier, 0
	.set _ZL41rocblas_syrkx_herkx_small_restrict_kernelIi19rocblas_complex_numIfELi16ELb1ELb0ELc78ELc76EKS1_S1_EviT_T0_PT6_S3_lS6_S3_lS4_PT7_S3_li.private_seg_size, 0
	.set _ZL41rocblas_syrkx_herkx_small_restrict_kernelIi19rocblas_complex_numIfELi16ELb1ELb0ELc78ELc76EKS1_S1_EviT_T0_PT6_S3_lS6_S3_lS4_PT7_S3_li.uses_vcc, 1
	.set _ZL41rocblas_syrkx_herkx_small_restrict_kernelIi19rocblas_complex_numIfELi16ELb1ELb0ELc78ELc76EKS1_S1_EviT_T0_PT6_S3_lS6_S3_lS4_PT7_S3_li.uses_flat_scratch, 0
	.set _ZL41rocblas_syrkx_herkx_small_restrict_kernelIi19rocblas_complex_numIfELi16ELb1ELb0ELc78ELc76EKS1_S1_EviT_T0_PT6_S3_lS6_S3_lS4_PT7_S3_li.has_dyn_sized_stack, 0
	.set _ZL41rocblas_syrkx_herkx_small_restrict_kernelIi19rocblas_complex_numIfELi16ELb1ELb0ELc78ELc76EKS1_S1_EviT_T0_PT6_S3_lS6_S3_lS4_PT7_S3_li.has_recursion, 0
	.set _ZL41rocblas_syrkx_herkx_small_restrict_kernelIi19rocblas_complex_numIfELi16ELb1ELb0ELc78ELc76EKS1_S1_EviT_T0_PT6_S3_lS6_S3_lS4_PT7_S3_li.has_indirect_call, 0
	.section	.AMDGPU.csdata,"",@progbits
; Kernel info:
; codeLenInByte = 1164
; TotalNumSgprs: 26
; NumVgprs: 35
; ScratchSize: 0
; MemoryBound: 0
; FloatMode: 240
; IeeeMode: 1
; LDSByteSize: 4096 bytes/workgroup (compile time only)
; SGPRBlocks: 3
; VGPRBlocks: 8
; NumSGPRsForWavesPerEU: 26
; NumVGPRsForWavesPerEU: 35
; Occupancy: 7
; WaveLimiterHint : 0
; COMPUTE_PGM_RSRC2:SCRATCH_EN: 0
; COMPUTE_PGM_RSRC2:USER_SGPR: 6
; COMPUTE_PGM_RSRC2:TRAP_HANDLER: 0
; COMPUTE_PGM_RSRC2:TGID_X_EN: 1
; COMPUTE_PGM_RSRC2:TGID_Y_EN: 1
; COMPUTE_PGM_RSRC2:TGID_Z_EN: 1
; COMPUTE_PGM_RSRC2:TIDIG_COMP_CNT: 1
	.section	.text._ZL41rocblas_syrkx_herkx_small_restrict_kernelIi19rocblas_complex_numIfELi16ELb1ELb0ELc84ELc85EKS1_S1_EviT_T0_PT6_S3_lS6_S3_lS4_PT7_S3_li,"axG",@progbits,_ZL41rocblas_syrkx_herkx_small_restrict_kernelIi19rocblas_complex_numIfELi16ELb1ELb0ELc84ELc85EKS1_S1_EviT_T0_PT6_S3_lS6_S3_lS4_PT7_S3_li,comdat
	.globl	_ZL41rocblas_syrkx_herkx_small_restrict_kernelIi19rocblas_complex_numIfELi16ELb1ELb0ELc84ELc85EKS1_S1_EviT_T0_PT6_S3_lS6_S3_lS4_PT7_S3_li ; -- Begin function _ZL41rocblas_syrkx_herkx_small_restrict_kernelIi19rocblas_complex_numIfELi16ELb1ELb0ELc84ELc85EKS1_S1_EviT_T0_PT6_S3_lS6_S3_lS4_PT7_S3_li
	.p2align	8
	.type	_ZL41rocblas_syrkx_herkx_small_restrict_kernelIi19rocblas_complex_numIfELi16ELb1ELb0ELc84ELc85EKS1_S1_EviT_T0_PT6_S3_lS6_S3_lS4_PT7_S3_li,@function
_ZL41rocblas_syrkx_herkx_small_restrict_kernelIi19rocblas_complex_numIfELi16ELb1ELb0ELc84ELc85EKS1_S1_EviT_T0_PT6_S3_lS6_S3_lS4_PT7_S3_li: ; @_ZL41rocblas_syrkx_herkx_small_restrict_kernelIi19rocblas_complex_numIfELi16ELb1ELb0ELc84ELc85EKS1_S1_EviT_T0_PT6_S3_lS6_S3_lS4_PT7_S3_li
; %bb.0:
	s_load_dword s9, s[4:5], 0x4
	s_load_dwordx4 s[0:3], s[4:5], 0x8
	s_mov_b32 s10, 0
	v_lshl_add_u32 v2, s6, 4, v0
	v_lshl_add_u32 v5, s7, 4, v1
	s_waitcnt lgkmcnt(0)
	s_cmp_lt_i32 s9, 1
	s_cbranch_scc1 .LBB195_6
; %bb.1:
	s_load_dword s11, s[4:5], 0x18
	s_load_dwordx4 s[12:15], s[4:5], 0x20
	s_load_dword s16, s[4:5], 0x30
	s_load_dwordx2 s[6:7], s[4:5], 0x38
	v_lshlrev_b32_e32 v6, 3, v0
	v_lshlrev_b32_e32 v8, 7, v1
	;; [unrolled: 1-line block ×3, first 2 shown]
	s_waitcnt lgkmcnt(0)
	v_mad_i64_i32 v[3:4], s[16:17], s16, v5, 0
	s_mul_i32 s7, s7, s8
	s_mul_hi_u32 s16, s6, s8
	v_lshlrev_b64 v[3:4], 3, v[3:4]
	s_add_i32 s7, s16, s7
	s_mul_i32 s6, s6, s8
	s_lshl_b64 s[6:7], s[6:7], 3
	v_mov_b32_e32 v0, s7
	v_add_co_u32_e32 v3, vcc, s6, v3
	v_mad_i64_i32 v[11:12], s[6:7], s11, v2, 0
	v_addc_co_u32_e32 v0, vcc, v4, v0, vcc
	v_add_co_u32_e32 v3, vcc, v3, v6
	v_addc_co_u32_e32 v0, vcc, 0, v0, vcc
	s_mul_i32 s6, s13, s8
	s_mul_hi_u32 s7, s12, s8
	v_mov_b32_e32 v4, s15
	v_add_co_u32_e32 v3, vcc, s14, v3
	v_lshlrev_b64 v[11:12], 3, v[11:12]
	s_add_i32 s7, s7, s6
	s_mul_i32 s6, s12, s8
	v_addc_co_u32_e32 v4, vcc, v4, v0, vcc
	s_lshl_b64 s[6:7], s[6:7], 3
	v_mov_b32_e32 v0, s7
	v_add_co_u32_e32 v11, vcc, s6, v11
	v_addc_co_u32_e32 v0, vcc, v12, v0, vcc
	v_add_co_u32_e32 v1, vcc, v11, v1
	v_addc_co_u32_e32 v11, vcc, 0, v0, vcc
	v_add_u32_e32 v7, v6, v8
	v_add_u32_e32 v8, 0x800, v8
	v_mov_b32_e32 v12, s3
	v_add_co_u32_e32 v0, vcc, s2, v1
	v_add_u32_e32 v9, v8, v6
	v_mov_b32_e32 v10, 0
	v_addc_co_u32_e32 v1, vcc, v12, v11, vcc
	v_mov_b32_e32 v11, 0
.LBB195_2:                              ; =>This Inner Loop Header: Depth=1
	global_load_dwordx2 v[12:13], v[0:1], off
	s_add_i32 s10, s10, 16
	s_cmp_lt_i32 s10, s9
	s_waitcnt vmcnt(0)
	ds_write_b64 v7, v[12:13]
	global_load_dwordx2 v[12:13], v[3:4], off
	v_add_co_u32_e32 v3, vcc, 0x80, v3
	v_addc_co_u32_e32 v4, vcc, 0, v4, vcc
	v_add_co_u32_e32 v0, vcc, 0x80, v0
	v_addc_co_u32_e32 v1, vcc, 0, v1, vcc
	s_waitcnt vmcnt(0)
	ds_write_b64 v9, v[12:13]
	s_waitcnt lgkmcnt(0)
	s_barrier
	ds_read2_b64 v[12:15], v6 offset1:16
	ds_read_b128 v[16:19], v8
	ds_read_b128 v[20:23], v8 offset:16
	ds_read_b128 v[24:27], v8 offset:32
	ds_read_b128 v[28:31], v8 offset:48
	s_waitcnt lgkmcnt(3)
	v_mul_f32_e32 v32, v17, v13
	v_mul_f32_e32 v13, v16, v13
	v_fmac_f32_e32 v13, v17, v12
	v_fma_f32 v32, v16, v12, -v32
	v_add_f32_e32 v10, v10, v13
	v_mul_f32_e32 v12, v19, v15
	v_mul_f32_e32 v13, v18, v15
	v_add_f32_e32 v11, v11, v32
	v_fma_f32 v12, v18, v14, -v12
	v_fmac_f32_e32 v13, v19, v14
	v_add_f32_e32 v14, v11, v12
	v_add_f32_e32 v15, v10, v13
	ds_read2_b64 v[10:13], v6 offset0:32 offset1:48
	s_waitcnt lgkmcnt(0)
	v_mul_f32_e32 v16, v21, v11
	v_fma_f32 v16, v20, v10, -v16
	v_mul_f32_e32 v11, v20, v11
	v_fmac_f32_e32 v11, v21, v10
	v_add_f32_e32 v10, v14, v16
	v_mul_f32_e32 v14, v23, v13
	v_mul_f32_e32 v13, v22, v13
	v_add_f32_e32 v11, v15, v11
	v_fma_f32 v14, v22, v12, -v14
	v_fmac_f32_e32 v13, v23, v12
	v_add_f32_e32 v14, v10, v14
	v_add_f32_e32 v15, v11, v13
	ds_read2_b64 v[10:13], v6 offset0:64 offset1:80
	s_waitcnt lgkmcnt(0)
	v_mul_f32_e32 v16, v25, v11
	v_fma_f32 v16, v24, v10, -v16
	v_mul_f32_e32 v11, v24, v11
	v_fmac_f32_e32 v11, v25, v10
	;; [unrolled: 14-line block ×3, first 2 shown]
	v_add_f32_e32 v10, v14, v16
	v_mul_f32_e32 v14, v31, v13
	v_mul_f32_e32 v13, v30, v13
	v_add_f32_e32 v11, v15, v11
	v_fma_f32 v14, v30, v12, -v14
	v_fmac_f32_e32 v13, v31, v12
	v_add_f32_e32 v18, v10, v14
	v_add_f32_e32 v19, v11, v13
	ds_read2_b64 v[10:13], v6 offset0:128 offset1:144
	ds_read_b128 v[14:17], v8 offset:64
	s_waitcnt lgkmcnt(0)
	v_mul_f32_e32 v20, v15, v11
	v_mul_f32_e32 v11, v14, v11
	v_fma_f32 v20, v14, v10, -v20
	v_fmac_f32_e32 v11, v15, v10
	v_mul_f32_e32 v14, v17, v13
	v_mul_f32_e32 v13, v16, v13
	v_add_f32_e32 v10, v18, v20
	v_add_f32_e32 v11, v19, v11
	v_fma_f32 v14, v16, v12, -v14
	v_fmac_f32_e32 v13, v17, v12
	v_add_f32_e32 v18, v10, v14
	v_add_f32_e32 v19, v11, v13
	ds_read2_b64 v[10:13], v6 offset0:160 offset1:176
	ds_read_b128 v[14:17], v8 offset:80
	s_waitcnt lgkmcnt(0)
	v_mul_f32_e32 v20, v15, v11
	v_mul_f32_e32 v11, v14, v11
	v_fma_f32 v20, v14, v10, -v20
	v_fmac_f32_e32 v11, v15, v10
	v_mul_f32_e32 v14, v17, v13
	v_mul_f32_e32 v13, v16, v13
	v_add_f32_e32 v10, v18, v20
	v_add_f32_e32 v11, v19, v11
	v_fma_f32 v14, v16, v12, -v14
	v_fmac_f32_e32 v13, v17, v12
	v_add_f32_e32 v18, v10, v14
	v_add_f32_e32 v19, v11, v13
	ds_read2_b64 v[10:13], v6 offset0:192 offset1:208
	ds_read_b128 v[14:17], v8 offset:96
	s_waitcnt lgkmcnt(0)
	v_mul_f32_e32 v20, v15, v11
	v_mul_f32_e32 v11, v14, v11
	v_fma_f32 v20, v14, v10, -v20
	v_fmac_f32_e32 v11, v15, v10
	v_mul_f32_e32 v14, v17, v13
	v_mul_f32_e32 v13, v16, v13
	v_add_f32_e32 v10, v18, v20
	v_add_f32_e32 v11, v19, v11
	v_fma_f32 v14, v16, v12, -v14
	v_fmac_f32_e32 v13, v17, v12
	v_add_f32_e32 v18, v10, v14
	v_add_f32_e32 v19, v11, v13
	ds_read2_b64 v[10:13], v6 offset0:224 offset1:240
	ds_read_b128 v[14:17], v8 offset:112
	s_waitcnt lgkmcnt(0)
	s_barrier
	v_mul_f32_e32 v20, v15, v11
	v_mul_f32_e32 v11, v14, v11
	v_fmac_f32_e32 v11, v15, v10
	v_fma_f32 v20, v14, v10, -v20
	v_add_f32_e32 v14, v19, v11
	v_mul_f32_e32 v11, v17, v13
	v_mul_f32_e32 v13, v16, v13
	v_add_f32_e32 v10, v18, v20
	v_fma_f32 v11, v16, v12, -v11
	v_fmac_f32_e32 v13, v17, v12
	v_add_f32_e32 v11, v10, v11
	v_add_f32_e32 v10, v14, v13
	s_cbranch_scc1 .LBB195_2
; %bb.3:
	v_cmp_le_i32_e32 vcc, v2, v5
	s_and_saveexec_b64 s[2:3], vcc
	s_cbranch_execz .LBB195_5
.LBB195_4:
	s_load_dwordx2 s[2:3], s[4:5], 0x58
	s_load_dwordx2 s[6:7], s[4:5], 0x48
	s_load_dword s9, s[4:5], 0x50
	v_ashrrev_i32_e32 v3, 31, v2
	v_lshlrev_b64 v[2:3], 3, v[2:3]
	s_waitcnt lgkmcnt(0)
	s_mul_i32 s3, s3, s8
	s_mul_hi_u32 s4, s2, s8
	s_mul_i32 s2, s2, s8
	s_add_i32 s3, s4, s3
	s_lshl_b64 s[2:3], s[2:3], 3
	s_add_u32 s4, s6, s2
	s_addc_u32 s5, s7, s3
	v_mad_i64_i32 v[4:5], s[2:3], s9, v5, 0
	v_mov_b32_e32 v6, s5
	v_mul_f32_e32 v0, s1, v10
	v_lshlrev_b64 v[4:5], 3, v[4:5]
	v_mul_f32_e32 v1, s0, v10
	v_add_co_u32_e32 v4, vcc, s4, v4
	v_addc_co_u32_e32 v5, vcc, v6, v5, vcc
	v_add_co_u32_e32 v2, vcc, v4, v2
	v_fma_f32 v0, v11, s0, -v0
	v_fmac_f32_e32 v1, s1, v11
	v_addc_co_u32_e32 v3, vcc, v5, v3, vcc
	global_store_dwordx2 v[2:3], v[0:1], off
.LBB195_5:
	s_endpgm
.LBB195_6:
	v_mov_b32_e32 v10, 0
	v_mov_b32_e32 v11, 0
	v_cmp_le_i32_e32 vcc, v2, v5
	s_and_saveexec_b64 s[2:3], vcc
	s_cbranch_execnz .LBB195_4
	s_branch .LBB195_5
	.section	.rodata,"a",@progbits
	.p2align	6, 0x0
	.amdhsa_kernel _ZL41rocblas_syrkx_herkx_small_restrict_kernelIi19rocblas_complex_numIfELi16ELb1ELb0ELc84ELc85EKS1_S1_EviT_T0_PT6_S3_lS6_S3_lS4_PT7_S3_li
		.amdhsa_group_segment_fixed_size 4096
		.amdhsa_private_segment_fixed_size 0
		.amdhsa_kernarg_size 100
		.amdhsa_user_sgpr_count 6
		.amdhsa_user_sgpr_private_segment_buffer 1
		.amdhsa_user_sgpr_dispatch_ptr 0
		.amdhsa_user_sgpr_queue_ptr 0
		.amdhsa_user_sgpr_kernarg_segment_ptr 1
		.amdhsa_user_sgpr_dispatch_id 0
		.amdhsa_user_sgpr_flat_scratch_init 0
		.amdhsa_user_sgpr_private_segment_size 0
		.amdhsa_uses_dynamic_stack 0
		.amdhsa_system_sgpr_private_segment_wavefront_offset 0
		.amdhsa_system_sgpr_workgroup_id_x 1
		.amdhsa_system_sgpr_workgroup_id_y 1
		.amdhsa_system_sgpr_workgroup_id_z 1
		.amdhsa_system_sgpr_workgroup_info 0
		.amdhsa_system_vgpr_workitem_id 1
		.amdhsa_next_free_vgpr 33
		.amdhsa_next_free_sgpr 18
		.amdhsa_reserve_vcc 1
		.amdhsa_reserve_flat_scratch 0
		.amdhsa_float_round_mode_32 0
		.amdhsa_float_round_mode_16_64 0
		.amdhsa_float_denorm_mode_32 3
		.amdhsa_float_denorm_mode_16_64 3
		.amdhsa_dx10_clamp 1
		.amdhsa_ieee_mode 1
		.amdhsa_fp16_overflow 0
		.amdhsa_exception_fp_ieee_invalid_op 0
		.amdhsa_exception_fp_denorm_src 0
		.amdhsa_exception_fp_ieee_div_zero 0
		.amdhsa_exception_fp_ieee_overflow 0
		.amdhsa_exception_fp_ieee_underflow 0
		.amdhsa_exception_fp_ieee_inexact 0
		.amdhsa_exception_int_div_zero 0
	.end_amdhsa_kernel
	.section	.text._ZL41rocblas_syrkx_herkx_small_restrict_kernelIi19rocblas_complex_numIfELi16ELb1ELb0ELc84ELc85EKS1_S1_EviT_T0_PT6_S3_lS6_S3_lS4_PT7_S3_li,"axG",@progbits,_ZL41rocblas_syrkx_herkx_small_restrict_kernelIi19rocblas_complex_numIfELi16ELb1ELb0ELc84ELc85EKS1_S1_EviT_T0_PT6_S3_lS6_S3_lS4_PT7_S3_li,comdat
.Lfunc_end195:
	.size	_ZL41rocblas_syrkx_herkx_small_restrict_kernelIi19rocblas_complex_numIfELi16ELb1ELb0ELc84ELc85EKS1_S1_EviT_T0_PT6_S3_lS6_S3_lS4_PT7_S3_li, .Lfunc_end195-_ZL41rocblas_syrkx_herkx_small_restrict_kernelIi19rocblas_complex_numIfELi16ELb1ELb0ELc84ELc85EKS1_S1_EviT_T0_PT6_S3_lS6_S3_lS4_PT7_S3_li
                                        ; -- End function
	.set _ZL41rocblas_syrkx_herkx_small_restrict_kernelIi19rocblas_complex_numIfELi16ELb1ELb0ELc84ELc85EKS1_S1_EviT_T0_PT6_S3_lS6_S3_lS4_PT7_S3_li.num_vgpr, 33
	.set _ZL41rocblas_syrkx_herkx_small_restrict_kernelIi19rocblas_complex_numIfELi16ELb1ELb0ELc84ELc85EKS1_S1_EviT_T0_PT6_S3_lS6_S3_lS4_PT7_S3_li.num_agpr, 0
	.set _ZL41rocblas_syrkx_herkx_small_restrict_kernelIi19rocblas_complex_numIfELi16ELb1ELb0ELc84ELc85EKS1_S1_EviT_T0_PT6_S3_lS6_S3_lS4_PT7_S3_li.numbered_sgpr, 18
	.set _ZL41rocblas_syrkx_herkx_small_restrict_kernelIi19rocblas_complex_numIfELi16ELb1ELb0ELc84ELc85EKS1_S1_EviT_T0_PT6_S3_lS6_S3_lS4_PT7_S3_li.num_named_barrier, 0
	.set _ZL41rocblas_syrkx_herkx_small_restrict_kernelIi19rocblas_complex_numIfELi16ELb1ELb0ELc84ELc85EKS1_S1_EviT_T0_PT6_S3_lS6_S3_lS4_PT7_S3_li.private_seg_size, 0
	.set _ZL41rocblas_syrkx_herkx_small_restrict_kernelIi19rocblas_complex_numIfELi16ELb1ELb0ELc84ELc85EKS1_S1_EviT_T0_PT6_S3_lS6_S3_lS4_PT7_S3_li.uses_vcc, 1
	.set _ZL41rocblas_syrkx_herkx_small_restrict_kernelIi19rocblas_complex_numIfELi16ELb1ELb0ELc84ELc85EKS1_S1_EviT_T0_PT6_S3_lS6_S3_lS4_PT7_S3_li.uses_flat_scratch, 0
	.set _ZL41rocblas_syrkx_herkx_small_restrict_kernelIi19rocblas_complex_numIfELi16ELb1ELb0ELc84ELc85EKS1_S1_EviT_T0_PT6_S3_lS6_S3_lS4_PT7_S3_li.has_dyn_sized_stack, 0
	.set _ZL41rocblas_syrkx_herkx_small_restrict_kernelIi19rocblas_complex_numIfELi16ELb1ELb0ELc84ELc85EKS1_S1_EviT_T0_PT6_S3_lS6_S3_lS4_PT7_S3_li.has_recursion, 0
	.set _ZL41rocblas_syrkx_herkx_small_restrict_kernelIi19rocblas_complex_numIfELi16ELb1ELb0ELc84ELc85EKS1_S1_EviT_T0_PT6_S3_lS6_S3_lS4_PT7_S3_li.has_indirect_call, 0
	.section	.AMDGPU.csdata,"",@progbits
; Kernel info:
; codeLenInByte = 1124
; TotalNumSgprs: 22
; NumVgprs: 33
; ScratchSize: 0
; MemoryBound: 0
; FloatMode: 240
; IeeeMode: 1
; LDSByteSize: 4096 bytes/workgroup (compile time only)
; SGPRBlocks: 2
; VGPRBlocks: 8
; NumSGPRsForWavesPerEU: 22
; NumVGPRsForWavesPerEU: 33
; Occupancy: 7
; WaveLimiterHint : 0
; COMPUTE_PGM_RSRC2:SCRATCH_EN: 0
; COMPUTE_PGM_RSRC2:USER_SGPR: 6
; COMPUTE_PGM_RSRC2:TRAP_HANDLER: 0
; COMPUTE_PGM_RSRC2:TGID_X_EN: 1
; COMPUTE_PGM_RSRC2:TGID_Y_EN: 1
; COMPUTE_PGM_RSRC2:TGID_Z_EN: 1
; COMPUTE_PGM_RSRC2:TIDIG_COMP_CNT: 1
	.section	.text._ZL41rocblas_syrkx_herkx_small_restrict_kernelIi19rocblas_complex_numIfELi16ELb1ELb0ELc67ELc85EKS1_S1_EviT_T0_PT6_S3_lS6_S3_lS4_PT7_S3_li,"axG",@progbits,_ZL41rocblas_syrkx_herkx_small_restrict_kernelIi19rocblas_complex_numIfELi16ELb1ELb0ELc67ELc85EKS1_S1_EviT_T0_PT6_S3_lS6_S3_lS4_PT7_S3_li,comdat
	.globl	_ZL41rocblas_syrkx_herkx_small_restrict_kernelIi19rocblas_complex_numIfELi16ELb1ELb0ELc67ELc85EKS1_S1_EviT_T0_PT6_S3_lS6_S3_lS4_PT7_S3_li ; -- Begin function _ZL41rocblas_syrkx_herkx_small_restrict_kernelIi19rocblas_complex_numIfELi16ELb1ELb0ELc67ELc85EKS1_S1_EviT_T0_PT6_S3_lS6_S3_lS4_PT7_S3_li
	.p2align	8
	.type	_ZL41rocblas_syrkx_herkx_small_restrict_kernelIi19rocblas_complex_numIfELi16ELb1ELb0ELc67ELc85EKS1_S1_EviT_T0_PT6_S3_lS6_S3_lS4_PT7_S3_li,@function
_ZL41rocblas_syrkx_herkx_small_restrict_kernelIi19rocblas_complex_numIfELi16ELb1ELb0ELc67ELc85EKS1_S1_EviT_T0_PT6_S3_lS6_S3_lS4_PT7_S3_li: ; @_ZL41rocblas_syrkx_herkx_small_restrict_kernelIi19rocblas_complex_numIfELi16ELb1ELb0ELc67ELc85EKS1_S1_EviT_T0_PT6_S3_lS6_S3_lS4_PT7_S3_li
; %bb.0:
	s_load_dword s9, s[4:5], 0x4
	s_load_dwordx4 s[0:3], s[4:5], 0x8
	s_mov_b32 s10, 0
	v_lshl_add_u32 v2, s6, 4, v0
	v_lshl_add_u32 v5, s7, 4, v1
	s_waitcnt lgkmcnt(0)
	s_cmp_lt_i32 s9, 1
	s_cbranch_scc1 .LBB196_6
; %bb.1:
	s_load_dword s11, s[4:5], 0x18
	s_load_dwordx4 s[12:15], s[4:5], 0x20
	s_load_dword s16, s[4:5], 0x30
	s_load_dwordx2 s[6:7], s[4:5], 0x38
	v_lshlrev_b32_e32 v6, 3, v0
	v_lshlrev_b32_e32 v8, 7, v1
	;; [unrolled: 1-line block ×3, first 2 shown]
	s_waitcnt lgkmcnt(0)
	v_mad_i64_i32 v[3:4], s[16:17], s16, v5, 0
	s_mul_i32 s7, s7, s8
	s_mul_hi_u32 s16, s6, s8
	v_lshlrev_b64 v[3:4], 3, v[3:4]
	s_add_i32 s7, s16, s7
	s_mul_i32 s6, s6, s8
	s_lshl_b64 s[6:7], s[6:7], 3
	v_mov_b32_e32 v0, s7
	v_add_co_u32_e32 v3, vcc, s6, v3
	v_mad_i64_i32 v[11:12], s[6:7], s11, v2, 0
	v_addc_co_u32_e32 v0, vcc, v4, v0, vcc
	v_add_co_u32_e32 v3, vcc, v3, v6
	v_addc_co_u32_e32 v0, vcc, 0, v0, vcc
	s_mul_i32 s6, s13, s8
	s_mul_hi_u32 s7, s12, s8
	v_mov_b32_e32 v4, s15
	v_add_co_u32_e32 v3, vcc, s14, v3
	v_lshlrev_b64 v[11:12], 3, v[11:12]
	s_add_i32 s7, s7, s6
	s_mul_i32 s6, s12, s8
	v_addc_co_u32_e32 v4, vcc, v4, v0, vcc
	s_lshl_b64 s[6:7], s[6:7], 3
	v_mov_b32_e32 v0, s7
	v_add_co_u32_e32 v11, vcc, s6, v11
	v_addc_co_u32_e32 v0, vcc, v12, v0, vcc
	v_add_co_u32_e32 v1, vcc, v11, v1
	v_addc_co_u32_e32 v0, vcc, 0, v0, vcc
	v_mov_b32_e32 v11, s3
	v_add_co_u32_e32 v1, vcc, s2, v1
	v_addc_co_u32_e32 v11, vcc, v11, v0, vcc
	v_add_u32_e32 v7, v6, v8
	v_add_u32_e32 v8, 0x800, v8
	v_add_co_u32_e32 v0, vcc, 4, v1
	v_add_u32_e32 v9, v8, v6
	v_mov_b32_e32 v10, 0
	v_addc_co_u32_e32 v1, vcc, 0, v11, vcc
	v_mov_b32_e32 v11, 0
.LBB196_2:                              ; =>This Inner Loop Header: Depth=1
	global_load_dwordx2 v[12:13], v[0:1], off offset:-4
	s_add_i32 s10, s10, 16
	s_cmp_lt_i32 s10, s9
	s_waitcnt vmcnt(0)
	ds_write_b64 v7, v[12:13]
	global_load_dwordx2 v[12:13], v[3:4], off
	v_add_co_u32_e32 v3, vcc, 0x80, v3
	v_addc_co_u32_e32 v4, vcc, 0, v4, vcc
	v_add_co_u32_e32 v0, vcc, 0x80, v0
	v_addc_co_u32_e32 v1, vcc, 0, v1, vcc
	s_waitcnt vmcnt(0)
	ds_write_b64 v9, v[12:13]
	s_waitcnt lgkmcnt(0)
	s_barrier
	ds_read2_b64 v[12:15], v6 offset1:16
	ds_read_b128 v[16:19], v8
	ds_read_b128 v[20:23], v8 offset:16
	ds_read_b128 v[24:27], v8 offset:32
	;; [unrolled: 1-line block ×3, first 2 shown]
	s_waitcnt lgkmcnt(3)
	v_mul_f32_e32 v32, v17, v13
	v_mul_f32_e32 v13, v16, v13
	v_fmac_f32_e32 v13, v17, v12
	v_fma_f32 v32, v16, v12, -v32
	v_add_f32_e32 v10, v10, v13
	v_mul_f32_e32 v12, v19, v15
	v_mul_f32_e32 v13, v18, v15
	v_add_f32_e32 v11, v11, v32
	v_fma_f32 v12, v18, v14, -v12
	v_fmac_f32_e32 v13, v19, v14
	v_add_f32_e32 v14, v11, v12
	v_add_f32_e32 v15, v10, v13
	ds_read2_b64 v[10:13], v6 offset0:32 offset1:48
	s_waitcnt lgkmcnt(0)
	v_mul_f32_e32 v16, v21, v11
	v_fma_f32 v16, v20, v10, -v16
	v_mul_f32_e32 v11, v20, v11
	v_fmac_f32_e32 v11, v21, v10
	v_add_f32_e32 v10, v14, v16
	v_mul_f32_e32 v14, v23, v13
	v_mul_f32_e32 v13, v22, v13
	v_add_f32_e32 v11, v15, v11
	v_fma_f32 v14, v22, v12, -v14
	v_fmac_f32_e32 v13, v23, v12
	v_add_f32_e32 v14, v10, v14
	v_add_f32_e32 v15, v11, v13
	ds_read2_b64 v[10:13], v6 offset0:64 offset1:80
	s_waitcnt lgkmcnt(0)
	v_mul_f32_e32 v16, v25, v11
	v_fma_f32 v16, v24, v10, -v16
	v_mul_f32_e32 v11, v24, v11
	v_fmac_f32_e32 v11, v25, v10
	;; [unrolled: 14-line block ×3, first 2 shown]
	v_add_f32_e32 v10, v14, v16
	v_mul_f32_e32 v14, v31, v13
	v_mul_f32_e32 v13, v30, v13
	v_add_f32_e32 v11, v15, v11
	v_fma_f32 v14, v30, v12, -v14
	v_fmac_f32_e32 v13, v31, v12
	v_add_f32_e32 v18, v10, v14
	v_add_f32_e32 v19, v11, v13
	ds_read2_b64 v[10:13], v6 offset0:128 offset1:144
	ds_read_b128 v[14:17], v8 offset:64
	s_waitcnt lgkmcnt(0)
	v_mul_f32_e32 v20, v15, v11
	v_mul_f32_e32 v11, v14, v11
	v_fma_f32 v20, v14, v10, -v20
	v_fmac_f32_e32 v11, v15, v10
	v_mul_f32_e32 v14, v17, v13
	v_mul_f32_e32 v13, v16, v13
	v_add_f32_e32 v10, v18, v20
	v_add_f32_e32 v11, v19, v11
	v_fma_f32 v14, v16, v12, -v14
	v_fmac_f32_e32 v13, v17, v12
	v_add_f32_e32 v18, v10, v14
	v_add_f32_e32 v19, v11, v13
	ds_read2_b64 v[10:13], v6 offset0:160 offset1:176
	ds_read_b128 v[14:17], v8 offset:80
	s_waitcnt lgkmcnt(0)
	v_mul_f32_e32 v20, v15, v11
	v_mul_f32_e32 v11, v14, v11
	v_fma_f32 v20, v14, v10, -v20
	v_fmac_f32_e32 v11, v15, v10
	v_mul_f32_e32 v14, v17, v13
	v_mul_f32_e32 v13, v16, v13
	v_add_f32_e32 v10, v18, v20
	;; [unrolled: 15-line block ×3, first 2 shown]
	v_add_f32_e32 v11, v19, v11
	v_fma_f32 v14, v16, v12, -v14
	v_fmac_f32_e32 v13, v17, v12
	v_add_f32_e32 v18, v10, v14
	v_add_f32_e32 v19, v11, v13
	ds_read2_b64 v[10:13], v6 offset0:224 offset1:240
	ds_read_b128 v[14:17], v8 offset:112
	s_waitcnt lgkmcnt(0)
	s_barrier
	v_mul_f32_e32 v20, v15, v11
	v_mul_f32_e32 v11, v14, v11
	v_fmac_f32_e32 v11, v15, v10
	v_fma_f32 v20, v14, v10, -v20
	v_add_f32_e32 v14, v19, v11
	v_mul_f32_e32 v11, v17, v13
	v_mul_f32_e32 v13, v16, v13
	v_add_f32_e32 v10, v18, v20
	v_fma_f32 v11, v16, v12, -v11
	v_fmac_f32_e32 v13, v17, v12
	v_add_f32_e32 v11, v10, v11
	v_add_f32_e32 v10, v14, v13
	s_cbranch_scc1 .LBB196_2
; %bb.3:
	v_cmp_le_i32_e32 vcc, v2, v5
	s_and_saveexec_b64 s[2:3], vcc
	s_cbranch_execz .LBB196_5
.LBB196_4:
	s_load_dwordx2 s[2:3], s[4:5], 0x58
	s_load_dwordx2 s[6:7], s[4:5], 0x48
	s_load_dword s9, s[4:5], 0x50
	v_ashrrev_i32_e32 v3, 31, v2
	v_lshlrev_b64 v[2:3], 3, v[2:3]
	s_waitcnt lgkmcnt(0)
	s_mul_i32 s3, s3, s8
	s_mul_hi_u32 s4, s2, s8
	s_mul_i32 s2, s2, s8
	s_add_i32 s3, s4, s3
	s_lshl_b64 s[2:3], s[2:3], 3
	s_add_u32 s4, s6, s2
	s_addc_u32 s5, s7, s3
	v_mad_i64_i32 v[4:5], s[2:3], s9, v5, 0
	v_mov_b32_e32 v6, s5
	v_mul_f32_e32 v0, s1, v10
	v_lshlrev_b64 v[4:5], 3, v[4:5]
	v_mul_f32_e32 v1, s0, v10
	v_add_co_u32_e32 v4, vcc, s4, v4
	v_addc_co_u32_e32 v5, vcc, v6, v5, vcc
	v_add_co_u32_e32 v2, vcc, v4, v2
	v_fma_f32 v0, v11, s0, -v0
	v_fmac_f32_e32 v1, s1, v11
	v_addc_co_u32_e32 v3, vcc, v5, v3, vcc
	global_store_dwordx2 v[2:3], v[0:1], off
.LBB196_5:
	s_endpgm
.LBB196_6:
	v_mov_b32_e32 v10, 0
	v_mov_b32_e32 v11, 0
	v_cmp_le_i32_e32 vcc, v2, v5
	s_and_saveexec_b64 s[2:3], vcc
	s_cbranch_execnz .LBB196_4
	s_branch .LBB196_5
	.section	.rodata,"a",@progbits
	.p2align	6, 0x0
	.amdhsa_kernel _ZL41rocblas_syrkx_herkx_small_restrict_kernelIi19rocblas_complex_numIfELi16ELb1ELb0ELc67ELc85EKS1_S1_EviT_T0_PT6_S3_lS6_S3_lS4_PT7_S3_li
		.amdhsa_group_segment_fixed_size 4096
		.amdhsa_private_segment_fixed_size 0
		.amdhsa_kernarg_size 100
		.amdhsa_user_sgpr_count 6
		.amdhsa_user_sgpr_private_segment_buffer 1
		.amdhsa_user_sgpr_dispatch_ptr 0
		.amdhsa_user_sgpr_queue_ptr 0
		.amdhsa_user_sgpr_kernarg_segment_ptr 1
		.amdhsa_user_sgpr_dispatch_id 0
		.amdhsa_user_sgpr_flat_scratch_init 0
		.amdhsa_user_sgpr_private_segment_size 0
		.amdhsa_uses_dynamic_stack 0
		.amdhsa_system_sgpr_private_segment_wavefront_offset 0
		.amdhsa_system_sgpr_workgroup_id_x 1
		.amdhsa_system_sgpr_workgroup_id_y 1
		.amdhsa_system_sgpr_workgroup_id_z 1
		.amdhsa_system_sgpr_workgroup_info 0
		.amdhsa_system_vgpr_workitem_id 1
		.amdhsa_next_free_vgpr 33
		.amdhsa_next_free_sgpr 18
		.amdhsa_reserve_vcc 1
		.amdhsa_reserve_flat_scratch 0
		.amdhsa_float_round_mode_32 0
		.amdhsa_float_round_mode_16_64 0
		.amdhsa_float_denorm_mode_32 3
		.amdhsa_float_denorm_mode_16_64 3
		.amdhsa_dx10_clamp 1
		.amdhsa_ieee_mode 1
		.amdhsa_fp16_overflow 0
		.amdhsa_exception_fp_ieee_invalid_op 0
		.amdhsa_exception_fp_denorm_src 0
		.amdhsa_exception_fp_ieee_div_zero 0
		.amdhsa_exception_fp_ieee_overflow 0
		.amdhsa_exception_fp_ieee_underflow 0
		.amdhsa_exception_fp_ieee_inexact 0
		.amdhsa_exception_int_div_zero 0
	.end_amdhsa_kernel
	.section	.text._ZL41rocblas_syrkx_herkx_small_restrict_kernelIi19rocblas_complex_numIfELi16ELb1ELb0ELc67ELc85EKS1_S1_EviT_T0_PT6_S3_lS6_S3_lS4_PT7_S3_li,"axG",@progbits,_ZL41rocblas_syrkx_herkx_small_restrict_kernelIi19rocblas_complex_numIfELi16ELb1ELb0ELc67ELc85EKS1_S1_EviT_T0_PT6_S3_lS6_S3_lS4_PT7_S3_li,comdat
.Lfunc_end196:
	.size	_ZL41rocblas_syrkx_herkx_small_restrict_kernelIi19rocblas_complex_numIfELi16ELb1ELb0ELc67ELc85EKS1_S1_EviT_T0_PT6_S3_lS6_S3_lS4_PT7_S3_li, .Lfunc_end196-_ZL41rocblas_syrkx_herkx_small_restrict_kernelIi19rocblas_complex_numIfELi16ELb1ELb0ELc67ELc85EKS1_S1_EviT_T0_PT6_S3_lS6_S3_lS4_PT7_S3_li
                                        ; -- End function
	.set _ZL41rocblas_syrkx_herkx_small_restrict_kernelIi19rocblas_complex_numIfELi16ELb1ELb0ELc67ELc85EKS1_S1_EviT_T0_PT6_S3_lS6_S3_lS4_PT7_S3_li.num_vgpr, 33
	.set _ZL41rocblas_syrkx_herkx_small_restrict_kernelIi19rocblas_complex_numIfELi16ELb1ELb0ELc67ELc85EKS1_S1_EviT_T0_PT6_S3_lS6_S3_lS4_PT7_S3_li.num_agpr, 0
	.set _ZL41rocblas_syrkx_herkx_small_restrict_kernelIi19rocblas_complex_numIfELi16ELb1ELb0ELc67ELc85EKS1_S1_EviT_T0_PT6_S3_lS6_S3_lS4_PT7_S3_li.numbered_sgpr, 18
	.set _ZL41rocblas_syrkx_herkx_small_restrict_kernelIi19rocblas_complex_numIfELi16ELb1ELb0ELc67ELc85EKS1_S1_EviT_T0_PT6_S3_lS6_S3_lS4_PT7_S3_li.num_named_barrier, 0
	.set _ZL41rocblas_syrkx_herkx_small_restrict_kernelIi19rocblas_complex_numIfELi16ELb1ELb0ELc67ELc85EKS1_S1_EviT_T0_PT6_S3_lS6_S3_lS4_PT7_S3_li.private_seg_size, 0
	.set _ZL41rocblas_syrkx_herkx_small_restrict_kernelIi19rocblas_complex_numIfELi16ELb1ELb0ELc67ELc85EKS1_S1_EviT_T0_PT6_S3_lS6_S3_lS4_PT7_S3_li.uses_vcc, 1
	.set _ZL41rocblas_syrkx_herkx_small_restrict_kernelIi19rocblas_complex_numIfELi16ELb1ELb0ELc67ELc85EKS1_S1_EviT_T0_PT6_S3_lS6_S3_lS4_PT7_S3_li.uses_flat_scratch, 0
	.set _ZL41rocblas_syrkx_herkx_small_restrict_kernelIi19rocblas_complex_numIfELi16ELb1ELb0ELc67ELc85EKS1_S1_EviT_T0_PT6_S3_lS6_S3_lS4_PT7_S3_li.has_dyn_sized_stack, 0
	.set _ZL41rocblas_syrkx_herkx_small_restrict_kernelIi19rocblas_complex_numIfELi16ELb1ELb0ELc67ELc85EKS1_S1_EviT_T0_PT6_S3_lS6_S3_lS4_PT7_S3_li.has_recursion, 0
	.set _ZL41rocblas_syrkx_herkx_small_restrict_kernelIi19rocblas_complex_numIfELi16ELb1ELb0ELc67ELc85EKS1_S1_EviT_T0_PT6_S3_lS6_S3_lS4_PT7_S3_li.has_indirect_call, 0
	.section	.AMDGPU.csdata,"",@progbits
; Kernel info:
; codeLenInByte = 1132
; TotalNumSgprs: 22
; NumVgprs: 33
; ScratchSize: 0
; MemoryBound: 0
; FloatMode: 240
; IeeeMode: 1
; LDSByteSize: 4096 bytes/workgroup (compile time only)
; SGPRBlocks: 2
; VGPRBlocks: 8
; NumSGPRsForWavesPerEU: 22
; NumVGPRsForWavesPerEU: 33
; Occupancy: 7
; WaveLimiterHint : 0
; COMPUTE_PGM_RSRC2:SCRATCH_EN: 0
; COMPUTE_PGM_RSRC2:USER_SGPR: 6
; COMPUTE_PGM_RSRC2:TRAP_HANDLER: 0
; COMPUTE_PGM_RSRC2:TGID_X_EN: 1
; COMPUTE_PGM_RSRC2:TGID_Y_EN: 1
; COMPUTE_PGM_RSRC2:TGID_Z_EN: 1
; COMPUTE_PGM_RSRC2:TIDIG_COMP_CNT: 1
	.section	.text._ZL41rocblas_syrkx_herkx_small_restrict_kernelIi19rocblas_complex_numIfELi16ELb1ELb0ELc78ELc85EKS1_S1_EviT_T0_PT6_S3_lS6_S3_lS4_PT7_S3_li,"axG",@progbits,_ZL41rocblas_syrkx_herkx_small_restrict_kernelIi19rocblas_complex_numIfELi16ELb1ELb0ELc78ELc85EKS1_S1_EviT_T0_PT6_S3_lS6_S3_lS4_PT7_S3_li,comdat
	.globl	_ZL41rocblas_syrkx_herkx_small_restrict_kernelIi19rocblas_complex_numIfELi16ELb1ELb0ELc78ELc85EKS1_S1_EviT_T0_PT6_S3_lS6_S3_lS4_PT7_S3_li ; -- Begin function _ZL41rocblas_syrkx_herkx_small_restrict_kernelIi19rocblas_complex_numIfELi16ELb1ELb0ELc78ELc85EKS1_S1_EviT_T0_PT6_S3_lS6_S3_lS4_PT7_S3_li
	.p2align	8
	.type	_ZL41rocblas_syrkx_herkx_small_restrict_kernelIi19rocblas_complex_numIfELi16ELb1ELb0ELc78ELc85EKS1_S1_EviT_T0_PT6_S3_lS6_S3_lS4_PT7_S3_li,@function
_ZL41rocblas_syrkx_herkx_small_restrict_kernelIi19rocblas_complex_numIfELi16ELb1ELb0ELc78ELc85EKS1_S1_EviT_T0_PT6_S3_lS6_S3_lS4_PT7_S3_li: ; @_ZL41rocblas_syrkx_herkx_small_restrict_kernelIi19rocblas_complex_numIfELi16ELb1ELb0ELc78ELc85EKS1_S1_EviT_T0_PT6_S3_lS6_S3_lS4_PT7_S3_li
; %bb.0:
	s_load_dword s9, s[4:5], 0x4
	s_load_dwordx4 s[0:3], s[4:5], 0x8
	v_lshl_add_u32 v2, s6, 4, v0
	s_mov_b32 s10, 0
	v_lshl_add_u32 v4, s7, 4, v1
	s_waitcnt lgkmcnt(0)
	s_cmp_lt_i32 s9, 1
	v_ashrrev_i32_e32 v3, 31, v2
	s_cbranch_scc1 .LBB197_6
; %bb.1:
	s_load_dword s16, s[4:5], 0x18
	s_load_dword s6, s[4:5], 0x30
	s_load_dwordx2 s[18:19], s[4:5], 0x38
	s_load_dwordx4 s[12:15], s[4:5], 0x20
	v_lshlrev_b32_e32 v6, 7, v1
	v_lshlrev_b32_e32 v7, 3, v0
	s_waitcnt lgkmcnt(0)
	v_mad_i64_i32 v[10:11], s[20:21], s6, v0, 0
	s_mul_i32 s11, s19, s8
	s_mul_hi_u32 s19, s18, s8
	s_add_i32 s19, s19, s11
	s_mul_i32 s18, s18, s8
	v_lshlrev_b64 v[10:11], 3, v[10:11]
	v_ashrrev_i32_e32 v5, 31, v4
	s_lshl_b64 s[18:19], s[18:19], 3
	v_add_u32_e32 v8, v7, v6
	v_add_u32_e32 v9, 0x800, v6
	v_mov_b32_e32 v0, s19
	v_add_co_u32_e32 v10, vcc, s18, v10
	v_lshlrev_b64 v[5:6], 3, v[4:5]
	v_addc_co_u32_e32 v0, vcc, v0, v11, vcc
	v_add_co_u32_e32 v5, vcc, v10, v5
	v_addc_co_u32_e32 v0, vcc, v0, v6, vcc
	v_mov_b32_e32 v6, s15
	v_add_co_u32_e32 v5, vcc, s14, v5
	v_addc_co_u32_e32 v0, vcc, v6, v0, vcc
	v_add_co_u32_e32 v5, vcc, 4, v5
	v_addc_co_u32_e32 v6, vcc, 0, v0, vcc
	v_mad_i64_i32 v[0:1], s[14:15], s16, v1, 0
	s_mul_i32 s11, s13, s8
	s_mul_hi_u32 s13, s12, s8
	s_add_i32 s13, s13, s11
	s_mul_i32 s12, s12, s8
	v_lshlrev_b64 v[0:1], 3, v[0:1]
	s_lshl_b64 s[12:13], s[12:13], 3
	v_mov_b32_e32 v10, s13
	v_add_co_u32_e32 v11, vcc, s12, v0
	v_addc_co_u32_e32 v10, vcc, v10, v1, vcc
	v_lshlrev_b64 v[0:1], 3, v[2:3]
	s_ashr_i32 s17, s16, 31
	v_add_co_u32_e32 v0, vcc, v11, v0
	s_ashr_i32 s7, s6, 31
	v_addc_co_u32_e32 v1, vcc, v10, v1, vcc
	s_lshl_b64 s[6:7], s[6:7], 7
	v_mov_b32_e32 v10, s3
	v_add_co_u32_e32 v0, vcc, s2, v0
	s_lshl_b64 s[2:3], s[16:17], 7
	v_addc_co_u32_e32 v1, vcc, v10, v1, vcc
	v_mov_b32_e32 v12, 0
	v_mov_b32_e32 v10, s7
	;; [unrolled: 1-line block ×4, first 2 shown]
.LBB197_2:                              ; =>This Inner Loop Header: Depth=1
	global_load_dwordx2 v[14:15], v[0:1], off
	v_add_u32_e32 v16, v9, v7
	s_add_i32 s10, s10, 16
	s_cmp_lt_i32 s10, s9
	s_waitcnt vmcnt(0)
	ds_write_b64 v8, v[14:15]
	global_load_dwordx2 v[14:15], v[5:6], off offset:-4
	v_add_co_u32_e32 v5, vcc, s6, v5
	v_addc_co_u32_e32 v6, vcc, v6, v10, vcc
	v_add_co_u32_e32 v0, vcc, s2, v0
	v_addc_co_u32_e32 v1, vcc, v1, v11, vcc
	s_waitcnt vmcnt(0)
	ds_write_b64 v16, v[14:15]
	s_waitcnt lgkmcnt(0)
	s_barrier
	ds_read2_b64 v[14:17], v7 offset1:16
	ds_read_b128 v[18:21], v9
	ds_read_b128 v[22:25], v9 offset:16
	ds_read_b128 v[26:29], v9 offset:32
	ds_read_b128 v[30:33], v9 offset:48
	s_waitcnt lgkmcnt(3)
	v_mul_f32_e32 v34, v19, v15
	v_mul_f32_e32 v15, v18, v15
	v_fmac_f32_e32 v15, v19, v14
	v_fma_f32 v34, v18, v14, -v34
	v_add_f32_e32 v12, v12, v15
	v_mul_f32_e32 v14, v21, v17
	v_mul_f32_e32 v15, v20, v17
	v_add_f32_e32 v13, v13, v34
	v_fma_f32 v14, v20, v16, -v14
	v_fmac_f32_e32 v15, v21, v16
	v_add_f32_e32 v16, v13, v14
	v_add_f32_e32 v17, v12, v15
	ds_read2_b64 v[12:15], v7 offset0:32 offset1:48
	s_waitcnt lgkmcnt(0)
	v_mul_f32_e32 v18, v23, v13
	v_fma_f32 v18, v22, v12, -v18
	v_mul_f32_e32 v13, v22, v13
	v_fmac_f32_e32 v13, v23, v12
	v_add_f32_e32 v12, v16, v18
	v_mul_f32_e32 v16, v25, v15
	v_mul_f32_e32 v15, v24, v15
	v_add_f32_e32 v13, v17, v13
	v_fma_f32 v16, v24, v14, -v16
	v_fmac_f32_e32 v15, v25, v14
	v_add_f32_e32 v16, v12, v16
	v_add_f32_e32 v17, v13, v15
	ds_read2_b64 v[12:15], v7 offset0:64 offset1:80
	s_waitcnt lgkmcnt(0)
	v_mul_f32_e32 v18, v27, v13
	v_fma_f32 v18, v26, v12, -v18
	v_mul_f32_e32 v13, v26, v13
	v_fmac_f32_e32 v13, v27, v12
	;; [unrolled: 14-line block ×3, first 2 shown]
	v_add_f32_e32 v12, v16, v18
	v_mul_f32_e32 v16, v33, v15
	v_mul_f32_e32 v15, v32, v15
	v_add_f32_e32 v13, v17, v13
	v_fma_f32 v16, v32, v14, -v16
	v_fmac_f32_e32 v15, v33, v14
	v_add_f32_e32 v20, v12, v16
	v_add_f32_e32 v21, v13, v15
	ds_read2_b64 v[12:15], v7 offset0:128 offset1:144
	ds_read_b128 v[16:19], v9 offset:64
	s_waitcnt lgkmcnt(0)
	v_mul_f32_e32 v22, v17, v13
	v_mul_f32_e32 v13, v16, v13
	v_fma_f32 v22, v16, v12, -v22
	v_fmac_f32_e32 v13, v17, v12
	v_mul_f32_e32 v16, v19, v15
	v_mul_f32_e32 v15, v18, v15
	v_add_f32_e32 v12, v20, v22
	v_add_f32_e32 v13, v21, v13
	v_fma_f32 v16, v18, v14, -v16
	v_fmac_f32_e32 v15, v19, v14
	v_add_f32_e32 v20, v12, v16
	v_add_f32_e32 v21, v13, v15
	ds_read2_b64 v[12:15], v7 offset0:160 offset1:176
	ds_read_b128 v[16:19], v9 offset:80
	s_waitcnt lgkmcnt(0)
	v_mul_f32_e32 v22, v17, v13
	v_mul_f32_e32 v13, v16, v13
	v_fma_f32 v22, v16, v12, -v22
	v_fmac_f32_e32 v13, v17, v12
	v_mul_f32_e32 v16, v19, v15
	v_mul_f32_e32 v15, v18, v15
	v_add_f32_e32 v12, v20, v22
	;; [unrolled: 15-line block ×3, first 2 shown]
	v_add_f32_e32 v13, v21, v13
	v_fma_f32 v16, v18, v14, -v16
	v_fmac_f32_e32 v15, v19, v14
	v_add_f32_e32 v20, v12, v16
	v_add_f32_e32 v21, v13, v15
	ds_read2_b64 v[12:15], v7 offset0:224 offset1:240
	ds_read_b128 v[16:19], v9 offset:112
	s_waitcnt lgkmcnt(0)
	s_barrier
	v_mul_f32_e32 v22, v17, v13
	v_mul_f32_e32 v13, v16, v13
	v_fmac_f32_e32 v13, v17, v12
	v_fma_f32 v22, v16, v12, -v22
	v_add_f32_e32 v16, v21, v13
	v_mul_f32_e32 v13, v19, v15
	v_mul_f32_e32 v15, v18, v15
	v_add_f32_e32 v12, v20, v22
	v_fma_f32 v13, v18, v14, -v13
	v_fmac_f32_e32 v15, v19, v14
	v_add_f32_e32 v13, v12, v13
	v_add_f32_e32 v12, v16, v15
	s_cbranch_scc1 .LBB197_2
; %bb.3:
	v_cmp_le_i32_e32 vcc, v2, v4
	s_and_saveexec_b64 s[2:3], vcc
	s_cbranch_execz .LBB197_5
.LBB197_4:
	s_load_dwordx2 s[2:3], s[4:5], 0x58
	s_load_dwordx2 s[6:7], s[4:5], 0x48
	s_load_dword s9, s[4:5], 0x50
	v_mul_f32_e32 v5, s1, v12
	s_waitcnt lgkmcnt(0)
	s_mul_i32 s3, s3, s8
	s_mul_hi_u32 s4, s2, s8
	s_mul_i32 s2, s2, s8
	s_add_i32 s3, s4, s3
	s_lshl_b64 s[2:3], s[2:3], 3
	s_add_u32 s4, s6, s2
	s_addc_u32 s5, s7, s3
	v_mad_i64_i32 v[0:1], s[2:3], s9, v4, 0
	v_mov_b32_e32 v6, s5
	v_fma_f32 v4, v13, s0, -v5
	v_lshlrev_b64 v[0:1], 3, v[0:1]
	v_mul_f32_e32 v5, s0, v12
	v_add_co_u32_e32 v7, vcc, s4, v0
	v_addc_co_u32_e32 v6, vcc, v6, v1, vcc
	v_lshlrev_b64 v[0:1], 3, v[2:3]
	v_fmac_f32_e32 v5, s1, v13
	v_add_co_u32_e32 v0, vcc, v7, v0
	v_addc_co_u32_e32 v1, vcc, v6, v1, vcc
	global_store_dwordx2 v[0:1], v[4:5], off
.LBB197_5:
	s_endpgm
.LBB197_6:
	v_mov_b32_e32 v12, 0
	v_mov_b32_e32 v13, 0
	v_cmp_le_i32_e32 vcc, v2, v4
	s_and_saveexec_b64 s[2:3], vcc
	s_cbranch_execnz .LBB197_4
	s_branch .LBB197_5
	.section	.rodata,"a",@progbits
	.p2align	6, 0x0
	.amdhsa_kernel _ZL41rocblas_syrkx_herkx_small_restrict_kernelIi19rocblas_complex_numIfELi16ELb1ELb0ELc78ELc85EKS1_S1_EviT_T0_PT6_S3_lS6_S3_lS4_PT7_S3_li
		.amdhsa_group_segment_fixed_size 4096
		.amdhsa_private_segment_fixed_size 0
		.amdhsa_kernarg_size 100
		.amdhsa_user_sgpr_count 6
		.amdhsa_user_sgpr_private_segment_buffer 1
		.amdhsa_user_sgpr_dispatch_ptr 0
		.amdhsa_user_sgpr_queue_ptr 0
		.amdhsa_user_sgpr_kernarg_segment_ptr 1
		.amdhsa_user_sgpr_dispatch_id 0
		.amdhsa_user_sgpr_flat_scratch_init 0
		.amdhsa_user_sgpr_private_segment_size 0
		.amdhsa_uses_dynamic_stack 0
		.amdhsa_system_sgpr_private_segment_wavefront_offset 0
		.amdhsa_system_sgpr_workgroup_id_x 1
		.amdhsa_system_sgpr_workgroup_id_y 1
		.amdhsa_system_sgpr_workgroup_id_z 1
		.amdhsa_system_sgpr_workgroup_info 0
		.amdhsa_system_vgpr_workitem_id 1
		.amdhsa_next_free_vgpr 35
		.amdhsa_next_free_sgpr 22
		.amdhsa_reserve_vcc 1
		.amdhsa_reserve_flat_scratch 0
		.amdhsa_float_round_mode_32 0
		.amdhsa_float_round_mode_16_64 0
		.amdhsa_float_denorm_mode_32 3
		.amdhsa_float_denorm_mode_16_64 3
		.amdhsa_dx10_clamp 1
		.amdhsa_ieee_mode 1
		.amdhsa_fp16_overflow 0
		.amdhsa_exception_fp_ieee_invalid_op 0
		.amdhsa_exception_fp_denorm_src 0
		.amdhsa_exception_fp_ieee_div_zero 0
		.amdhsa_exception_fp_ieee_overflow 0
		.amdhsa_exception_fp_ieee_underflow 0
		.amdhsa_exception_fp_ieee_inexact 0
		.amdhsa_exception_int_div_zero 0
	.end_amdhsa_kernel
	.section	.text._ZL41rocblas_syrkx_herkx_small_restrict_kernelIi19rocblas_complex_numIfELi16ELb1ELb0ELc78ELc85EKS1_S1_EviT_T0_PT6_S3_lS6_S3_lS4_PT7_S3_li,"axG",@progbits,_ZL41rocblas_syrkx_herkx_small_restrict_kernelIi19rocblas_complex_numIfELi16ELb1ELb0ELc78ELc85EKS1_S1_EviT_T0_PT6_S3_lS6_S3_lS4_PT7_S3_li,comdat
.Lfunc_end197:
	.size	_ZL41rocblas_syrkx_herkx_small_restrict_kernelIi19rocblas_complex_numIfELi16ELb1ELb0ELc78ELc85EKS1_S1_EviT_T0_PT6_S3_lS6_S3_lS4_PT7_S3_li, .Lfunc_end197-_ZL41rocblas_syrkx_herkx_small_restrict_kernelIi19rocblas_complex_numIfELi16ELb1ELb0ELc78ELc85EKS1_S1_EviT_T0_PT6_S3_lS6_S3_lS4_PT7_S3_li
                                        ; -- End function
	.set _ZL41rocblas_syrkx_herkx_small_restrict_kernelIi19rocblas_complex_numIfELi16ELb1ELb0ELc78ELc85EKS1_S1_EviT_T0_PT6_S3_lS6_S3_lS4_PT7_S3_li.num_vgpr, 35
	.set _ZL41rocblas_syrkx_herkx_small_restrict_kernelIi19rocblas_complex_numIfELi16ELb1ELb0ELc78ELc85EKS1_S1_EviT_T0_PT6_S3_lS6_S3_lS4_PT7_S3_li.num_agpr, 0
	.set _ZL41rocblas_syrkx_herkx_small_restrict_kernelIi19rocblas_complex_numIfELi16ELb1ELb0ELc78ELc85EKS1_S1_EviT_T0_PT6_S3_lS6_S3_lS4_PT7_S3_li.numbered_sgpr, 22
	.set _ZL41rocblas_syrkx_herkx_small_restrict_kernelIi19rocblas_complex_numIfELi16ELb1ELb0ELc78ELc85EKS1_S1_EviT_T0_PT6_S3_lS6_S3_lS4_PT7_S3_li.num_named_barrier, 0
	.set _ZL41rocblas_syrkx_herkx_small_restrict_kernelIi19rocblas_complex_numIfELi16ELb1ELb0ELc78ELc85EKS1_S1_EviT_T0_PT6_S3_lS6_S3_lS4_PT7_S3_li.private_seg_size, 0
	.set _ZL41rocblas_syrkx_herkx_small_restrict_kernelIi19rocblas_complex_numIfELi16ELb1ELb0ELc78ELc85EKS1_S1_EviT_T0_PT6_S3_lS6_S3_lS4_PT7_S3_li.uses_vcc, 1
	.set _ZL41rocblas_syrkx_herkx_small_restrict_kernelIi19rocblas_complex_numIfELi16ELb1ELb0ELc78ELc85EKS1_S1_EviT_T0_PT6_S3_lS6_S3_lS4_PT7_S3_li.uses_flat_scratch, 0
	.set _ZL41rocblas_syrkx_herkx_small_restrict_kernelIi19rocblas_complex_numIfELi16ELb1ELb0ELc78ELc85EKS1_S1_EviT_T0_PT6_S3_lS6_S3_lS4_PT7_S3_li.has_dyn_sized_stack, 0
	.set _ZL41rocblas_syrkx_herkx_small_restrict_kernelIi19rocblas_complex_numIfELi16ELb1ELb0ELc78ELc85EKS1_S1_EviT_T0_PT6_S3_lS6_S3_lS4_PT7_S3_li.has_recursion, 0
	.set _ZL41rocblas_syrkx_herkx_small_restrict_kernelIi19rocblas_complex_numIfELi16ELb1ELb0ELc78ELc85EKS1_S1_EviT_T0_PT6_S3_lS6_S3_lS4_PT7_S3_li.has_indirect_call, 0
	.section	.AMDGPU.csdata,"",@progbits
; Kernel info:
; codeLenInByte = 1164
; TotalNumSgprs: 26
; NumVgprs: 35
; ScratchSize: 0
; MemoryBound: 0
; FloatMode: 240
; IeeeMode: 1
; LDSByteSize: 4096 bytes/workgroup (compile time only)
; SGPRBlocks: 3
; VGPRBlocks: 8
; NumSGPRsForWavesPerEU: 26
; NumVGPRsForWavesPerEU: 35
; Occupancy: 7
; WaveLimiterHint : 0
; COMPUTE_PGM_RSRC2:SCRATCH_EN: 0
; COMPUTE_PGM_RSRC2:USER_SGPR: 6
; COMPUTE_PGM_RSRC2:TRAP_HANDLER: 0
; COMPUTE_PGM_RSRC2:TGID_X_EN: 1
; COMPUTE_PGM_RSRC2:TGID_Y_EN: 1
; COMPUTE_PGM_RSRC2:TGID_Z_EN: 1
; COMPUTE_PGM_RSRC2:TIDIG_COMP_CNT: 1
	.section	.text._ZL41rocblas_syrkx_herkx_small_restrict_kernelIi19rocblas_complex_numIfELi16ELb0ELb0ELc84ELc76EKS1_S1_EviT_T0_PT6_S3_lS6_S3_lS4_PT7_S3_li,"axG",@progbits,_ZL41rocblas_syrkx_herkx_small_restrict_kernelIi19rocblas_complex_numIfELi16ELb0ELb0ELc84ELc76EKS1_S1_EviT_T0_PT6_S3_lS6_S3_lS4_PT7_S3_li,comdat
	.globl	_ZL41rocblas_syrkx_herkx_small_restrict_kernelIi19rocblas_complex_numIfELi16ELb0ELb0ELc84ELc76EKS1_S1_EviT_T0_PT6_S3_lS6_S3_lS4_PT7_S3_li ; -- Begin function _ZL41rocblas_syrkx_herkx_small_restrict_kernelIi19rocblas_complex_numIfELi16ELb0ELb0ELc84ELc76EKS1_S1_EviT_T0_PT6_S3_lS6_S3_lS4_PT7_S3_li
	.p2align	8
	.type	_ZL41rocblas_syrkx_herkx_small_restrict_kernelIi19rocblas_complex_numIfELi16ELb0ELb0ELc84ELc76EKS1_S1_EviT_T0_PT6_S3_lS6_S3_lS4_PT7_S3_li,@function
_ZL41rocblas_syrkx_herkx_small_restrict_kernelIi19rocblas_complex_numIfELi16ELb0ELb0ELc84ELc76EKS1_S1_EviT_T0_PT6_S3_lS6_S3_lS4_PT7_S3_li: ; @_ZL41rocblas_syrkx_herkx_small_restrict_kernelIi19rocblas_complex_numIfELi16ELb0ELb0ELc84ELc76EKS1_S1_EviT_T0_PT6_S3_lS6_S3_lS4_PT7_S3_li
; %bb.0:
	s_load_dword s9, s[4:5], 0x4
	s_load_dwordx4 s[12:15], s[4:5], 0x8
	s_load_dwordx4 s[0:3], s[4:5], 0x38
	s_load_dwordx2 s[10:11], s[4:5], 0x48
	s_mov_b32 s16, 0
	v_lshl_add_u32 v2, s6, 4, v0
	s_waitcnt lgkmcnt(0)
	s_cmp_lt_i32 s9, 1
	v_lshl_add_u32 v5, s7, 4, v1
	s_cbranch_scc1 .LBB198_6
; %bb.1:
	s_load_dword s17, s[4:5], 0x18
	s_load_dword s6, s[4:5], 0x30
	s_load_dwordx4 s[20:23], s[4:5], 0x20
	s_mul_i32 s1, s1, s8
	v_lshlrev_b32_e32 v6, 3, v0
	v_lshlrev_b32_e32 v8, 7, v1
	s_waitcnt lgkmcnt(0)
	v_mad_i64_i32 v[3:4], s[6:7], s6, v5, 0
	s_mul_hi_u32 s6, s0, s8
	s_add_i32 s1, s6, s1
	v_lshlrev_b64 v[3:4], 3, v[3:4]
	s_mul_i32 s0, s0, s8
	s_lshl_b64 s[0:1], s[0:1], 3
	v_mov_b32_e32 v0, s1
	v_add_co_u32_e32 v3, vcc, s0, v3
	v_mad_i64_i32 v[11:12], s[0:1], s17, v2, 0
	v_addc_co_u32_e32 v0, vcc, v4, v0, vcc
	v_add_co_u32_e32 v3, vcc, v3, v6
	v_addc_co_u32_e32 v0, vcc, 0, v0, vcc
	s_mul_i32 s0, s21, s8
	s_mul_hi_u32 s1, s20, s8
	v_mov_b32_e32 v4, s23
	v_add_co_u32_e32 v3, vcc, s22, v3
	v_lshlrev_b64 v[11:12], 3, v[11:12]
	s_add_i32 s1, s1, s0
	s_mul_i32 s0, s20, s8
	v_addc_co_u32_e32 v4, vcc, v4, v0, vcc
	s_lshl_b64 s[0:1], s[0:1], 3
	v_mov_b32_e32 v0, s1
	v_add_co_u32_e32 v11, vcc, s0, v11
	v_addc_co_u32_e32 v0, vcc, v12, v0, vcc
	v_lshlrev_b32_e32 v1, 3, v1
	v_add_co_u32_e32 v1, vcc, v11, v1
	v_addc_co_u32_e32 v11, vcc, 0, v0, vcc
	v_add_u32_e32 v7, v6, v8
	v_add_u32_e32 v8, 0x800, v8
	v_mov_b32_e32 v12, s15
	v_add_co_u32_e32 v0, vcc, s14, v1
	v_add_u32_e32 v9, v8, v6
	v_mov_b32_e32 v10, 0
	v_addc_co_u32_e32 v1, vcc, v12, v11, vcc
	v_mov_b32_e32 v11, 0
.LBB198_2:                              ; =>This Inner Loop Header: Depth=1
	global_load_dwordx2 v[12:13], v[0:1], off
	s_add_i32 s16, s16, 16
	s_cmp_lt_i32 s16, s9
	s_waitcnt vmcnt(0)
	ds_write_b64 v7, v[12:13]
	global_load_dwordx2 v[12:13], v[3:4], off
	v_add_co_u32_e32 v3, vcc, 0x80, v3
	v_addc_co_u32_e32 v4, vcc, 0, v4, vcc
	v_add_co_u32_e32 v0, vcc, 0x80, v0
	v_addc_co_u32_e32 v1, vcc, 0, v1, vcc
	s_waitcnt vmcnt(0)
	ds_write_b64 v9, v[12:13]
	s_waitcnt lgkmcnt(0)
	s_barrier
	ds_read2_b64 v[12:15], v6 offset1:16
	ds_read_b128 v[16:19], v8
	ds_read_b128 v[20:23], v8 offset:16
	ds_read_b128 v[24:27], v8 offset:32
	;; [unrolled: 1-line block ×3, first 2 shown]
	s_waitcnt lgkmcnt(3)
	v_mul_f32_e32 v32, v17, v13
	v_mul_f32_e32 v13, v16, v13
	v_fmac_f32_e32 v13, v17, v12
	v_fma_f32 v32, v16, v12, -v32
	v_add_f32_e32 v10, v10, v13
	v_mul_f32_e32 v12, v19, v15
	v_mul_f32_e32 v13, v18, v15
	v_add_f32_e32 v11, v11, v32
	v_fma_f32 v12, v18, v14, -v12
	v_fmac_f32_e32 v13, v19, v14
	v_add_f32_e32 v14, v11, v12
	v_add_f32_e32 v15, v10, v13
	ds_read2_b64 v[10:13], v6 offset0:32 offset1:48
	s_waitcnt lgkmcnt(0)
	v_mul_f32_e32 v16, v21, v11
	v_fma_f32 v16, v20, v10, -v16
	v_mul_f32_e32 v11, v20, v11
	v_fmac_f32_e32 v11, v21, v10
	v_add_f32_e32 v10, v14, v16
	v_mul_f32_e32 v14, v23, v13
	v_mul_f32_e32 v13, v22, v13
	v_add_f32_e32 v11, v15, v11
	v_fma_f32 v14, v22, v12, -v14
	v_fmac_f32_e32 v13, v23, v12
	v_add_f32_e32 v14, v10, v14
	v_add_f32_e32 v15, v11, v13
	ds_read2_b64 v[10:13], v6 offset0:64 offset1:80
	s_waitcnt lgkmcnt(0)
	v_mul_f32_e32 v16, v25, v11
	v_fma_f32 v16, v24, v10, -v16
	v_mul_f32_e32 v11, v24, v11
	v_fmac_f32_e32 v11, v25, v10
	v_add_f32_e32 v10, v14, v16
	v_mul_f32_e32 v14, v27, v13
	v_mul_f32_e32 v13, v26, v13
	v_add_f32_e32 v11, v15, v11
	v_fma_f32 v14, v26, v12, -v14
	v_fmac_f32_e32 v13, v27, v12
	v_add_f32_e32 v14, v10, v14
	v_add_f32_e32 v15, v11, v13
	ds_read2_b64 v[10:13], v6 offset0:96 offset1:112
	s_waitcnt lgkmcnt(0)
	v_mul_f32_e32 v16, v29, v11
	v_fma_f32 v16, v28, v10, -v16
	v_mul_f32_e32 v11, v28, v11
	v_fmac_f32_e32 v11, v29, v10
	v_add_f32_e32 v10, v14, v16
	v_mul_f32_e32 v14, v31, v13
	v_mul_f32_e32 v13, v30, v13
	v_add_f32_e32 v11, v15, v11
	v_fma_f32 v14, v30, v12, -v14
	v_fmac_f32_e32 v13, v31, v12
	v_add_f32_e32 v18, v10, v14
	v_add_f32_e32 v19, v11, v13
	ds_read2_b64 v[10:13], v6 offset0:128 offset1:144
	ds_read_b128 v[14:17], v8 offset:64
	s_waitcnt lgkmcnt(0)
	v_mul_f32_e32 v20, v15, v11
	v_mul_f32_e32 v11, v14, v11
	v_fma_f32 v20, v14, v10, -v20
	v_fmac_f32_e32 v11, v15, v10
	v_mul_f32_e32 v14, v17, v13
	v_mul_f32_e32 v13, v16, v13
	v_add_f32_e32 v10, v18, v20
	v_add_f32_e32 v11, v19, v11
	v_fma_f32 v14, v16, v12, -v14
	v_fmac_f32_e32 v13, v17, v12
	v_add_f32_e32 v18, v10, v14
	v_add_f32_e32 v19, v11, v13
	ds_read2_b64 v[10:13], v6 offset0:160 offset1:176
	ds_read_b128 v[14:17], v8 offset:80
	s_waitcnt lgkmcnt(0)
	v_mul_f32_e32 v20, v15, v11
	v_mul_f32_e32 v11, v14, v11
	v_fma_f32 v20, v14, v10, -v20
	v_fmac_f32_e32 v11, v15, v10
	v_mul_f32_e32 v14, v17, v13
	v_mul_f32_e32 v13, v16, v13
	v_add_f32_e32 v10, v18, v20
	;; [unrolled: 15-line block ×3, first 2 shown]
	v_add_f32_e32 v11, v19, v11
	v_fma_f32 v14, v16, v12, -v14
	v_fmac_f32_e32 v13, v17, v12
	v_add_f32_e32 v18, v10, v14
	v_add_f32_e32 v19, v11, v13
	ds_read2_b64 v[10:13], v6 offset0:224 offset1:240
	ds_read_b128 v[14:17], v8 offset:112
	s_waitcnt lgkmcnt(0)
	s_barrier
	v_mul_f32_e32 v20, v15, v11
	v_mul_f32_e32 v11, v14, v11
	v_fmac_f32_e32 v11, v15, v10
	v_fma_f32 v20, v14, v10, -v20
	v_add_f32_e32 v14, v19, v11
	v_mul_f32_e32 v11, v17, v13
	v_mul_f32_e32 v13, v16, v13
	v_add_f32_e32 v10, v18, v20
	v_fma_f32 v11, v16, v12, -v11
	v_fmac_f32_e32 v13, v17, v12
	v_add_f32_e32 v11, v10, v11
	v_add_f32_e32 v10, v14, v13
	s_cbranch_scc1 .LBB198_2
; %bb.3:
	v_cmp_le_i32_e32 vcc, v5, v2
	s_and_saveexec_b64 s[0:1], vcc
	s_cbranch_execz .LBB198_5
.LBB198_4:
	s_load_dwordx2 s[0:1], s[4:5], 0x58
	s_load_dword s6, s[4:5], 0x50
	v_ashrrev_i32_e32 v3, 31, v2
	s_waitcnt lgkmcnt(0)
	s_mul_i32 s1, s1, s8
	s_mul_hi_u32 s4, s0, s8
	s_add_i32 s1, s4, s1
	v_mad_i64_i32 v[0:1], s[4:5], s6, v5, 0
	s_mul_i32 s0, s0, s8
	s_lshl_b64 s[0:1], s[0:1], 3
	s_add_u32 s0, s10, s0
	v_lshlrev_b64 v[0:1], 3, v[0:1]
	s_addc_u32 s1, s11, s1
	v_mov_b32_e32 v4, s1
	v_add_co_u32_e32 v5, vcc, s0, v0
	v_addc_co_u32_e32 v4, vcc, v4, v1, vcc
	v_lshlrev_b64 v[0:1], 3, v[2:3]
	v_add_co_u32_e32 v0, vcc, v5, v0
	v_addc_co_u32_e32 v1, vcc, v4, v1, vcc
	global_load_dwordx2 v[2:3], v[0:1], off
	v_mul_f32_e32 v4, s13, v10
	v_mul_f32_e32 v5, s12, v10
	v_fma_f32 v4, v11, s12, -v4
	v_fmac_f32_e32 v5, s13, v11
	s_waitcnt vmcnt(0)
	v_mul_f32_e32 v6, s3, v3
	v_mul_f32_e32 v3, s2, v3
	v_fma_f32 v6, v2, s2, -v6
	v_fmac_f32_e32 v3, s3, v2
	v_add_f32_e32 v2, v4, v6
	v_add_f32_e32 v3, v5, v3
	global_store_dwordx2 v[0:1], v[2:3], off
.LBB198_5:
	s_endpgm
.LBB198_6:
	v_mov_b32_e32 v10, 0
	v_mov_b32_e32 v11, 0
	v_cmp_le_i32_e32 vcc, v5, v2
	s_and_saveexec_b64 s[0:1], vcc
	s_cbranch_execnz .LBB198_4
	s_branch .LBB198_5
	.section	.rodata,"a",@progbits
	.p2align	6, 0x0
	.amdhsa_kernel _ZL41rocblas_syrkx_herkx_small_restrict_kernelIi19rocblas_complex_numIfELi16ELb0ELb0ELc84ELc76EKS1_S1_EviT_T0_PT6_S3_lS6_S3_lS4_PT7_S3_li
		.amdhsa_group_segment_fixed_size 4096
		.amdhsa_private_segment_fixed_size 0
		.amdhsa_kernarg_size 100
		.amdhsa_user_sgpr_count 6
		.amdhsa_user_sgpr_private_segment_buffer 1
		.amdhsa_user_sgpr_dispatch_ptr 0
		.amdhsa_user_sgpr_queue_ptr 0
		.amdhsa_user_sgpr_kernarg_segment_ptr 1
		.amdhsa_user_sgpr_dispatch_id 0
		.amdhsa_user_sgpr_flat_scratch_init 0
		.amdhsa_user_sgpr_private_segment_size 0
		.amdhsa_uses_dynamic_stack 0
		.amdhsa_system_sgpr_private_segment_wavefront_offset 0
		.amdhsa_system_sgpr_workgroup_id_x 1
		.amdhsa_system_sgpr_workgroup_id_y 1
		.amdhsa_system_sgpr_workgroup_id_z 1
		.amdhsa_system_sgpr_workgroup_info 0
		.amdhsa_system_vgpr_workitem_id 1
		.amdhsa_next_free_vgpr 33
		.amdhsa_next_free_sgpr 24
		.amdhsa_reserve_vcc 1
		.amdhsa_reserve_flat_scratch 0
		.amdhsa_float_round_mode_32 0
		.amdhsa_float_round_mode_16_64 0
		.amdhsa_float_denorm_mode_32 3
		.amdhsa_float_denorm_mode_16_64 3
		.amdhsa_dx10_clamp 1
		.amdhsa_ieee_mode 1
		.amdhsa_fp16_overflow 0
		.amdhsa_exception_fp_ieee_invalid_op 0
		.amdhsa_exception_fp_denorm_src 0
		.amdhsa_exception_fp_ieee_div_zero 0
		.amdhsa_exception_fp_ieee_overflow 0
		.amdhsa_exception_fp_ieee_underflow 0
		.amdhsa_exception_fp_ieee_inexact 0
		.amdhsa_exception_int_div_zero 0
	.end_amdhsa_kernel
	.section	.text._ZL41rocblas_syrkx_herkx_small_restrict_kernelIi19rocblas_complex_numIfELi16ELb0ELb0ELc84ELc76EKS1_S1_EviT_T0_PT6_S3_lS6_S3_lS4_PT7_S3_li,"axG",@progbits,_ZL41rocblas_syrkx_herkx_small_restrict_kernelIi19rocblas_complex_numIfELi16ELb0ELb0ELc84ELc76EKS1_S1_EviT_T0_PT6_S3_lS6_S3_lS4_PT7_S3_li,comdat
.Lfunc_end198:
	.size	_ZL41rocblas_syrkx_herkx_small_restrict_kernelIi19rocblas_complex_numIfELi16ELb0ELb0ELc84ELc76EKS1_S1_EviT_T0_PT6_S3_lS6_S3_lS4_PT7_S3_li, .Lfunc_end198-_ZL41rocblas_syrkx_herkx_small_restrict_kernelIi19rocblas_complex_numIfELi16ELb0ELb0ELc84ELc76EKS1_S1_EviT_T0_PT6_S3_lS6_S3_lS4_PT7_S3_li
                                        ; -- End function
	.set _ZL41rocblas_syrkx_herkx_small_restrict_kernelIi19rocblas_complex_numIfELi16ELb0ELb0ELc84ELc76EKS1_S1_EviT_T0_PT6_S3_lS6_S3_lS4_PT7_S3_li.num_vgpr, 33
	.set _ZL41rocblas_syrkx_herkx_small_restrict_kernelIi19rocblas_complex_numIfELi16ELb0ELb0ELc84ELc76EKS1_S1_EviT_T0_PT6_S3_lS6_S3_lS4_PT7_S3_li.num_agpr, 0
	.set _ZL41rocblas_syrkx_herkx_small_restrict_kernelIi19rocblas_complex_numIfELi16ELb0ELb0ELc84ELc76EKS1_S1_EviT_T0_PT6_S3_lS6_S3_lS4_PT7_S3_li.numbered_sgpr, 24
	.set _ZL41rocblas_syrkx_herkx_small_restrict_kernelIi19rocblas_complex_numIfELi16ELb0ELb0ELc84ELc76EKS1_S1_EviT_T0_PT6_S3_lS6_S3_lS4_PT7_S3_li.num_named_barrier, 0
	.set _ZL41rocblas_syrkx_herkx_small_restrict_kernelIi19rocblas_complex_numIfELi16ELb0ELb0ELc84ELc76EKS1_S1_EviT_T0_PT6_S3_lS6_S3_lS4_PT7_S3_li.private_seg_size, 0
	.set _ZL41rocblas_syrkx_herkx_small_restrict_kernelIi19rocblas_complex_numIfELi16ELb0ELb0ELc84ELc76EKS1_S1_EviT_T0_PT6_S3_lS6_S3_lS4_PT7_S3_li.uses_vcc, 1
	.set _ZL41rocblas_syrkx_herkx_small_restrict_kernelIi19rocblas_complex_numIfELi16ELb0ELb0ELc84ELc76EKS1_S1_EviT_T0_PT6_S3_lS6_S3_lS4_PT7_S3_li.uses_flat_scratch, 0
	.set _ZL41rocblas_syrkx_herkx_small_restrict_kernelIi19rocblas_complex_numIfELi16ELb0ELb0ELc84ELc76EKS1_S1_EviT_T0_PT6_S3_lS6_S3_lS4_PT7_S3_li.has_dyn_sized_stack, 0
	.set _ZL41rocblas_syrkx_herkx_small_restrict_kernelIi19rocblas_complex_numIfELi16ELb0ELb0ELc84ELc76EKS1_S1_EviT_T0_PT6_S3_lS6_S3_lS4_PT7_S3_li.has_recursion, 0
	.set _ZL41rocblas_syrkx_herkx_small_restrict_kernelIi19rocblas_complex_numIfELi16ELb0ELb0ELc84ELc76EKS1_S1_EviT_T0_PT6_S3_lS6_S3_lS4_PT7_S3_li.has_indirect_call, 0
	.section	.AMDGPU.csdata,"",@progbits
; Kernel info:
; codeLenInByte = 1164
; TotalNumSgprs: 28
; NumVgprs: 33
; ScratchSize: 0
; MemoryBound: 0
; FloatMode: 240
; IeeeMode: 1
; LDSByteSize: 4096 bytes/workgroup (compile time only)
; SGPRBlocks: 3
; VGPRBlocks: 8
; NumSGPRsForWavesPerEU: 28
; NumVGPRsForWavesPerEU: 33
; Occupancy: 7
; WaveLimiterHint : 0
; COMPUTE_PGM_RSRC2:SCRATCH_EN: 0
; COMPUTE_PGM_RSRC2:USER_SGPR: 6
; COMPUTE_PGM_RSRC2:TRAP_HANDLER: 0
; COMPUTE_PGM_RSRC2:TGID_X_EN: 1
; COMPUTE_PGM_RSRC2:TGID_Y_EN: 1
; COMPUTE_PGM_RSRC2:TGID_Z_EN: 1
; COMPUTE_PGM_RSRC2:TIDIG_COMP_CNT: 1
	.section	.text._ZL41rocblas_syrkx_herkx_small_restrict_kernelIi19rocblas_complex_numIfELi16ELb0ELb0ELc67ELc76EKS1_S1_EviT_T0_PT6_S3_lS6_S3_lS4_PT7_S3_li,"axG",@progbits,_ZL41rocblas_syrkx_herkx_small_restrict_kernelIi19rocblas_complex_numIfELi16ELb0ELb0ELc67ELc76EKS1_S1_EviT_T0_PT6_S3_lS6_S3_lS4_PT7_S3_li,comdat
	.globl	_ZL41rocblas_syrkx_herkx_small_restrict_kernelIi19rocblas_complex_numIfELi16ELb0ELb0ELc67ELc76EKS1_S1_EviT_T0_PT6_S3_lS6_S3_lS4_PT7_S3_li ; -- Begin function _ZL41rocblas_syrkx_herkx_small_restrict_kernelIi19rocblas_complex_numIfELi16ELb0ELb0ELc67ELc76EKS1_S1_EviT_T0_PT6_S3_lS6_S3_lS4_PT7_S3_li
	.p2align	8
	.type	_ZL41rocblas_syrkx_herkx_small_restrict_kernelIi19rocblas_complex_numIfELi16ELb0ELb0ELc67ELc76EKS1_S1_EviT_T0_PT6_S3_lS6_S3_lS4_PT7_S3_li,@function
_ZL41rocblas_syrkx_herkx_small_restrict_kernelIi19rocblas_complex_numIfELi16ELb0ELb0ELc67ELc76EKS1_S1_EviT_T0_PT6_S3_lS6_S3_lS4_PT7_S3_li: ; @_ZL41rocblas_syrkx_herkx_small_restrict_kernelIi19rocblas_complex_numIfELi16ELb0ELb0ELc67ELc76EKS1_S1_EviT_T0_PT6_S3_lS6_S3_lS4_PT7_S3_li
; %bb.0:
	s_load_dword s9, s[4:5], 0x4
	s_load_dwordx4 s[12:15], s[4:5], 0x8
	s_load_dwordx4 s[0:3], s[4:5], 0x38
	s_load_dwordx2 s[10:11], s[4:5], 0x48
	s_mov_b32 s16, 0
	v_lshl_add_u32 v2, s6, 4, v0
	s_waitcnt lgkmcnt(0)
	s_cmp_lt_i32 s9, 1
	v_lshl_add_u32 v5, s7, 4, v1
	s_cbranch_scc1 .LBB199_6
; %bb.1:
	s_load_dword s17, s[4:5], 0x18
	s_load_dword s6, s[4:5], 0x30
	s_load_dwordx4 s[20:23], s[4:5], 0x20
	s_mul_i32 s1, s1, s8
	v_lshlrev_b32_e32 v6, 3, v0
	v_lshlrev_b32_e32 v8, 7, v1
	s_waitcnt lgkmcnt(0)
	v_mad_i64_i32 v[3:4], s[6:7], s6, v5, 0
	s_mul_hi_u32 s6, s0, s8
	s_add_i32 s1, s6, s1
	v_lshlrev_b64 v[3:4], 3, v[3:4]
	s_mul_i32 s0, s0, s8
	s_lshl_b64 s[0:1], s[0:1], 3
	v_mov_b32_e32 v0, s1
	v_add_co_u32_e32 v3, vcc, s0, v3
	v_mad_i64_i32 v[11:12], s[0:1], s17, v2, 0
	v_addc_co_u32_e32 v0, vcc, v4, v0, vcc
	v_add_co_u32_e32 v3, vcc, v3, v6
	v_addc_co_u32_e32 v0, vcc, 0, v0, vcc
	s_mul_i32 s0, s21, s8
	s_mul_hi_u32 s1, s20, s8
	v_mov_b32_e32 v4, s23
	v_add_co_u32_e32 v3, vcc, s22, v3
	v_lshlrev_b64 v[11:12], 3, v[11:12]
	s_add_i32 s1, s1, s0
	s_mul_i32 s0, s20, s8
	v_addc_co_u32_e32 v4, vcc, v4, v0, vcc
	s_lshl_b64 s[0:1], s[0:1], 3
	v_mov_b32_e32 v0, s1
	v_add_co_u32_e32 v11, vcc, s0, v11
	v_addc_co_u32_e32 v0, vcc, v12, v0, vcc
	v_lshlrev_b32_e32 v1, 3, v1
	v_add_co_u32_e32 v1, vcc, v11, v1
	v_addc_co_u32_e32 v0, vcc, 0, v0, vcc
	v_mov_b32_e32 v11, s15
	v_add_co_u32_e32 v1, vcc, s14, v1
	v_addc_co_u32_e32 v11, vcc, v11, v0, vcc
	v_add_u32_e32 v7, v6, v8
	v_add_u32_e32 v8, 0x800, v8
	v_add_co_u32_e32 v0, vcc, 4, v1
	v_add_u32_e32 v9, v8, v6
	v_mov_b32_e32 v10, 0
	v_addc_co_u32_e32 v1, vcc, 0, v11, vcc
	v_mov_b32_e32 v11, 0
.LBB199_2:                              ; =>This Inner Loop Header: Depth=1
	global_load_dwordx2 v[12:13], v[0:1], off offset:-4
	s_add_i32 s16, s16, 16
	s_cmp_lt_i32 s16, s9
	s_waitcnt vmcnt(0)
	ds_write_b64 v7, v[12:13]
	global_load_dwordx2 v[12:13], v[3:4], off
	v_add_co_u32_e32 v3, vcc, 0x80, v3
	v_addc_co_u32_e32 v4, vcc, 0, v4, vcc
	v_add_co_u32_e32 v0, vcc, 0x80, v0
	v_addc_co_u32_e32 v1, vcc, 0, v1, vcc
	s_waitcnt vmcnt(0)
	ds_write_b64 v9, v[12:13]
	s_waitcnt lgkmcnt(0)
	s_barrier
	ds_read2_b64 v[12:15], v6 offset1:16
	ds_read_b128 v[16:19], v8
	ds_read_b128 v[20:23], v8 offset:16
	ds_read_b128 v[24:27], v8 offset:32
	;; [unrolled: 1-line block ×3, first 2 shown]
	s_waitcnt lgkmcnt(3)
	v_mul_f32_e32 v32, v17, v13
	v_mul_f32_e32 v13, v16, v13
	v_fmac_f32_e32 v13, v17, v12
	v_fma_f32 v32, v16, v12, -v32
	v_add_f32_e32 v10, v10, v13
	v_mul_f32_e32 v12, v19, v15
	v_mul_f32_e32 v13, v18, v15
	v_add_f32_e32 v11, v11, v32
	v_fma_f32 v12, v18, v14, -v12
	v_fmac_f32_e32 v13, v19, v14
	v_add_f32_e32 v14, v11, v12
	v_add_f32_e32 v15, v10, v13
	ds_read2_b64 v[10:13], v6 offset0:32 offset1:48
	s_waitcnt lgkmcnt(0)
	v_mul_f32_e32 v16, v21, v11
	v_fma_f32 v16, v20, v10, -v16
	v_mul_f32_e32 v11, v20, v11
	v_fmac_f32_e32 v11, v21, v10
	v_add_f32_e32 v10, v14, v16
	v_mul_f32_e32 v14, v23, v13
	v_mul_f32_e32 v13, v22, v13
	v_add_f32_e32 v11, v15, v11
	v_fma_f32 v14, v22, v12, -v14
	v_fmac_f32_e32 v13, v23, v12
	v_add_f32_e32 v14, v10, v14
	v_add_f32_e32 v15, v11, v13
	ds_read2_b64 v[10:13], v6 offset0:64 offset1:80
	s_waitcnt lgkmcnt(0)
	v_mul_f32_e32 v16, v25, v11
	v_fma_f32 v16, v24, v10, -v16
	v_mul_f32_e32 v11, v24, v11
	v_fmac_f32_e32 v11, v25, v10
	;; [unrolled: 14-line block ×3, first 2 shown]
	v_add_f32_e32 v10, v14, v16
	v_mul_f32_e32 v14, v31, v13
	v_mul_f32_e32 v13, v30, v13
	v_add_f32_e32 v11, v15, v11
	v_fma_f32 v14, v30, v12, -v14
	v_fmac_f32_e32 v13, v31, v12
	v_add_f32_e32 v18, v10, v14
	v_add_f32_e32 v19, v11, v13
	ds_read2_b64 v[10:13], v6 offset0:128 offset1:144
	ds_read_b128 v[14:17], v8 offset:64
	s_waitcnt lgkmcnt(0)
	v_mul_f32_e32 v20, v15, v11
	v_mul_f32_e32 v11, v14, v11
	v_fma_f32 v20, v14, v10, -v20
	v_fmac_f32_e32 v11, v15, v10
	v_mul_f32_e32 v14, v17, v13
	v_mul_f32_e32 v13, v16, v13
	v_add_f32_e32 v10, v18, v20
	v_add_f32_e32 v11, v19, v11
	v_fma_f32 v14, v16, v12, -v14
	v_fmac_f32_e32 v13, v17, v12
	v_add_f32_e32 v18, v10, v14
	v_add_f32_e32 v19, v11, v13
	ds_read2_b64 v[10:13], v6 offset0:160 offset1:176
	ds_read_b128 v[14:17], v8 offset:80
	s_waitcnt lgkmcnt(0)
	v_mul_f32_e32 v20, v15, v11
	v_mul_f32_e32 v11, v14, v11
	v_fma_f32 v20, v14, v10, -v20
	v_fmac_f32_e32 v11, v15, v10
	v_mul_f32_e32 v14, v17, v13
	v_mul_f32_e32 v13, v16, v13
	v_add_f32_e32 v10, v18, v20
	;; [unrolled: 15-line block ×3, first 2 shown]
	v_add_f32_e32 v11, v19, v11
	v_fma_f32 v14, v16, v12, -v14
	v_fmac_f32_e32 v13, v17, v12
	v_add_f32_e32 v18, v10, v14
	v_add_f32_e32 v19, v11, v13
	ds_read2_b64 v[10:13], v6 offset0:224 offset1:240
	ds_read_b128 v[14:17], v8 offset:112
	s_waitcnt lgkmcnt(0)
	s_barrier
	v_mul_f32_e32 v20, v15, v11
	v_mul_f32_e32 v11, v14, v11
	v_fmac_f32_e32 v11, v15, v10
	v_fma_f32 v20, v14, v10, -v20
	v_add_f32_e32 v14, v19, v11
	v_mul_f32_e32 v11, v17, v13
	v_mul_f32_e32 v13, v16, v13
	v_add_f32_e32 v10, v18, v20
	v_fma_f32 v11, v16, v12, -v11
	v_fmac_f32_e32 v13, v17, v12
	v_add_f32_e32 v11, v10, v11
	v_add_f32_e32 v10, v14, v13
	s_cbranch_scc1 .LBB199_2
; %bb.3:
	v_cmp_le_i32_e32 vcc, v5, v2
	s_and_saveexec_b64 s[0:1], vcc
	s_cbranch_execz .LBB199_5
.LBB199_4:
	s_load_dwordx2 s[0:1], s[4:5], 0x58
	s_load_dword s6, s[4:5], 0x50
	v_ashrrev_i32_e32 v3, 31, v2
	s_waitcnt lgkmcnt(0)
	s_mul_i32 s1, s1, s8
	s_mul_hi_u32 s4, s0, s8
	s_add_i32 s1, s4, s1
	v_mad_i64_i32 v[0:1], s[4:5], s6, v5, 0
	s_mul_i32 s0, s0, s8
	s_lshl_b64 s[0:1], s[0:1], 3
	s_add_u32 s0, s10, s0
	v_lshlrev_b64 v[0:1], 3, v[0:1]
	s_addc_u32 s1, s11, s1
	v_mov_b32_e32 v4, s1
	v_add_co_u32_e32 v5, vcc, s0, v0
	v_addc_co_u32_e32 v4, vcc, v4, v1, vcc
	v_lshlrev_b64 v[0:1], 3, v[2:3]
	v_add_co_u32_e32 v0, vcc, v5, v0
	v_addc_co_u32_e32 v1, vcc, v4, v1, vcc
	global_load_dwordx2 v[2:3], v[0:1], off
	v_mul_f32_e32 v4, s13, v10
	v_mul_f32_e32 v5, s12, v10
	v_fma_f32 v4, v11, s12, -v4
	v_fmac_f32_e32 v5, s13, v11
	s_waitcnt vmcnt(0)
	v_mul_f32_e32 v6, s3, v3
	v_mul_f32_e32 v3, s2, v3
	v_fma_f32 v6, v2, s2, -v6
	v_fmac_f32_e32 v3, s3, v2
	v_add_f32_e32 v2, v4, v6
	v_add_f32_e32 v3, v5, v3
	global_store_dwordx2 v[0:1], v[2:3], off
.LBB199_5:
	s_endpgm
.LBB199_6:
	v_mov_b32_e32 v10, 0
	v_mov_b32_e32 v11, 0
	v_cmp_le_i32_e32 vcc, v5, v2
	s_and_saveexec_b64 s[0:1], vcc
	s_cbranch_execnz .LBB199_4
	s_branch .LBB199_5
	.section	.rodata,"a",@progbits
	.p2align	6, 0x0
	.amdhsa_kernel _ZL41rocblas_syrkx_herkx_small_restrict_kernelIi19rocblas_complex_numIfELi16ELb0ELb0ELc67ELc76EKS1_S1_EviT_T0_PT6_S3_lS6_S3_lS4_PT7_S3_li
		.amdhsa_group_segment_fixed_size 4096
		.amdhsa_private_segment_fixed_size 0
		.amdhsa_kernarg_size 100
		.amdhsa_user_sgpr_count 6
		.amdhsa_user_sgpr_private_segment_buffer 1
		.amdhsa_user_sgpr_dispatch_ptr 0
		.amdhsa_user_sgpr_queue_ptr 0
		.amdhsa_user_sgpr_kernarg_segment_ptr 1
		.amdhsa_user_sgpr_dispatch_id 0
		.amdhsa_user_sgpr_flat_scratch_init 0
		.amdhsa_user_sgpr_private_segment_size 0
		.amdhsa_uses_dynamic_stack 0
		.amdhsa_system_sgpr_private_segment_wavefront_offset 0
		.amdhsa_system_sgpr_workgroup_id_x 1
		.amdhsa_system_sgpr_workgroup_id_y 1
		.amdhsa_system_sgpr_workgroup_id_z 1
		.amdhsa_system_sgpr_workgroup_info 0
		.amdhsa_system_vgpr_workitem_id 1
		.amdhsa_next_free_vgpr 33
		.amdhsa_next_free_sgpr 24
		.amdhsa_reserve_vcc 1
		.amdhsa_reserve_flat_scratch 0
		.amdhsa_float_round_mode_32 0
		.amdhsa_float_round_mode_16_64 0
		.amdhsa_float_denorm_mode_32 3
		.amdhsa_float_denorm_mode_16_64 3
		.amdhsa_dx10_clamp 1
		.amdhsa_ieee_mode 1
		.amdhsa_fp16_overflow 0
		.amdhsa_exception_fp_ieee_invalid_op 0
		.amdhsa_exception_fp_denorm_src 0
		.amdhsa_exception_fp_ieee_div_zero 0
		.amdhsa_exception_fp_ieee_overflow 0
		.amdhsa_exception_fp_ieee_underflow 0
		.amdhsa_exception_fp_ieee_inexact 0
		.amdhsa_exception_int_div_zero 0
	.end_amdhsa_kernel
	.section	.text._ZL41rocblas_syrkx_herkx_small_restrict_kernelIi19rocblas_complex_numIfELi16ELb0ELb0ELc67ELc76EKS1_S1_EviT_T0_PT6_S3_lS6_S3_lS4_PT7_S3_li,"axG",@progbits,_ZL41rocblas_syrkx_herkx_small_restrict_kernelIi19rocblas_complex_numIfELi16ELb0ELb0ELc67ELc76EKS1_S1_EviT_T0_PT6_S3_lS6_S3_lS4_PT7_S3_li,comdat
.Lfunc_end199:
	.size	_ZL41rocblas_syrkx_herkx_small_restrict_kernelIi19rocblas_complex_numIfELi16ELb0ELb0ELc67ELc76EKS1_S1_EviT_T0_PT6_S3_lS6_S3_lS4_PT7_S3_li, .Lfunc_end199-_ZL41rocblas_syrkx_herkx_small_restrict_kernelIi19rocblas_complex_numIfELi16ELb0ELb0ELc67ELc76EKS1_S1_EviT_T0_PT6_S3_lS6_S3_lS4_PT7_S3_li
                                        ; -- End function
	.set _ZL41rocblas_syrkx_herkx_small_restrict_kernelIi19rocblas_complex_numIfELi16ELb0ELb0ELc67ELc76EKS1_S1_EviT_T0_PT6_S3_lS6_S3_lS4_PT7_S3_li.num_vgpr, 33
	.set _ZL41rocblas_syrkx_herkx_small_restrict_kernelIi19rocblas_complex_numIfELi16ELb0ELb0ELc67ELc76EKS1_S1_EviT_T0_PT6_S3_lS6_S3_lS4_PT7_S3_li.num_agpr, 0
	.set _ZL41rocblas_syrkx_herkx_small_restrict_kernelIi19rocblas_complex_numIfELi16ELb0ELb0ELc67ELc76EKS1_S1_EviT_T0_PT6_S3_lS6_S3_lS4_PT7_S3_li.numbered_sgpr, 24
	.set _ZL41rocblas_syrkx_herkx_small_restrict_kernelIi19rocblas_complex_numIfELi16ELb0ELb0ELc67ELc76EKS1_S1_EviT_T0_PT6_S3_lS6_S3_lS4_PT7_S3_li.num_named_barrier, 0
	.set _ZL41rocblas_syrkx_herkx_small_restrict_kernelIi19rocblas_complex_numIfELi16ELb0ELb0ELc67ELc76EKS1_S1_EviT_T0_PT6_S3_lS6_S3_lS4_PT7_S3_li.private_seg_size, 0
	.set _ZL41rocblas_syrkx_herkx_small_restrict_kernelIi19rocblas_complex_numIfELi16ELb0ELb0ELc67ELc76EKS1_S1_EviT_T0_PT6_S3_lS6_S3_lS4_PT7_S3_li.uses_vcc, 1
	.set _ZL41rocblas_syrkx_herkx_small_restrict_kernelIi19rocblas_complex_numIfELi16ELb0ELb0ELc67ELc76EKS1_S1_EviT_T0_PT6_S3_lS6_S3_lS4_PT7_S3_li.uses_flat_scratch, 0
	.set _ZL41rocblas_syrkx_herkx_small_restrict_kernelIi19rocblas_complex_numIfELi16ELb0ELb0ELc67ELc76EKS1_S1_EviT_T0_PT6_S3_lS6_S3_lS4_PT7_S3_li.has_dyn_sized_stack, 0
	.set _ZL41rocblas_syrkx_herkx_small_restrict_kernelIi19rocblas_complex_numIfELi16ELb0ELb0ELc67ELc76EKS1_S1_EviT_T0_PT6_S3_lS6_S3_lS4_PT7_S3_li.has_recursion, 0
	.set _ZL41rocblas_syrkx_herkx_small_restrict_kernelIi19rocblas_complex_numIfELi16ELb0ELb0ELc67ELc76EKS1_S1_EviT_T0_PT6_S3_lS6_S3_lS4_PT7_S3_li.has_indirect_call, 0
	.section	.AMDGPU.csdata,"",@progbits
; Kernel info:
; codeLenInByte = 1172
; TotalNumSgprs: 28
; NumVgprs: 33
; ScratchSize: 0
; MemoryBound: 0
; FloatMode: 240
; IeeeMode: 1
; LDSByteSize: 4096 bytes/workgroup (compile time only)
; SGPRBlocks: 3
; VGPRBlocks: 8
; NumSGPRsForWavesPerEU: 28
; NumVGPRsForWavesPerEU: 33
; Occupancy: 7
; WaveLimiterHint : 0
; COMPUTE_PGM_RSRC2:SCRATCH_EN: 0
; COMPUTE_PGM_RSRC2:USER_SGPR: 6
; COMPUTE_PGM_RSRC2:TRAP_HANDLER: 0
; COMPUTE_PGM_RSRC2:TGID_X_EN: 1
; COMPUTE_PGM_RSRC2:TGID_Y_EN: 1
; COMPUTE_PGM_RSRC2:TGID_Z_EN: 1
; COMPUTE_PGM_RSRC2:TIDIG_COMP_CNT: 1
	.section	.text._ZL41rocblas_syrkx_herkx_small_restrict_kernelIi19rocblas_complex_numIfELi16ELb0ELb0ELc78ELc76EKS1_S1_EviT_T0_PT6_S3_lS6_S3_lS4_PT7_S3_li,"axG",@progbits,_ZL41rocblas_syrkx_herkx_small_restrict_kernelIi19rocblas_complex_numIfELi16ELb0ELb0ELc78ELc76EKS1_S1_EviT_T0_PT6_S3_lS6_S3_lS4_PT7_S3_li,comdat
	.globl	_ZL41rocblas_syrkx_herkx_small_restrict_kernelIi19rocblas_complex_numIfELi16ELb0ELb0ELc78ELc76EKS1_S1_EviT_T0_PT6_S3_lS6_S3_lS4_PT7_S3_li ; -- Begin function _ZL41rocblas_syrkx_herkx_small_restrict_kernelIi19rocblas_complex_numIfELi16ELb0ELb0ELc78ELc76EKS1_S1_EviT_T0_PT6_S3_lS6_S3_lS4_PT7_S3_li
	.p2align	8
	.type	_ZL41rocblas_syrkx_herkx_small_restrict_kernelIi19rocblas_complex_numIfELi16ELb0ELb0ELc78ELc76EKS1_S1_EviT_T0_PT6_S3_lS6_S3_lS4_PT7_S3_li,@function
_ZL41rocblas_syrkx_herkx_small_restrict_kernelIi19rocblas_complex_numIfELi16ELb0ELb0ELc78ELc76EKS1_S1_EviT_T0_PT6_S3_lS6_S3_lS4_PT7_S3_li: ; @_ZL41rocblas_syrkx_herkx_small_restrict_kernelIi19rocblas_complex_numIfELi16ELb0ELb0ELc78ELc76EKS1_S1_EviT_T0_PT6_S3_lS6_S3_lS4_PT7_S3_li
; %bb.0:
	s_load_dword s9, s[4:5], 0x4
	s_load_dwordx4 s[12:15], s[4:5], 0x8
	s_load_dwordx4 s[0:3], s[4:5], 0x38
	s_load_dwordx2 s[10:11], s[4:5], 0x48
	v_lshl_add_u32 v2, s6, 4, v0
	s_mov_b32 s20, 0
	v_lshl_add_u32 v4, s7, 4, v1
	s_waitcnt lgkmcnt(0)
	s_cmp_lt_i32 s9, 1
	v_ashrrev_i32_e32 v3, 31, v2
	s_cbranch_scc1 .LBB200_6
; %bb.1:
	s_load_dword s6, s[4:5], 0x18
	s_load_dword s22, s[4:5], 0x30
	s_load_dwordx4 s[16:19], s[4:5], 0x20
	s_mul_i32 s1, s1, s8
	s_mul_hi_u32 s21, s0, s8
	s_add_i32 s1, s21, s1
	s_waitcnt lgkmcnt(0)
	v_mad_i64_i32 v[10:11], s[24:25], s22, v0, 0
	s_mul_i32 s0, s0, s8
	v_lshlrev_b32_e32 v6, 7, v1
	v_lshlrev_b64 v[10:11], 3, v[10:11]
	v_lshlrev_b32_e32 v7, 3, v0
	v_ashrrev_i32_e32 v5, 31, v4
	s_lshl_b64 s[0:1], s[0:1], 3
	v_add_u32_e32 v8, v7, v6
	v_add_u32_e32 v9, 0x800, v6
	v_mov_b32_e32 v0, s1
	v_add_co_u32_e32 v10, vcc, s0, v10
	v_lshlrev_b64 v[5:6], 3, v[4:5]
	v_addc_co_u32_e32 v0, vcc, v0, v11, vcc
	v_add_co_u32_e32 v5, vcc, v10, v5
	v_addc_co_u32_e32 v0, vcc, v0, v6, vcc
	v_mov_b32_e32 v6, s19
	v_add_co_u32_e32 v5, vcc, s18, v5
	v_addc_co_u32_e32 v0, vcc, v6, v0, vcc
	v_add_co_u32_e32 v5, vcc, 4, v5
	v_addc_co_u32_e32 v6, vcc, 0, v0, vcc
	v_mad_i64_i32 v[0:1], s[18:19], s6, v1, 0
	s_mul_i32 s17, s17, s8
	s_mul_hi_u32 s21, s16, s8
	s_add_i32 s17, s21, s17
	s_mul_i32 s16, s16, s8
	v_lshlrev_b64 v[0:1], 3, v[0:1]
	s_lshl_b64 s[16:17], s[16:17], 3
	v_mov_b32_e32 v10, s17
	v_add_co_u32_e32 v11, vcc, s16, v0
	v_addc_co_u32_e32 v10, vcc, v10, v1, vcc
	v_lshlrev_b64 v[0:1], 3, v[2:3]
	s_ashr_i32 s7, s6, 31
	v_add_co_u32_e32 v0, vcc, v11, v0
	s_ashr_i32 s23, s22, 31
	v_addc_co_u32_e32 v1, vcc, v10, v1, vcc
	s_lshl_b64 s[0:1], s[22:23], 7
	v_mov_b32_e32 v10, s15
	v_add_co_u32_e32 v0, vcc, s14, v0
	s_lshl_b64 s[6:7], s[6:7], 7
	v_addc_co_u32_e32 v1, vcc, v10, v1, vcc
	v_mov_b32_e32 v12, 0
	v_mov_b32_e32 v10, s1
	;; [unrolled: 1-line block ×4, first 2 shown]
.LBB200_2:                              ; =>This Inner Loop Header: Depth=1
	global_load_dwordx2 v[14:15], v[0:1], off
	v_add_u32_e32 v16, v9, v7
	s_add_i32 s20, s20, 16
	s_cmp_lt_i32 s20, s9
	s_waitcnt vmcnt(0)
	ds_write_b64 v8, v[14:15]
	global_load_dwordx2 v[14:15], v[5:6], off offset:-4
	v_add_co_u32_e32 v5, vcc, s0, v5
	v_addc_co_u32_e32 v6, vcc, v6, v10, vcc
	v_add_co_u32_e32 v0, vcc, s6, v0
	v_addc_co_u32_e32 v1, vcc, v1, v11, vcc
	s_waitcnt vmcnt(0)
	ds_write_b64 v16, v[14:15]
	s_waitcnt lgkmcnt(0)
	s_barrier
	ds_read2_b64 v[14:17], v7 offset1:16
	ds_read_b128 v[18:21], v9
	ds_read_b128 v[22:25], v9 offset:16
	ds_read_b128 v[26:29], v9 offset:32
	;; [unrolled: 1-line block ×3, first 2 shown]
	s_waitcnt lgkmcnt(3)
	v_mul_f32_e32 v34, v19, v15
	v_mul_f32_e32 v15, v18, v15
	v_fmac_f32_e32 v15, v19, v14
	v_fma_f32 v34, v18, v14, -v34
	v_add_f32_e32 v12, v12, v15
	v_mul_f32_e32 v14, v21, v17
	v_mul_f32_e32 v15, v20, v17
	v_add_f32_e32 v13, v13, v34
	v_fma_f32 v14, v20, v16, -v14
	v_fmac_f32_e32 v15, v21, v16
	v_add_f32_e32 v16, v13, v14
	v_add_f32_e32 v17, v12, v15
	ds_read2_b64 v[12:15], v7 offset0:32 offset1:48
	s_waitcnt lgkmcnt(0)
	v_mul_f32_e32 v18, v23, v13
	v_fma_f32 v18, v22, v12, -v18
	v_mul_f32_e32 v13, v22, v13
	v_fmac_f32_e32 v13, v23, v12
	v_add_f32_e32 v12, v16, v18
	v_mul_f32_e32 v16, v25, v15
	v_mul_f32_e32 v15, v24, v15
	v_add_f32_e32 v13, v17, v13
	v_fma_f32 v16, v24, v14, -v16
	v_fmac_f32_e32 v15, v25, v14
	v_add_f32_e32 v16, v12, v16
	v_add_f32_e32 v17, v13, v15
	ds_read2_b64 v[12:15], v7 offset0:64 offset1:80
	s_waitcnt lgkmcnt(0)
	v_mul_f32_e32 v18, v27, v13
	v_fma_f32 v18, v26, v12, -v18
	v_mul_f32_e32 v13, v26, v13
	v_fmac_f32_e32 v13, v27, v12
	v_add_f32_e32 v12, v16, v18
	v_mul_f32_e32 v16, v29, v15
	v_mul_f32_e32 v15, v28, v15
	v_add_f32_e32 v13, v17, v13
	v_fma_f32 v16, v28, v14, -v16
	v_fmac_f32_e32 v15, v29, v14
	v_add_f32_e32 v16, v12, v16
	v_add_f32_e32 v17, v13, v15
	ds_read2_b64 v[12:15], v7 offset0:96 offset1:112
	s_waitcnt lgkmcnt(0)
	v_mul_f32_e32 v18, v31, v13
	v_fma_f32 v18, v30, v12, -v18
	v_mul_f32_e32 v13, v30, v13
	v_fmac_f32_e32 v13, v31, v12
	v_add_f32_e32 v12, v16, v18
	v_mul_f32_e32 v16, v33, v15
	v_mul_f32_e32 v15, v32, v15
	v_add_f32_e32 v13, v17, v13
	v_fma_f32 v16, v32, v14, -v16
	v_fmac_f32_e32 v15, v33, v14
	v_add_f32_e32 v20, v12, v16
	v_add_f32_e32 v21, v13, v15
	ds_read2_b64 v[12:15], v7 offset0:128 offset1:144
	ds_read_b128 v[16:19], v9 offset:64
	s_waitcnt lgkmcnt(0)
	v_mul_f32_e32 v22, v17, v13
	v_mul_f32_e32 v13, v16, v13
	v_fma_f32 v22, v16, v12, -v22
	v_fmac_f32_e32 v13, v17, v12
	v_mul_f32_e32 v16, v19, v15
	v_mul_f32_e32 v15, v18, v15
	v_add_f32_e32 v12, v20, v22
	v_add_f32_e32 v13, v21, v13
	v_fma_f32 v16, v18, v14, -v16
	v_fmac_f32_e32 v15, v19, v14
	v_add_f32_e32 v20, v12, v16
	v_add_f32_e32 v21, v13, v15
	ds_read2_b64 v[12:15], v7 offset0:160 offset1:176
	ds_read_b128 v[16:19], v9 offset:80
	s_waitcnt lgkmcnt(0)
	v_mul_f32_e32 v22, v17, v13
	v_mul_f32_e32 v13, v16, v13
	v_fma_f32 v22, v16, v12, -v22
	v_fmac_f32_e32 v13, v17, v12
	v_mul_f32_e32 v16, v19, v15
	v_mul_f32_e32 v15, v18, v15
	v_add_f32_e32 v12, v20, v22
	;; [unrolled: 15-line block ×3, first 2 shown]
	v_add_f32_e32 v13, v21, v13
	v_fma_f32 v16, v18, v14, -v16
	v_fmac_f32_e32 v15, v19, v14
	v_add_f32_e32 v20, v12, v16
	v_add_f32_e32 v21, v13, v15
	ds_read2_b64 v[12:15], v7 offset0:224 offset1:240
	ds_read_b128 v[16:19], v9 offset:112
	s_waitcnt lgkmcnt(0)
	s_barrier
	v_mul_f32_e32 v22, v17, v13
	v_mul_f32_e32 v13, v16, v13
	v_fmac_f32_e32 v13, v17, v12
	v_fma_f32 v22, v16, v12, -v22
	v_add_f32_e32 v16, v21, v13
	v_mul_f32_e32 v13, v19, v15
	v_mul_f32_e32 v15, v18, v15
	v_add_f32_e32 v12, v20, v22
	v_fma_f32 v13, v18, v14, -v13
	v_fmac_f32_e32 v15, v19, v14
	v_add_f32_e32 v13, v12, v13
	v_add_f32_e32 v12, v16, v15
	s_cbranch_scc1 .LBB200_2
; %bb.3:
	v_cmp_le_i32_e32 vcc, v4, v2
	s_and_saveexec_b64 s[0:1], vcc
	s_cbranch_execz .LBB200_5
.LBB200_4:
	s_load_dwordx2 s[0:1], s[4:5], 0x58
	s_load_dword s6, s[4:5], 0x50
	s_waitcnt lgkmcnt(0)
	s_mul_i32 s1, s1, s8
	s_mul_hi_u32 s4, s0, s8
	s_add_i32 s1, s4, s1
	v_mad_i64_i32 v[0:1], s[4:5], s6, v4, 0
	s_mul_i32 s0, s0, s8
	s_lshl_b64 s[0:1], s[0:1], 3
	s_add_u32 s0, s10, s0
	v_lshlrev_b64 v[0:1], 3, v[0:1]
	s_addc_u32 s1, s11, s1
	v_mov_b32_e32 v4, s1
	v_add_co_u32_e32 v5, vcc, s0, v0
	v_addc_co_u32_e32 v4, vcc, v4, v1, vcc
	v_lshlrev_b64 v[0:1], 3, v[2:3]
	v_add_co_u32_e32 v0, vcc, v5, v0
	v_addc_co_u32_e32 v1, vcc, v4, v1, vcc
	global_load_dwordx2 v[2:3], v[0:1], off
	v_mul_f32_e32 v4, s13, v12
	v_mul_f32_e32 v5, s12, v12
	v_fma_f32 v4, v13, s12, -v4
	v_fmac_f32_e32 v5, s13, v13
	s_waitcnt vmcnt(0)
	v_mul_f32_e32 v6, s3, v3
	v_mul_f32_e32 v3, s2, v3
	v_fma_f32 v6, v2, s2, -v6
	v_fmac_f32_e32 v3, s3, v2
	v_add_f32_e32 v2, v4, v6
	v_add_f32_e32 v3, v5, v3
	global_store_dwordx2 v[0:1], v[2:3], off
.LBB200_5:
	s_endpgm
.LBB200_6:
	v_mov_b32_e32 v12, 0
	v_mov_b32_e32 v13, 0
	v_cmp_le_i32_e32 vcc, v4, v2
	s_and_saveexec_b64 s[0:1], vcc
	s_cbranch_execnz .LBB200_4
	s_branch .LBB200_5
	.section	.rodata,"a",@progbits
	.p2align	6, 0x0
	.amdhsa_kernel _ZL41rocblas_syrkx_herkx_small_restrict_kernelIi19rocblas_complex_numIfELi16ELb0ELb0ELc78ELc76EKS1_S1_EviT_T0_PT6_S3_lS6_S3_lS4_PT7_S3_li
		.amdhsa_group_segment_fixed_size 4096
		.amdhsa_private_segment_fixed_size 0
		.amdhsa_kernarg_size 100
		.amdhsa_user_sgpr_count 6
		.amdhsa_user_sgpr_private_segment_buffer 1
		.amdhsa_user_sgpr_dispatch_ptr 0
		.amdhsa_user_sgpr_queue_ptr 0
		.amdhsa_user_sgpr_kernarg_segment_ptr 1
		.amdhsa_user_sgpr_dispatch_id 0
		.amdhsa_user_sgpr_flat_scratch_init 0
		.amdhsa_user_sgpr_private_segment_size 0
		.amdhsa_uses_dynamic_stack 0
		.amdhsa_system_sgpr_private_segment_wavefront_offset 0
		.amdhsa_system_sgpr_workgroup_id_x 1
		.amdhsa_system_sgpr_workgroup_id_y 1
		.amdhsa_system_sgpr_workgroup_id_z 1
		.amdhsa_system_sgpr_workgroup_info 0
		.amdhsa_system_vgpr_workitem_id 1
		.amdhsa_next_free_vgpr 35
		.amdhsa_next_free_sgpr 26
		.amdhsa_reserve_vcc 1
		.amdhsa_reserve_flat_scratch 0
		.amdhsa_float_round_mode_32 0
		.amdhsa_float_round_mode_16_64 0
		.amdhsa_float_denorm_mode_32 3
		.amdhsa_float_denorm_mode_16_64 3
		.amdhsa_dx10_clamp 1
		.amdhsa_ieee_mode 1
		.amdhsa_fp16_overflow 0
		.amdhsa_exception_fp_ieee_invalid_op 0
		.amdhsa_exception_fp_denorm_src 0
		.amdhsa_exception_fp_ieee_div_zero 0
		.amdhsa_exception_fp_ieee_overflow 0
		.amdhsa_exception_fp_ieee_underflow 0
		.amdhsa_exception_fp_ieee_inexact 0
		.amdhsa_exception_int_div_zero 0
	.end_amdhsa_kernel
	.section	.text._ZL41rocblas_syrkx_herkx_small_restrict_kernelIi19rocblas_complex_numIfELi16ELb0ELb0ELc78ELc76EKS1_S1_EviT_T0_PT6_S3_lS6_S3_lS4_PT7_S3_li,"axG",@progbits,_ZL41rocblas_syrkx_herkx_small_restrict_kernelIi19rocblas_complex_numIfELi16ELb0ELb0ELc78ELc76EKS1_S1_EviT_T0_PT6_S3_lS6_S3_lS4_PT7_S3_li,comdat
.Lfunc_end200:
	.size	_ZL41rocblas_syrkx_herkx_small_restrict_kernelIi19rocblas_complex_numIfELi16ELb0ELb0ELc78ELc76EKS1_S1_EviT_T0_PT6_S3_lS6_S3_lS4_PT7_S3_li, .Lfunc_end200-_ZL41rocblas_syrkx_herkx_small_restrict_kernelIi19rocblas_complex_numIfELi16ELb0ELb0ELc78ELc76EKS1_S1_EviT_T0_PT6_S3_lS6_S3_lS4_PT7_S3_li
                                        ; -- End function
	.set _ZL41rocblas_syrkx_herkx_small_restrict_kernelIi19rocblas_complex_numIfELi16ELb0ELb0ELc78ELc76EKS1_S1_EviT_T0_PT6_S3_lS6_S3_lS4_PT7_S3_li.num_vgpr, 35
	.set _ZL41rocblas_syrkx_herkx_small_restrict_kernelIi19rocblas_complex_numIfELi16ELb0ELb0ELc78ELc76EKS1_S1_EviT_T0_PT6_S3_lS6_S3_lS4_PT7_S3_li.num_agpr, 0
	.set _ZL41rocblas_syrkx_herkx_small_restrict_kernelIi19rocblas_complex_numIfELi16ELb0ELb0ELc78ELc76EKS1_S1_EviT_T0_PT6_S3_lS6_S3_lS4_PT7_S3_li.numbered_sgpr, 26
	.set _ZL41rocblas_syrkx_herkx_small_restrict_kernelIi19rocblas_complex_numIfELi16ELb0ELb0ELc78ELc76EKS1_S1_EviT_T0_PT6_S3_lS6_S3_lS4_PT7_S3_li.num_named_barrier, 0
	.set _ZL41rocblas_syrkx_herkx_small_restrict_kernelIi19rocblas_complex_numIfELi16ELb0ELb0ELc78ELc76EKS1_S1_EviT_T0_PT6_S3_lS6_S3_lS4_PT7_S3_li.private_seg_size, 0
	.set _ZL41rocblas_syrkx_herkx_small_restrict_kernelIi19rocblas_complex_numIfELi16ELb0ELb0ELc78ELc76EKS1_S1_EviT_T0_PT6_S3_lS6_S3_lS4_PT7_S3_li.uses_vcc, 1
	.set _ZL41rocblas_syrkx_herkx_small_restrict_kernelIi19rocblas_complex_numIfELi16ELb0ELb0ELc78ELc76EKS1_S1_EviT_T0_PT6_S3_lS6_S3_lS4_PT7_S3_li.uses_flat_scratch, 0
	.set _ZL41rocblas_syrkx_herkx_small_restrict_kernelIi19rocblas_complex_numIfELi16ELb0ELb0ELc78ELc76EKS1_S1_EviT_T0_PT6_S3_lS6_S3_lS4_PT7_S3_li.has_dyn_sized_stack, 0
	.set _ZL41rocblas_syrkx_herkx_small_restrict_kernelIi19rocblas_complex_numIfELi16ELb0ELb0ELc78ELc76EKS1_S1_EviT_T0_PT6_S3_lS6_S3_lS4_PT7_S3_li.has_recursion, 0
	.set _ZL41rocblas_syrkx_herkx_small_restrict_kernelIi19rocblas_complex_numIfELi16ELb0ELb0ELc78ELc76EKS1_S1_EviT_T0_PT6_S3_lS6_S3_lS4_PT7_S3_li.has_indirect_call, 0
	.section	.AMDGPU.csdata,"",@progbits
; Kernel info:
; codeLenInByte = 1204
; TotalNumSgprs: 30
; NumVgprs: 35
; ScratchSize: 0
; MemoryBound: 0
; FloatMode: 240
; IeeeMode: 1
; LDSByteSize: 4096 bytes/workgroup (compile time only)
; SGPRBlocks: 3
; VGPRBlocks: 8
; NumSGPRsForWavesPerEU: 30
; NumVGPRsForWavesPerEU: 35
; Occupancy: 7
; WaveLimiterHint : 0
; COMPUTE_PGM_RSRC2:SCRATCH_EN: 0
; COMPUTE_PGM_RSRC2:USER_SGPR: 6
; COMPUTE_PGM_RSRC2:TRAP_HANDLER: 0
; COMPUTE_PGM_RSRC2:TGID_X_EN: 1
; COMPUTE_PGM_RSRC2:TGID_Y_EN: 1
; COMPUTE_PGM_RSRC2:TGID_Z_EN: 1
; COMPUTE_PGM_RSRC2:TIDIG_COMP_CNT: 1
	.section	.text._ZL41rocblas_syrkx_herkx_small_restrict_kernelIi19rocblas_complex_numIfELi16ELb0ELb0ELc84ELc85EKS1_S1_EviT_T0_PT6_S3_lS6_S3_lS4_PT7_S3_li,"axG",@progbits,_ZL41rocblas_syrkx_herkx_small_restrict_kernelIi19rocblas_complex_numIfELi16ELb0ELb0ELc84ELc85EKS1_S1_EviT_T0_PT6_S3_lS6_S3_lS4_PT7_S3_li,comdat
	.globl	_ZL41rocblas_syrkx_herkx_small_restrict_kernelIi19rocblas_complex_numIfELi16ELb0ELb0ELc84ELc85EKS1_S1_EviT_T0_PT6_S3_lS6_S3_lS4_PT7_S3_li ; -- Begin function _ZL41rocblas_syrkx_herkx_small_restrict_kernelIi19rocblas_complex_numIfELi16ELb0ELb0ELc84ELc85EKS1_S1_EviT_T0_PT6_S3_lS6_S3_lS4_PT7_S3_li
	.p2align	8
	.type	_ZL41rocblas_syrkx_herkx_small_restrict_kernelIi19rocblas_complex_numIfELi16ELb0ELb0ELc84ELc85EKS1_S1_EviT_T0_PT6_S3_lS6_S3_lS4_PT7_S3_li,@function
_ZL41rocblas_syrkx_herkx_small_restrict_kernelIi19rocblas_complex_numIfELi16ELb0ELb0ELc84ELc85EKS1_S1_EviT_T0_PT6_S3_lS6_S3_lS4_PT7_S3_li: ; @_ZL41rocblas_syrkx_herkx_small_restrict_kernelIi19rocblas_complex_numIfELi16ELb0ELb0ELc84ELc85EKS1_S1_EviT_T0_PT6_S3_lS6_S3_lS4_PT7_S3_li
; %bb.0:
	s_load_dword s9, s[4:5], 0x4
	s_load_dwordx4 s[12:15], s[4:5], 0x8
	s_load_dwordx4 s[0:3], s[4:5], 0x38
	s_load_dwordx2 s[10:11], s[4:5], 0x48
	s_mov_b32 s16, 0
	v_lshl_add_u32 v2, s6, 4, v0
	s_waitcnt lgkmcnt(0)
	s_cmp_lt_i32 s9, 1
	v_lshl_add_u32 v5, s7, 4, v1
	s_cbranch_scc1 .LBB201_6
; %bb.1:
	s_load_dword s17, s[4:5], 0x18
	s_load_dword s6, s[4:5], 0x30
	s_load_dwordx4 s[20:23], s[4:5], 0x20
	s_mul_i32 s1, s1, s8
	v_lshlrev_b32_e32 v6, 3, v0
	v_lshlrev_b32_e32 v8, 7, v1
	s_waitcnt lgkmcnt(0)
	v_mad_i64_i32 v[3:4], s[6:7], s6, v5, 0
	s_mul_hi_u32 s6, s0, s8
	s_add_i32 s1, s6, s1
	v_lshlrev_b64 v[3:4], 3, v[3:4]
	s_mul_i32 s0, s0, s8
	s_lshl_b64 s[0:1], s[0:1], 3
	v_mov_b32_e32 v0, s1
	v_add_co_u32_e32 v3, vcc, s0, v3
	v_mad_i64_i32 v[11:12], s[0:1], s17, v2, 0
	v_addc_co_u32_e32 v0, vcc, v4, v0, vcc
	v_add_co_u32_e32 v3, vcc, v3, v6
	v_addc_co_u32_e32 v0, vcc, 0, v0, vcc
	s_mul_i32 s0, s21, s8
	s_mul_hi_u32 s1, s20, s8
	v_mov_b32_e32 v4, s23
	v_add_co_u32_e32 v3, vcc, s22, v3
	v_lshlrev_b64 v[11:12], 3, v[11:12]
	s_add_i32 s1, s1, s0
	s_mul_i32 s0, s20, s8
	v_addc_co_u32_e32 v4, vcc, v4, v0, vcc
	s_lshl_b64 s[0:1], s[0:1], 3
	v_mov_b32_e32 v0, s1
	v_add_co_u32_e32 v11, vcc, s0, v11
	v_addc_co_u32_e32 v0, vcc, v12, v0, vcc
	v_lshlrev_b32_e32 v1, 3, v1
	v_add_co_u32_e32 v1, vcc, v11, v1
	v_addc_co_u32_e32 v11, vcc, 0, v0, vcc
	v_add_u32_e32 v7, v6, v8
	v_add_u32_e32 v8, 0x800, v8
	v_mov_b32_e32 v12, s15
	v_add_co_u32_e32 v0, vcc, s14, v1
	v_add_u32_e32 v9, v8, v6
	v_mov_b32_e32 v10, 0
	v_addc_co_u32_e32 v1, vcc, v12, v11, vcc
	v_mov_b32_e32 v11, 0
.LBB201_2:                              ; =>This Inner Loop Header: Depth=1
	global_load_dwordx2 v[12:13], v[0:1], off
	s_add_i32 s16, s16, 16
	s_cmp_lt_i32 s16, s9
	s_waitcnt vmcnt(0)
	ds_write_b64 v7, v[12:13]
	global_load_dwordx2 v[12:13], v[3:4], off
	v_add_co_u32_e32 v3, vcc, 0x80, v3
	v_addc_co_u32_e32 v4, vcc, 0, v4, vcc
	v_add_co_u32_e32 v0, vcc, 0x80, v0
	v_addc_co_u32_e32 v1, vcc, 0, v1, vcc
	s_waitcnt vmcnt(0)
	ds_write_b64 v9, v[12:13]
	s_waitcnt lgkmcnt(0)
	s_barrier
	ds_read2_b64 v[12:15], v6 offset1:16
	ds_read_b128 v[16:19], v8
	ds_read_b128 v[20:23], v8 offset:16
	ds_read_b128 v[24:27], v8 offset:32
	;; [unrolled: 1-line block ×3, first 2 shown]
	s_waitcnt lgkmcnt(3)
	v_mul_f32_e32 v32, v17, v13
	v_mul_f32_e32 v13, v16, v13
	v_fmac_f32_e32 v13, v17, v12
	v_fma_f32 v32, v16, v12, -v32
	v_add_f32_e32 v10, v10, v13
	v_mul_f32_e32 v12, v19, v15
	v_mul_f32_e32 v13, v18, v15
	v_add_f32_e32 v11, v11, v32
	v_fma_f32 v12, v18, v14, -v12
	v_fmac_f32_e32 v13, v19, v14
	v_add_f32_e32 v14, v11, v12
	v_add_f32_e32 v15, v10, v13
	ds_read2_b64 v[10:13], v6 offset0:32 offset1:48
	s_waitcnt lgkmcnt(0)
	v_mul_f32_e32 v16, v21, v11
	v_fma_f32 v16, v20, v10, -v16
	v_mul_f32_e32 v11, v20, v11
	v_fmac_f32_e32 v11, v21, v10
	v_add_f32_e32 v10, v14, v16
	v_mul_f32_e32 v14, v23, v13
	v_mul_f32_e32 v13, v22, v13
	v_add_f32_e32 v11, v15, v11
	v_fma_f32 v14, v22, v12, -v14
	v_fmac_f32_e32 v13, v23, v12
	v_add_f32_e32 v14, v10, v14
	v_add_f32_e32 v15, v11, v13
	ds_read2_b64 v[10:13], v6 offset0:64 offset1:80
	s_waitcnt lgkmcnt(0)
	v_mul_f32_e32 v16, v25, v11
	v_fma_f32 v16, v24, v10, -v16
	v_mul_f32_e32 v11, v24, v11
	v_fmac_f32_e32 v11, v25, v10
	;; [unrolled: 14-line block ×3, first 2 shown]
	v_add_f32_e32 v10, v14, v16
	v_mul_f32_e32 v14, v31, v13
	v_mul_f32_e32 v13, v30, v13
	v_add_f32_e32 v11, v15, v11
	v_fma_f32 v14, v30, v12, -v14
	v_fmac_f32_e32 v13, v31, v12
	v_add_f32_e32 v18, v10, v14
	v_add_f32_e32 v19, v11, v13
	ds_read2_b64 v[10:13], v6 offset0:128 offset1:144
	ds_read_b128 v[14:17], v8 offset:64
	s_waitcnt lgkmcnt(0)
	v_mul_f32_e32 v20, v15, v11
	v_mul_f32_e32 v11, v14, v11
	v_fma_f32 v20, v14, v10, -v20
	v_fmac_f32_e32 v11, v15, v10
	v_mul_f32_e32 v14, v17, v13
	v_mul_f32_e32 v13, v16, v13
	v_add_f32_e32 v10, v18, v20
	v_add_f32_e32 v11, v19, v11
	v_fma_f32 v14, v16, v12, -v14
	v_fmac_f32_e32 v13, v17, v12
	v_add_f32_e32 v18, v10, v14
	v_add_f32_e32 v19, v11, v13
	ds_read2_b64 v[10:13], v6 offset0:160 offset1:176
	ds_read_b128 v[14:17], v8 offset:80
	s_waitcnt lgkmcnt(0)
	v_mul_f32_e32 v20, v15, v11
	v_mul_f32_e32 v11, v14, v11
	v_fma_f32 v20, v14, v10, -v20
	v_fmac_f32_e32 v11, v15, v10
	v_mul_f32_e32 v14, v17, v13
	v_mul_f32_e32 v13, v16, v13
	v_add_f32_e32 v10, v18, v20
	;; [unrolled: 15-line block ×3, first 2 shown]
	v_add_f32_e32 v11, v19, v11
	v_fma_f32 v14, v16, v12, -v14
	v_fmac_f32_e32 v13, v17, v12
	v_add_f32_e32 v18, v10, v14
	v_add_f32_e32 v19, v11, v13
	ds_read2_b64 v[10:13], v6 offset0:224 offset1:240
	ds_read_b128 v[14:17], v8 offset:112
	s_waitcnt lgkmcnt(0)
	s_barrier
	v_mul_f32_e32 v20, v15, v11
	v_mul_f32_e32 v11, v14, v11
	v_fmac_f32_e32 v11, v15, v10
	v_fma_f32 v20, v14, v10, -v20
	v_add_f32_e32 v14, v19, v11
	v_mul_f32_e32 v11, v17, v13
	v_mul_f32_e32 v13, v16, v13
	v_add_f32_e32 v10, v18, v20
	v_fma_f32 v11, v16, v12, -v11
	v_fmac_f32_e32 v13, v17, v12
	v_add_f32_e32 v11, v10, v11
	v_add_f32_e32 v10, v14, v13
	s_cbranch_scc1 .LBB201_2
; %bb.3:
	v_cmp_le_i32_e32 vcc, v2, v5
	s_and_saveexec_b64 s[0:1], vcc
	s_cbranch_execz .LBB201_5
.LBB201_4:
	s_load_dwordx2 s[0:1], s[4:5], 0x58
	s_load_dword s6, s[4:5], 0x50
	v_ashrrev_i32_e32 v3, 31, v2
	s_waitcnt lgkmcnt(0)
	s_mul_i32 s1, s1, s8
	s_mul_hi_u32 s4, s0, s8
	s_add_i32 s1, s4, s1
	v_mad_i64_i32 v[0:1], s[4:5], s6, v5, 0
	s_mul_i32 s0, s0, s8
	s_lshl_b64 s[0:1], s[0:1], 3
	s_add_u32 s0, s10, s0
	v_lshlrev_b64 v[0:1], 3, v[0:1]
	s_addc_u32 s1, s11, s1
	v_mov_b32_e32 v4, s1
	v_add_co_u32_e32 v5, vcc, s0, v0
	v_addc_co_u32_e32 v4, vcc, v4, v1, vcc
	v_lshlrev_b64 v[0:1], 3, v[2:3]
	v_add_co_u32_e32 v0, vcc, v5, v0
	v_addc_co_u32_e32 v1, vcc, v4, v1, vcc
	global_load_dwordx2 v[2:3], v[0:1], off
	v_mul_f32_e32 v4, s13, v10
	v_mul_f32_e32 v5, s12, v10
	v_fma_f32 v4, v11, s12, -v4
	v_fmac_f32_e32 v5, s13, v11
	s_waitcnt vmcnt(0)
	v_mul_f32_e32 v6, s3, v3
	v_mul_f32_e32 v3, s2, v3
	v_fma_f32 v6, v2, s2, -v6
	v_fmac_f32_e32 v3, s3, v2
	v_add_f32_e32 v2, v4, v6
	v_add_f32_e32 v3, v5, v3
	global_store_dwordx2 v[0:1], v[2:3], off
.LBB201_5:
	s_endpgm
.LBB201_6:
	v_mov_b32_e32 v10, 0
	v_mov_b32_e32 v11, 0
	v_cmp_le_i32_e32 vcc, v2, v5
	s_and_saveexec_b64 s[0:1], vcc
	s_cbranch_execnz .LBB201_4
	s_branch .LBB201_5
	.section	.rodata,"a",@progbits
	.p2align	6, 0x0
	.amdhsa_kernel _ZL41rocblas_syrkx_herkx_small_restrict_kernelIi19rocblas_complex_numIfELi16ELb0ELb0ELc84ELc85EKS1_S1_EviT_T0_PT6_S3_lS6_S3_lS4_PT7_S3_li
		.amdhsa_group_segment_fixed_size 4096
		.amdhsa_private_segment_fixed_size 0
		.amdhsa_kernarg_size 100
		.amdhsa_user_sgpr_count 6
		.amdhsa_user_sgpr_private_segment_buffer 1
		.amdhsa_user_sgpr_dispatch_ptr 0
		.amdhsa_user_sgpr_queue_ptr 0
		.amdhsa_user_sgpr_kernarg_segment_ptr 1
		.amdhsa_user_sgpr_dispatch_id 0
		.amdhsa_user_sgpr_flat_scratch_init 0
		.amdhsa_user_sgpr_private_segment_size 0
		.amdhsa_uses_dynamic_stack 0
		.amdhsa_system_sgpr_private_segment_wavefront_offset 0
		.amdhsa_system_sgpr_workgroup_id_x 1
		.amdhsa_system_sgpr_workgroup_id_y 1
		.amdhsa_system_sgpr_workgroup_id_z 1
		.amdhsa_system_sgpr_workgroup_info 0
		.amdhsa_system_vgpr_workitem_id 1
		.amdhsa_next_free_vgpr 33
		.amdhsa_next_free_sgpr 24
		.amdhsa_reserve_vcc 1
		.amdhsa_reserve_flat_scratch 0
		.amdhsa_float_round_mode_32 0
		.amdhsa_float_round_mode_16_64 0
		.amdhsa_float_denorm_mode_32 3
		.amdhsa_float_denorm_mode_16_64 3
		.amdhsa_dx10_clamp 1
		.amdhsa_ieee_mode 1
		.amdhsa_fp16_overflow 0
		.amdhsa_exception_fp_ieee_invalid_op 0
		.amdhsa_exception_fp_denorm_src 0
		.amdhsa_exception_fp_ieee_div_zero 0
		.amdhsa_exception_fp_ieee_overflow 0
		.amdhsa_exception_fp_ieee_underflow 0
		.amdhsa_exception_fp_ieee_inexact 0
		.amdhsa_exception_int_div_zero 0
	.end_amdhsa_kernel
	.section	.text._ZL41rocblas_syrkx_herkx_small_restrict_kernelIi19rocblas_complex_numIfELi16ELb0ELb0ELc84ELc85EKS1_S1_EviT_T0_PT6_S3_lS6_S3_lS4_PT7_S3_li,"axG",@progbits,_ZL41rocblas_syrkx_herkx_small_restrict_kernelIi19rocblas_complex_numIfELi16ELb0ELb0ELc84ELc85EKS1_S1_EviT_T0_PT6_S3_lS6_S3_lS4_PT7_S3_li,comdat
.Lfunc_end201:
	.size	_ZL41rocblas_syrkx_herkx_small_restrict_kernelIi19rocblas_complex_numIfELi16ELb0ELb0ELc84ELc85EKS1_S1_EviT_T0_PT6_S3_lS6_S3_lS4_PT7_S3_li, .Lfunc_end201-_ZL41rocblas_syrkx_herkx_small_restrict_kernelIi19rocblas_complex_numIfELi16ELb0ELb0ELc84ELc85EKS1_S1_EviT_T0_PT6_S3_lS6_S3_lS4_PT7_S3_li
                                        ; -- End function
	.set _ZL41rocblas_syrkx_herkx_small_restrict_kernelIi19rocblas_complex_numIfELi16ELb0ELb0ELc84ELc85EKS1_S1_EviT_T0_PT6_S3_lS6_S3_lS4_PT7_S3_li.num_vgpr, 33
	.set _ZL41rocblas_syrkx_herkx_small_restrict_kernelIi19rocblas_complex_numIfELi16ELb0ELb0ELc84ELc85EKS1_S1_EviT_T0_PT6_S3_lS6_S3_lS4_PT7_S3_li.num_agpr, 0
	.set _ZL41rocblas_syrkx_herkx_small_restrict_kernelIi19rocblas_complex_numIfELi16ELb0ELb0ELc84ELc85EKS1_S1_EviT_T0_PT6_S3_lS6_S3_lS4_PT7_S3_li.numbered_sgpr, 24
	.set _ZL41rocblas_syrkx_herkx_small_restrict_kernelIi19rocblas_complex_numIfELi16ELb0ELb0ELc84ELc85EKS1_S1_EviT_T0_PT6_S3_lS6_S3_lS4_PT7_S3_li.num_named_barrier, 0
	.set _ZL41rocblas_syrkx_herkx_small_restrict_kernelIi19rocblas_complex_numIfELi16ELb0ELb0ELc84ELc85EKS1_S1_EviT_T0_PT6_S3_lS6_S3_lS4_PT7_S3_li.private_seg_size, 0
	.set _ZL41rocblas_syrkx_herkx_small_restrict_kernelIi19rocblas_complex_numIfELi16ELb0ELb0ELc84ELc85EKS1_S1_EviT_T0_PT6_S3_lS6_S3_lS4_PT7_S3_li.uses_vcc, 1
	.set _ZL41rocblas_syrkx_herkx_small_restrict_kernelIi19rocblas_complex_numIfELi16ELb0ELb0ELc84ELc85EKS1_S1_EviT_T0_PT6_S3_lS6_S3_lS4_PT7_S3_li.uses_flat_scratch, 0
	.set _ZL41rocblas_syrkx_herkx_small_restrict_kernelIi19rocblas_complex_numIfELi16ELb0ELb0ELc84ELc85EKS1_S1_EviT_T0_PT6_S3_lS6_S3_lS4_PT7_S3_li.has_dyn_sized_stack, 0
	.set _ZL41rocblas_syrkx_herkx_small_restrict_kernelIi19rocblas_complex_numIfELi16ELb0ELb0ELc84ELc85EKS1_S1_EviT_T0_PT6_S3_lS6_S3_lS4_PT7_S3_li.has_recursion, 0
	.set _ZL41rocblas_syrkx_herkx_small_restrict_kernelIi19rocblas_complex_numIfELi16ELb0ELb0ELc84ELc85EKS1_S1_EviT_T0_PT6_S3_lS6_S3_lS4_PT7_S3_li.has_indirect_call, 0
	.section	.AMDGPU.csdata,"",@progbits
; Kernel info:
; codeLenInByte = 1164
; TotalNumSgprs: 28
; NumVgprs: 33
; ScratchSize: 0
; MemoryBound: 0
; FloatMode: 240
; IeeeMode: 1
; LDSByteSize: 4096 bytes/workgroup (compile time only)
; SGPRBlocks: 3
; VGPRBlocks: 8
; NumSGPRsForWavesPerEU: 28
; NumVGPRsForWavesPerEU: 33
; Occupancy: 7
; WaveLimiterHint : 0
; COMPUTE_PGM_RSRC2:SCRATCH_EN: 0
; COMPUTE_PGM_RSRC2:USER_SGPR: 6
; COMPUTE_PGM_RSRC2:TRAP_HANDLER: 0
; COMPUTE_PGM_RSRC2:TGID_X_EN: 1
; COMPUTE_PGM_RSRC2:TGID_Y_EN: 1
; COMPUTE_PGM_RSRC2:TGID_Z_EN: 1
; COMPUTE_PGM_RSRC2:TIDIG_COMP_CNT: 1
	.section	.text._ZL41rocblas_syrkx_herkx_small_restrict_kernelIi19rocblas_complex_numIfELi16ELb0ELb0ELc67ELc85EKS1_S1_EviT_T0_PT6_S3_lS6_S3_lS4_PT7_S3_li,"axG",@progbits,_ZL41rocblas_syrkx_herkx_small_restrict_kernelIi19rocblas_complex_numIfELi16ELb0ELb0ELc67ELc85EKS1_S1_EviT_T0_PT6_S3_lS6_S3_lS4_PT7_S3_li,comdat
	.globl	_ZL41rocblas_syrkx_herkx_small_restrict_kernelIi19rocblas_complex_numIfELi16ELb0ELb0ELc67ELc85EKS1_S1_EviT_T0_PT6_S3_lS6_S3_lS4_PT7_S3_li ; -- Begin function _ZL41rocblas_syrkx_herkx_small_restrict_kernelIi19rocblas_complex_numIfELi16ELb0ELb0ELc67ELc85EKS1_S1_EviT_T0_PT6_S3_lS6_S3_lS4_PT7_S3_li
	.p2align	8
	.type	_ZL41rocblas_syrkx_herkx_small_restrict_kernelIi19rocblas_complex_numIfELi16ELb0ELb0ELc67ELc85EKS1_S1_EviT_T0_PT6_S3_lS6_S3_lS4_PT7_S3_li,@function
_ZL41rocblas_syrkx_herkx_small_restrict_kernelIi19rocblas_complex_numIfELi16ELb0ELb0ELc67ELc85EKS1_S1_EviT_T0_PT6_S3_lS6_S3_lS4_PT7_S3_li: ; @_ZL41rocblas_syrkx_herkx_small_restrict_kernelIi19rocblas_complex_numIfELi16ELb0ELb0ELc67ELc85EKS1_S1_EviT_T0_PT6_S3_lS6_S3_lS4_PT7_S3_li
; %bb.0:
	s_load_dword s9, s[4:5], 0x4
	s_load_dwordx4 s[12:15], s[4:5], 0x8
	s_load_dwordx4 s[0:3], s[4:5], 0x38
	s_load_dwordx2 s[10:11], s[4:5], 0x48
	s_mov_b32 s16, 0
	v_lshl_add_u32 v2, s6, 4, v0
	s_waitcnt lgkmcnt(0)
	s_cmp_lt_i32 s9, 1
	v_lshl_add_u32 v5, s7, 4, v1
	s_cbranch_scc1 .LBB202_6
; %bb.1:
	s_load_dword s17, s[4:5], 0x18
	s_load_dword s6, s[4:5], 0x30
	s_load_dwordx4 s[20:23], s[4:5], 0x20
	s_mul_i32 s1, s1, s8
	v_lshlrev_b32_e32 v6, 3, v0
	v_lshlrev_b32_e32 v8, 7, v1
	s_waitcnt lgkmcnt(0)
	v_mad_i64_i32 v[3:4], s[6:7], s6, v5, 0
	s_mul_hi_u32 s6, s0, s8
	s_add_i32 s1, s6, s1
	v_lshlrev_b64 v[3:4], 3, v[3:4]
	s_mul_i32 s0, s0, s8
	s_lshl_b64 s[0:1], s[0:1], 3
	v_mov_b32_e32 v0, s1
	v_add_co_u32_e32 v3, vcc, s0, v3
	v_mad_i64_i32 v[11:12], s[0:1], s17, v2, 0
	v_addc_co_u32_e32 v0, vcc, v4, v0, vcc
	v_add_co_u32_e32 v3, vcc, v3, v6
	v_addc_co_u32_e32 v0, vcc, 0, v0, vcc
	s_mul_i32 s0, s21, s8
	s_mul_hi_u32 s1, s20, s8
	v_mov_b32_e32 v4, s23
	v_add_co_u32_e32 v3, vcc, s22, v3
	v_lshlrev_b64 v[11:12], 3, v[11:12]
	s_add_i32 s1, s1, s0
	s_mul_i32 s0, s20, s8
	v_addc_co_u32_e32 v4, vcc, v4, v0, vcc
	s_lshl_b64 s[0:1], s[0:1], 3
	v_mov_b32_e32 v0, s1
	v_add_co_u32_e32 v11, vcc, s0, v11
	v_addc_co_u32_e32 v0, vcc, v12, v0, vcc
	v_lshlrev_b32_e32 v1, 3, v1
	v_add_co_u32_e32 v1, vcc, v11, v1
	v_addc_co_u32_e32 v0, vcc, 0, v0, vcc
	v_mov_b32_e32 v11, s15
	v_add_co_u32_e32 v1, vcc, s14, v1
	v_addc_co_u32_e32 v11, vcc, v11, v0, vcc
	v_add_u32_e32 v7, v6, v8
	v_add_u32_e32 v8, 0x800, v8
	v_add_co_u32_e32 v0, vcc, 4, v1
	v_add_u32_e32 v9, v8, v6
	v_mov_b32_e32 v10, 0
	v_addc_co_u32_e32 v1, vcc, 0, v11, vcc
	v_mov_b32_e32 v11, 0
.LBB202_2:                              ; =>This Inner Loop Header: Depth=1
	global_load_dwordx2 v[12:13], v[0:1], off offset:-4
	s_add_i32 s16, s16, 16
	s_cmp_lt_i32 s16, s9
	s_waitcnt vmcnt(0)
	ds_write_b64 v7, v[12:13]
	global_load_dwordx2 v[12:13], v[3:4], off
	v_add_co_u32_e32 v3, vcc, 0x80, v3
	v_addc_co_u32_e32 v4, vcc, 0, v4, vcc
	v_add_co_u32_e32 v0, vcc, 0x80, v0
	v_addc_co_u32_e32 v1, vcc, 0, v1, vcc
	s_waitcnt vmcnt(0)
	ds_write_b64 v9, v[12:13]
	s_waitcnt lgkmcnt(0)
	s_barrier
	ds_read2_b64 v[12:15], v6 offset1:16
	ds_read_b128 v[16:19], v8
	ds_read_b128 v[20:23], v8 offset:16
	ds_read_b128 v[24:27], v8 offset:32
	;; [unrolled: 1-line block ×3, first 2 shown]
	s_waitcnt lgkmcnt(3)
	v_mul_f32_e32 v32, v17, v13
	v_mul_f32_e32 v13, v16, v13
	v_fmac_f32_e32 v13, v17, v12
	v_fma_f32 v32, v16, v12, -v32
	v_add_f32_e32 v10, v10, v13
	v_mul_f32_e32 v12, v19, v15
	v_mul_f32_e32 v13, v18, v15
	v_add_f32_e32 v11, v11, v32
	v_fma_f32 v12, v18, v14, -v12
	v_fmac_f32_e32 v13, v19, v14
	v_add_f32_e32 v14, v11, v12
	v_add_f32_e32 v15, v10, v13
	ds_read2_b64 v[10:13], v6 offset0:32 offset1:48
	s_waitcnt lgkmcnt(0)
	v_mul_f32_e32 v16, v21, v11
	v_fma_f32 v16, v20, v10, -v16
	v_mul_f32_e32 v11, v20, v11
	v_fmac_f32_e32 v11, v21, v10
	v_add_f32_e32 v10, v14, v16
	v_mul_f32_e32 v14, v23, v13
	v_mul_f32_e32 v13, v22, v13
	v_add_f32_e32 v11, v15, v11
	v_fma_f32 v14, v22, v12, -v14
	v_fmac_f32_e32 v13, v23, v12
	v_add_f32_e32 v14, v10, v14
	v_add_f32_e32 v15, v11, v13
	ds_read2_b64 v[10:13], v6 offset0:64 offset1:80
	s_waitcnt lgkmcnt(0)
	v_mul_f32_e32 v16, v25, v11
	v_fma_f32 v16, v24, v10, -v16
	v_mul_f32_e32 v11, v24, v11
	v_fmac_f32_e32 v11, v25, v10
	;; [unrolled: 14-line block ×3, first 2 shown]
	v_add_f32_e32 v10, v14, v16
	v_mul_f32_e32 v14, v31, v13
	v_mul_f32_e32 v13, v30, v13
	v_add_f32_e32 v11, v15, v11
	v_fma_f32 v14, v30, v12, -v14
	v_fmac_f32_e32 v13, v31, v12
	v_add_f32_e32 v18, v10, v14
	v_add_f32_e32 v19, v11, v13
	ds_read2_b64 v[10:13], v6 offset0:128 offset1:144
	ds_read_b128 v[14:17], v8 offset:64
	s_waitcnt lgkmcnt(0)
	v_mul_f32_e32 v20, v15, v11
	v_mul_f32_e32 v11, v14, v11
	v_fma_f32 v20, v14, v10, -v20
	v_fmac_f32_e32 v11, v15, v10
	v_mul_f32_e32 v14, v17, v13
	v_mul_f32_e32 v13, v16, v13
	v_add_f32_e32 v10, v18, v20
	v_add_f32_e32 v11, v19, v11
	v_fma_f32 v14, v16, v12, -v14
	v_fmac_f32_e32 v13, v17, v12
	v_add_f32_e32 v18, v10, v14
	v_add_f32_e32 v19, v11, v13
	ds_read2_b64 v[10:13], v6 offset0:160 offset1:176
	ds_read_b128 v[14:17], v8 offset:80
	s_waitcnt lgkmcnt(0)
	v_mul_f32_e32 v20, v15, v11
	v_mul_f32_e32 v11, v14, v11
	v_fma_f32 v20, v14, v10, -v20
	v_fmac_f32_e32 v11, v15, v10
	v_mul_f32_e32 v14, v17, v13
	v_mul_f32_e32 v13, v16, v13
	v_add_f32_e32 v10, v18, v20
	;; [unrolled: 15-line block ×3, first 2 shown]
	v_add_f32_e32 v11, v19, v11
	v_fma_f32 v14, v16, v12, -v14
	v_fmac_f32_e32 v13, v17, v12
	v_add_f32_e32 v18, v10, v14
	v_add_f32_e32 v19, v11, v13
	ds_read2_b64 v[10:13], v6 offset0:224 offset1:240
	ds_read_b128 v[14:17], v8 offset:112
	s_waitcnt lgkmcnt(0)
	s_barrier
	v_mul_f32_e32 v20, v15, v11
	v_mul_f32_e32 v11, v14, v11
	v_fmac_f32_e32 v11, v15, v10
	v_fma_f32 v20, v14, v10, -v20
	v_add_f32_e32 v14, v19, v11
	v_mul_f32_e32 v11, v17, v13
	v_mul_f32_e32 v13, v16, v13
	v_add_f32_e32 v10, v18, v20
	v_fma_f32 v11, v16, v12, -v11
	v_fmac_f32_e32 v13, v17, v12
	v_add_f32_e32 v11, v10, v11
	v_add_f32_e32 v10, v14, v13
	s_cbranch_scc1 .LBB202_2
; %bb.3:
	v_cmp_le_i32_e32 vcc, v2, v5
	s_and_saveexec_b64 s[0:1], vcc
	s_cbranch_execz .LBB202_5
.LBB202_4:
	s_load_dwordx2 s[0:1], s[4:5], 0x58
	s_load_dword s6, s[4:5], 0x50
	v_ashrrev_i32_e32 v3, 31, v2
	s_waitcnt lgkmcnt(0)
	s_mul_i32 s1, s1, s8
	s_mul_hi_u32 s4, s0, s8
	s_add_i32 s1, s4, s1
	v_mad_i64_i32 v[0:1], s[4:5], s6, v5, 0
	s_mul_i32 s0, s0, s8
	s_lshl_b64 s[0:1], s[0:1], 3
	s_add_u32 s0, s10, s0
	v_lshlrev_b64 v[0:1], 3, v[0:1]
	s_addc_u32 s1, s11, s1
	v_mov_b32_e32 v4, s1
	v_add_co_u32_e32 v5, vcc, s0, v0
	v_addc_co_u32_e32 v4, vcc, v4, v1, vcc
	v_lshlrev_b64 v[0:1], 3, v[2:3]
	v_add_co_u32_e32 v0, vcc, v5, v0
	v_addc_co_u32_e32 v1, vcc, v4, v1, vcc
	global_load_dwordx2 v[2:3], v[0:1], off
	v_mul_f32_e32 v4, s13, v10
	v_mul_f32_e32 v5, s12, v10
	v_fma_f32 v4, v11, s12, -v4
	v_fmac_f32_e32 v5, s13, v11
	s_waitcnt vmcnt(0)
	v_mul_f32_e32 v6, s3, v3
	v_mul_f32_e32 v3, s2, v3
	v_fma_f32 v6, v2, s2, -v6
	v_fmac_f32_e32 v3, s3, v2
	v_add_f32_e32 v2, v4, v6
	v_add_f32_e32 v3, v5, v3
	global_store_dwordx2 v[0:1], v[2:3], off
.LBB202_5:
	s_endpgm
.LBB202_6:
	v_mov_b32_e32 v10, 0
	v_mov_b32_e32 v11, 0
	v_cmp_le_i32_e32 vcc, v2, v5
	s_and_saveexec_b64 s[0:1], vcc
	s_cbranch_execnz .LBB202_4
	s_branch .LBB202_5
	.section	.rodata,"a",@progbits
	.p2align	6, 0x0
	.amdhsa_kernel _ZL41rocblas_syrkx_herkx_small_restrict_kernelIi19rocblas_complex_numIfELi16ELb0ELb0ELc67ELc85EKS1_S1_EviT_T0_PT6_S3_lS6_S3_lS4_PT7_S3_li
		.amdhsa_group_segment_fixed_size 4096
		.amdhsa_private_segment_fixed_size 0
		.amdhsa_kernarg_size 100
		.amdhsa_user_sgpr_count 6
		.amdhsa_user_sgpr_private_segment_buffer 1
		.amdhsa_user_sgpr_dispatch_ptr 0
		.amdhsa_user_sgpr_queue_ptr 0
		.amdhsa_user_sgpr_kernarg_segment_ptr 1
		.amdhsa_user_sgpr_dispatch_id 0
		.amdhsa_user_sgpr_flat_scratch_init 0
		.amdhsa_user_sgpr_private_segment_size 0
		.amdhsa_uses_dynamic_stack 0
		.amdhsa_system_sgpr_private_segment_wavefront_offset 0
		.amdhsa_system_sgpr_workgroup_id_x 1
		.amdhsa_system_sgpr_workgroup_id_y 1
		.amdhsa_system_sgpr_workgroup_id_z 1
		.amdhsa_system_sgpr_workgroup_info 0
		.amdhsa_system_vgpr_workitem_id 1
		.amdhsa_next_free_vgpr 33
		.amdhsa_next_free_sgpr 24
		.amdhsa_reserve_vcc 1
		.amdhsa_reserve_flat_scratch 0
		.amdhsa_float_round_mode_32 0
		.amdhsa_float_round_mode_16_64 0
		.amdhsa_float_denorm_mode_32 3
		.amdhsa_float_denorm_mode_16_64 3
		.amdhsa_dx10_clamp 1
		.amdhsa_ieee_mode 1
		.amdhsa_fp16_overflow 0
		.amdhsa_exception_fp_ieee_invalid_op 0
		.amdhsa_exception_fp_denorm_src 0
		.amdhsa_exception_fp_ieee_div_zero 0
		.amdhsa_exception_fp_ieee_overflow 0
		.amdhsa_exception_fp_ieee_underflow 0
		.amdhsa_exception_fp_ieee_inexact 0
		.amdhsa_exception_int_div_zero 0
	.end_amdhsa_kernel
	.section	.text._ZL41rocblas_syrkx_herkx_small_restrict_kernelIi19rocblas_complex_numIfELi16ELb0ELb0ELc67ELc85EKS1_S1_EviT_T0_PT6_S3_lS6_S3_lS4_PT7_S3_li,"axG",@progbits,_ZL41rocblas_syrkx_herkx_small_restrict_kernelIi19rocblas_complex_numIfELi16ELb0ELb0ELc67ELc85EKS1_S1_EviT_T0_PT6_S3_lS6_S3_lS4_PT7_S3_li,comdat
.Lfunc_end202:
	.size	_ZL41rocblas_syrkx_herkx_small_restrict_kernelIi19rocblas_complex_numIfELi16ELb0ELb0ELc67ELc85EKS1_S1_EviT_T0_PT6_S3_lS6_S3_lS4_PT7_S3_li, .Lfunc_end202-_ZL41rocblas_syrkx_herkx_small_restrict_kernelIi19rocblas_complex_numIfELi16ELb0ELb0ELc67ELc85EKS1_S1_EviT_T0_PT6_S3_lS6_S3_lS4_PT7_S3_li
                                        ; -- End function
	.set _ZL41rocblas_syrkx_herkx_small_restrict_kernelIi19rocblas_complex_numIfELi16ELb0ELb0ELc67ELc85EKS1_S1_EviT_T0_PT6_S3_lS6_S3_lS4_PT7_S3_li.num_vgpr, 33
	.set _ZL41rocblas_syrkx_herkx_small_restrict_kernelIi19rocblas_complex_numIfELi16ELb0ELb0ELc67ELc85EKS1_S1_EviT_T0_PT6_S3_lS6_S3_lS4_PT7_S3_li.num_agpr, 0
	.set _ZL41rocblas_syrkx_herkx_small_restrict_kernelIi19rocblas_complex_numIfELi16ELb0ELb0ELc67ELc85EKS1_S1_EviT_T0_PT6_S3_lS6_S3_lS4_PT7_S3_li.numbered_sgpr, 24
	.set _ZL41rocblas_syrkx_herkx_small_restrict_kernelIi19rocblas_complex_numIfELi16ELb0ELb0ELc67ELc85EKS1_S1_EviT_T0_PT6_S3_lS6_S3_lS4_PT7_S3_li.num_named_barrier, 0
	.set _ZL41rocblas_syrkx_herkx_small_restrict_kernelIi19rocblas_complex_numIfELi16ELb0ELb0ELc67ELc85EKS1_S1_EviT_T0_PT6_S3_lS6_S3_lS4_PT7_S3_li.private_seg_size, 0
	.set _ZL41rocblas_syrkx_herkx_small_restrict_kernelIi19rocblas_complex_numIfELi16ELb0ELb0ELc67ELc85EKS1_S1_EviT_T0_PT6_S3_lS6_S3_lS4_PT7_S3_li.uses_vcc, 1
	.set _ZL41rocblas_syrkx_herkx_small_restrict_kernelIi19rocblas_complex_numIfELi16ELb0ELb0ELc67ELc85EKS1_S1_EviT_T0_PT6_S3_lS6_S3_lS4_PT7_S3_li.uses_flat_scratch, 0
	.set _ZL41rocblas_syrkx_herkx_small_restrict_kernelIi19rocblas_complex_numIfELi16ELb0ELb0ELc67ELc85EKS1_S1_EviT_T0_PT6_S3_lS6_S3_lS4_PT7_S3_li.has_dyn_sized_stack, 0
	.set _ZL41rocblas_syrkx_herkx_small_restrict_kernelIi19rocblas_complex_numIfELi16ELb0ELb0ELc67ELc85EKS1_S1_EviT_T0_PT6_S3_lS6_S3_lS4_PT7_S3_li.has_recursion, 0
	.set _ZL41rocblas_syrkx_herkx_small_restrict_kernelIi19rocblas_complex_numIfELi16ELb0ELb0ELc67ELc85EKS1_S1_EviT_T0_PT6_S3_lS6_S3_lS4_PT7_S3_li.has_indirect_call, 0
	.section	.AMDGPU.csdata,"",@progbits
; Kernel info:
; codeLenInByte = 1172
; TotalNumSgprs: 28
; NumVgprs: 33
; ScratchSize: 0
; MemoryBound: 0
; FloatMode: 240
; IeeeMode: 1
; LDSByteSize: 4096 bytes/workgroup (compile time only)
; SGPRBlocks: 3
; VGPRBlocks: 8
; NumSGPRsForWavesPerEU: 28
; NumVGPRsForWavesPerEU: 33
; Occupancy: 7
; WaveLimiterHint : 0
; COMPUTE_PGM_RSRC2:SCRATCH_EN: 0
; COMPUTE_PGM_RSRC2:USER_SGPR: 6
; COMPUTE_PGM_RSRC2:TRAP_HANDLER: 0
; COMPUTE_PGM_RSRC2:TGID_X_EN: 1
; COMPUTE_PGM_RSRC2:TGID_Y_EN: 1
; COMPUTE_PGM_RSRC2:TGID_Z_EN: 1
; COMPUTE_PGM_RSRC2:TIDIG_COMP_CNT: 1
	.section	.text._ZL41rocblas_syrkx_herkx_small_restrict_kernelIi19rocblas_complex_numIfELi16ELb0ELb0ELc78ELc85EKS1_S1_EviT_T0_PT6_S3_lS6_S3_lS4_PT7_S3_li,"axG",@progbits,_ZL41rocblas_syrkx_herkx_small_restrict_kernelIi19rocblas_complex_numIfELi16ELb0ELb0ELc78ELc85EKS1_S1_EviT_T0_PT6_S3_lS6_S3_lS4_PT7_S3_li,comdat
	.globl	_ZL41rocblas_syrkx_herkx_small_restrict_kernelIi19rocblas_complex_numIfELi16ELb0ELb0ELc78ELc85EKS1_S1_EviT_T0_PT6_S3_lS6_S3_lS4_PT7_S3_li ; -- Begin function _ZL41rocblas_syrkx_herkx_small_restrict_kernelIi19rocblas_complex_numIfELi16ELb0ELb0ELc78ELc85EKS1_S1_EviT_T0_PT6_S3_lS6_S3_lS4_PT7_S3_li
	.p2align	8
	.type	_ZL41rocblas_syrkx_herkx_small_restrict_kernelIi19rocblas_complex_numIfELi16ELb0ELb0ELc78ELc85EKS1_S1_EviT_T0_PT6_S3_lS6_S3_lS4_PT7_S3_li,@function
_ZL41rocblas_syrkx_herkx_small_restrict_kernelIi19rocblas_complex_numIfELi16ELb0ELb0ELc78ELc85EKS1_S1_EviT_T0_PT6_S3_lS6_S3_lS4_PT7_S3_li: ; @_ZL41rocblas_syrkx_herkx_small_restrict_kernelIi19rocblas_complex_numIfELi16ELb0ELb0ELc78ELc85EKS1_S1_EviT_T0_PT6_S3_lS6_S3_lS4_PT7_S3_li
; %bb.0:
	s_load_dword s9, s[4:5], 0x4
	s_load_dwordx4 s[12:15], s[4:5], 0x8
	s_load_dwordx4 s[0:3], s[4:5], 0x38
	s_load_dwordx2 s[10:11], s[4:5], 0x48
	v_lshl_add_u32 v2, s6, 4, v0
	s_mov_b32 s20, 0
	v_lshl_add_u32 v4, s7, 4, v1
	s_waitcnt lgkmcnt(0)
	s_cmp_lt_i32 s9, 1
	v_ashrrev_i32_e32 v3, 31, v2
	s_cbranch_scc1 .LBB203_6
; %bb.1:
	s_load_dword s6, s[4:5], 0x18
	s_load_dword s22, s[4:5], 0x30
	s_load_dwordx4 s[16:19], s[4:5], 0x20
	s_mul_i32 s1, s1, s8
	s_mul_hi_u32 s21, s0, s8
	s_add_i32 s1, s21, s1
	s_waitcnt lgkmcnt(0)
	v_mad_i64_i32 v[10:11], s[24:25], s22, v0, 0
	s_mul_i32 s0, s0, s8
	v_lshlrev_b32_e32 v6, 7, v1
	v_lshlrev_b64 v[10:11], 3, v[10:11]
	v_lshlrev_b32_e32 v7, 3, v0
	v_ashrrev_i32_e32 v5, 31, v4
	s_lshl_b64 s[0:1], s[0:1], 3
	v_add_u32_e32 v8, v7, v6
	v_add_u32_e32 v9, 0x800, v6
	v_mov_b32_e32 v0, s1
	v_add_co_u32_e32 v10, vcc, s0, v10
	v_lshlrev_b64 v[5:6], 3, v[4:5]
	v_addc_co_u32_e32 v0, vcc, v0, v11, vcc
	v_add_co_u32_e32 v5, vcc, v10, v5
	v_addc_co_u32_e32 v0, vcc, v0, v6, vcc
	v_mov_b32_e32 v6, s19
	v_add_co_u32_e32 v5, vcc, s18, v5
	v_addc_co_u32_e32 v0, vcc, v6, v0, vcc
	v_add_co_u32_e32 v5, vcc, 4, v5
	v_addc_co_u32_e32 v6, vcc, 0, v0, vcc
	v_mad_i64_i32 v[0:1], s[18:19], s6, v1, 0
	s_mul_i32 s17, s17, s8
	s_mul_hi_u32 s21, s16, s8
	s_add_i32 s17, s21, s17
	s_mul_i32 s16, s16, s8
	v_lshlrev_b64 v[0:1], 3, v[0:1]
	s_lshl_b64 s[16:17], s[16:17], 3
	v_mov_b32_e32 v10, s17
	v_add_co_u32_e32 v11, vcc, s16, v0
	v_addc_co_u32_e32 v10, vcc, v10, v1, vcc
	v_lshlrev_b64 v[0:1], 3, v[2:3]
	s_ashr_i32 s7, s6, 31
	v_add_co_u32_e32 v0, vcc, v11, v0
	s_ashr_i32 s23, s22, 31
	v_addc_co_u32_e32 v1, vcc, v10, v1, vcc
	s_lshl_b64 s[0:1], s[22:23], 7
	v_mov_b32_e32 v10, s15
	v_add_co_u32_e32 v0, vcc, s14, v0
	s_lshl_b64 s[6:7], s[6:7], 7
	v_addc_co_u32_e32 v1, vcc, v10, v1, vcc
	v_mov_b32_e32 v12, 0
	v_mov_b32_e32 v10, s1
	;; [unrolled: 1-line block ×4, first 2 shown]
.LBB203_2:                              ; =>This Inner Loop Header: Depth=1
	global_load_dwordx2 v[14:15], v[0:1], off
	v_add_u32_e32 v16, v9, v7
	s_add_i32 s20, s20, 16
	s_cmp_lt_i32 s20, s9
	s_waitcnt vmcnt(0)
	ds_write_b64 v8, v[14:15]
	global_load_dwordx2 v[14:15], v[5:6], off offset:-4
	v_add_co_u32_e32 v5, vcc, s0, v5
	v_addc_co_u32_e32 v6, vcc, v6, v10, vcc
	v_add_co_u32_e32 v0, vcc, s6, v0
	v_addc_co_u32_e32 v1, vcc, v1, v11, vcc
	s_waitcnt vmcnt(0)
	ds_write_b64 v16, v[14:15]
	s_waitcnt lgkmcnt(0)
	s_barrier
	ds_read2_b64 v[14:17], v7 offset1:16
	ds_read_b128 v[18:21], v9
	ds_read_b128 v[22:25], v9 offset:16
	ds_read_b128 v[26:29], v9 offset:32
	;; [unrolled: 1-line block ×3, first 2 shown]
	s_waitcnt lgkmcnt(3)
	v_mul_f32_e32 v34, v19, v15
	v_mul_f32_e32 v15, v18, v15
	v_fmac_f32_e32 v15, v19, v14
	v_fma_f32 v34, v18, v14, -v34
	v_add_f32_e32 v12, v12, v15
	v_mul_f32_e32 v14, v21, v17
	v_mul_f32_e32 v15, v20, v17
	v_add_f32_e32 v13, v13, v34
	v_fma_f32 v14, v20, v16, -v14
	v_fmac_f32_e32 v15, v21, v16
	v_add_f32_e32 v16, v13, v14
	v_add_f32_e32 v17, v12, v15
	ds_read2_b64 v[12:15], v7 offset0:32 offset1:48
	s_waitcnt lgkmcnt(0)
	v_mul_f32_e32 v18, v23, v13
	v_fma_f32 v18, v22, v12, -v18
	v_mul_f32_e32 v13, v22, v13
	v_fmac_f32_e32 v13, v23, v12
	v_add_f32_e32 v12, v16, v18
	v_mul_f32_e32 v16, v25, v15
	v_mul_f32_e32 v15, v24, v15
	v_add_f32_e32 v13, v17, v13
	v_fma_f32 v16, v24, v14, -v16
	v_fmac_f32_e32 v15, v25, v14
	v_add_f32_e32 v16, v12, v16
	v_add_f32_e32 v17, v13, v15
	ds_read2_b64 v[12:15], v7 offset0:64 offset1:80
	s_waitcnt lgkmcnt(0)
	v_mul_f32_e32 v18, v27, v13
	v_fma_f32 v18, v26, v12, -v18
	v_mul_f32_e32 v13, v26, v13
	v_fmac_f32_e32 v13, v27, v12
	;; [unrolled: 14-line block ×3, first 2 shown]
	v_add_f32_e32 v12, v16, v18
	v_mul_f32_e32 v16, v33, v15
	v_mul_f32_e32 v15, v32, v15
	v_add_f32_e32 v13, v17, v13
	v_fma_f32 v16, v32, v14, -v16
	v_fmac_f32_e32 v15, v33, v14
	v_add_f32_e32 v20, v12, v16
	v_add_f32_e32 v21, v13, v15
	ds_read2_b64 v[12:15], v7 offset0:128 offset1:144
	ds_read_b128 v[16:19], v9 offset:64
	s_waitcnt lgkmcnt(0)
	v_mul_f32_e32 v22, v17, v13
	v_mul_f32_e32 v13, v16, v13
	v_fma_f32 v22, v16, v12, -v22
	v_fmac_f32_e32 v13, v17, v12
	v_mul_f32_e32 v16, v19, v15
	v_mul_f32_e32 v15, v18, v15
	v_add_f32_e32 v12, v20, v22
	v_add_f32_e32 v13, v21, v13
	v_fma_f32 v16, v18, v14, -v16
	v_fmac_f32_e32 v15, v19, v14
	v_add_f32_e32 v20, v12, v16
	v_add_f32_e32 v21, v13, v15
	ds_read2_b64 v[12:15], v7 offset0:160 offset1:176
	ds_read_b128 v[16:19], v9 offset:80
	s_waitcnt lgkmcnt(0)
	v_mul_f32_e32 v22, v17, v13
	v_mul_f32_e32 v13, v16, v13
	v_fma_f32 v22, v16, v12, -v22
	v_fmac_f32_e32 v13, v17, v12
	v_mul_f32_e32 v16, v19, v15
	v_mul_f32_e32 v15, v18, v15
	v_add_f32_e32 v12, v20, v22
	;; [unrolled: 15-line block ×3, first 2 shown]
	v_add_f32_e32 v13, v21, v13
	v_fma_f32 v16, v18, v14, -v16
	v_fmac_f32_e32 v15, v19, v14
	v_add_f32_e32 v20, v12, v16
	v_add_f32_e32 v21, v13, v15
	ds_read2_b64 v[12:15], v7 offset0:224 offset1:240
	ds_read_b128 v[16:19], v9 offset:112
	s_waitcnt lgkmcnt(0)
	s_barrier
	v_mul_f32_e32 v22, v17, v13
	v_mul_f32_e32 v13, v16, v13
	v_fmac_f32_e32 v13, v17, v12
	v_fma_f32 v22, v16, v12, -v22
	v_add_f32_e32 v16, v21, v13
	v_mul_f32_e32 v13, v19, v15
	v_mul_f32_e32 v15, v18, v15
	v_add_f32_e32 v12, v20, v22
	v_fma_f32 v13, v18, v14, -v13
	v_fmac_f32_e32 v15, v19, v14
	v_add_f32_e32 v13, v12, v13
	v_add_f32_e32 v12, v16, v15
	s_cbranch_scc1 .LBB203_2
; %bb.3:
	v_cmp_le_i32_e32 vcc, v2, v4
	s_and_saveexec_b64 s[0:1], vcc
	s_cbranch_execz .LBB203_5
.LBB203_4:
	s_load_dwordx2 s[0:1], s[4:5], 0x58
	s_load_dword s6, s[4:5], 0x50
	s_waitcnt lgkmcnt(0)
	s_mul_i32 s1, s1, s8
	s_mul_hi_u32 s4, s0, s8
	s_add_i32 s1, s4, s1
	v_mad_i64_i32 v[0:1], s[4:5], s6, v4, 0
	s_mul_i32 s0, s0, s8
	s_lshl_b64 s[0:1], s[0:1], 3
	s_add_u32 s0, s10, s0
	v_lshlrev_b64 v[0:1], 3, v[0:1]
	s_addc_u32 s1, s11, s1
	v_mov_b32_e32 v4, s1
	v_add_co_u32_e32 v5, vcc, s0, v0
	v_addc_co_u32_e32 v4, vcc, v4, v1, vcc
	v_lshlrev_b64 v[0:1], 3, v[2:3]
	v_add_co_u32_e32 v0, vcc, v5, v0
	v_addc_co_u32_e32 v1, vcc, v4, v1, vcc
	global_load_dwordx2 v[2:3], v[0:1], off
	v_mul_f32_e32 v4, s13, v12
	v_mul_f32_e32 v5, s12, v12
	v_fma_f32 v4, v13, s12, -v4
	v_fmac_f32_e32 v5, s13, v13
	s_waitcnt vmcnt(0)
	v_mul_f32_e32 v6, s3, v3
	v_mul_f32_e32 v3, s2, v3
	v_fma_f32 v6, v2, s2, -v6
	v_fmac_f32_e32 v3, s3, v2
	v_add_f32_e32 v2, v4, v6
	v_add_f32_e32 v3, v5, v3
	global_store_dwordx2 v[0:1], v[2:3], off
.LBB203_5:
	s_endpgm
.LBB203_6:
	v_mov_b32_e32 v12, 0
	v_mov_b32_e32 v13, 0
	v_cmp_le_i32_e32 vcc, v2, v4
	s_and_saveexec_b64 s[0:1], vcc
	s_cbranch_execnz .LBB203_4
	s_branch .LBB203_5
	.section	.rodata,"a",@progbits
	.p2align	6, 0x0
	.amdhsa_kernel _ZL41rocblas_syrkx_herkx_small_restrict_kernelIi19rocblas_complex_numIfELi16ELb0ELb0ELc78ELc85EKS1_S1_EviT_T0_PT6_S3_lS6_S3_lS4_PT7_S3_li
		.amdhsa_group_segment_fixed_size 4096
		.amdhsa_private_segment_fixed_size 0
		.amdhsa_kernarg_size 100
		.amdhsa_user_sgpr_count 6
		.amdhsa_user_sgpr_private_segment_buffer 1
		.amdhsa_user_sgpr_dispatch_ptr 0
		.amdhsa_user_sgpr_queue_ptr 0
		.amdhsa_user_sgpr_kernarg_segment_ptr 1
		.amdhsa_user_sgpr_dispatch_id 0
		.amdhsa_user_sgpr_flat_scratch_init 0
		.amdhsa_user_sgpr_private_segment_size 0
		.amdhsa_uses_dynamic_stack 0
		.amdhsa_system_sgpr_private_segment_wavefront_offset 0
		.amdhsa_system_sgpr_workgroup_id_x 1
		.amdhsa_system_sgpr_workgroup_id_y 1
		.amdhsa_system_sgpr_workgroup_id_z 1
		.amdhsa_system_sgpr_workgroup_info 0
		.amdhsa_system_vgpr_workitem_id 1
		.amdhsa_next_free_vgpr 35
		.amdhsa_next_free_sgpr 26
		.amdhsa_reserve_vcc 1
		.amdhsa_reserve_flat_scratch 0
		.amdhsa_float_round_mode_32 0
		.amdhsa_float_round_mode_16_64 0
		.amdhsa_float_denorm_mode_32 3
		.amdhsa_float_denorm_mode_16_64 3
		.amdhsa_dx10_clamp 1
		.amdhsa_ieee_mode 1
		.amdhsa_fp16_overflow 0
		.amdhsa_exception_fp_ieee_invalid_op 0
		.amdhsa_exception_fp_denorm_src 0
		.amdhsa_exception_fp_ieee_div_zero 0
		.amdhsa_exception_fp_ieee_overflow 0
		.amdhsa_exception_fp_ieee_underflow 0
		.amdhsa_exception_fp_ieee_inexact 0
		.amdhsa_exception_int_div_zero 0
	.end_amdhsa_kernel
	.section	.text._ZL41rocblas_syrkx_herkx_small_restrict_kernelIi19rocblas_complex_numIfELi16ELb0ELb0ELc78ELc85EKS1_S1_EviT_T0_PT6_S3_lS6_S3_lS4_PT7_S3_li,"axG",@progbits,_ZL41rocblas_syrkx_herkx_small_restrict_kernelIi19rocblas_complex_numIfELi16ELb0ELb0ELc78ELc85EKS1_S1_EviT_T0_PT6_S3_lS6_S3_lS4_PT7_S3_li,comdat
.Lfunc_end203:
	.size	_ZL41rocblas_syrkx_herkx_small_restrict_kernelIi19rocblas_complex_numIfELi16ELb0ELb0ELc78ELc85EKS1_S1_EviT_T0_PT6_S3_lS6_S3_lS4_PT7_S3_li, .Lfunc_end203-_ZL41rocblas_syrkx_herkx_small_restrict_kernelIi19rocblas_complex_numIfELi16ELb0ELb0ELc78ELc85EKS1_S1_EviT_T0_PT6_S3_lS6_S3_lS4_PT7_S3_li
                                        ; -- End function
	.set _ZL41rocblas_syrkx_herkx_small_restrict_kernelIi19rocblas_complex_numIfELi16ELb0ELb0ELc78ELc85EKS1_S1_EviT_T0_PT6_S3_lS6_S3_lS4_PT7_S3_li.num_vgpr, 35
	.set _ZL41rocblas_syrkx_herkx_small_restrict_kernelIi19rocblas_complex_numIfELi16ELb0ELb0ELc78ELc85EKS1_S1_EviT_T0_PT6_S3_lS6_S3_lS4_PT7_S3_li.num_agpr, 0
	.set _ZL41rocblas_syrkx_herkx_small_restrict_kernelIi19rocblas_complex_numIfELi16ELb0ELb0ELc78ELc85EKS1_S1_EviT_T0_PT6_S3_lS6_S3_lS4_PT7_S3_li.numbered_sgpr, 26
	.set _ZL41rocblas_syrkx_herkx_small_restrict_kernelIi19rocblas_complex_numIfELi16ELb0ELb0ELc78ELc85EKS1_S1_EviT_T0_PT6_S3_lS6_S3_lS4_PT7_S3_li.num_named_barrier, 0
	.set _ZL41rocblas_syrkx_herkx_small_restrict_kernelIi19rocblas_complex_numIfELi16ELb0ELb0ELc78ELc85EKS1_S1_EviT_T0_PT6_S3_lS6_S3_lS4_PT7_S3_li.private_seg_size, 0
	.set _ZL41rocblas_syrkx_herkx_small_restrict_kernelIi19rocblas_complex_numIfELi16ELb0ELb0ELc78ELc85EKS1_S1_EviT_T0_PT6_S3_lS6_S3_lS4_PT7_S3_li.uses_vcc, 1
	.set _ZL41rocblas_syrkx_herkx_small_restrict_kernelIi19rocblas_complex_numIfELi16ELb0ELb0ELc78ELc85EKS1_S1_EviT_T0_PT6_S3_lS6_S3_lS4_PT7_S3_li.uses_flat_scratch, 0
	.set _ZL41rocblas_syrkx_herkx_small_restrict_kernelIi19rocblas_complex_numIfELi16ELb0ELb0ELc78ELc85EKS1_S1_EviT_T0_PT6_S3_lS6_S3_lS4_PT7_S3_li.has_dyn_sized_stack, 0
	.set _ZL41rocblas_syrkx_herkx_small_restrict_kernelIi19rocblas_complex_numIfELi16ELb0ELb0ELc78ELc85EKS1_S1_EviT_T0_PT6_S3_lS6_S3_lS4_PT7_S3_li.has_recursion, 0
	.set _ZL41rocblas_syrkx_herkx_small_restrict_kernelIi19rocblas_complex_numIfELi16ELb0ELb0ELc78ELc85EKS1_S1_EviT_T0_PT6_S3_lS6_S3_lS4_PT7_S3_li.has_indirect_call, 0
	.section	.AMDGPU.csdata,"",@progbits
; Kernel info:
; codeLenInByte = 1204
; TotalNumSgprs: 30
; NumVgprs: 35
; ScratchSize: 0
; MemoryBound: 0
; FloatMode: 240
; IeeeMode: 1
; LDSByteSize: 4096 bytes/workgroup (compile time only)
; SGPRBlocks: 3
; VGPRBlocks: 8
; NumSGPRsForWavesPerEU: 30
; NumVGPRsForWavesPerEU: 35
; Occupancy: 7
; WaveLimiterHint : 0
; COMPUTE_PGM_RSRC2:SCRATCH_EN: 0
; COMPUTE_PGM_RSRC2:USER_SGPR: 6
; COMPUTE_PGM_RSRC2:TRAP_HANDLER: 0
; COMPUTE_PGM_RSRC2:TGID_X_EN: 1
; COMPUTE_PGM_RSRC2:TGID_Y_EN: 1
; COMPUTE_PGM_RSRC2:TGID_Z_EN: 1
; COMPUTE_PGM_RSRC2:TIDIG_COMP_CNT: 1
	.section	.text._ZL32rocblas_syrkx_herkx_small_kernelIi19rocblas_complex_numIfELi16ELb1ELb0ELc84ELc76EKS1_S1_EviT_T0_PT6_S3_lS6_S3_lS4_PT7_S3_li,"axG",@progbits,_ZL32rocblas_syrkx_herkx_small_kernelIi19rocblas_complex_numIfELi16ELb1ELb0ELc84ELc76EKS1_S1_EviT_T0_PT6_S3_lS6_S3_lS4_PT7_S3_li,comdat
	.globl	_ZL32rocblas_syrkx_herkx_small_kernelIi19rocblas_complex_numIfELi16ELb1ELb0ELc84ELc76EKS1_S1_EviT_T0_PT6_S3_lS6_S3_lS4_PT7_S3_li ; -- Begin function _ZL32rocblas_syrkx_herkx_small_kernelIi19rocblas_complex_numIfELi16ELb1ELb0ELc84ELc76EKS1_S1_EviT_T0_PT6_S3_lS6_S3_lS4_PT7_S3_li
	.p2align	8
	.type	_ZL32rocblas_syrkx_herkx_small_kernelIi19rocblas_complex_numIfELi16ELb1ELb0ELc84ELc76EKS1_S1_EviT_T0_PT6_S3_lS6_S3_lS4_PT7_S3_li,@function
_ZL32rocblas_syrkx_herkx_small_kernelIi19rocblas_complex_numIfELi16ELb1ELb0ELc84ELc76EKS1_S1_EviT_T0_PT6_S3_lS6_S3_lS4_PT7_S3_li: ; @_ZL32rocblas_syrkx_herkx_small_kernelIi19rocblas_complex_numIfELi16ELb1ELb0ELc84ELc76EKS1_S1_EviT_T0_PT6_S3_lS6_S3_lS4_PT7_S3_li
; %bb.0:
	s_load_dwordx2 s[10:11], s[4:5], 0x0
	s_load_dwordx4 s[12:15], s[4:5], 0x8
	v_lshl_add_u32 v2, s6, 4, v0
	s_mov_b32 s9, 0
	v_lshl_add_u32 v9, s7, 4, v1
	s_waitcnt lgkmcnt(0)
	s_cmp_lt_i32 s11, 1
	v_cmp_gt_i32_e32 vcc, s10, v2
	s_cbranch_scc1 .LBB204_11
; %bb.1:
	s_load_dword s6, s[4:5], 0x18
	s_load_dwordx4 s[16:19], s[4:5], 0x20
	s_load_dword s0, s[4:5], 0x30
	s_load_dwordx2 s[2:3], s[4:5], 0x38
	v_lshlrev_b32_e32 v5, 7, v1
	v_lshlrev_b32_e32 v10, 3, v0
	v_add_u32_e32 v11, v10, v5
	s_waitcnt lgkmcnt(0)
	v_mad_i64_i32 v[3:4], s[0:1], s0, v9, 0
	s_mul_i32 s3, s3, s8
	s_mul_hi_u32 s7, s2, s8
	v_lshlrev_b64 v[3:4], 3, v[3:4]
	s_add_i32 s3, s7, s3
	s_mul_i32 s2, s2, s8
	s_lshl_b64 s[2:3], s[2:3], 3
	v_add_u32_e32 v12, 0x800, v5
	v_mov_b32_e32 v5, s3
	v_add_co_u32_e64 v6, s[2:3], s2, v3
	v_addc_co_u32_e64 v4, s[2:3], v4, v5, s[2:3]
	v_add_co_u32_e64 v5, s[2:3], v6, v10
	v_addc_co_u32_e64 v4, s[2:3], 0, v4, s[2:3]
	v_mad_i64_i32 v[7:8], s[2:3], s6, v2, 0
	v_mov_b32_e32 v6, s19
	v_add_co_u32_e64 v5, s[2:3], s18, v5
	v_addc_co_u32_e64 v6, s[2:3], v6, v4, s[2:3]
	s_mul_i32 s2, s17, s8
	s_mul_hi_u32 s3, s16, s8
	v_lshlrev_b64 v[7:8], 3, v[7:8]
	s_add_i32 s3, s3, s2
	s_mul_i32 s2, s16, s8
	s_lshl_b64 s[2:3], s[2:3], 3
	v_mov_b32_e32 v4, s3
	v_add_co_u32_e64 v7, s[2:3], s2, v7
	v_addc_co_u32_e64 v4, s[2:3], v8, v4, s[2:3]
	v_lshlrev_b32_e32 v8, 3, v1
	v_add_co_u32_e64 v7, s[2:3], v7, v8
	v_addc_co_u32_e64 v4, s[2:3], 0, v4, s[2:3]
	v_mov_b32_e32 v8, s15
	v_add_co_u32_e64 v7, s[2:3], s14, v7
	v_cmp_gt_i32_e64 s[0:1], s10, v9
	v_addc_co_u32_e64 v8, s[2:3], v8, v4, s[2:3]
	v_add_u32_e32 v13, v12, v10
	v_mov_b32_e32 v3, 0
	s_xor_b64 s[2:3], vcc, -1
	s_xor_b64 s[0:1], s[0:1], -1
	v_mov_b32_e32 v14, 0
	v_mov_b32_e32 v15, 0
	s_branch .LBB204_3
.LBB204_2:                              ;   in Loop: Header=BB204_3 Depth=1
	s_or_b64 exec, exec, s[6:7]
	s_waitcnt lgkmcnt(0)
	s_barrier
	ds_read2_b64 v[16:19], v10 offset1:16
	ds_read_b128 v[20:23], v12
	ds_read_b128 v[24:27], v12 offset:16
	ds_read2_b64 v[28:31], v10 offset0:32 offset1:48
	v_add_co_u32_e32 v5, vcc, 0x80, v5
	s_waitcnt lgkmcnt(2)
	v_mul_f32_e32 v4, v21, v17
	v_mul_f32_e32 v32, v20, v17
	v_fma_f32 v4, v20, v16, -v4
	v_fmac_f32_e32 v32, v21, v16
	v_mul_f32_e32 v16, v23, v19
	v_fma_f32 v33, v22, v18, -v16
	v_mul_f32_e32 v34, v22, v19
	s_waitcnt lgkmcnt(0)
	v_mul_f32_e32 v16, v25, v29
	v_fmac_f32_e32 v34, v23, v18
	v_fma_f32 v35, v24, v28, -v16
	ds_read2_b64 v[16:19], v10 offset0:64 offset1:80
	ds_read_b128 v[20:23], v12 offset:32
	v_mul_f32_e32 v36, v24, v29
	v_fmac_f32_e32 v36, v25, v28
	v_mul_f32_e32 v24, v27, v31
	v_mul_f32_e32 v38, v26, v31
	s_waitcnt lgkmcnt(0)
	v_mul_f32_e32 v28, v21, v17
	v_fma_f32 v37, v26, v30, -v24
	v_fmac_f32_e32 v38, v27, v30
	ds_read_b128 v[24:27], v12 offset:48
	v_fma_f32 v39, v20, v16, -v28
	ds_read2_b64 v[28:31], v10 offset0:96 offset1:112
	v_mul_f32_e32 v40, v20, v17
	v_fmac_f32_e32 v40, v21, v16
	v_mul_f32_e32 v16, v23, v19
	v_fma_f32 v41, v22, v18, -v16
	v_mul_f32_e32 v42, v22, v19
	s_waitcnt lgkmcnt(0)
	v_mul_f32_e32 v16, v25, v29
	v_fmac_f32_e32 v42, v23, v18
	v_fma_f32 v43, v24, v28, -v16
	ds_read2_b64 v[16:19], v10 offset0:128 offset1:144
	ds_read_b128 v[20:23], v12 offset:64
	v_mul_f32_e32 v44, v24, v29
	v_fmac_f32_e32 v44, v25, v28
	v_mul_f32_e32 v24, v27, v31
	v_mul_f32_e32 v46, v26, v31
	s_waitcnt lgkmcnt(0)
	v_mul_f32_e32 v28, v21, v17
	v_fma_f32 v45, v26, v30, -v24
	v_fmac_f32_e32 v46, v27, v30
	ds_read_b128 v[24:27], v12 offset:80
	v_fma_f32 v47, v20, v16, -v28
	ds_read2_b64 v[28:31], v10 offset0:160 offset1:176
	v_mul_f32_e32 v48, v20, v17
	v_add_f32_e32 v14, v14, v32
	v_fmac_f32_e32 v48, v21, v16
	v_mul_f32_e32 v16, v23, v19
	v_add_f32_e32 v14, v14, v34
	v_fma_f32 v49, v22, v18, -v16
	v_mul_f32_e32 v50, v22, v19
	s_waitcnt lgkmcnt(0)
	v_mul_f32_e32 v16, v25, v29
	v_add_f32_e32 v14, v14, v36
	v_fmac_f32_e32 v50, v23, v18
	v_fma_f32 v51, v24, v28, -v16
	ds_read2_b64 v[16:19], v10 offset0:192 offset1:208
	ds_read_b128 v[20:23], v12 offset:96
	v_add_f32_e32 v14, v14, v38
	v_add_f32_e32 v14, v14, v40
	v_add_f32_e32 v4, v15, v4
	v_add_f32_e32 v14, v14, v42
	v_add_f32_e32 v4, v4, v33
	v_add_f32_e32 v14, v14, v44
	v_mul_f32_e32 v29, v24, v29
	v_mul_f32_e32 v24, v27, v31
	;; [unrolled: 1-line block ×3, first 2 shown]
	v_add_f32_e32 v4, v4, v35
	v_add_f32_e32 v14, v14, v46
	v_fmac_f32_e32 v29, v25, v28
	v_fma_f32 v28, v26, v30, -v24
	v_fmac_f32_e32 v31, v27, v30
	s_waitcnt lgkmcnt(0)
	v_mul_f32_e32 v30, v21, v17
	v_add_f32_e32 v4, v4, v37
	v_add_f32_e32 v14, v14, v48
	v_fma_f32 v30, v20, v16, -v30
	v_mul_f32_e32 v20, v20, v17
	v_add_f32_e32 v4, v4, v39
	v_add_f32_e32 v14, v14, v50
	v_fmac_f32_e32 v20, v21, v16
	v_mul_f32_e32 v16, v23, v19
	v_mul_f32_e32 v19, v22, v19
	v_add_f32_e32 v4, v4, v41
	v_add_f32_e32 v14, v14, v29
	ds_read_b128 v[24:27], v12 offset:112
	v_fma_f32 v21, v22, v18, -v16
	v_fmac_f32_e32 v19, v23, v18
	v_add_f32_e32 v4, v4, v43
	v_add_f32_e32 v18, v14, v31
	ds_read2_b64 v[14:17], v10 offset0:224 offset1:240
	v_add_f32_e32 v4, v4, v45
	v_add_f32_e32 v4, v4, v47
	;; [unrolled: 1-line block ×7, first 2 shown]
	s_waitcnt lgkmcnt(0)
	v_mul_f32_e32 v19, v25, v15
	v_mul_f32_e32 v15, v24, v15
	v_add_f32_e32 v4, v4, v30
	v_fmac_f32_e32 v15, v25, v14
	v_add_f32_e32 v4, v4, v21
	v_fma_f32 v19, v24, v14, -v19
	v_add_f32_e32 v14, v18, v15
	v_mul_f32_e32 v15, v27, v17
	v_mul_f32_e32 v17, v26, v17
	v_addc_co_u32_e32 v6, vcc, 0, v6, vcc
	v_add_f32_e32 v4, v4, v19
	v_fma_f32 v15, v26, v16, -v15
	v_fmac_f32_e32 v17, v27, v16
	s_add_i32 s9, s9, 16
	v_add_co_u32_e32 v7, vcc, 0x80, v7
	v_add_f32_e32 v15, v4, v15
	v_add_f32_e32 v14, v14, v17
	s_cmp_ge_i32 s9, s11
	v_addc_co_u32_e32 v8, vcc, 0, v8, vcc
	s_barrier
	s_cbranch_scc1 .LBB204_12
.LBB204_3:                              ; =>This Inner Loop Header: Depth=1
	v_add_u32_e32 v4, s9, v1
	v_cmp_le_i32_e32 vcc, s11, v4
	s_or_b64 s[6:7], s[2:3], vcc
	s_and_saveexec_b64 s[14:15], s[6:7]
	s_xor_b64 s[6:7], exec, s[14:15]
; %bb.4:                                ;   in Loop: Header=BB204_3 Depth=1
	v_mov_b32_e32 v4, v3
	ds_write_b64 v11, v[3:4]
; %bb.5:                                ;   in Loop: Header=BB204_3 Depth=1
	s_andn2_saveexec_b64 s[6:7], s[6:7]
	s_cbranch_execz .LBB204_7
; %bb.6:                                ;   in Loop: Header=BB204_3 Depth=1
	global_load_dwordx2 v[16:17], v[7:8], off
	s_waitcnt vmcnt(0)
	ds_write_b64 v11, v[16:17]
.LBB204_7:                              ;   in Loop: Header=BB204_3 Depth=1
	s_or_b64 exec, exec, s[6:7]
	v_add_u32_e32 v4, s9, v0
	v_cmp_le_i32_e32 vcc, s11, v4
	s_or_b64 s[6:7], s[0:1], vcc
	s_and_saveexec_b64 s[14:15], s[6:7]
	s_xor_b64 s[6:7], exec, s[14:15]
; %bb.8:                                ;   in Loop: Header=BB204_3 Depth=1
	v_mov_b32_e32 v4, v3
	ds_write_b64 v13, v[3:4]
; %bb.9:                                ;   in Loop: Header=BB204_3 Depth=1
	s_andn2_saveexec_b64 s[6:7], s[6:7]
	s_cbranch_execz .LBB204_2
; %bb.10:                               ;   in Loop: Header=BB204_3 Depth=1
	global_load_dwordx2 v[16:17], v[5:6], off
	s_waitcnt vmcnt(0)
	ds_write_b64 v13, v[16:17]
	s_branch .LBB204_2
.LBB204_11:
	v_mov_b32_e32 v14, 0
	v_mov_b32_e32 v15, 0
.LBB204_12:
	v_cmp_le_i32_e32 vcc, v9, v2
	v_cmp_gt_i32_e64 s[0:1], s10, v2
	s_and_b64 s[0:1], vcc, s[0:1]
	s_and_saveexec_b64 s[2:3], s[0:1]
	s_cbranch_execz .LBB204_14
; %bb.13:
	s_load_dwordx2 s[0:1], s[4:5], 0x58
	s_load_dwordx2 s[2:3], s[4:5], 0x48
	s_load_dword s6, s[4:5], 0x50
	v_ashrrev_i32_e32 v3, 31, v2
	v_lshlrev_b64 v[2:3], 3, v[2:3]
	s_waitcnt lgkmcnt(0)
	s_mul_i32 s1, s1, s8
	s_mul_hi_u32 s4, s0, s8
	s_mul_i32 s0, s0, s8
	s_add_i32 s1, s4, s1
	s_lshl_b64 s[0:1], s[0:1], 3
	s_add_u32 s2, s2, s0
	s_addc_u32 s3, s3, s1
	v_mad_i64_i32 v[4:5], s[0:1], s6, v9, 0
	v_mov_b32_e32 v6, s3
	v_mul_f32_e32 v0, s13, v14
	v_lshlrev_b64 v[4:5], 3, v[4:5]
	v_mul_f32_e32 v1, s12, v14
	v_add_co_u32_e32 v4, vcc, s2, v4
	v_addc_co_u32_e32 v5, vcc, v6, v5, vcc
	v_add_co_u32_e32 v2, vcc, v4, v2
	v_fma_f32 v0, v15, s12, -v0
	v_fmac_f32_e32 v1, s13, v15
	v_addc_co_u32_e32 v3, vcc, v5, v3, vcc
	global_store_dwordx2 v[2:3], v[0:1], off
.LBB204_14:
	s_endpgm
	.section	.rodata,"a",@progbits
	.p2align	6, 0x0
	.amdhsa_kernel _ZL32rocblas_syrkx_herkx_small_kernelIi19rocblas_complex_numIfELi16ELb1ELb0ELc84ELc76EKS1_S1_EviT_T0_PT6_S3_lS6_S3_lS4_PT7_S3_li
		.amdhsa_group_segment_fixed_size 4096
		.amdhsa_private_segment_fixed_size 0
		.amdhsa_kernarg_size 100
		.amdhsa_user_sgpr_count 6
		.amdhsa_user_sgpr_private_segment_buffer 1
		.amdhsa_user_sgpr_dispatch_ptr 0
		.amdhsa_user_sgpr_queue_ptr 0
		.amdhsa_user_sgpr_kernarg_segment_ptr 1
		.amdhsa_user_sgpr_dispatch_id 0
		.amdhsa_user_sgpr_flat_scratch_init 0
		.amdhsa_user_sgpr_private_segment_size 0
		.amdhsa_uses_dynamic_stack 0
		.amdhsa_system_sgpr_private_segment_wavefront_offset 0
		.amdhsa_system_sgpr_workgroup_id_x 1
		.amdhsa_system_sgpr_workgroup_id_y 1
		.amdhsa_system_sgpr_workgroup_id_z 1
		.amdhsa_system_sgpr_workgroup_info 0
		.amdhsa_system_vgpr_workitem_id 1
		.amdhsa_next_free_vgpr 52
		.amdhsa_next_free_sgpr 20
		.amdhsa_reserve_vcc 1
		.amdhsa_reserve_flat_scratch 0
		.amdhsa_float_round_mode_32 0
		.amdhsa_float_round_mode_16_64 0
		.amdhsa_float_denorm_mode_32 3
		.amdhsa_float_denorm_mode_16_64 3
		.amdhsa_dx10_clamp 1
		.amdhsa_ieee_mode 1
		.amdhsa_fp16_overflow 0
		.amdhsa_exception_fp_ieee_invalid_op 0
		.amdhsa_exception_fp_denorm_src 0
		.amdhsa_exception_fp_ieee_div_zero 0
		.amdhsa_exception_fp_ieee_overflow 0
		.amdhsa_exception_fp_ieee_underflow 0
		.amdhsa_exception_fp_ieee_inexact 0
		.amdhsa_exception_int_div_zero 0
	.end_amdhsa_kernel
	.section	.text._ZL32rocblas_syrkx_herkx_small_kernelIi19rocblas_complex_numIfELi16ELb1ELb0ELc84ELc76EKS1_S1_EviT_T0_PT6_S3_lS6_S3_lS4_PT7_S3_li,"axG",@progbits,_ZL32rocblas_syrkx_herkx_small_kernelIi19rocblas_complex_numIfELi16ELb1ELb0ELc84ELc76EKS1_S1_EviT_T0_PT6_S3_lS6_S3_lS4_PT7_S3_li,comdat
.Lfunc_end204:
	.size	_ZL32rocblas_syrkx_herkx_small_kernelIi19rocblas_complex_numIfELi16ELb1ELb0ELc84ELc76EKS1_S1_EviT_T0_PT6_S3_lS6_S3_lS4_PT7_S3_li, .Lfunc_end204-_ZL32rocblas_syrkx_herkx_small_kernelIi19rocblas_complex_numIfELi16ELb1ELb0ELc84ELc76EKS1_S1_EviT_T0_PT6_S3_lS6_S3_lS4_PT7_S3_li
                                        ; -- End function
	.set _ZL32rocblas_syrkx_herkx_small_kernelIi19rocblas_complex_numIfELi16ELb1ELb0ELc84ELc76EKS1_S1_EviT_T0_PT6_S3_lS6_S3_lS4_PT7_S3_li.num_vgpr, 52
	.set _ZL32rocblas_syrkx_herkx_small_kernelIi19rocblas_complex_numIfELi16ELb1ELb0ELc84ELc76EKS1_S1_EviT_T0_PT6_S3_lS6_S3_lS4_PT7_S3_li.num_agpr, 0
	.set _ZL32rocblas_syrkx_herkx_small_kernelIi19rocblas_complex_numIfELi16ELb1ELb0ELc84ELc76EKS1_S1_EviT_T0_PT6_S3_lS6_S3_lS4_PT7_S3_li.numbered_sgpr, 20
	.set _ZL32rocblas_syrkx_herkx_small_kernelIi19rocblas_complex_numIfELi16ELb1ELb0ELc84ELc76EKS1_S1_EviT_T0_PT6_S3_lS6_S3_lS4_PT7_S3_li.num_named_barrier, 0
	.set _ZL32rocblas_syrkx_herkx_small_kernelIi19rocblas_complex_numIfELi16ELb1ELb0ELc84ELc76EKS1_S1_EviT_T0_PT6_S3_lS6_S3_lS4_PT7_S3_li.private_seg_size, 0
	.set _ZL32rocblas_syrkx_herkx_small_kernelIi19rocblas_complex_numIfELi16ELb1ELb0ELc84ELc76EKS1_S1_EviT_T0_PT6_S3_lS6_S3_lS4_PT7_S3_li.uses_vcc, 1
	.set _ZL32rocblas_syrkx_herkx_small_kernelIi19rocblas_complex_numIfELi16ELb1ELb0ELc84ELc76EKS1_S1_EviT_T0_PT6_S3_lS6_S3_lS4_PT7_S3_li.uses_flat_scratch, 0
	.set _ZL32rocblas_syrkx_herkx_small_kernelIi19rocblas_complex_numIfELi16ELb1ELb0ELc84ELc76EKS1_S1_EviT_T0_PT6_S3_lS6_S3_lS4_PT7_S3_li.has_dyn_sized_stack, 0
	.set _ZL32rocblas_syrkx_herkx_small_kernelIi19rocblas_complex_numIfELi16ELb1ELb0ELc84ELc76EKS1_S1_EviT_T0_PT6_S3_lS6_S3_lS4_PT7_S3_li.has_recursion, 0
	.set _ZL32rocblas_syrkx_herkx_small_kernelIi19rocblas_complex_numIfELi16ELb1ELb0ELc84ELc76EKS1_S1_EviT_T0_PT6_S3_lS6_S3_lS4_PT7_S3_li.has_indirect_call, 0
	.section	.AMDGPU.csdata,"",@progbits
; Kernel info:
; codeLenInByte = 1288
; TotalNumSgprs: 24
; NumVgprs: 52
; ScratchSize: 0
; MemoryBound: 1
; FloatMode: 240
; IeeeMode: 1
; LDSByteSize: 4096 bytes/workgroup (compile time only)
; SGPRBlocks: 2
; VGPRBlocks: 12
; NumSGPRsForWavesPerEU: 24
; NumVGPRsForWavesPerEU: 52
; Occupancy: 4
; WaveLimiterHint : 0
; COMPUTE_PGM_RSRC2:SCRATCH_EN: 0
; COMPUTE_PGM_RSRC2:USER_SGPR: 6
; COMPUTE_PGM_RSRC2:TRAP_HANDLER: 0
; COMPUTE_PGM_RSRC2:TGID_X_EN: 1
; COMPUTE_PGM_RSRC2:TGID_Y_EN: 1
; COMPUTE_PGM_RSRC2:TGID_Z_EN: 1
; COMPUTE_PGM_RSRC2:TIDIG_COMP_CNT: 1
	.section	.text._ZL32rocblas_syrkx_herkx_small_kernelIi19rocblas_complex_numIfELi16ELb1ELb0ELc67ELc76EKS1_S1_EviT_T0_PT6_S3_lS6_S3_lS4_PT7_S3_li,"axG",@progbits,_ZL32rocblas_syrkx_herkx_small_kernelIi19rocblas_complex_numIfELi16ELb1ELb0ELc67ELc76EKS1_S1_EviT_T0_PT6_S3_lS6_S3_lS4_PT7_S3_li,comdat
	.globl	_ZL32rocblas_syrkx_herkx_small_kernelIi19rocblas_complex_numIfELi16ELb1ELb0ELc67ELc76EKS1_S1_EviT_T0_PT6_S3_lS6_S3_lS4_PT7_S3_li ; -- Begin function _ZL32rocblas_syrkx_herkx_small_kernelIi19rocblas_complex_numIfELi16ELb1ELb0ELc67ELc76EKS1_S1_EviT_T0_PT6_S3_lS6_S3_lS4_PT7_S3_li
	.p2align	8
	.type	_ZL32rocblas_syrkx_herkx_small_kernelIi19rocblas_complex_numIfELi16ELb1ELb0ELc67ELc76EKS1_S1_EviT_T0_PT6_S3_lS6_S3_lS4_PT7_S3_li,@function
_ZL32rocblas_syrkx_herkx_small_kernelIi19rocblas_complex_numIfELi16ELb1ELb0ELc67ELc76EKS1_S1_EviT_T0_PT6_S3_lS6_S3_lS4_PT7_S3_li: ; @_ZL32rocblas_syrkx_herkx_small_kernelIi19rocblas_complex_numIfELi16ELb1ELb0ELc67ELc76EKS1_S1_EviT_T0_PT6_S3_lS6_S3_lS4_PT7_S3_li
; %bb.0:
	s_load_dwordx2 s[10:11], s[4:5], 0x0
	s_load_dwordx4 s[12:15], s[4:5], 0x8
	v_lshl_add_u32 v2, s6, 4, v0
	s_mov_b32 s9, 0
	v_lshl_add_u32 v11, s7, 4, v1
	s_waitcnt lgkmcnt(0)
	s_cmp_lt_i32 s11, 1
	v_cmp_gt_i32_e64 s[0:1], s10, v2
	s_cbranch_scc1 .LBB205_9
; %bb.1:
	s_load_dword s20, s[4:5], 0x18
	s_load_dwordx4 s[16:19], s[4:5], 0x20
	s_load_dword s6, s[4:5], 0x30
	s_load_dwordx2 s[2:3], s[4:5], 0x38
	v_lshlrev_b32_e32 v5, 7, v1
	v_lshlrev_b32_e32 v12, 3, v0
	v_add_u32_e32 v13, v12, v5
	s_waitcnt lgkmcnt(0)
	v_mad_i64_i32 v[3:4], s[6:7], s6, v11, 0
	s_mul_i32 s3, s3, s8
	s_mul_hi_u32 s6, s2, s8
	v_lshlrev_b64 v[3:4], 3, v[3:4]
	s_add_i32 s3, s6, s3
	s_mul_i32 s2, s2, s8
	s_lshl_b64 s[2:3], s[2:3], 3
	v_add_u32_e32 v14, 0x800, v5
	v_mov_b32_e32 v5, s3
	v_add_co_u32_e64 v6, s[2:3], s2, v3
	v_addc_co_u32_e64 v4, s[2:3], v4, v5, s[2:3]
	v_add_co_u32_e64 v5, s[2:3], v6, v12
	v_addc_co_u32_e64 v4, s[2:3], 0, v4, s[2:3]
	v_mad_i64_i32 v[7:8], s[2:3], s20, v2, 0
	v_mov_b32_e32 v6, s19
	v_add_co_u32_e64 v5, s[2:3], s18, v5
	v_addc_co_u32_e64 v6, s[2:3], v6, v4, s[2:3]
	s_mul_i32 s2, s17, s8
	s_mul_hi_u32 s3, s16, s8
	v_lshlrev_b64 v[7:8], 3, v[7:8]
	s_add_i32 s3, s3, s2
	s_mul_i32 s2, s16, s8
	s_lshl_b64 s[2:3], s[2:3], 3
	v_mov_b32_e32 v4, s3
	v_add_co_u32_e64 v7, s[2:3], s2, v7
	v_addc_co_u32_e64 v4, s[2:3], v8, v4, s[2:3]
	v_lshlrev_b32_e32 v8, 3, v1
	v_add_co_u32_e64 v7, s[2:3], v7, v8
	v_addc_co_u32_e64 v4, s[2:3], 0, v4, s[2:3]
	v_mov_b32_e32 v8, s15
	v_add_co_u32_e64 v7, s[2:3], s14, v7
	v_addc_co_u32_e64 v4, s[2:3], v8, v4, s[2:3]
	v_add_co_u32_e64 v7, s[2:3], 4, v7
	v_cmp_gt_i32_e32 vcc, s10, v11
	v_addc_co_u32_e64 v8, s[2:3], 0, v4, s[2:3]
	v_add_u32_e32 v15, v14, v12
	v_mov_b32_e32 v3, 0
	s_xor_b64 s[2:3], vcc, -1
	v_mov_b32_e32 v16, 0
	v_mov_b32_e32 v17, 0
	s_branch .LBB205_3
.LBB205_2:                              ;   in Loop: Header=BB205_3 Depth=1
	s_or_b64 exec, exec, s[6:7]
	s_waitcnt lgkmcnt(0)
	s_barrier
	ds_read2_b64 v[18:21], v12 offset1:16
	ds_read_b128 v[22:25], v14
	ds_read_b128 v[26:29], v14 offset:16
	ds_read2_b64 v[30:33], v12 offset0:32 offset1:48
	v_add_co_u32_e32 v5, vcc, 0x80, v5
	s_waitcnt lgkmcnt(2)
	v_mul_f32_e32 v4, v23, v19
	v_mul_f32_e32 v9, v22, v19
	v_fma_f32 v4, v22, v18, -v4
	v_fmac_f32_e32 v9, v23, v18
	v_mul_f32_e32 v10, v25, v21
	v_mul_f32_e32 v34, v24, v21
	s_waitcnt lgkmcnt(0)
	v_mul_f32_e32 v18, v27, v31
	v_fma_f32 v10, v24, v20, -v10
	v_fmac_f32_e32 v34, v25, v20
	v_fma_f32 v35, v26, v30, -v18
	ds_read2_b64 v[18:21], v12 offset0:64 offset1:80
	ds_read_b128 v[22:25], v14 offset:32
	v_mul_f32_e32 v36, v26, v31
	v_fmac_f32_e32 v36, v27, v30
	v_mul_f32_e32 v26, v29, v33
	v_mul_f32_e32 v38, v28, v33
	s_waitcnt lgkmcnt(0)
	v_mul_f32_e32 v30, v23, v19
	v_fma_f32 v37, v28, v32, -v26
	v_fmac_f32_e32 v38, v29, v32
	ds_read_b128 v[26:29], v14 offset:48
	v_fma_f32 v39, v22, v18, -v30
	ds_read2_b64 v[30:33], v12 offset0:96 offset1:112
	v_mul_f32_e32 v40, v22, v19
	v_fmac_f32_e32 v40, v23, v18
	v_mul_f32_e32 v18, v25, v21
	v_fma_f32 v41, v24, v20, -v18
	v_mul_f32_e32 v42, v24, v21
	s_waitcnt lgkmcnt(0)
	v_mul_f32_e32 v18, v27, v31
	v_fmac_f32_e32 v42, v25, v20
	v_fma_f32 v43, v26, v30, -v18
	ds_read2_b64 v[18:21], v12 offset0:128 offset1:144
	ds_read_b128 v[22:25], v14 offset:64
	v_mul_f32_e32 v44, v26, v31
	v_fmac_f32_e32 v44, v27, v30
	v_mul_f32_e32 v26, v29, v33
	v_mul_f32_e32 v46, v28, v33
	s_waitcnt lgkmcnt(0)
	v_mul_f32_e32 v30, v23, v19
	v_fma_f32 v45, v28, v32, -v26
	v_fmac_f32_e32 v46, v29, v32
	ds_read_b128 v[26:29], v14 offset:80
	v_fma_f32 v47, v22, v18, -v30
	ds_read2_b64 v[30:33], v12 offset0:160 offset1:176
	v_mul_f32_e32 v48, v22, v19
	v_fmac_f32_e32 v48, v23, v18
	v_mul_f32_e32 v18, v25, v21
	v_fma_f32 v49, v24, v20, -v18
	v_mul_f32_e32 v50, v24, v21
	s_waitcnt lgkmcnt(0)
	v_mul_f32_e32 v18, v27, v31
	v_fmac_f32_e32 v50, v25, v20
	v_fma_f32 v51, v26, v30, -v18
	ds_read2_b64 v[18:21], v12 offset0:192 offset1:208
	ds_read_b128 v[22:25], v14 offset:96
	v_add_f32_e32 v4, v17, v4
	v_add_f32_e32 v9, v16, v9
	;; [unrolled: 1-line block ×5, first 2 shown]
	v_mul_f32_e32 v31, v26, v31
	v_mul_f32_e32 v26, v29, v33
	;; [unrolled: 1-line block ×3, first 2 shown]
	v_add_f32_e32 v9, v9, v36
	v_add_f32_e32 v4, v4, v37
	v_fmac_f32_e32 v31, v27, v30
	v_fma_f32 v30, v28, v32, -v26
	v_fmac_f32_e32 v33, v29, v32
	s_waitcnt lgkmcnt(0)
	v_mul_f32_e32 v32, v23, v19
	v_add_f32_e32 v9, v9, v38
	v_add_f32_e32 v4, v4, v39
	v_fma_f32 v32, v22, v18, -v32
	v_mul_f32_e32 v22, v22, v19
	v_add_f32_e32 v9, v9, v40
	v_add_f32_e32 v4, v4, v41
	v_fmac_f32_e32 v22, v23, v18
	v_mul_f32_e32 v18, v25, v21
	v_add_f32_e32 v9, v9, v42
	v_add_f32_e32 v4, v4, v43
	ds_read_b128 v[26:29], v14 offset:112
	v_fma_f32 v23, v24, v20, -v18
	v_add_f32_e32 v9, v9, v44
	v_add_f32_e32 v4, v4, v45
	ds_read2_b64 v[16:19], v12 offset0:224 offset1:240
	v_add_f32_e32 v9, v9, v46
	v_add_f32_e32 v4, v4, v47
	;; [unrolled: 1-line block ×8, first 2 shown]
	v_mul_f32_e32 v21, v24, v21
	v_add_f32_e32 v9, v9, v33
	v_add_f32_e32 v4, v4, v32
	s_waitcnt lgkmcnt(0)
	v_mul_f32_e32 v10, v27, v17
	v_fmac_f32_e32 v21, v25, v20
	v_add_f32_e32 v9, v9, v22
	v_add_f32_e32 v4, v4, v23
	v_fma_f32 v10, v26, v16, -v10
	v_mul_f32_e32 v17, v26, v17
	v_add_f32_e32 v9, v9, v21
	v_fmac_f32_e32 v17, v27, v16
	v_add_f32_e32 v4, v4, v10
	v_mul_f32_e32 v10, v29, v19
	v_mul_f32_e32 v16, v28, v19
	v_addc_co_u32_e32 v6, vcc, 0, v6, vcc
	v_add_f32_e32 v9, v9, v17
	v_fma_f32 v10, v28, v18, -v10
	v_fmac_f32_e32 v16, v29, v18
	s_add_i32 s9, s9, 16
	v_add_co_u32_e32 v7, vcc, 0x80, v7
	v_add_f32_e32 v17, v4, v10
	v_add_f32_e32 v16, v9, v16
	s_cmp_ge_i32 s9, s11
	v_addc_co_u32_e32 v8, vcc, 0, v8, vcc
	s_barrier
	s_cbranch_scc1 .LBB205_10
.LBB205_3:                              ; =>This Inner Loop Header: Depth=1
	v_add_u32_e32 v4, s9, v1
	v_cmp_gt_i32_e32 vcc, s11, v4
	s_and_b64 s[14:15], s[0:1], vcc
	v_mov_b32_e32 v9, 0
	v_mov_b32_e32 v10, 0
	s_and_saveexec_b64 s[6:7], s[14:15]
	s_cbranch_execz .LBB205_5
; %bb.4:                                ;   in Loop: Header=BB205_3 Depth=1
	global_load_dwordx2 v[9:10], v[7:8], off offset:-4
.LBB205_5:                              ;   in Loop: Header=BB205_3 Depth=1
	s_or_b64 exec, exec, s[6:7]
	v_add_u32_e32 v4, s9, v0
	v_cmp_le_i32_e32 vcc, s11, v4
	s_or_b64 s[6:7], s[2:3], vcc
	s_waitcnt vmcnt(0)
	ds_write_b64 v13, v[9:10]
	s_and_saveexec_b64 s[14:15], s[6:7]
	s_xor_b64 s[6:7], exec, s[14:15]
; %bb.6:                                ;   in Loop: Header=BB205_3 Depth=1
	v_mov_b32_e32 v4, v3
	ds_write_b64 v15, v[3:4]
; %bb.7:                                ;   in Loop: Header=BB205_3 Depth=1
	s_andn2_saveexec_b64 s[6:7], s[6:7]
	s_cbranch_execz .LBB205_2
; %bb.8:                                ;   in Loop: Header=BB205_3 Depth=1
	global_load_dwordx2 v[9:10], v[5:6], off
	s_waitcnt vmcnt(0)
	ds_write_b64 v15, v[9:10]
	s_branch .LBB205_2
.LBB205_9:
	v_mov_b32_e32 v16, 0
	v_mov_b32_e32 v17, 0
.LBB205_10:
	v_cmp_le_i32_e32 vcc, v11, v2
	v_cmp_gt_i32_e64 s[0:1], s10, v2
	s_and_b64 s[0:1], vcc, s[0:1]
	s_and_saveexec_b64 s[2:3], s[0:1]
	s_cbranch_execz .LBB205_12
; %bb.11:
	s_load_dwordx2 s[0:1], s[4:5], 0x58
	s_load_dwordx2 s[2:3], s[4:5], 0x48
	s_load_dword s6, s[4:5], 0x50
	v_ashrrev_i32_e32 v3, 31, v2
	v_lshlrev_b64 v[2:3], 3, v[2:3]
	s_waitcnt lgkmcnt(0)
	s_mul_i32 s1, s1, s8
	s_mul_hi_u32 s4, s0, s8
	s_mul_i32 s0, s0, s8
	s_add_i32 s1, s4, s1
	s_lshl_b64 s[0:1], s[0:1], 3
	s_add_u32 s2, s2, s0
	s_addc_u32 s3, s3, s1
	v_mad_i64_i32 v[4:5], s[0:1], s6, v11, 0
	v_mov_b32_e32 v6, s3
	v_mul_f32_e32 v0, s13, v16
	v_lshlrev_b64 v[4:5], 3, v[4:5]
	v_mul_f32_e32 v1, s12, v16
	v_add_co_u32_e32 v4, vcc, s2, v4
	v_addc_co_u32_e32 v5, vcc, v6, v5, vcc
	v_add_co_u32_e32 v2, vcc, v4, v2
	v_fma_f32 v0, v17, s12, -v0
	v_fmac_f32_e32 v1, s13, v17
	v_addc_co_u32_e32 v3, vcc, v5, v3, vcc
	global_store_dwordx2 v[2:3], v[0:1], off
.LBB205_12:
	s_endpgm
	.section	.rodata,"a",@progbits
	.p2align	6, 0x0
	.amdhsa_kernel _ZL32rocblas_syrkx_herkx_small_kernelIi19rocblas_complex_numIfELi16ELb1ELb0ELc67ELc76EKS1_S1_EviT_T0_PT6_S3_lS6_S3_lS4_PT7_S3_li
		.amdhsa_group_segment_fixed_size 4096
		.amdhsa_private_segment_fixed_size 0
		.amdhsa_kernarg_size 100
		.amdhsa_user_sgpr_count 6
		.amdhsa_user_sgpr_private_segment_buffer 1
		.amdhsa_user_sgpr_dispatch_ptr 0
		.amdhsa_user_sgpr_queue_ptr 0
		.amdhsa_user_sgpr_kernarg_segment_ptr 1
		.amdhsa_user_sgpr_dispatch_id 0
		.amdhsa_user_sgpr_flat_scratch_init 0
		.amdhsa_user_sgpr_private_segment_size 0
		.amdhsa_uses_dynamic_stack 0
		.amdhsa_system_sgpr_private_segment_wavefront_offset 0
		.amdhsa_system_sgpr_workgroup_id_x 1
		.amdhsa_system_sgpr_workgroup_id_y 1
		.amdhsa_system_sgpr_workgroup_id_z 1
		.amdhsa_system_sgpr_workgroup_info 0
		.amdhsa_system_vgpr_workitem_id 1
		.amdhsa_next_free_vgpr 52
		.amdhsa_next_free_sgpr 21
		.amdhsa_reserve_vcc 1
		.amdhsa_reserve_flat_scratch 0
		.amdhsa_float_round_mode_32 0
		.amdhsa_float_round_mode_16_64 0
		.amdhsa_float_denorm_mode_32 3
		.amdhsa_float_denorm_mode_16_64 3
		.amdhsa_dx10_clamp 1
		.amdhsa_ieee_mode 1
		.amdhsa_fp16_overflow 0
		.amdhsa_exception_fp_ieee_invalid_op 0
		.amdhsa_exception_fp_denorm_src 0
		.amdhsa_exception_fp_ieee_div_zero 0
		.amdhsa_exception_fp_ieee_overflow 0
		.amdhsa_exception_fp_ieee_underflow 0
		.amdhsa_exception_fp_ieee_inexact 0
		.amdhsa_exception_int_div_zero 0
	.end_amdhsa_kernel
	.section	.text._ZL32rocblas_syrkx_herkx_small_kernelIi19rocblas_complex_numIfELi16ELb1ELb0ELc67ELc76EKS1_S1_EviT_T0_PT6_S3_lS6_S3_lS4_PT7_S3_li,"axG",@progbits,_ZL32rocblas_syrkx_herkx_small_kernelIi19rocblas_complex_numIfELi16ELb1ELb0ELc67ELc76EKS1_S1_EviT_T0_PT6_S3_lS6_S3_lS4_PT7_S3_li,comdat
.Lfunc_end205:
	.size	_ZL32rocblas_syrkx_herkx_small_kernelIi19rocblas_complex_numIfELi16ELb1ELb0ELc67ELc76EKS1_S1_EviT_T0_PT6_S3_lS6_S3_lS4_PT7_S3_li, .Lfunc_end205-_ZL32rocblas_syrkx_herkx_small_kernelIi19rocblas_complex_numIfELi16ELb1ELb0ELc67ELc76EKS1_S1_EviT_T0_PT6_S3_lS6_S3_lS4_PT7_S3_li
                                        ; -- End function
	.set _ZL32rocblas_syrkx_herkx_small_kernelIi19rocblas_complex_numIfELi16ELb1ELb0ELc67ELc76EKS1_S1_EviT_T0_PT6_S3_lS6_S3_lS4_PT7_S3_li.num_vgpr, 52
	.set _ZL32rocblas_syrkx_herkx_small_kernelIi19rocblas_complex_numIfELi16ELb1ELb0ELc67ELc76EKS1_S1_EviT_T0_PT6_S3_lS6_S3_lS4_PT7_S3_li.num_agpr, 0
	.set _ZL32rocblas_syrkx_herkx_small_kernelIi19rocblas_complex_numIfELi16ELb1ELb0ELc67ELc76EKS1_S1_EviT_T0_PT6_S3_lS6_S3_lS4_PT7_S3_li.numbered_sgpr, 21
	.set _ZL32rocblas_syrkx_herkx_small_kernelIi19rocblas_complex_numIfELi16ELb1ELb0ELc67ELc76EKS1_S1_EviT_T0_PT6_S3_lS6_S3_lS4_PT7_S3_li.num_named_barrier, 0
	.set _ZL32rocblas_syrkx_herkx_small_kernelIi19rocblas_complex_numIfELi16ELb1ELb0ELc67ELc76EKS1_S1_EviT_T0_PT6_S3_lS6_S3_lS4_PT7_S3_li.private_seg_size, 0
	.set _ZL32rocblas_syrkx_herkx_small_kernelIi19rocblas_complex_numIfELi16ELb1ELb0ELc67ELc76EKS1_S1_EviT_T0_PT6_S3_lS6_S3_lS4_PT7_S3_li.uses_vcc, 1
	.set _ZL32rocblas_syrkx_herkx_small_kernelIi19rocblas_complex_numIfELi16ELb1ELb0ELc67ELc76EKS1_S1_EviT_T0_PT6_S3_lS6_S3_lS4_PT7_S3_li.uses_flat_scratch, 0
	.set _ZL32rocblas_syrkx_herkx_small_kernelIi19rocblas_complex_numIfELi16ELb1ELb0ELc67ELc76EKS1_S1_EviT_T0_PT6_S3_lS6_S3_lS4_PT7_S3_li.has_dyn_sized_stack, 0
	.set _ZL32rocblas_syrkx_herkx_small_kernelIi19rocblas_complex_numIfELi16ELb1ELb0ELc67ELc76EKS1_S1_EviT_T0_PT6_S3_lS6_S3_lS4_PT7_S3_li.has_recursion, 0
	.set _ZL32rocblas_syrkx_herkx_small_kernelIi19rocblas_complex_numIfELi16ELb1ELb0ELc67ELc76EKS1_S1_EviT_T0_PT6_S3_lS6_S3_lS4_PT7_S3_li.has_indirect_call, 0
	.section	.AMDGPU.csdata,"",@progbits
; Kernel info:
; codeLenInByte = 1288
; TotalNumSgprs: 25
; NumVgprs: 52
; ScratchSize: 0
; MemoryBound: 1
; FloatMode: 240
; IeeeMode: 1
; LDSByteSize: 4096 bytes/workgroup (compile time only)
; SGPRBlocks: 3
; VGPRBlocks: 12
; NumSGPRsForWavesPerEU: 25
; NumVGPRsForWavesPerEU: 52
; Occupancy: 4
; WaveLimiterHint : 0
; COMPUTE_PGM_RSRC2:SCRATCH_EN: 0
; COMPUTE_PGM_RSRC2:USER_SGPR: 6
; COMPUTE_PGM_RSRC2:TRAP_HANDLER: 0
; COMPUTE_PGM_RSRC2:TGID_X_EN: 1
; COMPUTE_PGM_RSRC2:TGID_Y_EN: 1
; COMPUTE_PGM_RSRC2:TGID_Z_EN: 1
; COMPUTE_PGM_RSRC2:TIDIG_COMP_CNT: 1
	.section	.text._ZL32rocblas_syrkx_herkx_small_kernelIi19rocblas_complex_numIfELi16ELb1ELb0ELc78ELc76EKS1_S1_EviT_T0_PT6_S3_lS6_S3_lS4_PT7_S3_li,"axG",@progbits,_ZL32rocblas_syrkx_herkx_small_kernelIi19rocblas_complex_numIfELi16ELb1ELb0ELc78ELc76EKS1_S1_EviT_T0_PT6_S3_lS6_S3_lS4_PT7_S3_li,comdat
	.globl	_ZL32rocblas_syrkx_herkx_small_kernelIi19rocblas_complex_numIfELi16ELb1ELb0ELc78ELc76EKS1_S1_EviT_T0_PT6_S3_lS6_S3_lS4_PT7_S3_li ; -- Begin function _ZL32rocblas_syrkx_herkx_small_kernelIi19rocblas_complex_numIfELi16ELb1ELb0ELc78ELc76EKS1_S1_EviT_T0_PT6_S3_lS6_S3_lS4_PT7_S3_li
	.p2align	8
	.type	_ZL32rocblas_syrkx_herkx_small_kernelIi19rocblas_complex_numIfELi16ELb1ELb0ELc78ELc76EKS1_S1_EviT_T0_PT6_S3_lS6_S3_lS4_PT7_S3_li,@function
_ZL32rocblas_syrkx_herkx_small_kernelIi19rocblas_complex_numIfELi16ELb1ELb0ELc78ELc76EKS1_S1_EviT_T0_PT6_S3_lS6_S3_lS4_PT7_S3_li: ; @_ZL32rocblas_syrkx_herkx_small_kernelIi19rocblas_complex_numIfELi16ELb1ELb0ELc78ELc76EKS1_S1_EviT_T0_PT6_S3_lS6_S3_lS4_PT7_S3_li
; %bb.0:
	s_load_dwordx2 s[10:11], s[4:5], 0x0
	s_load_dwordx4 s[12:15], s[4:5], 0x8
	v_lshl_add_u32 v2, s6, 4, v0
	s_mov_b32 s9, 0
	v_lshl_add_u32 v4, s7, 4, v1
	s_waitcnt lgkmcnt(0)
	s_cmp_lt_i32 s11, 1
	v_cmp_gt_i32_e64 s[0:1], s10, v2
	v_ashrrev_i32_e32 v3, 31, v2
	s_cbranch_scc1 .LBB206_9
; %bb.1:
	s_load_dword s20, s[4:5], 0x18
	s_load_dword s6, s[4:5], 0x30
	s_load_dwordx2 s[2:3], s[4:5], 0x38
	s_load_dwordx4 s[16:19], s[4:5], 0x20
	v_lshlrev_b32_e32 v5, 7, v1
	v_lshlrev_b32_e32 v12, 3, v0
	s_waitcnt lgkmcnt(0)
	v_mad_i64_i32 v[6:7], s[22:23], s6, v0, 0
	s_mul_i32 s3, s3, s8
	s_mul_hi_u32 s24, s2, s8
	s_add_i32 s3, s24, s3
	s_mul_i32 s2, s2, s8
	v_lshlrev_b64 v[6:7], 3, v[6:7]
	v_add_u32_e32 v13, v12, v5
	v_add_u32_e32 v14, 0x800, v5
	v_ashrrev_i32_e32 v5, 31, v4
	s_lshl_b64 s[2:3], s[2:3], 3
	v_mov_b32_e32 v8, s3
	v_add_co_u32_e64 v9, s[2:3], s2, v6
	v_lshlrev_b64 v[5:6], 3, v[4:5]
	v_addc_co_u32_e64 v7, s[2:3], v8, v7, s[2:3]
	v_add_co_u32_e64 v5, s[2:3], v9, v5
	v_addc_co_u32_e64 v6, s[2:3], v7, v6, s[2:3]
	v_mov_b32_e32 v7, s19
	v_add_co_u32_e64 v5, s[2:3], s18, v5
	v_addc_co_u32_e64 v6, s[2:3], v7, v6, s[2:3]
	v_add_co_u32_e64 v5, s[2:3], 4, v5
	v_addc_co_u32_e64 v6, s[2:3], 0, v6, s[2:3]
	v_mad_i64_i32 v[7:8], s[2:3], s20, v1, 0
	s_mul_i32 s17, s17, s8
	s_mul_hi_u32 s18, s16, s8
	s_add_i32 s3, s18, s17
	s_mul_i32 s2, s16, s8
	v_lshlrev_b64 v[7:8], 3, v[7:8]
	s_lshl_b64 s[2:3], s[2:3], 3
	v_mov_b32_e32 v9, s3
	v_add_co_u32_e64 v10, s[2:3], s2, v7
	v_addc_co_u32_e64 v9, s[2:3], v9, v8, s[2:3]
	v_lshlrev_b64 v[7:8], 3, v[2:3]
	s_ashr_i32 s21, s20, 31
	v_add_co_u32_e64 v7, s[2:3], v10, v7
	v_addc_co_u32_e64 v8, s[2:3], v9, v8, s[2:3]
	v_mov_b32_e32 v9, s15
	v_add_co_u32_e64 v7, s[2:3], s14, v7
	s_ashr_i32 s7, s6, 31
	v_addc_co_u32_e64 v8, s[2:3], v9, v8, s[2:3]
	s_lshl_b64 s[6:7], s[6:7], 7
	s_lshl_b64 s[2:3], s[20:21], 7
	v_cmp_gt_i32_e32 vcc, s10, v4
	v_add_u32_e32 v15, v14, v12
	v_mov_b32_e32 v9, 0
	s_xor_b64 s[14:15], s[0:1], -1
	v_mov_b32_e32 v18, s7
	v_mov_b32_e32 v19, s3
	;; [unrolled: 1-line block ×4, first 2 shown]
	s_branch .LBB206_3
.LBB206_2:                              ;   in Loop: Header=BB206_3 Depth=1
	s_or_b64 exec, exec, s[0:1]
	s_waitcnt vmcnt(0)
	ds_write_b64 v15, v[10:11]
	s_waitcnt lgkmcnt(0)
	s_barrier
	ds_read2_b64 v[20:23], v12 offset1:16
	ds_read_b128 v[24:27], v14
	ds_read_b128 v[28:31], v14 offset:16
	ds_read2_b64 v[32:35], v12 offset0:32 offset1:48
	v_add_co_u32_e64 v5, s[0:1], s6, v5
	s_waitcnt lgkmcnt(2)
	v_mul_f32_e32 v10, v25, v21
	v_mul_f32_e32 v11, v24, v21
	v_fma_f32 v10, v24, v20, -v10
	v_fmac_f32_e32 v11, v25, v20
	v_mul_f32_e32 v20, v27, v23
	v_fma_f32 v36, v26, v22, -v20
	v_mul_f32_e32 v37, v26, v23
	s_waitcnt lgkmcnt(0)
	v_mul_f32_e32 v20, v29, v33
	v_fmac_f32_e32 v37, v27, v22
	v_fma_f32 v38, v28, v32, -v20
	ds_read2_b64 v[20:23], v12 offset0:64 offset1:80
	ds_read_b128 v[24:27], v14 offset:32
	v_mul_f32_e32 v39, v28, v33
	v_fmac_f32_e32 v39, v29, v32
	v_mul_f32_e32 v28, v31, v35
	v_mul_f32_e32 v41, v30, v35
	s_waitcnt lgkmcnt(0)
	v_mul_f32_e32 v32, v25, v21
	v_fma_f32 v40, v30, v34, -v28
	v_fmac_f32_e32 v41, v31, v34
	ds_read_b128 v[28:31], v14 offset:48
	v_fma_f32 v42, v24, v20, -v32
	ds_read2_b64 v[32:35], v12 offset0:96 offset1:112
	v_mul_f32_e32 v43, v24, v21
	v_fmac_f32_e32 v43, v25, v20
	v_mul_f32_e32 v20, v27, v23
	v_fma_f32 v44, v26, v22, -v20
	v_mul_f32_e32 v45, v26, v23
	s_waitcnt lgkmcnt(0)
	v_mul_f32_e32 v20, v29, v33
	v_fmac_f32_e32 v45, v27, v22
	v_fma_f32 v46, v28, v32, -v20
	ds_read2_b64 v[20:23], v12 offset0:128 offset1:144
	ds_read_b128 v[24:27], v14 offset:64
	v_mul_f32_e32 v47, v28, v33
	v_fmac_f32_e32 v47, v29, v32
	v_mul_f32_e32 v28, v31, v35
	v_mul_f32_e32 v49, v30, v35
	s_waitcnt lgkmcnt(0)
	v_mul_f32_e32 v32, v25, v21
	v_fma_f32 v48, v30, v34, -v28
	v_fmac_f32_e32 v49, v31, v34
	ds_read_b128 v[28:31], v14 offset:80
	v_fma_f32 v50, v24, v20, -v32
	ds_read2_b64 v[32:35], v12 offset0:160 offset1:176
	v_mul_f32_e32 v51, v24, v21
	v_fmac_f32_e32 v51, v25, v20
	v_mul_f32_e32 v20, v27, v23
	v_fma_f32 v52, v26, v22, -v20
	v_mul_f32_e32 v53, v26, v23
	s_waitcnt lgkmcnt(0)
	v_mul_f32_e32 v20, v29, v33
	v_add_f32_e32 v10, v17, v10
	v_add_f32_e32 v11, v16, v11
	v_fmac_f32_e32 v53, v27, v22
	v_fma_f32 v54, v28, v32, -v20
	ds_read2_b64 v[20:23], v12 offset0:192 offset1:208
	ds_read_b128 v[24:27], v14 offset:96
	v_add_f32_e32 v10, v10, v36
	v_add_f32_e32 v11, v11, v37
	;; [unrolled: 1-line block ×8, first 2 shown]
	v_mul_f32_e32 v55, v28, v33
	v_add_f32_e32 v10, v10, v44
	v_add_f32_e32 v11, v11, v45
	v_fmac_f32_e32 v55, v29, v32
	v_mul_f32_e32 v28, v31, v35
	v_mul_f32_e32 v57, v30, v35
	s_waitcnt lgkmcnt(0)
	v_mul_f32_e32 v32, v25, v21
	v_add_f32_e32 v10, v10, v46
	v_add_f32_e32 v11, v11, v47
	v_fma_f32 v56, v30, v34, -v28
	v_fmac_f32_e32 v57, v31, v34
	ds_read_b128 v[28:31], v14 offset:112
	v_fma_f32 v58, v24, v20, -v32
	ds_read2_b64 v[32:35], v12 offset0:224 offset1:240
	v_add_f32_e32 v10, v10, v48
	v_add_f32_e32 v11, v11, v49
	;; [unrolled: 1-line block ×6, first 2 shown]
	v_mul_f32_e32 v21, v24, v21
	v_add_f32_e32 v10, v10, v54
	v_add_f32_e32 v11, v11, v55
	v_fmac_f32_e32 v21, v25, v20
	v_mul_f32_e32 v20, v27, v23
	v_mul_f32_e32 v23, v26, v23
	v_add_f32_e32 v10, v10, v56
	v_add_f32_e32 v11, v11, v57
	v_fma_f32 v20, v26, v22, -v20
	v_fmac_f32_e32 v23, v27, v22
	s_waitcnt lgkmcnt(0)
	v_mul_f32_e32 v22, v29, v33
	v_mul_f32_e32 v24, v28, v33
	v_add_f32_e32 v10, v10, v58
	v_add_f32_e32 v11, v11, v21
	v_fma_f32 v22, v28, v32, -v22
	v_fmac_f32_e32 v24, v29, v32
	v_mul_f32_e32 v25, v31, v35
	v_mul_f32_e32 v26, v30, v35
	v_add_f32_e32 v10, v10, v20
	v_add_f32_e32 v11, v11, v23
	v_addc_co_u32_e64 v6, s[0:1], v6, v18, s[0:1]
	v_fma_f32 v25, v30, v34, -v25
	v_fmac_f32_e32 v26, v31, v34
	v_add_f32_e32 v10, v10, v22
	v_add_f32_e32 v11, v11, v24
	s_add_i32 s9, s9, 16
	v_add_co_u32_e64 v7, s[0:1], s2, v7
	v_add_f32_e32 v17, v10, v25
	v_add_f32_e32 v16, v11, v26
	s_cmp_ge_i32 s9, s11
	v_addc_co_u32_e64 v8, s[0:1], v8, v19, s[0:1]
	s_barrier
	s_cbranch_scc1 .LBB206_10
.LBB206_3:                              ; =>This Inner Loop Header: Depth=1
	v_add_u32_e32 v10, s9, v1
	v_cmp_le_i32_e64 s[0:1], s11, v10
	s_or_b64 s[0:1], s[14:15], s[0:1]
	s_and_saveexec_b64 s[16:17], s[0:1]
	s_xor_b64 s[0:1], exec, s[16:17]
; %bb.4:                                ;   in Loop: Header=BB206_3 Depth=1
	v_mov_b32_e32 v10, v9
	ds_write_b64 v13, v[9:10]
; %bb.5:                                ;   in Loop: Header=BB206_3 Depth=1
	s_andn2_saveexec_b64 s[0:1], s[0:1]
	s_cbranch_execz .LBB206_7
; %bb.6:                                ;   in Loop: Header=BB206_3 Depth=1
	global_load_dwordx2 v[10:11], v[7:8], off
	s_waitcnt vmcnt(0)
	ds_write_b64 v13, v[10:11]
.LBB206_7:                              ;   in Loop: Header=BB206_3 Depth=1
	s_or_b64 exec, exec, s[0:1]
	v_add_u32_e32 v10, s9, v0
	v_cmp_gt_i32_e64 s[0:1], s11, v10
	s_and_b64 s[16:17], vcc, s[0:1]
	v_mov_b32_e32 v10, 0
	v_mov_b32_e32 v11, 0
	s_and_saveexec_b64 s[0:1], s[16:17]
	s_cbranch_execz .LBB206_2
; %bb.8:                                ;   in Loop: Header=BB206_3 Depth=1
	global_load_dwordx2 v[10:11], v[5:6], off offset:-4
	s_branch .LBB206_2
.LBB206_9:
	v_mov_b32_e32 v16, 0
	v_mov_b32_e32 v17, 0
.LBB206_10:
	v_cmp_le_i32_e32 vcc, v4, v2
	v_cmp_gt_i32_e64 s[0:1], s10, v2
	s_and_b64 s[0:1], vcc, s[0:1]
	s_and_saveexec_b64 s[2:3], s[0:1]
	s_cbranch_execz .LBB206_12
; %bb.11:
	s_load_dwordx2 s[0:1], s[4:5], 0x58
	s_load_dwordx2 s[2:3], s[4:5], 0x48
	s_load_dword s6, s[4:5], 0x50
	v_mul_f32_e32 v5, s13, v16
	s_waitcnt lgkmcnt(0)
	s_mul_i32 s1, s1, s8
	s_mul_hi_u32 s4, s0, s8
	s_mul_i32 s0, s0, s8
	s_add_i32 s1, s4, s1
	s_lshl_b64 s[0:1], s[0:1], 3
	s_add_u32 s2, s2, s0
	s_addc_u32 s3, s3, s1
	v_mad_i64_i32 v[0:1], s[0:1], s6, v4, 0
	v_mov_b32_e32 v6, s3
	v_fma_f32 v4, v17, s12, -v5
	v_lshlrev_b64 v[0:1], 3, v[0:1]
	v_mul_f32_e32 v5, s12, v16
	v_add_co_u32_e32 v7, vcc, s2, v0
	v_addc_co_u32_e32 v6, vcc, v6, v1, vcc
	v_lshlrev_b64 v[0:1], 3, v[2:3]
	v_fmac_f32_e32 v5, s13, v17
	v_add_co_u32_e32 v0, vcc, v7, v0
	v_addc_co_u32_e32 v1, vcc, v6, v1, vcc
	global_store_dwordx2 v[0:1], v[4:5], off
.LBB206_12:
	s_endpgm
	.section	.rodata,"a",@progbits
	.p2align	6, 0x0
	.amdhsa_kernel _ZL32rocblas_syrkx_herkx_small_kernelIi19rocblas_complex_numIfELi16ELb1ELb0ELc78ELc76EKS1_S1_EviT_T0_PT6_S3_lS6_S3_lS4_PT7_S3_li
		.amdhsa_group_segment_fixed_size 4096
		.amdhsa_private_segment_fixed_size 0
		.amdhsa_kernarg_size 100
		.amdhsa_user_sgpr_count 6
		.amdhsa_user_sgpr_private_segment_buffer 1
		.amdhsa_user_sgpr_dispatch_ptr 0
		.amdhsa_user_sgpr_queue_ptr 0
		.amdhsa_user_sgpr_kernarg_segment_ptr 1
		.amdhsa_user_sgpr_dispatch_id 0
		.amdhsa_user_sgpr_flat_scratch_init 0
		.amdhsa_user_sgpr_private_segment_size 0
		.amdhsa_uses_dynamic_stack 0
		.amdhsa_system_sgpr_private_segment_wavefront_offset 0
		.amdhsa_system_sgpr_workgroup_id_x 1
		.amdhsa_system_sgpr_workgroup_id_y 1
		.amdhsa_system_sgpr_workgroup_id_z 1
		.amdhsa_system_sgpr_workgroup_info 0
		.amdhsa_system_vgpr_workitem_id 1
		.amdhsa_next_free_vgpr 59
		.amdhsa_next_free_sgpr 25
		.amdhsa_reserve_vcc 1
		.amdhsa_reserve_flat_scratch 0
		.amdhsa_float_round_mode_32 0
		.amdhsa_float_round_mode_16_64 0
		.amdhsa_float_denorm_mode_32 3
		.amdhsa_float_denorm_mode_16_64 3
		.amdhsa_dx10_clamp 1
		.amdhsa_ieee_mode 1
		.amdhsa_fp16_overflow 0
		.amdhsa_exception_fp_ieee_invalid_op 0
		.amdhsa_exception_fp_denorm_src 0
		.amdhsa_exception_fp_ieee_div_zero 0
		.amdhsa_exception_fp_ieee_overflow 0
		.amdhsa_exception_fp_ieee_underflow 0
		.amdhsa_exception_fp_ieee_inexact 0
		.amdhsa_exception_int_div_zero 0
	.end_amdhsa_kernel
	.section	.text._ZL32rocblas_syrkx_herkx_small_kernelIi19rocblas_complex_numIfELi16ELb1ELb0ELc78ELc76EKS1_S1_EviT_T0_PT6_S3_lS6_S3_lS4_PT7_S3_li,"axG",@progbits,_ZL32rocblas_syrkx_herkx_small_kernelIi19rocblas_complex_numIfELi16ELb1ELb0ELc78ELc76EKS1_S1_EviT_T0_PT6_S3_lS6_S3_lS4_PT7_S3_li,comdat
.Lfunc_end206:
	.size	_ZL32rocblas_syrkx_herkx_small_kernelIi19rocblas_complex_numIfELi16ELb1ELb0ELc78ELc76EKS1_S1_EviT_T0_PT6_S3_lS6_S3_lS4_PT7_S3_li, .Lfunc_end206-_ZL32rocblas_syrkx_herkx_small_kernelIi19rocblas_complex_numIfELi16ELb1ELb0ELc78ELc76EKS1_S1_EviT_T0_PT6_S3_lS6_S3_lS4_PT7_S3_li
                                        ; -- End function
	.set _ZL32rocblas_syrkx_herkx_small_kernelIi19rocblas_complex_numIfELi16ELb1ELb0ELc78ELc76EKS1_S1_EviT_T0_PT6_S3_lS6_S3_lS4_PT7_S3_li.num_vgpr, 59
	.set _ZL32rocblas_syrkx_herkx_small_kernelIi19rocblas_complex_numIfELi16ELb1ELb0ELc78ELc76EKS1_S1_EviT_T0_PT6_S3_lS6_S3_lS4_PT7_S3_li.num_agpr, 0
	.set _ZL32rocblas_syrkx_herkx_small_kernelIi19rocblas_complex_numIfELi16ELb1ELb0ELc78ELc76EKS1_S1_EviT_T0_PT6_S3_lS6_S3_lS4_PT7_S3_li.numbered_sgpr, 25
	.set _ZL32rocblas_syrkx_herkx_small_kernelIi19rocblas_complex_numIfELi16ELb1ELb0ELc78ELc76EKS1_S1_EviT_T0_PT6_S3_lS6_S3_lS4_PT7_S3_li.num_named_barrier, 0
	.set _ZL32rocblas_syrkx_herkx_small_kernelIi19rocblas_complex_numIfELi16ELb1ELb0ELc78ELc76EKS1_S1_EviT_T0_PT6_S3_lS6_S3_lS4_PT7_S3_li.private_seg_size, 0
	.set _ZL32rocblas_syrkx_herkx_small_kernelIi19rocblas_complex_numIfELi16ELb1ELb0ELc78ELc76EKS1_S1_EviT_T0_PT6_S3_lS6_S3_lS4_PT7_S3_li.uses_vcc, 1
	.set _ZL32rocblas_syrkx_herkx_small_kernelIi19rocblas_complex_numIfELi16ELb1ELb0ELc78ELc76EKS1_S1_EviT_T0_PT6_S3_lS6_S3_lS4_PT7_S3_li.uses_flat_scratch, 0
	.set _ZL32rocblas_syrkx_herkx_small_kernelIi19rocblas_complex_numIfELi16ELb1ELb0ELc78ELc76EKS1_S1_EviT_T0_PT6_S3_lS6_S3_lS4_PT7_S3_li.has_dyn_sized_stack, 0
	.set _ZL32rocblas_syrkx_herkx_small_kernelIi19rocblas_complex_numIfELi16ELb1ELb0ELc78ELc76EKS1_S1_EviT_T0_PT6_S3_lS6_S3_lS4_PT7_S3_li.has_recursion, 0
	.set _ZL32rocblas_syrkx_herkx_small_kernelIi19rocblas_complex_numIfELi16ELb1ELb0ELc78ELc76EKS1_S1_EviT_T0_PT6_S3_lS6_S3_lS4_PT7_S3_li.has_indirect_call, 0
	.section	.AMDGPU.csdata,"",@progbits
; Kernel info:
; codeLenInByte = 1344
; TotalNumSgprs: 29
; NumVgprs: 59
; ScratchSize: 0
; MemoryBound: 1
; FloatMode: 240
; IeeeMode: 1
; LDSByteSize: 4096 bytes/workgroup (compile time only)
; SGPRBlocks: 3
; VGPRBlocks: 14
; NumSGPRsForWavesPerEU: 29
; NumVGPRsForWavesPerEU: 59
; Occupancy: 4
; WaveLimiterHint : 0
; COMPUTE_PGM_RSRC2:SCRATCH_EN: 0
; COMPUTE_PGM_RSRC2:USER_SGPR: 6
; COMPUTE_PGM_RSRC2:TRAP_HANDLER: 0
; COMPUTE_PGM_RSRC2:TGID_X_EN: 1
; COMPUTE_PGM_RSRC2:TGID_Y_EN: 1
; COMPUTE_PGM_RSRC2:TGID_Z_EN: 1
; COMPUTE_PGM_RSRC2:TIDIG_COMP_CNT: 1
	.section	.text._ZL32rocblas_syrkx_herkx_small_kernelIi19rocblas_complex_numIfELi16ELb1ELb0ELc84ELc85EKS1_S1_EviT_T0_PT6_S3_lS6_S3_lS4_PT7_S3_li,"axG",@progbits,_ZL32rocblas_syrkx_herkx_small_kernelIi19rocblas_complex_numIfELi16ELb1ELb0ELc84ELc85EKS1_S1_EviT_T0_PT6_S3_lS6_S3_lS4_PT7_S3_li,comdat
	.globl	_ZL32rocblas_syrkx_herkx_small_kernelIi19rocblas_complex_numIfELi16ELb1ELb0ELc84ELc85EKS1_S1_EviT_T0_PT6_S3_lS6_S3_lS4_PT7_S3_li ; -- Begin function _ZL32rocblas_syrkx_herkx_small_kernelIi19rocblas_complex_numIfELi16ELb1ELb0ELc84ELc85EKS1_S1_EviT_T0_PT6_S3_lS6_S3_lS4_PT7_S3_li
	.p2align	8
	.type	_ZL32rocblas_syrkx_herkx_small_kernelIi19rocblas_complex_numIfELi16ELb1ELb0ELc84ELc85EKS1_S1_EviT_T0_PT6_S3_lS6_S3_lS4_PT7_S3_li,@function
_ZL32rocblas_syrkx_herkx_small_kernelIi19rocblas_complex_numIfELi16ELb1ELb0ELc84ELc85EKS1_S1_EviT_T0_PT6_S3_lS6_S3_lS4_PT7_S3_li: ; @_ZL32rocblas_syrkx_herkx_small_kernelIi19rocblas_complex_numIfELi16ELb1ELb0ELc84ELc85EKS1_S1_EviT_T0_PT6_S3_lS6_S3_lS4_PT7_S3_li
; %bb.0:
	s_load_dwordx2 s[10:11], s[4:5], 0x0
	s_load_dwordx4 s[12:15], s[4:5], 0x8
	v_lshl_add_u32 v9, s7, 4, v1
	s_mov_b32 s9, 0
	v_lshl_add_u32 v2, s6, 4, v0
	s_waitcnt lgkmcnt(0)
	s_cmp_lt_i32 s11, 1
	v_cmp_gt_i32_e32 vcc, s10, v9
	s_cbranch_scc1 .LBB207_11
; %bb.1:
	s_load_dword s20, s[4:5], 0x18
	s_load_dwordx4 s[16:19], s[4:5], 0x20
	s_load_dword s6, s[4:5], 0x30
	s_load_dwordx2 s[2:3], s[4:5], 0x38
	v_lshlrev_b32_e32 v5, 7, v1
	v_lshlrev_b32_e32 v10, 3, v0
	v_add_u32_e32 v11, v10, v5
	s_waitcnt lgkmcnt(0)
	v_mad_i64_i32 v[3:4], s[6:7], s6, v9, 0
	s_mul_i32 s3, s3, s8
	s_mul_hi_u32 s6, s2, s8
	v_lshlrev_b64 v[3:4], 3, v[3:4]
	s_add_i32 s3, s6, s3
	s_mul_i32 s2, s2, s8
	s_lshl_b64 s[2:3], s[2:3], 3
	v_add_u32_e32 v12, 0x800, v5
	v_mov_b32_e32 v5, s3
	v_add_co_u32_e64 v6, s[2:3], s2, v3
	v_addc_co_u32_e64 v4, s[2:3], v4, v5, s[2:3]
	v_add_co_u32_e64 v5, s[2:3], v6, v10
	v_addc_co_u32_e64 v4, s[2:3], 0, v4, s[2:3]
	v_mad_i64_i32 v[7:8], s[2:3], s20, v2, 0
	v_mov_b32_e32 v6, s19
	v_add_co_u32_e64 v5, s[2:3], s18, v5
	v_addc_co_u32_e64 v6, s[2:3], v6, v4, s[2:3]
	s_mul_i32 s2, s17, s8
	s_mul_hi_u32 s3, s16, s8
	v_lshlrev_b64 v[7:8], 3, v[7:8]
	s_add_i32 s3, s3, s2
	s_mul_i32 s2, s16, s8
	s_lshl_b64 s[2:3], s[2:3], 3
	v_mov_b32_e32 v4, s3
	v_add_co_u32_e64 v7, s[2:3], s2, v7
	v_addc_co_u32_e64 v4, s[2:3], v8, v4, s[2:3]
	v_lshlrev_b32_e32 v8, 3, v1
	v_add_co_u32_e64 v7, s[2:3], v7, v8
	v_addc_co_u32_e64 v4, s[2:3], 0, v4, s[2:3]
	v_mov_b32_e32 v8, s15
	v_add_co_u32_e64 v7, s[2:3], s14, v7
	v_cmp_gt_i32_e64 s[0:1], s10, v2
	v_addc_co_u32_e64 v8, s[2:3], v8, v4, s[2:3]
	v_add_u32_e32 v13, v12, v10
	v_mov_b32_e32 v3, 0
	s_xor_b64 s[0:1], s[0:1], -1
	s_xor_b64 s[2:3], vcc, -1
	v_mov_b32_e32 v14, 0
	v_mov_b32_e32 v15, 0
	s_branch .LBB207_3
.LBB207_2:                              ;   in Loop: Header=BB207_3 Depth=1
	s_or_b64 exec, exec, s[6:7]
	s_waitcnt lgkmcnt(0)
	s_barrier
	ds_read2_b64 v[16:19], v10 offset1:16
	ds_read_b128 v[20:23], v12
	ds_read_b128 v[24:27], v12 offset:16
	ds_read2_b64 v[28:31], v10 offset0:32 offset1:48
	v_add_co_u32_e32 v5, vcc, 0x80, v5
	s_waitcnt lgkmcnt(2)
	v_mul_f32_e32 v4, v21, v17
	v_mul_f32_e32 v32, v20, v17
	v_fma_f32 v4, v20, v16, -v4
	v_fmac_f32_e32 v32, v21, v16
	v_mul_f32_e32 v16, v23, v19
	v_fma_f32 v33, v22, v18, -v16
	v_mul_f32_e32 v34, v22, v19
	s_waitcnt lgkmcnt(0)
	v_mul_f32_e32 v16, v25, v29
	v_fmac_f32_e32 v34, v23, v18
	v_fma_f32 v35, v24, v28, -v16
	ds_read2_b64 v[16:19], v10 offset0:64 offset1:80
	ds_read_b128 v[20:23], v12 offset:32
	v_mul_f32_e32 v36, v24, v29
	v_fmac_f32_e32 v36, v25, v28
	v_mul_f32_e32 v24, v27, v31
	v_mul_f32_e32 v38, v26, v31
	s_waitcnt lgkmcnt(0)
	v_mul_f32_e32 v28, v21, v17
	v_fma_f32 v37, v26, v30, -v24
	v_fmac_f32_e32 v38, v27, v30
	ds_read_b128 v[24:27], v12 offset:48
	v_fma_f32 v39, v20, v16, -v28
	ds_read2_b64 v[28:31], v10 offset0:96 offset1:112
	v_mul_f32_e32 v40, v20, v17
	v_fmac_f32_e32 v40, v21, v16
	v_mul_f32_e32 v16, v23, v19
	v_fma_f32 v41, v22, v18, -v16
	v_mul_f32_e32 v42, v22, v19
	s_waitcnt lgkmcnt(0)
	v_mul_f32_e32 v16, v25, v29
	v_fmac_f32_e32 v42, v23, v18
	v_fma_f32 v43, v24, v28, -v16
	ds_read2_b64 v[16:19], v10 offset0:128 offset1:144
	ds_read_b128 v[20:23], v12 offset:64
	v_mul_f32_e32 v44, v24, v29
	v_fmac_f32_e32 v44, v25, v28
	v_mul_f32_e32 v24, v27, v31
	v_mul_f32_e32 v46, v26, v31
	s_waitcnt lgkmcnt(0)
	v_mul_f32_e32 v28, v21, v17
	v_fma_f32 v45, v26, v30, -v24
	v_fmac_f32_e32 v46, v27, v30
	ds_read_b128 v[24:27], v12 offset:80
	v_fma_f32 v47, v20, v16, -v28
	ds_read2_b64 v[28:31], v10 offset0:160 offset1:176
	v_mul_f32_e32 v48, v20, v17
	v_add_f32_e32 v14, v14, v32
	v_fmac_f32_e32 v48, v21, v16
	v_mul_f32_e32 v16, v23, v19
	v_add_f32_e32 v14, v14, v34
	v_fma_f32 v49, v22, v18, -v16
	v_mul_f32_e32 v50, v22, v19
	s_waitcnt lgkmcnt(0)
	v_mul_f32_e32 v16, v25, v29
	v_add_f32_e32 v14, v14, v36
	v_fmac_f32_e32 v50, v23, v18
	v_fma_f32 v51, v24, v28, -v16
	ds_read2_b64 v[16:19], v10 offset0:192 offset1:208
	ds_read_b128 v[20:23], v12 offset:96
	v_add_f32_e32 v14, v14, v38
	v_add_f32_e32 v14, v14, v40
	;; [unrolled: 1-line block ×6, first 2 shown]
	v_mul_f32_e32 v29, v24, v29
	v_mul_f32_e32 v24, v27, v31
	;; [unrolled: 1-line block ×3, first 2 shown]
	v_add_f32_e32 v4, v4, v35
	v_add_f32_e32 v14, v14, v46
	v_fmac_f32_e32 v29, v25, v28
	v_fma_f32 v28, v26, v30, -v24
	v_fmac_f32_e32 v31, v27, v30
	s_waitcnt lgkmcnt(0)
	v_mul_f32_e32 v30, v21, v17
	v_add_f32_e32 v4, v4, v37
	v_add_f32_e32 v14, v14, v48
	v_fma_f32 v30, v20, v16, -v30
	v_mul_f32_e32 v20, v20, v17
	v_add_f32_e32 v4, v4, v39
	v_add_f32_e32 v14, v14, v50
	v_fmac_f32_e32 v20, v21, v16
	v_mul_f32_e32 v16, v23, v19
	v_mul_f32_e32 v19, v22, v19
	v_add_f32_e32 v4, v4, v41
	v_add_f32_e32 v14, v14, v29
	ds_read_b128 v[24:27], v12 offset:112
	v_fma_f32 v21, v22, v18, -v16
	v_fmac_f32_e32 v19, v23, v18
	v_add_f32_e32 v4, v4, v43
	v_add_f32_e32 v18, v14, v31
	ds_read2_b64 v[14:17], v10 offset0:224 offset1:240
	v_add_f32_e32 v4, v4, v45
	v_add_f32_e32 v4, v4, v47
	v_add_f32_e32 v4, v4, v49
	v_add_f32_e32 v4, v4, v51
	v_add_f32_e32 v18, v18, v20
	v_add_f32_e32 v4, v4, v28
	v_add_f32_e32 v18, v18, v19
	s_waitcnt lgkmcnt(0)
	v_mul_f32_e32 v19, v25, v15
	v_mul_f32_e32 v15, v24, v15
	v_add_f32_e32 v4, v4, v30
	v_fmac_f32_e32 v15, v25, v14
	v_add_f32_e32 v4, v4, v21
	v_fma_f32 v19, v24, v14, -v19
	v_add_f32_e32 v14, v18, v15
	v_mul_f32_e32 v15, v27, v17
	v_mul_f32_e32 v17, v26, v17
	v_addc_co_u32_e32 v6, vcc, 0, v6, vcc
	v_add_f32_e32 v4, v4, v19
	v_fma_f32 v15, v26, v16, -v15
	v_fmac_f32_e32 v17, v27, v16
	s_add_i32 s9, s9, 16
	v_add_co_u32_e32 v7, vcc, 0x80, v7
	v_add_f32_e32 v15, v4, v15
	v_add_f32_e32 v14, v14, v17
	s_cmp_ge_i32 s9, s11
	v_addc_co_u32_e32 v8, vcc, 0, v8, vcc
	s_barrier
	s_cbranch_scc1 .LBB207_12
.LBB207_3:                              ; =>This Inner Loop Header: Depth=1
	v_add_u32_e32 v4, s9, v1
	v_cmp_le_i32_e32 vcc, s11, v4
	s_or_b64 s[6:7], s[0:1], vcc
	s_and_saveexec_b64 s[14:15], s[6:7]
	s_xor_b64 s[6:7], exec, s[14:15]
; %bb.4:                                ;   in Loop: Header=BB207_3 Depth=1
	v_mov_b32_e32 v4, v3
	ds_write_b64 v11, v[3:4]
; %bb.5:                                ;   in Loop: Header=BB207_3 Depth=1
	s_andn2_saveexec_b64 s[6:7], s[6:7]
	s_cbranch_execz .LBB207_7
; %bb.6:                                ;   in Loop: Header=BB207_3 Depth=1
	global_load_dwordx2 v[16:17], v[7:8], off
	s_waitcnt vmcnt(0)
	ds_write_b64 v11, v[16:17]
.LBB207_7:                              ;   in Loop: Header=BB207_3 Depth=1
	s_or_b64 exec, exec, s[6:7]
	v_add_u32_e32 v4, s9, v0
	v_cmp_le_i32_e32 vcc, s11, v4
	s_or_b64 s[6:7], s[2:3], vcc
	s_and_saveexec_b64 s[14:15], s[6:7]
	s_xor_b64 s[6:7], exec, s[14:15]
; %bb.8:                                ;   in Loop: Header=BB207_3 Depth=1
	v_mov_b32_e32 v4, v3
	ds_write_b64 v13, v[3:4]
; %bb.9:                                ;   in Loop: Header=BB207_3 Depth=1
	s_andn2_saveexec_b64 s[6:7], s[6:7]
	s_cbranch_execz .LBB207_2
; %bb.10:                               ;   in Loop: Header=BB207_3 Depth=1
	global_load_dwordx2 v[16:17], v[5:6], off
	s_waitcnt vmcnt(0)
	ds_write_b64 v13, v[16:17]
	s_branch .LBB207_2
.LBB207_11:
	v_mov_b32_e32 v14, 0
	v_mov_b32_e32 v15, 0
.LBB207_12:
	v_cmp_le_i32_e32 vcc, v2, v9
	v_cmp_gt_i32_e64 s[0:1], s10, v9
	s_and_b64 s[0:1], vcc, s[0:1]
	s_and_saveexec_b64 s[2:3], s[0:1]
	s_cbranch_execz .LBB207_14
; %bb.13:
	s_load_dwordx2 s[0:1], s[4:5], 0x58
	s_load_dwordx2 s[2:3], s[4:5], 0x48
	s_load_dword s6, s[4:5], 0x50
	v_ashrrev_i32_e32 v3, 31, v2
	v_lshlrev_b64 v[2:3], 3, v[2:3]
	s_waitcnt lgkmcnt(0)
	s_mul_i32 s1, s1, s8
	s_mul_hi_u32 s4, s0, s8
	s_mul_i32 s0, s0, s8
	s_add_i32 s1, s4, s1
	s_lshl_b64 s[0:1], s[0:1], 3
	s_add_u32 s2, s2, s0
	s_addc_u32 s3, s3, s1
	v_mad_i64_i32 v[4:5], s[0:1], s6, v9, 0
	v_mov_b32_e32 v6, s3
	v_mul_f32_e32 v0, s13, v14
	v_lshlrev_b64 v[4:5], 3, v[4:5]
	v_mul_f32_e32 v1, s12, v14
	v_add_co_u32_e32 v4, vcc, s2, v4
	v_addc_co_u32_e32 v5, vcc, v6, v5, vcc
	v_add_co_u32_e32 v2, vcc, v4, v2
	v_fma_f32 v0, v15, s12, -v0
	v_fmac_f32_e32 v1, s13, v15
	v_addc_co_u32_e32 v3, vcc, v5, v3, vcc
	global_store_dwordx2 v[2:3], v[0:1], off
.LBB207_14:
	s_endpgm
	.section	.rodata,"a",@progbits
	.p2align	6, 0x0
	.amdhsa_kernel _ZL32rocblas_syrkx_herkx_small_kernelIi19rocblas_complex_numIfELi16ELb1ELb0ELc84ELc85EKS1_S1_EviT_T0_PT6_S3_lS6_S3_lS4_PT7_S3_li
		.amdhsa_group_segment_fixed_size 4096
		.amdhsa_private_segment_fixed_size 0
		.amdhsa_kernarg_size 100
		.amdhsa_user_sgpr_count 6
		.amdhsa_user_sgpr_private_segment_buffer 1
		.amdhsa_user_sgpr_dispatch_ptr 0
		.amdhsa_user_sgpr_queue_ptr 0
		.amdhsa_user_sgpr_kernarg_segment_ptr 1
		.amdhsa_user_sgpr_dispatch_id 0
		.amdhsa_user_sgpr_flat_scratch_init 0
		.amdhsa_user_sgpr_private_segment_size 0
		.amdhsa_uses_dynamic_stack 0
		.amdhsa_system_sgpr_private_segment_wavefront_offset 0
		.amdhsa_system_sgpr_workgroup_id_x 1
		.amdhsa_system_sgpr_workgroup_id_y 1
		.amdhsa_system_sgpr_workgroup_id_z 1
		.amdhsa_system_sgpr_workgroup_info 0
		.amdhsa_system_vgpr_workitem_id 1
		.amdhsa_next_free_vgpr 52
		.amdhsa_next_free_sgpr 21
		.amdhsa_reserve_vcc 1
		.amdhsa_reserve_flat_scratch 0
		.amdhsa_float_round_mode_32 0
		.amdhsa_float_round_mode_16_64 0
		.amdhsa_float_denorm_mode_32 3
		.amdhsa_float_denorm_mode_16_64 3
		.amdhsa_dx10_clamp 1
		.amdhsa_ieee_mode 1
		.amdhsa_fp16_overflow 0
		.amdhsa_exception_fp_ieee_invalid_op 0
		.amdhsa_exception_fp_denorm_src 0
		.amdhsa_exception_fp_ieee_div_zero 0
		.amdhsa_exception_fp_ieee_overflow 0
		.amdhsa_exception_fp_ieee_underflow 0
		.amdhsa_exception_fp_ieee_inexact 0
		.amdhsa_exception_int_div_zero 0
	.end_amdhsa_kernel
	.section	.text._ZL32rocblas_syrkx_herkx_small_kernelIi19rocblas_complex_numIfELi16ELb1ELb0ELc84ELc85EKS1_S1_EviT_T0_PT6_S3_lS6_S3_lS4_PT7_S3_li,"axG",@progbits,_ZL32rocblas_syrkx_herkx_small_kernelIi19rocblas_complex_numIfELi16ELb1ELb0ELc84ELc85EKS1_S1_EviT_T0_PT6_S3_lS6_S3_lS4_PT7_S3_li,comdat
.Lfunc_end207:
	.size	_ZL32rocblas_syrkx_herkx_small_kernelIi19rocblas_complex_numIfELi16ELb1ELb0ELc84ELc85EKS1_S1_EviT_T0_PT6_S3_lS6_S3_lS4_PT7_S3_li, .Lfunc_end207-_ZL32rocblas_syrkx_herkx_small_kernelIi19rocblas_complex_numIfELi16ELb1ELb0ELc84ELc85EKS1_S1_EviT_T0_PT6_S3_lS6_S3_lS4_PT7_S3_li
                                        ; -- End function
	.set _ZL32rocblas_syrkx_herkx_small_kernelIi19rocblas_complex_numIfELi16ELb1ELb0ELc84ELc85EKS1_S1_EviT_T0_PT6_S3_lS6_S3_lS4_PT7_S3_li.num_vgpr, 52
	.set _ZL32rocblas_syrkx_herkx_small_kernelIi19rocblas_complex_numIfELi16ELb1ELb0ELc84ELc85EKS1_S1_EviT_T0_PT6_S3_lS6_S3_lS4_PT7_S3_li.num_agpr, 0
	.set _ZL32rocblas_syrkx_herkx_small_kernelIi19rocblas_complex_numIfELi16ELb1ELb0ELc84ELc85EKS1_S1_EviT_T0_PT6_S3_lS6_S3_lS4_PT7_S3_li.numbered_sgpr, 21
	.set _ZL32rocblas_syrkx_herkx_small_kernelIi19rocblas_complex_numIfELi16ELb1ELb0ELc84ELc85EKS1_S1_EviT_T0_PT6_S3_lS6_S3_lS4_PT7_S3_li.num_named_barrier, 0
	.set _ZL32rocblas_syrkx_herkx_small_kernelIi19rocblas_complex_numIfELi16ELb1ELb0ELc84ELc85EKS1_S1_EviT_T0_PT6_S3_lS6_S3_lS4_PT7_S3_li.private_seg_size, 0
	.set _ZL32rocblas_syrkx_herkx_small_kernelIi19rocblas_complex_numIfELi16ELb1ELb0ELc84ELc85EKS1_S1_EviT_T0_PT6_S3_lS6_S3_lS4_PT7_S3_li.uses_vcc, 1
	.set _ZL32rocblas_syrkx_herkx_small_kernelIi19rocblas_complex_numIfELi16ELb1ELb0ELc84ELc85EKS1_S1_EviT_T0_PT6_S3_lS6_S3_lS4_PT7_S3_li.uses_flat_scratch, 0
	.set _ZL32rocblas_syrkx_herkx_small_kernelIi19rocblas_complex_numIfELi16ELb1ELb0ELc84ELc85EKS1_S1_EviT_T0_PT6_S3_lS6_S3_lS4_PT7_S3_li.has_dyn_sized_stack, 0
	.set _ZL32rocblas_syrkx_herkx_small_kernelIi19rocblas_complex_numIfELi16ELb1ELb0ELc84ELc85EKS1_S1_EviT_T0_PT6_S3_lS6_S3_lS4_PT7_S3_li.has_recursion, 0
	.set _ZL32rocblas_syrkx_herkx_small_kernelIi19rocblas_complex_numIfELi16ELb1ELb0ELc84ELc85EKS1_S1_EviT_T0_PT6_S3_lS6_S3_lS4_PT7_S3_li.has_indirect_call, 0
	.section	.AMDGPU.csdata,"",@progbits
; Kernel info:
; codeLenInByte = 1288
; TotalNumSgprs: 25
; NumVgprs: 52
; ScratchSize: 0
; MemoryBound: 1
; FloatMode: 240
; IeeeMode: 1
; LDSByteSize: 4096 bytes/workgroup (compile time only)
; SGPRBlocks: 3
; VGPRBlocks: 12
; NumSGPRsForWavesPerEU: 25
; NumVGPRsForWavesPerEU: 52
; Occupancy: 4
; WaveLimiterHint : 0
; COMPUTE_PGM_RSRC2:SCRATCH_EN: 0
; COMPUTE_PGM_RSRC2:USER_SGPR: 6
; COMPUTE_PGM_RSRC2:TRAP_HANDLER: 0
; COMPUTE_PGM_RSRC2:TGID_X_EN: 1
; COMPUTE_PGM_RSRC2:TGID_Y_EN: 1
; COMPUTE_PGM_RSRC2:TGID_Z_EN: 1
; COMPUTE_PGM_RSRC2:TIDIG_COMP_CNT: 1
	.section	.text._ZL32rocblas_syrkx_herkx_small_kernelIi19rocblas_complex_numIfELi16ELb1ELb0ELc67ELc85EKS1_S1_EviT_T0_PT6_S3_lS6_S3_lS4_PT7_S3_li,"axG",@progbits,_ZL32rocblas_syrkx_herkx_small_kernelIi19rocblas_complex_numIfELi16ELb1ELb0ELc67ELc85EKS1_S1_EviT_T0_PT6_S3_lS6_S3_lS4_PT7_S3_li,comdat
	.globl	_ZL32rocblas_syrkx_herkx_small_kernelIi19rocblas_complex_numIfELi16ELb1ELb0ELc67ELc85EKS1_S1_EviT_T0_PT6_S3_lS6_S3_lS4_PT7_S3_li ; -- Begin function _ZL32rocblas_syrkx_herkx_small_kernelIi19rocblas_complex_numIfELi16ELb1ELb0ELc67ELc85EKS1_S1_EviT_T0_PT6_S3_lS6_S3_lS4_PT7_S3_li
	.p2align	8
	.type	_ZL32rocblas_syrkx_herkx_small_kernelIi19rocblas_complex_numIfELi16ELb1ELb0ELc67ELc85EKS1_S1_EviT_T0_PT6_S3_lS6_S3_lS4_PT7_S3_li,@function
_ZL32rocblas_syrkx_herkx_small_kernelIi19rocblas_complex_numIfELi16ELb1ELb0ELc67ELc85EKS1_S1_EviT_T0_PT6_S3_lS6_S3_lS4_PT7_S3_li: ; @_ZL32rocblas_syrkx_herkx_small_kernelIi19rocblas_complex_numIfELi16ELb1ELb0ELc67ELc85EKS1_S1_EviT_T0_PT6_S3_lS6_S3_lS4_PT7_S3_li
; %bb.0:
	s_load_dwordx2 s[10:11], s[4:5], 0x0
	s_load_dwordx4 s[12:15], s[4:5], 0x8
	v_lshl_add_u32 v11, s7, 4, v1
	s_mov_b32 s9, 0
	v_lshl_add_u32 v2, s6, 4, v0
	s_waitcnt lgkmcnt(0)
	s_cmp_lt_i32 s11, 1
	v_cmp_gt_i32_e32 vcc, s10, v11
	s_cbranch_scc1 .LBB208_9
; %bb.1:
	s_load_dword s20, s[4:5], 0x18
	s_load_dwordx4 s[16:19], s[4:5], 0x20
	s_load_dword s6, s[4:5], 0x30
	s_load_dwordx2 s[2:3], s[4:5], 0x38
	v_lshlrev_b32_e32 v5, 7, v1
	v_lshlrev_b32_e32 v12, 3, v0
	v_add_u32_e32 v13, v12, v5
	s_waitcnt lgkmcnt(0)
	v_mad_i64_i32 v[3:4], s[6:7], s6, v11, 0
	s_mul_i32 s3, s3, s8
	s_mul_hi_u32 s6, s2, s8
	v_lshlrev_b64 v[3:4], 3, v[3:4]
	s_add_i32 s3, s6, s3
	s_mul_i32 s2, s2, s8
	s_lshl_b64 s[2:3], s[2:3], 3
	v_add_u32_e32 v14, 0x800, v5
	v_mov_b32_e32 v5, s3
	v_add_co_u32_e64 v6, s[2:3], s2, v3
	v_addc_co_u32_e64 v4, s[2:3], v4, v5, s[2:3]
	v_add_co_u32_e64 v5, s[2:3], v6, v12
	v_addc_co_u32_e64 v4, s[2:3], 0, v4, s[2:3]
	v_mad_i64_i32 v[7:8], s[2:3], s20, v2, 0
	v_mov_b32_e32 v6, s19
	v_add_co_u32_e64 v5, s[2:3], s18, v5
	v_addc_co_u32_e64 v6, s[2:3], v6, v4, s[2:3]
	s_mul_i32 s2, s17, s8
	s_mul_hi_u32 s3, s16, s8
	v_lshlrev_b64 v[7:8], 3, v[7:8]
	s_add_i32 s3, s3, s2
	s_mul_i32 s2, s16, s8
	s_lshl_b64 s[2:3], s[2:3], 3
	v_mov_b32_e32 v4, s3
	v_add_co_u32_e64 v7, s[2:3], s2, v7
	v_addc_co_u32_e64 v4, s[2:3], v8, v4, s[2:3]
	v_lshlrev_b32_e32 v8, 3, v1
	v_add_co_u32_e64 v7, s[2:3], v7, v8
	v_addc_co_u32_e64 v4, s[2:3], 0, v4, s[2:3]
	v_mov_b32_e32 v8, s15
	v_add_co_u32_e64 v7, s[2:3], s14, v7
	v_addc_co_u32_e64 v4, s[2:3], v8, v4, s[2:3]
	v_add_co_u32_e64 v7, s[2:3], 4, v7
	v_addc_co_u32_e64 v8, s[2:3], 0, v4, s[2:3]
	v_cmp_gt_i32_e64 s[0:1], s10, v2
	v_add_u32_e32 v15, v14, v12
	v_mov_b32_e32 v3, 0
	s_xor_b64 s[2:3], vcc, -1
	v_mov_b32_e32 v16, 0
	v_mov_b32_e32 v17, 0
	s_branch .LBB208_3
.LBB208_2:                              ;   in Loop: Header=BB208_3 Depth=1
	s_or_b64 exec, exec, s[6:7]
	s_waitcnt lgkmcnt(0)
	s_barrier
	ds_read2_b64 v[18:21], v12 offset1:16
	ds_read_b128 v[22:25], v14
	ds_read_b128 v[26:29], v14 offset:16
	ds_read2_b64 v[30:33], v12 offset0:32 offset1:48
	v_add_co_u32_e32 v5, vcc, 0x80, v5
	s_waitcnt lgkmcnt(2)
	v_mul_f32_e32 v4, v23, v19
	v_mul_f32_e32 v9, v22, v19
	v_fma_f32 v4, v22, v18, -v4
	v_fmac_f32_e32 v9, v23, v18
	v_mul_f32_e32 v10, v25, v21
	v_mul_f32_e32 v34, v24, v21
	s_waitcnt lgkmcnt(0)
	v_mul_f32_e32 v18, v27, v31
	v_fma_f32 v10, v24, v20, -v10
	v_fmac_f32_e32 v34, v25, v20
	v_fma_f32 v35, v26, v30, -v18
	ds_read2_b64 v[18:21], v12 offset0:64 offset1:80
	ds_read_b128 v[22:25], v14 offset:32
	v_mul_f32_e32 v36, v26, v31
	v_fmac_f32_e32 v36, v27, v30
	v_mul_f32_e32 v26, v29, v33
	v_mul_f32_e32 v38, v28, v33
	s_waitcnt lgkmcnt(0)
	v_mul_f32_e32 v30, v23, v19
	v_fma_f32 v37, v28, v32, -v26
	v_fmac_f32_e32 v38, v29, v32
	ds_read_b128 v[26:29], v14 offset:48
	v_fma_f32 v39, v22, v18, -v30
	ds_read2_b64 v[30:33], v12 offset0:96 offset1:112
	v_mul_f32_e32 v40, v22, v19
	v_fmac_f32_e32 v40, v23, v18
	v_mul_f32_e32 v18, v25, v21
	v_fma_f32 v41, v24, v20, -v18
	v_mul_f32_e32 v42, v24, v21
	s_waitcnt lgkmcnt(0)
	v_mul_f32_e32 v18, v27, v31
	v_fmac_f32_e32 v42, v25, v20
	v_fma_f32 v43, v26, v30, -v18
	ds_read2_b64 v[18:21], v12 offset0:128 offset1:144
	ds_read_b128 v[22:25], v14 offset:64
	v_mul_f32_e32 v44, v26, v31
	v_fmac_f32_e32 v44, v27, v30
	v_mul_f32_e32 v26, v29, v33
	v_mul_f32_e32 v46, v28, v33
	s_waitcnt lgkmcnt(0)
	v_mul_f32_e32 v30, v23, v19
	v_fma_f32 v45, v28, v32, -v26
	v_fmac_f32_e32 v46, v29, v32
	ds_read_b128 v[26:29], v14 offset:80
	v_fma_f32 v47, v22, v18, -v30
	ds_read2_b64 v[30:33], v12 offset0:160 offset1:176
	v_mul_f32_e32 v48, v22, v19
	v_fmac_f32_e32 v48, v23, v18
	v_mul_f32_e32 v18, v25, v21
	v_fma_f32 v49, v24, v20, -v18
	v_mul_f32_e32 v50, v24, v21
	s_waitcnt lgkmcnt(0)
	v_mul_f32_e32 v18, v27, v31
	v_fmac_f32_e32 v50, v25, v20
	v_fma_f32 v51, v26, v30, -v18
	ds_read2_b64 v[18:21], v12 offset0:192 offset1:208
	ds_read_b128 v[22:25], v14 offset:96
	v_add_f32_e32 v4, v17, v4
	v_add_f32_e32 v9, v16, v9
	;; [unrolled: 1-line block ×5, first 2 shown]
	v_mul_f32_e32 v31, v26, v31
	v_mul_f32_e32 v26, v29, v33
	v_mul_f32_e32 v33, v28, v33
	v_add_f32_e32 v9, v9, v36
	v_add_f32_e32 v4, v4, v37
	v_fmac_f32_e32 v31, v27, v30
	v_fma_f32 v30, v28, v32, -v26
	v_fmac_f32_e32 v33, v29, v32
	s_waitcnt lgkmcnt(0)
	v_mul_f32_e32 v32, v23, v19
	v_add_f32_e32 v9, v9, v38
	v_add_f32_e32 v4, v4, v39
	v_fma_f32 v32, v22, v18, -v32
	v_mul_f32_e32 v22, v22, v19
	v_add_f32_e32 v9, v9, v40
	v_add_f32_e32 v4, v4, v41
	v_fmac_f32_e32 v22, v23, v18
	v_mul_f32_e32 v18, v25, v21
	v_add_f32_e32 v9, v9, v42
	v_add_f32_e32 v4, v4, v43
	ds_read_b128 v[26:29], v14 offset:112
	v_fma_f32 v23, v24, v20, -v18
	v_add_f32_e32 v9, v9, v44
	v_add_f32_e32 v4, v4, v45
	ds_read2_b64 v[16:19], v12 offset0:224 offset1:240
	v_add_f32_e32 v9, v9, v46
	v_add_f32_e32 v4, v4, v47
	;; [unrolled: 1-line block ×8, first 2 shown]
	v_mul_f32_e32 v21, v24, v21
	v_add_f32_e32 v9, v9, v33
	v_add_f32_e32 v4, v4, v32
	s_waitcnt lgkmcnt(0)
	v_mul_f32_e32 v10, v27, v17
	v_fmac_f32_e32 v21, v25, v20
	v_add_f32_e32 v9, v9, v22
	v_add_f32_e32 v4, v4, v23
	v_fma_f32 v10, v26, v16, -v10
	v_mul_f32_e32 v17, v26, v17
	v_add_f32_e32 v9, v9, v21
	v_fmac_f32_e32 v17, v27, v16
	v_add_f32_e32 v4, v4, v10
	v_mul_f32_e32 v10, v29, v19
	v_mul_f32_e32 v16, v28, v19
	v_addc_co_u32_e32 v6, vcc, 0, v6, vcc
	v_add_f32_e32 v9, v9, v17
	v_fma_f32 v10, v28, v18, -v10
	v_fmac_f32_e32 v16, v29, v18
	s_add_i32 s9, s9, 16
	v_add_co_u32_e32 v7, vcc, 0x80, v7
	v_add_f32_e32 v17, v4, v10
	v_add_f32_e32 v16, v9, v16
	s_cmp_ge_i32 s9, s11
	v_addc_co_u32_e32 v8, vcc, 0, v8, vcc
	s_barrier
	s_cbranch_scc1 .LBB208_10
.LBB208_3:                              ; =>This Inner Loop Header: Depth=1
	v_add_u32_e32 v4, s9, v1
	v_cmp_gt_i32_e32 vcc, s11, v4
	s_and_b64 s[14:15], s[0:1], vcc
	v_mov_b32_e32 v9, 0
	v_mov_b32_e32 v10, 0
	s_and_saveexec_b64 s[6:7], s[14:15]
	s_cbranch_execz .LBB208_5
; %bb.4:                                ;   in Loop: Header=BB208_3 Depth=1
	global_load_dwordx2 v[9:10], v[7:8], off offset:-4
.LBB208_5:                              ;   in Loop: Header=BB208_3 Depth=1
	s_or_b64 exec, exec, s[6:7]
	v_add_u32_e32 v4, s9, v0
	v_cmp_le_i32_e32 vcc, s11, v4
	s_or_b64 s[6:7], s[2:3], vcc
	s_waitcnt vmcnt(0)
	ds_write_b64 v13, v[9:10]
	s_and_saveexec_b64 s[14:15], s[6:7]
	s_xor_b64 s[6:7], exec, s[14:15]
; %bb.6:                                ;   in Loop: Header=BB208_3 Depth=1
	v_mov_b32_e32 v4, v3
	ds_write_b64 v15, v[3:4]
; %bb.7:                                ;   in Loop: Header=BB208_3 Depth=1
	s_andn2_saveexec_b64 s[6:7], s[6:7]
	s_cbranch_execz .LBB208_2
; %bb.8:                                ;   in Loop: Header=BB208_3 Depth=1
	global_load_dwordx2 v[9:10], v[5:6], off
	s_waitcnt vmcnt(0)
	ds_write_b64 v15, v[9:10]
	s_branch .LBB208_2
.LBB208_9:
	v_mov_b32_e32 v16, 0
	v_mov_b32_e32 v17, 0
.LBB208_10:
	v_cmp_le_i32_e32 vcc, v2, v11
	v_cmp_gt_i32_e64 s[0:1], s10, v11
	s_and_b64 s[0:1], vcc, s[0:1]
	s_and_saveexec_b64 s[2:3], s[0:1]
	s_cbranch_execz .LBB208_12
; %bb.11:
	s_load_dwordx2 s[0:1], s[4:5], 0x58
	s_load_dwordx2 s[2:3], s[4:5], 0x48
	s_load_dword s6, s[4:5], 0x50
	v_ashrrev_i32_e32 v3, 31, v2
	v_lshlrev_b64 v[2:3], 3, v[2:3]
	s_waitcnt lgkmcnt(0)
	s_mul_i32 s1, s1, s8
	s_mul_hi_u32 s4, s0, s8
	s_mul_i32 s0, s0, s8
	s_add_i32 s1, s4, s1
	s_lshl_b64 s[0:1], s[0:1], 3
	s_add_u32 s2, s2, s0
	s_addc_u32 s3, s3, s1
	v_mad_i64_i32 v[4:5], s[0:1], s6, v11, 0
	v_mov_b32_e32 v6, s3
	v_mul_f32_e32 v0, s13, v16
	v_lshlrev_b64 v[4:5], 3, v[4:5]
	v_mul_f32_e32 v1, s12, v16
	v_add_co_u32_e32 v4, vcc, s2, v4
	v_addc_co_u32_e32 v5, vcc, v6, v5, vcc
	v_add_co_u32_e32 v2, vcc, v4, v2
	v_fma_f32 v0, v17, s12, -v0
	v_fmac_f32_e32 v1, s13, v17
	v_addc_co_u32_e32 v3, vcc, v5, v3, vcc
	global_store_dwordx2 v[2:3], v[0:1], off
.LBB208_12:
	s_endpgm
	.section	.rodata,"a",@progbits
	.p2align	6, 0x0
	.amdhsa_kernel _ZL32rocblas_syrkx_herkx_small_kernelIi19rocblas_complex_numIfELi16ELb1ELb0ELc67ELc85EKS1_S1_EviT_T0_PT6_S3_lS6_S3_lS4_PT7_S3_li
		.amdhsa_group_segment_fixed_size 4096
		.amdhsa_private_segment_fixed_size 0
		.amdhsa_kernarg_size 100
		.amdhsa_user_sgpr_count 6
		.amdhsa_user_sgpr_private_segment_buffer 1
		.amdhsa_user_sgpr_dispatch_ptr 0
		.amdhsa_user_sgpr_queue_ptr 0
		.amdhsa_user_sgpr_kernarg_segment_ptr 1
		.amdhsa_user_sgpr_dispatch_id 0
		.amdhsa_user_sgpr_flat_scratch_init 0
		.amdhsa_user_sgpr_private_segment_size 0
		.amdhsa_uses_dynamic_stack 0
		.amdhsa_system_sgpr_private_segment_wavefront_offset 0
		.amdhsa_system_sgpr_workgroup_id_x 1
		.amdhsa_system_sgpr_workgroup_id_y 1
		.amdhsa_system_sgpr_workgroup_id_z 1
		.amdhsa_system_sgpr_workgroup_info 0
		.amdhsa_system_vgpr_workitem_id 1
		.amdhsa_next_free_vgpr 52
		.amdhsa_next_free_sgpr 21
		.amdhsa_reserve_vcc 1
		.amdhsa_reserve_flat_scratch 0
		.amdhsa_float_round_mode_32 0
		.amdhsa_float_round_mode_16_64 0
		.amdhsa_float_denorm_mode_32 3
		.amdhsa_float_denorm_mode_16_64 3
		.amdhsa_dx10_clamp 1
		.amdhsa_ieee_mode 1
		.amdhsa_fp16_overflow 0
		.amdhsa_exception_fp_ieee_invalid_op 0
		.amdhsa_exception_fp_denorm_src 0
		.amdhsa_exception_fp_ieee_div_zero 0
		.amdhsa_exception_fp_ieee_overflow 0
		.amdhsa_exception_fp_ieee_underflow 0
		.amdhsa_exception_fp_ieee_inexact 0
		.amdhsa_exception_int_div_zero 0
	.end_amdhsa_kernel
	.section	.text._ZL32rocblas_syrkx_herkx_small_kernelIi19rocblas_complex_numIfELi16ELb1ELb0ELc67ELc85EKS1_S1_EviT_T0_PT6_S3_lS6_S3_lS4_PT7_S3_li,"axG",@progbits,_ZL32rocblas_syrkx_herkx_small_kernelIi19rocblas_complex_numIfELi16ELb1ELb0ELc67ELc85EKS1_S1_EviT_T0_PT6_S3_lS6_S3_lS4_PT7_S3_li,comdat
.Lfunc_end208:
	.size	_ZL32rocblas_syrkx_herkx_small_kernelIi19rocblas_complex_numIfELi16ELb1ELb0ELc67ELc85EKS1_S1_EviT_T0_PT6_S3_lS6_S3_lS4_PT7_S3_li, .Lfunc_end208-_ZL32rocblas_syrkx_herkx_small_kernelIi19rocblas_complex_numIfELi16ELb1ELb0ELc67ELc85EKS1_S1_EviT_T0_PT6_S3_lS6_S3_lS4_PT7_S3_li
                                        ; -- End function
	.set _ZL32rocblas_syrkx_herkx_small_kernelIi19rocblas_complex_numIfELi16ELb1ELb0ELc67ELc85EKS1_S1_EviT_T0_PT6_S3_lS6_S3_lS4_PT7_S3_li.num_vgpr, 52
	.set _ZL32rocblas_syrkx_herkx_small_kernelIi19rocblas_complex_numIfELi16ELb1ELb0ELc67ELc85EKS1_S1_EviT_T0_PT6_S3_lS6_S3_lS4_PT7_S3_li.num_agpr, 0
	.set _ZL32rocblas_syrkx_herkx_small_kernelIi19rocblas_complex_numIfELi16ELb1ELb0ELc67ELc85EKS1_S1_EviT_T0_PT6_S3_lS6_S3_lS4_PT7_S3_li.numbered_sgpr, 21
	.set _ZL32rocblas_syrkx_herkx_small_kernelIi19rocblas_complex_numIfELi16ELb1ELb0ELc67ELc85EKS1_S1_EviT_T0_PT6_S3_lS6_S3_lS4_PT7_S3_li.num_named_barrier, 0
	.set _ZL32rocblas_syrkx_herkx_small_kernelIi19rocblas_complex_numIfELi16ELb1ELb0ELc67ELc85EKS1_S1_EviT_T0_PT6_S3_lS6_S3_lS4_PT7_S3_li.private_seg_size, 0
	.set _ZL32rocblas_syrkx_herkx_small_kernelIi19rocblas_complex_numIfELi16ELb1ELb0ELc67ELc85EKS1_S1_EviT_T0_PT6_S3_lS6_S3_lS4_PT7_S3_li.uses_vcc, 1
	.set _ZL32rocblas_syrkx_herkx_small_kernelIi19rocblas_complex_numIfELi16ELb1ELb0ELc67ELc85EKS1_S1_EviT_T0_PT6_S3_lS6_S3_lS4_PT7_S3_li.uses_flat_scratch, 0
	.set _ZL32rocblas_syrkx_herkx_small_kernelIi19rocblas_complex_numIfELi16ELb1ELb0ELc67ELc85EKS1_S1_EviT_T0_PT6_S3_lS6_S3_lS4_PT7_S3_li.has_dyn_sized_stack, 0
	.set _ZL32rocblas_syrkx_herkx_small_kernelIi19rocblas_complex_numIfELi16ELb1ELb0ELc67ELc85EKS1_S1_EviT_T0_PT6_S3_lS6_S3_lS4_PT7_S3_li.has_recursion, 0
	.set _ZL32rocblas_syrkx_herkx_small_kernelIi19rocblas_complex_numIfELi16ELb1ELb0ELc67ELc85EKS1_S1_EviT_T0_PT6_S3_lS6_S3_lS4_PT7_S3_li.has_indirect_call, 0
	.section	.AMDGPU.csdata,"",@progbits
; Kernel info:
; codeLenInByte = 1288
; TotalNumSgprs: 25
; NumVgprs: 52
; ScratchSize: 0
; MemoryBound: 1
; FloatMode: 240
; IeeeMode: 1
; LDSByteSize: 4096 bytes/workgroup (compile time only)
; SGPRBlocks: 3
; VGPRBlocks: 12
; NumSGPRsForWavesPerEU: 25
; NumVGPRsForWavesPerEU: 52
; Occupancy: 4
; WaveLimiterHint : 0
; COMPUTE_PGM_RSRC2:SCRATCH_EN: 0
; COMPUTE_PGM_RSRC2:USER_SGPR: 6
; COMPUTE_PGM_RSRC2:TRAP_HANDLER: 0
; COMPUTE_PGM_RSRC2:TGID_X_EN: 1
; COMPUTE_PGM_RSRC2:TGID_Y_EN: 1
; COMPUTE_PGM_RSRC2:TGID_Z_EN: 1
; COMPUTE_PGM_RSRC2:TIDIG_COMP_CNT: 1
	.section	.text._ZL32rocblas_syrkx_herkx_small_kernelIi19rocblas_complex_numIfELi16ELb1ELb0ELc78ELc85EKS1_S1_EviT_T0_PT6_S3_lS6_S3_lS4_PT7_S3_li,"axG",@progbits,_ZL32rocblas_syrkx_herkx_small_kernelIi19rocblas_complex_numIfELi16ELb1ELb0ELc78ELc85EKS1_S1_EviT_T0_PT6_S3_lS6_S3_lS4_PT7_S3_li,comdat
	.globl	_ZL32rocblas_syrkx_herkx_small_kernelIi19rocblas_complex_numIfELi16ELb1ELb0ELc78ELc85EKS1_S1_EviT_T0_PT6_S3_lS6_S3_lS4_PT7_S3_li ; -- Begin function _ZL32rocblas_syrkx_herkx_small_kernelIi19rocblas_complex_numIfELi16ELb1ELb0ELc78ELc85EKS1_S1_EviT_T0_PT6_S3_lS6_S3_lS4_PT7_S3_li
	.p2align	8
	.type	_ZL32rocblas_syrkx_herkx_small_kernelIi19rocblas_complex_numIfELi16ELb1ELb0ELc78ELc85EKS1_S1_EviT_T0_PT6_S3_lS6_S3_lS4_PT7_S3_li,@function
_ZL32rocblas_syrkx_herkx_small_kernelIi19rocblas_complex_numIfELi16ELb1ELb0ELc78ELc85EKS1_S1_EviT_T0_PT6_S3_lS6_S3_lS4_PT7_S3_li: ; @_ZL32rocblas_syrkx_herkx_small_kernelIi19rocblas_complex_numIfELi16ELb1ELb0ELc78ELc85EKS1_S1_EviT_T0_PT6_S3_lS6_S3_lS4_PT7_S3_li
; %bb.0:
	s_load_dwordx2 s[10:11], s[4:5], 0x0
	s_load_dwordx4 s[12:15], s[4:5], 0x8
	v_lshl_add_u32 v2, s6, 4, v0
	v_lshl_add_u32 v4, s7, 4, v1
	s_mov_b32 s9, 0
	s_waitcnt lgkmcnt(0)
	s_cmp_lt_i32 s11, 1
	v_ashrrev_i32_e32 v3, 31, v2
	v_cmp_gt_i32_e32 vcc, s10, v4
	s_cbranch_scc1 .LBB209_9
; %bb.1:
	s_load_dword s20, s[4:5], 0x18
	s_load_dword s6, s[4:5], 0x30
	s_load_dwordx2 s[2:3], s[4:5], 0x38
	s_load_dwordx4 s[16:19], s[4:5], 0x20
	v_lshlrev_b32_e32 v5, 7, v1
	v_lshlrev_b32_e32 v12, 3, v0
	s_waitcnt lgkmcnt(0)
	v_mad_i64_i32 v[6:7], s[22:23], s6, v0, 0
	s_mul_i32 s3, s3, s8
	s_mul_hi_u32 s24, s2, s8
	s_add_i32 s3, s24, s3
	s_mul_i32 s2, s2, s8
	v_lshlrev_b64 v[6:7], 3, v[6:7]
	v_add_u32_e32 v13, v12, v5
	v_add_u32_e32 v14, 0x800, v5
	v_ashrrev_i32_e32 v5, 31, v4
	s_lshl_b64 s[2:3], s[2:3], 3
	v_mov_b32_e32 v8, s3
	v_add_co_u32_e64 v9, s[2:3], s2, v6
	v_lshlrev_b64 v[5:6], 3, v[4:5]
	v_addc_co_u32_e64 v7, s[2:3], v8, v7, s[2:3]
	v_add_co_u32_e64 v5, s[2:3], v9, v5
	v_addc_co_u32_e64 v6, s[2:3], v7, v6, s[2:3]
	v_mov_b32_e32 v7, s19
	v_add_co_u32_e64 v5, s[2:3], s18, v5
	v_addc_co_u32_e64 v6, s[2:3], v7, v6, s[2:3]
	v_add_co_u32_e64 v5, s[2:3], 4, v5
	v_addc_co_u32_e64 v6, s[2:3], 0, v6, s[2:3]
	v_mad_i64_i32 v[7:8], s[2:3], s20, v1, 0
	s_mul_i32 s17, s17, s8
	s_mul_hi_u32 s18, s16, s8
	s_add_i32 s3, s18, s17
	s_mul_i32 s2, s16, s8
	v_lshlrev_b64 v[7:8], 3, v[7:8]
	s_lshl_b64 s[2:3], s[2:3], 3
	v_mov_b32_e32 v9, s3
	v_add_co_u32_e64 v10, s[2:3], s2, v7
	v_addc_co_u32_e64 v9, s[2:3], v9, v8, s[2:3]
	v_lshlrev_b64 v[7:8], 3, v[2:3]
	s_ashr_i32 s21, s20, 31
	v_add_co_u32_e64 v7, s[2:3], v10, v7
	v_addc_co_u32_e64 v8, s[2:3], v9, v8, s[2:3]
	v_mov_b32_e32 v9, s15
	v_add_co_u32_e64 v7, s[2:3], s14, v7
	s_ashr_i32 s7, s6, 31
	v_addc_co_u32_e64 v8, s[2:3], v9, v8, s[2:3]
	v_cmp_gt_i32_e64 s[0:1], s10, v2
	s_lshl_b64 s[6:7], s[6:7], 7
	s_lshl_b64 s[2:3], s[20:21], 7
	v_add_u32_e32 v15, v14, v12
	v_mov_b32_e32 v9, 0
	s_xor_b64 s[14:15], s[0:1], -1
	v_mov_b32_e32 v18, s7
	v_mov_b32_e32 v19, s3
	;; [unrolled: 1-line block ×4, first 2 shown]
	s_branch .LBB209_3
.LBB209_2:                              ;   in Loop: Header=BB209_3 Depth=1
	s_or_b64 exec, exec, s[0:1]
	s_waitcnt vmcnt(0)
	ds_write_b64 v15, v[10:11]
	s_waitcnt lgkmcnt(0)
	s_barrier
	ds_read2_b64 v[20:23], v12 offset1:16
	ds_read_b128 v[24:27], v14
	ds_read_b128 v[28:31], v14 offset:16
	ds_read2_b64 v[32:35], v12 offset0:32 offset1:48
	v_add_co_u32_e64 v5, s[0:1], s6, v5
	s_waitcnt lgkmcnt(2)
	v_mul_f32_e32 v10, v25, v21
	v_mul_f32_e32 v11, v24, v21
	v_fma_f32 v10, v24, v20, -v10
	v_fmac_f32_e32 v11, v25, v20
	v_mul_f32_e32 v20, v27, v23
	v_fma_f32 v36, v26, v22, -v20
	v_mul_f32_e32 v37, v26, v23
	s_waitcnt lgkmcnt(0)
	v_mul_f32_e32 v20, v29, v33
	v_fmac_f32_e32 v37, v27, v22
	v_fma_f32 v38, v28, v32, -v20
	ds_read2_b64 v[20:23], v12 offset0:64 offset1:80
	ds_read_b128 v[24:27], v14 offset:32
	v_mul_f32_e32 v39, v28, v33
	v_fmac_f32_e32 v39, v29, v32
	v_mul_f32_e32 v28, v31, v35
	v_mul_f32_e32 v41, v30, v35
	s_waitcnt lgkmcnt(0)
	v_mul_f32_e32 v32, v25, v21
	v_fma_f32 v40, v30, v34, -v28
	v_fmac_f32_e32 v41, v31, v34
	ds_read_b128 v[28:31], v14 offset:48
	v_fma_f32 v42, v24, v20, -v32
	ds_read2_b64 v[32:35], v12 offset0:96 offset1:112
	v_mul_f32_e32 v43, v24, v21
	v_fmac_f32_e32 v43, v25, v20
	v_mul_f32_e32 v20, v27, v23
	v_fma_f32 v44, v26, v22, -v20
	v_mul_f32_e32 v45, v26, v23
	s_waitcnt lgkmcnt(0)
	v_mul_f32_e32 v20, v29, v33
	v_fmac_f32_e32 v45, v27, v22
	v_fma_f32 v46, v28, v32, -v20
	ds_read2_b64 v[20:23], v12 offset0:128 offset1:144
	ds_read_b128 v[24:27], v14 offset:64
	v_mul_f32_e32 v47, v28, v33
	v_fmac_f32_e32 v47, v29, v32
	v_mul_f32_e32 v28, v31, v35
	v_mul_f32_e32 v49, v30, v35
	s_waitcnt lgkmcnt(0)
	v_mul_f32_e32 v32, v25, v21
	v_fma_f32 v48, v30, v34, -v28
	v_fmac_f32_e32 v49, v31, v34
	ds_read_b128 v[28:31], v14 offset:80
	v_fma_f32 v50, v24, v20, -v32
	ds_read2_b64 v[32:35], v12 offset0:160 offset1:176
	v_mul_f32_e32 v51, v24, v21
	v_fmac_f32_e32 v51, v25, v20
	v_mul_f32_e32 v20, v27, v23
	v_fma_f32 v52, v26, v22, -v20
	v_mul_f32_e32 v53, v26, v23
	s_waitcnt lgkmcnt(0)
	v_mul_f32_e32 v20, v29, v33
	v_add_f32_e32 v10, v17, v10
	v_add_f32_e32 v11, v16, v11
	v_fmac_f32_e32 v53, v27, v22
	v_fma_f32 v54, v28, v32, -v20
	ds_read2_b64 v[20:23], v12 offset0:192 offset1:208
	ds_read_b128 v[24:27], v14 offset:96
	v_add_f32_e32 v10, v10, v36
	v_add_f32_e32 v11, v11, v37
	;; [unrolled: 1-line block ×8, first 2 shown]
	v_mul_f32_e32 v55, v28, v33
	v_add_f32_e32 v10, v10, v44
	v_add_f32_e32 v11, v11, v45
	v_fmac_f32_e32 v55, v29, v32
	v_mul_f32_e32 v28, v31, v35
	v_mul_f32_e32 v57, v30, v35
	s_waitcnt lgkmcnt(0)
	v_mul_f32_e32 v32, v25, v21
	v_add_f32_e32 v10, v10, v46
	v_add_f32_e32 v11, v11, v47
	v_fma_f32 v56, v30, v34, -v28
	v_fmac_f32_e32 v57, v31, v34
	ds_read_b128 v[28:31], v14 offset:112
	v_fma_f32 v58, v24, v20, -v32
	ds_read2_b64 v[32:35], v12 offset0:224 offset1:240
	v_add_f32_e32 v10, v10, v48
	v_add_f32_e32 v11, v11, v49
	;; [unrolled: 1-line block ×6, first 2 shown]
	v_mul_f32_e32 v21, v24, v21
	v_add_f32_e32 v10, v10, v54
	v_add_f32_e32 v11, v11, v55
	v_fmac_f32_e32 v21, v25, v20
	v_mul_f32_e32 v20, v27, v23
	v_mul_f32_e32 v23, v26, v23
	v_add_f32_e32 v10, v10, v56
	v_add_f32_e32 v11, v11, v57
	v_fma_f32 v20, v26, v22, -v20
	v_fmac_f32_e32 v23, v27, v22
	s_waitcnt lgkmcnt(0)
	v_mul_f32_e32 v22, v29, v33
	v_mul_f32_e32 v24, v28, v33
	v_add_f32_e32 v10, v10, v58
	v_add_f32_e32 v11, v11, v21
	v_fma_f32 v22, v28, v32, -v22
	v_fmac_f32_e32 v24, v29, v32
	v_mul_f32_e32 v25, v31, v35
	v_mul_f32_e32 v26, v30, v35
	v_add_f32_e32 v10, v10, v20
	v_add_f32_e32 v11, v11, v23
	v_addc_co_u32_e64 v6, s[0:1], v6, v18, s[0:1]
	v_fma_f32 v25, v30, v34, -v25
	v_fmac_f32_e32 v26, v31, v34
	v_add_f32_e32 v10, v10, v22
	v_add_f32_e32 v11, v11, v24
	s_add_i32 s9, s9, 16
	v_add_co_u32_e64 v7, s[0:1], s2, v7
	v_add_f32_e32 v17, v10, v25
	v_add_f32_e32 v16, v11, v26
	s_cmp_ge_i32 s9, s11
	v_addc_co_u32_e64 v8, s[0:1], v8, v19, s[0:1]
	s_barrier
	s_cbranch_scc1 .LBB209_10
.LBB209_3:                              ; =>This Inner Loop Header: Depth=1
	v_add_u32_e32 v10, s9, v1
	v_cmp_le_i32_e64 s[0:1], s11, v10
	s_or_b64 s[0:1], s[14:15], s[0:1]
	s_and_saveexec_b64 s[16:17], s[0:1]
	s_xor_b64 s[0:1], exec, s[16:17]
; %bb.4:                                ;   in Loop: Header=BB209_3 Depth=1
	v_mov_b32_e32 v10, v9
	ds_write_b64 v13, v[9:10]
; %bb.5:                                ;   in Loop: Header=BB209_3 Depth=1
	s_andn2_saveexec_b64 s[0:1], s[0:1]
	s_cbranch_execz .LBB209_7
; %bb.6:                                ;   in Loop: Header=BB209_3 Depth=1
	global_load_dwordx2 v[10:11], v[7:8], off
	s_waitcnt vmcnt(0)
	ds_write_b64 v13, v[10:11]
.LBB209_7:                              ;   in Loop: Header=BB209_3 Depth=1
	s_or_b64 exec, exec, s[0:1]
	v_add_u32_e32 v10, s9, v0
	v_cmp_gt_i32_e64 s[0:1], s11, v10
	s_and_b64 s[16:17], vcc, s[0:1]
	v_mov_b32_e32 v10, 0
	v_mov_b32_e32 v11, 0
	s_and_saveexec_b64 s[0:1], s[16:17]
	s_cbranch_execz .LBB209_2
; %bb.8:                                ;   in Loop: Header=BB209_3 Depth=1
	global_load_dwordx2 v[10:11], v[5:6], off offset:-4
	s_branch .LBB209_2
.LBB209_9:
	v_mov_b32_e32 v16, 0
	v_mov_b32_e32 v17, 0
.LBB209_10:
	v_cmp_le_i32_e32 vcc, v2, v4
	v_cmp_gt_i32_e64 s[0:1], s10, v4
	s_and_b64 s[0:1], vcc, s[0:1]
	s_and_saveexec_b64 s[2:3], s[0:1]
	s_cbranch_execz .LBB209_12
; %bb.11:
	s_load_dwordx2 s[0:1], s[4:5], 0x58
	s_load_dwordx2 s[2:3], s[4:5], 0x48
	s_load_dword s6, s[4:5], 0x50
	v_mul_f32_e32 v5, s13, v16
	s_waitcnt lgkmcnt(0)
	s_mul_i32 s1, s1, s8
	s_mul_hi_u32 s4, s0, s8
	s_mul_i32 s0, s0, s8
	s_add_i32 s1, s4, s1
	s_lshl_b64 s[0:1], s[0:1], 3
	s_add_u32 s2, s2, s0
	s_addc_u32 s3, s3, s1
	v_mad_i64_i32 v[0:1], s[0:1], s6, v4, 0
	v_mov_b32_e32 v6, s3
	v_fma_f32 v4, v17, s12, -v5
	v_lshlrev_b64 v[0:1], 3, v[0:1]
	v_mul_f32_e32 v5, s12, v16
	v_add_co_u32_e32 v7, vcc, s2, v0
	v_addc_co_u32_e32 v6, vcc, v6, v1, vcc
	v_lshlrev_b64 v[0:1], 3, v[2:3]
	v_fmac_f32_e32 v5, s13, v17
	v_add_co_u32_e32 v0, vcc, v7, v0
	v_addc_co_u32_e32 v1, vcc, v6, v1, vcc
	global_store_dwordx2 v[0:1], v[4:5], off
.LBB209_12:
	s_endpgm
	.section	.rodata,"a",@progbits
	.p2align	6, 0x0
	.amdhsa_kernel _ZL32rocblas_syrkx_herkx_small_kernelIi19rocblas_complex_numIfELi16ELb1ELb0ELc78ELc85EKS1_S1_EviT_T0_PT6_S3_lS6_S3_lS4_PT7_S3_li
		.amdhsa_group_segment_fixed_size 4096
		.amdhsa_private_segment_fixed_size 0
		.amdhsa_kernarg_size 100
		.amdhsa_user_sgpr_count 6
		.amdhsa_user_sgpr_private_segment_buffer 1
		.amdhsa_user_sgpr_dispatch_ptr 0
		.amdhsa_user_sgpr_queue_ptr 0
		.amdhsa_user_sgpr_kernarg_segment_ptr 1
		.amdhsa_user_sgpr_dispatch_id 0
		.amdhsa_user_sgpr_flat_scratch_init 0
		.amdhsa_user_sgpr_private_segment_size 0
		.amdhsa_uses_dynamic_stack 0
		.amdhsa_system_sgpr_private_segment_wavefront_offset 0
		.amdhsa_system_sgpr_workgroup_id_x 1
		.amdhsa_system_sgpr_workgroup_id_y 1
		.amdhsa_system_sgpr_workgroup_id_z 1
		.amdhsa_system_sgpr_workgroup_info 0
		.amdhsa_system_vgpr_workitem_id 1
		.amdhsa_next_free_vgpr 59
		.amdhsa_next_free_sgpr 25
		.amdhsa_reserve_vcc 1
		.amdhsa_reserve_flat_scratch 0
		.amdhsa_float_round_mode_32 0
		.amdhsa_float_round_mode_16_64 0
		.amdhsa_float_denorm_mode_32 3
		.amdhsa_float_denorm_mode_16_64 3
		.amdhsa_dx10_clamp 1
		.amdhsa_ieee_mode 1
		.amdhsa_fp16_overflow 0
		.amdhsa_exception_fp_ieee_invalid_op 0
		.amdhsa_exception_fp_denorm_src 0
		.amdhsa_exception_fp_ieee_div_zero 0
		.amdhsa_exception_fp_ieee_overflow 0
		.amdhsa_exception_fp_ieee_underflow 0
		.amdhsa_exception_fp_ieee_inexact 0
		.amdhsa_exception_int_div_zero 0
	.end_amdhsa_kernel
	.section	.text._ZL32rocblas_syrkx_herkx_small_kernelIi19rocblas_complex_numIfELi16ELb1ELb0ELc78ELc85EKS1_S1_EviT_T0_PT6_S3_lS6_S3_lS4_PT7_S3_li,"axG",@progbits,_ZL32rocblas_syrkx_herkx_small_kernelIi19rocblas_complex_numIfELi16ELb1ELb0ELc78ELc85EKS1_S1_EviT_T0_PT6_S3_lS6_S3_lS4_PT7_S3_li,comdat
.Lfunc_end209:
	.size	_ZL32rocblas_syrkx_herkx_small_kernelIi19rocblas_complex_numIfELi16ELb1ELb0ELc78ELc85EKS1_S1_EviT_T0_PT6_S3_lS6_S3_lS4_PT7_S3_li, .Lfunc_end209-_ZL32rocblas_syrkx_herkx_small_kernelIi19rocblas_complex_numIfELi16ELb1ELb0ELc78ELc85EKS1_S1_EviT_T0_PT6_S3_lS6_S3_lS4_PT7_S3_li
                                        ; -- End function
	.set _ZL32rocblas_syrkx_herkx_small_kernelIi19rocblas_complex_numIfELi16ELb1ELb0ELc78ELc85EKS1_S1_EviT_T0_PT6_S3_lS6_S3_lS4_PT7_S3_li.num_vgpr, 59
	.set _ZL32rocblas_syrkx_herkx_small_kernelIi19rocblas_complex_numIfELi16ELb1ELb0ELc78ELc85EKS1_S1_EviT_T0_PT6_S3_lS6_S3_lS4_PT7_S3_li.num_agpr, 0
	.set _ZL32rocblas_syrkx_herkx_small_kernelIi19rocblas_complex_numIfELi16ELb1ELb0ELc78ELc85EKS1_S1_EviT_T0_PT6_S3_lS6_S3_lS4_PT7_S3_li.numbered_sgpr, 25
	.set _ZL32rocblas_syrkx_herkx_small_kernelIi19rocblas_complex_numIfELi16ELb1ELb0ELc78ELc85EKS1_S1_EviT_T0_PT6_S3_lS6_S3_lS4_PT7_S3_li.num_named_barrier, 0
	.set _ZL32rocblas_syrkx_herkx_small_kernelIi19rocblas_complex_numIfELi16ELb1ELb0ELc78ELc85EKS1_S1_EviT_T0_PT6_S3_lS6_S3_lS4_PT7_S3_li.private_seg_size, 0
	.set _ZL32rocblas_syrkx_herkx_small_kernelIi19rocblas_complex_numIfELi16ELb1ELb0ELc78ELc85EKS1_S1_EviT_T0_PT6_S3_lS6_S3_lS4_PT7_S3_li.uses_vcc, 1
	.set _ZL32rocblas_syrkx_herkx_small_kernelIi19rocblas_complex_numIfELi16ELb1ELb0ELc78ELc85EKS1_S1_EviT_T0_PT6_S3_lS6_S3_lS4_PT7_S3_li.uses_flat_scratch, 0
	.set _ZL32rocblas_syrkx_herkx_small_kernelIi19rocblas_complex_numIfELi16ELb1ELb0ELc78ELc85EKS1_S1_EviT_T0_PT6_S3_lS6_S3_lS4_PT7_S3_li.has_dyn_sized_stack, 0
	.set _ZL32rocblas_syrkx_herkx_small_kernelIi19rocblas_complex_numIfELi16ELb1ELb0ELc78ELc85EKS1_S1_EviT_T0_PT6_S3_lS6_S3_lS4_PT7_S3_li.has_recursion, 0
	.set _ZL32rocblas_syrkx_herkx_small_kernelIi19rocblas_complex_numIfELi16ELb1ELb0ELc78ELc85EKS1_S1_EviT_T0_PT6_S3_lS6_S3_lS4_PT7_S3_li.has_indirect_call, 0
	.section	.AMDGPU.csdata,"",@progbits
; Kernel info:
; codeLenInByte = 1344
; TotalNumSgprs: 29
; NumVgprs: 59
; ScratchSize: 0
; MemoryBound: 1
; FloatMode: 240
; IeeeMode: 1
; LDSByteSize: 4096 bytes/workgroup (compile time only)
; SGPRBlocks: 3
; VGPRBlocks: 14
; NumSGPRsForWavesPerEU: 29
; NumVGPRsForWavesPerEU: 59
; Occupancy: 4
; WaveLimiterHint : 0
; COMPUTE_PGM_RSRC2:SCRATCH_EN: 0
; COMPUTE_PGM_RSRC2:USER_SGPR: 6
; COMPUTE_PGM_RSRC2:TRAP_HANDLER: 0
; COMPUTE_PGM_RSRC2:TGID_X_EN: 1
; COMPUTE_PGM_RSRC2:TGID_Y_EN: 1
; COMPUTE_PGM_RSRC2:TGID_Z_EN: 1
; COMPUTE_PGM_RSRC2:TIDIG_COMP_CNT: 1
	.section	.text._ZL32rocblas_syrkx_herkx_small_kernelIi19rocblas_complex_numIfELi16ELb0ELb0ELc84ELc76EKS1_S1_EviT_T0_PT6_S3_lS6_S3_lS4_PT7_S3_li,"axG",@progbits,_ZL32rocblas_syrkx_herkx_small_kernelIi19rocblas_complex_numIfELi16ELb0ELb0ELc84ELc76EKS1_S1_EviT_T0_PT6_S3_lS6_S3_lS4_PT7_S3_li,comdat
	.globl	_ZL32rocblas_syrkx_herkx_small_kernelIi19rocblas_complex_numIfELi16ELb0ELb0ELc84ELc76EKS1_S1_EviT_T0_PT6_S3_lS6_S3_lS4_PT7_S3_li ; -- Begin function _ZL32rocblas_syrkx_herkx_small_kernelIi19rocblas_complex_numIfELi16ELb0ELb0ELc84ELc76EKS1_S1_EviT_T0_PT6_S3_lS6_S3_lS4_PT7_S3_li
	.p2align	8
	.type	_ZL32rocblas_syrkx_herkx_small_kernelIi19rocblas_complex_numIfELi16ELb0ELb0ELc84ELc76EKS1_S1_EviT_T0_PT6_S3_lS6_S3_lS4_PT7_S3_li,@function
_ZL32rocblas_syrkx_herkx_small_kernelIi19rocblas_complex_numIfELi16ELb0ELb0ELc84ELc76EKS1_S1_EviT_T0_PT6_S3_lS6_S3_lS4_PT7_S3_li: ; @_ZL32rocblas_syrkx_herkx_small_kernelIi19rocblas_complex_numIfELi16ELb0ELb0ELc84ELc76EKS1_S1_EviT_T0_PT6_S3_lS6_S3_lS4_PT7_S3_li
; %bb.0:
	s_load_dwordx2 s[20:21], s[4:5], 0x0
	s_load_dwordx4 s[16:19], s[4:5], 0x8
	s_load_dwordx4 s[12:15], s[4:5], 0x38
	s_load_dwordx2 s[10:11], s[4:5], 0x48
	v_lshl_add_u32 v2, s6, 4, v0
	s_mov_b32 s9, 0
	v_lshl_add_u32 v9, s7, 4, v1
	s_waitcnt lgkmcnt(0)
	s_cmp_lt_i32 s21, 1
	v_cmp_gt_i32_e32 vcc, s20, v2
	s_cbranch_scc1 .LBB210_11
; %bb.1:
	s_load_dword s6, s[4:5], 0x18
	s_load_dwordx4 s[24:27], s[4:5], 0x20
	s_load_dword s0, s[4:5], 0x30
	s_mul_i32 s2, s13, s8
	s_mul_hi_u32 s3, s12, s8
	s_add_i32 s3, s3, s2
	s_mul_i32 s2, s12, s8
	s_waitcnt lgkmcnt(0)
	v_mad_i64_i32 v[3:4], s[0:1], s0, v9, 0
	v_lshlrev_b32_e32 v5, 7, v1
	v_lshlrev_b32_e32 v10, 3, v0
	v_lshlrev_b64 v[3:4], 3, v[3:4]
	s_lshl_b64 s[2:3], s[2:3], 3
	v_add_u32_e32 v11, v10, v5
	v_add_u32_e32 v12, 0x800, v5
	v_mov_b32_e32 v5, s3
	v_add_co_u32_e64 v6, s[2:3], s2, v3
	v_addc_co_u32_e64 v4, s[2:3], v4, v5, s[2:3]
	v_add_co_u32_e64 v5, s[2:3], v6, v10
	v_addc_co_u32_e64 v4, s[2:3], 0, v4, s[2:3]
	v_mad_i64_i32 v[7:8], s[2:3], s6, v2, 0
	v_mov_b32_e32 v6, s27
	v_add_co_u32_e64 v5, s[2:3], s26, v5
	v_addc_co_u32_e64 v6, s[2:3], v6, v4, s[2:3]
	s_mul_i32 s2, s25, s8
	s_mul_hi_u32 s3, s24, s8
	v_lshlrev_b64 v[7:8], 3, v[7:8]
	s_add_i32 s3, s3, s2
	s_mul_i32 s2, s24, s8
	s_lshl_b64 s[2:3], s[2:3], 3
	v_mov_b32_e32 v4, s3
	v_add_co_u32_e64 v7, s[2:3], s2, v7
	v_addc_co_u32_e64 v4, s[2:3], v8, v4, s[2:3]
	v_lshlrev_b32_e32 v8, 3, v1
	v_add_co_u32_e64 v7, s[2:3], v7, v8
	v_addc_co_u32_e64 v4, s[2:3], 0, v4, s[2:3]
	v_mov_b32_e32 v8, s19
	v_add_co_u32_e64 v7, s[2:3], s18, v7
	v_cmp_gt_i32_e64 s[0:1], s20, v9
	v_addc_co_u32_e64 v8, s[2:3], v8, v4, s[2:3]
	v_add_u32_e32 v13, v12, v10
	v_mov_b32_e32 v3, 0
	s_xor_b64 s[2:3], vcc, -1
	s_xor_b64 s[0:1], s[0:1], -1
	v_mov_b32_e32 v14, 0
	v_mov_b32_e32 v15, 0
	s_branch .LBB210_3
.LBB210_2:                              ;   in Loop: Header=BB210_3 Depth=1
	s_or_b64 exec, exec, s[6:7]
	s_waitcnt lgkmcnt(0)
	s_barrier
	ds_read2_b64 v[16:19], v10 offset1:16
	ds_read_b128 v[20:23], v12
	ds_read_b128 v[24:27], v12 offset:16
	ds_read2_b64 v[28:31], v10 offset0:32 offset1:48
	v_add_co_u32_e32 v5, vcc, 0x80, v5
	s_waitcnt lgkmcnt(2)
	v_mul_f32_e32 v4, v21, v17
	v_mul_f32_e32 v32, v20, v17
	v_fma_f32 v4, v20, v16, -v4
	v_fmac_f32_e32 v32, v21, v16
	v_mul_f32_e32 v16, v23, v19
	v_fma_f32 v33, v22, v18, -v16
	v_mul_f32_e32 v34, v22, v19
	s_waitcnt lgkmcnt(0)
	v_mul_f32_e32 v16, v25, v29
	v_fmac_f32_e32 v34, v23, v18
	v_fma_f32 v35, v24, v28, -v16
	ds_read2_b64 v[16:19], v10 offset0:64 offset1:80
	ds_read_b128 v[20:23], v12 offset:32
	v_mul_f32_e32 v36, v24, v29
	v_fmac_f32_e32 v36, v25, v28
	v_mul_f32_e32 v24, v27, v31
	v_mul_f32_e32 v38, v26, v31
	s_waitcnt lgkmcnt(0)
	v_mul_f32_e32 v28, v21, v17
	v_fma_f32 v37, v26, v30, -v24
	v_fmac_f32_e32 v38, v27, v30
	ds_read_b128 v[24:27], v12 offset:48
	v_fma_f32 v39, v20, v16, -v28
	ds_read2_b64 v[28:31], v10 offset0:96 offset1:112
	v_mul_f32_e32 v40, v20, v17
	v_fmac_f32_e32 v40, v21, v16
	v_mul_f32_e32 v16, v23, v19
	v_fma_f32 v41, v22, v18, -v16
	v_mul_f32_e32 v42, v22, v19
	s_waitcnt lgkmcnt(0)
	v_mul_f32_e32 v16, v25, v29
	v_fmac_f32_e32 v42, v23, v18
	v_fma_f32 v43, v24, v28, -v16
	ds_read2_b64 v[16:19], v10 offset0:128 offset1:144
	ds_read_b128 v[20:23], v12 offset:64
	v_mul_f32_e32 v44, v24, v29
	v_fmac_f32_e32 v44, v25, v28
	v_mul_f32_e32 v24, v27, v31
	v_mul_f32_e32 v46, v26, v31
	s_waitcnt lgkmcnt(0)
	v_mul_f32_e32 v28, v21, v17
	v_fma_f32 v45, v26, v30, -v24
	v_fmac_f32_e32 v46, v27, v30
	ds_read_b128 v[24:27], v12 offset:80
	v_fma_f32 v47, v20, v16, -v28
	ds_read2_b64 v[28:31], v10 offset0:160 offset1:176
	v_mul_f32_e32 v48, v20, v17
	v_add_f32_e32 v14, v14, v32
	v_fmac_f32_e32 v48, v21, v16
	v_mul_f32_e32 v16, v23, v19
	v_add_f32_e32 v14, v14, v34
	v_fma_f32 v49, v22, v18, -v16
	v_mul_f32_e32 v50, v22, v19
	s_waitcnt lgkmcnt(0)
	v_mul_f32_e32 v16, v25, v29
	v_add_f32_e32 v14, v14, v36
	v_fmac_f32_e32 v50, v23, v18
	v_fma_f32 v51, v24, v28, -v16
	ds_read2_b64 v[16:19], v10 offset0:192 offset1:208
	ds_read_b128 v[20:23], v12 offset:96
	v_add_f32_e32 v14, v14, v38
	v_add_f32_e32 v14, v14, v40
	;; [unrolled: 1-line block ×6, first 2 shown]
	v_mul_f32_e32 v29, v24, v29
	v_mul_f32_e32 v24, v27, v31
	;; [unrolled: 1-line block ×3, first 2 shown]
	v_add_f32_e32 v4, v4, v35
	v_add_f32_e32 v14, v14, v46
	v_fmac_f32_e32 v29, v25, v28
	v_fma_f32 v28, v26, v30, -v24
	v_fmac_f32_e32 v31, v27, v30
	s_waitcnt lgkmcnt(0)
	v_mul_f32_e32 v30, v21, v17
	v_add_f32_e32 v4, v4, v37
	v_add_f32_e32 v14, v14, v48
	v_fma_f32 v30, v20, v16, -v30
	v_mul_f32_e32 v20, v20, v17
	v_add_f32_e32 v4, v4, v39
	v_add_f32_e32 v14, v14, v50
	v_fmac_f32_e32 v20, v21, v16
	v_mul_f32_e32 v16, v23, v19
	v_mul_f32_e32 v19, v22, v19
	v_add_f32_e32 v4, v4, v41
	v_add_f32_e32 v14, v14, v29
	ds_read_b128 v[24:27], v12 offset:112
	v_fma_f32 v21, v22, v18, -v16
	v_fmac_f32_e32 v19, v23, v18
	v_add_f32_e32 v4, v4, v43
	v_add_f32_e32 v18, v14, v31
	ds_read2_b64 v[14:17], v10 offset0:224 offset1:240
	v_add_f32_e32 v4, v4, v45
	v_add_f32_e32 v4, v4, v47
	;; [unrolled: 1-line block ×7, first 2 shown]
	s_waitcnt lgkmcnt(0)
	v_mul_f32_e32 v19, v25, v15
	v_mul_f32_e32 v15, v24, v15
	v_add_f32_e32 v4, v4, v30
	v_fmac_f32_e32 v15, v25, v14
	v_add_f32_e32 v4, v4, v21
	v_fma_f32 v19, v24, v14, -v19
	v_add_f32_e32 v14, v18, v15
	v_mul_f32_e32 v15, v27, v17
	v_mul_f32_e32 v17, v26, v17
	v_addc_co_u32_e32 v6, vcc, 0, v6, vcc
	v_add_f32_e32 v4, v4, v19
	v_fma_f32 v15, v26, v16, -v15
	v_fmac_f32_e32 v17, v27, v16
	s_add_i32 s9, s9, 16
	v_add_co_u32_e32 v7, vcc, 0x80, v7
	v_add_f32_e32 v15, v4, v15
	v_add_f32_e32 v14, v14, v17
	s_cmp_ge_i32 s9, s21
	v_addc_co_u32_e32 v8, vcc, 0, v8, vcc
	s_barrier
	s_cbranch_scc1 .LBB210_12
.LBB210_3:                              ; =>This Inner Loop Header: Depth=1
	v_add_u32_e32 v4, s9, v1
	v_cmp_le_i32_e32 vcc, s21, v4
	s_or_b64 s[6:7], s[2:3], vcc
	s_and_saveexec_b64 s[12:13], s[6:7]
	s_xor_b64 s[6:7], exec, s[12:13]
; %bb.4:                                ;   in Loop: Header=BB210_3 Depth=1
	v_mov_b32_e32 v4, v3
	ds_write_b64 v11, v[3:4]
; %bb.5:                                ;   in Loop: Header=BB210_3 Depth=1
	s_andn2_saveexec_b64 s[6:7], s[6:7]
	s_cbranch_execz .LBB210_7
; %bb.6:                                ;   in Loop: Header=BB210_3 Depth=1
	global_load_dwordx2 v[16:17], v[7:8], off
	s_waitcnt vmcnt(0)
	ds_write_b64 v11, v[16:17]
.LBB210_7:                              ;   in Loop: Header=BB210_3 Depth=1
	s_or_b64 exec, exec, s[6:7]
	v_add_u32_e32 v4, s9, v0
	v_cmp_le_i32_e32 vcc, s21, v4
	s_or_b64 s[6:7], s[0:1], vcc
	s_and_saveexec_b64 s[12:13], s[6:7]
	s_xor_b64 s[6:7], exec, s[12:13]
; %bb.8:                                ;   in Loop: Header=BB210_3 Depth=1
	v_mov_b32_e32 v4, v3
	ds_write_b64 v13, v[3:4]
; %bb.9:                                ;   in Loop: Header=BB210_3 Depth=1
	s_andn2_saveexec_b64 s[6:7], s[6:7]
	s_cbranch_execz .LBB210_2
; %bb.10:                               ;   in Loop: Header=BB210_3 Depth=1
	global_load_dwordx2 v[16:17], v[5:6], off
	s_waitcnt vmcnt(0)
	ds_write_b64 v13, v[16:17]
	s_branch .LBB210_2
.LBB210_11:
	v_mov_b32_e32 v14, 0
	v_mov_b32_e32 v15, 0
.LBB210_12:
	v_cmp_le_i32_e32 vcc, v9, v2
	v_cmp_gt_i32_e64 s[0:1], s20, v2
	s_and_b64 s[0:1], vcc, s[0:1]
	s_and_saveexec_b64 s[2:3], s[0:1]
	s_cbranch_execz .LBB210_14
; %bb.13:
	s_load_dwordx2 s[0:1], s[4:5], 0x58
	s_load_dword s2, s[4:5], 0x50
	v_ashrrev_i32_e32 v3, 31, v2
	s_waitcnt lgkmcnt(0)
	s_mul_i32 s1, s1, s8
	s_mul_hi_u32 s3, s0, s8
	s_add_i32 s1, s3, s1
	v_mad_i64_i32 v[0:1], s[2:3], s2, v9, 0
	s_mul_i32 s0, s0, s8
	s_lshl_b64 s[0:1], s[0:1], 3
	s_add_u32 s0, s10, s0
	v_lshlrev_b64 v[0:1], 3, v[0:1]
	s_addc_u32 s1, s11, s1
	v_mov_b32_e32 v4, s1
	v_add_co_u32_e32 v5, vcc, s0, v0
	v_addc_co_u32_e32 v4, vcc, v4, v1, vcc
	v_lshlrev_b64 v[0:1], 3, v[2:3]
	v_add_co_u32_e32 v0, vcc, v5, v0
	v_addc_co_u32_e32 v1, vcc, v4, v1, vcc
	global_load_dwordx2 v[2:3], v[0:1], off
	v_mul_f32_e32 v4, s17, v14
	v_mul_f32_e32 v5, s16, v14
	v_fma_f32 v4, v15, s16, -v4
	v_fmac_f32_e32 v5, s17, v15
	s_waitcnt vmcnt(0)
	v_mul_f32_e32 v6, s15, v3
	v_mul_f32_e32 v3, s14, v3
	v_fma_f32 v6, v2, s14, -v6
	v_fmac_f32_e32 v3, s15, v2
	v_add_f32_e32 v2, v4, v6
	v_add_f32_e32 v3, v5, v3
	global_store_dwordx2 v[0:1], v[2:3], off
.LBB210_14:
	s_endpgm
	.section	.rodata,"a",@progbits
	.p2align	6, 0x0
	.amdhsa_kernel _ZL32rocblas_syrkx_herkx_small_kernelIi19rocblas_complex_numIfELi16ELb0ELb0ELc84ELc76EKS1_S1_EviT_T0_PT6_S3_lS6_S3_lS4_PT7_S3_li
		.amdhsa_group_segment_fixed_size 4096
		.amdhsa_private_segment_fixed_size 0
		.amdhsa_kernarg_size 100
		.amdhsa_user_sgpr_count 6
		.amdhsa_user_sgpr_private_segment_buffer 1
		.amdhsa_user_sgpr_dispatch_ptr 0
		.amdhsa_user_sgpr_queue_ptr 0
		.amdhsa_user_sgpr_kernarg_segment_ptr 1
		.amdhsa_user_sgpr_dispatch_id 0
		.amdhsa_user_sgpr_flat_scratch_init 0
		.amdhsa_user_sgpr_private_segment_size 0
		.amdhsa_uses_dynamic_stack 0
		.amdhsa_system_sgpr_private_segment_wavefront_offset 0
		.amdhsa_system_sgpr_workgroup_id_x 1
		.amdhsa_system_sgpr_workgroup_id_y 1
		.amdhsa_system_sgpr_workgroup_id_z 1
		.amdhsa_system_sgpr_workgroup_info 0
		.amdhsa_system_vgpr_workitem_id 1
		.amdhsa_next_free_vgpr 52
		.amdhsa_next_free_sgpr 28
		.amdhsa_reserve_vcc 1
		.amdhsa_reserve_flat_scratch 0
		.amdhsa_float_round_mode_32 0
		.amdhsa_float_round_mode_16_64 0
		.amdhsa_float_denorm_mode_32 3
		.amdhsa_float_denorm_mode_16_64 3
		.amdhsa_dx10_clamp 1
		.amdhsa_ieee_mode 1
		.amdhsa_fp16_overflow 0
		.amdhsa_exception_fp_ieee_invalid_op 0
		.amdhsa_exception_fp_denorm_src 0
		.amdhsa_exception_fp_ieee_div_zero 0
		.amdhsa_exception_fp_ieee_overflow 0
		.amdhsa_exception_fp_ieee_underflow 0
		.amdhsa_exception_fp_ieee_inexact 0
		.amdhsa_exception_int_div_zero 0
	.end_amdhsa_kernel
	.section	.text._ZL32rocblas_syrkx_herkx_small_kernelIi19rocblas_complex_numIfELi16ELb0ELb0ELc84ELc76EKS1_S1_EviT_T0_PT6_S3_lS6_S3_lS4_PT7_S3_li,"axG",@progbits,_ZL32rocblas_syrkx_herkx_small_kernelIi19rocblas_complex_numIfELi16ELb0ELb0ELc84ELc76EKS1_S1_EviT_T0_PT6_S3_lS6_S3_lS4_PT7_S3_li,comdat
.Lfunc_end210:
	.size	_ZL32rocblas_syrkx_herkx_small_kernelIi19rocblas_complex_numIfELi16ELb0ELb0ELc84ELc76EKS1_S1_EviT_T0_PT6_S3_lS6_S3_lS4_PT7_S3_li, .Lfunc_end210-_ZL32rocblas_syrkx_herkx_small_kernelIi19rocblas_complex_numIfELi16ELb0ELb0ELc84ELc76EKS1_S1_EviT_T0_PT6_S3_lS6_S3_lS4_PT7_S3_li
                                        ; -- End function
	.set _ZL32rocblas_syrkx_herkx_small_kernelIi19rocblas_complex_numIfELi16ELb0ELb0ELc84ELc76EKS1_S1_EviT_T0_PT6_S3_lS6_S3_lS4_PT7_S3_li.num_vgpr, 52
	.set _ZL32rocblas_syrkx_herkx_small_kernelIi19rocblas_complex_numIfELi16ELb0ELb0ELc84ELc76EKS1_S1_EviT_T0_PT6_S3_lS6_S3_lS4_PT7_S3_li.num_agpr, 0
	.set _ZL32rocblas_syrkx_herkx_small_kernelIi19rocblas_complex_numIfELi16ELb0ELb0ELc84ELc76EKS1_S1_EviT_T0_PT6_S3_lS6_S3_lS4_PT7_S3_li.numbered_sgpr, 28
	.set _ZL32rocblas_syrkx_herkx_small_kernelIi19rocblas_complex_numIfELi16ELb0ELb0ELc84ELc76EKS1_S1_EviT_T0_PT6_S3_lS6_S3_lS4_PT7_S3_li.num_named_barrier, 0
	.set _ZL32rocblas_syrkx_herkx_small_kernelIi19rocblas_complex_numIfELi16ELb0ELb0ELc84ELc76EKS1_S1_EviT_T0_PT6_S3_lS6_S3_lS4_PT7_S3_li.private_seg_size, 0
	.set _ZL32rocblas_syrkx_herkx_small_kernelIi19rocblas_complex_numIfELi16ELb0ELb0ELc84ELc76EKS1_S1_EviT_T0_PT6_S3_lS6_S3_lS4_PT7_S3_li.uses_vcc, 1
	.set _ZL32rocblas_syrkx_herkx_small_kernelIi19rocblas_complex_numIfELi16ELb0ELb0ELc84ELc76EKS1_S1_EviT_T0_PT6_S3_lS6_S3_lS4_PT7_S3_li.uses_flat_scratch, 0
	.set _ZL32rocblas_syrkx_herkx_small_kernelIi19rocblas_complex_numIfELi16ELb0ELb0ELc84ELc76EKS1_S1_EviT_T0_PT6_S3_lS6_S3_lS4_PT7_S3_li.has_dyn_sized_stack, 0
	.set _ZL32rocblas_syrkx_herkx_small_kernelIi19rocblas_complex_numIfELi16ELb0ELb0ELc84ELc76EKS1_S1_EviT_T0_PT6_S3_lS6_S3_lS4_PT7_S3_li.has_recursion, 0
	.set _ZL32rocblas_syrkx_herkx_small_kernelIi19rocblas_complex_numIfELi16ELb0ELb0ELc84ELc76EKS1_S1_EviT_T0_PT6_S3_lS6_S3_lS4_PT7_S3_li.has_indirect_call, 0
	.section	.AMDGPU.csdata,"",@progbits
; Kernel info:
; codeLenInByte = 1328
; TotalNumSgprs: 32
; NumVgprs: 52
; ScratchSize: 0
; MemoryBound: 1
; FloatMode: 240
; IeeeMode: 1
; LDSByteSize: 4096 bytes/workgroup (compile time only)
; SGPRBlocks: 3
; VGPRBlocks: 12
; NumSGPRsForWavesPerEU: 32
; NumVGPRsForWavesPerEU: 52
; Occupancy: 4
; WaveLimiterHint : 0
; COMPUTE_PGM_RSRC2:SCRATCH_EN: 0
; COMPUTE_PGM_RSRC2:USER_SGPR: 6
; COMPUTE_PGM_RSRC2:TRAP_HANDLER: 0
; COMPUTE_PGM_RSRC2:TGID_X_EN: 1
; COMPUTE_PGM_RSRC2:TGID_Y_EN: 1
; COMPUTE_PGM_RSRC2:TGID_Z_EN: 1
; COMPUTE_PGM_RSRC2:TIDIG_COMP_CNT: 1
	.section	.text._ZL32rocblas_syrkx_herkx_small_kernelIi19rocblas_complex_numIfELi16ELb0ELb0ELc67ELc76EKS1_S1_EviT_T0_PT6_S3_lS6_S3_lS4_PT7_S3_li,"axG",@progbits,_ZL32rocblas_syrkx_herkx_small_kernelIi19rocblas_complex_numIfELi16ELb0ELb0ELc67ELc76EKS1_S1_EviT_T0_PT6_S3_lS6_S3_lS4_PT7_S3_li,comdat
	.globl	_ZL32rocblas_syrkx_herkx_small_kernelIi19rocblas_complex_numIfELi16ELb0ELb0ELc67ELc76EKS1_S1_EviT_T0_PT6_S3_lS6_S3_lS4_PT7_S3_li ; -- Begin function _ZL32rocblas_syrkx_herkx_small_kernelIi19rocblas_complex_numIfELi16ELb0ELb0ELc67ELc76EKS1_S1_EviT_T0_PT6_S3_lS6_S3_lS4_PT7_S3_li
	.p2align	8
	.type	_ZL32rocblas_syrkx_herkx_small_kernelIi19rocblas_complex_numIfELi16ELb0ELb0ELc67ELc76EKS1_S1_EviT_T0_PT6_S3_lS6_S3_lS4_PT7_S3_li,@function
_ZL32rocblas_syrkx_herkx_small_kernelIi19rocblas_complex_numIfELi16ELb0ELb0ELc67ELc76EKS1_S1_EviT_T0_PT6_S3_lS6_S3_lS4_PT7_S3_li: ; @_ZL32rocblas_syrkx_herkx_small_kernelIi19rocblas_complex_numIfELi16ELb0ELb0ELc67ELc76EKS1_S1_EviT_T0_PT6_S3_lS6_S3_lS4_PT7_S3_li
; %bb.0:
	s_load_dwordx2 s[20:21], s[4:5], 0x0
	s_load_dwordx4 s[16:19], s[4:5], 0x8
	s_load_dwordx4 s[12:15], s[4:5], 0x38
	s_load_dwordx2 s[10:11], s[4:5], 0x48
	v_lshl_add_u32 v2, s6, 4, v0
	s_mov_b32 s9, 0
	v_lshl_add_u32 v11, s7, 4, v1
	s_waitcnt lgkmcnt(0)
	s_cmp_lt_i32 s21, 1
	v_cmp_gt_i32_e64 s[0:1], s20, v2
	s_cbranch_scc1 .LBB211_9
; %bb.1:
	s_load_dword s6, s[4:5], 0x18
	s_load_dwordx4 s[24:27], s[4:5], 0x20
	s_load_dword s2, s[4:5], 0x30
	v_lshlrev_b32_e32 v5, 7, v1
	v_lshlrev_b32_e32 v12, 3, v0
	v_add_u32_e32 v13, v12, v5
	v_add_u32_e32 v14, 0x800, v5
	s_waitcnt lgkmcnt(0)
	v_mad_i64_i32 v[3:4], s[2:3], s2, v11, 0
	s_mul_i32 s2, s13, s8
	s_mul_hi_u32 s3, s12, s8
	v_lshlrev_b64 v[3:4], 3, v[3:4]
	s_add_i32 s3, s3, s2
	s_mul_i32 s2, s12, s8
	s_lshl_b64 s[2:3], s[2:3], 3
	v_mov_b32_e32 v5, s3
	v_add_co_u32_e64 v6, s[2:3], s2, v3
	v_addc_co_u32_e64 v4, s[2:3], v4, v5, s[2:3]
	v_add_co_u32_e64 v5, s[2:3], v6, v12
	v_addc_co_u32_e64 v4, s[2:3], 0, v4, s[2:3]
	v_mad_i64_i32 v[7:8], s[2:3], s6, v2, 0
	v_mov_b32_e32 v6, s27
	v_add_co_u32_e64 v5, s[2:3], s26, v5
	v_addc_co_u32_e64 v6, s[2:3], v6, v4, s[2:3]
	s_mul_i32 s2, s25, s8
	s_mul_hi_u32 s3, s24, s8
	v_lshlrev_b64 v[7:8], 3, v[7:8]
	s_add_i32 s3, s3, s2
	s_mul_i32 s2, s24, s8
	s_lshl_b64 s[2:3], s[2:3], 3
	v_mov_b32_e32 v4, s3
	v_add_co_u32_e64 v7, s[2:3], s2, v7
	v_addc_co_u32_e64 v4, s[2:3], v8, v4, s[2:3]
	v_lshlrev_b32_e32 v8, 3, v1
	v_add_co_u32_e64 v7, s[2:3], v7, v8
	v_addc_co_u32_e64 v4, s[2:3], 0, v4, s[2:3]
	v_mov_b32_e32 v8, s19
	v_add_co_u32_e64 v7, s[2:3], s18, v7
	v_addc_co_u32_e64 v4, s[2:3], v8, v4, s[2:3]
	v_add_co_u32_e64 v7, s[2:3], 4, v7
	v_cmp_gt_i32_e32 vcc, s20, v11
	v_addc_co_u32_e64 v8, s[2:3], 0, v4, s[2:3]
	v_add_u32_e32 v15, v14, v12
	v_mov_b32_e32 v3, 0
	s_xor_b64 s[2:3], vcc, -1
	v_mov_b32_e32 v16, 0
	v_mov_b32_e32 v17, 0
	s_branch .LBB211_3
.LBB211_2:                              ;   in Loop: Header=BB211_3 Depth=1
	s_or_b64 exec, exec, s[6:7]
	s_waitcnt lgkmcnt(0)
	s_barrier
	ds_read2_b64 v[18:21], v12 offset1:16
	ds_read_b128 v[22:25], v14
	ds_read_b128 v[26:29], v14 offset:16
	ds_read2_b64 v[30:33], v12 offset0:32 offset1:48
	v_add_co_u32_e32 v5, vcc, 0x80, v5
	s_waitcnt lgkmcnt(2)
	v_mul_f32_e32 v4, v23, v19
	v_mul_f32_e32 v9, v22, v19
	v_fma_f32 v4, v22, v18, -v4
	v_fmac_f32_e32 v9, v23, v18
	v_mul_f32_e32 v10, v25, v21
	v_mul_f32_e32 v34, v24, v21
	s_waitcnt lgkmcnt(0)
	v_mul_f32_e32 v18, v27, v31
	v_fma_f32 v10, v24, v20, -v10
	v_fmac_f32_e32 v34, v25, v20
	v_fma_f32 v35, v26, v30, -v18
	ds_read2_b64 v[18:21], v12 offset0:64 offset1:80
	ds_read_b128 v[22:25], v14 offset:32
	v_mul_f32_e32 v36, v26, v31
	v_fmac_f32_e32 v36, v27, v30
	v_mul_f32_e32 v26, v29, v33
	v_mul_f32_e32 v38, v28, v33
	s_waitcnt lgkmcnt(0)
	v_mul_f32_e32 v30, v23, v19
	v_fma_f32 v37, v28, v32, -v26
	v_fmac_f32_e32 v38, v29, v32
	ds_read_b128 v[26:29], v14 offset:48
	v_fma_f32 v39, v22, v18, -v30
	ds_read2_b64 v[30:33], v12 offset0:96 offset1:112
	v_mul_f32_e32 v40, v22, v19
	v_fmac_f32_e32 v40, v23, v18
	v_mul_f32_e32 v18, v25, v21
	v_fma_f32 v41, v24, v20, -v18
	v_mul_f32_e32 v42, v24, v21
	s_waitcnt lgkmcnt(0)
	v_mul_f32_e32 v18, v27, v31
	v_fmac_f32_e32 v42, v25, v20
	v_fma_f32 v43, v26, v30, -v18
	ds_read2_b64 v[18:21], v12 offset0:128 offset1:144
	ds_read_b128 v[22:25], v14 offset:64
	v_mul_f32_e32 v44, v26, v31
	v_fmac_f32_e32 v44, v27, v30
	v_mul_f32_e32 v26, v29, v33
	v_mul_f32_e32 v46, v28, v33
	s_waitcnt lgkmcnt(0)
	v_mul_f32_e32 v30, v23, v19
	v_fma_f32 v45, v28, v32, -v26
	v_fmac_f32_e32 v46, v29, v32
	ds_read_b128 v[26:29], v14 offset:80
	v_fma_f32 v47, v22, v18, -v30
	ds_read2_b64 v[30:33], v12 offset0:160 offset1:176
	v_mul_f32_e32 v48, v22, v19
	v_fmac_f32_e32 v48, v23, v18
	v_mul_f32_e32 v18, v25, v21
	v_fma_f32 v49, v24, v20, -v18
	v_mul_f32_e32 v50, v24, v21
	s_waitcnt lgkmcnt(0)
	v_mul_f32_e32 v18, v27, v31
	v_fmac_f32_e32 v50, v25, v20
	v_fma_f32 v51, v26, v30, -v18
	ds_read2_b64 v[18:21], v12 offset0:192 offset1:208
	ds_read_b128 v[22:25], v14 offset:96
	v_add_f32_e32 v4, v17, v4
	v_add_f32_e32 v9, v16, v9
	;; [unrolled: 1-line block ×5, first 2 shown]
	v_mul_f32_e32 v31, v26, v31
	v_mul_f32_e32 v26, v29, v33
	;; [unrolled: 1-line block ×3, first 2 shown]
	v_add_f32_e32 v9, v9, v36
	v_add_f32_e32 v4, v4, v37
	v_fmac_f32_e32 v31, v27, v30
	v_fma_f32 v30, v28, v32, -v26
	v_fmac_f32_e32 v33, v29, v32
	s_waitcnt lgkmcnt(0)
	v_mul_f32_e32 v32, v23, v19
	v_add_f32_e32 v9, v9, v38
	v_add_f32_e32 v4, v4, v39
	v_fma_f32 v32, v22, v18, -v32
	v_mul_f32_e32 v22, v22, v19
	v_add_f32_e32 v9, v9, v40
	v_add_f32_e32 v4, v4, v41
	v_fmac_f32_e32 v22, v23, v18
	v_mul_f32_e32 v18, v25, v21
	v_add_f32_e32 v9, v9, v42
	v_add_f32_e32 v4, v4, v43
	ds_read_b128 v[26:29], v14 offset:112
	v_fma_f32 v23, v24, v20, -v18
	v_add_f32_e32 v9, v9, v44
	v_add_f32_e32 v4, v4, v45
	ds_read2_b64 v[16:19], v12 offset0:224 offset1:240
	v_add_f32_e32 v9, v9, v46
	v_add_f32_e32 v4, v4, v47
	;; [unrolled: 1-line block ×8, first 2 shown]
	v_mul_f32_e32 v21, v24, v21
	v_add_f32_e32 v9, v9, v33
	v_add_f32_e32 v4, v4, v32
	s_waitcnt lgkmcnt(0)
	v_mul_f32_e32 v10, v27, v17
	v_fmac_f32_e32 v21, v25, v20
	v_add_f32_e32 v9, v9, v22
	v_add_f32_e32 v4, v4, v23
	v_fma_f32 v10, v26, v16, -v10
	v_mul_f32_e32 v17, v26, v17
	v_add_f32_e32 v9, v9, v21
	v_fmac_f32_e32 v17, v27, v16
	v_add_f32_e32 v4, v4, v10
	v_mul_f32_e32 v10, v29, v19
	v_mul_f32_e32 v16, v28, v19
	v_addc_co_u32_e32 v6, vcc, 0, v6, vcc
	v_add_f32_e32 v9, v9, v17
	v_fma_f32 v10, v28, v18, -v10
	v_fmac_f32_e32 v16, v29, v18
	s_add_i32 s9, s9, 16
	v_add_co_u32_e32 v7, vcc, 0x80, v7
	v_add_f32_e32 v17, v4, v10
	v_add_f32_e32 v16, v9, v16
	s_cmp_ge_i32 s9, s21
	v_addc_co_u32_e32 v8, vcc, 0, v8, vcc
	s_barrier
	s_cbranch_scc1 .LBB211_10
.LBB211_3:                              ; =>This Inner Loop Header: Depth=1
	v_add_u32_e32 v4, s9, v1
	v_cmp_gt_i32_e32 vcc, s21, v4
	s_and_b64 s[12:13], s[0:1], vcc
	v_mov_b32_e32 v9, 0
	v_mov_b32_e32 v10, 0
	s_and_saveexec_b64 s[6:7], s[12:13]
	s_cbranch_execz .LBB211_5
; %bb.4:                                ;   in Loop: Header=BB211_3 Depth=1
	global_load_dwordx2 v[9:10], v[7:8], off offset:-4
.LBB211_5:                              ;   in Loop: Header=BB211_3 Depth=1
	s_or_b64 exec, exec, s[6:7]
	v_add_u32_e32 v4, s9, v0
	v_cmp_le_i32_e32 vcc, s21, v4
	s_or_b64 s[6:7], s[2:3], vcc
	s_waitcnt vmcnt(0)
	ds_write_b64 v13, v[9:10]
	s_and_saveexec_b64 s[12:13], s[6:7]
	s_xor_b64 s[6:7], exec, s[12:13]
; %bb.6:                                ;   in Loop: Header=BB211_3 Depth=1
	v_mov_b32_e32 v4, v3
	ds_write_b64 v15, v[3:4]
; %bb.7:                                ;   in Loop: Header=BB211_3 Depth=1
	s_andn2_saveexec_b64 s[6:7], s[6:7]
	s_cbranch_execz .LBB211_2
; %bb.8:                                ;   in Loop: Header=BB211_3 Depth=1
	global_load_dwordx2 v[9:10], v[5:6], off
	s_waitcnt vmcnt(0)
	ds_write_b64 v15, v[9:10]
	s_branch .LBB211_2
.LBB211_9:
	v_mov_b32_e32 v16, 0
	v_mov_b32_e32 v17, 0
.LBB211_10:
	v_cmp_le_i32_e32 vcc, v11, v2
	v_cmp_gt_i32_e64 s[0:1], s20, v2
	s_and_b64 s[0:1], vcc, s[0:1]
	s_and_saveexec_b64 s[2:3], s[0:1]
	s_cbranch_execz .LBB211_12
; %bb.11:
	s_load_dwordx2 s[0:1], s[4:5], 0x58
	s_load_dword s2, s[4:5], 0x50
	v_ashrrev_i32_e32 v3, 31, v2
	s_waitcnt lgkmcnt(0)
	s_mul_i32 s1, s1, s8
	s_mul_hi_u32 s3, s0, s8
	s_add_i32 s1, s3, s1
	v_mad_i64_i32 v[0:1], s[2:3], s2, v11, 0
	s_mul_i32 s0, s0, s8
	s_lshl_b64 s[0:1], s[0:1], 3
	s_add_u32 s0, s10, s0
	v_lshlrev_b64 v[0:1], 3, v[0:1]
	s_addc_u32 s1, s11, s1
	v_mov_b32_e32 v4, s1
	v_add_co_u32_e32 v5, vcc, s0, v0
	v_addc_co_u32_e32 v4, vcc, v4, v1, vcc
	v_lshlrev_b64 v[0:1], 3, v[2:3]
	v_add_co_u32_e32 v0, vcc, v5, v0
	v_addc_co_u32_e32 v1, vcc, v4, v1, vcc
	global_load_dwordx2 v[2:3], v[0:1], off
	v_mul_f32_e32 v4, s17, v16
	v_mul_f32_e32 v5, s16, v16
	v_fma_f32 v4, v17, s16, -v4
	v_fmac_f32_e32 v5, s17, v17
	s_waitcnt vmcnt(0)
	v_mul_f32_e32 v6, s15, v3
	v_mul_f32_e32 v3, s14, v3
	v_fma_f32 v6, v2, s14, -v6
	v_fmac_f32_e32 v3, s15, v2
	v_add_f32_e32 v2, v4, v6
	v_add_f32_e32 v3, v5, v3
	global_store_dwordx2 v[0:1], v[2:3], off
.LBB211_12:
	s_endpgm
	.section	.rodata,"a",@progbits
	.p2align	6, 0x0
	.amdhsa_kernel _ZL32rocblas_syrkx_herkx_small_kernelIi19rocblas_complex_numIfELi16ELb0ELb0ELc67ELc76EKS1_S1_EviT_T0_PT6_S3_lS6_S3_lS4_PT7_S3_li
		.amdhsa_group_segment_fixed_size 4096
		.amdhsa_private_segment_fixed_size 0
		.amdhsa_kernarg_size 100
		.amdhsa_user_sgpr_count 6
		.amdhsa_user_sgpr_private_segment_buffer 1
		.amdhsa_user_sgpr_dispatch_ptr 0
		.amdhsa_user_sgpr_queue_ptr 0
		.amdhsa_user_sgpr_kernarg_segment_ptr 1
		.amdhsa_user_sgpr_dispatch_id 0
		.amdhsa_user_sgpr_flat_scratch_init 0
		.amdhsa_user_sgpr_private_segment_size 0
		.amdhsa_uses_dynamic_stack 0
		.amdhsa_system_sgpr_private_segment_wavefront_offset 0
		.amdhsa_system_sgpr_workgroup_id_x 1
		.amdhsa_system_sgpr_workgroup_id_y 1
		.amdhsa_system_sgpr_workgroup_id_z 1
		.amdhsa_system_sgpr_workgroup_info 0
		.amdhsa_system_vgpr_workitem_id 1
		.amdhsa_next_free_vgpr 52
		.amdhsa_next_free_sgpr 28
		.amdhsa_reserve_vcc 1
		.amdhsa_reserve_flat_scratch 0
		.amdhsa_float_round_mode_32 0
		.amdhsa_float_round_mode_16_64 0
		.amdhsa_float_denorm_mode_32 3
		.amdhsa_float_denorm_mode_16_64 3
		.amdhsa_dx10_clamp 1
		.amdhsa_ieee_mode 1
		.amdhsa_fp16_overflow 0
		.amdhsa_exception_fp_ieee_invalid_op 0
		.amdhsa_exception_fp_denorm_src 0
		.amdhsa_exception_fp_ieee_div_zero 0
		.amdhsa_exception_fp_ieee_overflow 0
		.amdhsa_exception_fp_ieee_underflow 0
		.amdhsa_exception_fp_ieee_inexact 0
		.amdhsa_exception_int_div_zero 0
	.end_amdhsa_kernel
	.section	.text._ZL32rocblas_syrkx_herkx_small_kernelIi19rocblas_complex_numIfELi16ELb0ELb0ELc67ELc76EKS1_S1_EviT_T0_PT6_S3_lS6_S3_lS4_PT7_S3_li,"axG",@progbits,_ZL32rocblas_syrkx_herkx_small_kernelIi19rocblas_complex_numIfELi16ELb0ELb0ELc67ELc76EKS1_S1_EviT_T0_PT6_S3_lS6_S3_lS4_PT7_S3_li,comdat
.Lfunc_end211:
	.size	_ZL32rocblas_syrkx_herkx_small_kernelIi19rocblas_complex_numIfELi16ELb0ELb0ELc67ELc76EKS1_S1_EviT_T0_PT6_S3_lS6_S3_lS4_PT7_S3_li, .Lfunc_end211-_ZL32rocblas_syrkx_herkx_small_kernelIi19rocblas_complex_numIfELi16ELb0ELb0ELc67ELc76EKS1_S1_EviT_T0_PT6_S3_lS6_S3_lS4_PT7_S3_li
                                        ; -- End function
	.set _ZL32rocblas_syrkx_herkx_small_kernelIi19rocblas_complex_numIfELi16ELb0ELb0ELc67ELc76EKS1_S1_EviT_T0_PT6_S3_lS6_S3_lS4_PT7_S3_li.num_vgpr, 52
	.set _ZL32rocblas_syrkx_herkx_small_kernelIi19rocblas_complex_numIfELi16ELb0ELb0ELc67ELc76EKS1_S1_EviT_T0_PT6_S3_lS6_S3_lS4_PT7_S3_li.num_agpr, 0
	.set _ZL32rocblas_syrkx_herkx_small_kernelIi19rocblas_complex_numIfELi16ELb0ELb0ELc67ELc76EKS1_S1_EviT_T0_PT6_S3_lS6_S3_lS4_PT7_S3_li.numbered_sgpr, 28
	.set _ZL32rocblas_syrkx_herkx_small_kernelIi19rocblas_complex_numIfELi16ELb0ELb0ELc67ELc76EKS1_S1_EviT_T0_PT6_S3_lS6_S3_lS4_PT7_S3_li.num_named_barrier, 0
	.set _ZL32rocblas_syrkx_herkx_small_kernelIi19rocblas_complex_numIfELi16ELb0ELb0ELc67ELc76EKS1_S1_EviT_T0_PT6_S3_lS6_S3_lS4_PT7_S3_li.private_seg_size, 0
	.set _ZL32rocblas_syrkx_herkx_small_kernelIi19rocblas_complex_numIfELi16ELb0ELb0ELc67ELc76EKS1_S1_EviT_T0_PT6_S3_lS6_S3_lS4_PT7_S3_li.uses_vcc, 1
	.set _ZL32rocblas_syrkx_herkx_small_kernelIi19rocblas_complex_numIfELi16ELb0ELb0ELc67ELc76EKS1_S1_EviT_T0_PT6_S3_lS6_S3_lS4_PT7_S3_li.uses_flat_scratch, 0
	.set _ZL32rocblas_syrkx_herkx_small_kernelIi19rocblas_complex_numIfELi16ELb0ELb0ELc67ELc76EKS1_S1_EviT_T0_PT6_S3_lS6_S3_lS4_PT7_S3_li.has_dyn_sized_stack, 0
	.set _ZL32rocblas_syrkx_herkx_small_kernelIi19rocblas_complex_numIfELi16ELb0ELb0ELc67ELc76EKS1_S1_EviT_T0_PT6_S3_lS6_S3_lS4_PT7_S3_li.has_recursion, 0
	.set _ZL32rocblas_syrkx_herkx_small_kernelIi19rocblas_complex_numIfELi16ELb0ELb0ELc67ELc76EKS1_S1_EviT_T0_PT6_S3_lS6_S3_lS4_PT7_S3_li.has_indirect_call, 0
	.section	.AMDGPU.csdata,"",@progbits
; Kernel info:
; codeLenInByte = 1328
; TotalNumSgprs: 32
; NumVgprs: 52
; ScratchSize: 0
; MemoryBound: 1
; FloatMode: 240
; IeeeMode: 1
; LDSByteSize: 4096 bytes/workgroup (compile time only)
; SGPRBlocks: 3
; VGPRBlocks: 12
; NumSGPRsForWavesPerEU: 32
; NumVGPRsForWavesPerEU: 52
; Occupancy: 4
; WaveLimiterHint : 0
; COMPUTE_PGM_RSRC2:SCRATCH_EN: 0
; COMPUTE_PGM_RSRC2:USER_SGPR: 6
; COMPUTE_PGM_RSRC2:TRAP_HANDLER: 0
; COMPUTE_PGM_RSRC2:TGID_X_EN: 1
; COMPUTE_PGM_RSRC2:TGID_Y_EN: 1
; COMPUTE_PGM_RSRC2:TGID_Z_EN: 1
; COMPUTE_PGM_RSRC2:TIDIG_COMP_CNT: 1
	.section	.text._ZL32rocblas_syrkx_herkx_small_kernelIi19rocblas_complex_numIfELi16ELb0ELb0ELc78ELc76EKS1_S1_EviT_T0_PT6_S3_lS6_S3_lS4_PT7_S3_li,"axG",@progbits,_ZL32rocblas_syrkx_herkx_small_kernelIi19rocblas_complex_numIfELi16ELb0ELb0ELc78ELc76EKS1_S1_EviT_T0_PT6_S3_lS6_S3_lS4_PT7_S3_li,comdat
	.globl	_ZL32rocblas_syrkx_herkx_small_kernelIi19rocblas_complex_numIfELi16ELb0ELb0ELc78ELc76EKS1_S1_EviT_T0_PT6_S3_lS6_S3_lS4_PT7_S3_li ; -- Begin function _ZL32rocblas_syrkx_herkx_small_kernelIi19rocblas_complex_numIfELi16ELb0ELb0ELc78ELc76EKS1_S1_EviT_T0_PT6_S3_lS6_S3_lS4_PT7_S3_li
	.p2align	8
	.type	_ZL32rocblas_syrkx_herkx_small_kernelIi19rocblas_complex_numIfELi16ELb0ELb0ELc78ELc76EKS1_S1_EviT_T0_PT6_S3_lS6_S3_lS4_PT7_S3_li,@function
_ZL32rocblas_syrkx_herkx_small_kernelIi19rocblas_complex_numIfELi16ELb0ELb0ELc78ELc76EKS1_S1_EviT_T0_PT6_S3_lS6_S3_lS4_PT7_S3_li: ; @_ZL32rocblas_syrkx_herkx_small_kernelIi19rocblas_complex_numIfELi16ELb0ELb0ELc78ELc76EKS1_S1_EviT_T0_PT6_S3_lS6_S3_lS4_PT7_S3_li
; %bb.0:
	s_load_dwordx2 s[24:25], s[4:5], 0x0
	s_load_dwordx4 s[16:19], s[4:5], 0x8
	s_load_dwordx4 s[12:15], s[4:5], 0x38
	s_load_dwordx2 s[10:11], s[4:5], 0x48
	v_lshl_add_u32 v2, s6, 4, v0
	s_mov_b32 s9, 0
	v_lshl_add_u32 v4, s7, 4, v1
	s_waitcnt lgkmcnt(0)
	s_cmp_lt_i32 s25, 1
	v_cmp_gt_i32_e64 s[0:1], s24, v2
	v_ashrrev_i32_e32 v3, 31, v2
	s_cbranch_scc1 .LBB212_9
; %bb.1:
	s_load_dword s26, s[4:5], 0x18
	s_load_dword s6, s[4:5], 0x30
	s_load_dwordx4 s[20:23], s[4:5], 0x20
	s_mul_i32 s13, s13, s8
	s_mul_hi_u32 s28, s12, s8
	v_lshlrev_b32_e32 v5, 7, v1
	s_waitcnt lgkmcnt(0)
	v_mad_i64_i32 v[6:7], s[2:3], s6, v0, 0
	v_lshlrev_b32_e32 v12, 3, v0
	s_add_i32 s3, s28, s13
	s_mul_i32 s2, s12, s8
	v_lshlrev_b64 v[6:7], 3, v[6:7]
	v_add_u32_e32 v13, v12, v5
	v_add_u32_e32 v14, 0x800, v5
	v_ashrrev_i32_e32 v5, 31, v4
	s_lshl_b64 s[2:3], s[2:3], 3
	v_mov_b32_e32 v8, s3
	v_add_co_u32_e64 v9, s[2:3], s2, v6
	v_lshlrev_b64 v[5:6], 3, v[4:5]
	v_addc_co_u32_e64 v7, s[2:3], v8, v7, s[2:3]
	v_add_co_u32_e64 v5, s[2:3], v9, v5
	v_addc_co_u32_e64 v6, s[2:3], v7, v6, s[2:3]
	v_mov_b32_e32 v7, s23
	v_add_co_u32_e64 v5, s[2:3], s22, v5
	v_addc_co_u32_e64 v6, s[2:3], v7, v6, s[2:3]
	v_add_co_u32_e64 v5, s[2:3], 4, v5
	v_addc_co_u32_e64 v6, s[2:3], 0, v6, s[2:3]
	v_mad_i64_i32 v[7:8], s[2:3], s26, v1, 0
	s_mul_i32 s12, s21, s8
	s_mul_hi_u32 s13, s20, s8
	s_add_i32 s3, s13, s12
	s_mul_i32 s2, s20, s8
	v_lshlrev_b64 v[7:8], 3, v[7:8]
	s_lshl_b64 s[2:3], s[2:3], 3
	v_mov_b32_e32 v9, s3
	v_add_co_u32_e64 v10, s[2:3], s2, v7
	v_addc_co_u32_e64 v9, s[2:3], v9, v8, s[2:3]
	v_lshlrev_b64 v[7:8], 3, v[2:3]
	s_ashr_i32 s27, s26, 31
	v_add_co_u32_e64 v7, s[2:3], v10, v7
	v_addc_co_u32_e64 v8, s[2:3], v9, v8, s[2:3]
	v_mov_b32_e32 v9, s19
	v_add_co_u32_e64 v7, s[2:3], s18, v7
	s_ashr_i32 s7, s6, 31
	v_addc_co_u32_e64 v8, s[2:3], v9, v8, s[2:3]
	s_lshl_b64 s[6:7], s[6:7], 7
	s_lshl_b64 s[2:3], s[26:27], 7
	v_cmp_gt_i32_e32 vcc, s24, v4
	v_add_u32_e32 v15, v14, v12
	v_mov_b32_e32 v9, 0
	s_xor_b64 s[12:13], s[0:1], -1
	v_mov_b32_e32 v18, s7
	v_mov_b32_e32 v19, s3
	;; [unrolled: 1-line block ×4, first 2 shown]
	s_branch .LBB212_3
.LBB212_2:                              ;   in Loop: Header=BB212_3 Depth=1
	s_or_b64 exec, exec, s[0:1]
	s_waitcnt vmcnt(0)
	ds_write_b64 v15, v[10:11]
	s_waitcnt lgkmcnt(0)
	s_barrier
	ds_read2_b64 v[20:23], v12 offset1:16
	ds_read_b128 v[24:27], v14
	ds_read_b128 v[28:31], v14 offset:16
	ds_read2_b64 v[32:35], v12 offset0:32 offset1:48
	v_add_co_u32_e64 v5, s[0:1], s6, v5
	s_waitcnt lgkmcnt(2)
	v_mul_f32_e32 v10, v25, v21
	v_mul_f32_e32 v11, v24, v21
	v_fma_f32 v10, v24, v20, -v10
	v_fmac_f32_e32 v11, v25, v20
	v_mul_f32_e32 v20, v27, v23
	v_fma_f32 v36, v26, v22, -v20
	v_mul_f32_e32 v37, v26, v23
	s_waitcnt lgkmcnt(0)
	v_mul_f32_e32 v20, v29, v33
	v_fmac_f32_e32 v37, v27, v22
	v_fma_f32 v38, v28, v32, -v20
	ds_read2_b64 v[20:23], v12 offset0:64 offset1:80
	ds_read_b128 v[24:27], v14 offset:32
	v_mul_f32_e32 v39, v28, v33
	v_fmac_f32_e32 v39, v29, v32
	v_mul_f32_e32 v28, v31, v35
	v_mul_f32_e32 v41, v30, v35
	s_waitcnt lgkmcnt(0)
	v_mul_f32_e32 v32, v25, v21
	v_fma_f32 v40, v30, v34, -v28
	v_fmac_f32_e32 v41, v31, v34
	ds_read_b128 v[28:31], v14 offset:48
	v_fma_f32 v42, v24, v20, -v32
	ds_read2_b64 v[32:35], v12 offset0:96 offset1:112
	v_mul_f32_e32 v43, v24, v21
	v_fmac_f32_e32 v43, v25, v20
	v_mul_f32_e32 v20, v27, v23
	v_fma_f32 v44, v26, v22, -v20
	v_mul_f32_e32 v45, v26, v23
	s_waitcnt lgkmcnt(0)
	v_mul_f32_e32 v20, v29, v33
	v_fmac_f32_e32 v45, v27, v22
	v_fma_f32 v46, v28, v32, -v20
	ds_read2_b64 v[20:23], v12 offset0:128 offset1:144
	ds_read_b128 v[24:27], v14 offset:64
	v_mul_f32_e32 v47, v28, v33
	v_fmac_f32_e32 v47, v29, v32
	v_mul_f32_e32 v28, v31, v35
	v_mul_f32_e32 v49, v30, v35
	s_waitcnt lgkmcnt(0)
	v_mul_f32_e32 v32, v25, v21
	v_fma_f32 v48, v30, v34, -v28
	v_fmac_f32_e32 v49, v31, v34
	ds_read_b128 v[28:31], v14 offset:80
	v_fma_f32 v50, v24, v20, -v32
	ds_read2_b64 v[32:35], v12 offset0:160 offset1:176
	v_mul_f32_e32 v51, v24, v21
	v_fmac_f32_e32 v51, v25, v20
	v_mul_f32_e32 v20, v27, v23
	v_fma_f32 v52, v26, v22, -v20
	v_mul_f32_e32 v53, v26, v23
	s_waitcnt lgkmcnt(0)
	v_mul_f32_e32 v20, v29, v33
	v_add_f32_e32 v10, v17, v10
	v_add_f32_e32 v11, v16, v11
	v_fmac_f32_e32 v53, v27, v22
	v_fma_f32 v54, v28, v32, -v20
	ds_read2_b64 v[20:23], v12 offset0:192 offset1:208
	ds_read_b128 v[24:27], v14 offset:96
	v_add_f32_e32 v10, v10, v36
	v_add_f32_e32 v11, v11, v37
	;; [unrolled: 1-line block ×8, first 2 shown]
	v_mul_f32_e32 v55, v28, v33
	v_add_f32_e32 v10, v10, v44
	v_add_f32_e32 v11, v11, v45
	v_fmac_f32_e32 v55, v29, v32
	v_mul_f32_e32 v28, v31, v35
	v_mul_f32_e32 v57, v30, v35
	s_waitcnt lgkmcnt(0)
	v_mul_f32_e32 v32, v25, v21
	v_add_f32_e32 v10, v10, v46
	v_add_f32_e32 v11, v11, v47
	v_fma_f32 v56, v30, v34, -v28
	v_fmac_f32_e32 v57, v31, v34
	ds_read_b128 v[28:31], v14 offset:112
	v_fma_f32 v58, v24, v20, -v32
	ds_read2_b64 v[32:35], v12 offset0:224 offset1:240
	v_add_f32_e32 v10, v10, v48
	v_add_f32_e32 v11, v11, v49
	;; [unrolled: 1-line block ×6, first 2 shown]
	v_mul_f32_e32 v21, v24, v21
	v_add_f32_e32 v10, v10, v54
	v_add_f32_e32 v11, v11, v55
	v_fmac_f32_e32 v21, v25, v20
	v_mul_f32_e32 v20, v27, v23
	v_mul_f32_e32 v23, v26, v23
	v_add_f32_e32 v10, v10, v56
	v_add_f32_e32 v11, v11, v57
	v_fma_f32 v20, v26, v22, -v20
	v_fmac_f32_e32 v23, v27, v22
	s_waitcnt lgkmcnt(0)
	v_mul_f32_e32 v22, v29, v33
	v_mul_f32_e32 v24, v28, v33
	v_add_f32_e32 v10, v10, v58
	v_add_f32_e32 v11, v11, v21
	v_fma_f32 v22, v28, v32, -v22
	v_fmac_f32_e32 v24, v29, v32
	v_mul_f32_e32 v25, v31, v35
	v_mul_f32_e32 v26, v30, v35
	v_add_f32_e32 v10, v10, v20
	v_add_f32_e32 v11, v11, v23
	v_addc_co_u32_e64 v6, s[0:1], v6, v18, s[0:1]
	v_fma_f32 v25, v30, v34, -v25
	v_fmac_f32_e32 v26, v31, v34
	v_add_f32_e32 v10, v10, v22
	v_add_f32_e32 v11, v11, v24
	s_add_i32 s9, s9, 16
	v_add_co_u32_e64 v7, s[0:1], s2, v7
	v_add_f32_e32 v17, v10, v25
	v_add_f32_e32 v16, v11, v26
	s_cmp_ge_i32 s9, s25
	v_addc_co_u32_e64 v8, s[0:1], v8, v19, s[0:1]
	s_barrier
	s_cbranch_scc1 .LBB212_10
.LBB212_3:                              ; =>This Inner Loop Header: Depth=1
	v_add_u32_e32 v10, s9, v1
	v_cmp_le_i32_e64 s[0:1], s25, v10
	s_or_b64 s[0:1], s[12:13], s[0:1]
	s_and_saveexec_b64 s[18:19], s[0:1]
	s_xor_b64 s[0:1], exec, s[18:19]
; %bb.4:                                ;   in Loop: Header=BB212_3 Depth=1
	v_mov_b32_e32 v10, v9
	ds_write_b64 v13, v[9:10]
; %bb.5:                                ;   in Loop: Header=BB212_3 Depth=1
	s_andn2_saveexec_b64 s[0:1], s[0:1]
	s_cbranch_execz .LBB212_7
; %bb.6:                                ;   in Loop: Header=BB212_3 Depth=1
	global_load_dwordx2 v[10:11], v[7:8], off
	s_waitcnt vmcnt(0)
	ds_write_b64 v13, v[10:11]
.LBB212_7:                              ;   in Loop: Header=BB212_3 Depth=1
	s_or_b64 exec, exec, s[0:1]
	v_add_u32_e32 v10, s9, v0
	v_cmp_gt_i32_e64 s[0:1], s25, v10
	s_and_b64 s[18:19], vcc, s[0:1]
	v_mov_b32_e32 v10, 0
	v_mov_b32_e32 v11, 0
	s_and_saveexec_b64 s[0:1], s[18:19]
	s_cbranch_execz .LBB212_2
; %bb.8:                                ;   in Loop: Header=BB212_3 Depth=1
	global_load_dwordx2 v[10:11], v[5:6], off offset:-4
	s_branch .LBB212_2
.LBB212_9:
	v_mov_b32_e32 v16, 0
	v_mov_b32_e32 v17, 0
.LBB212_10:
	v_cmp_le_i32_e32 vcc, v4, v2
	v_cmp_gt_i32_e64 s[0:1], s24, v2
	s_and_b64 s[0:1], vcc, s[0:1]
	s_and_saveexec_b64 s[2:3], s[0:1]
	s_cbranch_execz .LBB212_12
; %bb.11:
	s_load_dwordx2 s[0:1], s[4:5], 0x58
	s_load_dword s2, s[4:5], 0x50
	s_waitcnt lgkmcnt(0)
	s_mul_i32 s1, s1, s8
	s_mul_hi_u32 s3, s0, s8
	s_add_i32 s1, s3, s1
	v_mad_i64_i32 v[0:1], s[2:3], s2, v4, 0
	s_mul_i32 s0, s0, s8
	s_lshl_b64 s[0:1], s[0:1], 3
	s_add_u32 s0, s10, s0
	v_lshlrev_b64 v[0:1], 3, v[0:1]
	s_addc_u32 s1, s11, s1
	v_mov_b32_e32 v4, s1
	v_add_co_u32_e32 v5, vcc, s0, v0
	v_addc_co_u32_e32 v4, vcc, v4, v1, vcc
	v_lshlrev_b64 v[0:1], 3, v[2:3]
	v_add_co_u32_e32 v0, vcc, v5, v0
	v_addc_co_u32_e32 v1, vcc, v4, v1, vcc
	global_load_dwordx2 v[2:3], v[0:1], off
	v_mul_f32_e32 v4, s17, v16
	v_mul_f32_e32 v5, s16, v16
	v_fma_f32 v4, v17, s16, -v4
	v_fmac_f32_e32 v5, s17, v17
	s_waitcnt vmcnt(0)
	v_mul_f32_e32 v6, s15, v3
	v_mul_f32_e32 v3, s14, v3
	v_fma_f32 v6, v2, s14, -v6
	v_fmac_f32_e32 v3, s15, v2
	v_add_f32_e32 v2, v4, v6
	v_add_f32_e32 v3, v5, v3
	global_store_dwordx2 v[0:1], v[2:3], off
.LBB212_12:
	s_endpgm
	.section	.rodata,"a",@progbits
	.p2align	6, 0x0
	.amdhsa_kernel _ZL32rocblas_syrkx_herkx_small_kernelIi19rocblas_complex_numIfELi16ELb0ELb0ELc78ELc76EKS1_S1_EviT_T0_PT6_S3_lS6_S3_lS4_PT7_S3_li
		.amdhsa_group_segment_fixed_size 4096
		.amdhsa_private_segment_fixed_size 0
		.amdhsa_kernarg_size 100
		.amdhsa_user_sgpr_count 6
		.amdhsa_user_sgpr_private_segment_buffer 1
		.amdhsa_user_sgpr_dispatch_ptr 0
		.amdhsa_user_sgpr_queue_ptr 0
		.amdhsa_user_sgpr_kernarg_segment_ptr 1
		.amdhsa_user_sgpr_dispatch_id 0
		.amdhsa_user_sgpr_flat_scratch_init 0
		.amdhsa_user_sgpr_private_segment_size 0
		.amdhsa_uses_dynamic_stack 0
		.amdhsa_system_sgpr_private_segment_wavefront_offset 0
		.amdhsa_system_sgpr_workgroup_id_x 1
		.amdhsa_system_sgpr_workgroup_id_y 1
		.amdhsa_system_sgpr_workgroup_id_z 1
		.amdhsa_system_sgpr_workgroup_info 0
		.amdhsa_system_vgpr_workitem_id 1
		.amdhsa_next_free_vgpr 59
		.amdhsa_next_free_sgpr 29
		.amdhsa_reserve_vcc 1
		.amdhsa_reserve_flat_scratch 0
		.amdhsa_float_round_mode_32 0
		.amdhsa_float_round_mode_16_64 0
		.amdhsa_float_denorm_mode_32 3
		.amdhsa_float_denorm_mode_16_64 3
		.amdhsa_dx10_clamp 1
		.amdhsa_ieee_mode 1
		.amdhsa_fp16_overflow 0
		.amdhsa_exception_fp_ieee_invalid_op 0
		.amdhsa_exception_fp_denorm_src 0
		.amdhsa_exception_fp_ieee_div_zero 0
		.amdhsa_exception_fp_ieee_overflow 0
		.amdhsa_exception_fp_ieee_underflow 0
		.amdhsa_exception_fp_ieee_inexact 0
		.amdhsa_exception_int_div_zero 0
	.end_amdhsa_kernel
	.section	.text._ZL32rocblas_syrkx_herkx_small_kernelIi19rocblas_complex_numIfELi16ELb0ELb0ELc78ELc76EKS1_S1_EviT_T0_PT6_S3_lS6_S3_lS4_PT7_S3_li,"axG",@progbits,_ZL32rocblas_syrkx_herkx_small_kernelIi19rocblas_complex_numIfELi16ELb0ELb0ELc78ELc76EKS1_S1_EviT_T0_PT6_S3_lS6_S3_lS4_PT7_S3_li,comdat
.Lfunc_end212:
	.size	_ZL32rocblas_syrkx_herkx_small_kernelIi19rocblas_complex_numIfELi16ELb0ELb0ELc78ELc76EKS1_S1_EviT_T0_PT6_S3_lS6_S3_lS4_PT7_S3_li, .Lfunc_end212-_ZL32rocblas_syrkx_herkx_small_kernelIi19rocblas_complex_numIfELi16ELb0ELb0ELc78ELc76EKS1_S1_EviT_T0_PT6_S3_lS6_S3_lS4_PT7_S3_li
                                        ; -- End function
	.set _ZL32rocblas_syrkx_herkx_small_kernelIi19rocblas_complex_numIfELi16ELb0ELb0ELc78ELc76EKS1_S1_EviT_T0_PT6_S3_lS6_S3_lS4_PT7_S3_li.num_vgpr, 59
	.set _ZL32rocblas_syrkx_herkx_small_kernelIi19rocblas_complex_numIfELi16ELb0ELb0ELc78ELc76EKS1_S1_EviT_T0_PT6_S3_lS6_S3_lS4_PT7_S3_li.num_agpr, 0
	.set _ZL32rocblas_syrkx_herkx_small_kernelIi19rocblas_complex_numIfELi16ELb0ELb0ELc78ELc76EKS1_S1_EviT_T0_PT6_S3_lS6_S3_lS4_PT7_S3_li.numbered_sgpr, 29
	.set _ZL32rocblas_syrkx_herkx_small_kernelIi19rocblas_complex_numIfELi16ELb0ELb0ELc78ELc76EKS1_S1_EviT_T0_PT6_S3_lS6_S3_lS4_PT7_S3_li.num_named_barrier, 0
	.set _ZL32rocblas_syrkx_herkx_small_kernelIi19rocblas_complex_numIfELi16ELb0ELb0ELc78ELc76EKS1_S1_EviT_T0_PT6_S3_lS6_S3_lS4_PT7_S3_li.private_seg_size, 0
	.set _ZL32rocblas_syrkx_herkx_small_kernelIi19rocblas_complex_numIfELi16ELb0ELb0ELc78ELc76EKS1_S1_EviT_T0_PT6_S3_lS6_S3_lS4_PT7_S3_li.uses_vcc, 1
	.set _ZL32rocblas_syrkx_herkx_small_kernelIi19rocblas_complex_numIfELi16ELb0ELb0ELc78ELc76EKS1_S1_EviT_T0_PT6_S3_lS6_S3_lS4_PT7_S3_li.uses_flat_scratch, 0
	.set _ZL32rocblas_syrkx_herkx_small_kernelIi19rocblas_complex_numIfELi16ELb0ELb0ELc78ELc76EKS1_S1_EviT_T0_PT6_S3_lS6_S3_lS4_PT7_S3_li.has_dyn_sized_stack, 0
	.set _ZL32rocblas_syrkx_herkx_small_kernelIi19rocblas_complex_numIfELi16ELb0ELb0ELc78ELc76EKS1_S1_EviT_T0_PT6_S3_lS6_S3_lS4_PT7_S3_li.has_recursion, 0
	.set _ZL32rocblas_syrkx_herkx_small_kernelIi19rocblas_complex_numIfELi16ELb0ELb0ELc78ELc76EKS1_S1_EviT_T0_PT6_S3_lS6_S3_lS4_PT7_S3_li.has_indirect_call, 0
	.section	.AMDGPU.csdata,"",@progbits
; Kernel info:
; codeLenInByte = 1384
; TotalNumSgprs: 33
; NumVgprs: 59
; ScratchSize: 0
; MemoryBound: 1
; FloatMode: 240
; IeeeMode: 1
; LDSByteSize: 4096 bytes/workgroup (compile time only)
; SGPRBlocks: 4
; VGPRBlocks: 14
; NumSGPRsForWavesPerEU: 33
; NumVGPRsForWavesPerEU: 59
; Occupancy: 4
; WaveLimiterHint : 0
; COMPUTE_PGM_RSRC2:SCRATCH_EN: 0
; COMPUTE_PGM_RSRC2:USER_SGPR: 6
; COMPUTE_PGM_RSRC2:TRAP_HANDLER: 0
; COMPUTE_PGM_RSRC2:TGID_X_EN: 1
; COMPUTE_PGM_RSRC2:TGID_Y_EN: 1
; COMPUTE_PGM_RSRC2:TGID_Z_EN: 1
; COMPUTE_PGM_RSRC2:TIDIG_COMP_CNT: 1
	.section	.text._ZL32rocblas_syrkx_herkx_small_kernelIi19rocblas_complex_numIfELi16ELb0ELb0ELc84ELc85EKS1_S1_EviT_T0_PT6_S3_lS6_S3_lS4_PT7_S3_li,"axG",@progbits,_ZL32rocblas_syrkx_herkx_small_kernelIi19rocblas_complex_numIfELi16ELb0ELb0ELc84ELc85EKS1_S1_EviT_T0_PT6_S3_lS6_S3_lS4_PT7_S3_li,comdat
	.globl	_ZL32rocblas_syrkx_herkx_small_kernelIi19rocblas_complex_numIfELi16ELb0ELb0ELc84ELc85EKS1_S1_EviT_T0_PT6_S3_lS6_S3_lS4_PT7_S3_li ; -- Begin function _ZL32rocblas_syrkx_herkx_small_kernelIi19rocblas_complex_numIfELi16ELb0ELb0ELc84ELc85EKS1_S1_EviT_T0_PT6_S3_lS6_S3_lS4_PT7_S3_li
	.p2align	8
	.type	_ZL32rocblas_syrkx_herkx_small_kernelIi19rocblas_complex_numIfELi16ELb0ELb0ELc84ELc85EKS1_S1_EviT_T0_PT6_S3_lS6_S3_lS4_PT7_S3_li,@function
_ZL32rocblas_syrkx_herkx_small_kernelIi19rocblas_complex_numIfELi16ELb0ELb0ELc84ELc85EKS1_S1_EviT_T0_PT6_S3_lS6_S3_lS4_PT7_S3_li: ; @_ZL32rocblas_syrkx_herkx_small_kernelIi19rocblas_complex_numIfELi16ELb0ELb0ELc84ELc85EKS1_S1_EviT_T0_PT6_S3_lS6_S3_lS4_PT7_S3_li
; %bb.0:
	s_load_dwordx2 s[20:21], s[4:5], 0x0
	s_load_dwordx4 s[16:19], s[4:5], 0x8
	s_load_dwordx4 s[12:15], s[4:5], 0x38
	s_load_dwordx2 s[10:11], s[4:5], 0x48
	v_lshl_add_u32 v9, s7, 4, v1
	s_mov_b32 s9, 0
	v_lshl_add_u32 v2, s6, 4, v0
	s_waitcnt lgkmcnt(0)
	s_cmp_lt_i32 s21, 1
	v_cmp_gt_i32_e32 vcc, s20, v9
	s_cbranch_scc1 .LBB213_11
; %bb.1:
	s_load_dword s6, s[4:5], 0x18
	s_load_dwordx4 s[24:27], s[4:5], 0x20
	s_load_dword s2, s[4:5], 0x30
	v_lshlrev_b32_e32 v5, 7, v1
	v_lshlrev_b32_e32 v10, 3, v0
	v_add_u32_e32 v11, v10, v5
	v_add_u32_e32 v12, 0x800, v5
	s_waitcnt lgkmcnt(0)
	v_mad_i64_i32 v[3:4], s[2:3], s2, v9, 0
	s_mul_i32 s2, s13, s8
	s_mul_hi_u32 s3, s12, s8
	v_lshlrev_b64 v[3:4], 3, v[3:4]
	s_add_i32 s3, s3, s2
	s_mul_i32 s2, s12, s8
	s_lshl_b64 s[2:3], s[2:3], 3
	v_mov_b32_e32 v5, s3
	v_add_co_u32_e64 v6, s[2:3], s2, v3
	v_addc_co_u32_e64 v4, s[2:3], v4, v5, s[2:3]
	v_add_co_u32_e64 v5, s[2:3], v6, v10
	v_addc_co_u32_e64 v4, s[2:3], 0, v4, s[2:3]
	v_mad_i64_i32 v[7:8], s[2:3], s6, v2, 0
	v_mov_b32_e32 v6, s27
	v_add_co_u32_e64 v5, s[2:3], s26, v5
	v_addc_co_u32_e64 v6, s[2:3], v6, v4, s[2:3]
	s_mul_i32 s2, s25, s8
	s_mul_hi_u32 s3, s24, s8
	v_lshlrev_b64 v[7:8], 3, v[7:8]
	s_add_i32 s3, s3, s2
	s_mul_i32 s2, s24, s8
	s_lshl_b64 s[2:3], s[2:3], 3
	v_mov_b32_e32 v4, s3
	v_add_co_u32_e64 v7, s[2:3], s2, v7
	v_addc_co_u32_e64 v4, s[2:3], v8, v4, s[2:3]
	v_lshlrev_b32_e32 v8, 3, v1
	v_add_co_u32_e64 v7, s[2:3], v7, v8
	v_addc_co_u32_e64 v4, s[2:3], 0, v4, s[2:3]
	v_mov_b32_e32 v8, s19
	v_add_co_u32_e64 v7, s[2:3], s18, v7
	v_cmp_gt_i32_e64 s[0:1], s20, v2
	v_addc_co_u32_e64 v8, s[2:3], v8, v4, s[2:3]
	v_add_u32_e32 v13, v12, v10
	v_mov_b32_e32 v3, 0
	s_xor_b64 s[0:1], s[0:1], -1
	s_xor_b64 s[2:3], vcc, -1
	v_mov_b32_e32 v14, 0
	v_mov_b32_e32 v15, 0
	s_branch .LBB213_3
.LBB213_2:                              ;   in Loop: Header=BB213_3 Depth=1
	s_or_b64 exec, exec, s[6:7]
	s_waitcnt lgkmcnt(0)
	s_barrier
	ds_read2_b64 v[16:19], v10 offset1:16
	ds_read_b128 v[20:23], v12
	ds_read_b128 v[24:27], v12 offset:16
	ds_read2_b64 v[28:31], v10 offset0:32 offset1:48
	v_add_co_u32_e32 v5, vcc, 0x80, v5
	s_waitcnt lgkmcnt(2)
	v_mul_f32_e32 v4, v21, v17
	v_mul_f32_e32 v32, v20, v17
	v_fma_f32 v4, v20, v16, -v4
	v_fmac_f32_e32 v32, v21, v16
	v_mul_f32_e32 v16, v23, v19
	v_fma_f32 v33, v22, v18, -v16
	v_mul_f32_e32 v34, v22, v19
	s_waitcnt lgkmcnt(0)
	v_mul_f32_e32 v16, v25, v29
	v_fmac_f32_e32 v34, v23, v18
	v_fma_f32 v35, v24, v28, -v16
	ds_read2_b64 v[16:19], v10 offset0:64 offset1:80
	ds_read_b128 v[20:23], v12 offset:32
	v_mul_f32_e32 v36, v24, v29
	v_fmac_f32_e32 v36, v25, v28
	v_mul_f32_e32 v24, v27, v31
	v_mul_f32_e32 v38, v26, v31
	s_waitcnt lgkmcnt(0)
	v_mul_f32_e32 v28, v21, v17
	v_fma_f32 v37, v26, v30, -v24
	v_fmac_f32_e32 v38, v27, v30
	ds_read_b128 v[24:27], v12 offset:48
	v_fma_f32 v39, v20, v16, -v28
	ds_read2_b64 v[28:31], v10 offset0:96 offset1:112
	v_mul_f32_e32 v40, v20, v17
	v_fmac_f32_e32 v40, v21, v16
	v_mul_f32_e32 v16, v23, v19
	v_fma_f32 v41, v22, v18, -v16
	v_mul_f32_e32 v42, v22, v19
	s_waitcnt lgkmcnt(0)
	v_mul_f32_e32 v16, v25, v29
	v_fmac_f32_e32 v42, v23, v18
	v_fma_f32 v43, v24, v28, -v16
	ds_read2_b64 v[16:19], v10 offset0:128 offset1:144
	ds_read_b128 v[20:23], v12 offset:64
	v_mul_f32_e32 v44, v24, v29
	v_fmac_f32_e32 v44, v25, v28
	v_mul_f32_e32 v24, v27, v31
	v_mul_f32_e32 v46, v26, v31
	s_waitcnt lgkmcnt(0)
	v_mul_f32_e32 v28, v21, v17
	v_fma_f32 v45, v26, v30, -v24
	v_fmac_f32_e32 v46, v27, v30
	ds_read_b128 v[24:27], v12 offset:80
	v_fma_f32 v47, v20, v16, -v28
	ds_read2_b64 v[28:31], v10 offset0:160 offset1:176
	v_mul_f32_e32 v48, v20, v17
	v_add_f32_e32 v14, v14, v32
	v_fmac_f32_e32 v48, v21, v16
	v_mul_f32_e32 v16, v23, v19
	v_add_f32_e32 v14, v14, v34
	v_fma_f32 v49, v22, v18, -v16
	v_mul_f32_e32 v50, v22, v19
	s_waitcnt lgkmcnt(0)
	v_mul_f32_e32 v16, v25, v29
	v_add_f32_e32 v14, v14, v36
	v_fmac_f32_e32 v50, v23, v18
	v_fma_f32 v51, v24, v28, -v16
	ds_read2_b64 v[16:19], v10 offset0:192 offset1:208
	ds_read_b128 v[20:23], v12 offset:96
	v_add_f32_e32 v14, v14, v38
	v_add_f32_e32 v14, v14, v40
	;; [unrolled: 1-line block ×6, first 2 shown]
	v_mul_f32_e32 v29, v24, v29
	v_mul_f32_e32 v24, v27, v31
	;; [unrolled: 1-line block ×3, first 2 shown]
	v_add_f32_e32 v4, v4, v35
	v_add_f32_e32 v14, v14, v46
	v_fmac_f32_e32 v29, v25, v28
	v_fma_f32 v28, v26, v30, -v24
	v_fmac_f32_e32 v31, v27, v30
	s_waitcnt lgkmcnt(0)
	v_mul_f32_e32 v30, v21, v17
	v_add_f32_e32 v4, v4, v37
	v_add_f32_e32 v14, v14, v48
	v_fma_f32 v30, v20, v16, -v30
	v_mul_f32_e32 v20, v20, v17
	v_add_f32_e32 v4, v4, v39
	v_add_f32_e32 v14, v14, v50
	v_fmac_f32_e32 v20, v21, v16
	v_mul_f32_e32 v16, v23, v19
	v_mul_f32_e32 v19, v22, v19
	v_add_f32_e32 v4, v4, v41
	v_add_f32_e32 v14, v14, v29
	ds_read_b128 v[24:27], v12 offset:112
	v_fma_f32 v21, v22, v18, -v16
	v_fmac_f32_e32 v19, v23, v18
	v_add_f32_e32 v4, v4, v43
	v_add_f32_e32 v18, v14, v31
	ds_read2_b64 v[14:17], v10 offset0:224 offset1:240
	v_add_f32_e32 v4, v4, v45
	v_add_f32_e32 v4, v4, v47
	;; [unrolled: 1-line block ×7, first 2 shown]
	s_waitcnt lgkmcnt(0)
	v_mul_f32_e32 v19, v25, v15
	v_mul_f32_e32 v15, v24, v15
	v_add_f32_e32 v4, v4, v30
	v_fmac_f32_e32 v15, v25, v14
	v_add_f32_e32 v4, v4, v21
	v_fma_f32 v19, v24, v14, -v19
	v_add_f32_e32 v14, v18, v15
	v_mul_f32_e32 v15, v27, v17
	v_mul_f32_e32 v17, v26, v17
	v_addc_co_u32_e32 v6, vcc, 0, v6, vcc
	v_add_f32_e32 v4, v4, v19
	v_fma_f32 v15, v26, v16, -v15
	v_fmac_f32_e32 v17, v27, v16
	s_add_i32 s9, s9, 16
	v_add_co_u32_e32 v7, vcc, 0x80, v7
	v_add_f32_e32 v15, v4, v15
	v_add_f32_e32 v14, v14, v17
	s_cmp_ge_i32 s9, s21
	v_addc_co_u32_e32 v8, vcc, 0, v8, vcc
	s_barrier
	s_cbranch_scc1 .LBB213_12
.LBB213_3:                              ; =>This Inner Loop Header: Depth=1
	v_add_u32_e32 v4, s9, v1
	v_cmp_le_i32_e32 vcc, s21, v4
	s_or_b64 s[6:7], s[0:1], vcc
	s_and_saveexec_b64 s[12:13], s[6:7]
	s_xor_b64 s[6:7], exec, s[12:13]
; %bb.4:                                ;   in Loop: Header=BB213_3 Depth=1
	v_mov_b32_e32 v4, v3
	ds_write_b64 v11, v[3:4]
; %bb.5:                                ;   in Loop: Header=BB213_3 Depth=1
	s_andn2_saveexec_b64 s[6:7], s[6:7]
	s_cbranch_execz .LBB213_7
; %bb.6:                                ;   in Loop: Header=BB213_3 Depth=1
	global_load_dwordx2 v[16:17], v[7:8], off
	s_waitcnt vmcnt(0)
	ds_write_b64 v11, v[16:17]
.LBB213_7:                              ;   in Loop: Header=BB213_3 Depth=1
	s_or_b64 exec, exec, s[6:7]
	v_add_u32_e32 v4, s9, v0
	v_cmp_le_i32_e32 vcc, s21, v4
	s_or_b64 s[6:7], s[2:3], vcc
	s_and_saveexec_b64 s[12:13], s[6:7]
	s_xor_b64 s[6:7], exec, s[12:13]
; %bb.8:                                ;   in Loop: Header=BB213_3 Depth=1
	v_mov_b32_e32 v4, v3
	ds_write_b64 v13, v[3:4]
; %bb.9:                                ;   in Loop: Header=BB213_3 Depth=1
	s_andn2_saveexec_b64 s[6:7], s[6:7]
	s_cbranch_execz .LBB213_2
; %bb.10:                               ;   in Loop: Header=BB213_3 Depth=1
	global_load_dwordx2 v[16:17], v[5:6], off
	s_waitcnt vmcnt(0)
	ds_write_b64 v13, v[16:17]
	s_branch .LBB213_2
.LBB213_11:
	v_mov_b32_e32 v14, 0
	v_mov_b32_e32 v15, 0
.LBB213_12:
	v_cmp_le_i32_e32 vcc, v2, v9
	v_cmp_gt_i32_e64 s[0:1], s20, v9
	s_and_b64 s[0:1], vcc, s[0:1]
	s_and_saveexec_b64 s[2:3], s[0:1]
	s_cbranch_execz .LBB213_14
; %bb.13:
	s_load_dwordx2 s[0:1], s[4:5], 0x58
	s_load_dword s2, s[4:5], 0x50
	v_ashrrev_i32_e32 v3, 31, v2
	s_waitcnt lgkmcnt(0)
	s_mul_i32 s1, s1, s8
	s_mul_hi_u32 s3, s0, s8
	s_add_i32 s1, s3, s1
	v_mad_i64_i32 v[0:1], s[2:3], s2, v9, 0
	s_mul_i32 s0, s0, s8
	s_lshl_b64 s[0:1], s[0:1], 3
	s_add_u32 s0, s10, s0
	v_lshlrev_b64 v[0:1], 3, v[0:1]
	s_addc_u32 s1, s11, s1
	v_mov_b32_e32 v4, s1
	v_add_co_u32_e32 v5, vcc, s0, v0
	v_addc_co_u32_e32 v4, vcc, v4, v1, vcc
	v_lshlrev_b64 v[0:1], 3, v[2:3]
	v_add_co_u32_e32 v0, vcc, v5, v0
	v_addc_co_u32_e32 v1, vcc, v4, v1, vcc
	global_load_dwordx2 v[2:3], v[0:1], off
	v_mul_f32_e32 v4, s17, v14
	v_mul_f32_e32 v5, s16, v14
	v_fma_f32 v4, v15, s16, -v4
	v_fmac_f32_e32 v5, s17, v15
	s_waitcnt vmcnt(0)
	v_mul_f32_e32 v6, s15, v3
	v_mul_f32_e32 v3, s14, v3
	v_fma_f32 v6, v2, s14, -v6
	v_fmac_f32_e32 v3, s15, v2
	v_add_f32_e32 v2, v4, v6
	v_add_f32_e32 v3, v5, v3
	global_store_dwordx2 v[0:1], v[2:3], off
.LBB213_14:
	s_endpgm
	.section	.rodata,"a",@progbits
	.p2align	6, 0x0
	.amdhsa_kernel _ZL32rocblas_syrkx_herkx_small_kernelIi19rocblas_complex_numIfELi16ELb0ELb0ELc84ELc85EKS1_S1_EviT_T0_PT6_S3_lS6_S3_lS4_PT7_S3_li
		.amdhsa_group_segment_fixed_size 4096
		.amdhsa_private_segment_fixed_size 0
		.amdhsa_kernarg_size 100
		.amdhsa_user_sgpr_count 6
		.amdhsa_user_sgpr_private_segment_buffer 1
		.amdhsa_user_sgpr_dispatch_ptr 0
		.amdhsa_user_sgpr_queue_ptr 0
		.amdhsa_user_sgpr_kernarg_segment_ptr 1
		.amdhsa_user_sgpr_dispatch_id 0
		.amdhsa_user_sgpr_flat_scratch_init 0
		.amdhsa_user_sgpr_private_segment_size 0
		.amdhsa_uses_dynamic_stack 0
		.amdhsa_system_sgpr_private_segment_wavefront_offset 0
		.amdhsa_system_sgpr_workgroup_id_x 1
		.amdhsa_system_sgpr_workgroup_id_y 1
		.amdhsa_system_sgpr_workgroup_id_z 1
		.amdhsa_system_sgpr_workgroup_info 0
		.amdhsa_system_vgpr_workitem_id 1
		.amdhsa_next_free_vgpr 52
		.amdhsa_next_free_sgpr 28
		.amdhsa_reserve_vcc 1
		.amdhsa_reserve_flat_scratch 0
		.amdhsa_float_round_mode_32 0
		.amdhsa_float_round_mode_16_64 0
		.amdhsa_float_denorm_mode_32 3
		.amdhsa_float_denorm_mode_16_64 3
		.amdhsa_dx10_clamp 1
		.amdhsa_ieee_mode 1
		.amdhsa_fp16_overflow 0
		.amdhsa_exception_fp_ieee_invalid_op 0
		.amdhsa_exception_fp_denorm_src 0
		.amdhsa_exception_fp_ieee_div_zero 0
		.amdhsa_exception_fp_ieee_overflow 0
		.amdhsa_exception_fp_ieee_underflow 0
		.amdhsa_exception_fp_ieee_inexact 0
		.amdhsa_exception_int_div_zero 0
	.end_amdhsa_kernel
	.section	.text._ZL32rocblas_syrkx_herkx_small_kernelIi19rocblas_complex_numIfELi16ELb0ELb0ELc84ELc85EKS1_S1_EviT_T0_PT6_S3_lS6_S3_lS4_PT7_S3_li,"axG",@progbits,_ZL32rocblas_syrkx_herkx_small_kernelIi19rocblas_complex_numIfELi16ELb0ELb0ELc84ELc85EKS1_S1_EviT_T0_PT6_S3_lS6_S3_lS4_PT7_S3_li,comdat
.Lfunc_end213:
	.size	_ZL32rocblas_syrkx_herkx_small_kernelIi19rocblas_complex_numIfELi16ELb0ELb0ELc84ELc85EKS1_S1_EviT_T0_PT6_S3_lS6_S3_lS4_PT7_S3_li, .Lfunc_end213-_ZL32rocblas_syrkx_herkx_small_kernelIi19rocblas_complex_numIfELi16ELb0ELb0ELc84ELc85EKS1_S1_EviT_T0_PT6_S3_lS6_S3_lS4_PT7_S3_li
                                        ; -- End function
	.set _ZL32rocblas_syrkx_herkx_small_kernelIi19rocblas_complex_numIfELi16ELb0ELb0ELc84ELc85EKS1_S1_EviT_T0_PT6_S3_lS6_S3_lS4_PT7_S3_li.num_vgpr, 52
	.set _ZL32rocblas_syrkx_herkx_small_kernelIi19rocblas_complex_numIfELi16ELb0ELb0ELc84ELc85EKS1_S1_EviT_T0_PT6_S3_lS6_S3_lS4_PT7_S3_li.num_agpr, 0
	.set _ZL32rocblas_syrkx_herkx_small_kernelIi19rocblas_complex_numIfELi16ELb0ELb0ELc84ELc85EKS1_S1_EviT_T0_PT6_S3_lS6_S3_lS4_PT7_S3_li.numbered_sgpr, 28
	.set _ZL32rocblas_syrkx_herkx_small_kernelIi19rocblas_complex_numIfELi16ELb0ELb0ELc84ELc85EKS1_S1_EviT_T0_PT6_S3_lS6_S3_lS4_PT7_S3_li.num_named_barrier, 0
	.set _ZL32rocblas_syrkx_herkx_small_kernelIi19rocblas_complex_numIfELi16ELb0ELb0ELc84ELc85EKS1_S1_EviT_T0_PT6_S3_lS6_S3_lS4_PT7_S3_li.private_seg_size, 0
	.set _ZL32rocblas_syrkx_herkx_small_kernelIi19rocblas_complex_numIfELi16ELb0ELb0ELc84ELc85EKS1_S1_EviT_T0_PT6_S3_lS6_S3_lS4_PT7_S3_li.uses_vcc, 1
	.set _ZL32rocblas_syrkx_herkx_small_kernelIi19rocblas_complex_numIfELi16ELb0ELb0ELc84ELc85EKS1_S1_EviT_T0_PT6_S3_lS6_S3_lS4_PT7_S3_li.uses_flat_scratch, 0
	.set _ZL32rocblas_syrkx_herkx_small_kernelIi19rocblas_complex_numIfELi16ELb0ELb0ELc84ELc85EKS1_S1_EviT_T0_PT6_S3_lS6_S3_lS4_PT7_S3_li.has_dyn_sized_stack, 0
	.set _ZL32rocblas_syrkx_herkx_small_kernelIi19rocblas_complex_numIfELi16ELb0ELb0ELc84ELc85EKS1_S1_EviT_T0_PT6_S3_lS6_S3_lS4_PT7_S3_li.has_recursion, 0
	.set _ZL32rocblas_syrkx_herkx_small_kernelIi19rocblas_complex_numIfELi16ELb0ELb0ELc84ELc85EKS1_S1_EviT_T0_PT6_S3_lS6_S3_lS4_PT7_S3_li.has_indirect_call, 0
	.section	.AMDGPU.csdata,"",@progbits
; Kernel info:
; codeLenInByte = 1328
; TotalNumSgprs: 32
; NumVgprs: 52
; ScratchSize: 0
; MemoryBound: 1
; FloatMode: 240
; IeeeMode: 1
; LDSByteSize: 4096 bytes/workgroup (compile time only)
; SGPRBlocks: 3
; VGPRBlocks: 12
; NumSGPRsForWavesPerEU: 32
; NumVGPRsForWavesPerEU: 52
; Occupancy: 4
; WaveLimiterHint : 0
; COMPUTE_PGM_RSRC2:SCRATCH_EN: 0
; COMPUTE_PGM_RSRC2:USER_SGPR: 6
; COMPUTE_PGM_RSRC2:TRAP_HANDLER: 0
; COMPUTE_PGM_RSRC2:TGID_X_EN: 1
; COMPUTE_PGM_RSRC2:TGID_Y_EN: 1
; COMPUTE_PGM_RSRC2:TGID_Z_EN: 1
; COMPUTE_PGM_RSRC2:TIDIG_COMP_CNT: 1
	.section	.text._ZL32rocblas_syrkx_herkx_small_kernelIi19rocblas_complex_numIfELi16ELb0ELb0ELc67ELc85EKS1_S1_EviT_T0_PT6_S3_lS6_S3_lS4_PT7_S3_li,"axG",@progbits,_ZL32rocblas_syrkx_herkx_small_kernelIi19rocblas_complex_numIfELi16ELb0ELb0ELc67ELc85EKS1_S1_EviT_T0_PT6_S3_lS6_S3_lS4_PT7_S3_li,comdat
	.globl	_ZL32rocblas_syrkx_herkx_small_kernelIi19rocblas_complex_numIfELi16ELb0ELb0ELc67ELc85EKS1_S1_EviT_T0_PT6_S3_lS6_S3_lS4_PT7_S3_li ; -- Begin function _ZL32rocblas_syrkx_herkx_small_kernelIi19rocblas_complex_numIfELi16ELb0ELb0ELc67ELc85EKS1_S1_EviT_T0_PT6_S3_lS6_S3_lS4_PT7_S3_li
	.p2align	8
	.type	_ZL32rocblas_syrkx_herkx_small_kernelIi19rocblas_complex_numIfELi16ELb0ELb0ELc67ELc85EKS1_S1_EviT_T0_PT6_S3_lS6_S3_lS4_PT7_S3_li,@function
_ZL32rocblas_syrkx_herkx_small_kernelIi19rocblas_complex_numIfELi16ELb0ELb0ELc67ELc85EKS1_S1_EviT_T0_PT6_S3_lS6_S3_lS4_PT7_S3_li: ; @_ZL32rocblas_syrkx_herkx_small_kernelIi19rocblas_complex_numIfELi16ELb0ELb0ELc67ELc85EKS1_S1_EviT_T0_PT6_S3_lS6_S3_lS4_PT7_S3_li
; %bb.0:
	s_load_dwordx2 s[20:21], s[4:5], 0x0
	s_load_dwordx4 s[16:19], s[4:5], 0x8
	s_load_dwordx4 s[12:15], s[4:5], 0x38
	s_load_dwordx2 s[10:11], s[4:5], 0x48
	v_lshl_add_u32 v11, s7, 4, v1
	s_mov_b32 s9, 0
	v_lshl_add_u32 v2, s6, 4, v0
	s_waitcnt lgkmcnt(0)
	s_cmp_lt_i32 s21, 1
	v_cmp_gt_i32_e32 vcc, s20, v11
	s_cbranch_scc1 .LBB214_9
; %bb.1:
	s_load_dword s6, s[4:5], 0x18
	s_load_dwordx4 s[24:27], s[4:5], 0x20
	s_load_dword s2, s[4:5], 0x30
	v_lshlrev_b32_e32 v5, 7, v1
	v_lshlrev_b32_e32 v12, 3, v0
	v_add_u32_e32 v13, v12, v5
	v_add_u32_e32 v14, 0x800, v5
	s_waitcnt lgkmcnt(0)
	v_mad_i64_i32 v[3:4], s[2:3], s2, v11, 0
	s_mul_i32 s2, s13, s8
	s_mul_hi_u32 s3, s12, s8
	v_lshlrev_b64 v[3:4], 3, v[3:4]
	s_add_i32 s3, s3, s2
	s_mul_i32 s2, s12, s8
	s_lshl_b64 s[2:3], s[2:3], 3
	v_mov_b32_e32 v5, s3
	v_add_co_u32_e64 v6, s[2:3], s2, v3
	v_addc_co_u32_e64 v4, s[2:3], v4, v5, s[2:3]
	v_add_co_u32_e64 v5, s[2:3], v6, v12
	v_addc_co_u32_e64 v4, s[2:3], 0, v4, s[2:3]
	v_mad_i64_i32 v[7:8], s[2:3], s6, v2, 0
	v_mov_b32_e32 v6, s27
	v_add_co_u32_e64 v5, s[2:3], s26, v5
	v_addc_co_u32_e64 v6, s[2:3], v6, v4, s[2:3]
	s_mul_i32 s2, s25, s8
	s_mul_hi_u32 s3, s24, s8
	v_lshlrev_b64 v[7:8], 3, v[7:8]
	s_add_i32 s3, s3, s2
	s_mul_i32 s2, s24, s8
	s_lshl_b64 s[2:3], s[2:3], 3
	v_mov_b32_e32 v4, s3
	v_add_co_u32_e64 v7, s[2:3], s2, v7
	v_addc_co_u32_e64 v4, s[2:3], v8, v4, s[2:3]
	v_lshlrev_b32_e32 v8, 3, v1
	v_add_co_u32_e64 v7, s[2:3], v7, v8
	v_addc_co_u32_e64 v4, s[2:3], 0, v4, s[2:3]
	v_mov_b32_e32 v8, s19
	v_add_co_u32_e64 v7, s[2:3], s18, v7
	v_addc_co_u32_e64 v4, s[2:3], v8, v4, s[2:3]
	v_add_co_u32_e64 v7, s[2:3], 4, v7
	v_addc_co_u32_e64 v8, s[2:3], 0, v4, s[2:3]
	v_cmp_gt_i32_e64 s[0:1], s20, v2
	v_add_u32_e32 v15, v14, v12
	v_mov_b32_e32 v3, 0
	s_xor_b64 s[2:3], vcc, -1
	v_mov_b32_e32 v16, 0
	v_mov_b32_e32 v17, 0
	s_branch .LBB214_3
.LBB214_2:                              ;   in Loop: Header=BB214_3 Depth=1
	s_or_b64 exec, exec, s[6:7]
	s_waitcnt lgkmcnt(0)
	s_barrier
	ds_read2_b64 v[18:21], v12 offset1:16
	ds_read_b128 v[22:25], v14
	ds_read_b128 v[26:29], v14 offset:16
	ds_read2_b64 v[30:33], v12 offset0:32 offset1:48
	v_add_co_u32_e32 v5, vcc, 0x80, v5
	s_waitcnt lgkmcnt(2)
	v_mul_f32_e32 v4, v23, v19
	v_mul_f32_e32 v9, v22, v19
	v_fma_f32 v4, v22, v18, -v4
	v_fmac_f32_e32 v9, v23, v18
	v_mul_f32_e32 v10, v25, v21
	v_mul_f32_e32 v34, v24, v21
	s_waitcnt lgkmcnt(0)
	v_mul_f32_e32 v18, v27, v31
	v_fma_f32 v10, v24, v20, -v10
	v_fmac_f32_e32 v34, v25, v20
	v_fma_f32 v35, v26, v30, -v18
	ds_read2_b64 v[18:21], v12 offset0:64 offset1:80
	ds_read_b128 v[22:25], v14 offset:32
	v_mul_f32_e32 v36, v26, v31
	v_fmac_f32_e32 v36, v27, v30
	v_mul_f32_e32 v26, v29, v33
	v_mul_f32_e32 v38, v28, v33
	s_waitcnt lgkmcnt(0)
	v_mul_f32_e32 v30, v23, v19
	v_fma_f32 v37, v28, v32, -v26
	v_fmac_f32_e32 v38, v29, v32
	ds_read_b128 v[26:29], v14 offset:48
	v_fma_f32 v39, v22, v18, -v30
	ds_read2_b64 v[30:33], v12 offset0:96 offset1:112
	v_mul_f32_e32 v40, v22, v19
	v_fmac_f32_e32 v40, v23, v18
	v_mul_f32_e32 v18, v25, v21
	v_fma_f32 v41, v24, v20, -v18
	v_mul_f32_e32 v42, v24, v21
	s_waitcnt lgkmcnt(0)
	v_mul_f32_e32 v18, v27, v31
	v_fmac_f32_e32 v42, v25, v20
	v_fma_f32 v43, v26, v30, -v18
	ds_read2_b64 v[18:21], v12 offset0:128 offset1:144
	ds_read_b128 v[22:25], v14 offset:64
	v_mul_f32_e32 v44, v26, v31
	v_fmac_f32_e32 v44, v27, v30
	v_mul_f32_e32 v26, v29, v33
	v_mul_f32_e32 v46, v28, v33
	s_waitcnt lgkmcnt(0)
	v_mul_f32_e32 v30, v23, v19
	v_fma_f32 v45, v28, v32, -v26
	v_fmac_f32_e32 v46, v29, v32
	ds_read_b128 v[26:29], v14 offset:80
	v_fma_f32 v47, v22, v18, -v30
	ds_read2_b64 v[30:33], v12 offset0:160 offset1:176
	v_mul_f32_e32 v48, v22, v19
	v_fmac_f32_e32 v48, v23, v18
	v_mul_f32_e32 v18, v25, v21
	v_fma_f32 v49, v24, v20, -v18
	v_mul_f32_e32 v50, v24, v21
	s_waitcnt lgkmcnt(0)
	v_mul_f32_e32 v18, v27, v31
	v_fmac_f32_e32 v50, v25, v20
	v_fma_f32 v51, v26, v30, -v18
	ds_read2_b64 v[18:21], v12 offset0:192 offset1:208
	ds_read_b128 v[22:25], v14 offset:96
	v_add_f32_e32 v4, v17, v4
	v_add_f32_e32 v9, v16, v9
	;; [unrolled: 1-line block ×5, first 2 shown]
	v_mul_f32_e32 v31, v26, v31
	v_mul_f32_e32 v26, v29, v33
	;; [unrolled: 1-line block ×3, first 2 shown]
	v_add_f32_e32 v9, v9, v36
	v_add_f32_e32 v4, v4, v37
	v_fmac_f32_e32 v31, v27, v30
	v_fma_f32 v30, v28, v32, -v26
	v_fmac_f32_e32 v33, v29, v32
	s_waitcnt lgkmcnt(0)
	v_mul_f32_e32 v32, v23, v19
	v_add_f32_e32 v9, v9, v38
	v_add_f32_e32 v4, v4, v39
	v_fma_f32 v32, v22, v18, -v32
	v_mul_f32_e32 v22, v22, v19
	v_add_f32_e32 v9, v9, v40
	v_add_f32_e32 v4, v4, v41
	v_fmac_f32_e32 v22, v23, v18
	v_mul_f32_e32 v18, v25, v21
	v_add_f32_e32 v9, v9, v42
	v_add_f32_e32 v4, v4, v43
	ds_read_b128 v[26:29], v14 offset:112
	v_fma_f32 v23, v24, v20, -v18
	v_add_f32_e32 v9, v9, v44
	v_add_f32_e32 v4, v4, v45
	ds_read2_b64 v[16:19], v12 offset0:224 offset1:240
	v_add_f32_e32 v9, v9, v46
	v_add_f32_e32 v4, v4, v47
	;; [unrolled: 1-line block ×8, first 2 shown]
	v_mul_f32_e32 v21, v24, v21
	v_add_f32_e32 v9, v9, v33
	v_add_f32_e32 v4, v4, v32
	s_waitcnt lgkmcnt(0)
	v_mul_f32_e32 v10, v27, v17
	v_fmac_f32_e32 v21, v25, v20
	v_add_f32_e32 v9, v9, v22
	v_add_f32_e32 v4, v4, v23
	v_fma_f32 v10, v26, v16, -v10
	v_mul_f32_e32 v17, v26, v17
	v_add_f32_e32 v9, v9, v21
	v_fmac_f32_e32 v17, v27, v16
	v_add_f32_e32 v4, v4, v10
	v_mul_f32_e32 v10, v29, v19
	v_mul_f32_e32 v16, v28, v19
	v_addc_co_u32_e32 v6, vcc, 0, v6, vcc
	v_add_f32_e32 v9, v9, v17
	v_fma_f32 v10, v28, v18, -v10
	v_fmac_f32_e32 v16, v29, v18
	s_add_i32 s9, s9, 16
	v_add_co_u32_e32 v7, vcc, 0x80, v7
	v_add_f32_e32 v17, v4, v10
	v_add_f32_e32 v16, v9, v16
	s_cmp_ge_i32 s9, s21
	v_addc_co_u32_e32 v8, vcc, 0, v8, vcc
	s_barrier
	s_cbranch_scc1 .LBB214_10
.LBB214_3:                              ; =>This Inner Loop Header: Depth=1
	v_add_u32_e32 v4, s9, v1
	v_cmp_gt_i32_e32 vcc, s21, v4
	s_and_b64 s[12:13], s[0:1], vcc
	v_mov_b32_e32 v9, 0
	v_mov_b32_e32 v10, 0
	s_and_saveexec_b64 s[6:7], s[12:13]
	s_cbranch_execz .LBB214_5
; %bb.4:                                ;   in Loop: Header=BB214_3 Depth=1
	global_load_dwordx2 v[9:10], v[7:8], off offset:-4
.LBB214_5:                              ;   in Loop: Header=BB214_3 Depth=1
	s_or_b64 exec, exec, s[6:7]
	v_add_u32_e32 v4, s9, v0
	v_cmp_le_i32_e32 vcc, s21, v4
	s_or_b64 s[6:7], s[2:3], vcc
	s_waitcnt vmcnt(0)
	ds_write_b64 v13, v[9:10]
	s_and_saveexec_b64 s[12:13], s[6:7]
	s_xor_b64 s[6:7], exec, s[12:13]
; %bb.6:                                ;   in Loop: Header=BB214_3 Depth=1
	v_mov_b32_e32 v4, v3
	ds_write_b64 v15, v[3:4]
; %bb.7:                                ;   in Loop: Header=BB214_3 Depth=1
	s_andn2_saveexec_b64 s[6:7], s[6:7]
	s_cbranch_execz .LBB214_2
; %bb.8:                                ;   in Loop: Header=BB214_3 Depth=1
	global_load_dwordx2 v[9:10], v[5:6], off
	s_waitcnt vmcnt(0)
	ds_write_b64 v15, v[9:10]
	s_branch .LBB214_2
.LBB214_9:
	v_mov_b32_e32 v16, 0
	v_mov_b32_e32 v17, 0
.LBB214_10:
	v_cmp_le_i32_e32 vcc, v2, v11
	v_cmp_gt_i32_e64 s[0:1], s20, v11
	s_and_b64 s[0:1], vcc, s[0:1]
	s_and_saveexec_b64 s[2:3], s[0:1]
	s_cbranch_execz .LBB214_12
; %bb.11:
	s_load_dwordx2 s[0:1], s[4:5], 0x58
	s_load_dword s2, s[4:5], 0x50
	v_ashrrev_i32_e32 v3, 31, v2
	s_waitcnt lgkmcnt(0)
	s_mul_i32 s1, s1, s8
	s_mul_hi_u32 s3, s0, s8
	s_add_i32 s1, s3, s1
	v_mad_i64_i32 v[0:1], s[2:3], s2, v11, 0
	s_mul_i32 s0, s0, s8
	s_lshl_b64 s[0:1], s[0:1], 3
	s_add_u32 s0, s10, s0
	v_lshlrev_b64 v[0:1], 3, v[0:1]
	s_addc_u32 s1, s11, s1
	v_mov_b32_e32 v4, s1
	v_add_co_u32_e32 v5, vcc, s0, v0
	v_addc_co_u32_e32 v4, vcc, v4, v1, vcc
	v_lshlrev_b64 v[0:1], 3, v[2:3]
	v_add_co_u32_e32 v0, vcc, v5, v0
	v_addc_co_u32_e32 v1, vcc, v4, v1, vcc
	global_load_dwordx2 v[2:3], v[0:1], off
	v_mul_f32_e32 v4, s17, v16
	v_mul_f32_e32 v5, s16, v16
	v_fma_f32 v4, v17, s16, -v4
	v_fmac_f32_e32 v5, s17, v17
	s_waitcnt vmcnt(0)
	v_mul_f32_e32 v6, s15, v3
	v_mul_f32_e32 v3, s14, v3
	v_fma_f32 v6, v2, s14, -v6
	v_fmac_f32_e32 v3, s15, v2
	v_add_f32_e32 v2, v4, v6
	v_add_f32_e32 v3, v5, v3
	global_store_dwordx2 v[0:1], v[2:3], off
.LBB214_12:
	s_endpgm
	.section	.rodata,"a",@progbits
	.p2align	6, 0x0
	.amdhsa_kernel _ZL32rocblas_syrkx_herkx_small_kernelIi19rocblas_complex_numIfELi16ELb0ELb0ELc67ELc85EKS1_S1_EviT_T0_PT6_S3_lS6_S3_lS4_PT7_S3_li
		.amdhsa_group_segment_fixed_size 4096
		.amdhsa_private_segment_fixed_size 0
		.amdhsa_kernarg_size 100
		.amdhsa_user_sgpr_count 6
		.amdhsa_user_sgpr_private_segment_buffer 1
		.amdhsa_user_sgpr_dispatch_ptr 0
		.amdhsa_user_sgpr_queue_ptr 0
		.amdhsa_user_sgpr_kernarg_segment_ptr 1
		.amdhsa_user_sgpr_dispatch_id 0
		.amdhsa_user_sgpr_flat_scratch_init 0
		.amdhsa_user_sgpr_private_segment_size 0
		.amdhsa_uses_dynamic_stack 0
		.amdhsa_system_sgpr_private_segment_wavefront_offset 0
		.amdhsa_system_sgpr_workgroup_id_x 1
		.amdhsa_system_sgpr_workgroup_id_y 1
		.amdhsa_system_sgpr_workgroup_id_z 1
		.amdhsa_system_sgpr_workgroup_info 0
		.amdhsa_system_vgpr_workitem_id 1
		.amdhsa_next_free_vgpr 52
		.amdhsa_next_free_sgpr 28
		.amdhsa_reserve_vcc 1
		.amdhsa_reserve_flat_scratch 0
		.amdhsa_float_round_mode_32 0
		.amdhsa_float_round_mode_16_64 0
		.amdhsa_float_denorm_mode_32 3
		.amdhsa_float_denorm_mode_16_64 3
		.amdhsa_dx10_clamp 1
		.amdhsa_ieee_mode 1
		.amdhsa_fp16_overflow 0
		.amdhsa_exception_fp_ieee_invalid_op 0
		.amdhsa_exception_fp_denorm_src 0
		.amdhsa_exception_fp_ieee_div_zero 0
		.amdhsa_exception_fp_ieee_overflow 0
		.amdhsa_exception_fp_ieee_underflow 0
		.amdhsa_exception_fp_ieee_inexact 0
		.amdhsa_exception_int_div_zero 0
	.end_amdhsa_kernel
	.section	.text._ZL32rocblas_syrkx_herkx_small_kernelIi19rocblas_complex_numIfELi16ELb0ELb0ELc67ELc85EKS1_S1_EviT_T0_PT6_S3_lS6_S3_lS4_PT7_S3_li,"axG",@progbits,_ZL32rocblas_syrkx_herkx_small_kernelIi19rocblas_complex_numIfELi16ELb0ELb0ELc67ELc85EKS1_S1_EviT_T0_PT6_S3_lS6_S3_lS4_PT7_S3_li,comdat
.Lfunc_end214:
	.size	_ZL32rocblas_syrkx_herkx_small_kernelIi19rocblas_complex_numIfELi16ELb0ELb0ELc67ELc85EKS1_S1_EviT_T0_PT6_S3_lS6_S3_lS4_PT7_S3_li, .Lfunc_end214-_ZL32rocblas_syrkx_herkx_small_kernelIi19rocblas_complex_numIfELi16ELb0ELb0ELc67ELc85EKS1_S1_EviT_T0_PT6_S3_lS6_S3_lS4_PT7_S3_li
                                        ; -- End function
	.set _ZL32rocblas_syrkx_herkx_small_kernelIi19rocblas_complex_numIfELi16ELb0ELb0ELc67ELc85EKS1_S1_EviT_T0_PT6_S3_lS6_S3_lS4_PT7_S3_li.num_vgpr, 52
	.set _ZL32rocblas_syrkx_herkx_small_kernelIi19rocblas_complex_numIfELi16ELb0ELb0ELc67ELc85EKS1_S1_EviT_T0_PT6_S3_lS6_S3_lS4_PT7_S3_li.num_agpr, 0
	.set _ZL32rocblas_syrkx_herkx_small_kernelIi19rocblas_complex_numIfELi16ELb0ELb0ELc67ELc85EKS1_S1_EviT_T0_PT6_S3_lS6_S3_lS4_PT7_S3_li.numbered_sgpr, 28
	.set _ZL32rocblas_syrkx_herkx_small_kernelIi19rocblas_complex_numIfELi16ELb0ELb0ELc67ELc85EKS1_S1_EviT_T0_PT6_S3_lS6_S3_lS4_PT7_S3_li.num_named_barrier, 0
	.set _ZL32rocblas_syrkx_herkx_small_kernelIi19rocblas_complex_numIfELi16ELb0ELb0ELc67ELc85EKS1_S1_EviT_T0_PT6_S3_lS6_S3_lS4_PT7_S3_li.private_seg_size, 0
	.set _ZL32rocblas_syrkx_herkx_small_kernelIi19rocblas_complex_numIfELi16ELb0ELb0ELc67ELc85EKS1_S1_EviT_T0_PT6_S3_lS6_S3_lS4_PT7_S3_li.uses_vcc, 1
	.set _ZL32rocblas_syrkx_herkx_small_kernelIi19rocblas_complex_numIfELi16ELb0ELb0ELc67ELc85EKS1_S1_EviT_T0_PT6_S3_lS6_S3_lS4_PT7_S3_li.uses_flat_scratch, 0
	.set _ZL32rocblas_syrkx_herkx_small_kernelIi19rocblas_complex_numIfELi16ELb0ELb0ELc67ELc85EKS1_S1_EviT_T0_PT6_S3_lS6_S3_lS4_PT7_S3_li.has_dyn_sized_stack, 0
	.set _ZL32rocblas_syrkx_herkx_small_kernelIi19rocblas_complex_numIfELi16ELb0ELb0ELc67ELc85EKS1_S1_EviT_T0_PT6_S3_lS6_S3_lS4_PT7_S3_li.has_recursion, 0
	.set _ZL32rocblas_syrkx_herkx_small_kernelIi19rocblas_complex_numIfELi16ELb0ELb0ELc67ELc85EKS1_S1_EviT_T0_PT6_S3_lS6_S3_lS4_PT7_S3_li.has_indirect_call, 0
	.section	.AMDGPU.csdata,"",@progbits
; Kernel info:
; codeLenInByte = 1328
; TotalNumSgprs: 32
; NumVgprs: 52
; ScratchSize: 0
; MemoryBound: 1
; FloatMode: 240
; IeeeMode: 1
; LDSByteSize: 4096 bytes/workgroup (compile time only)
; SGPRBlocks: 3
; VGPRBlocks: 12
; NumSGPRsForWavesPerEU: 32
; NumVGPRsForWavesPerEU: 52
; Occupancy: 4
; WaveLimiterHint : 0
; COMPUTE_PGM_RSRC2:SCRATCH_EN: 0
; COMPUTE_PGM_RSRC2:USER_SGPR: 6
; COMPUTE_PGM_RSRC2:TRAP_HANDLER: 0
; COMPUTE_PGM_RSRC2:TGID_X_EN: 1
; COMPUTE_PGM_RSRC2:TGID_Y_EN: 1
; COMPUTE_PGM_RSRC2:TGID_Z_EN: 1
; COMPUTE_PGM_RSRC2:TIDIG_COMP_CNT: 1
	.section	.text._ZL32rocblas_syrkx_herkx_small_kernelIi19rocblas_complex_numIfELi16ELb0ELb0ELc78ELc85EKS1_S1_EviT_T0_PT6_S3_lS6_S3_lS4_PT7_S3_li,"axG",@progbits,_ZL32rocblas_syrkx_herkx_small_kernelIi19rocblas_complex_numIfELi16ELb0ELb0ELc78ELc85EKS1_S1_EviT_T0_PT6_S3_lS6_S3_lS4_PT7_S3_li,comdat
	.globl	_ZL32rocblas_syrkx_herkx_small_kernelIi19rocblas_complex_numIfELi16ELb0ELb0ELc78ELc85EKS1_S1_EviT_T0_PT6_S3_lS6_S3_lS4_PT7_S3_li ; -- Begin function _ZL32rocblas_syrkx_herkx_small_kernelIi19rocblas_complex_numIfELi16ELb0ELb0ELc78ELc85EKS1_S1_EviT_T0_PT6_S3_lS6_S3_lS4_PT7_S3_li
	.p2align	8
	.type	_ZL32rocblas_syrkx_herkx_small_kernelIi19rocblas_complex_numIfELi16ELb0ELb0ELc78ELc85EKS1_S1_EviT_T0_PT6_S3_lS6_S3_lS4_PT7_S3_li,@function
_ZL32rocblas_syrkx_herkx_small_kernelIi19rocblas_complex_numIfELi16ELb0ELb0ELc78ELc85EKS1_S1_EviT_T0_PT6_S3_lS6_S3_lS4_PT7_S3_li: ; @_ZL32rocblas_syrkx_herkx_small_kernelIi19rocblas_complex_numIfELi16ELb0ELb0ELc78ELc85EKS1_S1_EviT_T0_PT6_S3_lS6_S3_lS4_PT7_S3_li
; %bb.0:
	s_load_dwordx2 s[24:25], s[4:5], 0x0
	s_load_dwordx4 s[16:19], s[4:5], 0x8
	s_load_dwordx4 s[12:15], s[4:5], 0x38
	s_load_dwordx2 s[10:11], s[4:5], 0x48
	v_lshl_add_u32 v2, s6, 4, v0
	v_lshl_add_u32 v4, s7, 4, v1
	s_mov_b32 s9, 0
	s_waitcnt lgkmcnt(0)
	s_cmp_lt_i32 s25, 1
	v_ashrrev_i32_e32 v3, 31, v2
	v_cmp_gt_i32_e32 vcc, s24, v4
	s_cbranch_scc1 .LBB215_9
; %bb.1:
	s_load_dword s26, s[4:5], 0x18
	s_load_dword s6, s[4:5], 0x30
	s_load_dwordx4 s[20:23], s[4:5], 0x20
	s_mul_i32 s13, s13, s8
	s_mul_hi_u32 s28, s12, s8
	v_lshlrev_b32_e32 v5, 7, v1
	s_waitcnt lgkmcnt(0)
	v_mad_i64_i32 v[6:7], s[2:3], s6, v0, 0
	v_lshlrev_b32_e32 v12, 3, v0
	s_add_i32 s3, s28, s13
	s_mul_i32 s2, s12, s8
	v_lshlrev_b64 v[6:7], 3, v[6:7]
	v_add_u32_e32 v13, v12, v5
	v_add_u32_e32 v14, 0x800, v5
	v_ashrrev_i32_e32 v5, 31, v4
	s_lshl_b64 s[2:3], s[2:3], 3
	v_mov_b32_e32 v8, s3
	v_add_co_u32_e64 v9, s[2:3], s2, v6
	v_lshlrev_b64 v[5:6], 3, v[4:5]
	v_addc_co_u32_e64 v7, s[2:3], v8, v7, s[2:3]
	v_add_co_u32_e64 v5, s[2:3], v9, v5
	v_addc_co_u32_e64 v6, s[2:3], v7, v6, s[2:3]
	v_mov_b32_e32 v7, s23
	v_add_co_u32_e64 v5, s[2:3], s22, v5
	v_addc_co_u32_e64 v6, s[2:3], v7, v6, s[2:3]
	v_add_co_u32_e64 v5, s[2:3], 4, v5
	v_addc_co_u32_e64 v6, s[2:3], 0, v6, s[2:3]
	v_mad_i64_i32 v[7:8], s[2:3], s26, v1, 0
	s_mul_i32 s12, s21, s8
	s_mul_hi_u32 s13, s20, s8
	s_add_i32 s3, s13, s12
	s_mul_i32 s2, s20, s8
	v_lshlrev_b64 v[7:8], 3, v[7:8]
	s_lshl_b64 s[2:3], s[2:3], 3
	v_mov_b32_e32 v9, s3
	v_add_co_u32_e64 v10, s[2:3], s2, v7
	v_addc_co_u32_e64 v9, s[2:3], v9, v8, s[2:3]
	v_lshlrev_b64 v[7:8], 3, v[2:3]
	s_ashr_i32 s27, s26, 31
	v_add_co_u32_e64 v7, s[2:3], v10, v7
	v_addc_co_u32_e64 v8, s[2:3], v9, v8, s[2:3]
	v_mov_b32_e32 v9, s19
	v_add_co_u32_e64 v7, s[2:3], s18, v7
	s_ashr_i32 s7, s6, 31
	v_addc_co_u32_e64 v8, s[2:3], v9, v8, s[2:3]
	v_cmp_gt_i32_e64 s[0:1], s24, v2
	s_lshl_b64 s[6:7], s[6:7], 7
	s_lshl_b64 s[2:3], s[26:27], 7
	v_add_u32_e32 v15, v14, v12
	v_mov_b32_e32 v9, 0
	s_xor_b64 s[12:13], s[0:1], -1
	v_mov_b32_e32 v18, s7
	v_mov_b32_e32 v19, s3
	;; [unrolled: 1-line block ×4, first 2 shown]
	s_branch .LBB215_3
.LBB215_2:                              ;   in Loop: Header=BB215_3 Depth=1
	s_or_b64 exec, exec, s[0:1]
	s_waitcnt vmcnt(0)
	ds_write_b64 v15, v[10:11]
	s_waitcnt lgkmcnt(0)
	s_barrier
	ds_read2_b64 v[20:23], v12 offset1:16
	ds_read_b128 v[24:27], v14
	ds_read_b128 v[28:31], v14 offset:16
	ds_read2_b64 v[32:35], v12 offset0:32 offset1:48
	v_add_co_u32_e64 v5, s[0:1], s6, v5
	s_waitcnt lgkmcnt(2)
	v_mul_f32_e32 v10, v25, v21
	v_mul_f32_e32 v11, v24, v21
	v_fma_f32 v10, v24, v20, -v10
	v_fmac_f32_e32 v11, v25, v20
	v_mul_f32_e32 v20, v27, v23
	v_fma_f32 v36, v26, v22, -v20
	v_mul_f32_e32 v37, v26, v23
	s_waitcnt lgkmcnt(0)
	v_mul_f32_e32 v20, v29, v33
	v_fmac_f32_e32 v37, v27, v22
	v_fma_f32 v38, v28, v32, -v20
	ds_read2_b64 v[20:23], v12 offset0:64 offset1:80
	ds_read_b128 v[24:27], v14 offset:32
	v_mul_f32_e32 v39, v28, v33
	v_fmac_f32_e32 v39, v29, v32
	v_mul_f32_e32 v28, v31, v35
	v_mul_f32_e32 v41, v30, v35
	s_waitcnt lgkmcnt(0)
	v_mul_f32_e32 v32, v25, v21
	v_fma_f32 v40, v30, v34, -v28
	v_fmac_f32_e32 v41, v31, v34
	ds_read_b128 v[28:31], v14 offset:48
	v_fma_f32 v42, v24, v20, -v32
	ds_read2_b64 v[32:35], v12 offset0:96 offset1:112
	v_mul_f32_e32 v43, v24, v21
	v_fmac_f32_e32 v43, v25, v20
	v_mul_f32_e32 v20, v27, v23
	v_fma_f32 v44, v26, v22, -v20
	v_mul_f32_e32 v45, v26, v23
	s_waitcnt lgkmcnt(0)
	v_mul_f32_e32 v20, v29, v33
	v_fmac_f32_e32 v45, v27, v22
	v_fma_f32 v46, v28, v32, -v20
	ds_read2_b64 v[20:23], v12 offset0:128 offset1:144
	ds_read_b128 v[24:27], v14 offset:64
	v_mul_f32_e32 v47, v28, v33
	v_fmac_f32_e32 v47, v29, v32
	v_mul_f32_e32 v28, v31, v35
	v_mul_f32_e32 v49, v30, v35
	s_waitcnt lgkmcnt(0)
	v_mul_f32_e32 v32, v25, v21
	v_fma_f32 v48, v30, v34, -v28
	v_fmac_f32_e32 v49, v31, v34
	ds_read_b128 v[28:31], v14 offset:80
	v_fma_f32 v50, v24, v20, -v32
	ds_read2_b64 v[32:35], v12 offset0:160 offset1:176
	v_mul_f32_e32 v51, v24, v21
	v_fmac_f32_e32 v51, v25, v20
	v_mul_f32_e32 v20, v27, v23
	v_fma_f32 v52, v26, v22, -v20
	v_mul_f32_e32 v53, v26, v23
	s_waitcnt lgkmcnt(0)
	v_mul_f32_e32 v20, v29, v33
	v_add_f32_e32 v10, v17, v10
	v_add_f32_e32 v11, v16, v11
	v_fmac_f32_e32 v53, v27, v22
	v_fma_f32 v54, v28, v32, -v20
	ds_read2_b64 v[20:23], v12 offset0:192 offset1:208
	ds_read_b128 v[24:27], v14 offset:96
	v_add_f32_e32 v10, v10, v36
	v_add_f32_e32 v11, v11, v37
	;; [unrolled: 1-line block ×8, first 2 shown]
	v_mul_f32_e32 v55, v28, v33
	v_add_f32_e32 v10, v10, v44
	v_add_f32_e32 v11, v11, v45
	v_fmac_f32_e32 v55, v29, v32
	v_mul_f32_e32 v28, v31, v35
	v_mul_f32_e32 v57, v30, v35
	s_waitcnt lgkmcnt(0)
	v_mul_f32_e32 v32, v25, v21
	v_add_f32_e32 v10, v10, v46
	v_add_f32_e32 v11, v11, v47
	v_fma_f32 v56, v30, v34, -v28
	v_fmac_f32_e32 v57, v31, v34
	ds_read_b128 v[28:31], v14 offset:112
	v_fma_f32 v58, v24, v20, -v32
	ds_read2_b64 v[32:35], v12 offset0:224 offset1:240
	v_add_f32_e32 v10, v10, v48
	v_add_f32_e32 v11, v11, v49
	;; [unrolled: 1-line block ×6, first 2 shown]
	v_mul_f32_e32 v21, v24, v21
	v_add_f32_e32 v10, v10, v54
	v_add_f32_e32 v11, v11, v55
	v_fmac_f32_e32 v21, v25, v20
	v_mul_f32_e32 v20, v27, v23
	v_mul_f32_e32 v23, v26, v23
	v_add_f32_e32 v10, v10, v56
	v_add_f32_e32 v11, v11, v57
	v_fma_f32 v20, v26, v22, -v20
	v_fmac_f32_e32 v23, v27, v22
	s_waitcnt lgkmcnt(0)
	v_mul_f32_e32 v22, v29, v33
	v_mul_f32_e32 v24, v28, v33
	v_add_f32_e32 v10, v10, v58
	v_add_f32_e32 v11, v11, v21
	v_fma_f32 v22, v28, v32, -v22
	v_fmac_f32_e32 v24, v29, v32
	v_mul_f32_e32 v25, v31, v35
	v_mul_f32_e32 v26, v30, v35
	v_add_f32_e32 v10, v10, v20
	v_add_f32_e32 v11, v11, v23
	v_addc_co_u32_e64 v6, s[0:1], v6, v18, s[0:1]
	v_fma_f32 v25, v30, v34, -v25
	v_fmac_f32_e32 v26, v31, v34
	v_add_f32_e32 v10, v10, v22
	v_add_f32_e32 v11, v11, v24
	s_add_i32 s9, s9, 16
	v_add_co_u32_e64 v7, s[0:1], s2, v7
	v_add_f32_e32 v17, v10, v25
	v_add_f32_e32 v16, v11, v26
	s_cmp_ge_i32 s9, s25
	v_addc_co_u32_e64 v8, s[0:1], v8, v19, s[0:1]
	s_barrier
	s_cbranch_scc1 .LBB215_10
.LBB215_3:                              ; =>This Inner Loop Header: Depth=1
	v_add_u32_e32 v10, s9, v1
	v_cmp_le_i32_e64 s[0:1], s25, v10
	s_or_b64 s[0:1], s[12:13], s[0:1]
	s_and_saveexec_b64 s[18:19], s[0:1]
	s_xor_b64 s[0:1], exec, s[18:19]
; %bb.4:                                ;   in Loop: Header=BB215_3 Depth=1
	v_mov_b32_e32 v10, v9
	ds_write_b64 v13, v[9:10]
; %bb.5:                                ;   in Loop: Header=BB215_3 Depth=1
	s_andn2_saveexec_b64 s[0:1], s[0:1]
	s_cbranch_execz .LBB215_7
; %bb.6:                                ;   in Loop: Header=BB215_3 Depth=1
	global_load_dwordx2 v[10:11], v[7:8], off
	s_waitcnt vmcnt(0)
	ds_write_b64 v13, v[10:11]
.LBB215_7:                              ;   in Loop: Header=BB215_3 Depth=1
	s_or_b64 exec, exec, s[0:1]
	v_add_u32_e32 v10, s9, v0
	v_cmp_gt_i32_e64 s[0:1], s25, v10
	s_and_b64 s[18:19], vcc, s[0:1]
	v_mov_b32_e32 v10, 0
	v_mov_b32_e32 v11, 0
	s_and_saveexec_b64 s[0:1], s[18:19]
	s_cbranch_execz .LBB215_2
; %bb.8:                                ;   in Loop: Header=BB215_3 Depth=1
	global_load_dwordx2 v[10:11], v[5:6], off offset:-4
	s_branch .LBB215_2
.LBB215_9:
	v_mov_b32_e32 v16, 0
	v_mov_b32_e32 v17, 0
.LBB215_10:
	v_cmp_le_i32_e32 vcc, v2, v4
	v_cmp_gt_i32_e64 s[0:1], s24, v4
	s_and_b64 s[0:1], vcc, s[0:1]
	s_and_saveexec_b64 s[2:3], s[0:1]
	s_cbranch_execz .LBB215_12
; %bb.11:
	s_load_dwordx2 s[0:1], s[4:5], 0x58
	s_load_dword s2, s[4:5], 0x50
	s_waitcnt lgkmcnt(0)
	s_mul_i32 s1, s1, s8
	s_mul_hi_u32 s3, s0, s8
	s_add_i32 s1, s3, s1
	v_mad_i64_i32 v[0:1], s[2:3], s2, v4, 0
	s_mul_i32 s0, s0, s8
	s_lshl_b64 s[0:1], s[0:1], 3
	s_add_u32 s0, s10, s0
	v_lshlrev_b64 v[0:1], 3, v[0:1]
	s_addc_u32 s1, s11, s1
	v_mov_b32_e32 v4, s1
	v_add_co_u32_e32 v5, vcc, s0, v0
	v_addc_co_u32_e32 v4, vcc, v4, v1, vcc
	v_lshlrev_b64 v[0:1], 3, v[2:3]
	v_add_co_u32_e32 v0, vcc, v5, v0
	v_addc_co_u32_e32 v1, vcc, v4, v1, vcc
	global_load_dwordx2 v[2:3], v[0:1], off
	v_mul_f32_e32 v4, s17, v16
	v_mul_f32_e32 v5, s16, v16
	v_fma_f32 v4, v17, s16, -v4
	v_fmac_f32_e32 v5, s17, v17
	s_waitcnt vmcnt(0)
	v_mul_f32_e32 v6, s15, v3
	v_mul_f32_e32 v3, s14, v3
	v_fma_f32 v6, v2, s14, -v6
	v_fmac_f32_e32 v3, s15, v2
	v_add_f32_e32 v2, v4, v6
	v_add_f32_e32 v3, v5, v3
	global_store_dwordx2 v[0:1], v[2:3], off
.LBB215_12:
	s_endpgm
	.section	.rodata,"a",@progbits
	.p2align	6, 0x0
	.amdhsa_kernel _ZL32rocblas_syrkx_herkx_small_kernelIi19rocblas_complex_numIfELi16ELb0ELb0ELc78ELc85EKS1_S1_EviT_T0_PT6_S3_lS6_S3_lS4_PT7_S3_li
		.amdhsa_group_segment_fixed_size 4096
		.amdhsa_private_segment_fixed_size 0
		.amdhsa_kernarg_size 100
		.amdhsa_user_sgpr_count 6
		.amdhsa_user_sgpr_private_segment_buffer 1
		.amdhsa_user_sgpr_dispatch_ptr 0
		.amdhsa_user_sgpr_queue_ptr 0
		.amdhsa_user_sgpr_kernarg_segment_ptr 1
		.amdhsa_user_sgpr_dispatch_id 0
		.amdhsa_user_sgpr_flat_scratch_init 0
		.amdhsa_user_sgpr_private_segment_size 0
		.amdhsa_uses_dynamic_stack 0
		.amdhsa_system_sgpr_private_segment_wavefront_offset 0
		.amdhsa_system_sgpr_workgroup_id_x 1
		.amdhsa_system_sgpr_workgroup_id_y 1
		.amdhsa_system_sgpr_workgroup_id_z 1
		.amdhsa_system_sgpr_workgroup_info 0
		.amdhsa_system_vgpr_workitem_id 1
		.amdhsa_next_free_vgpr 59
		.amdhsa_next_free_sgpr 29
		.amdhsa_reserve_vcc 1
		.amdhsa_reserve_flat_scratch 0
		.amdhsa_float_round_mode_32 0
		.amdhsa_float_round_mode_16_64 0
		.amdhsa_float_denorm_mode_32 3
		.amdhsa_float_denorm_mode_16_64 3
		.amdhsa_dx10_clamp 1
		.amdhsa_ieee_mode 1
		.amdhsa_fp16_overflow 0
		.amdhsa_exception_fp_ieee_invalid_op 0
		.amdhsa_exception_fp_denorm_src 0
		.amdhsa_exception_fp_ieee_div_zero 0
		.amdhsa_exception_fp_ieee_overflow 0
		.amdhsa_exception_fp_ieee_underflow 0
		.amdhsa_exception_fp_ieee_inexact 0
		.amdhsa_exception_int_div_zero 0
	.end_amdhsa_kernel
	.section	.text._ZL32rocblas_syrkx_herkx_small_kernelIi19rocblas_complex_numIfELi16ELb0ELb0ELc78ELc85EKS1_S1_EviT_T0_PT6_S3_lS6_S3_lS4_PT7_S3_li,"axG",@progbits,_ZL32rocblas_syrkx_herkx_small_kernelIi19rocblas_complex_numIfELi16ELb0ELb0ELc78ELc85EKS1_S1_EviT_T0_PT6_S3_lS6_S3_lS4_PT7_S3_li,comdat
.Lfunc_end215:
	.size	_ZL32rocblas_syrkx_herkx_small_kernelIi19rocblas_complex_numIfELi16ELb0ELb0ELc78ELc85EKS1_S1_EviT_T0_PT6_S3_lS6_S3_lS4_PT7_S3_li, .Lfunc_end215-_ZL32rocblas_syrkx_herkx_small_kernelIi19rocblas_complex_numIfELi16ELb0ELb0ELc78ELc85EKS1_S1_EviT_T0_PT6_S3_lS6_S3_lS4_PT7_S3_li
                                        ; -- End function
	.set _ZL32rocblas_syrkx_herkx_small_kernelIi19rocblas_complex_numIfELi16ELb0ELb0ELc78ELc85EKS1_S1_EviT_T0_PT6_S3_lS6_S3_lS4_PT7_S3_li.num_vgpr, 59
	.set _ZL32rocblas_syrkx_herkx_small_kernelIi19rocblas_complex_numIfELi16ELb0ELb0ELc78ELc85EKS1_S1_EviT_T0_PT6_S3_lS6_S3_lS4_PT7_S3_li.num_agpr, 0
	.set _ZL32rocblas_syrkx_herkx_small_kernelIi19rocblas_complex_numIfELi16ELb0ELb0ELc78ELc85EKS1_S1_EviT_T0_PT6_S3_lS6_S3_lS4_PT7_S3_li.numbered_sgpr, 29
	.set _ZL32rocblas_syrkx_herkx_small_kernelIi19rocblas_complex_numIfELi16ELb0ELb0ELc78ELc85EKS1_S1_EviT_T0_PT6_S3_lS6_S3_lS4_PT7_S3_li.num_named_barrier, 0
	.set _ZL32rocblas_syrkx_herkx_small_kernelIi19rocblas_complex_numIfELi16ELb0ELb0ELc78ELc85EKS1_S1_EviT_T0_PT6_S3_lS6_S3_lS4_PT7_S3_li.private_seg_size, 0
	.set _ZL32rocblas_syrkx_herkx_small_kernelIi19rocblas_complex_numIfELi16ELb0ELb0ELc78ELc85EKS1_S1_EviT_T0_PT6_S3_lS6_S3_lS4_PT7_S3_li.uses_vcc, 1
	.set _ZL32rocblas_syrkx_herkx_small_kernelIi19rocblas_complex_numIfELi16ELb0ELb0ELc78ELc85EKS1_S1_EviT_T0_PT6_S3_lS6_S3_lS4_PT7_S3_li.uses_flat_scratch, 0
	.set _ZL32rocblas_syrkx_herkx_small_kernelIi19rocblas_complex_numIfELi16ELb0ELb0ELc78ELc85EKS1_S1_EviT_T0_PT6_S3_lS6_S3_lS4_PT7_S3_li.has_dyn_sized_stack, 0
	.set _ZL32rocblas_syrkx_herkx_small_kernelIi19rocblas_complex_numIfELi16ELb0ELb0ELc78ELc85EKS1_S1_EviT_T0_PT6_S3_lS6_S3_lS4_PT7_S3_li.has_recursion, 0
	.set _ZL32rocblas_syrkx_herkx_small_kernelIi19rocblas_complex_numIfELi16ELb0ELb0ELc78ELc85EKS1_S1_EviT_T0_PT6_S3_lS6_S3_lS4_PT7_S3_li.has_indirect_call, 0
	.section	.AMDGPU.csdata,"",@progbits
; Kernel info:
; codeLenInByte = 1384
; TotalNumSgprs: 33
; NumVgprs: 59
; ScratchSize: 0
; MemoryBound: 1
; FloatMode: 240
; IeeeMode: 1
; LDSByteSize: 4096 bytes/workgroup (compile time only)
; SGPRBlocks: 4
; VGPRBlocks: 14
; NumSGPRsForWavesPerEU: 33
; NumVGPRsForWavesPerEU: 59
; Occupancy: 4
; WaveLimiterHint : 0
; COMPUTE_PGM_RSRC2:SCRATCH_EN: 0
; COMPUTE_PGM_RSRC2:USER_SGPR: 6
; COMPUTE_PGM_RSRC2:TRAP_HANDLER: 0
; COMPUTE_PGM_RSRC2:TGID_X_EN: 1
; COMPUTE_PGM_RSRC2:TGID_Y_EN: 1
; COMPUTE_PGM_RSRC2:TGID_Z_EN: 1
; COMPUTE_PGM_RSRC2:TIDIG_COMP_CNT: 1
	.section	.text._ZL34rocblas_syrkx_herkx_general_kernelIi19rocblas_complex_numIfELi16ELi32ELi8ELb1ELb0ELc84ELc76EKS1_S1_EviT_T0_PT8_S3_lS6_S3_lS4_PT9_S3_li,"axG",@progbits,_ZL34rocblas_syrkx_herkx_general_kernelIi19rocblas_complex_numIfELi16ELi32ELi8ELb1ELb0ELc84ELc76EKS1_S1_EviT_T0_PT8_S3_lS6_S3_lS4_PT9_S3_li,comdat
	.globl	_ZL34rocblas_syrkx_herkx_general_kernelIi19rocblas_complex_numIfELi16ELi32ELi8ELb1ELb0ELc84ELc76EKS1_S1_EviT_T0_PT8_S3_lS6_S3_lS4_PT9_S3_li ; -- Begin function _ZL34rocblas_syrkx_herkx_general_kernelIi19rocblas_complex_numIfELi16ELi32ELi8ELb1ELb0ELc84ELc76EKS1_S1_EviT_T0_PT8_S3_lS6_S3_lS4_PT9_S3_li
	.p2align	8
	.type	_ZL34rocblas_syrkx_herkx_general_kernelIi19rocblas_complex_numIfELi16ELi32ELi8ELb1ELb0ELc84ELc76EKS1_S1_EviT_T0_PT8_S3_lS6_S3_lS4_PT9_S3_li,@function
_ZL34rocblas_syrkx_herkx_general_kernelIi19rocblas_complex_numIfELi16ELi32ELi8ELb1ELb0ELc84ELc76EKS1_S1_EviT_T0_PT8_S3_lS6_S3_lS4_PT9_S3_li: ; @_ZL34rocblas_syrkx_herkx_general_kernelIi19rocblas_complex_numIfELi16ELi32ELi8ELb1ELb0ELc84ELc76EKS1_S1_EviT_T0_PT8_S3_lS6_S3_lS4_PT9_S3_li
; %bb.0:
	s_load_dwordx2 s[10:11], s[4:5], 0x0
	s_load_dwordx4 s[12:15], s[4:5], 0x8
	s_lshl_b32 s9, s6, 5
	s_lshl_b32 s20, s7, 5
	s_mov_b32 s21, 0
	s_waitcnt lgkmcnt(0)
	s_cmp_lt_i32 s11, 1
	s_cbranch_scc1 .LBB216_11
; %bb.1:
	v_lshl_add_u32 v2, v1, 4, v0
	v_and_b32_e32 v8, 7, v0
	v_lshrrev_b32_e32 v9, 5, v2
	v_lshrrev_b32_e32 v3, 3, v2
	v_and_b32_e32 v2, 31, v2
	s_load_dword s2, s[4:5], 0x18
	s_load_dwordx4 s[16:19], s[4:5], 0x20
	s_load_dword s22, s[4:5], 0x30
	s_load_dwordx2 s[6:7], s[4:5], 0x38
	v_or_b32_e32 v5, s9, v2
	v_lshlrev_b32_e32 v6, 3, v8
	v_add_u32_e32 v4, s20, v3
	v_cmp_gt_i32_e32 vcc, s10, v5
	v_lshlrev_b32_e32 v5, 3, v2
	v_lshl_or_b32 v3, v3, 6, v6
	v_add_u32_e32 v2, s9, v2
	v_add_u32_e32 v11, 0x800, v3
	s_waitcnt lgkmcnt(0)
	v_mad_i64_i32 v[2:3], s[2:3], s2, v2, 0
	s_mul_i32 s2, s17, s8
	s_mul_hi_u32 s3, s16, s8
	v_lshlrev_b64 v[2:3], 3, v[2:3]
	s_add_i32 s3, s3, s2
	s_mul_i32 s2, s16, s8
	v_lshl_or_b32 v10, v9, 8, v5
	v_mov_b32_e32 v5, 0x800
	s_lshl_b64 s[2:3], s[2:3], 3
	v_lshl_add_u32 v13, v1, 6, v5
	v_mov_b32_e32 v5, s3
	v_add_co_u32_e64 v2, s[2:3], s2, v2
	v_addc_co_u32_e64 v3, s[2:3], v3, v5, s[2:3]
	v_lshlrev_b32_e32 v5, 3, v9
	v_add_co_u32_e64 v2, s[2:3], v2, v5
	v_cmp_gt_i32_e64 s[0:1], s10, v4
	v_addc_co_u32_e64 v3, s[2:3], 0, v3, s[2:3]
	v_mad_i64_i32 v[4:5], s[2:3], s22, v4, 0
	v_mov_b32_e32 v7, s15
	v_add_co_u32_e64 v2, s[2:3], s14, v2
	v_addc_co_u32_e64 v3, s[2:3], v7, v3, s[2:3]
	s_mul_i32 s2, s7, s8
	s_mul_hi_u32 s3, s6, s8
	v_lshlrev_b64 v[4:5], 3, v[4:5]
	s_add_i32 s3, s3, s2
	s_mul_i32 s2, s6, s8
	s_lshl_b64 s[2:3], s[2:3], 3
	v_mov_b32_e32 v7, s3
	v_add_co_u32_e64 v4, s[2:3], s2, v4
	v_addc_co_u32_e64 v5, s[2:3], v5, v7, s[2:3]
	v_add_co_u32_e64 v4, s[2:3], v4, v6
	v_addc_co_u32_e64 v5, s[2:3], 0, v5, s[2:3]
	v_mov_b32_e32 v6, s19
	v_add_co_u32_e64 v4, s[2:3], s18, v4
	v_addc_co_u32_e64 v5, s[2:3], v6, v5, s[2:3]
	v_lshlrev_b32_e32 v12, 3, v0
	s_xor_b64 s[2:3], vcc, -1
	s_xor_b64 s[0:1], s[0:1], -1
	v_mov_b32_e32 v17, 0
	v_mov_b32_e32 v16, 0
	;; [unrolled: 1-line block ×9, first 2 shown]
	s_branch .LBB216_3
.LBB216_2:                              ;   in Loop: Header=BB216_3 Depth=1
	s_or_b64 exec, exec, s[6:7]
	s_waitcnt lgkmcnt(0)
	s_barrier
	ds_read2_b64 v[22:25], v12 offset1:16
	ds_read_b128 v[26:29], v13
	ds_read_b128 v[30:33], v13 offset:16
	v_add_co_u32_e32 v2, vcc, 64, v2
	v_addc_co_u32_e32 v3, vcc, 0, v3, vcc
	s_waitcnt lgkmcnt(1)
	v_mul_f32_e32 v34, v26, v23
	v_fmac_f32_e32 v34, v27, v22
	v_add_f32_e32 v46, v21, v34
	ds_read_b128 v[34:37], v13 offset:1024
	v_mul_f32_e32 v7, v27, v23
	v_fma_f32 v7, v26, v22, -v7
	v_add_f32_e32 v7, v20, v7
	v_mul_f32_e32 v20, v27, v25
	v_mul_f32_e32 v21, v26, v25
	v_fma_f32 v20, v26, v24, -v20
	v_fmac_f32_e32 v21, v27, v24
	v_add_f32_e32 v26, v18, v20
	v_add_f32_e32 v27, v19, v21
	ds_read_b128 v[18:21], v13 offset:1040
	s_waitcnt lgkmcnt(1)
	v_mul_f32_e32 v38, v35, v23
	v_mul_f32_e32 v23, v34, v23
	v_fma_f32 v38, v34, v22, -v38
	v_fmac_f32_e32 v23, v35, v22
	v_mul_f32_e32 v22, v35, v25
	v_fma_f32 v47, v34, v24, -v22
	v_mul_f32_e32 v34, v34, v25
	v_add_f32_e32 v14, v14, v38
	v_add_f32_e32 v15, v15, v23
	v_fmac_f32_e32 v34, v35, v24
	ds_read2_b64 v[22:25], v12 offset0:32 offset1:48
	ds_read_b128 v[38:41], v13 offset:32
	ds_read_b128 v[42:45], v13 offset:48
	v_add_f32_e32 v35, v16, v47
	v_add_f32_e32 v34, v17, v34
	s_waitcnt lgkmcnt(2)
	v_mul_f32_e32 v16, v29, v23
	v_fma_f32 v16, v28, v22, -v16
	v_mul_f32_e32 v17, v28, v23
	v_fmac_f32_e32 v17, v29, v22
	v_add_f32_e32 v7, v7, v16
	v_mul_f32_e32 v16, v29, v25
	v_add_f32_e32 v46, v46, v17
	v_fma_f32 v16, v28, v24, -v16
	v_mul_f32_e32 v17, v28, v25
	v_fmac_f32_e32 v17, v29, v24
	v_add_f32_e32 v26, v26, v16
	v_mul_f32_e32 v16, v37, v23
	v_add_f32_e32 v27, v27, v17
	v_fma_f32 v16, v36, v22, -v16
	v_mul_f32_e32 v17, v36, v23
	v_fmac_f32_e32 v17, v37, v22
	v_add_f32_e32 v22, v14, v16
	v_mul_f32_e32 v14, v37, v25
	v_add_f32_e32 v23, v15, v17
	v_fma_f32 v28, v36, v24, -v14
	ds_read2_b64 v[14:17], v12 offset0:64 offset1:80
	v_mul_f32_e32 v25, v36, v25
	v_fmac_f32_e32 v25, v37, v24
	v_add_f32_e32 v29, v34, v25
	v_add_f32_e32 v28, v35, v28
	s_waitcnt lgkmcnt(0)
	v_mul_f32_e32 v24, v31, v15
	v_fma_f32 v24, v30, v14, -v24
	v_add_f32_e32 v7, v7, v24
	v_mul_f32_e32 v24, v31, v17
	v_mul_f32_e32 v25, v30, v15
	v_fma_f32 v24, v30, v16, -v24
	v_fmac_f32_e32 v25, v31, v14
	v_add_f32_e32 v26, v26, v24
	v_mul_f32_e32 v24, v19, v15
	v_add_f32_e32 v34, v46, v25
	v_mul_f32_e32 v25, v30, v17
	v_fma_f32 v24, v18, v14, -v24
	v_mul_f32_e32 v15, v18, v15
	v_fmac_f32_e32 v25, v31, v16
	v_fmac_f32_e32 v15, v19, v14
	v_add_f32_e32 v14, v22, v24
	v_mul_f32_e32 v22, v19, v17
	v_add_f32_e32 v27, v27, v25
	v_add_f32_e32 v15, v23, v15
	v_fma_f32 v30, v18, v16, -v22
	ds_read2_b64 v[22:25], v12 offset0:96 offset1:112
	v_mul_f32_e32 v17, v18, v17
	v_fmac_f32_e32 v17, v19, v16
	v_add_f32_e32 v19, v29, v17
	v_add_f32_e32 v18, v28, v30
	s_waitcnt lgkmcnt(0)
	v_mul_f32_e32 v16, v33, v23
	v_fma_f32 v16, v32, v22, -v16
	v_mul_f32_e32 v17, v32, v23
	v_fmac_f32_e32 v17, v33, v22
	v_add_f32_e32 v7, v7, v16
	v_mul_f32_e32 v16, v33, v25
	v_add_f32_e32 v28, v34, v17
	v_fma_f32 v16, v32, v24, -v16
	v_mul_f32_e32 v17, v32, v25
	v_fmac_f32_e32 v17, v33, v24
	v_add_f32_e32 v26, v26, v16
	v_mul_f32_e32 v16, v21, v23
	v_add_f32_e32 v27, v27, v17
	;; [unrolled: 6-line block ×3, first 2 shown]
	v_fma_f32 v22, v20, v24, -v14
	ds_read2_b64 v[14:17], v12 offset0:128 offset1:144
	v_mul_f32_e32 v20, v20, v25
	v_fmac_f32_e32 v20, v21, v24
	v_add_f32_e32 v31, v18, v22
	v_add_f32_e32 v32, v19, v20
	s_waitcnt lgkmcnt(0)
	v_mul_f32_e32 v18, v39, v15
	v_fma_f32 v18, v38, v14, -v18
	v_mul_f32_e32 v19, v38, v15
	v_fmac_f32_e32 v19, v39, v14
	v_add_f32_e32 v7, v7, v18
	v_mul_f32_e32 v18, v39, v17
	v_add_f32_e32 v33, v28, v19
	v_fma_f32 v22, v38, v16, -v18
	ds_read_b128 v[18:21], v13 offset:1056
	v_mul_f32_e32 v23, v38, v17
	v_fmac_f32_e32 v23, v39, v16
	v_add_f32_e32 v34, v26, v22
	v_add_f32_e32 v35, v27, v23
	ds_read_b128 v[22:25], v13 offset:1072
	s_waitcnt lgkmcnt(1)
	v_mul_f32_e32 v26, v19, v15
	v_fma_f32 v26, v18, v14, -v26
	v_mul_f32_e32 v15, v18, v15
	v_fmac_f32_e32 v15, v19, v14
	v_add_f32_e32 v14, v29, v26
	v_mul_f32_e32 v26, v19, v17
	v_add_f32_e32 v15, v30, v15
	v_fma_f32 v30, v18, v16, -v26
	ds_read2_b64 v[26:29], v12 offset0:160 offset1:176
	v_mul_f32_e32 v17, v18, v17
	v_fmac_f32_e32 v17, v19, v16
	v_add_f32_e32 v19, v32, v17
	v_add_f32_e32 v18, v31, v30
	s_waitcnt lgkmcnt(0)
	v_mul_f32_e32 v16, v41, v27
	v_fma_f32 v16, v40, v26, -v16
	v_mul_f32_e32 v17, v40, v27
	v_fmac_f32_e32 v17, v41, v26
	v_add_f32_e32 v7, v7, v16
	v_mul_f32_e32 v16, v41, v29
	v_add_f32_e32 v30, v33, v17
	v_fma_f32 v16, v40, v28, -v16
	v_mul_f32_e32 v17, v40, v29
	v_fmac_f32_e32 v17, v41, v28
	v_add_f32_e32 v31, v34, v16
	v_mul_f32_e32 v16, v21, v27
	v_add_f32_e32 v32, v35, v17
	;; [unrolled: 6-line block ×3, first 2 shown]
	v_fma_f32 v33, v20, v28, -v14
	ds_read2_b64 v[14:17], v12 offset0:192 offset1:208
	v_mul_f32_e32 v20, v20, v29
	v_fmac_f32_e32 v20, v21, v28
	v_add_f32_e32 v19, v19, v20
	v_add_f32_e32 v18, v18, v33
	s_waitcnt lgkmcnt(0)
	v_mul_f32_e32 v20, v43, v15
	v_fma_f32 v20, v42, v14, -v20
	v_mul_f32_e32 v21, v42, v15
	v_add_f32_e32 v7, v7, v20
	v_mul_f32_e32 v20, v43, v17
	v_fmac_f32_e32 v21, v43, v14
	v_fma_f32 v20, v42, v16, -v20
	v_add_f32_e32 v21, v30, v21
	v_mul_f32_e32 v28, v42, v17
	v_add_f32_e32 v30, v31, v20
	v_mul_f32_e32 v20, v23, v15
	v_mul_f32_e32 v15, v22, v15
	v_fmac_f32_e32 v28, v43, v16
	v_fma_f32 v20, v22, v14, -v20
	v_fmac_f32_e32 v15, v23, v14
	v_add_f32_e32 v31, v32, v28
	v_add_f32_e32 v14, v26, v20
	;; [unrolled: 1-line block ×3, first 2 shown]
	ds_read2_b64 v[26:29], v12 offset0:224 offset1:240
	v_mul_f32_e32 v20, v23, v17
	v_fma_f32 v20, v22, v16, -v20
	v_mul_f32_e32 v17, v22, v17
	v_fmac_f32_e32 v17, v23, v16
	v_add_f32_e32 v16, v18, v20
	s_waitcnt lgkmcnt(0)
	v_mul_f32_e32 v18, v45, v27
	v_fma_f32 v18, v44, v26, -v18
	v_add_f32_e32 v20, v7, v18
	v_mul_f32_e32 v7, v45, v29
	v_fma_f32 v7, v44, v28, -v7
	v_add_f32_e32 v17, v19, v17
	v_mul_f32_e32 v19, v44, v27
	v_add_f32_e32 v18, v30, v7
	v_mul_f32_e32 v7, v25, v27
	v_mul_f32_e32 v22, v24, v27
	v_fmac_f32_e32 v19, v45, v26
	v_fma_f32 v7, v24, v26, -v7
	v_fmac_f32_e32 v22, v25, v26
	v_add_f32_e32 v21, v21, v19
	v_mul_f32_e32 v19, v44, v29
	v_add_f32_e32 v14, v14, v7
	v_add_f32_e32 v15, v15, v22
	v_mul_f32_e32 v7, v25, v29
	v_mul_f32_e32 v22, v24, v29
	v_fmac_f32_e32 v19, v45, v28
	v_fma_f32 v7, v24, v28, -v7
	v_fmac_f32_e32 v22, v25, v28
	s_add_i32 s21, s21, 8
	v_add_co_u32_e32 v4, vcc, 64, v4
	v_add_f32_e32 v19, v31, v19
	v_add_f32_e32 v16, v16, v7
	v_add_f32_e32 v17, v17, v22
	s_cmp_ge_i32 s21, s11
	v_addc_co_u32_e32 v5, vcc, 0, v5, vcc
	s_barrier
	s_cbranch_scc1 .LBB216_12
.LBB216_3:                              ; =>This Inner Loop Header: Depth=1
	v_add_u32_e32 v7, s21, v9
	v_cmp_le_i32_e32 vcc, s11, v7
	s_or_b64 s[6:7], s[2:3], vcc
	s_and_saveexec_b64 s[14:15], s[6:7]
	s_xor_b64 s[6:7], exec, s[14:15]
; %bb.4:                                ;   in Loop: Header=BB216_3 Depth=1
	v_mov_b32_e32 v7, v6
	ds_write_b64 v10, v[6:7]
; %bb.5:                                ;   in Loop: Header=BB216_3 Depth=1
	s_andn2_saveexec_b64 s[6:7], s[6:7]
	s_cbranch_execz .LBB216_7
; %bb.6:                                ;   in Loop: Header=BB216_3 Depth=1
	global_load_dwordx2 v[22:23], v[2:3], off
	s_waitcnt vmcnt(0)
	ds_write_b64 v10, v[22:23]
.LBB216_7:                              ;   in Loop: Header=BB216_3 Depth=1
	s_or_b64 exec, exec, s[6:7]
	v_add_u32_e32 v7, s21, v8
	v_cmp_le_i32_e32 vcc, s11, v7
	s_or_b64 s[6:7], vcc, s[0:1]
	s_and_saveexec_b64 s[14:15], s[6:7]
	s_xor_b64 s[6:7], exec, s[14:15]
; %bb.8:                                ;   in Loop: Header=BB216_3 Depth=1
	v_mov_b32_e32 v7, v6
	ds_write_b64 v11, v[6:7]
; %bb.9:                                ;   in Loop: Header=BB216_3 Depth=1
	s_andn2_saveexec_b64 s[6:7], s[6:7]
	s_cbranch_execz .LBB216_2
; %bb.10:                               ;   in Loop: Header=BB216_3 Depth=1
	global_load_dwordx2 v[22:23], v[4:5], off
	s_waitcnt vmcnt(0)
	ds_write_b64 v11, v[22:23]
	s_branch .LBB216_2
.LBB216_11:
	v_mov_b32_e32 v20, 0
	v_mov_b32_e32 v21, 0
	;; [unrolled: 1-line block ×8, first 2 shown]
.LBB216_12:
	s_load_dwordx2 s[0:1], s[4:5], 0x58
	s_load_dwordx2 s[2:3], s[4:5], 0x48
	s_load_dword s6, s[4:5], 0x50
	v_add_u32_e32 v4, s20, v1
	v_add_u32_e32 v0, s9, v0
	s_waitcnt lgkmcnt(0)
	s_mul_i32 s1, s1, s8
	s_mul_hi_u32 s4, s0, s8
	s_add_i32 s1, s4, s1
	v_mad_i64_i32 v[1:2], s[4:5], v4, s6, 0
	s_mul_i32 s0, s0, s8
	s_lshl_b64 s[0:1], s[0:1], 3
	s_add_u32 s7, s2, s0
	v_lshlrev_b64 v[1:2], 3, v[1:2]
	s_addc_u32 s8, s3, s1
	v_mov_b32_e32 v3, s8
	v_add_co_u32_e32 v5, vcc, s7, v1
	v_addc_co_u32_e32 v6, vcc, v3, v2, vcc
	v_cmp_le_i32_e64 s[0:1], v4, v0
	v_cmp_gt_i32_e32 vcc, s10, v0
	s_and_b64 s[0:1], s[0:1], vcc
	s_and_saveexec_b64 s[2:3], s[0:1]
	s_cbranch_execz .LBB216_14
; %bb.13:
	v_mul_f32_e32 v1, s13, v21
	v_fma_f32 v2, v20, s12, -v1
	v_ashrrev_i32_e32 v1, 31, v0
	v_lshlrev_b64 v[7:8], 3, v[0:1]
	v_mul_f32_e32 v3, s12, v21
	v_add_co_u32_e64 v7, s[0:1], v5, v7
	v_fmac_f32_e32 v3, s13, v20
	v_addc_co_u32_e64 v8, s[0:1], v6, v8, s[0:1]
	global_store_dwordx2 v[7:8], v[2:3], off
.LBB216_14:
	s_or_b64 exec, exec, s[2:3]
	v_add_u32_e32 v2, 16, v0
	v_cmp_le_i32_e64 s[2:3], v4, v2
	v_cmp_gt_i32_e64 s[0:1], s10, v2
	s_and_b64 s[2:3], s[2:3], s[0:1]
	s_and_saveexec_b64 s[4:5], s[2:3]
	s_cbranch_execz .LBB216_16
; %bb.15:
	v_ashrrev_i32_e32 v3, 31, v2
	v_lshlrev_b64 v[9:10], 3, v[2:3]
	v_mul_f32_e32 v1, s13, v19
	v_mul_f32_e32 v8, s12, v19
	v_add_co_u32_e64 v5, s[2:3], v5, v9
	v_fma_f32 v7, v18, s12, -v1
	v_fmac_f32_e32 v8, s13, v18
	v_addc_co_u32_e64 v6, s[2:3], v6, v10, s[2:3]
	global_store_dwordx2 v[5:6], v[7:8], off
.LBB216_16:
	s_or_b64 exec, exec, s[4:5]
	v_add_u32_e32 v3, 16, v4
	v_mad_i64_i32 v[4:5], s[2:3], v3, s6, 0
	v_mov_b32_e32 v1, s8
	v_lshlrev_b64 v[4:5], 3, v[4:5]
	v_add_co_u32_e64 v4, s[2:3], s7, v4
	v_addc_co_u32_e64 v5, s[2:3], v1, v5, s[2:3]
	v_cmp_le_i32_e64 s[2:3], v3, v0
	s_and_b64 s[4:5], s[2:3], vcc
	s_and_saveexec_b64 s[2:3], s[4:5]
	s_cbranch_execz .LBB216_18
; %bb.17:
	v_mul_f32_e32 v1, s13, v15
	v_fma_f32 v6, v14, s12, -v1
	v_ashrrev_i32_e32 v1, 31, v0
	v_lshlrev_b64 v[0:1], 3, v[0:1]
	v_mul_f32_e32 v7, s12, v15
	v_add_co_u32_e32 v0, vcc, v4, v0
	v_fmac_f32_e32 v7, s13, v14
	v_addc_co_u32_e32 v1, vcc, v5, v1, vcc
	global_store_dwordx2 v[0:1], v[6:7], off
.LBB216_18:
	s_or_b64 exec, exec, s[2:3]
	v_cmp_le_i32_e32 vcc, v3, v2
	s_and_b64 s[0:1], vcc, s[0:1]
	s_and_saveexec_b64 s[2:3], s[0:1]
	s_cbranch_execz .LBB216_20
; %bb.19:
	v_ashrrev_i32_e32 v3, 31, v2
	v_lshlrev_b64 v[2:3], 3, v[2:3]
	v_mul_f32_e32 v0, s13, v17
	v_mul_f32_e32 v1, s12, v17
	v_add_co_u32_e32 v2, vcc, v4, v2
	v_fma_f32 v0, v16, s12, -v0
	v_fmac_f32_e32 v1, s13, v16
	v_addc_co_u32_e32 v3, vcc, v5, v3, vcc
	global_store_dwordx2 v[2:3], v[0:1], off
.LBB216_20:
	s_endpgm
	.section	.rodata,"a",@progbits
	.p2align	6, 0x0
	.amdhsa_kernel _ZL34rocblas_syrkx_herkx_general_kernelIi19rocblas_complex_numIfELi16ELi32ELi8ELb1ELb0ELc84ELc76EKS1_S1_EviT_T0_PT8_S3_lS6_S3_lS4_PT9_S3_li
		.amdhsa_group_segment_fixed_size 4096
		.amdhsa_private_segment_fixed_size 0
		.amdhsa_kernarg_size 100
		.amdhsa_user_sgpr_count 6
		.amdhsa_user_sgpr_private_segment_buffer 1
		.amdhsa_user_sgpr_dispatch_ptr 0
		.amdhsa_user_sgpr_queue_ptr 0
		.amdhsa_user_sgpr_kernarg_segment_ptr 1
		.amdhsa_user_sgpr_dispatch_id 0
		.amdhsa_user_sgpr_flat_scratch_init 0
		.amdhsa_user_sgpr_private_segment_size 0
		.amdhsa_uses_dynamic_stack 0
		.amdhsa_system_sgpr_private_segment_wavefront_offset 0
		.amdhsa_system_sgpr_workgroup_id_x 1
		.amdhsa_system_sgpr_workgroup_id_y 1
		.amdhsa_system_sgpr_workgroup_id_z 1
		.amdhsa_system_sgpr_workgroup_info 0
		.amdhsa_system_vgpr_workitem_id 1
		.amdhsa_next_free_vgpr 48
		.amdhsa_next_free_sgpr 23
		.amdhsa_reserve_vcc 1
		.amdhsa_reserve_flat_scratch 0
		.amdhsa_float_round_mode_32 0
		.amdhsa_float_round_mode_16_64 0
		.amdhsa_float_denorm_mode_32 3
		.amdhsa_float_denorm_mode_16_64 3
		.amdhsa_dx10_clamp 1
		.amdhsa_ieee_mode 1
		.amdhsa_fp16_overflow 0
		.amdhsa_exception_fp_ieee_invalid_op 0
		.amdhsa_exception_fp_denorm_src 0
		.amdhsa_exception_fp_ieee_div_zero 0
		.amdhsa_exception_fp_ieee_overflow 0
		.amdhsa_exception_fp_ieee_underflow 0
		.amdhsa_exception_fp_ieee_inexact 0
		.amdhsa_exception_int_div_zero 0
	.end_amdhsa_kernel
	.section	.text._ZL34rocblas_syrkx_herkx_general_kernelIi19rocblas_complex_numIfELi16ELi32ELi8ELb1ELb0ELc84ELc76EKS1_S1_EviT_T0_PT8_S3_lS6_S3_lS4_PT9_S3_li,"axG",@progbits,_ZL34rocblas_syrkx_herkx_general_kernelIi19rocblas_complex_numIfELi16ELi32ELi8ELb1ELb0ELc84ELc76EKS1_S1_EviT_T0_PT8_S3_lS6_S3_lS4_PT9_S3_li,comdat
.Lfunc_end216:
	.size	_ZL34rocblas_syrkx_herkx_general_kernelIi19rocblas_complex_numIfELi16ELi32ELi8ELb1ELb0ELc84ELc76EKS1_S1_EviT_T0_PT8_S3_lS6_S3_lS4_PT9_S3_li, .Lfunc_end216-_ZL34rocblas_syrkx_herkx_general_kernelIi19rocblas_complex_numIfELi16ELi32ELi8ELb1ELb0ELc84ELc76EKS1_S1_EviT_T0_PT8_S3_lS6_S3_lS4_PT9_S3_li
                                        ; -- End function
	.set _ZL34rocblas_syrkx_herkx_general_kernelIi19rocblas_complex_numIfELi16ELi32ELi8ELb1ELb0ELc84ELc76EKS1_S1_EviT_T0_PT8_S3_lS6_S3_lS4_PT9_S3_li.num_vgpr, 48
	.set _ZL34rocblas_syrkx_herkx_general_kernelIi19rocblas_complex_numIfELi16ELi32ELi8ELb1ELb0ELc84ELc76EKS1_S1_EviT_T0_PT8_S3_lS6_S3_lS4_PT9_S3_li.num_agpr, 0
	.set _ZL34rocblas_syrkx_herkx_general_kernelIi19rocblas_complex_numIfELi16ELi32ELi8ELb1ELb0ELc84ELc76EKS1_S1_EviT_T0_PT8_S3_lS6_S3_lS4_PT9_S3_li.numbered_sgpr, 23
	.set _ZL34rocblas_syrkx_herkx_general_kernelIi19rocblas_complex_numIfELi16ELi32ELi8ELb1ELb0ELc84ELc76EKS1_S1_EviT_T0_PT8_S3_lS6_S3_lS4_PT9_S3_li.num_named_barrier, 0
	.set _ZL34rocblas_syrkx_herkx_general_kernelIi19rocblas_complex_numIfELi16ELi32ELi8ELb1ELb0ELc84ELc76EKS1_S1_EviT_T0_PT8_S3_lS6_S3_lS4_PT9_S3_li.private_seg_size, 0
	.set _ZL34rocblas_syrkx_herkx_general_kernelIi19rocblas_complex_numIfELi16ELi32ELi8ELb1ELb0ELc84ELc76EKS1_S1_EviT_T0_PT8_S3_lS6_S3_lS4_PT9_S3_li.uses_vcc, 1
	.set _ZL34rocblas_syrkx_herkx_general_kernelIi19rocblas_complex_numIfELi16ELi32ELi8ELb1ELb0ELc84ELc76EKS1_S1_EviT_T0_PT8_S3_lS6_S3_lS4_PT9_S3_li.uses_flat_scratch, 0
	.set _ZL34rocblas_syrkx_herkx_general_kernelIi19rocblas_complex_numIfELi16ELi32ELi8ELb1ELb0ELc84ELc76EKS1_S1_EviT_T0_PT8_S3_lS6_S3_lS4_PT9_S3_li.has_dyn_sized_stack, 0
	.set _ZL34rocblas_syrkx_herkx_general_kernelIi19rocblas_complex_numIfELi16ELi32ELi8ELb1ELb0ELc84ELc76EKS1_S1_EviT_T0_PT8_S3_lS6_S3_lS4_PT9_S3_li.has_recursion, 0
	.set _ZL34rocblas_syrkx_herkx_general_kernelIi19rocblas_complex_numIfELi16ELi32ELi8ELb1ELb0ELc84ELc76EKS1_S1_EviT_T0_PT8_S3_lS6_S3_lS4_PT9_S3_li.has_indirect_call, 0
	.section	.AMDGPU.csdata,"",@progbits
; Kernel info:
; codeLenInByte = 2128
; TotalNumSgprs: 27
; NumVgprs: 48
; ScratchSize: 0
; MemoryBound: 1
; FloatMode: 240
; IeeeMode: 1
; LDSByteSize: 4096 bytes/workgroup (compile time only)
; SGPRBlocks: 3
; VGPRBlocks: 11
; NumSGPRsForWavesPerEU: 27
; NumVGPRsForWavesPerEU: 48
; Occupancy: 5
; WaveLimiterHint : 0
; COMPUTE_PGM_RSRC2:SCRATCH_EN: 0
; COMPUTE_PGM_RSRC2:USER_SGPR: 6
; COMPUTE_PGM_RSRC2:TRAP_HANDLER: 0
; COMPUTE_PGM_RSRC2:TGID_X_EN: 1
; COMPUTE_PGM_RSRC2:TGID_Y_EN: 1
; COMPUTE_PGM_RSRC2:TGID_Z_EN: 1
; COMPUTE_PGM_RSRC2:TIDIG_COMP_CNT: 1
	.section	.text._ZL34rocblas_syrkx_herkx_general_kernelIi19rocblas_complex_numIfELi16ELi32ELi8ELb1ELb0ELc67ELc76EKS1_S1_EviT_T0_PT8_S3_lS6_S3_lS4_PT9_S3_li,"axG",@progbits,_ZL34rocblas_syrkx_herkx_general_kernelIi19rocblas_complex_numIfELi16ELi32ELi8ELb1ELb0ELc67ELc76EKS1_S1_EviT_T0_PT8_S3_lS6_S3_lS4_PT9_S3_li,comdat
	.globl	_ZL34rocblas_syrkx_herkx_general_kernelIi19rocblas_complex_numIfELi16ELi32ELi8ELb1ELb0ELc67ELc76EKS1_S1_EviT_T0_PT8_S3_lS6_S3_lS4_PT9_S3_li ; -- Begin function _ZL34rocblas_syrkx_herkx_general_kernelIi19rocblas_complex_numIfELi16ELi32ELi8ELb1ELb0ELc67ELc76EKS1_S1_EviT_T0_PT8_S3_lS6_S3_lS4_PT9_S3_li
	.p2align	8
	.type	_ZL34rocblas_syrkx_herkx_general_kernelIi19rocblas_complex_numIfELi16ELi32ELi8ELb1ELb0ELc67ELc76EKS1_S1_EviT_T0_PT8_S3_lS6_S3_lS4_PT9_S3_li,@function
_ZL34rocblas_syrkx_herkx_general_kernelIi19rocblas_complex_numIfELi16ELi32ELi8ELb1ELb0ELc67ELc76EKS1_S1_EviT_T0_PT8_S3_lS6_S3_lS4_PT9_S3_li: ; @_ZL34rocblas_syrkx_herkx_general_kernelIi19rocblas_complex_numIfELi16ELi32ELi8ELb1ELb0ELc67ELc76EKS1_S1_EviT_T0_PT8_S3_lS6_S3_lS4_PT9_S3_li
; %bb.0:
	s_load_dwordx2 s[10:11], s[4:5], 0x0
	s_load_dwordx4 s[12:15], s[4:5], 0x8
	s_lshl_b32 s6, s6, 5
	s_lshl_b32 s7, s7, 5
	s_mov_b32 s9, 0
	s_waitcnt lgkmcnt(0)
	s_cmp_lt_i32 s11, 1
	s_cbranch_scc1 .LBB217_9
; %bb.1:
	v_lshl_add_u32 v2, v1, 4, v0
	v_and_b32_e32 v9, 7, v0
	v_lshrrev_b32_e32 v10, 5, v2
	v_lshrrev_b32_e32 v3, 3, v2
	v_and_b32_e32 v2, 31, v2
	s_load_dword s2, s[4:5], 0x18
	s_load_dwordx4 s[16:19], s[4:5], 0x20
	s_load_dword s22, s[4:5], 0x30
	s_load_dwordx2 s[20:21], s[4:5], 0x38
	v_or_b32_e32 v5, s6, v2
	v_lshlrev_b32_e32 v6, 3, v9
	v_add_u32_e32 v4, s7, v3
	v_cmp_gt_i32_e32 vcc, s10, v5
	v_lshlrev_b32_e32 v5, 3, v2
	v_lshl_or_b32 v3, v3, 6, v6
	v_add_u32_e32 v2, s6, v2
	v_add_u32_e32 v12, 0x800, v3
	s_waitcnt lgkmcnt(0)
	v_mad_i64_i32 v[2:3], s[2:3], s2, v2, 0
	s_mul_i32 s2, s17, s8
	s_mul_hi_u32 s3, s16, s8
	v_lshlrev_b64 v[2:3], 3, v[2:3]
	s_add_i32 s3, s3, s2
	s_mul_i32 s2, s16, s8
	v_lshl_or_b32 v11, v10, 8, v5
	v_mov_b32_e32 v5, 0x800
	s_lshl_b64 s[2:3], s[2:3], 3
	v_lshl_add_u32 v14, v1, 6, v5
	v_mov_b32_e32 v5, s3
	v_add_co_u32_e64 v2, s[2:3], s2, v2
	v_addc_co_u32_e64 v3, s[2:3], v3, v5, s[2:3]
	v_lshlrev_b32_e32 v5, 3, v10
	v_add_co_u32_e64 v2, s[2:3], v2, v5
	v_addc_co_u32_e64 v3, s[2:3], 0, v3, s[2:3]
	v_mov_b32_e32 v5, s15
	v_add_co_u32_e64 v2, s[2:3], s14, v2
	v_cmp_gt_i32_e64 s[0:1], s10, v4
	v_addc_co_u32_e64 v3, s[2:3], v5, v3, s[2:3]
	v_mad_i64_i32 v[4:5], s[2:3], s22, v4, 0
	v_add_co_u32_e64 v2, s[2:3], 4, v2
	v_addc_co_u32_e64 v3, s[2:3], 0, v3, s[2:3]
	s_mul_i32 s2, s21, s8
	s_mul_hi_u32 s3, s20, s8
	v_lshlrev_b64 v[4:5], 3, v[4:5]
	s_add_i32 s3, s3, s2
	s_mul_i32 s2, s20, s8
	s_lshl_b64 s[2:3], s[2:3], 3
	v_mov_b32_e32 v7, s3
	v_add_co_u32_e64 v4, s[2:3], s2, v4
	v_addc_co_u32_e64 v5, s[2:3], v5, v7, s[2:3]
	v_add_co_u32_e64 v4, s[2:3], v4, v6
	v_addc_co_u32_e64 v5, s[2:3], 0, v5, s[2:3]
	v_mov_b32_e32 v6, s19
	v_add_co_u32_e64 v4, s[2:3], s18, v4
	v_addc_co_u32_e64 v5, s[2:3], v6, v5, s[2:3]
	v_lshlrev_b32_e32 v13, 3, v0
	s_xor_b64 s[2:3], s[0:1], -1
	v_mov_b32_e32 v18, 0
	v_mov_b32_e32 v17, 0
	;; [unrolled: 1-line block ×9, first 2 shown]
	s_branch .LBB217_3
.LBB217_2:                              ;   in Loop: Header=BB217_3 Depth=1
	s_or_b64 exec, exec, s[0:1]
	s_waitcnt lgkmcnt(0)
	s_barrier
	ds_read2_b64 v[23:26], v13 offset1:16
	ds_read_b128 v[27:30], v14
	ds_read_b128 v[31:34], v14 offset:16
	ds_read_b128 v[35:38], v14 offset:1024
	v_add_co_u32_e64 v2, s[0:1], 64, v2
	s_waitcnt lgkmcnt(2)
	v_mul_f32_e32 v7, v28, v24
	v_mul_f32_e32 v8, v27, v24
	v_fma_f32 v7, v27, v23, -v7
	v_fmac_f32_e32 v8, v28, v23
	v_add_f32_e32 v7, v21, v7
	v_add_f32_e32 v8, v22, v8
	v_mul_f32_e32 v21, v28, v26
	v_mul_f32_e32 v22, v27, v26
	v_fma_f32 v21, v27, v25, -v21
	v_fmac_f32_e32 v22, v28, v25
	v_add_f32_e32 v27, v19, v21
	v_add_f32_e32 v28, v20, v22
	ds_read_b128 v[19:22], v14 offset:1040
	s_waitcnt lgkmcnt(1)
	v_mul_f32_e32 v39, v36, v24
	v_mul_f32_e32 v24, v35, v24
	v_fma_f32 v39, v35, v23, -v39
	v_fmac_f32_e32 v24, v36, v23
	v_mul_f32_e32 v23, v36, v26
	v_fma_f32 v47, v35, v25, -v23
	v_mul_f32_e32 v35, v35, v26
	v_add_f32_e32 v15, v15, v39
	v_add_f32_e32 v16, v16, v24
	v_fmac_f32_e32 v35, v36, v25
	ds_read2_b64 v[23:26], v13 offset0:32 offset1:48
	ds_read_b128 v[39:42], v14 offset:32
	ds_read_b128 v[43:46], v14 offset:48
	v_add_f32_e32 v36, v17, v47
	v_add_f32_e32 v35, v18, v35
	s_waitcnt lgkmcnt(2)
	v_mul_f32_e32 v17, v30, v24
	v_fma_f32 v17, v29, v23, -v17
	v_mul_f32_e32 v18, v29, v24
	v_fmac_f32_e32 v18, v30, v23
	v_add_f32_e32 v7, v7, v17
	v_mul_f32_e32 v17, v30, v26
	v_add_f32_e32 v8, v8, v18
	v_fma_f32 v17, v29, v25, -v17
	v_mul_f32_e32 v18, v29, v26
	v_fmac_f32_e32 v18, v30, v25
	v_add_f32_e32 v27, v27, v17
	v_mul_f32_e32 v17, v38, v24
	v_add_f32_e32 v28, v28, v18
	;; [unrolled: 6-line block ×3, first 2 shown]
	v_fma_f32 v29, v37, v25, -v15
	ds_read2_b64 v[15:18], v13 offset0:64 offset1:80
	v_mul_f32_e32 v26, v37, v26
	v_fmac_f32_e32 v26, v38, v25
	v_add_f32_e32 v30, v35, v26
	v_add_f32_e32 v29, v36, v29
	s_waitcnt lgkmcnt(0)
	v_mul_f32_e32 v25, v32, v16
	v_fma_f32 v25, v31, v15, -v25
	v_add_f32_e32 v7, v7, v25
	v_mul_f32_e32 v25, v32, v18
	v_mul_f32_e32 v26, v31, v16
	v_fma_f32 v25, v31, v17, -v25
	v_fmac_f32_e32 v26, v32, v15
	v_add_f32_e32 v27, v27, v25
	v_mul_f32_e32 v25, v20, v16
	v_add_f32_e32 v8, v8, v26
	v_mul_f32_e32 v26, v31, v18
	v_fma_f32 v25, v19, v15, -v25
	v_mul_f32_e32 v16, v19, v16
	v_fmac_f32_e32 v26, v32, v17
	v_fmac_f32_e32 v16, v20, v15
	v_add_f32_e32 v15, v23, v25
	v_mul_f32_e32 v23, v20, v18
	v_add_f32_e32 v28, v28, v26
	v_add_f32_e32 v16, v24, v16
	v_fma_f32 v31, v19, v17, -v23
	ds_read2_b64 v[23:26], v13 offset0:96 offset1:112
	v_mul_f32_e32 v18, v19, v18
	v_fmac_f32_e32 v18, v20, v17
	v_add_f32_e32 v20, v30, v18
	v_add_f32_e32 v19, v29, v31
	s_waitcnt lgkmcnt(0)
	v_mul_f32_e32 v17, v34, v24
	v_fma_f32 v17, v33, v23, -v17
	v_mul_f32_e32 v18, v33, v24
	v_fmac_f32_e32 v18, v34, v23
	v_add_f32_e32 v7, v7, v17
	v_mul_f32_e32 v17, v34, v26
	v_add_f32_e32 v8, v8, v18
	v_fma_f32 v17, v33, v25, -v17
	v_mul_f32_e32 v18, v33, v26
	v_fmac_f32_e32 v18, v34, v25
	v_add_f32_e32 v27, v27, v17
	v_mul_f32_e32 v17, v22, v24
	v_add_f32_e32 v28, v28, v18
	;; [unrolled: 6-line block ×3, first 2 shown]
	v_fma_f32 v23, v21, v25, -v15
	ds_read2_b64 v[15:18], v13 offset0:128 offset1:144
	v_mul_f32_e32 v21, v21, v26
	v_fmac_f32_e32 v21, v22, v25
	v_add_f32_e32 v31, v19, v23
	v_add_f32_e32 v32, v20, v21
	s_waitcnt lgkmcnt(0)
	v_mul_f32_e32 v19, v40, v16
	v_fma_f32 v19, v39, v15, -v19
	v_mul_f32_e32 v20, v39, v16
	v_fmac_f32_e32 v20, v40, v15
	v_add_f32_e32 v7, v7, v19
	v_mul_f32_e32 v19, v40, v18
	v_add_f32_e32 v8, v8, v20
	v_fma_f32 v23, v39, v17, -v19
	ds_read_b128 v[19:22], v14 offset:1056
	v_mul_f32_e32 v24, v39, v18
	v_fmac_f32_e32 v24, v40, v17
	v_add_f32_e32 v33, v27, v23
	v_add_f32_e32 v34, v28, v24
	ds_read_b128 v[23:26], v14 offset:1072
	s_waitcnt lgkmcnt(1)
	v_mul_f32_e32 v27, v20, v16
	v_fma_f32 v27, v19, v15, -v27
	v_mul_f32_e32 v16, v19, v16
	v_fmac_f32_e32 v16, v20, v15
	v_add_f32_e32 v15, v29, v27
	v_mul_f32_e32 v27, v20, v18
	v_add_f32_e32 v16, v30, v16
	v_fma_f32 v35, v19, v17, -v27
	ds_read2_b64 v[27:30], v13 offset0:160 offset1:176
	v_mul_f32_e32 v18, v19, v18
	v_fmac_f32_e32 v18, v20, v17
	v_add_f32_e32 v20, v32, v18
	v_add_f32_e32 v19, v31, v35
	s_waitcnt lgkmcnt(0)
	v_mul_f32_e32 v17, v42, v28
	v_fma_f32 v17, v41, v27, -v17
	v_mul_f32_e32 v18, v41, v28
	v_fmac_f32_e32 v18, v42, v27
	v_add_f32_e32 v7, v7, v17
	v_mul_f32_e32 v17, v42, v30
	v_add_f32_e32 v8, v8, v18
	v_fma_f32 v17, v41, v29, -v17
	v_mul_f32_e32 v18, v41, v30
	v_fmac_f32_e32 v18, v42, v29
	v_add_f32_e32 v31, v33, v17
	v_mul_f32_e32 v17, v22, v28
	v_add_f32_e32 v32, v34, v18
	;; [unrolled: 6-line block ×3, first 2 shown]
	v_fma_f32 v33, v21, v29, -v15
	ds_read2_b64 v[15:18], v13 offset0:192 offset1:208
	v_mul_f32_e32 v21, v21, v30
	v_fmac_f32_e32 v21, v22, v29
	v_add_f32_e32 v20, v20, v21
	v_add_f32_e32 v19, v19, v33
	s_waitcnt lgkmcnt(0)
	v_mul_f32_e32 v21, v44, v16
	v_fma_f32 v21, v43, v15, -v21
	v_add_f32_e32 v7, v7, v21
	v_mul_f32_e32 v21, v44, v18
	v_fma_f32 v21, v43, v17, -v21
	v_mul_f32_e32 v22, v43, v16
	v_add_f32_e32 v31, v31, v21
	v_mul_f32_e32 v21, v24, v16
	v_mul_f32_e32 v16, v23, v16
	v_fma_f32 v21, v23, v15, -v21
	v_fmac_f32_e32 v16, v24, v15
	v_fmac_f32_e32 v22, v44, v15
	v_add_f32_e32 v15, v27, v21
	v_add_f32_e32 v16, v28, v16
	ds_read2_b64 v[27:30], v13 offset0:224 offset1:240
	v_add_f32_e32 v8, v8, v22
	v_mul_f32_e32 v22, v43, v18
	v_mul_f32_e32 v21, v24, v18
	;; [unrolled: 1-line block ×3, first 2 shown]
	v_fma_f32 v21, v23, v17, -v21
	v_fmac_f32_e32 v18, v24, v17
	v_fmac_f32_e32 v22, v44, v17
	v_add_f32_e32 v17, v19, v21
	v_add_f32_e32 v18, v20, v18
	s_waitcnt lgkmcnt(0)
	v_mul_f32_e32 v19, v46, v28
	v_mul_f32_e32 v20, v45, v28
	v_fma_f32 v19, v45, v27, -v19
	v_fmac_f32_e32 v20, v46, v27
	v_add_f32_e32 v32, v32, v22
	v_add_f32_e32 v21, v7, v19
	;; [unrolled: 1-line block ×3, first 2 shown]
	v_mul_f32_e32 v7, v46, v30
	v_mul_f32_e32 v8, v45, v30
	v_fma_f32 v7, v45, v29, -v7
	v_fmac_f32_e32 v8, v46, v29
	v_add_f32_e32 v19, v31, v7
	v_add_f32_e32 v20, v32, v8
	v_mul_f32_e32 v7, v26, v28
	v_mul_f32_e32 v8, v25, v28
	v_fma_f32 v7, v25, v27, -v7
	v_fmac_f32_e32 v8, v26, v27
	v_add_f32_e32 v15, v15, v7
	v_add_f32_e32 v16, v16, v8
	v_mul_f32_e32 v7, v26, v30
	v_mul_f32_e32 v8, v25, v30
	v_addc_co_u32_e64 v3, s[0:1], 0, v3, s[0:1]
	v_fma_f32 v7, v25, v29, -v7
	v_fmac_f32_e32 v8, v26, v29
	s_add_i32 s9, s9, 8
	v_add_co_u32_e64 v4, s[0:1], 64, v4
	v_add_f32_e32 v17, v17, v7
	v_add_f32_e32 v18, v18, v8
	s_cmp_ge_i32 s9, s11
	v_addc_co_u32_e64 v5, s[0:1], 0, v5, s[0:1]
	s_barrier
	s_cbranch_scc1 .LBB217_10
.LBB217_3:                              ; =>This Inner Loop Header: Depth=1
	v_add_u32_e32 v7, s9, v10
	v_cmp_gt_i32_e64 s[0:1], s11, v7
	s_and_b64 s[14:15], vcc, s[0:1]
	v_mov_b32_e32 v7, 0
	v_mov_b32_e32 v8, 0
	s_and_saveexec_b64 s[0:1], s[14:15]
	s_cbranch_execz .LBB217_5
; %bb.4:                                ;   in Loop: Header=BB217_3 Depth=1
	global_load_dwordx2 v[7:8], v[2:3], off offset:-4
.LBB217_5:                              ;   in Loop: Header=BB217_3 Depth=1
	s_or_b64 exec, exec, s[0:1]
	s_waitcnt vmcnt(0)
	ds_write_b64 v11, v[7:8]
	v_add_u32_e32 v7, s9, v9
	v_cmp_le_i32_e64 s[0:1], s11, v7
	s_or_b64 s[0:1], s[0:1], s[2:3]
	s_and_saveexec_b64 s[14:15], s[0:1]
	s_xor_b64 s[0:1], exec, s[14:15]
; %bb.6:                                ;   in Loop: Header=BB217_3 Depth=1
	v_mov_b32_e32 v7, v6
	ds_write_b64 v12, v[6:7]
; %bb.7:                                ;   in Loop: Header=BB217_3 Depth=1
	s_andn2_saveexec_b64 s[0:1], s[0:1]
	s_cbranch_execz .LBB217_2
; %bb.8:                                ;   in Loop: Header=BB217_3 Depth=1
	global_load_dwordx2 v[7:8], v[4:5], off
	s_waitcnt vmcnt(0)
	ds_write_b64 v12, v[7:8]
	s_branch .LBB217_2
.LBB217_9:
	v_mov_b32_e32 v21, 0
	v_mov_b32_e32 v22, 0
	;; [unrolled: 1-line block ×8, first 2 shown]
.LBB217_10:
	s_load_dwordx2 s[0:1], s[4:5], 0x58
	s_load_dwordx2 s[2:3], s[4:5], 0x48
	s_load_dword s9, s[4:5], 0x50
	v_add_u32_e32 v4, s7, v1
	v_add_u32_e32 v0, s6, v0
	s_waitcnt lgkmcnt(0)
	s_mul_i32 s1, s1, s8
	s_mul_hi_u32 s4, s0, s8
	s_add_i32 s1, s4, s1
	v_mad_i64_i32 v[1:2], s[4:5], v4, s9, 0
	s_mul_i32 s0, s0, s8
	s_lshl_b64 s[0:1], s[0:1], 3
	s_add_u32 s7, s2, s0
	v_lshlrev_b64 v[1:2], 3, v[1:2]
	s_addc_u32 s8, s3, s1
	v_mov_b32_e32 v3, s8
	v_add_co_u32_e32 v5, vcc, s7, v1
	v_addc_co_u32_e32 v6, vcc, v3, v2, vcc
	v_cmp_le_i32_e64 s[0:1], v4, v0
	v_cmp_gt_i32_e32 vcc, s10, v0
	s_and_b64 s[0:1], s[0:1], vcc
	s_and_saveexec_b64 s[2:3], s[0:1]
	s_cbranch_execz .LBB217_12
; %bb.11:
	v_mul_f32_e32 v1, s13, v22
	v_fma_f32 v2, v21, s12, -v1
	v_ashrrev_i32_e32 v1, 31, v0
	v_lshlrev_b64 v[7:8], 3, v[0:1]
	v_mul_f32_e32 v3, s12, v22
	v_add_co_u32_e64 v7, s[0:1], v5, v7
	v_fmac_f32_e32 v3, s13, v21
	v_addc_co_u32_e64 v8, s[0:1], v6, v8, s[0:1]
	global_store_dwordx2 v[7:8], v[2:3], off
.LBB217_12:
	s_or_b64 exec, exec, s[2:3]
	v_add_u32_e32 v2, 16, v0
	v_cmp_le_i32_e64 s[2:3], v4, v2
	v_cmp_gt_i32_e64 s[0:1], s10, v2
	s_and_b64 s[2:3], s[2:3], s[0:1]
	s_and_saveexec_b64 s[4:5], s[2:3]
	s_cbranch_execz .LBB217_14
; %bb.13:
	v_ashrrev_i32_e32 v3, 31, v2
	v_lshlrev_b64 v[9:10], 3, v[2:3]
	v_mul_f32_e32 v1, s13, v20
	v_mul_f32_e32 v8, s12, v20
	v_add_co_u32_e64 v5, s[2:3], v5, v9
	v_fma_f32 v7, v19, s12, -v1
	v_fmac_f32_e32 v8, s13, v19
	v_addc_co_u32_e64 v6, s[2:3], v6, v10, s[2:3]
	global_store_dwordx2 v[5:6], v[7:8], off
.LBB217_14:
	s_or_b64 exec, exec, s[4:5]
	v_add_u32_e32 v3, 16, v4
	v_mad_i64_i32 v[4:5], s[2:3], v3, s9, 0
	v_mov_b32_e32 v1, s8
	v_lshlrev_b64 v[4:5], 3, v[4:5]
	v_add_co_u32_e64 v4, s[2:3], s7, v4
	v_addc_co_u32_e64 v5, s[2:3], v1, v5, s[2:3]
	v_cmp_le_i32_e64 s[2:3], v3, v0
	s_and_b64 s[4:5], s[2:3], vcc
	s_and_saveexec_b64 s[2:3], s[4:5]
	s_cbranch_execz .LBB217_16
; %bb.15:
	v_mul_f32_e32 v1, s13, v16
	v_fma_f32 v6, v15, s12, -v1
	v_ashrrev_i32_e32 v1, 31, v0
	v_lshlrev_b64 v[0:1], 3, v[0:1]
	v_mul_f32_e32 v7, s12, v16
	v_add_co_u32_e32 v0, vcc, v4, v0
	v_fmac_f32_e32 v7, s13, v15
	v_addc_co_u32_e32 v1, vcc, v5, v1, vcc
	global_store_dwordx2 v[0:1], v[6:7], off
.LBB217_16:
	s_or_b64 exec, exec, s[2:3]
	v_cmp_le_i32_e32 vcc, v3, v2
	s_and_b64 s[0:1], vcc, s[0:1]
	s_and_saveexec_b64 s[2:3], s[0:1]
	s_cbranch_execz .LBB217_18
; %bb.17:
	v_ashrrev_i32_e32 v3, 31, v2
	v_lshlrev_b64 v[2:3], 3, v[2:3]
	v_mul_f32_e32 v0, s13, v18
	v_mul_f32_e32 v1, s12, v18
	v_add_co_u32_e32 v2, vcc, v4, v2
	v_fma_f32 v0, v17, s12, -v0
	v_fmac_f32_e32 v1, s13, v17
	v_addc_co_u32_e32 v3, vcc, v5, v3, vcc
	global_store_dwordx2 v[2:3], v[0:1], off
.LBB217_18:
	s_endpgm
	.section	.rodata,"a",@progbits
	.p2align	6, 0x0
	.amdhsa_kernel _ZL34rocblas_syrkx_herkx_general_kernelIi19rocblas_complex_numIfELi16ELi32ELi8ELb1ELb0ELc67ELc76EKS1_S1_EviT_T0_PT8_S3_lS6_S3_lS4_PT9_S3_li
		.amdhsa_group_segment_fixed_size 4096
		.amdhsa_private_segment_fixed_size 0
		.amdhsa_kernarg_size 100
		.amdhsa_user_sgpr_count 6
		.amdhsa_user_sgpr_private_segment_buffer 1
		.amdhsa_user_sgpr_dispatch_ptr 0
		.amdhsa_user_sgpr_queue_ptr 0
		.amdhsa_user_sgpr_kernarg_segment_ptr 1
		.amdhsa_user_sgpr_dispatch_id 0
		.amdhsa_user_sgpr_flat_scratch_init 0
		.amdhsa_user_sgpr_private_segment_size 0
		.amdhsa_uses_dynamic_stack 0
		.amdhsa_system_sgpr_private_segment_wavefront_offset 0
		.amdhsa_system_sgpr_workgroup_id_x 1
		.amdhsa_system_sgpr_workgroup_id_y 1
		.amdhsa_system_sgpr_workgroup_id_z 1
		.amdhsa_system_sgpr_workgroup_info 0
		.amdhsa_system_vgpr_workitem_id 1
		.amdhsa_next_free_vgpr 48
		.amdhsa_next_free_sgpr 23
		.amdhsa_reserve_vcc 1
		.amdhsa_reserve_flat_scratch 0
		.amdhsa_float_round_mode_32 0
		.amdhsa_float_round_mode_16_64 0
		.amdhsa_float_denorm_mode_32 3
		.amdhsa_float_denorm_mode_16_64 3
		.amdhsa_dx10_clamp 1
		.amdhsa_ieee_mode 1
		.amdhsa_fp16_overflow 0
		.amdhsa_exception_fp_ieee_invalid_op 0
		.amdhsa_exception_fp_denorm_src 0
		.amdhsa_exception_fp_ieee_div_zero 0
		.amdhsa_exception_fp_ieee_overflow 0
		.amdhsa_exception_fp_ieee_underflow 0
		.amdhsa_exception_fp_ieee_inexact 0
		.amdhsa_exception_int_div_zero 0
	.end_amdhsa_kernel
	.section	.text._ZL34rocblas_syrkx_herkx_general_kernelIi19rocblas_complex_numIfELi16ELi32ELi8ELb1ELb0ELc67ELc76EKS1_S1_EviT_T0_PT8_S3_lS6_S3_lS4_PT9_S3_li,"axG",@progbits,_ZL34rocblas_syrkx_herkx_general_kernelIi19rocblas_complex_numIfELi16ELi32ELi8ELb1ELb0ELc67ELc76EKS1_S1_EviT_T0_PT8_S3_lS6_S3_lS4_PT9_S3_li,comdat
.Lfunc_end217:
	.size	_ZL34rocblas_syrkx_herkx_general_kernelIi19rocblas_complex_numIfELi16ELi32ELi8ELb1ELb0ELc67ELc76EKS1_S1_EviT_T0_PT8_S3_lS6_S3_lS4_PT9_S3_li, .Lfunc_end217-_ZL34rocblas_syrkx_herkx_general_kernelIi19rocblas_complex_numIfELi16ELi32ELi8ELb1ELb0ELc67ELc76EKS1_S1_EviT_T0_PT8_S3_lS6_S3_lS4_PT9_S3_li
                                        ; -- End function
	.set _ZL34rocblas_syrkx_herkx_general_kernelIi19rocblas_complex_numIfELi16ELi32ELi8ELb1ELb0ELc67ELc76EKS1_S1_EviT_T0_PT8_S3_lS6_S3_lS4_PT9_S3_li.num_vgpr, 48
	.set _ZL34rocblas_syrkx_herkx_general_kernelIi19rocblas_complex_numIfELi16ELi32ELi8ELb1ELb0ELc67ELc76EKS1_S1_EviT_T0_PT8_S3_lS6_S3_lS4_PT9_S3_li.num_agpr, 0
	.set _ZL34rocblas_syrkx_herkx_general_kernelIi19rocblas_complex_numIfELi16ELi32ELi8ELb1ELb0ELc67ELc76EKS1_S1_EviT_T0_PT8_S3_lS6_S3_lS4_PT9_S3_li.numbered_sgpr, 23
	.set _ZL34rocblas_syrkx_herkx_general_kernelIi19rocblas_complex_numIfELi16ELi32ELi8ELb1ELb0ELc67ELc76EKS1_S1_EviT_T0_PT8_S3_lS6_S3_lS4_PT9_S3_li.num_named_barrier, 0
	.set _ZL34rocblas_syrkx_herkx_general_kernelIi19rocblas_complex_numIfELi16ELi32ELi8ELb1ELb0ELc67ELc76EKS1_S1_EviT_T0_PT8_S3_lS6_S3_lS4_PT9_S3_li.private_seg_size, 0
	.set _ZL34rocblas_syrkx_herkx_general_kernelIi19rocblas_complex_numIfELi16ELi32ELi8ELb1ELb0ELc67ELc76EKS1_S1_EviT_T0_PT8_S3_lS6_S3_lS4_PT9_S3_li.uses_vcc, 1
	.set _ZL34rocblas_syrkx_herkx_general_kernelIi19rocblas_complex_numIfELi16ELi32ELi8ELb1ELb0ELc67ELc76EKS1_S1_EviT_T0_PT8_S3_lS6_S3_lS4_PT9_S3_li.uses_flat_scratch, 0
	.set _ZL34rocblas_syrkx_herkx_general_kernelIi19rocblas_complex_numIfELi16ELi32ELi8ELb1ELb0ELc67ELc76EKS1_S1_EviT_T0_PT8_S3_lS6_S3_lS4_PT9_S3_li.has_dyn_sized_stack, 0
	.set _ZL34rocblas_syrkx_herkx_general_kernelIi19rocblas_complex_numIfELi16ELi32ELi8ELb1ELb0ELc67ELc76EKS1_S1_EviT_T0_PT8_S3_lS6_S3_lS4_PT9_S3_li.has_recursion, 0
	.set _ZL34rocblas_syrkx_herkx_general_kernelIi19rocblas_complex_numIfELi16ELi32ELi8ELb1ELb0ELc67ELc76EKS1_S1_EviT_T0_PT8_S3_lS6_S3_lS4_PT9_S3_li.has_indirect_call, 0
	.section	.AMDGPU.csdata,"",@progbits
; Kernel info:
; codeLenInByte = 2152
; TotalNumSgprs: 27
; NumVgprs: 48
; ScratchSize: 0
; MemoryBound: 1
; FloatMode: 240
; IeeeMode: 1
; LDSByteSize: 4096 bytes/workgroup (compile time only)
; SGPRBlocks: 3
; VGPRBlocks: 11
; NumSGPRsForWavesPerEU: 27
; NumVGPRsForWavesPerEU: 48
; Occupancy: 5
; WaveLimiterHint : 0
; COMPUTE_PGM_RSRC2:SCRATCH_EN: 0
; COMPUTE_PGM_RSRC2:USER_SGPR: 6
; COMPUTE_PGM_RSRC2:TRAP_HANDLER: 0
; COMPUTE_PGM_RSRC2:TGID_X_EN: 1
; COMPUTE_PGM_RSRC2:TGID_Y_EN: 1
; COMPUTE_PGM_RSRC2:TGID_Z_EN: 1
; COMPUTE_PGM_RSRC2:TIDIG_COMP_CNT: 1
	.section	.text._ZL34rocblas_syrkx_herkx_general_kernelIi19rocblas_complex_numIfELi16ELi32ELi8ELb1ELb0ELc78ELc76EKS1_S1_EviT_T0_PT8_S3_lS6_S3_lS4_PT9_S3_li,"axG",@progbits,_ZL34rocblas_syrkx_herkx_general_kernelIi19rocblas_complex_numIfELi16ELi32ELi8ELb1ELb0ELc78ELc76EKS1_S1_EviT_T0_PT8_S3_lS6_S3_lS4_PT9_S3_li,comdat
	.globl	_ZL34rocblas_syrkx_herkx_general_kernelIi19rocblas_complex_numIfELi16ELi32ELi8ELb1ELb0ELc78ELc76EKS1_S1_EviT_T0_PT8_S3_lS6_S3_lS4_PT9_S3_li ; -- Begin function _ZL34rocblas_syrkx_herkx_general_kernelIi19rocblas_complex_numIfELi16ELi32ELi8ELb1ELb0ELc78ELc76EKS1_S1_EviT_T0_PT8_S3_lS6_S3_lS4_PT9_S3_li
	.p2align	8
	.type	_ZL34rocblas_syrkx_herkx_general_kernelIi19rocblas_complex_numIfELi16ELi32ELi8ELb1ELb0ELc78ELc76EKS1_S1_EviT_T0_PT8_S3_lS6_S3_lS4_PT9_S3_li,@function
_ZL34rocblas_syrkx_herkx_general_kernelIi19rocblas_complex_numIfELi16ELi32ELi8ELb1ELb0ELc78ELc76EKS1_S1_EviT_T0_PT8_S3_lS6_S3_lS4_PT9_S3_li: ; @_ZL34rocblas_syrkx_herkx_general_kernelIi19rocblas_complex_numIfELi16ELi32ELi8ELb1ELb0ELc78ELc76EKS1_S1_EviT_T0_PT8_S3_lS6_S3_lS4_PT9_S3_li
; %bb.0:
	s_load_dwordx2 s[10:11], s[4:5], 0x0
	s_load_dwordx4 s[12:15], s[4:5], 0x8
	s_lshl_b32 s9, s6, 5
	s_lshl_b32 s20, s7, 5
	s_mov_b32 s21, 0
	s_waitcnt lgkmcnt(0)
	s_cmp_lt_i32 s11, 1
	s_cbranch_scc1 .LBB218_9
; %bb.1:
	v_lshl_add_u32 v2, v1, 4, v0
	v_and_b32_e32 v6, 31, v2
	v_lshrrev_b32_e32 v10, 5, v2
	v_lshrrev_b32_e32 v3, 3, v2
	v_or_b32_e32 v2, s9, v6
	v_and_b32_e32 v9, 7, v0
	v_cmp_gt_i32_e64 s[0:1], s10, v2
	v_lshlrev_b32_e32 v2, 3, v6
	s_load_dword s6, s[4:5], 0x18
	s_load_dword s22, s[4:5], 0x30
	s_load_dwordx2 s[24:25], s[4:5], 0x38
	s_load_dwordx4 s[16:19], s[4:5], 0x20
	v_lshl_or_b32 v11, v10, 8, v2
	v_lshlrev_b32_e32 v2, 3, v9
	v_lshl_or_b32 v2, v3, 6, v2
	v_add_u32_e32 v4, s20, v3
	v_add_u32_e32 v12, 0x800, v2
	s_waitcnt lgkmcnt(0)
	v_mad_i64_i32 v[2:3], s[2:3], v10, s6, 0
	s_mul_i32 s2, s17, s8
	s_mul_hi_u32 s3, s16, s8
	v_lshlrev_b64 v[2:3], 3, v[2:3]
	s_add_i32 s3, s3, s2
	s_mul_i32 s2, s16, s8
	v_mov_b32_e32 v7, 0x800
	s_lshl_b64 s[2:3], s[2:3], 3
	v_lshl_add_u32 v14, v1, 6, v7
	v_mov_b32_e32 v7, s3
	v_add_co_u32_e64 v8, s[2:3], s2, v2
	v_add_u32_e32 v2, s9, v6
	v_addc_co_u32_e64 v7, s[2:3], v3, v7, s[2:3]
	v_ashrrev_i32_e32 v3, 31, v2
	v_lshlrev_b64 v[2:3], 3, v[2:3]
	v_mov_b32_e32 v6, s15
	v_add_co_u32_e64 v2, s[2:3], v8, v2
	v_addc_co_u32_e64 v3, s[2:3], v7, v3, s[2:3]
	v_add_co_u32_e64 v2, s[2:3], s14, v2
	v_addc_co_u32_e64 v3, s[2:3], v6, v3, s[2:3]
	v_mad_i64_i32 v[6:7], s[2:3], s22, v9, 0
	s_mul_i32 s14, s25, s8
	s_mul_hi_u32 s15, s24, s8
	s_add_i32 s3, s15, s14
	s_mul_i32 s2, s24, s8
	v_lshlrev_b64 v[6:7], 3, v[6:7]
	v_ashrrev_i32_e32 v5, 31, v4
	s_lshl_b64 s[2:3], s[2:3], 3
	v_cmp_gt_i32_e32 vcc, s10, v4
	v_mov_b32_e32 v8, s3
	v_add_co_u32_e64 v6, s[2:3], s2, v6
	v_lshlrev_b64 v[4:5], 3, v[4:5]
	v_addc_co_u32_e64 v7, s[2:3], v8, v7, s[2:3]
	v_add_co_u32_e64 v4, s[2:3], v6, v4
	v_addc_co_u32_e64 v5, s[2:3], v7, v5, s[2:3]
	v_mov_b32_e32 v6, s19
	v_add_co_u32_e64 v4, s[2:3], s18, v4
	v_addc_co_u32_e64 v5, s[2:3], v6, v5, s[2:3]
	v_add_co_u32_e64 v4, s[2:3], 4, v4
	s_ashr_i32 s7, s6, 31
	s_ashr_i32 s23, s22, 31
	v_addc_co_u32_e64 v5, s[2:3], 0, v5, s[2:3]
	s_lshl_b64 s[6:7], s[6:7], 6
	s_lshl_b64 s[2:3], s[22:23], 6
	v_lshlrev_b32_e32 v13, 3, v0
	s_xor_b64 s[14:15], s[0:1], -1
	v_mov_b32_e32 v15, s7
	v_mov_b32_e32 v16, s3
	;; [unrolled: 1-line block ×11, first 2 shown]
	s_branch .LBB218_3
.LBB218_2:                              ;   in Loop: Header=BB218_3 Depth=1
	s_or_b64 exec, exec, s[0:1]
	s_waitcnt vmcnt(0)
	ds_write_b64 v12, v[7:8]
	s_waitcnt lgkmcnt(0)
	s_barrier
	ds_read2_b64 v[25:28], v13 offset1:16
	ds_read_b128 v[29:32], v14
	ds_read_b128 v[33:36], v14 offset:16
	ds_read_b128 v[37:40], v14 offset:1024
	ds_read2_b64 v[41:44], v13 offset0:32 offset1:48
	v_add_co_u32_e64 v2, s[0:1], s6, v2
	s_waitcnt lgkmcnt(3)
	v_mul_f32_e32 v7, v30, v26
	v_mul_f32_e32 v8, v29, v26
	v_fma_f32 v7, v29, v25, -v7
	v_fmac_f32_e32 v8, v30, v25
	v_add_f32_e32 v7, v21, v7
	v_add_f32_e32 v8, v22, v8
	v_mul_f32_e32 v21, v30, v28
	v_mul_f32_e32 v22, v29, v28
	v_fma_f32 v21, v29, v27, -v21
	v_fmac_f32_e32 v22, v30, v27
	v_add_f32_e32 v45, v23, v21
	v_add_f32_e32 v46, v24, v22
	ds_read_b128 v[21:24], v14 offset:1040
	s_waitcnt lgkmcnt(2)
	v_mul_f32_e32 v29, v38, v26
	v_fma_f32 v29, v37, v25, -v29
	v_mul_f32_e32 v47, v37, v26
	v_add_f32_e32 v48, v18, v29
	v_mul_f32_e32 v18, v38, v28
	v_fmac_f32_e32 v47, v38, v25
	v_fma_f32 v18, v37, v27, -v18
	v_mul_f32_e32 v37, v37, v28
	s_waitcnt lgkmcnt(1)
	v_mul_f32_e32 v25, v32, v42
	v_fmac_f32_e32 v37, v38, v27
	v_fma_f32 v38, v31, v41, -v25
	v_mul_f32_e32 v25, v32, v44
	v_fma_f32 v50, v31, v43, -v25
	v_mul_f32_e32 v25, v40, v42
	v_mul_f32_e32 v49, v31, v42
	v_fma_f32 v52, v39, v41, -v25
	v_mul_f32_e32 v42, v39, v42
	v_mul_f32_e32 v25, v40, v44
	v_fmac_f32_e32 v49, v32, v41
	v_mul_f32_e32 v51, v31, v44
	v_fmac_f32_e32 v42, v40, v41
	v_fma_f32 v41, v39, v43, -v25
	v_mul_f32_e32 v39, v39, v44
	v_fmac_f32_e32 v51, v32, v43
	v_fmac_f32_e32 v39, v40, v43
	ds_read_b128 v[25:28], v14 offset:32
	ds_read_b128 v[29:32], v14 offset:48
	v_add_f32_e32 v40, v17, v47
	v_add_f32_e32 v43, v19, v18
	;; [unrolled: 1-line block ×3, first 2 shown]
	ds_read2_b64 v[17:20], v13 offset0:64 offset1:80
	v_add_f32_e32 v40, v40, v42
	v_add_f32_e32 v42, v37, v39
	;; [unrolled: 1-line block ×4, first 2 shown]
	s_waitcnt lgkmcnt(0)
	v_mul_f32_e32 v37, v34, v18
	v_fma_f32 v37, v33, v17, -v37
	v_add_f32_e32 v7, v7, v37
	v_mul_f32_e32 v37, v34, v20
	v_mul_f32_e32 v39, v33, v18
	v_fma_f32 v37, v33, v19, -v37
	v_mul_f32_e32 v33, v33, v20
	v_fmac_f32_e32 v39, v34, v17
	v_fmac_f32_e32 v33, v34, v19
	v_add_f32_e32 v34, v38, v37
	v_mul_f32_e32 v37, v22, v18
	v_add_f32_e32 v45, v48, v52
	v_fma_f32 v37, v21, v17, -v37
	v_mul_f32_e32 v18, v21, v18
	v_add_f32_e32 v8, v8, v49
	v_fmac_f32_e32 v18, v22, v17
	v_add_f32_e32 v17, v45, v37
	v_mul_f32_e32 v37, v22, v20
	v_add_f32_e32 v41, v43, v41
	v_add_f32_e32 v8, v8, v39
	;; [unrolled: 1-line block ×3, first 2 shown]
	v_fma_f32 v43, v21, v19, -v37
	ds_read2_b64 v[37:40], v13 offset0:96 offset1:112
	v_mul_f32_e32 v20, v21, v20
	v_fmac_f32_e32 v20, v22, v19
	v_add_f32_e32 v22, v42, v20
	v_add_f32_e32 v44, v46, v51
	s_waitcnt lgkmcnt(0)
	v_mul_f32_e32 v19, v36, v38
	v_fma_f32 v19, v35, v37, -v19
	v_mul_f32_e32 v20, v35, v38
	v_fmac_f32_e32 v20, v36, v37
	v_add_f32_e32 v7, v7, v19
	v_mul_f32_e32 v19, v36, v40
	v_add_f32_e32 v8, v8, v20
	v_fma_f32 v19, v35, v39, -v19
	v_mul_f32_e32 v20, v35, v40
	v_add_f32_e32 v33, v44, v33
	v_fmac_f32_e32 v20, v36, v39
	v_add_f32_e32 v34, v34, v19
	v_mul_f32_e32 v19, v24, v38
	v_add_f32_e32 v33, v33, v20
	v_fma_f32 v19, v23, v37, -v19
	v_mul_f32_e32 v20, v23, v38
	v_fmac_f32_e32 v20, v24, v37
	v_add_f32_e32 v37, v17, v19
	v_mul_f32_e32 v17, v24, v40
	v_add_f32_e32 v38, v18, v20
	v_fma_f32 v35, v23, v39, -v17
	ds_read2_b64 v[17:20], v13 offset0:128 offset1:144
	v_add_f32_e32 v21, v41, v43
	v_mul_f32_e32 v23, v23, v40
	v_fmac_f32_e32 v23, v24, v39
	v_add_f32_e32 v41, v21, v35
	s_waitcnt lgkmcnt(0)
	v_mul_f32_e32 v21, v26, v18
	v_add_f32_e32 v42, v22, v23
	v_fma_f32 v21, v25, v17, -v21
	v_mul_f32_e32 v22, v25, v18
	v_fmac_f32_e32 v22, v26, v17
	v_add_f32_e32 v7, v7, v21
	v_mul_f32_e32 v21, v26, v20
	v_add_f32_e32 v8, v8, v22
	v_fma_f32 v35, v25, v19, -v21
	ds_read_b128 v[21:24], v14 offset:1056
	v_mul_f32_e32 v25, v25, v20
	v_fmac_f32_e32 v25, v26, v19
	v_add_f32_e32 v26, v34, v35
	v_add_f32_e32 v25, v33, v25
	ds_read_b128 v[33:36], v14 offset:1072
	s_waitcnt lgkmcnt(1)
	v_mul_f32_e32 v39, v22, v18
	v_fma_f32 v39, v21, v17, -v39
	v_mul_f32_e32 v18, v21, v18
	v_fmac_f32_e32 v18, v22, v17
	v_add_f32_e32 v17, v37, v39
	v_mul_f32_e32 v37, v22, v20
	v_add_f32_e32 v18, v38, v18
	v_fma_f32 v43, v21, v19, -v37
	ds_read2_b64 v[37:40], v13 offset0:160 offset1:176
	v_mul_f32_e32 v20, v21, v20
	v_fmac_f32_e32 v20, v22, v19
	v_add_f32_e32 v22, v42, v20
	v_add_f32_e32 v21, v41, v43
	s_waitcnt lgkmcnt(0)
	v_mul_f32_e32 v19, v28, v38
	v_fma_f32 v19, v27, v37, -v19
	v_mul_f32_e32 v20, v27, v38
	v_fmac_f32_e32 v20, v28, v37
	v_add_f32_e32 v7, v7, v19
	v_mul_f32_e32 v19, v28, v40
	v_add_f32_e32 v8, v8, v20
	v_fma_f32 v19, v27, v39, -v19
	v_mul_f32_e32 v20, v27, v40
	v_fmac_f32_e32 v20, v28, v39
	v_add_f32_e32 v26, v26, v19
	v_mul_f32_e32 v19, v24, v38
	v_add_f32_e32 v25, v25, v20
	;; [unrolled: 6-line block ×3, first 2 shown]
	v_fma_f32 v37, v23, v39, -v17
	ds_read2_b64 v[17:20], v13 offset0:192 offset1:208
	v_mul_f32_e32 v23, v23, v40
	v_fmac_f32_e32 v23, v24, v39
	v_add_f32_e32 v22, v22, v23
	v_add_f32_e32 v21, v21, v37
	s_waitcnt lgkmcnt(0)
	v_mul_f32_e32 v24, v29, v18
	v_fmac_f32_e32 v24, v30, v17
	v_mul_f32_e32 v23, v30, v18
	v_add_f32_e32 v8, v8, v24
	v_mul_f32_e32 v24, v29, v20
	v_fma_f32 v23, v29, v17, -v23
	v_fmac_f32_e32 v24, v30, v19
	v_add_f32_e32 v7, v7, v23
	v_mul_f32_e32 v23, v30, v20
	v_add_f32_e32 v24, v25, v24
	v_mul_f32_e32 v25, v34, v18
	v_mul_f32_e32 v18, v33, v18
	v_fma_f32 v23, v29, v19, -v23
	v_fma_f32 v25, v33, v17, -v25
	v_fmac_f32_e32 v18, v34, v17
	v_add_f32_e32 v23, v26, v23
	v_add_f32_e32 v17, v27, v25
	;; [unrolled: 1-line block ×3, first 2 shown]
	ds_read2_b64 v[25:28], v13 offset0:224 offset1:240
	v_mul_f32_e32 v18, v34, v20
	v_mul_f32_e32 v20, v33, v20
	v_fma_f32 v18, v33, v19, -v18
	v_fmac_f32_e32 v20, v34, v19
	v_add_f32_e32 v19, v21, v18
	v_add_f32_e32 v20, v22, v20
	s_waitcnt lgkmcnt(0)
	v_mul_f32_e32 v18, v32, v26
	v_mul_f32_e32 v22, v31, v26
	v_fma_f32 v18, v31, v25, -v18
	v_fmac_f32_e32 v22, v32, v25
	v_add_f32_e32 v21, v7, v18
	v_add_f32_e32 v22, v8, v22
	v_mul_f32_e32 v7, v32, v28
	v_mul_f32_e32 v8, v31, v28
	v_fma_f32 v7, v31, v27, -v7
	v_fmac_f32_e32 v8, v32, v27
	v_add_f32_e32 v23, v23, v7
	v_add_f32_e32 v24, v24, v8
	v_mul_f32_e32 v7, v36, v26
	v_mul_f32_e32 v8, v35, v26
	v_fma_f32 v7, v35, v25, -v7
	v_fmac_f32_e32 v8, v36, v25
	v_add_f32_e32 v18, v17, v7
	v_add_f32_e32 v17, v29, v8
	v_mul_f32_e32 v7, v36, v28
	v_mul_f32_e32 v8, v35, v28
	v_addc_co_u32_e64 v3, s[0:1], v3, v15, s[0:1]
	v_fma_f32 v7, v35, v27, -v7
	v_fmac_f32_e32 v8, v36, v27
	s_add_i32 s21, s21, 8
	v_add_co_u32_e64 v4, s[0:1], s2, v4
	v_add_f32_e32 v19, v19, v7
	v_add_f32_e32 v20, v20, v8
	s_cmp_ge_i32 s21, s11
	v_addc_co_u32_e64 v5, s[0:1], v5, v16, s[0:1]
	s_barrier
	s_cbranch_scc1 .LBB218_10
.LBB218_3:                              ; =>This Inner Loop Header: Depth=1
	v_add_u32_e32 v7, s21, v10
	v_cmp_le_i32_e64 s[0:1], s11, v7
	s_or_b64 s[0:1], s[14:15], s[0:1]
	s_and_saveexec_b64 s[16:17], s[0:1]
	s_xor_b64 s[0:1], exec, s[16:17]
; %bb.4:                                ;   in Loop: Header=BB218_3 Depth=1
	v_mov_b32_e32 v7, v6
	ds_write_b64 v11, v[6:7]
; %bb.5:                                ;   in Loop: Header=BB218_3 Depth=1
	s_andn2_saveexec_b64 s[0:1], s[0:1]
	s_cbranch_execz .LBB218_7
; %bb.6:                                ;   in Loop: Header=BB218_3 Depth=1
	global_load_dwordx2 v[7:8], v[2:3], off
	s_waitcnt vmcnt(0)
	ds_write_b64 v11, v[7:8]
.LBB218_7:                              ;   in Loop: Header=BB218_3 Depth=1
	s_or_b64 exec, exec, s[0:1]
	v_add_u32_e32 v7, s21, v9
	v_cmp_gt_i32_e64 s[0:1], s11, v7
	s_and_b64 s[16:17], s[0:1], vcc
	v_mov_b32_e32 v7, 0
	v_mov_b32_e32 v8, 0
	s_and_saveexec_b64 s[0:1], s[16:17]
	s_cbranch_execz .LBB218_2
; %bb.8:                                ;   in Loop: Header=BB218_3 Depth=1
	global_load_dwordx2 v[7:8], v[4:5], off offset:-4
	s_branch .LBB218_2
.LBB218_9:
	v_mov_b32_e32 v21, 0
	v_mov_b32_e32 v22, 0
	;; [unrolled: 1-line block ×8, first 2 shown]
.LBB218_10:
	s_load_dwordx2 s[0:1], s[4:5], 0x58
	s_load_dwordx2 s[2:3], s[4:5], 0x48
	s_load_dword s6, s[4:5], 0x50
	v_add_u32_e32 v4, s20, v1
	v_add_u32_e32 v0, s9, v0
	s_waitcnt lgkmcnt(0)
	s_mul_i32 s1, s1, s8
	s_mul_hi_u32 s4, s0, s8
	s_add_i32 s1, s4, s1
	v_mad_i64_i32 v[1:2], s[4:5], v4, s6, 0
	s_mul_i32 s0, s0, s8
	s_lshl_b64 s[0:1], s[0:1], 3
	s_add_u32 s7, s2, s0
	v_lshlrev_b64 v[1:2], 3, v[1:2]
	s_addc_u32 s8, s3, s1
	v_mov_b32_e32 v3, s8
	v_add_co_u32_e32 v5, vcc, s7, v1
	v_addc_co_u32_e32 v6, vcc, v3, v2, vcc
	v_cmp_le_i32_e64 s[0:1], v4, v0
	v_cmp_gt_i32_e32 vcc, s10, v0
	s_and_b64 s[0:1], s[0:1], vcc
	s_and_saveexec_b64 s[2:3], s[0:1]
	s_cbranch_execz .LBB218_12
; %bb.11:
	v_mul_f32_e32 v1, s13, v22
	v_fma_f32 v2, v21, s12, -v1
	v_ashrrev_i32_e32 v1, 31, v0
	v_lshlrev_b64 v[7:8], 3, v[0:1]
	v_mul_f32_e32 v3, s12, v22
	v_add_co_u32_e64 v7, s[0:1], v5, v7
	v_fmac_f32_e32 v3, s13, v21
	v_addc_co_u32_e64 v8, s[0:1], v6, v8, s[0:1]
	global_store_dwordx2 v[7:8], v[2:3], off
.LBB218_12:
	s_or_b64 exec, exec, s[2:3]
	v_add_u32_e32 v2, 16, v0
	v_cmp_le_i32_e64 s[2:3], v4, v2
	v_cmp_gt_i32_e64 s[0:1], s10, v2
	s_and_b64 s[2:3], s[2:3], s[0:1]
	s_and_saveexec_b64 s[4:5], s[2:3]
	s_cbranch_execz .LBB218_14
; %bb.13:
	v_ashrrev_i32_e32 v3, 31, v2
	v_lshlrev_b64 v[9:10], 3, v[2:3]
	v_mul_f32_e32 v1, s13, v24
	v_mul_f32_e32 v8, s12, v24
	v_add_co_u32_e64 v5, s[2:3], v5, v9
	v_fma_f32 v7, v23, s12, -v1
	v_fmac_f32_e32 v8, s13, v23
	v_addc_co_u32_e64 v6, s[2:3], v6, v10, s[2:3]
	global_store_dwordx2 v[5:6], v[7:8], off
.LBB218_14:
	s_or_b64 exec, exec, s[4:5]
	v_add_u32_e32 v3, 16, v4
	v_mad_i64_i32 v[4:5], s[2:3], v3, s6, 0
	v_mov_b32_e32 v1, s8
	v_lshlrev_b64 v[4:5], 3, v[4:5]
	v_add_co_u32_e64 v4, s[2:3], s7, v4
	v_addc_co_u32_e64 v5, s[2:3], v1, v5, s[2:3]
	v_cmp_le_i32_e64 s[2:3], v3, v0
	s_and_b64 s[4:5], s[2:3], vcc
	s_and_saveexec_b64 s[2:3], s[4:5]
	s_cbranch_execz .LBB218_16
; %bb.15:
	v_mul_f32_e32 v1, s13, v17
	v_fma_f32 v6, v18, s12, -v1
	v_ashrrev_i32_e32 v1, 31, v0
	v_lshlrev_b64 v[0:1], 3, v[0:1]
	v_mul_f32_e32 v7, s12, v17
	v_add_co_u32_e32 v0, vcc, v4, v0
	v_fmac_f32_e32 v7, s13, v18
	v_addc_co_u32_e32 v1, vcc, v5, v1, vcc
	global_store_dwordx2 v[0:1], v[6:7], off
.LBB218_16:
	s_or_b64 exec, exec, s[2:3]
	v_cmp_le_i32_e32 vcc, v3, v2
	s_and_b64 s[0:1], vcc, s[0:1]
	s_and_saveexec_b64 s[2:3], s[0:1]
	s_cbranch_execz .LBB218_18
; %bb.17:
	v_ashrrev_i32_e32 v3, 31, v2
	v_lshlrev_b64 v[2:3], 3, v[2:3]
	v_mul_f32_e32 v0, s13, v20
	v_mul_f32_e32 v1, s12, v20
	v_add_co_u32_e32 v2, vcc, v4, v2
	v_fma_f32 v0, v19, s12, -v0
	v_fmac_f32_e32 v1, s13, v19
	v_addc_co_u32_e32 v3, vcc, v5, v3, vcc
	global_store_dwordx2 v[2:3], v[0:1], off
.LBB218_18:
	s_endpgm
	.section	.rodata,"a",@progbits
	.p2align	6, 0x0
	.amdhsa_kernel _ZL34rocblas_syrkx_herkx_general_kernelIi19rocblas_complex_numIfELi16ELi32ELi8ELb1ELb0ELc78ELc76EKS1_S1_EviT_T0_PT8_S3_lS6_S3_lS4_PT9_S3_li
		.amdhsa_group_segment_fixed_size 4096
		.amdhsa_private_segment_fixed_size 0
		.amdhsa_kernarg_size 100
		.amdhsa_user_sgpr_count 6
		.amdhsa_user_sgpr_private_segment_buffer 1
		.amdhsa_user_sgpr_dispatch_ptr 0
		.amdhsa_user_sgpr_queue_ptr 0
		.amdhsa_user_sgpr_kernarg_segment_ptr 1
		.amdhsa_user_sgpr_dispatch_id 0
		.amdhsa_user_sgpr_flat_scratch_init 0
		.amdhsa_user_sgpr_private_segment_size 0
		.amdhsa_uses_dynamic_stack 0
		.amdhsa_system_sgpr_private_segment_wavefront_offset 0
		.amdhsa_system_sgpr_workgroup_id_x 1
		.amdhsa_system_sgpr_workgroup_id_y 1
		.amdhsa_system_sgpr_workgroup_id_z 1
		.amdhsa_system_sgpr_workgroup_info 0
		.amdhsa_system_vgpr_workitem_id 1
		.amdhsa_next_free_vgpr 53
		.amdhsa_next_free_sgpr 26
		.amdhsa_reserve_vcc 1
		.amdhsa_reserve_flat_scratch 0
		.amdhsa_float_round_mode_32 0
		.amdhsa_float_round_mode_16_64 0
		.amdhsa_float_denorm_mode_32 3
		.amdhsa_float_denorm_mode_16_64 3
		.amdhsa_dx10_clamp 1
		.amdhsa_ieee_mode 1
		.amdhsa_fp16_overflow 0
		.amdhsa_exception_fp_ieee_invalid_op 0
		.amdhsa_exception_fp_denorm_src 0
		.amdhsa_exception_fp_ieee_div_zero 0
		.amdhsa_exception_fp_ieee_overflow 0
		.amdhsa_exception_fp_ieee_underflow 0
		.amdhsa_exception_fp_ieee_inexact 0
		.amdhsa_exception_int_div_zero 0
	.end_amdhsa_kernel
	.section	.text._ZL34rocblas_syrkx_herkx_general_kernelIi19rocblas_complex_numIfELi16ELi32ELi8ELb1ELb0ELc78ELc76EKS1_S1_EviT_T0_PT8_S3_lS6_S3_lS4_PT9_S3_li,"axG",@progbits,_ZL34rocblas_syrkx_herkx_general_kernelIi19rocblas_complex_numIfELi16ELi32ELi8ELb1ELb0ELc78ELc76EKS1_S1_EviT_T0_PT8_S3_lS6_S3_lS4_PT9_S3_li,comdat
.Lfunc_end218:
	.size	_ZL34rocblas_syrkx_herkx_general_kernelIi19rocblas_complex_numIfELi16ELi32ELi8ELb1ELb0ELc78ELc76EKS1_S1_EviT_T0_PT8_S3_lS6_S3_lS4_PT9_S3_li, .Lfunc_end218-_ZL34rocblas_syrkx_herkx_general_kernelIi19rocblas_complex_numIfELi16ELi32ELi8ELb1ELb0ELc78ELc76EKS1_S1_EviT_T0_PT8_S3_lS6_S3_lS4_PT9_S3_li
                                        ; -- End function
	.set _ZL34rocblas_syrkx_herkx_general_kernelIi19rocblas_complex_numIfELi16ELi32ELi8ELb1ELb0ELc78ELc76EKS1_S1_EviT_T0_PT8_S3_lS6_S3_lS4_PT9_S3_li.num_vgpr, 53
	.set _ZL34rocblas_syrkx_herkx_general_kernelIi19rocblas_complex_numIfELi16ELi32ELi8ELb1ELb0ELc78ELc76EKS1_S1_EviT_T0_PT8_S3_lS6_S3_lS4_PT9_S3_li.num_agpr, 0
	.set _ZL34rocblas_syrkx_herkx_general_kernelIi19rocblas_complex_numIfELi16ELi32ELi8ELb1ELb0ELc78ELc76EKS1_S1_EviT_T0_PT8_S3_lS6_S3_lS4_PT9_S3_li.numbered_sgpr, 26
	.set _ZL34rocblas_syrkx_herkx_general_kernelIi19rocblas_complex_numIfELi16ELi32ELi8ELb1ELb0ELc78ELc76EKS1_S1_EviT_T0_PT8_S3_lS6_S3_lS4_PT9_S3_li.num_named_barrier, 0
	.set _ZL34rocblas_syrkx_herkx_general_kernelIi19rocblas_complex_numIfELi16ELi32ELi8ELb1ELb0ELc78ELc76EKS1_S1_EviT_T0_PT8_S3_lS6_S3_lS4_PT9_S3_li.private_seg_size, 0
	.set _ZL34rocblas_syrkx_herkx_general_kernelIi19rocblas_complex_numIfELi16ELi32ELi8ELb1ELb0ELc78ELc76EKS1_S1_EviT_T0_PT8_S3_lS6_S3_lS4_PT9_S3_li.uses_vcc, 1
	.set _ZL34rocblas_syrkx_herkx_general_kernelIi19rocblas_complex_numIfELi16ELi32ELi8ELb1ELb0ELc78ELc76EKS1_S1_EviT_T0_PT8_S3_lS6_S3_lS4_PT9_S3_li.uses_flat_scratch, 0
	.set _ZL34rocblas_syrkx_herkx_general_kernelIi19rocblas_complex_numIfELi16ELi32ELi8ELb1ELb0ELc78ELc76EKS1_S1_EviT_T0_PT8_S3_lS6_S3_lS4_PT9_S3_li.has_dyn_sized_stack, 0
	.set _ZL34rocblas_syrkx_herkx_general_kernelIi19rocblas_complex_numIfELi16ELi32ELi8ELb1ELb0ELc78ELc76EKS1_S1_EviT_T0_PT8_S3_lS6_S3_lS4_PT9_S3_li.has_recursion, 0
	.set _ZL34rocblas_syrkx_herkx_general_kernelIi19rocblas_complex_numIfELi16ELi32ELi8ELb1ELb0ELc78ELc76EKS1_S1_EviT_T0_PT8_S3_lS6_S3_lS4_PT9_S3_li.has_indirect_call, 0
	.section	.AMDGPU.csdata,"",@progbits
; Kernel info:
; codeLenInByte = 2196
; TotalNumSgprs: 30
; NumVgprs: 53
; ScratchSize: 0
; MemoryBound: 1
; FloatMode: 240
; IeeeMode: 1
; LDSByteSize: 4096 bytes/workgroup (compile time only)
; SGPRBlocks: 3
; VGPRBlocks: 13
; NumSGPRsForWavesPerEU: 30
; NumVGPRsForWavesPerEU: 53
; Occupancy: 4
; WaveLimiterHint : 0
; COMPUTE_PGM_RSRC2:SCRATCH_EN: 0
; COMPUTE_PGM_RSRC2:USER_SGPR: 6
; COMPUTE_PGM_RSRC2:TRAP_HANDLER: 0
; COMPUTE_PGM_RSRC2:TGID_X_EN: 1
; COMPUTE_PGM_RSRC2:TGID_Y_EN: 1
; COMPUTE_PGM_RSRC2:TGID_Z_EN: 1
; COMPUTE_PGM_RSRC2:TIDIG_COMP_CNT: 1
	.section	.text._ZL34rocblas_syrkx_herkx_general_kernelIi19rocblas_complex_numIfELi16ELi32ELi8ELb1ELb0ELc84ELc85EKS1_S1_EviT_T0_PT8_S3_lS6_S3_lS4_PT9_S3_li,"axG",@progbits,_ZL34rocblas_syrkx_herkx_general_kernelIi19rocblas_complex_numIfELi16ELi32ELi8ELb1ELb0ELc84ELc85EKS1_S1_EviT_T0_PT8_S3_lS6_S3_lS4_PT9_S3_li,comdat
	.globl	_ZL34rocblas_syrkx_herkx_general_kernelIi19rocblas_complex_numIfELi16ELi32ELi8ELb1ELb0ELc84ELc85EKS1_S1_EviT_T0_PT8_S3_lS6_S3_lS4_PT9_S3_li ; -- Begin function _ZL34rocblas_syrkx_herkx_general_kernelIi19rocblas_complex_numIfELi16ELi32ELi8ELb1ELb0ELc84ELc85EKS1_S1_EviT_T0_PT8_S3_lS6_S3_lS4_PT9_S3_li
	.p2align	8
	.type	_ZL34rocblas_syrkx_herkx_general_kernelIi19rocblas_complex_numIfELi16ELi32ELi8ELb1ELb0ELc84ELc85EKS1_S1_EviT_T0_PT8_S3_lS6_S3_lS4_PT9_S3_li,@function
_ZL34rocblas_syrkx_herkx_general_kernelIi19rocblas_complex_numIfELi16ELi32ELi8ELb1ELb0ELc84ELc85EKS1_S1_EviT_T0_PT8_S3_lS6_S3_lS4_PT9_S3_li: ; @_ZL34rocblas_syrkx_herkx_general_kernelIi19rocblas_complex_numIfELi16ELi32ELi8ELb1ELb0ELc84ELc85EKS1_S1_EviT_T0_PT8_S3_lS6_S3_lS4_PT9_S3_li
; %bb.0:
	s_load_dwordx2 s[10:11], s[4:5], 0x0
	s_load_dwordx4 s[12:15], s[4:5], 0x8
	s_lshl_b32 s9, s6, 5
	s_lshl_b32 s20, s7, 5
	s_mov_b32 s21, 0
	s_waitcnt lgkmcnt(0)
	s_cmp_lt_i32 s11, 1
	s_cbranch_scc1 .LBB219_11
; %bb.1:
	v_lshl_add_u32 v2, v1, 4, v0
	v_and_b32_e32 v8, 7, v0
	v_lshrrev_b32_e32 v9, 5, v2
	v_lshrrev_b32_e32 v3, 3, v2
	v_and_b32_e32 v2, 31, v2
	s_load_dword s2, s[4:5], 0x18
	s_load_dwordx4 s[16:19], s[4:5], 0x20
	s_load_dword s22, s[4:5], 0x30
	s_load_dwordx2 s[6:7], s[4:5], 0x38
	v_or_b32_e32 v5, s9, v2
	v_lshlrev_b32_e32 v6, 3, v8
	v_add_u32_e32 v4, s20, v3
	v_cmp_gt_i32_e32 vcc, s10, v5
	v_lshlrev_b32_e32 v5, 3, v2
	v_lshl_or_b32 v3, v3, 6, v6
	v_add_u32_e32 v2, s9, v2
	v_add_u32_e32 v11, 0x800, v3
	s_waitcnt lgkmcnt(0)
	v_mad_i64_i32 v[2:3], s[2:3], s2, v2, 0
	s_mul_i32 s2, s17, s8
	s_mul_hi_u32 s3, s16, s8
	v_lshlrev_b64 v[2:3], 3, v[2:3]
	s_add_i32 s3, s3, s2
	s_mul_i32 s2, s16, s8
	v_lshl_or_b32 v10, v9, 8, v5
	v_mov_b32_e32 v5, 0x800
	s_lshl_b64 s[2:3], s[2:3], 3
	v_lshl_add_u32 v13, v1, 6, v5
	v_mov_b32_e32 v5, s3
	v_add_co_u32_e64 v2, s[2:3], s2, v2
	v_addc_co_u32_e64 v3, s[2:3], v3, v5, s[2:3]
	v_lshlrev_b32_e32 v5, 3, v9
	v_add_co_u32_e64 v2, s[2:3], v2, v5
	v_cmp_gt_i32_e64 s[0:1], s10, v4
	v_addc_co_u32_e64 v3, s[2:3], 0, v3, s[2:3]
	v_mad_i64_i32 v[4:5], s[2:3], s22, v4, 0
	v_mov_b32_e32 v7, s15
	v_add_co_u32_e64 v2, s[2:3], s14, v2
	v_addc_co_u32_e64 v3, s[2:3], v7, v3, s[2:3]
	s_mul_i32 s2, s7, s8
	s_mul_hi_u32 s3, s6, s8
	v_lshlrev_b64 v[4:5], 3, v[4:5]
	s_add_i32 s3, s3, s2
	s_mul_i32 s2, s6, s8
	s_lshl_b64 s[2:3], s[2:3], 3
	v_mov_b32_e32 v7, s3
	v_add_co_u32_e64 v4, s[2:3], s2, v4
	v_addc_co_u32_e64 v5, s[2:3], v5, v7, s[2:3]
	v_add_co_u32_e64 v4, s[2:3], v4, v6
	v_addc_co_u32_e64 v5, s[2:3], 0, v5, s[2:3]
	v_mov_b32_e32 v6, s19
	v_add_co_u32_e64 v4, s[2:3], s18, v4
	v_addc_co_u32_e64 v5, s[2:3], v6, v5, s[2:3]
	v_lshlrev_b32_e32 v12, 3, v0
	s_xor_b64 s[2:3], vcc, -1
	s_xor_b64 s[0:1], s[0:1], -1
	v_mov_b32_e32 v17, 0
	v_mov_b32_e32 v16, 0
	;; [unrolled: 1-line block ×9, first 2 shown]
	s_branch .LBB219_3
.LBB219_2:                              ;   in Loop: Header=BB219_3 Depth=1
	s_or_b64 exec, exec, s[6:7]
	s_waitcnt lgkmcnt(0)
	s_barrier
	ds_read2_b64 v[22:25], v12 offset1:16
	ds_read_b128 v[26:29], v13
	ds_read_b128 v[30:33], v13 offset:16
	v_add_co_u32_e32 v2, vcc, 64, v2
	v_addc_co_u32_e32 v3, vcc, 0, v3, vcc
	s_waitcnt lgkmcnt(1)
	v_mul_f32_e32 v34, v26, v23
	v_fmac_f32_e32 v34, v27, v22
	v_add_f32_e32 v46, v21, v34
	ds_read_b128 v[34:37], v13 offset:1024
	v_mul_f32_e32 v7, v27, v23
	v_fma_f32 v7, v26, v22, -v7
	v_add_f32_e32 v7, v20, v7
	v_mul_f32_e32 v20, v27, v25
	v_mul_f32_e32 v21, v26, v25
	v_fma_f32 v20, v26, v24, -v20
	v_fmac_f32_e32 v21, v27, v24
	v_add_f32_e32 v26, v18, v20
	v_add_f32_e32 v27, v19, v21
	ds_read_b128 v[18:21], v13 offset:1040
	s_waitcnt lgkmcnt(1)
	v_mul_f32_e32 v38, v35, v23
	v_mul_f32_e32 v23, v34, v23
	v_fma_f32 v38, v34, v22, -v38
	v_fmac_f32_e32 v23, v35, v22
	v_mul_f32_e32 v22, v35, v25
	v_fma_f32 v47, v34, v24, -v22
	v_mul_f32_e32 v34, v34, v25
	v_add_f32_e32 v14, v14, v38
	v_add_f32_e32 v15, v15, v23
	v_fmac_f32_e32 v34, v35, v24
	ds_read2_b64 v[22:25], v12 offset0:32 offset1:48
	ds_read_b128 v[38:41], v13 offset:32
	ds_read_b128 v[42:45], v13 offset:48
	v_add_f32_e32 v35, v16, v47
	v_add_f32_e32 v34, v17, v34
	s_waitcnt lgkmcnt(2)
	v_mul_f32_e32 v16, v29, v23
	v_fma_f32 v16, v28, v22, -v16
	v_mul_f32_e32 v17, v28, v23
	v_fmac_f32_e32 v17, v29, v22
	v_add_f32_e32 v7, v7, v16
	v_mul_f32_e32 v16, v29, v25
	v_add_f32_e32 v46, v46, v17
	v_fma_f32 v16, v28, v24, -v16
	v_mul_f32_e32 v17, v28, v25
	v_fmac_f32_e32 v17, v29, v24
	v_add_f32_e32 v26, v26, v16
	v_mul_f32_e32 v16, v37, v23
	v_add_f32_e32 v27, v27, v17
	;; [unrolled: 6-line block ×3, first 2 shown]
	v_fma_f32 v28, v36, v24, -v14
	ds_read2_b64 v[14:17], v12 offset0:64 offset1:80
	v_mul_f32_e32 v25, v36, v25
	v_fmac_f32_e32 v25, v37, v24
	v_add_f32_e32 v29, v34, v25
	v_add_f32_e32 v28, v35, v28
	s_waitcnt lgkmcnt(0)
	v_mul_f32_e32 v24, v31, v15
	v_fma_f32 v24, v30, v14, -v24
	v_add_f32_e32 v7, v7, v24
	v_mul_f32_e32 v24, v31, v17
	v_mul_f32_e32 v25, v30, v15
	v_fma_f32 v24, v30, v16, -v24
	v_fmac_f32_e32 v25, v31, v14
	v_add_f32_e32 v26, v26, v24
	v_mul_f32_e32 v24, v19, v15
	v_add_f32_e32 v34, v46, v25
	v_mul_f32_e32 v25, v30, v17
	v_fma_f32 v24, v18, v14, -v24
	v_mul_f32_e32 v15, v18, v15
	v_fmac_f32_e32 v25, v31, v16
	v_fmac_f32_e32 v15, v19, v14
	v_add_f32_e32 v14, v22, v24
	v_mul_f32_e32 v22, v19, v17
	v_add_f32_e32 v27, v27, v25
	v_add_f32_e32 v15, v23, v15
	v_fma_f32 v30, v18, v16, -v22
	ds_read2_b64 v[22:25], v12 offset0:96 offset1:112
	v_mul_f32_e32 v17, v18, v17
	v_fmac_f32_e32 v17, v19, v16
	v_add_f32_e32 v19, v29, v17
	v_add_f32_e32 v18, v28, v30
	s_waitcnt lgkmcnt(0)
	v_mul_f32_e32 v16, v33, v23
	v_fma_f32 v16, v32, v22, -v16
	v_mul_f32_e32 v17, v32, v23
	v_fmac_f32_e32 v17, v33, v22
	v_add_f32_e32 v7, v7, v16
	v_mul_f32_e32 v16, v33, v25
	v_add_f32_e32 v28, v34, v17
	v_fma_f32 v16, v32, v24, -v16
	v_mul_f32_e32 v17, v32, v25
	v_fmac_f32_e32 v17, v33, v24
	v_add_f32_e32 v26, v26, v16
	v_mul_f32_e32 v16, v21, v23
	v_add_f32_e32 v27, v27, v17
	;; [unrolled: 6-line block ×3, first 2 shown]
	v_fma_f32 v22, v20, v24, -v14
	ds_read2_b64 v[14:17], v12 offset0:128 offset1:144
	v_mul_f32_e32 v20, v20, v25
	v_fmac_f32_e32 v20, v21, v24
	v_add_f32_e32 v31, v18, v22
	v_add_f32_e32 v32, v19, v20
	s_waitcnt lgkmcnt(0)
	v_mul_f32_e32 v18, v39, v15
	v_fma_f32 v18, v38, v14, -v18
	v_mul_f32_e32 v19, v38, v15
	v_fmac_f32_e32 v19, v39, v14
	v_add_f32_e32 v7, v7, v18
	v_mul_f32_e32 v18, v39, v17
	v_add_f32_e32 v33, v28, v19
	v_fma_f32 v22, v38, v16, -v18
	ds_read_b128 v[18:21], v13 offset:1056
	v_mul_f32_e32 v23, v38, v17
	v_fmac_f32_e32 v23, v39, v16
	v_add_f32_e32 v34, v26, v22
	v_add_f32_e32 v35, v27, v23
	ds_read_b128 v[22:25], v13 offset:1072
	s_waitcnt lgkmcnt(1)
	v_mul_f32_e32 v26, v19, v15
	v_fma_f32 v26, v18, v14, -v26
	v_mul_f32_e32 v15, v18, v15
	v_fmac_f32_e32 v15, v19, v14
	v_add_f32_e32 v14, v29, v26
	v_mul_f32_e32 v26, v19, v17
	v_add_f32_e32 v15, v30, v15
	v_fma_f32 v30, v18, v16, -v26
	ds_read2_b64 v[26:29], v12 offset0:160 offset1:176
	v_mul_f32_e32 v17, v18, v17
	v_fmac_f32_e32 v17, v19, v16
	v_add_f32_e32 v19, v32, v17
	v_add_f32_e32 v18, v31, v30
	s_waitcnt lgkmcnt(0)
	v_mul_f32_e32 v16, v41, v27
	v_fma_f32 v16, v40, v26, -v16
	v_mul_f32_e32 v17, v40, v27
	v_fmac_f32_e32 v17, v41, v26
	v_add_f32_e32 v7, v7, v16
	v_mul_f32_e32 v16, v41, v29
	v_add_f32_e32 v30, v33, v17
	v_fma_f32 v16, v40, v28, -v16
	v_mul_f32_e32 v17, v40, v29
	v_fmac_f32_e32 v17, v41, v28
	v_add_f32_e32 v31, v34, v16
	v_mul_f32_e32 v16, v21, v27
	v_add_f32_e32 v32, v35, v17
	;; [unrolled: 6-line block ×3, first 2 shown]
	v_fma_f32 v33, v20, v28, -v14
	ds_read2_b64 v[14:17], v12 offset0:192 offset1:208
	v_mul_f32_e32 v20, v20, v29
	v_fmac_f32_e32 v20, v21, v28
	v_add_f32_e32 v19, v19, v20
	v_add_f32_e32 v18, v18, v33
	s_waitcnt lgkmcnt(0)
	v_mul_f32_e32 v20, v43, v15
	v_fma_f32 v20, v42, v14, -v20
	v_mul_f32_e32 v21, v42, v15
	v_add_f32_e32 v7, v7, v20
	v_mul_f32_e32 v20, v43, v17
	v_fmac_f32_e32 v21, v43, v14
	v_fma_f32 v20, v42, v16, -v20
	v_add_f32_e32 v21, v30, v21
	v_mul_f32_e32 v28, v42, v17
	v_add_f32_e32 v30, v31, v20
	v_mul_f32_e32 v20, v23, v15
	v_mul_f32_e32 v15, v22, v15
	v_fmac_f32_e32 v28, v43, v16
	v_fma_f32 v20, v22, v14, -v20
	v_fmac_f32_e32 v15, v23, v14
	v_add_f32_e32 v31, v32, v28
	v_add_f32_e32 v14, v26, v20
	v_add_f32_e32 v15, v27, v15
	ds_read2_b64 v[26:29], v12 offset0:224 offset1:240
	v_mul_f32_e32 v20, v23, v17
	v_fma_f32 v20, v22, v16, -v20
	v_mul_f32_e32 v17, v22, v17
	v_fmac_f32_e32 v17, v23, v16
	v_add_f32_e32 v16, v18, v20
	s_waitcnt lgkmcnt(0)
	v_mul_f32_e32 v18, v45, v27
	v_fma_f32 v18, v44, v26, -v18
	v_add_f32_e32 v20, v7, v18
	v_mul_f32_e32 v7, v45, v29
	v_fma_f32 v7, v44, v28, -v7
	v_add_f32_e32 v17, v19, v17
	v_mul_f32_e32 v19, v44, v27
	v_add_f32_e32 v18, v30, v7
	v_mul_f32_e32 v7, v25, v27
	v_mul_f32_e32 v22, v24, v27
	v_fmac_f32_e32 v19, v45, v26
	v_fma_f32 v7, v24, v26, -v7
	v_fmac_f32_e32 v22, v25, v26
	v_add_f32_e32 v21, v21, v19
	v_mul_f32_e32 v19, v44, v29
	v_add_f32_e32 v14, v14, v7
	v_add_f32_e32 v15, v15, v22
	v_mul_f32_e32 v7, v25, v29
	v_mul_f32_e32 v22, v24, v29
	v_fmac_f32_e32 v19, v45, v28
	v_fma_f32 v7, v24, v28, -v7
	v_fmac_f32_e32 v22, v25, v28
	s_add_i32 s21, s21, 8
	v_add_co_u32_e32 v4, vcc, 64, v4
	v_add_f32_e32 v19, v31, v19
	v_add_f32_e32 v16, v16, v7
	;; [unrolled: 1-line block ×3, first 2 shown]
	s_cmp_ge_i32 s21, s11
	v_addc_co_u32_e32 v5, vcc, 0, v5, vcc
	s_barrier
	s_cbranch_scc1 .LBB219_12
.LBB219_3:                              ; =>This Inner Loop Header: Depth=1
	v_add_u32_e32 v7, s21, v9
	v_cmp_le_i32_e32 vcc, s11, v7
	s_or_b64 s[6:7], s[2:3], vcc
	s_and_saveexec_b64 s[14:15], s[6:7]
	s_xor_b64 s[6:7], exec, s[14:15]
; %bb.4:                                ;   in Loop: Header=BB219_3 Depth=1
	v_mov_b32_e32 v7, v6
	ds_write_b64 v10, v[6:7]
; %bb.5:                                ;   in Loop: Header=BB219_3 Depth=1
	s_andn2_saveexec_b64 s[6:7], s[6:7]
	s_cbranch_execz .LBB219_7
; %bb.6:                                ;   in Loop: Header=BB219_3 Depth=1
	global_load_dwordx2 v[22:23], v[2:3], off
	s_waitcnt vmcnt(0)
	ds_write_b64 v10, v[22:23]
.LBB219_7:                              ;   in Loop: Header=BB219_3 Depth=1
	s_or_b64 exec, exec, s[6:7]
	v_add_u32_e32 v7, s21, v8
	v_cmp_le_i32_e32 vcc, s11, v7
	s_or_b64 s[6:7], vcc, s[0:1]
	s_and_saveexec_b64 s[14:15], s[6:7]
	s_xor_b64 s[6:7], exec, s[14:15]
; %bb.8:                                ;   in Loop: Header=BB219_3 Depth=1
	v_mov_b32_e32 v7, v6
	ds_write_b64 v11, v[6:7]
; %bb.9:                                ;   in Loop: Header=BB219_3 Depth=1
	s_andn2_saveexec_b64 s[6:7], s[6:7]
	s_cbranch_execz .LBB219_2
; %bb.10:                               ;   in Loop: Header=BB219_3 Depth=1
	global_load_dwordx2 v[22:23], v[4:5], off
	s_waitcnt vmcnt(0)
	ds_write_b64 v11, v[22:23]
	s_branch .LBB219_2
.LBB219_11:
	v_mov_b32_e32 v20, 0
	v_mov_b32_e32 v21, 0
	;; [unrolled: 1-line block ×8, first 2 shown]
.LBB219_12:
	s_load_dwordx2 s[0:1], s[4:5], 0x58
	s_load_dwordx2 s[2:3], s[4:5], 0x48
	s_load_dword s6, s[4:5], 0x50
	v_add_u32_e32 v4, s20, v1
	v_add_u32_e32 v0, s9, v0
	s_waitcnt lgkmcnt(0)
	s_mul_i32 s1, s1, s8
	s_mul_hi_u32 s4, s0, s8
	v_mad_i64_i32 v[1:2], s[14:15], v4, s6, 0
	s_mul_i32 s0, s0, s8
	s_add_i32 s1, s4, s1
	s_lshl_b64 s[0:1], s[0:1], 3
	s_add_u32 s4, s2, s0
	v_lshlrev_b64 v[1:2], 3, v[1:2]
	s_addc_u32 s5, s3, s1
	v_mov_b32_e32 v3, s5
	v_add_co_u32_e64 v5, s[0:1], s4, v1
	v_addc_co_u32_e64 v6, s[0:1], v3, v2, s[0:1]
	v_cmp_gt_i32_e32 vcc, s10, v4
	v_cmp_le_i32_e64 s[0:1], v0, v4
	s_and_b64 s[0:1], vcc, s[0:1]
	s_and_saveexec_b64 s[2:3], s[0:1]
	s_cbranch_execz .LBB219_14
; %bb.13:
	v_mul_f32_e32 v1, s13, v21
	v_fma_f32 v2, v20, s12, -v1
	v_ashrrev_i32_e32 v1, 31, v0
	v_lshlrev_b64 v[7:8], 3, v[0:1]
	v_mul_f32_e32 v3, s12, v21
	v_add_co_u32_e64 v7, s[0:1], v5, v7
	v_fmac_f32_e32 v3, s13, v20
	v_addc_co_u32_e64 v8, s[0:1], v6, v8, s[0:1]
	global_store_dwordx2 v[7:8], v[2:3], off
.LBB219_14:
	s_or_b64 exec, exec, s[2:3]
	v_add_u32_e32 v2, 16, v0
	v_cmp_le_i32_e64 s[0:1], v2, v4
	s_and_b64 s[2:3], vcc, s[0:1]
	s_and_saveexec_b64 s[0:1], s[2:3]
	s_cbranch_execz .LBB219_16
; %bb.15:
	v_ashrrev_i32_e32 v3, 31, v2
	v_lshlrev_b64 v[9:10], 3, v[2:3]
	v_mul_f32_e32 v1, s13, v19
	v_mul_f32_e32 v8, s12, v19
	v_add_co_u32_e32 v5, vcc, v5, v9
	v_fma_f32 v7, v18, s12, -v1
	v_fmac_f32_e32 v8, s13, v18
	v_addc_co_u32_e32 v6, vcc, v6, v10, vcc
	global_store_dwordx2 v[5:6], v[7:8], off
.LBB219_16:
	s_or_b64 exec, exec, s[0:1]
	v_add_u32_e32 v3, 16, v4
	v_mad_i64_i32 v[4:5], s[0:1], v3, s6, 0
	v_mov_b32_e32 v1, s5
	v_cmp_gt_i32_e32 vcc, s10, v3
	v_lshlrev_b64 v[4:5], 3, v[4:5]
	v_add_co_u32_e64 v4, s[0:1], s4, v4
	v_addc_co_u32_e64 v5, s[0:1], v1, v5, s[0:1]
	v_cmp_le_i32_e64 s[0:1], v0, v3
	s_and_b64 s[0:1], vcc, s[0:1]
	s_and_saveexec_b64 s[2:3], s[0:1]
	s_cbranch_execz .LBB219_18
; %bb.17:
	v_mul_f32_e32 v1, s13, v15
	v_fma_f32 v6, v14, s12, -v1
	v_ashrrev_i32_e32 v1, 31, v0
	v_lshlrev_b64 v[0:1], 3, v[0:1]
	v_mul_f32_e32 v7, s12, v15
	v_add_co_u32_e64 v0, s[0:1], v4, v0
	v_fmac_f32_e32 v7, s13, v14
	v_addc_co_u32_e64 v1, s[0:1], v5, v1, s[0:1]
	global_store_dwordx2 v[0:1], v[6:7], off
.LBB219_18:
	s_or_b64 exec, exec, s[2:3]
	v_cmp_le_i32_e64 s[0:1], v2, v3
	s_and_b64 s[0:1], vcc, s[0:1]
	s_and_saveexec_b64 s[2:3], s[0:1]
	s_cbranch_execz .LBB219_20
; %bb.19:
	v_ashrrev_i32_e32 v3, 31, v2
	v_lshlrev_b64 v[2:3], 3, v[2:3]
	v_mul_f32_e32 v0, s13, v17
	v_mul_f32_e32 v1, s12, v17
	v_add_co_u32_e32 v2, vcc, v4, v2
	v_fma_f32 v0, v16, s12, -v0
	v_fmac_f32_e32 v1, s13, v16
	v_addc_co_u32_e32 v3, vcc, v5, v3, vcc
	global_store_dwordx2 v[2:3], v[0:1], off
.LBB219_20:
	s_endpgm
	.section	.rodata,"a",@progbits
	.p2align	6, 0x0
	.amdhsa_kernel _ZL34rocblas_syrkx_herkx_general_kernelIi19rocblas_complex_numIfELi16ELi32ELi8ELb1ELb0ELc84ELc85EKS1_S1_EviT_T0_PT8_S3_lS6_S3_lS4_PT9_S3_li
		.amdhsa_group_segment_fixed_size 4096
		.amdhsa_private_segment_fixed_size 0
		.amdhsa_kernarg_size 100
		.amdhsa_user_sgpr_count 6
		.amdhsa_user_sgpr_private_segment_buffer 1
		.amdhsa_user_sgpr_dispatch_ptr 0
		.amdhsa_user_sgpr_queue_ptr 0
		.amdhsa_user_sgpr_kernarg_segment_ptr 1
		.amdhsa_user_sgpr_dispatch_id 0
		.amdhsa_user_sgpr_flat_scratch_init 0
		.amdhsa_user_sgpr_private_segment_size 0
		.amdhsa_uses_dynamic_stack 0
		.amdhsa_system_sgpr_private_segment_wavefront_offset 0
		.amdhsa_system_sgpr_workgroup_id_x 1
		.amdhsa_system_sgpr_workgroup_id_y 1
		.amdhsa_system_sgpr_workgroup_id_z 1
		.amdhsa_system_sgpr_workgroup_info 0
		.amdhsa_system_vgpr_workitem_id 1
		.amdhsa_next_free_vgpr 48
		.amdhsa_next_free_sgpr 23
		.amdhsa_reserve_vcc 1
		.amdhsa_reserve_flat_scratch 0
		.amdhsa_float_round_mode_32 0
		.amdhsa_float_round_mode_16_64 0
		.amdhsa_float_denorm_mode_32 3
		.amdhsa_float_denorm_mode_16_64 3
		.amdhsa_dx10_clamp 1
		.amdhsa_ieee_mode 1
		.amdhsa_fp16_overflow 0
		.amdhsa_exception_fp_ieee_invalid_op 0
		.amdhsa_exception_fp_denorm_src 0
		.amdhsa_exception_fp_ieee_div_zero 0
		.amdhsa_exception_fp_ieee_overflow 0
		.amdhsa_exception_fp_ieee_underflow 0
		.amdhsa_exception_fp_ieee_inexact 0
		.amdhsa_exception_int_div_zero 0
	.end_amdhsa_kernel
	.section	.text._ZL34rocblas_syrkx_herkx_general_kernelIi19rocblas_complex_numIfELi16ELi32ELi8ELb1ELb0ELc84ELc85EKS1_S1_EviT_T0_PT8_S3_lS6_S3_lS4_PT9_S3_li,"axG",@progbits,_ZL34rocblas_syrkx_herkx_general_kernelIi19rocblas_complex_numIfELi16ELi32ELi8ELb1ELb0ELc84ELc85EKS1_S1_EviT_T0_PT8_S3_lS6_S3_lS4_PT9_S3_li,comdat
.Lfunc_end219:
	.size	_ZL34rocblas_syrkx_herkx_general_kernelIi19rocblas_complex_numIfELi16ELi32ELi8ELb1ELb0ELc84ELc85EKS1_S1_EviT_T0_PT8_S3_lS6_S3_lS4_PT9_S3_li, .Lfunc_end219-_ZL34rocblas_syrkx_herkx_general_kernelIi19rocblas_complex_numIfELi16ELi32ELi8ELb1ELb0ELc84ELc85EKS1_S1_EviT_T0_PT8_S3_lS6_S3_lS4_PT9_S3_li
                                        ; -- End function
	.set _ZL34rocblas_syrkx_herkx_general_kernelIi19rocblas_complex_numIfELi16ELi32ELi8ELb1ELb0ELc84ELc85EKS1_S1_EviT_T0_PT8_S3_lS6_S3_lS4_PT9_S3_li.num_vgpr, 48
	.set _ZL34rocblas_syrkx_herkx_general_kernelIi19rocblas_complex_numIfELi16ELi32ELi8ELb1ELb0ELc84ELc85EKS1_S1_EviT_T0_PT8_S3_lS6_S3_lS4_PT9_S3_li.num_agpr, 0
	.set _ZL34rocblas_syrkx_herkx_general_kernelIi19rocblas_complex_numIfELi16ELi32ELi8ELb1ELb0ELc84ELc85EKS1_S1_EviT_T0_PT8_S3_lS6_S3_lS4_PT9_S3_li.numbered_sgpr, 23
	.set _ZL34rocblas_syrkx_herkx_general_kernelIi19rocblas_complex_numIfELi16ELi32ELi8ELb1ELb0ELc84ELc85EKS1_S1_EviT_T0_PT8_S3_lS6_S3_lS4_PT9_S3_li.num_named_barrier, 0
	.set _ZL34rocblas_syrkx_herkx_general_kernelIi19rocblas_complex_numIfELi16ELi32ELi8ELb1ELb0ELc84ELc85EKS1_S1_EviT_T0_PT8_S3_lS6_S3_lS4_PT9_S3_li.private_seg_size, 0
	.set _ZL34rocblas_syrkx_herkx_general_kernelIi19rocblas_complex_numIfELi16ELi32ELi8ELb1ELb0ELc84ELc85EKS1_S1_EviT_T0_PT8_S3_lS6_S3_lS4_PT9_S3_li.uses_vcc, 1
	.set _ZL34rocblas_syrkx_herkx_general_kernelIi19rocblas_complex_numIfELi16ELi32ELi8ELb1ELb0ELc84ELc85EKS1_S1_EviT_T0_PT8_S3_lS6_S3_lS4_PT9_S3_li.uses_flat_scratch, 0
	.set _ZL34rocblas_syrkx_herkx_general_kernelIi19rocblas_complex_numIfELi16ELi32ELi8ELb1ELb0ELc84ELc85EKS1_S1_EviT_T0_PT8_S3_lS6_S3_lS4_PT9_S3_li.has_dyn_sized_stack, 0
	.set _ZL34rocblas_syrkx_herkx_general_kernelIi19rocblas_complex_numIfELi16ELi32ELi8ELb1ELb0ELc84ELc85EKS1_S1_EviT_T0_PT8_S3_lS6_S3_lS4_PT9_S3_li.has_recursion, 0
	.set _ZL34rocblas_syrkx_herkx_general_kernelIi19rocblas_complex_numIfELi16ELi32ELi8ELb1ELb0ELc84ELc85EKS1_S1_EviT_T0_PT8_S3_lS6_S3_lS4_PT9_S3_li.has_indirect_call, 0
	.section	.AMDGPU.csdata,"",@progbits
; Kernel info:
; codeLenInByte = 2136
; TotalNumSgprs: 27
; NumVgprs: 48
; ScratchSize: 0
; MemoryBound: 1
; FloatMode: 240
; IeeeMode: 1
; LDSByteSize: 4096 bytes/workgroup (compile time only)
; SGPRBlocks: 3
; VGPRBlocks: 11
; NumSGPRsForWavesPerEU: 27
; NumVGPRsForWavesPerEU: 48
; Occupancy: 5
; WaveLimiterHint : 0
; COMPUTE_PGM_RSRC2:SCRATCH_EN: 0
; COMPUTE_PGM_RSRC2:USER_SGPR: 6
; COMPUTE_PGM_RSRC2:TRAP_HANDLER: 0
; COMPUTE_PGM_RSRC2:TGID_X_EN: 1
; COMPUTE_PGM_RSRC2:TGID_Y_EN: 1
; COMPUTE_PGM_RSRC2:TGID_Z_EN: 1
; COMPUTE_PGM_RSRC2:TIDIG_COMP_CNT: 1
	.section	.text._ZL34rocblas_syrkx_herkx_general_kernelIi19rocblas_complex_numIfELi16ELi32ELi8ELb1ELb0ELc67ELc85EKS1_S1_EviT_T0_PT8_S3_lS6_S3_lS4_PT9_S3_li,"axG",@progbits,_ZL34rocblas_syrkx_herkx_general_kernelIi19rocblas_complex_numIfELi16ELi32ELi8ELb1ELb0ELc67ELc85EKS1_S1_EviT_T0_PT8_S3_lS6_S3_lS4_PT9_S3_li,comdat
	.globl	_ZL34rocblas_syrkx_herkx_general_kernelIi19rocblas_complex_numIfELi16ELi32ELi8ELb1ELb0ELc67ELc85EKS1_S1_EviT_T0_PT8_S3_lS6_S3_lS4_PT9_S3_li ; -- Begin function _ZL34rocblas_syrkx_herkx_general_kernelIi19rocblas_complex_numIfELi16ELi32ELi8ELb1ELb0ELc67ELc85EKS1_S1_EviT_T0_PT8_S3_lS6_S3_lS4_PT9_S3_li
	.p2align	8
	.type	_ZL34rocblas_syrkx_herkx_general_kernelIi19rocblas_complex_numIfELi16ELi32ELi8ELb1ELb0ELc67ELc85EKS1_S1_EviT_T0_PT8_S3_lS6_S3_lS4_PT9_S3_li,@function
_ZL34rocblas_syrkx_herkx_general_kernelIi19rocblas_complex_numIfELi16ELi32ELi8ELb1ELb0ELc67ELc85EKS1_S1_EviT_T0_PT8_S3_lS6_S3_lS4_PT9_S3_li: ; @_ZL34rocblas_syrkx_herkx_general_kernelIi19rocblas_complex_numIfELi16ELi32ELi8ELb1ELb0ELc67ELc85EKS1_S1_EviT_T0_PT8_S3_lS6_S3_lS4_PT9_S3_li
; %bb.0:
	s_load_dwordx2 s[10:11], s[4:5], 0x0
	s_load_dwordx4 s[12:15], s[4:5], 0x8
	s_lshl_b32 s6, s6, 5
	s_lshl_b32 s7, s7, 5
	s_mov_b32 s9, 0
	s_waitcnt lgkmcnt(0)
	s_cmp_lt_i32 s11, 1
	s_cbranch_scc1 .LBB220_9
; %bb.1:
	v_lshl_add_u32 v2, v1, 4, v0
	v_and_b32_e32 v9, 7, v0
	v_lshrrev_b32_e32 v10, 5, v2
	v_lshrrev_b32_e32 v3, 3, v2
	v_and_b32_e32 v2, 31, v2
	s_load_dword s2, s[4:5], 0x18
	s_load_dwordx4 s[16:19], s[4:5], 0x20
	s_load_dword s22, s[4:5], 0x30
	s_load_dwordx2 s[20:21], s[4:5], 0x38
	v_or_b32_e32 v5, s6, v2
	v_lshlrev_b32_e32 v6, 3, v9
	v_add_u32_e32 v4, s7, v3
	v_cmp_gt_i32_e32 vcc, s10, v5
	v_lshlrev_b32_e32 v5, 3, v2
	v_lshl_or_b32 v3, v3, 6, v6
	v_add_u32_e32 v2, s6, v2
	v_add_u32_e32 v12, 0x800, v3
	s_waitcnt lgkmcnt(0)
	v_mad_i64_i32 v[2:3], s[2:3], s2, v2, 0
	s_mul_i32 s2, s17, s8
	s_mul_hi_u32 s3, s16, s8
	v_lshlrev_b64 v[2:3], 3, v[2:3]
	s_add_i32 s3, s3, s2
	s_mul_i32 s2, s16, s8
	v_lshl_or_b32 v11, v10, 8, v5
	v_mov_b32_e32 v5, 0x800
	s_lshl_b64 s[2:3], s[2:3], 3
	v_lshl_add_u32 v14, v1, 6, v5
	v_mov_b32_e32 v5, s3
	v_add_co_u32_e64 v2, s[2:3], s2, v2
	v_addc_co_u32_e64 v3, s[2:3], v3, v5, s[2:3]
	v_lshlrev_b32_e32 v5, 3, v10
	v_add_co_u32_e64 v2, s[2:3], v2, v5
	v_addc_co_u32_e64 v3, s[2:3], 0, v3, s[2:3]
	v_mov_b32_e32 v5, s15
	v_add_co_u32_e64 v2, s[2:3], s14, v2
	v_cmp_gt_i32_e64 s[0:1], s10, v4
	v_addc_co_u32_e64 v3, s[2:3], v5, v3, s[2:3]
	v_mad_i64_i32 v[4:5], s[2:3], s22, v4, 0
	v_add_co_u32_e64 v2, s[2:3], 4, v2
	v_addc_co_u32_e64 v3, s[2:3], 0, v3, s[2:3]
	s_mul_i32 s2, s21, s8
	s_mul_hi_u32 s3, s20, s8
	v_lshlrev_b64 v[4:5], 3, v[4:5]
	s_add_i32 s3, s3, s2
	s_mul_i32 s2, s20, s8
	s_lshl_b64 s[2:3], s[2:3], 3
	v_mov_b32_e32 v7, s3
	v_add_co_u32_e64 v4, s[2:3], s2, v4
	v_addc_co_u32_e64 v5, s[2:3], v5, v7, s[2:3]
	v_add_co_u32_e64 v4, s[2:3], v4, v6
	v_addc_co_u32_e64 v5, s[2:3], 0, v5, s[2:3]
	v_mov_b32_e32 v6, s19
	v_add_co_u32_e64 v4, s[2:3], s18, v4
	v_addc_co_u32_e64 v5, s[2:3], v6, v5, s[2:3]
	v_lshlrev_b32_e32 v13, 3, v0
	s_xor_b64 s[2:3], s[0:1], -1
	v_mov_b32_e32 v18, 0
	v_mov_b32_e32 v17, 0
	;; [unrolled: 1-line block ×9, first 2 shown]
	s_branch .LBB220_3
.LBB220_2:                              ;   in Loop: Header=BB220_3 Depth=1
	s_or_b64 exec, exec, s[0:1]
	s_waitcnt lgkmcnt(0)
	s_barrier
	ds_read2_b64 v[23:26], v13 offset1:16
	ds_read_b128 v[27:30], v14
	ds_read_b128 v[31:34], v14 offset:16
	ds_read_b128 v[35:38], v14 offset:1024
	v_add_co_u32_e64 v2, s[0:1], 64, v2
	s_waitcnt lgkmcnt(2)
	v_mul_f32_e32 v7, v28, v24
	v_mul_f32_e32 v8, v27, v24
	v_fma_f32 v7, v27, v23, -v7
	v_fmac_f32_e32 v8, v28, v23
	v_add_f32_e32 v7, v21, v7
	v_add_f32_e32 v8, v22, v8
	v_mul_f32_e32 v21, v28, v26
	v_mul_f32_e32 v22, v27, v26
	v_fma_f32 v21, v27, v25, -v21
	v_fmac_f32_e32 v22, v28, v25
	v_add_f32_e32 v27, v19, v21
	v_add_f32_e32 v28, v20, v22
	ds_read_b128 v[19:22], v14 offset:1040
	s_waitcnt lgkmcnt(1)
	v_mul_f32_e32 v39, v36, v24
	v_mul_f32_e32 v24, v35, v24
	v_fma_f32 v39, v35, v23, -v39
	v_fmac_f32_e32 v24, v36, v23
	v_mul_f32_e32 v23, v36, v26
	v_fma_f32 v47, v35, v25, -v23
	v_mul_f32_e32 v35, v35, v26
	v_add_f32_e32 v15, v15, v39
	v_add_f32_e32 v16, v16, v24
	v_fmac_f32_e32 v35, v36, v25
	ds_read2_b64 v[23:26], v13 offset0:32 offset1:48
	ds_read_b128 v[39:42], v14 offset:32
	ds_read_b128 v[43:46], v14 offset:48
	v_add_f32_e32 v36, v17, v47
	v_add_f32_e32 v35, v18, v35
	s_waitcnt lgkmcnt(2)
	v_mul_f32_e32 v17, v30, v24
	v_fma_f32 v17, v29, v23, -v17
	v_mul_f32_e32 v18, v29, v24
	v_fmac_f32_e32 v18, v30, v23
	v_add_f32_e32 v7, v7, v17
	v_mul_f32_e32 v17, v30, v26
	v_add_f32_e32 v8, v8, v18
	v_fma_f32 v17, v29, v25, -v17
	v_mul_f32_e32 v18, v29, v26
	v_fmac_f32_e32 v18, v30, v25
	v_add_f32_e32 v27, v27, v17
	v_mul_f32_e32 v17, v38, v24
	v_add_f32_e32 v28, v28, v18
	;; [unrolled: 6-line block ×3, first 2 shown]
	v_fma_f32 v29, v37, v25, -v15
	ds_read2_b64 v[15:18], v13 offset0:64 offset1:80
	v_mul_f32_e32 v26, v37, v26
	v_fmac_f32_e32 v26, v38, v25
	v_add_f32_e32 v30, v35, v26
	v_add_f32_e32 v29, v36, v29
	s_waitcnt lgkmcnt(0)
	v_mul_f32_e32 v25, v32, v16
	v_fma_f32 v25, v31, v15, -v25
	v_add_f32_e32 v7, v7, v25
	v_mul_f32_e32 v25, v32, v18
	v_mul_f32_e32 v26, v31, v16
	v_fma_f32 v25, v31, v17, -v25
	v_fmac_f32_e32 v26, v32, v15
	v_add_f32_e32 v27, v27, v25
	v_mul_f32_e32 v25, v20, v16
	v_add_f32_e32 v8, v8, v26
	v_mul_f32_e32 v26, v31, v18
	v_fma_f32 v25, v19, v15, -v25
	v_mul_f32_e32 v16, v19, v16
	v_fmac_f32_e32 v26, v32, v17
	v_fmac_f32_e32 v16, v20, v15
	v_add_f32_e32 v15, v23, v25
	v_mul_f32_e32 v23, v20, v18
	v_add_f32_e32 v28, v28, v26
	v_add_f32_e32 v16, v24, v16
	v_fma_f32 v31, v19, v17, -v23
	ds_read2_b64 v[23:26], v13 offset0:96 offset1:112
	v_mul_f32_e32 v18, v19, v18
	v_fmac_f32_e32 v18, v20, v17
	v_add_f32_e32 v20, v30, v18
	v_add_f32_e32 v19, v29, v31
	s_waitcnt lgkmcnt(0)
	v_mul_f32_e32 v17, v34, v24
	v_fma_f32 v17, v33, v23, -v17
	v_mul_f32_e32 v18, v33, v24
	v_fmac_f32_e32 v18, v34, v23
	v_add_f32_e32 v7, v7, v17
	v_mul_f32_e32 v17, v34, v26
	v_add_f32_e32 v8, v8, v18
	v_fma_f32 v17, v33, v25, -v17
	v_mul_f32_e32 v18, v33, v26
	v_fmac_f32_e32 v18, v34, v25
	v_add_f32_e32 v27, v27, v17
	v_mul_f32_e32 v17, v22, v24
	v_add_f32_e32 v28, v28, v18
	;; [unrolled: 6-line block ×3, first 2 shown]
	v_fma_f32 v23, v21, v25, -v15
	ds_read2_b64 v[15:18], v13 offset0:128 offset1:144
	v_mul_f32_e32 v21, v21, v26
	v_fmac_f32_e32 v21, v22, v25
	v_add_f32_e32 v31, v19, v23
	v_add_f32_e32 v32, v20, v21
	s_waitcnt lgkmcnt(0)
	v_mul_f32_e32 v19, v40, v16
	v_fma_f32 v19, v39, v15, -v19
	v_mul_f32_e32 v20, v39, v16
	v_fmac_f32_e32 v20, v40, v15
	v_add_f32_e32 v7, v7, v19
	v_mul_f32_e32 v19, v40, v18
	v_add_f32_e32 v8, v8, v20
	v_fma_f32 v23, v39, v17, -v19
	ds_read_b128 v[19:22], v14 offset:1056
	v_mul_f32_e32 v24, v39, v18
	v_fmac_f32_e32 v24, v40, v17
	v_add_f32_e32 v33, v27, v23
	v_add_f32_e32 v34, v28, v24
	ds_read_b128 v[23:26], v14 offset:1072
	s_waitcnt lgkmcnt(1)
	v_mul_f32_e32 v27, v20, v16
	v_fma_f32 v27, v19, v15, -v27
	v_mul_f32_e32 v16, v19, v16
	v_fmac_f32_e32 v16, v20, v15
	v_add_f32_e32 v15, v29, v27
	v_mul_f32_e32 v27, v20, v18
	v_add_f32_e32 v16, v30, v16
	v_fma_f32 v35, v19, v17, -v27
	ds_read2_b64 v[27:30], v13 offset0:160 offset1:176
	v_mul_f32_e32 v18, v19, v18
	v_fmac_f32_e32 v18, v20, v17
	v_add_f32_e32 v20, v32, v18
	v_add_f32_e32 v19, v31, v35
	s_waitcnt lgkmcnt(0)
	v_mul_f32_e32 v17, v42, v28
	v_fma_f32 v17, v41, v27, -v17
	v_mul_f32_e32 v18, v41, v28
	v_fmac_f32_e32 v18, v42, v27
	v_add_f32_e32 v7, v7, v17
	v_mul_f32_e32 v17, v42, v30
	v_add_f32_e32 v8, v8, v18
	v_fma_f32 v17, v41, v29, -v17
	v_mul_f32_e32 v18, v41, v30
	v_fmac_f32_e32 v18, v42, v29
	v_add_f32_e32 v31, v33, v17
	v_mul_f32_e32 v17, v22, v28
	v_add_f32_e32 v32, v34, v18
	;; [unrolled: 6-line block ×3, first 2 shown]
	v_fma_f32 v33, v21, v29, -v15
	ds_read2_b64 v[15:18], v13 offset0:192 offset1:208
	v_mul_f32_e32 v21, v21, v30
	v_fmac_f32_e32 v21, v22, v29
	v_add_f32_e32 v20, v20, v21
	v_add_f32_e32 v19, v19, v33
	s_waitcnt lgkmcnt(0)
	v_mul_f32_e32 v21, v44, v16
	v_fma_f32 v21, v43, v15, -v21
	v_add_f32_e32 v7, v7, v21
	v_mul_f32_e32 v21, v44, v18
	v_fma_f32 v21, v43, v17, -v21
	v_mul_f32_e32 v22, v43, v16
	v_add_f32_e32 v31, v31, v21
	v_mul_f32_e32 v21, v24, v16
	v_mul_f32_e32 v16, v23, v16
	v_fma_f32 v21, v23, v15, -v21
	v_fmac_f32_e32 v16, v24, v15
	v_fmac_f32_e32 v22, v44, v15
	v_add_f32_e32 v15, v27, v21
	v_add_f32_e32 v16, v28, v16
	ds_read2_b64 v[27:30], v13 offset0:224 offset1:240
	v_add_f32_e32 v8, v8, v22
	v_mul_f32_e32 v22, v43, v18
	v_mul_f32_e32 v21, v24, v18
	;; [unrolled: 1-line block ×3, first 2 shown]
	v_fma_f32 v21, v23, v17, -v21
	v_fmac_f32_e32 v18, v24, v17
	v_fmac_f32_e32 v22, v44, v17
	v_add_f32_e32 v17, v19, v21
	v_add_f32_e32 v18, v20, v18
	s_waitcnt lgkmcnt(0)
	v_mul_f32_e32 v19, v46, v28
	v_mul_f32_e32 v20, v45, v28
	v_fma_f32 v19, v45, v27, -v19
	v_fmac_f32_e32 v20, v46, v27
	v_add_f32_e32 v32, v32, v22
	v_add_f32_e32 v21, v7, v19
	;; [unrolled: 1-line block ×3, first 2 shown]
	v_mul_f32_e32 v7, v46, v30
	v_mul_f32_e32 v8, v45, v30
	v_fma_f32 v7, v45, v29, -v7
	v_fmac_f32_e32 v8, v46, v29
	v_add_f32_e32 v19, v31, v7
	v_add_f32_e32 v20, v32, v8
	v_mul_f32_e32 v7, v26, v28
	v_mul_f32_e32 v8, v25, v28
	v_fma_f32 v7, v25, v27, -v7
	v_fmac_f32_e32 v8, v26, v27
	v_add_f32_e32 v15, v15, v7
	v_add_f32_e32 v16, v16, v8
	v_mul_f32_e32 v7, v26, v30
	v_mul_f32_e32 v8, v25, v30
	v_addc_co_u32_e64 v3, s[0:1], 0, v3, s[0:1]
	v_fma_f32 v7, v25, v29, -v7
	v_fmac_f32_e32 v8, v26, v29
	s_add_i32 s9, s9, 8
	v_add_co_u32_e64 v4, s[0:1], 64, v4
	v_add_f32_e32 v17, v17, v7
	v_add_f32_e32 v18, v18, v8
	s_cmp_ge_i32 s9, s11
	v_addc_co_u32_e64 v5, s[0:1], 0, v5, s[0:1]
	s_barrier
	s_cbranch_scc1 .LBB220_10
.LBB220_3:                              ; =>This Inner Loop Header: Depth=1
	v_add_u32_e32 v7, s9, v10
	v_cmp_gt_i32_e64 s[0:1], s11, v7
	s_and_b64 s[14:15], vcc, s[0:1]
	v_mov_b32_e32 v7, 0
	v_mov_b32_e32 v8, 0
	s_and_saveexec_b64 s[0:1], s[14:15]
	s_cbranch_execz .LBB220_5
; %bb.4:                                ;   in Loop: Header=BB220_3 Depth=1
	global_load_dwordx2 v[7:8], v[2:3], off offset:-4
.LBB220_5:                              ;   in Loop: Header=BB220_3 Depth=1
	s_or_b64 exec, exec, s[0:1]
	s_waitcnt vmcnt(0)
	ds_write_b64 v11, v[7:8]
	v_add_u32_e32 v7, s9, v9
	v_cmp_le_i32_e64 s[0:1], s11, v7
	s_or_b64 s[0:1], s[0:1], s[2:3]
	s_and_saveexec_b64 s[14:15], s[0:1]
	s_xor_b64 s[0:1], exec, s[14:15]
; %bb.6:                                ;   in Loop: Header=BB220_3 Depth=1
	v_mov_b32_e32 v7, v6
	ds_write_b64 v12, v[6:7]
; %bb.7:                                ;   in Loop: Header=BB220_3 Depth=1
	s_andn2_saveexec_b64 s[0:1], s[0:1]
	s_cbranch_execz .LBB220_2
; %bb.8:                                ;   in Loop: Header=BB220_3 Depth=1
	global_load_dwordx2 v[7:8], v[4:5], off
	s_waitcnt vmcnt(0)
	ds_write_b64 v12, v[7:8]
	s_branch .LBB220_2
.LBB220_9:
	v_mov_b32_e32 v21, 0
	v_mov_b32_e32 v22, 0
	;; [unrolled: 1-line block ×8, first 2 shown]
.LBB220_10:
	s_load_dwordx2 s[0:1], s[4:5], 0x58
	s_load_dwordx2 s[2:3], s[4:5], 0x48
	s_load_dword s9, s[4:5], 0x50
	v_add_u32_e32 v4, s7, v1
	v_add_u32_e32 v0, s6, v0
	s_waitcnt lgkmcnt(0)
	s_mul_i32 s1, s1, s8
	s_mul_hi_u32 s4, s0, s8
	v_mad_i64_i32 v[1:2], s[14:15], v4, s9, 0
	s_mul_i32 s0, s0, s8
	s_add_i32 s1, s4, s1
	s_lshl_b64 s[0:1], s[0:1], 3
	s_add_u32 s4, s2, s0
	v_lshlrev_b64 v[1:2], 3, v[1:2]
	s_addc_u32 s5, s3, s1
	v_mov_b32_e32 v3, s5
	v_add_co_u32_e64 v5, s[0:1], s4, v1
	v_addc_co_u32_e64 v6, s[0:1], v3, v2, s[0:1]
	v_cmp_gt_i32_e32 vcc, s10, v4
	v_cmp_le_i32_e64 s[0:1], v0, v4
	s_and_b64 s[0:1], vcc, s[0:1]
	s_and_saveexec_b64 s[2:3], s[0:1]
	s_cbranch_execz .LBB220_12
; %bb.11:
	v_mul_f32_e32 v1, s13, v22
	v_fma_f32 v2, v21, s12, -v1
	v_ashrrev_i32_e32 v1, 31, v0
	v_lshlrev_b64 v[7:8], 3, v[0:1]
	v_mul_f32_e32 v3, s12, v22
	v_add_co_u32_e64 v7, s[0:1], v5, v7
	v_fmac_f32_e32 v3, s13, v21
	v_addc_co_u32_e64 v8, s[0:1], v6, v8, s[0:1]
	global_store_dwordx2 v[7:8], v[2:3], off
.LBB220_12:
	s_or_b64 exec, exec, s[2:3]
	v_add_u32_e32 v2, 16, v0
	v_cmp_le_i32_e64 s[0:1], v2, v4
	s_and_b64 s[2:3], vcc, s[0:1]
	s_and_saveexec_b64 s[0:1], s[2:3]
	s_cbranch_execz .LBB220_14
; %bb.13:
	v_ashrrev_i32_e32 v3, 31, v2
	v_lshlrev_b64 v[9:10], 3, v[2:3]
	v_mul_f32_e32 v1, s13, v20
	v_mul_f32_e32 v8, s12, v20
	v_add_co_u32_e32 v5, vcc, v5, v9
	v_fma_f32 v7, v19, s12, -v1
	v_fmac_f32_e32 v8, s13, v19
	v_addc_co_u32_e32 v6, vcc, v6, v10, vcc
	global_store_dwordx2 v[5:6], v[7:8], off
.LBB220_14:
	s_or_b64 exec, exec, s[0:1]
	v_add_u32_e32 v3, 16, v4
	v_mad_i64_i32 v[4:5], s[0:1], v3, s9, 0
	v_mov_b32_e32 v1, s5
	v_cmp_gt_i32_e32 vcc, s10, v3
	v_lshlrev_b64 v[4:5], 3, v[4:5]
	v_add_co_u32_e64 v4, s[0:1], s4, v4
	v_addc_co_u32_e64 v5, s[0:1], v1, v5, s[0:1]
	v_cmp_le_i32_e64 s[0:1], v0, v3
	s_and_b64 s[0:1], vcc, s[0:1]
	s_and_saveexec_b64 s[2:3], s[0:1]
	s_cbranch_execz .LBB220_16
; %bb.15:
	v_mul_f32_e32 v1, s13, v16
	v_fma_f32 v6, v15, s12, -v1
	v_ashrrev_i32_e32 v1, 31, v0
	v_lshlrev_b64 v[0:1], 3, v[0:1]
	v_mul_f32_e32 v7, s12, v16
	v_add_co_u32_e64 v0, s[0:1], v4, v0
	v_fmac_f32_e32 v7, s13, v15
	v_addc_co_u32_e64 v1, s[0:1], v5, v1, s[0:1]
	global_store_dwordx2 v[0:1], v[6:7], off
.LBB220_16:
	s_or_b64 exec, exec, s[2:3]
	v_cmp_le_i32_e64 s[0:1], v2, v3
	s_and_b64 s[0:1], vcc, s[0:1]
	s_and_saveexec_b64 s[2:3], s[0:1]
	s_cbranch_execz .LBB220_18
; %bb.17:
	v_ashrrev_i32_e32 v3, 31, v2
	v_lshlrev_b64 v[2:3], 3, v[2:3]
	v_mul_f32_e32 v0, s13, v18
	v_mul_f32_e32 v1, s12, v18
	v_add_co_u32_e32 v2, vcc, v4, v2
	v_fma_f32 v0, v17, s12, -v0
	v_fmac_f32_e32 v1, s13, v17
	v_addc_co_u32_e32 v3, vcc, v5, v3, vcc
	global_store_dwordx2 v[2:3], v[0:1], off
.LBB220_18:
	s_endpgm
	.section	.rodata,"a",@progbits
	.p2align	6, 0x0
	.amdhsa_kernel _ZL34rocblas_syrkx_herkx_general_kernelIi19rocblas_complex_numIfELi16ELi32ELi8ELb1ELb0ELc67ELc85EKS1_S1_EviT_T0_PT8_S3_lS6_S3_lS4_PT9_S3_li
		.amdhsa_group_segment_fixed_size 4096
		.amdhsa_private_segment_fixed_size 0
		.amdhsa_kernarg_size 100
		.amdhsa_user_sgpr_count 6
		.amdhsa_user_sgpr_private_segment_buffer 1
		.amdhsa_user_sgpr_dispatch_ptr 0
		.amdhsa_user_sgpr_queue_ptr 0
		.amdhsa_user_sgpr_kernarg_segment_ptr 1
		.amdhsa_user_sgpr_dispatch_id 0
		.amdhsa_user_sgpr_flat_scratch_init 0
		.amdhsa_user_sgpr_private_segment_size 0
		.amdhsa_uses_dynamic_stack 0
		.amdhsa_system_sgpr_private_segment_wavefront_offset 0
		.amdhsa_system_sgpr_workgroup_id_x 1
		.amdhsa_system_sgpr_workgroup_id_y 1
		.amdhsa_system_sgpr_workgroup_id_z 1
		.amdhsa_system_sgpr_workgroup_info 0
		.amdhsa_system_vgpr_workitem_id 1
		.amdhsa_next_free_vgpr 48
		.amdhsa_next_free_sgpr 23
		.amdhsa_reserve_vcc 1
		.amdhsa_reserve_flat_scratch 0
		.amdhsa_float_round_mode_32 0
		.amdhsa_float_round_mode_16_64 0
		.amdhsa_float_denorm_mode_32 3
		.amdhsa_float_denorm_mode_16_64 3
		.amdhsa_dx10_clamp 1
		.amdhsa_ieee_mode 1
		.amdhsa_fp16_overflow 0
		.amdhsa_exception_fp_ieee_invalid_op 0
		.amdhsa_exception_fp_denorm_src 0
		.amdhsa_exception_fp_ieee_div_zero 0
		.amdhsa_exception_fp_ieee_overflow 0
		.amdhsa_exception_fp_ieee_underflow 0
		.amdhsa_exception_fp_ieee_inexact 0
		.amdhsa_exception_int_div_zero 0
	.end_amdhsa_kernel
	.section	.text._ZL34rocblas_syrkx_herkx_general_kernelIi19rocblas_complex_numIfELi16ELi32ELi8ELb1ELb0ELc67ELc85EKS1_S1_EviT_T0_PT8_S3_lS6_S3_lS4_PT9_S3_li,"axG",@progbits,_ZL34rocblas_syrkx_herkx_general_kernelIi19rocblas_complex_numIfELi16ELi32ELi8ELb1ELb0ELc67ELc85EKS1_S1_EviT_T0_PT8_S3_lS6_S3_lS4_PT9_S3_li,comdat
.Lfunc_end220:
	.size	_ZL34rocblas_syrkx_herkx_general_kernelIi19rocblas_complex_numIfELi16ELi32ELi8ELb1ELb0ELc67ELc85EKS1_S1_EviT_T0_PT8_S3_lS6_S3_lS4_PT9_S3_li, .Lfunc_end220-_ZL34rocblas_syrkx_herkx_general_kernelIi19rocblas_complex_numIfELi16ELi32ELi8ELb1ELb0ELc67ELc85EKS1_S1_EviT_T0_PT8_S3_lS6_S3_lS4_PT9_S3_li
                                        ; -- End function
	.set _ZL34rocblas_syrkx_herkx_general_kernelIi19rocblas_complex_numIfELi16ELi32ELi8ELb1ELb0ELc67ELc85EKS1_S1_EviT_T0_PT8_S3_lS6_S3_lS4_PT9_S3_li.num_vgpr, 48
	.set _ZL34rocblas_syrkx_herkx_general_kernelIi19rocblas_complex_numIfELi16ELi32ELi8ELb1ELb0ELc67ELc85EKS1_S1_EviT_T0_PT8_S3_lS6_S3_lS4_PT9_S3_li.num_agpr, 0
	.set _ZL34rocblas_syrkx_herkx_general_kernelIi19rocblas_complex_numIfELi16ELi32ELi8ELb1ELb0ELc67ELc85EKS1_S1_EviT_T0_PT8_S3_lS6_S3_lS4_PT9_S3_li.numbered_sgpr, 23
	.set _ZL34rocblas_syrkx_herkx_general_kernelIi19rocblas_complex_numIfELi16ELi32ELi8ELb1ELb0ELc67ELc85EKS1_S1_EviT_T0_PT8_S3_lS6_S3_lS4_PT9_S3_li.num_named_barrier, 0
	.set _ZL34rocblas_syrkx_herkx_general_kernelIi19rocblas_complex_numIfELi16ELi32ELi8ELb1ELb0ELc67ELc85EKS1_S1_EviT_T0_PT8_S3_lS6_S3_lS4_PT9_S3_li.private_seg_size, 0
	.set _ZL34rocblas_syrkx_herkx_general_kernelIi19rocblas_complex_numIfELi16ELi32ELi8ELb1ELb0ELc67ELc85EKS1_S1_EviT_T0_PT8_S3_lS6_S3_lS4_PT9_S3_li.uses_vcc, 1
	.set _ZL34rocblas_syrkx_herkx_general_kernelIi19rocblas_complex_numIfELi16ELi32ELi8ELb1ELb0ELc67ELc85EKS1_S1_EviT_T0_PT8_S3_lS6_S3_lS4_PT9_S3_li.uses_flat_scratch, 0
	.set _ZL34rocblas_syrkx_herkx_general_kernelIi19rocblas_complex_numIfELi16ELi32ELi8ELb1ELb0ELc67ELc85EKS1_S1_EviT_T0_PT8_S3_lS6_S3_lS4_PT9_S3_li.has_dyn_sized_stack, 0
	.set _ZL34rocblas_syrkx_herkx_general_kernelIi19rocblas_complex_numIfELi16ELi32ELi8ELb1ELb0ELc67ELc85EKS1_S1_EviT_T0_PT8_S3_lS6_S3_lS4_PT9_S3_li.has_recursion, 0
	.set _ZL34rocblas_syrkx_herkx_general_kernelIi19rocblas_complex_numIfELi16ELi32ELi8ELb1ELb0ELc67ELc85EKS1_S1_EviT_T0_PT8_S3_lS6_S3_lS4_PT9_S3_li.has_indirect_call, 0
	.section	.AMDGPU.csdata,"",@progbits
; Kernel info:
; codeLenInByte = 2160
; TotalNumSgprs: 27
; NumVgprs: 48
; ScratchSize: 0
; MemoryBound: 1
; FloatMode: 240
; IeeeMode: 1
; LDSByteSize: 4096 bytes/workgroup (compile time only)
; SGPRBlocks: 3
; VGPRBlocks: 11
; NumSGPRsForWavesPerEU: 27
; NumVGPRsForWavesPerEU: 48
; Occupancy: 5
; WaveLimiterHint : 0
; COMPUTE_PGM_RSRC2:SCRATCH_EN: 0
; COMPUTE_PGM_RSRC2:USER_SGPR: 6
; COMPUTE_PGM_RSRC2:TRAP_HANDLER: 0
; COMPUTE_PGM_RSRC2:TGID_X_EN: 1
; COMPUTE_PGM_RSRC2:TGID_Y_EN: 1
; COMPUTE_PGM_RSRC2:TGID_Z_EN: 1
; COMPUTE_PGM_RSRC2:TIDIG_COMP_CNT: 1
	.section	.text._ZL34rocblas_syrkx_herkx_general_kernelIi19rocblas_complex_numIfELi16ELi32ELi8ELb1ELb0ELc78ELc85EKS1_S1_EviT_T0_PT8_S3_lS6_S3_lS4_PT9_S3_li,"axG",@progbits,_ZL34rocblas_syrkx_herkx_general_kernelIi19rocblas_complex_numIfELi16ELi32ELi8ELb1ELb0ELc78ELc85EKS1_S1_EviT_T0_PT8_S3_lS6_S3_lS4_PT9_S3_li,comdat
	.globl	_ZL34rocblas_syrkx_herkx_general_kernelIi19rocblas_complex_numIfELi16ELi32ELi8ELb1ELb0ELc78ELc85EKS1_S1_EviT_T0_PT8_S3_lS6_S3_lS4_PT9_S3_li ; -- Begin function _ZL34rocblas_syrkx_herkx_general_kernelIi19rocblas_complex_numIfELi16ELi32ELi8ELb1ELb0ELc78ELc85EKS1_S1_EviT_T0_PT8_S3_lS6_S3_lS4_PT9_S3_li
	.p2align	8
	.type	_ZL34rocblas_syrkx_herkx_general_kernelIi19rocblas_complex_numIfELi16ELi32ELi8ELb1ELb0ELc78ELc85EKS1_S1_EviT_T0_PT8_S3_lS6_S3_lS4_PT9_S3_li,@function
_ZL34rocblas_syrkx_herkx_general_kernelIi19rocblas_complex_numIfELi16ELi32ELi8ELb1ELb0ELc78ELc85EKS1_S1_EviT_T0_PT8_S3_lS6_S3_lS4_PT9_S3_li: ; @_ZL34rocblas_syrkx_herkx_general_kernelIi19rocblas_complex_numIfELi16ELi32ELi8ELb1ELb0ELc78ELc85EKS1_S1_EviT_T0_PT8_S3_lS6_S3_lS4_PT9_S3_li
; %bb.0:
	s_load_dwordx2 s[10:11], s[4:5], 0x0
	s_load_dwordx4 s[12:15], s[4:5], 0x8
	s_lshl_b32 s9, s6, 5
	s_lshl_b32 s20, s7, 5
	s_mov_b32 s21, 0
	s_waitcnt lgkmcnt(0)
	s_cmp_lt_i32 s11, 1
	s_cbranch_scc1 .LBB221_9
; %bb.1:
	v_lshl_add_u32 v2, v1, 4, v0
	v_and_b32_e32 v6, 31, v2
	v_lshrrev_b32_e32 v10, 5, v2
	v_lshrrev_b32_e32 v3, 3, v2
	v_or_b32_e32 v2, s9, v6
	v_and_b32_e32 v9, 7, v0
	v_cmp_gt_i32_e64 s[0:1], s10, v2
	v_lshlrev_b32_e32 v2, 3, v6
	s_load_dword s6, s[4:5], 0x18
	s_load_dword s22, s[4:5], 0x30
	s_load_dwordx2 s[24:25], s[4:5], 0x38
	s_load_dwordx4 s[16:19], s[4:5], 0x20
	v_lshl_or_b32 v11, v10, 8, v2
	v_lshlrev_b32_e32 v2, 3, v9
	v_lshl_or_b32 v2, v3, 6, v2
	v_add_u32_e32 v4, s20, v3
	v_add_u32_e32 v12, 0x800, v2
	s_waitcnt lgkmcnt(0)
	v_mad_i64_i32 v[2:3], s[2:3], v10, s6, 0
	s_mul_i32 s2, s17, s8
	s_mul_hi_u32 s3, s16, s8
	v_lshlrev_b64 v[2:3], 3, v[2:3]
	s_add_i32 s3, s3, s2
	s_mul_i32 s2, s16, s8
	v_mov_b32_e32 v7, 0x800
	s_lshl_b64 s[2:3], s[2:3], 3
	v_lshl_add_u32 v14, v1, 6, v7
	v_mov_b32_e32 v7, s3
	v_add_co_u32_e64 v8, s[2:3], s2, v2
	v_add_u32_e32 v2, s9, v6
	v_addc_co_u32_e64 v7, s[2:3], v3, v7, s[2:3]
	v_ashrrev_i32_e32 v3, 31, v2
	v_lshlrev_b64 v[2:3], 3, v[2:3]
	v_mov_b32_e32 v6, s15
	v_add_co_u32_e64 v2, s[2:3], v8, v2
	v_addc_co_u32_e64 v3, s[2:3], v7, v3, s[2:3]
	v_add_co_u32_e64 v2, s[2:3], s14, v2
	v_addc_co_u32_e64 v3, s[2:3], v6, v3, s[2:3]
	v_mad_i64_i32 v[6:7], s[2:3], s22, v9, 0
	s_mul_i32 s14, s25, s8
	s_mul_hi_u32 s15, s24, s8
	s_add_i32 s3, s15, s14
	s_mul_i32 s2, s24, s8
	v_lshlrev_b64 v[6:7], 3, v[6:7]
	v_ashrrev_i32_e32 v5, 31, v4
	s_lshl_b64 s[2:3], s[2:3], 3
	v_cmp_gt_i32_e32 vcc, s10, v4
	v_mov_b32_e32 v8, s3
	v_add_co_u32_e64 v6, s[2:3], s2, v6
	v_lshlrev_b64 v[4:5], 3, v[4:5]
	v_addc_co_u32_e64 v7, s[2:3], v8, v7, s[2:3]
	v_add_co_u32_e64 v4, s[2:3], v6, v4
	v_addc_co_u32_e64 v5, s[2:3], v7, v5, s[2:3]
	v_mov_b32_e32 v6, s19
	v_add_co_u32_e64 v4, s[2:3], s18, v4
	v_addc_co_u32_e64 v5, s[2:3], v6, v5, s[2:3]
	v_add_co_u32_e64 v4, s[2:3], 4, v4
	s_ashr_i32 s7, s6, 31
	s_ashr_i32 s23, s22, 31
	v_addc_co_u32_e64 v5, s[2:3], 0, v5, s[2:3]
	s_lshl_b64 s[6:7], s[6:7], 6
	s_lshl_b64 s[2:3], s[22:23], 6
	v_lshlrev_b32_e32 v13, 3, v0
	s_xor_b64 s[14:15], s[0:1], -1
	v_mov_b32_e32 v15, s7
	v_mov_b32_e32 v16, s3
	;; [unrolled: 1-line block ×11, first 2 shown]
	s_branch .LBB221_3
.LBB221_2:                              ;   in Loop: Header=BB221_3 Depth=1
	s_or_b64 exec, exec, s[0:1]
	s_waitcnt vmcnt(0)
	ds_write_b64 v12, v[7:8]
	s_waitcnt lgkmcnt(0)
	s_barrier
	ds_read2_b64 v[25:28], v13 offset1:16
	ds_read_b128 v[29:32], v14
	ds_read_b128 v[33:36], v14 offset:16
	ds_read_b128 v[37:40], v14 offset:1024
	ds_read2_b64 v[41:44], v13 offset0:32 offset1:48
	v_add_co_u32_e64 v2, s[0:1], s6, v2
	s_waitcnt lgkmcnt(3)
	v_mul_f32_e32 v7, v30, v26
	v_mul_f32_e32 v8, v29, v26
	v_fma_f32 v7, v29, v25, -v7
	v_fmac_f32_e32 v8, v30, v25
	v_add_f32_e32 v7, v21, v7
	v_add_f32_e32 v8, v22, v8
	v_mul_f32_e32 v21, v30, v28
	v_mul_f32_e32 v22, v29, v28
	v_fma_f32 v21, v29, v27, -v21
	v_fmac_f32_e32 v22, v30, v27
	v_add_f32_e32 v45, v23, v21
	v_add_f32_e32 v46, v24, v22
	ds_read_b128 v[21:24], v14 offset:1040
	s_waitcnt lgkmcnt(2)
	v_mul_f32_e32 v29, v38, v26
	v_fma_f32 v29, v37, v25, -v29
	v_mul_f32_e32 v47, v37, v26
	v_add_f32_e32 v48, v18, v29
	v_mul_f32_e32 v18, v38, v28
	v_fmac_f32_e32 v47, v38, v25
	v_fma_f32 v18, v37, v27, -v18
	v_mul_f32_e32 v37, v37, v28
	s_waitcnt lgkmcnt(1)
	v_mul_f32_e32 v25, v32, v42
	v_fmac_f32_e32 v37, v38, v27
	v_fma_f32 v38, v31, v41, -v25
	v_mul_f32_e32 v25, v32, v44
	v_fma_f32 v50, v31, v43, -v25
	v_mul_f32_e32 v25, v40, v42
	v_mul_f32_e32 v49, v31, v42
	v_fma_f32 v52, v39, v41, -v25
	v_mul_f32_e32 v42, v39, v42
	v_mul_f32_e32 v25, v40, v44
	v_fmac_f32_e32 v49, v32, v41
	v_mul_f32_e32 v51, v31, v44
	v_fmac_f32_e32 v42, v40, v41
	v_fma_f32 v41, v39, v43, -v25
	v_mul_f32_e32 v39, v39, v44
	v_fmac_f32_e32 v51, v32, v43
	v_fmac_f32_e32 v39, v40, v43
	ds_read_b128 v[25:28], v14 offset:32
	ds_read_b128 v[29:32], v14 offset:48
	v_add_f32_e32 v40, v17, v47
	v_add_f32_e32 v43, v19, v18
	v_add_f32_e32 v37, v20, v37
	ds_read2_b64 v[17:20], v13 offset0:64 offset1:80
	v_add_f32_e32 v40, v40, v42
	v_add_f32_e32 v42, v37, v39
	;; [unrolled: 1-line block ×4, first 2 shown]
	s_waitcnt lgkmcnt(0)
	v_mul_f32_e32 v37, v34, v18
	v_fma_f32 v37, v33, v17, -v37
	v_add_f32_e32 v7, v7, v37
	v_mul_f32_e32 v37, v34, v20
	v_mul_f32_e32 v39, v33, v18
	v_fma_f32 v37, v33, v19, -v37
	v_mul_f32_e32 v33, v33, v20
	v_fmac_f32_e32 v39, v34, v17
	v_fmac_f32_e32 v33, v34, v19
	v_add_f32_e32 v34, v38, v37
	v_mul_f32_e32 v37, v22, v18
	v_add_f32_e32 v45, v48, v52
	v_fma_f32 v37, v21, v17, -v37
	v_mul_f32_e32 v18, v21, v18
	v_add_f32_e32 v8, v8, v49
	v_fmac_f32_e32 v18, v22, v17
	v_add_f32_e32 v17, v45, v37
	v_mul_f32_e32 v37, v22, v20
	v_add_f32_e32 v41, v43, v41
	v_add_f32_e32 v8, v8, v39
	;; [unrolled: 1-line block ×3, first 2 shown]
	v_fma_f32 v43, v21, v19, -v37
	ds_read2_b64 v[37:40], v13 offset0:96 offset1:112
	v_mul_f32_e32 v20, v21, v20
	v_fmac_f32_e32 v20, v22, v19
	v_add_f32_e32 v22, v42, v20
	v_add_f32_e32 v44, v46, v51
	s_waitcnt lgkmcnt(0)
	v_mul_f32_e32 v19, v36, v38
	v_fma_f32 v19, v35, v37, -v19
	v_mul_f32_e32 v20, v35, v38
	v_fmac_f32_e32 v20, v36, v37
	v_add_f32_e32 v7, v7, v19
	v_mul_f32_e32 v19, v36, v40
	v_add_f32_e32 v8, v8, v20
	v_fma_f32 v19, v35, v39, -v19
	v_mul_f32_e32 v20, v35, v40
	v_add_f32_e32 v33, v44, v33
	v_fmac_f32_e32 v20, v36, v39
	v_add_f32_e32 v34, v34, v19
	v_mul_f32_e32 v19, v24, v38
	v_add_f32_e32 v33, v33, v20
	v_fma_f32 v19, v23, v37, -v19
	v_mul_f32_e32 v20, v23, v38
	v_fmac_f32_e32 v20, v24, v37
	v_add_f32_e32 v37, v17, v19
	v_mul_f32_e32 v17, v24, v40
	v_add_f32_e32 v38, v18, v20
	v_fma_f32 v35, v23, v39, -v17
	ds_read2_b64 v[17:20], v13 offset0:128 offset1:144
	v_add_f32_e32 v21, v41, v43
	v_mul_f32_e32 v23, v23, v40
	v_fmac_f32_e32 v23, v24, v39
	v_add_f32_e32 v41, v21, v35
	s_waitcnt lgkmcnt(0)
	v_mul_f32_e32 v21, v26, v18
	v_add_f32_e32 v42, v22, v23
	v_fma_f32 v21, v25, v17, -v21
	v_mul_f32_e32 v22, v25, v18
	v_fmac_f32_e32 v22, v26, v17
	v_add_f32_e32 v7, v7, v21
	v_mul_f32_e32 v21, v26, v20
	v_add_f32_e32 v8, v8, v22
	v_fma_f32 v35, v25, v19, -v21
	ds_read_b128 v[21:24], v14 offset:1056
	v_mul_f32_e32 v25, v25, v20
	v_fmac_f32_e32 v25, v26, v19
	v_add_f32_e32 v26, v34, v35
	v_add_f32_e32 v25, v33, v25
	ds_read_b128 v[33:36], v14 offset:1072
	s_waitcnt lgkmcnt(1)
	v_mul_f32_e32 v39, v22, v18
	v_fma_f32 v39, v21, v17, -v39
	v_mul_f32_e32 v18, v21, v18
	v_fmac_f32_e32 v18, v22, v17
	v_add_f32_e32 v17, v37, v39
	v_mul_f32_e32 v37, v22, v20
	v_add_f32_e32 v18, v38, v18
	v_fma_f32 v43, v21, v19, -v37
	ds_read2_b64 v[37:40], v13 offset0:160 offset1:176
	v_mul_f32_e32 v20, v21, v20
	v_fmac_f32_e32 v20, v22, v19
	v_add_f32_e32 v22, v42, v20
	v_add_f32_e32 v21, v41, v43
	s_waitcnt lgkmcnt(0)
	v_mul_f32_e32 v19, v28, v38
	v_fma_f32 v19, v27, v37, -v19
	v_mul_f32_e32 v20, v27, v38
	v_fmac_f32_e32 v20, v28, v37
	v_add_f32_e32 v7, v7, v19
	v_mul_f32_e32 v19, v28, v40
	v_add_f32_e32 v8, v8, v20
	v_fma_f32 v19, v27, v39, -v19
	v_mul_f32_e32 v20, v27, v40
	v_fmac_f32_e32 v20, v28, v39
	v_add_f32_e32 v26, v26, v19
	v_mul_f32_e32 v19, v24, v38
	v_add_f32_e32 v25, v25, v20
	;; [unrolled: 6-line block ×3, first 2 shown]
	v_fma_f32 v37, v23, v39, -v17
	ds_read2_b64 v[17:20], v13 offset0:192 offset1:208
	v_mul_f32_e32 v23, v23, v40
	v_fmac_f32_e32 v23, v24, v39
	v_add_f32_e32 v22, v22, v23
	v_add_f32_e32 v21, v21, v37
	s_waitcnt lgkmcnt(0)
	v_mul_f32_e32 v24, v29, v18
	v_fmac_f32_e32 v24, v30, v17
	v_mul_f32_e32 v23, v30, v18
	v_add_f32_e32 v8, v8, v24
	v_mul_f32_e32 v24, v29, v20
	v_fma_f32 v23, v29, v17, -v23
	v_fmac_f32_e32 v24, v30, v19
	v_add_f32_e32 v7, v7, v23
	v_mul_f32_e32 v23, v30, v20
	v_add_f32_e32 v24, v25, v24
	v_mul_f32_e32 v25, v34, v18
	v_mul_f32_e32 v18, v33, v18
	v_fma_f32 v23, v29, v19, -v23
	v_fma_f32 v25, v33, v17, -v25
	v_fmac_f32_e32 v18, v34, v17
	v_add_f32_e32 v23, v26, v23
	v_add_f32_e32 v17, v27, v25
	v_add_f32_e32 v29, v28, v18
	ds_read2_b64 v[25:28], v13 offset0:224 offset1:240
	v_mul_f32_e32 v18, v34, v20
	v_mul_f32_e32 v20, v33, v20
	v_fma_f32 v18, v33, v19, -v18
	v_fmac_f32_e32 v20, v34, v19
	v_add_f32_e32 v19, v21, v18
	v_add_f32_e32 v20, v22, v20
	s_waitcnt lgkmcnt(0)
	v_mul_f32_e32 v18, v32, v26
	v_mul_f32_e32 v22, v31, v26
	v_fma_f32 v18, v31, v25, -v18
	v_fmac_f32_e32 v22, v32, v25
	v_add_f32_e32 v21, v7, v18
	v_add_f32_e32 v22, v8, v22
	v_mul_f32_e32 v7, v32, v28
	v_mul_f32_e32 v8, v31, v28
	v_fma_f32 v7, v31, v27, -v7
	v_fmac_f32_e32 v8, v32, v27
	v_add_f32_e32 v23, v23, v7
	v_add_f32_e32 v24, v24, v8
	v_mul_f32_e32 v7, v36, v26
	v_mul_f32_e32 v8, v35, v26
	v_fma_f32 v7, v35, v25, -v7
	v_fmac_f32_e32 v8, v36, v25
	v_add_f32_e32 v18, v17, v7
	v_add_f32_e32 v17, v29, v8
	v_mul_f32_e32 v7, v36, v28
	v_mul_f32_e32 v8, v35, v28
	v_addc_co_u32_e64 v3, s[0:1], v3, v15, s[0:1]
	v_fma_f32 v7, v35, v27, -v7
	v_fmac_f32_e32 v8, v36, v27
	s_add_i32 s21, s21, 8
	v_add_co_u32_e64 v4, s[0:1], s2, v4
	v_add_f32_e32 v19, v19, v7
	v_add_f32_e32 v20, v20, v8
	s_cmp_ge_i32 s21, s11
	v_addc_co_u32_e64 v5, s[0:1], v5, v16, s[0:1]
	s_barrier
	s_cbranch_scc1 .LBB221_10
.LBB221_3:                              ; =>This Inner Loop Header: Depth=1
	v_add_u32_e32 v7, s21, v10
	v_cmp_le_i32_e64 s[0:1], s11, v7
	s_or_b64 s[0:1], s[14:15], s[0:1]
	s_and_saveexec_b64 s[16:17], s[0:1]
	s_xor_b64 s[0:1], exec, s[16:17]
; %bb.4:                                ;   in Loop: Header=BB221_3 Depth=1
	v_mov_b32_e32 v7, v6
	ds_write_b64 v11, v[6:7]
; %bb.5:                                ;   in Loop: Header=BB221_3 Depth=1
	s_andn2_saveexec_b64 s[0:1], s[0:1]
	s_cbranch_execz .LBB221_7
; %bb.6:                                ;   in Loop: Header=BB221_3 Depth=1
	global_load_dwordx2 v[7:8], v[2:3], off
	s_waitcnt vmcnt(0)
	ds_write_b64 v11, v[7:8]
.LBB221_7:                              ;   in Loop: Header=BB221_3 Depth=1
	s_or_b64 exec, exec, s[0:1]
	v_add_u32_e32 v7, s21, v9
	v_cmp_gt_i32_e64 s[0:1], s11, v7
	s_and_b64 s[16:17], s[0:1], vcc
	v_mov_b32_e32 v7, 0
	v_mov_b32_e32 v8, 0
	s_and_saveexec_b64 s[0:1], s[16:17]
	s_cbranch_execz .LBB221_2
; %bb.8:                                ;   in Loop: Header=BB221_3 Depth=1
	global_load_dwordx2 v[7:8], v[4:5], off offset:-4
	s_branch .LBB221_2
.LBB221_9:
	v_mov_b32_e32 v21, 0
	v_mov_b32_e32 v22, 0
	;; [unrolled: 1-line block ×8, first 2 shown]
.LBB221_10:
	s_load_dwordx2 s[0:1], s[4:5], 0x58
	s_load_dwordx2 s[2:3], s[4:5], 0x48
	s_load_dword s6, s[4:5], 0x50
	v_add_u32_e32 v4, s20, v1
	v_add_u32_e32 v0, s9, v0
	s_waitcnt lgkmcnt(0)
	s_mul_i32 s1, s1, s8
	s_mul_hi_u32 s4, s0, s8
	v_mad_i64_i32 v[1:2], s[14:15], v4, s6, 0
	s_mul_i32 s0, s0, s8
	s_add_i32 s1, s4, s1
	s_lshl_b64 s[0:1], s[0:1], 3
	s_add_u32 s4, s2, s0
	v_lshlrev_b64 v[1:2], 3, v[1:2]
	s_addc_u32 s5, s3, s1
	v_mov_b32_e32 v3, s5
	v_add_co_u32_e64 v5, s[0:1], s4, v1
	v_addc_co_u32_e64 v6, s[0:1], v3, v2, s[0:1]
	v_cmp_gt_i32_e32 vcc, s10, v4
	v_cmp_le_i32_e64 s[0:1], v0, v4
	s_and_b64 s[0:1], vcc, s[0:1]
	s_and_saveexec_b64 s[2:3], s[0:1]
	s_cbranch_execz .LBB221_12
; %bb.11:
	v_mul_f32_e32 v1, s13, v22
	v_fma_f32 v2, v21, s12, -v1
	v_ashrrev_i32_e32 v1, 31, v0
	v_lshlrev_b64 v[7:8], 3, v[0:1]
	v_mul_f32_e32 v3, s12, v22
	v_add_co_u32_e64 v7, s[0:1], v5, v7
	v_fmac_f32_e32 v3, s13, v21
	v_addc_co_u32_e64 v8, s[0:1], v6, v8, s[0:1]
	global_store_dwordx2 v[7:8], v[2:3], off
.LBB221_12:
	s_or_b64 exec, exec, s[2:3]
	v_add_u32_e32 v2, 16, v0
	v_cmp_le_i32_e64 s[0:1], v2, v4
	s_and_b64 s[2:3], vcc, s[0:1]
	s_and_saveexec_b64 s[0:1], s[2:3]
	s_cbranch_execz .LBB221_14
; %bb.13:
	v_ashrrev_i32_e32 v3, 31, v2
	v_lshlrev_b64 v[9:10], 3, v[2:3]
	v_mul_f32_e32 v1, s13, v24
	v_mul_f32_e32 v8, s12, v24
	v_add_co_u32_e32 v5, vcc, v5, v9
	v_fma_f32 v7, v23, s12, -v1
	v_fmac_f32_e32 v8, s13, v23
	v_addc_co_u32_e32 v6, vcc, v6, v10, vcc
	global_store_dwordx2 v[5:6], v[7:8], off
.LBB221_14:
	s_or_b64 exec, exec, s[0:1]
	v_add_u32_e32 v3, 16, v4
	v_mad_i64_i32 v[4:5], s[0:1], v3, s6, 0
	v_mov_b32_e32 v1, s5
	v_cmp_gt_i32_e32 vcc, s10, v3
	v_lshlrev_b64 v[4:5], 3, v[4:5]
	v_add_co_u32_e64 v4, s[0:1], s4, v4
	v_addc_co_u32_e64 v5, s[0:1], v1, v5, s[0:1]
	v_cmp_le_i32_e64 s[0:1], v0, v3
	s_and_b64 s[0:1], vcc, s[0:1]
	s_and_saveexec_b64 s[2:3], s[0:1]
	s_cbranch_execz .LBB221_16
; %bb.15:
	v_mul_f32_e32 v1, s13, v17
	v_fma_f32 v6, v18, s12, -v1
	v_ashrrev_i32_e32 v1, 31, v0
	v_lshlrev_b64 v[0:1], 3, v[0:1]
	v_mul_f32_e32 v7, s12, v17
	v_add_co_u32_e64 v0, s[0:1], v4, v0
	v_fmac_f32_e32 v7, s13, v18
	v_addc_co_u32_e64 v1, s[0:1], v5, v1, s[0:1]
	global_store_dwordx2 v[0:1], v[6:7], off
.LBB221_16:
	s_or_b64 exec, exec, s[2:3]
	v_cmp_le_i32_e64 s[0:1], v2, v3
	s_and_b64 s[0:1], vcc, s[0:1]
	s_and_saveexec_b64 s[2:3], s[0:1]
	s_cbranch_execz .LBB221_18
; %bb.17:
	v_ashrrev_i32_e32 v3, 31, v2
	v_lshlrev_b64 v[2:3], 3, v[2:3]
	v_mul_f32_e32 v0, s13, v20
	v_mul_f32_e32 v1, s12, v20
	v_add_co_u32_e32 v2, vcc, v4, v2
	v_fma_f32 v0, v19, s12, -v0
	v_fmac_f32_e32 v1, s13, v19
	v_addc_co_u32_e32 v3, vcc, v5, v3, vcc
	global_store_dwordx2 v[2:3], v[0:1], off
.LBB221_18:
	s_endpgm
	.section	.rodata,"a",@progbits
	.p2align	6, 0x0
	.amdhsa_kernel _ZL34rocblas_syrkx_herkx_general_kernelIi19rocblas_complex_numIfELi16ELi32ELi8ELb1ELb0ELc78ELc85EKS1_S1_EviT_T0_PT8_S3_lS6_S3_lS4_PT9_S3_li
		.amdhsa_group_segment_fixed_size 4096
		.amdhsa_private_segment_fixed_size 0
		.amdhsa_kernarg_size 100
		.amdhsa_user_sgpr_count 6
		.amdhsa_user_sgpr_private_segment_buffer 1
		.amdhsa_user_sgpr_dispatch_ptr 0
		.amdhsa_user_sgpr_queue_ptr 0
		.amdhsa_user_sgpr_kernarg_segment_ptr 1
		.amdhsa_user_sgpr_dispatch_id 0
		.amdhsa_user_sgpr_flat_scratch_init 0
		.amdhsa_user_sgpr_private_segment_size 0
		.amdhsa_uses_dynamic_stack 0
		.amdhsa_system_sgpr_private_segment_wavefront_offset 0
		.amdhsa_system_sgpr_workgroup_id_x 1
		.amdhsa_system_sgpr_workgroup_id_y 1
		.amdhsa_system_sgpr_workgroup_id_z 1
		.amdhsa_system_sgpr_workgroup_info 0
		.amdhsa_system_vgpr_workitem_id 1
		.amdhsa_next_free_vgpr 53
		.amdhsa_next_free_sgpr 26
		.amdhsa_reserve_vcc 1
		.amdhsa_reserve_flat_scratch 0
		.amdhsa_float_round_mode_32 0
		.amdhsa_float_round_mode_16_64 0
		.amdhsa_float_denorm_mode_32 3
		.amdhsa_float_denorm_mode_16_64 3
		.amdhsa_dx10_clamp 1
		.amdhsa_ieee_mode 1
		.amdhsa_fp16_overflow 0
		.amdhsa_exception_fp_ieee_invalid_op 0
		.amdhsa_exception_fp_denorm_src 0
		.amdhsa_exception_fp_ieee_div_zero 0
		.amdhsa_exception_fp_ieee_overflow 0
		.amdhsa_exception_fp_ieee_underflow 0
		.amdhsa_exception_fp_ieee_inexact 0
		.amdhsa_exception_int_div_zero 0
	.end_amdhsa_kernel
	.section	.text._ZL34rocblas_syrkx_herkx_general_kernelIi19rocblas_complex_numIfELi16ELi32ELi8ELb1ELb0ELc78ELc85EKS1_S1_EviT_T0_PT8_S3_lS6_S3_lS4_PT9_S3_li,"axG",@progbits,_ZL34rocblas_syrkx_herkx_general_kernelIi19rocblas_complex_numIfELi16ELi32ELi8ELb1ELb0ELc78ELc85EKS1_S1_EviT_T0_PT8_S3_lS6_S3_lS4_PT9_S3_li,comdat
.Lfunc_end221:
	.size	_ZL34rocblas_syrkx_herkx_general_kernelIi19rocblas_complex_numIfELi16ELi32ELi8ELb1ELb0ELc78ELc85EKS1_S1_EviT_T0_PT8_S3_lS6_S3_lS4_PT9_S3_li, .Lfunc_end221-_ZL34rocblas_syrkx_herkx_general_kernelIi19rocblas_complex_numIfELi16ELi32ELi8ELb1ELb0ELc78ELc85EKS1_S1_EviT_T0_PT8_S3_lS6_S3_lS4_PT9_S3_li
                                        ; -- End function
	.set _ZL34rocblas_syrkx_herkx_general_kernelIi19rocblas_complex_numIfELi16ELi32ELi8ELb1ELb0ELc78ELc85EKS1_S1_EviT_T0_PT8_S3_lS6_S3_lS4_PT9_S3_li.num_vgpr, 53
	.set _ZL34rocblas_syrkx_herkx_general_kernelIi19rocblas_complex_numIfELi16ELi32ELi8ELb1ELb0ELc78ELc85EKS1_S1_EviT_T0_PT8_S3_lS6_S3_lS4_PT9_S3_li.num_agpr, 0
	.set _ZL34rocblas_syrkx_herkx_general_kernelIi19rocblas_complex_numIfELi16ELi32ELi8ELb1ELb0ELc78ELc85EKS1_S1_EviT_T0_PT8_S3_lS6_S3_lS4_PT9_S3_li.numbered_sgpr, 26
	.set _ZL34rocblas_syrkx_herkx_general_kernelIi19rocblas_complex_numIfELi16ELi32ELi8ELb1ELb0ELc78ELc85EKS1_S1_EviT_T0_PT8_S3_lS6_S3_lS4_PT9_S3_li.num_named_barrier, 0
	.set _ZL34rocblas_syrkx_herkx_general_kernelIi19rocblas_complex_numIfELi16ELi32ELi8ELb1ELb0ELc78ELc85EKS1_S1_EviT_T0_PT8_S3_lS6_S3_lS4_PT9_S3_li.private_seg_size, 0
	.set _ZL34rocblas_syrkx_herkx_general_kernelIi19rocblas_complex_numIfELi16ELi32ELi8ELb1ELb0ELc78ELc85EKS1_S1_EviT_T0_PT8_S3_lS6_S3_lS4_PT9_S3_li.uses_vcc, 1
	.set _ZL34rocblas_syrkx_herkx_general_kernelIi19rocblas_complex_numIfELi16ELi32ELi8ELb1ELb0ELc78ELc85EKS1_S1_EviT_T0_PT8_S3_lS6_S3_lS4_PT9_S3_li.uses_flat_scratch, 0
	.set _ZL34rocblas_syrkx_herkx_general_kernelIi19rocblas_complex_numIfELi16ELi32ELi8ELb1ELb0ELc78ELc85EKS1_S1_EviT_T0_PT8_S3_lS6_S3_lS4_PT9_S3_li.has_dyn_sized_stack, 0
	.set _ZL34rocblas_syrkx_herkx_general_kernelIi19rocblas_complex_numIfELi16ELi32ELi8ELb1ELb0ELc78ELc85EKS1_S1_EviT_T0_PT8_S3_lS6_S3_lS4_PT9_S3_li.has_recursion, 0
	.set _ZL34rocblas_syrkx_herkx_general_kernelIi19rocblas_complex_numIfELi16ELi32ELi8ELb1ELb0ELc78ELc85EKS1_S1_EviT_T0_PT8_S3_lS6_S3_lS4_PT9_S3_li.has_indirect_call, 0
	.section	.AMDGPU.csdata,"",@progbits
; Kernel info:
; codeLenInByte = 2204
; TotalNumSgprs: 30
; NumVgprs: 53
; ScratchSize: 0
; MemoryBound: 1
; FloatMode: 240
; IeeeMode: 1
; LDSByteSize: 4096 bytes/workgroup (compile time only)
; SGPRBlocks: 3
; VGPRBlocks: 13
; NumSGPRsForWavesPerEU: 30
; NumVGPRsForWavesPerEU: 53
; Occupancy: 4
; WaveLimiterHint : 0
; COMPUTE_PGM_RSRC2:SCRATCH_EN: 0
; COMPUTE_PGM_RSRC2:USER_SGPR: 6
; COMPUTE_PGM_RSRC2:TRAP_HANDLER: 0
; COMPUTE_PGM_RSRC2:TGID_X_EN: 1
; COMPUTE_PGM_RSRC2:TGID_Y_EN: 1
; COMPUTE_PGM_RSRC2:TGID_Z_EN: 1
; COMPUTE_PGM_RSRC2:TIDIG_COMP_CNT: 1
	.section	.text._ZL34rocblas_syrkx_herkx_general_kernelIi19rocblas_complex_numIfELi16ELi32ELi8ELb0ELb0ELc84ELc76EKS1_S1_EviT_T0_PT8_S3_lS6_S3_lS4_PT9_S3_li,"axG",@progbits,_ZL34rocblas_syrkx_herkx_general_kernelIi19rocblas_complex_numIfELi16ELi32ELi8ELb0ELb0ELc84ELc76EKS1_S1_EviT_T0_PT8_S3_lS6_S3_lS4_PT9_S3_li,comdat
	.globl	_ZL34rocblas_syrkx_herkx_general_kernelIi19rocblas_complex_numIfELi16ELi32ELi8ELb0ELb0ELc84ELc76EKS1_S1_EviT_T0_PT8_S3_lS6_S3_lS4_PT9_S3_li ; -- Begin function _ZL34rocblas_syrkx_herkx_general_kernelIi19rocblas_complex_numIfELi16ELi32ELi8ELb0ELb0ELc84ELc76EKS1_S1_EviT_T0_PT8_S3_lS6_S3_lS4_PT9_S3_li
	.p2align	8
	.type	_ZL34rocblas_syrkx_herkx_general_kernelIi19rocblas_complex_numIfELi16ELi32ELi8ELb0ELb0ELc84ELc76EKS1_S1_EviT_T0_PT8_S3_lS6_S3_lS4_PT9_S3_li,@function
_ZL34rocblas_syrkx_herkx_general_kernelIi19rocblas_complex_numIfELi16ELi32ELi8ELb0ELb0ELc84ELc76EKS1_S1_EviT_T0_PT8_S3_lS6_S3_lS4_PT9_S3_li: ; @_ZL34rocblas_syrkx_herkx_general_kernelIi19rocblas_complex_numIfELi16ELi32ELi8ELb0ELb0ELc84ELc76EKS1_S1_EviT_T0_PT8_S3_lS6_S3_lS4_PT9_S3_li
; %bb.0:
	s_load_dwordx2 s[10:11], s[4:5], 0x0
	s_load_dwordx4 s[16:19], s[4:5], 0x8
	s_load_dwordx4 s[12:15], s[4:5], 0x38
	s_load_dwordx2 s[24:25], s[4:5], 0x48
	s_lshl_b32 s9, s6, 5
	s_lshl_b32 s26, s7, 5
	s_waitcnt lgkmcnt(0)
	s_cmp_lt_i32 s11, 1
	s_mov_b32 s27, 0
	s_cbranch_scc1 .LBB222_11
; %bb.1:
	v_lshl_add_u32 v2, v1, 4, v0
	s_load_dword s2, s[4:5], 0x18
	s_load_dwordx4 s[20:23], s[4:5], 0x20
	s_load_dword s6, s[4:5], 0x30
	v_and_b32_e32 v8, 7, v0
	v_lshrrev_b32_e32 v9, 5, v2
	v_lshrrev_b32_e32 v3, 3, v2
	v_and_b32_e32 v2, 31, v2
	v_or_b32_e32 v5, s9, v2
	v_lshlrev_b32_e32 v6, 3, v8
	v_add_u32_e32 v4, s26, v3
	v_cmp_gt_i32_e32 vcc, s10, v5
	v_lshlrev_b32_e32 v5, 3, v2
	v_lshl_or_b32 v3, v3, 6, v6
	v_add_u32_e32 v2, s9, v2
	v_add_u32_e32 v11, 0x800, v3
	s_waitcnt lgkmcnt(0)
	v_mad_i64_i32 v[2:3], s[2:3], s2, v2, 0
	s_mul_i32 s2, s21, s8
	s_mul_hi_u32 s3, s20, s8
	v_lshlrev_b64 v[2:3], 3, v[2:3]
	s_add_i32 s3, s3, s2
	s_mul_i32 s2, s20, s8
	v_lshl_or_b32 v10, v9, 8, v5
	v_mov_b32_e32 v5, 0x800
	s_lshl_b64 s[2:3], s[2:3], 3
	v_lshl_add_u32 v13, v1, 6, v5
	v_mov_b32_e32 v5, s3
	v_add_co_u32_e64 v2, s[2:3], s2, v2
	v_addc_co_u32_e64 v3, s[2:3], v3, v5, s[2:3]
	v_lshlrev_b32_e32 v5, 3, v9
	v_add_co_u32_e64 v2, s[2:3], v2, v5
	v_cmp_gt_i32_e64 s[0:1], s10, v4
	v_addc_co_u32_e64 v3, s[2:3], 0, v3, s[2:3]
	v_mad_i64_i32 v[4:5], s[2:3], s6, v4, 0
	v_mov_b32_e32 v7, s19
	v_add_co_u32_e64 v2, s[2:3], s18, v2
	v_addc_co_u32_e64 v3, s[2:3], v7, v3, s[2:3]
	s_mul_i32 s2, s13, s8
	s_mul_hi_u32 s3, s12, s8
	v_lshlrev_b64 v[4:5], 3, v[4:5]
	s_add_i32 s3, s3, s2
	s_mul_i32 s2, s12, s8
	s_lshl_b64 s[2:3], s[2:3], 3
	v_mov_b32_e32 v7, s3
	v_add_co_u32_e64 v4, s[2:3], s2, v4
	v_addc_co_u32_e64 v5, s[2:3], v5, v7, s[2:3]
	v_add_co_u32_e64 v4, s[2:3], v4, v6
	v_addc_co_u32_e64 v5, s[2:3], 0, v5, s[2:3]
	v_mov_b32_e32 v6, s23
	v_add_co_u32_e64 v4, s[2:3], s22, v4
	v_addc_co_u32_e64 v5, s[2:3], v6, v5, s[2:3]
	v_lshlrev_b32_e32 v12, 3, v0
	s_xor_b64 s[2:3], vcc, -1
	s_xor_b64 s[0:1], s[0:1], -1
	v_mov_b32_e32 v17, 0
	v_mov_b32_e32 v16, 0
	;; [unrolled: 1-line block ×9, first 2 shown]
	s_branch .LBB222_3
.LBB222_2:                              ;   in Loop: Header=BB222_3 Depth=1
	s_or_b64 exec, exec, s[6:7]
	s_waitcnt lgkmcnt(0)
	s_barrier
	ds_read2_b64 v[22:25], v12 offset1:16
	ds_read_b128 v[26:29], v13
	ds_read_b128 v[30:33], v13 offset:16
	v_add_co_u32_e32 v2, vcc, 64, v2
	v_addc_co_u32_e32 v3, vcc, 0, v3, vcc
	s_waitcnt lgkmcnt(1)
	v_mul_f32_e32 v34, v26, v23
	v_fmac_f32_e32 v34, v27, v22
	v_add_f32_e32 v46, v21, v34
	ds_read_b128 v[34:37], v13 offset:1024
	v_mul_f32_e32 v7, v27, v23
	v_fma_f32 v7, v26, v22, -v7
	v_add_f32_e32 v7, v20, v7
	v_mul_f32_e32 v20, v27, v25
	v_mul_f32_e32 v21, v26, v25
	v_fma_f32 v20, v26, v24, -v20
	v_fmac_f32_e32 v21, v27, v24
	v_add_f32_e32 v26, v18, v20
	v_add_f32_e32 v27, v19, v21
	ds_read_b128 v[18:21], v13 offset:1040
	s_waitcnt lgkmcnt(1)
	v_mul_f32_e32 v38, v35, v23
	v_mul_f32_e32 v23, v34, v23
	v_fma_f32 v38, v34, v22, -v38
	v_fmac_f32_e32 v23, v35, v22
	v_mul_f32_e32 v22, v35, v25
	v_fma_f32 v47, v34, v24, -v22
	v_mul_f32_e32 v34, v34, v25
	v_add_f32_e32 v14, v14, v38
	v_add_f32_e32 v15, v15, v23
	v_fmac_f32_e32 v34, v35, v24
	ds_read2_b64 v[22:25], v12 offset0:32 offset1:48
	ds_read_b128 v[38:41], v13 offset:32
	ds_read_b128 v[42:45], v13 offset:48
	v_add_f32_e32 v35, v16, v47
	v_add_f32_e32 v34, v17, v34
	s_waitcnt lgkmcnt(2)
	v_mul_f32_e32 v16, v29, v23
	v_fma_f32 v16, v28, v22, -v16
	v_mul_f32_e32 v17, v28, v23
	v_fmac_f32_e32 v17, v29, v22
	v_add_f32_e32 v7, v7, v16
	v_mul_f32_e32 v16, v29, v25
	v_add_f32_e32 v46, v46, v17
	v_fma_f32 v16, v28, v24, -v16
	v_mul_f32_e32 v17, v28, v25
	v_fmac_f32_e32 v17, v29, v24
	v_add_f32_e32 v26, v26, v16
	v_mul_f32_e32 v16, v37, v23
	v_add_f32_e32 v27, v27, v17
	;; [unrolled: 6-line block ×3, first 2 shown]
	v_fma_f32 v28, v36, v24, -v14
	ds_read2_b64 v[14:17], v12 offset0:64 offset1:80
	v_mul_f32_e32 v25, v36, v25
	v_fmac_f32_e32 v25, v37, v24
	v_add_f32_e32 v29, v34, v25
	v_add_f32_e32 v28, v35, v28
	s_waitcnt lgkmcnt(0)
	v_mul_f32_e32 v24, v31, v15
	v_fma_f32 v24, v30, v14, -v24
	v_add_f32_e32 v7, v7, v24
	v_mul_f32_e32 v24, v31, v17
	v_mul_f32_e32 v25, v30, v15
	v_fma_f32 v24, v30, v16, -v24
	v_fmac_f32_e32 v25, v31, v14
	v_add_f32_e32 v26, v26, v24
	v_mul_f32_e32 v24, v19, v15
	v_add_f32_e32 v34, v46, v25
	v_mul_f32_e32 v25, v30, v17
	v_fma_f32 v24, v18, v14, -v24
	v_mul_f32_e32 v15, v18, v15
	v_fmac_f32_e32 v25, v31, v16
	v_fmac_f32_e32 v15, v19, v14
	v_add_f32_e32 v14, v22, v24
	v_mul_f32_e32 v22, v19, v17
	v_add_f32_e32 v27, v27, v25
	v_add_f32_e32 v15, v23, v15
	v_fma_f32 v30, v18, v16, -v22
	ds_read2_b64 v[22:25], v12 offset0:96 offset1:112
	v_mul_f32_e32 v17, v18, v17
	v_fmac_f32_e32 v17, v19, v16
	v_add_f32_e32 v19, v29, v17
	v_add_f32_e32 v18, v28, v30
	s_waitcnt lgkmcnt(0)
	v_mul_f32_e32 v16, v33, v23
	v_fma_f32 v16, v32, v22, -v16
	v_mul_f32_e32 v17, v32, v23
	v_fmac_f32_e32 v17, v33, v22
	v_add_f32_e32 v7, v7, v16
	v_mul_f32_e32 v16, v33, v25
	v_add_f32_e32 v28, v34, v17
	v_fma_f32 v16, v32, v24, -v16
	v_mul_f32_e32 v17, v32, v25
	v_fmac_f32_e32 v17, v33, v24
	v_add_f32_e32 v26, v26, v16
	v_mul_f32_e32 v16, v21, v23
	v_add_f32_e32 v27, v27, v17
	;; [unrolled: 6-line block ×3, first 2 shown]
	v_fma_f32 v22, v20, v24, -v14
	ds_read2_b64 v[14:17], v12 offset0:128 offset1:144
	v_mul_f32_e32 v20, v20, v25
	v_fmac_f32_e32 v20, v21, v24
	v_add_f32_e32 v31, v18, v22
	v_add_f32_e32 v32, v19, v20
	s_waitcnt lgkmcnt(0)
	v_mul_f32_e32 v18, v39, v15
	v_fma_f32 v18, v38, v14, -v18
	v_mul_f32_e32 v19, v38, v15
	v_fmac_f32_e32 v19, v39, v14
	v_add_f32_e32 v7, v7, v18
	v_mul_f32_e32 v18, v39, v17
	v_add_f32_e32 v33, v28, v19
	v_fma_f32 v22, v38, v16, -v18
	ds_read_b128 v[18:21], v13 offset:1056
	v_mul_f32_e32 v23, v38, v17
	v_fmac_f32_e32 v23, v39, v16
	v_add_f32_e32 v34, v26, v22
	v_add_f32_e32 v35, v27, v23
	ds_read_b128 v[22:25], v13 offset:1072
	s_waitcnt lgkmcnt(1)
	v_mul_f32_e32 v26, v19, v15
	v_fma_f32 v26, v18, v14, -v26
	v_mul_f32_e32 v15, v18, v15
	v_fmac_f32_e32 v15, v19, v14
	v_add_f32_e32 v14, v29, v26
	v_mul_f32_e32 v26, v19, v17
	v_add_f32_e32 v15, v30, v15
	v_fma_f32 v30, v18, v16, -v26
	ds_read2_b64 v[26:29], v12 offset0:160 offset1:176
	v_mul_f32_e32 v17, v18, v17
	v_fmac_f32_e32 v17, v19, v16
	v_add_f32_e32 v19, v32, v17
	v_add_f32_e32 v18, v31, v30
	s_waitcnt lgkmcnt(0)
	v_mul_f32_e32 v16, v41, v27
	v_fma_f32 v16, v40, v26, -v16
	v_mul_f32_e32 v17, v40, v27
	v_fmac_f32_e32 v17, v41, v26
	v_add_f32_e32 v7, v7, v16
	v_mul_f32_e32 v16, v41, v29
	v_add_f32_e32 v30, v33, v17
	v_fma_f32 v16, v40, v28, -v16
	v_mul_f32_e32 v17, v40, v29
	v_fmac_f32_e32 v17, v41, v28
	v_add_f32_e32 v31, v34, v16
	v_mul_f32_e32 v16, v21, v27
	v_add_f32_e32 v32, v35, v17
	;; [unrolled: 6-line block ×3, first 2 shown]
	v_fma_f32 v33, v20, v28, -v14
	ds_read2_b64 v[14:17], v12 offset0:192 offset1:208
	v_mul_f32_e32 v20, v20, v29
	v_fmac_f32_e32 v20, v21, v28
	v_add_f32_e32 v19, v19, v20
	v_add_f32_e32 v18, v18, v33
	s_waitcnt lgkmcnt(0)
	v_mul_f32_e32 v20, v43, v15
	v_fma_f32 v20, v42, v14, -v20
	v_mul_f32_e32 v21, v42, v15
	v_add_f32_e32 v7, v7, v20
	v_mul_f32_e32 v20, v43, v17
	v_fmac_f32_e32 v21, v43, v14
	v_fma_f32 v20, v42, v16, -v20
	v_add_f32_e32 v21, v30, v21
	v_mul_f32_e32 v28, v42, v17
	v_add_f32_e32 v30, v31, v20
	v_mul_f32_e32 v20, v23, v15
	v_mul_f32_e32 v15, v22, v15
	v_fmac_f32_e32 v28, v43, v16
	v_fma_f32 v20, v22, v14, -v20
	v_fmac_f32_e32 v15, v23, v14
	v_add_f32_e32 v31, v32, v28
	v_add_f32_e32 v14, v26, v20
	;; [unrolled: 1-line block ×3, first 2 shown]
	ds_read2_b64 v[26:29], v12 offset0:224 offset1:240
	v_mul_f32_e32 v20, v23, v17
	v_fma_f32 v20, v22, v16, -v20
	v_mul_f32_e32 v17, v22, v17
	v_fmac_f32_e32 v17, v23, v16
	v_add_f32_e32 v16, v18, v20
	s_waitcnt lgkmcnt(0)
	v_mul_f32_e32 v18, v45, v27
	v_fma_f32 v18, v44, v26, -v18
	v_add_f32_e32 v20, v7, v18
	v_mul_f32_e32 v7, v45, v29
	v_fma_f32 v7, v44, v28, -v7
	v_add_f32_e32 v17, v19, v17
	v_mul_f32_e32 v19, v44, v27
	v_add_f32_e32 v18, v30, v7
	v_mul_f32_e32 v7, v25, v27
	v_mul_f32_e32 v22, v24, v27
	v_fmac_f32_e32 v19, v45, v26
	v_fma_f32 v7, v24, v26, -v7
	v_fmac_f32_e32 v22, v25, v26
	v_add_f32_e32 v21, v21, v19
	v_mul_f32_e32 v19, v44, v29
	v_add_f32_e32 v14, v14, v7
	v_add_f32_e32 v15, v15, v22
	v_mul_f32_e32 v7, v25, v29
	v_mul_f32_e32 v22, v24, v29
	v_fmac_f32_e32 v19, v45, v28
	v_fma_f32 v7, v24, v28, -v7
	v_fmac_f32_e32 v22, v25, v28
	s_add_i32 s27, s27, 8
	v_add_co_u32_e32 v4, vcc, 64, v4
	v_add_f32_e32 v19, v31, v19
	v_add_f32_e32 v16, v16, v7
	;; [unrolled: 1-line block ×3, first 2 shown]
	s_cmp_ge_i32 s27, s11
	v_addc_co_u32_e32 v5, vcc, 0, v5, vcc
	s_barrier
	s_cbranch_scc1 .LBB222_12
.LBB222_3:                              ; =>This Inner Loop Header: Depth=1
	v_add_u32_e32 v7, s27, v9
	v_cmp_le_i32_e32 vcc, s11, v7
	s_or_b64 s[6:7], s[2:3], vcc
	s_and_saveexec_b64 s[12:13], s[6:7]
	s_xor_b64 s[6:7], exec, s[12:13]
; %bb.4:                                ;   in Loop: Header=BB222_3 Depth=1
	v_mov_b32_e32 v7, v6
	ds_write_b64 v10, v[6:7]
; %bb.5:                                ;   in Loop: Header=BB222_3 Depth=1
	s_andn2_saveexec_b64 s[6:7], s[6:7]
	s_cbranch_execz .LBB222_7
; %bb.6:                                ;   in Loop: Header=BB222_3 Depth=1
	global_load_dwordx2 v[22:23], v[2:3], off
	s_waitcnt vmcnt(0)
	ds_write_b64 v10, v[22:23]
.LBB222_7:                              ;   in Loop: Header=BB222_3 Depth=1
	s_or_b64 exec, exec, s[6:7]
	v_add_u32_e32 v7, s27, v8
	v_cmp_le_i32_e32 vcc, s11, v7
	s_or_b64 s[6:7], vcc, s[0:1]
	s_and_saveexec_b64 s[12:13], s[6:7]
	s_xor_b64 s[6:7], exec, s[12:13]
; %bb.8:                                ;   in Loop: Header=BB222_3 Depth=1
	v_mov_b32_e32 v7, v6
	ds_write_b64 v11, v[6:7]
; %bb.9:                                ;   in Loop: Header=BB222_3 Depth=1
	s_andn2_saveexec_b64 s[6:7], s[6:7]
	s_cbranch_execz .LBB222_2
; %bb.10:                               ;   in Loop: Header=BB222_3 Depth=1
	global_load_dwordx2 v[22:23], v[4:5], off
	s_waitcnt vmcnt(0)
	ds_write_b64 v11, v[22:23]
	s_branch .LBB222_2
.LBB222_11:
	v_mov_b32_e32 v20, 0
	v_mov_b32_e32 v21, 0
	;; [unrolled: 1-line block ×8, first 2 shown]
.LBB222_12:
	s_load_dwordx2 s[0:1], s[4:5], 0x58
	s_load_dword s6, s[4:5], 0x50
	v_add_u32_e32 v4, s26, v1
	v_add_u32_e32 v0, s9, v0
	s_waitcnt lgkmcnt(0)
	s_mul_i32 s1, s1, s8
	s_mul_hi_u32 s2, s0, s8
	s_add_i32 s1, s2, s1
	v_mad_i64_i32 v[1:2], s[2:3], v4, s6, 0
	s_mul_i32 s0, s0, s8
	s_lshl_b64 s[0:1], s[0:1], 3
	s_add_u32 s7, s24, s0
	v_lshlrev_b64 v[1:2], 3, v[1:2]
	s_addc_u32 s8, s25, s1
	v_mov_b32_e32 v3, s8
	v_add_co_u32_e32 v5, vcc, s7, v1
	v_addc_co_u32_e32 v6, vcc, v3, v2, vcc
	v_cmp_le_i32_e64 s[0:1], v4, v0
	v_cmp_gt_i32_e32 vcc, s10, v0
	s_and_b64 s[0:1], s[0:1], vcc
	s_and_saveexec_b64 s[2:3], s[0:1]
	s_cbranch_execz .LBB222_14
; %bb.13:
	v_ashrrev_i32_e32 v1, 31, v0
	v_lshlrev_b64 v[1:2], 3, v[0:1]
	v_mul_f32_e32 v3, s17, v21
	v_add_co_u32_e64 v1, s[0:1], v5, v1
	v_addc_co_u32_e64 v2, s[0:1], v6, v2, s[0:1]
	global_load_dwordx2 v[7:8], v[1:2], off
	v_mul_f32_e32 v9, s16, v21
	v_fma_f32 v3, v20, s16, -v3
	v_fmac_f32_e32 v9, s17, v20
	s_waitcnt vmcnt(0)
	v_mul_f32_e32 v10, s15, v8
	v_mul_f32_e32 v8, s14, v8
	v_fma_f32 v10, v7, s14, -v10
	v_fmac_f32_e32 v8, s15, v7
	v_add_f32_e32 v7, v3, v10
	v_add_f32_e32 v8, v9, v8
	global_store_dwordx2 v[1:2], v[7:8], off
.LBB222_14:
	s_or_b64 exec, exec, s[2:3]
	v_add_u32_e32 v2, 16, v0
	v_cmp_le_i32_e64 s[2:3], v4, v2
	v_cmp_gt_i32_e64 s[0:1], s10, v2
	s_and_b64 s[2:3], s[2:3], s[0:1]
	s_and_saveexec_b64 s[4:5], s[2:3]
	s_cbranch_execz .LBB222_16
; %bb.15:
	v_ashrrev_i32_e32 v3, 31, v2
	v_lshlrev_b64 v[7:8], 3, v[2:3]
	v_mul_f32_e32 v1, s17, v19
	v_add_co_u32_e64 v5, s[2:3], v5, v7
	v_addc_co_u32_e64 v6, s[2:3], v6, v8, s[2:3]
	global_load_dwordx2 v[7:8], v[5:6], off
	v_mul_f32_e32 v3, s16, v19
	v_fma_f32 v1, v18, s16, -v1
	v_fmac_f32_e32 v3, s17, v18
	s_waitcnt vmcnt(0)
	v_mul_f32_e32 v9, s15, v8
	v_mul_f32_e32 v8, s14, v8
	v_fma_f32 v9, v7, s14, -v9
	v_fmac_f32_e32 v8, s15, v7
	v_add_f32_e32 v7, v1, v9
	v_add_f32_e32 v8, v3, v8
	global_store_dwordx2 v[5:6], v[7:8], off
.LBB222_16:
	s_or_b64 exec, exec, s[4:5]
	v_add_u32_e32 v3, 16, v4
	v_mad_i64_i32 v[4:5], s[2:3], v3, s6, 0
	v_mov_b32_e32 v1, s8
	v_lshlrev_b64 v[4:5], 3, v[4:5]
	v_add_co_u32_e64 v4, s[2:3], s7, v4
	v_addc_co_u32_e64 v5, s[2:3], v1, v5, s[2:3]
	v_cmp_le_i32_e64 s[2:3], v3, v0
	s_and_b64 s[4:5], s[2:3], vcc
	s_and_saveexec_b64 s[2:3], s[4:5]
	s_cbranch_execz .LBB222_18
; %bb.17:
	v_ashrrev_i32_e32 v1, 31, v0
	v_lshlrev_b64 v[0:1], 3, v[0:1]
	v_mul_f32_e32 v8, s17, v15
	v_add_co_u32_e32 v0, vcc, v4, v0
	v_addc_co_u32_e32 v1, vcc, v5, v1, vcc
	global_load_dwordx2 v[6:7], v[0:1], off
	v_mul_f32_e32 v9, s16, v15
	v_fma_f32 v8, v14, s16, -v8
	v_fmac_f32_e32 v9, s17, v14
	s_waitcnt vmcnt(0)
	v_mul_f32_e32 v10, s15, v7
	v_mul_f32_e32 v7, s14, v7
	v_fma_f32 v10, v6, s14, -v10
	v_fmac_f32_e32 v7, s15, v6
	v_add_f32_e32 v6, v8, v10
	v_add_f32_e32 v7, v9, v7
	global_store_dwordx2 v[0:1], v[6:7], off
.LBB222_18:
	s_or_b64 exec, exec, s[2:3]
	v_cmp_le_i32_e32 vcc, v3, v2
	s_and_b64 s[0:1], vcc, s[0:1]
	s_and_saveexec_b64 s[2:3], s[0:1]
	s_cbranch_execz .LBB222_20
; %bb.19:
	v_ashrrev_i32_e32 v3, 31, v2
	v_lshlrev_b64 v[0:1], 3, v[2:3]
	v_add_co_u32_e32 v0, vcc, v4, v0
	v_addc_co_u32_e32 v1, vcc, v5, v1, vcc
	global_load_dwordx2 v[2:3], v[0:1], off
	v_mul_f32_e32 v4, s17, v17
	v_mul_f32_e32 v5, s16, v17
	v_fma_f32 v4, v16, s16, -v4
	v_fmac_f32_e32 v5, s17, v16
	s_waitcnt vmcnt(0)
	v_mul_f32_e32 v6, s15, v3
	v_mul_f32_e32 v3, s14, v3
	v_fma_f32 v6, v2, s14, -v6
	v_fmac_f32_e32 v3, s15, v2
	v_add_f32_e32 v2, v4, v6
	v_add_f32_e32 v3, v5, v3
	global_store_dwordx2 v[0:1], v[2:3], off
.LBB222_20:
	s_endpgm
	.section	.rodata,"a",@progbits
	.p2align	6, 0x0
	.amdhsa_kernel _ZL34rocblas_syrkx_herkx_general_kernelIi19rocblas_complex_numIfELi16ELi32ELi8ELb0ELb0ELc84ELc76EKS1_S1_EviT_T0_PT8_S3_lS6_S3_lS4_PT9_S3_li
		.amdhsa_group_segment_fixed_size 4096
		.amdhsa_private_segment_fixed_size 0
		.amdhsa_kernarg_size 100
		.amdhsa_user_sgpr_count 6
		.amdhsa_user_sgpr_private_segment_buffer 1
		.amdhsa_user_sgpr_dispatch_ptr 0
		.amdhsa_user_sgpr_queue_ptr 0
		.amdhsa_user_sgpr_kernarg_segment_ptr 1
		.amdhsa_user_sgpr_dispatch_id 0
		.amdhsa_user_sgpr_flat_scratch_init 0
		.amdhsa_user_sgpr_private_segment_size 0
		.amdhsa_uses_dynamic_stack 0
		.amdhsa_system_sgpr_private_segment_wavefront_offset 0
		.amdhsa_system_sgpr_workgroup_id_x 1
		.amdhsa_system_sgpr_workgroup_id_y 1
		.amdhsa_system_sgpr_workgroup_id_z 1
		.amdhsa_system_sgpr_workgroup_info 0
		.amdhsa_system_vgpr_workitem_id 1
		.amdhsa_next_free_vgpr 48
		.amdhsa_next_free_sgpr 28
		.amdhsa_reserve_vcc 1
		.amdhsa_reserve_flat_scratch 0
		.amdhsa_float_round_mode_32 0
		.amdhsa_float_round_mode_16_64 0
		.amdhsa_float_denorm_mode_32 3
		.amdhsa_float_denorm_mode_16_64 3
		.amdhsa_dx10_clamp 1
		.amdhsa_ieee_mode 1
		.amdhsa_fp16_overflow 0
		.amdhsa_exception_fp_ieee_invalid_op 0
		.amdhsa_exception_fp_denorm_src 0
		.amdhsa_exception_fp_ieee_div_zero 0
		.amdhsa_exception_fp_ieee_overflow 0
		.amdhsa_exception_fp_ieee_underflow 0
		.amdhsa_exception_fp_ieee_inexact 0
		.amdhsa_exception_int_div_zero 0
	.end_amdhsa_kernel
	.section	.text._ZL34rocblas_syrkx_herkx_general_kernelIi19rocblas_complex_numIfELi16ELi32ELi8ELb0ELb0ELc84ELc76EKS1_S1_EviT_T0_PT8_S3_lS6_S3_lS4_PT9_S3_li,"axG",@progbits,_ZL34rocblas_syrkx_herkx_general_kernelIi19rocblas_complex_numIfELi16ELi32ELi8ELb0ELb0ELc84ELc76EKS1_S1_EviT_T0_PT8_S3_lS6_S3_lS4_PT9_S3_li,comdat
.Lfunc_end222:
	.size	_ZL34rocblas_syrkx_herkx_general_kernelIi19rocblas_complex_numIfELi16ELi32ELi8ELb0ELb0ELc84ELc76EKS1_S1_EviT_T0_PT8_S3_lS6_S3_lS4_PT9_S3_li, .Lfunc_end222-_ZL34rocblas_syrkx_herkx_general_kernelIi19rocblas_complex_numIfELi16ELi32ELi8ELb0ELb0ELc84ELc76EKS1_S1_EviT_T0_PT8_S3_lS6_S3_lS4_PT9_S3_li
                                        ; -- End function
	.set _ZL34rocblas_syrkx_herkx_general_kernelIi19rocblas_complex_numIfELi16ELi32ELi8ELb0ELb0ELc84ELc76EKS1_S1_EviT_T0_PT8_S3_lS6_S3_lS4_PT9_S3_li.num_vgpr, 48
	.set _ZL34rocblas_syrkx_herkx_general_kernelIi19rocblas_complex_numIfELi16ELi32ELi8ELb0ELb0ELc84ELc76EKS1_S1_EviT_T0_PT8_S3_lS6_S3_lS4_PT9_S3_li.num_agpr, 0
	.set _ZL34rocblas_syrkx_herkx_general_kernelIi19rocblas_complex_numIfELi16ELi32ELi8ELb0ELb0ELc84ELc76EKS1_S1_EviT_T0_PT8_S3_lS6_S3_lS4_PT9_S3_li.numbered_sgpr, 28
	.set _ZL34rocblas_syrkx_herkx_general_kernelIi19rocblas_complex_numIfELi16ELi32ELi8ELb0ELb0ELc84ELc76EKS1_S1_EviT_T0_PT8_S3_lS6_S3_lS4_PT9_S3_li.num_named_barrier, 0
	.set _ZL34rocblas_syrkx_herkx_general_kernelIi19rocblas_complex_numIfELi16ELi32ELi8ELb0ELb0ELc84ELc76EKS1_S1_EviT_T0_PT8_S3_lS6_S3_lS4_PT9_S3_li.private_seg_size, 0
	.set _ZL34rocblas_syrkx_herkx_general_kernelIi19rocblas_complex_numIfELi16ELi32ELi8ELb0ELb0ELc84ELc76EKS1_S1_EviT_T0_PT8_S3_lS6_S3_lS4_PT9_S3_li.uses_vcc, 1
	.set _ZL34rocblas_syrkx_herkx_general_kernelIi19rocblas_complex_numIfELi16ELi32ELi8ELb0ELb0ELc84ELc76EKS1_S1_EviT_T0_PT8_S3_lS6_S3_lS4_PT9_S3_li.uses_flat_scratch, 0
	.set _ZL34rocblas_syrkx_herkx_general_kernelIi19rocblas_complex_numIfELi16ELi32ELi8ELb0ELb0ELc84ELc76EKS1_S1_EviT_T0_PT8_S3_lS6_S3_lS4_PT9_S3_li.has_dyn_sized_stack, 0
	.set _ZL34rocblas_syrkx_herkx_general_kernelIi19rocblas_complex_numIfELi16ELi32ELi8ELb0ELb0ELc84ELc76EKS1_S1_EviT_T0_PT8_S3_lS6_S3_lS4_PT9_S3_li.has_recursion, 0
	.set _ZL34rocblas_syrkx_herkx_general_kernelIi19rocblas_complex_numIfELi16ELi32ELi8ELb0ELb0ELc84ELc76EKS1_S1_EviT_T0_PT8_S3_lS6_S3_lS4_PT9_S3_li.has_indirect_call, 0
	.section	.AMDGPU.csdata,"",@progbits
; Kernel info:
; codeLenInByte = 2288
; TotalNumSgprs: 32
; NumVgprs: 48
; ScratchSize: 0
; MemoryBound: 1
; FloatMode: 240
; IeeeMode: 1
; LDSByteSize: 4096 bytes/workgroup (compile time only)
; SGPRBlocks: 3
; VGPRBlocks: 11
; NumSGPRsForWavesPerEU: 32
; NumVGPRsForWavesPerEU: 48
; Occupancy: 5
; WaveLimiterHint : 0
; COMPUTE_PGM_RSRC2:SCRATCH_EN: 0
; COMPUTE_PGM_RSRC2:USER_SGPR: 6
; COMPUTE_PGM_RSRC2:TRAP_HANDLER: 0
; COMPUTE_PGM_RSRC2:TGID_X_EN: 1
; COMPUTE_PGM_RSRC2:TGID_Y_EN: 1
; COMPUTE_PGM_RSRC2:TGID_Z_EN: 1
; COMPUTE_PGM_RSRC2:TIDIG_COMP_CNT: 1
	.section	.text._ZL34rocblas_syrkx_herkx_general_kernelIi19rocblas_complex_numIfELi16ELi32ELi8ELb0ELb0ELc67ELc76EKS1_S1_EviT_T0_PT8_S3_lS6_S3_lS4_PT9_S3_li,"axG",@progbits,_ZL34rocblas_syrkx_herkx_general_kernelIi19rocblas_complex_numIfELi16ELi32ELi8ELb0ELb0ELc67ELc76EKS1_S1_EviT_T0_PT8_S3_lS6_S3_lS4_PT9_S3_li,comdat
	.globl	_ZL34rocblas_syrkx_herkx_general_kernelIi19rocblas_complex_numIfELi16ELi32ELi8ELb0ELb0ELc67ELc76EKS1_S1_EviT_T0_PT8_S3_lS6_S3_lS4_PT9_S3_li ; -- Begin function _ZL34rocblas_syrkx_herkx_general_kernelIi19rocblas_complex_numIfELi16ELi32ELi8ELb0ELb0ELc67ELc76EKS1_S1_EviT_T0_PT8_S3_lS6_S3_lS4_PT9_S3_li
	.p2align	8
	.type	_ZL34rocblas_syrkx_herkx_general_kernelIi19rocblas_complex_numIfELi16ELi32ELi8ELb0ELb0ELc67ELc76EKS1_S1_EviT_T0_PT8_S3_lS6_S3_lS4_PT9_S3_li,@function
_ZL34rocblas_syrkx_herkx_general_kernelIi19rocblas_complex_numIfELi16ELi32ELi8ELb0ELb0ELc67ELc76EKS1_S1_EviT_T0_PT8_S3_lS6_S3_lS4_PT9_S3_li: ; @_ZL34rocblas_syrkx_herkx_general_kernelIi19rocblas_complex_numIfELi16ELi32ELi8ELb0ELb0ELc67ELc76EKS1_S1_EviT_T0_PT8_S3_lS6_S3_lS4_PT9_S3_li
; %bb.0:
	s_load_dwordx2 s[10:11], s[4:5], 0x0
	s_load_dwordx4 s[16:19], s[4:5], 0x8
	s_load_dwordx4 s[12:15], s[4:5], 0x38
	s_load_dwordx2 s[24:25], s[4:5], 0x48
	s_lshl_b32 s6, s6, 5
	s_lshl_b32 s7, s7, 5
	s_waitcnt lgkmcnt(0)
	s_cmp_lt_i32 s11, 1
	s_mov_b32 s9, 0
	s_cbranch_scc1 .LBB223_9
; %bb.1:
	v_lshl_add_u32 v2, v1, 4, v0
	s_load_dword s2, s[4:5], 0x18
	s_load_dwordx4 s[20:23], s[4:5], 0x20
	s_load_dword s26, s[4:5], 0x30
	v_and_b32_e32 v9, 7, v0
	v_lshrrev_b32_e32 v10, 5, v2
	v_lshrrev_b32_e32 v3, 3, v2
	v_and_b32_e32 v2, 31, v2
	v_or_b32_e32 v5, s6, v2
	v_lshlrev_b32_e32 v6, 3, v9
	v_add_u32_e32 v4, s7, v3
	v_cmp_gt_i32_e32 vcc, s10, v5
	v_lshlrev_b32_e32 v5, 3, v2
	v_lshl_or_b32 v3, v3, 6, v6
	v_add_u32_e32 v2, s6, v2
	v_add_u32_e32 v12, 0x800, v3
	s_waitcnt lgkmcnt(0)
	v_mad_i64_i32 v[2:3], s[2:3], s2, v2, 0
	s_mul_i32 s2, s21, s8
	s_mul_hi_u32 s3, s20, s8
	v_lshlrev_b64 v[2:3], 3, v[2:3]
	s_add_i32 s3, s3, s2
	s_mul_i32 s2, s20, s8
	v_lshl_or_b32 v11, v10, 8, v5
	v_mov_b32_e32 v5, 0x800
	s_lshl_b64 s[2:3], s[2:3], 3
	v_lshl_add_u32 v14, v1, 6, v5
	v_mov_b32_e32 v5, s3
	v_add_co_u32_e64 v2, s[2:3], s2, v2
	v_addc_co_u32_e64 v3, s[2:3], v3, v5, s[2:3]
	v_lshlrev_b32_e32 v5, 3, v10
	v_add_co_u32_e64 v2, s[2:3], v2, v5
	v_addc_co_u32_e64 v3, s[2:3], 0, v3, s[2:3]
	v_mov_b32_e32 v5, s19
	v_add_co_u32_e64 v2, s[2:3], s18, v2
	v_cmp_gt_i32_e64 s[0:1], s10, v4
	v_addc_co_u32_e64 v3, s[2:3], v5, v3, s[2:3]
	v_mad_i64_i32 v[4:5], s[2:3], s26, v4, 0
	v_add_co_u32_e64 v2, s[2:3], 4, v2
	v_addc_co_u32_e64 v3, s[2:3], 0, v3, s[2:3]
	s_mul_i32 s2, s13, s8
	s_mul_hi_u32 s3, s12, s8
	v_lshlrev_b64 v[4:5], 3, v[4:5]
	s_add_i32 s3, s3, s2
	s_mul_i32 s2, s12, s8
	s_lshl_b64 s[2:3], s[2:3], 3
	v_mov_b32_e32 v7, s3
	v_add_co_u32_e64 v4, s[2:3], s2, v4
	v_addc_co_u32_e64 v5, s[2:3], v5, v7, s[2:3]
	v_add_co_u32_e64 v4, s[2:3], v4, v6
	v_addc_co_u32_e64 v5, s[2:3], 0, v5, s[2:3]
	v_mov_b32_e32 v6, s23
	v_add_co_u32_e64 v4, s[2:3], s22, v4
	v_addc_co_u32_e64 v5, s[2:3], v6, v5, s[2:3]
	v_lshlrev_b32_e32 v13, 3, v0
	s_xor_b64 s[2:3], s[0:1], -1
	v_mov_b32_e32 v18, 0
	v_mov_b32_e32 v17, 0
	;; [unrolled: 1-line block ×9, first 2 shown]
	s_branch .LBB223_3
.LBB223_2:                              ;   in Loop: Header=BB223_3 Depth=1
	s_or_b64 exec, exec, s[0:1]
	s_waitcnt lgkmcnt(0)
	s_barrier
	ds_read2_b64 v[23:26], v13 offset1:16
	ds_read_b128 v[27:30], v14
	ds_read_b128 v[31:34], v14 offset:16
	ds_read_b128 v[35:38], v14 offset:1024
	v_add_co_u32_e64 v2, s[0:1], 64, v2
	s_waitcnt lgkmcnt(2)
	v_mul_f32_e32 v7, v28, v24
	v_mul_f32_e32 v8, v27, v24
	v_fma_f32 v7, v27, v23, -v7
	v_fmac_f32_e32 v8, v28, v23
	v_add_f32_e32 v7, v21, v7
	v_add_f32_e32 v8, v22, v8
	v_mul_f32_e32 v21, v28, v26
	v_mul_f32_e32 v22, v27, v26
	v_fma_f32 v21, v27, v25, -v21
	v_fmac_f32_e32 v22, v28, v25
	v_add_f32_e32 v27, v19, v21
	v_add_f32_e32 v28, v20, v22
	ds_read_b128 v[19:22], v14 offset:1040
	s_waitcnt lgkmcnt(1)
	v_mul_f32_e32 v39, v36, v24
	v_mul_f32_e32 v24, v35, v24
	v_fma_f32 v39, v35, v23, -v39
	v_fmac_f32_e32 v24, v36, v23
	v_mul_f32_e32 v23, v36, v26
	v_fma_f32 v47, v35, v25, -v23
	v_mul_f32_e32 v35, v35, v26
	v_add_f32_e32 v15, v15, v39
	v_add_f32_e32 v16, v16, v24
	v_fmac_f32_e32 v35, v36, v25
	ds_read2_b64 v[23:26], v13 offset0:32 offset1:48
	ds_read_b128 v[39:42], v14 offset:32
	ds_read_b128 v[43:46], v14 offset:48
	v_add_f32_e32 v36, v17, v47
	v_add_f32_e32 v35, v18, v35
	s_waitcnt lgkmcnt(2)
	v_mul_f32_e32 v17, v30, v24
	v_fma_f32 v17, v29, v23, -v17
	v_mul_f32_e32 v18, v29, v24
	v_fmac_f32_e32 v18, v30, v23
	v_add_f32_e32 v7, v7, v17
	v_mul_f32_e32 v17, v30, v26
	v_add_f32_e32 v8, v8, v18
	v_fma_f32 v17, v29, v25, -v17
	v_mul_f32_e32 v18, v29, v26
	v_fmac_f32_e32 v18, v30, v25
	v_add_f32_e32 v27, v27, v17
	v_mul_f32_e32 v17, v38, v24
	v_add_f32_e32 v28, v28, v18
	;; [unrolled: 6-line block ×3, first 2 shown]
	v_fma_f32 v29, v37, v25, -v15
	ds_read2_b64 v[15:18], v13 offset0:64 offset1:80
	v_mul_f32_e32 v26, v37, v26
	v_fmac_f32_e32 v26, v38, v25
	v_add_f32_e32 v30, v35, v26
	v_add_f32_e32 v29, v36, v29
	s_waitcnt lgkmcnt(0)
	v_mul_f32_e32 v25, v32, v16
	v_fma_f32 v25, v31, v15, -v25
	v_add_f32_e32 v7, v7, v25
	v_mul_f32_e32 v25, v32, v18
	v_mul_f32_e32 v26, v31, v16
	v_fma_f32 v25, v31, v17, -v25
	v_fmac_f32_e32 v26, v32, v15
	v_add_f32_e32 v27, v27, v25
	v_mul_f32_e32 v25, v20, v16
	v_add_f32_e32 v8, v8, v26
	v_mul_f32_e32 v26, v31, v18
	v_fma_f32 v25, v19, v15, -v25
	v_mul_f32_e32 v16, v19, v16
	v_fmac_f32_e32 v26, v32, v17
	v_fmac_f32_e32 v16, v20, v15
	v_add_f32_e32 v15, v23, v25
	v_mul_f32_e32 v23, v20, v18
	v_add_f32_e32 v28, v28, v26
	v_add_f32_e32 v16, v24, v16
	v_fma_f32 v31, v19, v17, -v23
	ds_read2_b64 v[23:26], v13 offset0:96 offset1:112
	v_mul_f32_e32 v18, v19, v18
	v_fmac_f32_e32 v18, v20, v17
	v_add_f32_e32 v20, v30, v18
	v_add_f32_e32 v19, v29, v31
	s_waitcnt lgkmcnt(0)
	v_mul_f32_e32 v17, v34, v24
	v_fma_f32 v17, v33, v23, -v17
	v_mul_f32_e32 v18, v33, v24
	v_fmac_f32_e32 v18, v34, v23
	v_add_f32_e32 v7, v7, v17
	v_mul_f32_e32 v17, v34, v26
	v_add_f32_e32 v8, v8, v18
	v_fma_f32 v17, v33, v25, -v17
	v_mul_f32_e32 v18, v33, v26
	v_fmac_f32_e32 v18, v34, v25
	v_add_f32_e32 v27, v27, v17
	v_mul_f32_e32 v17, v22, v24
	v_add_f32_e32 v28, v28, v18
	;; [unrolled: 6-line block ×3, first 2 shown]
	v_fma_f32 v23, v21, v25, -v15
	ds_read2_b64 v[15:18], v13 offset0:128 offset1:144
	v_mul_f32_e32 v21, v21, v26
	v_fmac_f32_e32 v21, v22, v25
	v_add_f32_e32 v31, v19, v23
	v_add_f32_e32 v32, v20, v21
	s_waitcnt lgkmcnt(0)
	v_mul_f32_e32 v19, v40, v16
	v_fma_f32 v19, v39, v15, -v19
	v_mul_f32_e32 v20, v39, v16
	v_fmac_f32_e32 v20, v40, v15
	v_add_f32_e32 v7, v7, v19
	v_mul_f32_e32 v19, v40, v18
	v_add_f32_e32 v8, v8, v20
	v_fma_f32 v23, v39, v17, -v19
	ds_read_b128 v[19:22], v14 offset:1056
	v_mul_f32_e32 v24, v39, v18
	v_fmac_f32_e32 v24, v40, v17
	v_add_f32_e32 v33, v27, v23
	v_add_f32_e32 v34, v28, v24
	ds_read_b128 v[23:26], v14 offset:1072
	s_waitcnt lgkmcnt(1)
	v_mul_f32_e32 v27, v20, v16
	v_fma_f32 v27, v19, v15, -v27
	v_mul_f32_e32 v16, v19, v16
	v_fmac_f32_e32 v16, v20, v15
	v_add_f32_e32 v15, v29, v27
	v_mul_f32_e32 v27, v20, v18
	v_add_f32_e32 v16, v30, v16
	v_fma_f32 v35, v19, v17, -v27
	ds_read2_b64 v[27:30], v13 offset0:160 offset1:176
	v_mul_f32_e32 v18, v19, v18
	v_fmac_f32_e32 v18, v20, v17
	v_add_f32_e32 v20, v32, v18
	v_add_f32_e32 v19, v31, v35
	s_waitcnt lgkmcnt(0)
	v_mul_f32_e32 v17, v42, v28
	v_fma_f32 v17, v41, v27, -v17
	v_mul_f32_e32 v18, v41, v28
	v_fmac_f32_e32 v18, v42, v27
	v_add_f32_e32 v7, v7, v17
	v_mul_f32_e32 v17, v42, v30
	v_add_f32_e32 v8, v8, v18
	v_fma_f32 v17, v41, v29, -v17
	v_mul_f32_e32 v18, v41, v30
	v_fmac_f32_e32 v18, v42, v29
	v_add_f32_e32 v31, v33, v17
	v_mul_f32_e32 v17, v22, v28
	v_add_f32_e32 v32, v34, v18
	;; [unrolled: 6-line block ×3, first 2 shown]
	v_fma_f32 v33, v21, v29, -v15
	ds_read2_b64 v[15:18], v13 offset0:192 offset1:208
	v_mul_f32_e32 v21, v21, v30
	v_fmac_f32_e32 v21, v22, v29
	v_add_f32_e32 v20, v20, v21
	v_add_f32_e32 v19, v19, v33
	s_waitcnt lgkmcnt(0)
	v_mul_f32_e32 v21, v44, v16
	v_fma_f32 v21, v43, v15, -v21
	v_add_f32_e32 v7, v7, v21
	v_mul_f32_e32 v21, v44, v18
	v_fma_f32 v21, v43, v17, -v21
	v_mul_f32_e32 v22, v43, v16
	v_add_f32_e32 v31, v31, v21
	v_mul_f32_e32 v21, v24, v16
	v_mul_f32_e32 v16, v23, v16
	v_fma_f32 v21, v23, v15, -v21
	v_fmac_f32_e32 v16, v24, v15
	v_fmac_f32_e32 v22, v44, v15
	v_add_f32_e32 v15, v27, v21
	v_add_f32_e32 v16, v28, v16
	ds_read2_b64 v[27:30], v13 offset0:224 offset1:240
	v_add_f32_e32 v8, v8, v22
	v_mul_f32_e32 v22, v43, v18
	v_mul_f32_e32 v21, v24, v18
	;; [unrolled: 1-line block ×3, first 2 shown]
	v_fma_f32 v21, v23, v17, -v21
	v_fmac_f32_e32 v18, v24, v17
	v_fmac_f32_e32 v22, v44, v17
	v_add_f32_e32 v17, v19, v21
	v_add_f32_e32 v18, v20, v18
	s_waitcnt lgkmcnt(0)
	v_mul_f32_e32 v19, v46, v28
	v_mul_f32_e32 v20, v45, v28
	v_fma_f32 v19, v45, v27, -v19
	v_fmac_f32_e32 v20, v46, v27
	v_add_f32_e32 v32, v32, v22
	v_add_f32_e32 v21, v7, v19
	;; [unrolled: 1-line block ×3, first 2 shown]
	v_mul_f32_e32 v7, v46, v30
	v_mul_f32_e32 v8, v45, v30
	v_fma_f32 v7, v45, v29, -v7
	v_fmac_f32_e32 v8, v46, v29
	v_add_f32_e32 v19, v31, v7
	v_add_f32_e32 v20, v32, v8
	v_mul_f32_e32 v7, v26, v28
	v_mul_f32_e32 v8, v25, v28
	v_fma_f32 v7, v25, v27, -v7
	v_fmac_f32_e32 v8, v26, v27
	v_add_f32_e32 v15, v15, v7
	v_add_f32_e32 v16, v16, v8
	v_mul_f32_e32 v7, v26, v30
	v_mul_f32_e32 v8, v25, v30
	v_addc_co_u32_e64 v3, s[0:1], 0, v3, s[0:1]
	v_fma_f32 v7, v25, v29, -v7
	v_fmac_f32_e32 v8, v26, v29
	s_add_i32 s9, s9, 8
	v_add_co_u32_e64 v4, s[0:1], 64, v4
	v_add_f32_e32 v17, v17, v7
	v_add_f32_e32 v18, v18, v8
	s_cmp_ge_i32 s9, s11
	v_addc_co_u32_e64 v5, s[0:1], 0, v5, s[0:1]
	s_barrier
	s_cbranch_scc1 .LBB223_10
.LBB223_3:                              ; =>This Inner Loop Header: Depth=1
	v_add_u32_e32 v7, s9, v10
	v_cmp_gt_i32_e64 s[0:1], s11, v7
	s_and_b64 s[12:13], vcc, s[0:1]
	v_mov_b32_e32 v7, 0
	v_mov_b32_e32 v8, 0
	s_and_saveexec_b64 s[0:1], s[12:13]
	s_cbranch_execz .LBB223_5
; %bb.4:                                ;   in Loop: Header=BB223_3 Depth=1
	global_load_dwordx2 v[7:8], v[2:3], off offset:-4
.LBB223_5:                              ;   in Loop: Header=BB223_3 Depth=1
	s_or_b64 exec, exec, s[0:1]
	s_waitcnt vmcnt(0)
	ds_write_b64 v11, v[7:8]
	v_add_u32_e32 v7, s9, v9
	v_cmp_le_i32_e64 s[0:1], s11, v7
	s_or_b64 s[0:1], s[0:1], s[2:3]
	s_and_saveexec_b64 s[12:13], s[0:1]
	s_xor_b64 s[0:1], exec, s[12:13]
; %bb.6:                                ;   in Loop: Header=BB223_3 Depth=1
	v_mov_b32_e32 v7, v6
	ds_write_b64 v12, v[6:7]
; %bb.7:                                ;   in Loop: Header=BB223_3 Depth=1
	s_andn2_saveexec_b64 s[0:1], s[0:1]
	s_cbranch_execz .LBB223_2
; %bb.8:                                ;   in Loop: Header=BB223_3 Depth=1
	global_load_dwordx2 v[7:8], v[4:5], off
	s_waitcnt vmcnt(0)
	ds_write_b64 v12, v[7:8]
	s_branch .LBB223_2
.LBB223_9:
	v_mov_b32_e32 v21, 0
	v_mov_b32_e32 v22, 0
	v_mov_b32_e32 v19, 0
	v_mov_b32_e32 v20, 0
	v_mov_b32_e32 v15, 0
	v_mov_b32_e32 v16, 0
	v_mov_b32_e32 v17, 0
	v_mov_b32_e32 v18, 0
.LBB223_10:
	s_load_dwordx2 s[0:1], s[4:5], 0x58
	s_load_dword s9, s[4:5], 0x50
	v_add_u32_e32 v4, s7, v1
	v_add_u32_e32 v0, s6, v0
	s_waitcnt lgkmcnt(0)
	s_mul_i32 s1, s1, s8
	s_mul_hi_u32 s2, s0, s8
	s_add_i32 s1, s2, s1
	v_mad_i64_i32 v[1:2], s[2:3], v4, s9, 0
	s_mul_i32 s0, s0, s8
	s_lshl_b64 s[0:1], s[0:1], 3
	s_add_u32 s7, s24, s0
	v_lshlrev_b64 v[1:2], 3, v[1:2]
	s_addc_u32 s8, s25, s1
	v_mov_b32_e32 v3, s8
	v_add_co_u32_e32 v5, vcc, s7, v1
	v_addc_co_u32_e32 v6, vcc, v3, v2, vcc
	v_cmp_le_i32_e64 s[0:1], v4, v0
	v_cmp_gt_i32_e32 vcc, s10, v0
	s_and_b64 s[0:1], s[0:1], vcc
	s_and_saveexec_b64 s[2:3], s[0:1]
	s_cbranch_execz .LBB223_12
; %bb.11:
	v_ashrrev_i32_e32 v1, 31, v0
	v_lshlrev_b64 v[1:2], 3, v[0:1]
	v_mul_f32_e32 v3, s17, v22
	v_add_co_u32_e64 v1, s[0:1], v5, v1
	v_addc_co_u32_e64 v2, s[0:1], v6, v2, s[0:1]
	global_load_dwordx2 v[7:8], v[1:2], off
	v_mul_f32_e32 v9, s16, v22
	v_fma_f32 v3, v21, s16, -v3
	v_fmac_f32_e32 v9, s17, v21
	s_waitcnt vmcnt(0)
	v_mul_f32_e32 v10, s15, v8
	v_mul_f32_e32 v8, s14, v8
	v_fma_f32 v10, v7, s14, -v10
	v_fmac_f32_e32 v8, s15, v7
	v_add_f32_e32 v7, v3, v10
	v_add_f32_e32 v8, v9, v8
	global_store_dwordx2 v[1:2], v[7:8], off
.LBB223_12:
	s_or_b64 exec, exec, s[2:3]
	v_add_u32_e32 v2, 16, v0
	v_cmp_le_i32_e64 s[2:3], v4, v2
	v_cmp_gt_i32_e64 s[0:1], s10, v2
	s_and_b64 s[2:3], s[2:3], s[0:1]
	s_and_saveexec_b64 s[4:5], s[2:3]
	s_cbranch_execz .LBB223_14
; %bb.13:
	v_ashrrev_i32_e32 v3, 31, v2
	v_lshlrev_b64 v[7:8], 3, v[2:3]
	v_mul_f32_e32 v1, s17, v20
	v_add_co_u32_e64 v5, s[2:3], v5, v7
	v_addc_co_u32_e64 v6, s[2:3], v6, v8, s[2:3]
	global_load_dwordx2 v[7:8], v[5:6], off
	v_mul_f32_e32 v3, s16, v20
	v_fma_f32 v1, v19, s16, -v1
	v_fmac_f32_e32 v3, s17, v19
	s_waitcnt vmcnt(0)
	v_mul_f32_e32 v9, s15, v8
	v_mul_f32_e32 v8, s14, v8
	v_fma_f32 v9, v7, s14, -v9
	v_fmac_f32_e32 v8, s15, v7
	v_add_f32_e32 v7, v1, v9
	v_add_f32_e32 v8, v3, v8
	global_store_dwordx2 v[5:6], v[7:8], off
.LBB223_14:
	s_or_b64 exec, exec, s[4:5]
	v_add_u32_e32 v3, 16, v4
	v_mad_i64_i32 v[4:5], s[2:3], v3, s9, 0
	v_mov_b32_e32 v1, s8
	v_lshlrev_b64 v[4:5], 3, v[4:5]
	v_add_co_u32_e64 v4, s[2:3], s7, v4
	v_addc_co_u32_e64 v5, s[2:3], v1, v5, s[2:3]
	v_cmp_le_i32_e64 s[2:3], v3, v0
	s_and_b64 s[4:5], s[2:3], vcc
	s_and_saveexec_b64 s[2:3], s[4:5]
	s_cbranch_execz .LBB223_16
; %bb.15:
	v_ashrrev_i32_e32 v1, 31, v0
	v_lshlrev_b64 v[0:1], 3, v[0:1]
	v_mul_f32_e32 v8, s17, v16
	v_add_co_u32_e32 v0, vcc, v4, v0
	v_addc_co_u32_e32 v1, vcc, v5, v1, vcc
	global_load_dwordx2 v[6:7], v[0:1], off
	v_mul_f32_e32 v9, s16, v16
	v_fma_f32 v8, v15, s16, -v8
	v_fmac_f32_e32 v9, s17, v15
	s_waitcnt vmcnt(0)
	v_mul_f32_e32 v10, s15, v7
	v_mul_f32_e32 v7, s14, v7
	v_fma_f32 v10, v6, s14, -v10
	v_fmac_f32_e32 v7, s15, v6
	v_add_f32_e32 v6, v8, v10
	v_add_f32_e32 v7, v9, v7
	global_store_dwordx2 v[0:1], v[6:7], off
.LBB223_16:
	s_or_b64 exec, exec, s[2:3]
	v_cmp_le_i32_e32 vcc, v3, v2
	s_and_b64 s[0:1], vcc, s[0:1]
	s_and_saveexec_b64 s[2:3], s[0:1]
	s_cbranch_execz .LBB223_18
; %bb.17:
	v_ashrrev_i32_e32 v3, 31, v2
	v_lshlrev_b64 v[0:1], 3, v[2:3]
	v_add_co_u32_e32 v0, vcc, v4, v0
	v_addc_co_u32_e32 v1, vcc, v5, v1, vcc
	global_load_dwordx2 v[2:3], v[0:1], off
	v_mul_f32_e32 v4, s17, v18
	v_mul_f32_e32 v5, s16, v18
	v_fma_f32 v4, v17, s16, -v4
	v_fmac_f32_e32 v5, s17, v17
	s_waitcnt vmcnt(0)
	v_mul_f32_e32 v6, s15, v3
	v_mul_f32_e32 v3, s14, v3
	v_fma_f32 v6, v2, s14, -v6
	v_fmac_f32_e32 v3, s15, v2
	v_add_f32_e32 v2, v4, v6
	v_add_f32_e32 v3, v5, v3
	global_store_dwordx2 v[0:1], v[2:3], off
.LBB223_18:
	s_endpgm
	.section	.rodata,"a",@progbits
	.p2align	6, 0x0
	.amdhsa_kernel _ZL34rocblas_syrkx_herkx_general_kernelIi19rocblas_complex_numIfELi16ELi32ELi8ELb0ELb0ELc67ELc76EKS1_S1_EviT_T0_PT8_S3_lS6_S3_lS4_PT9_S3_li
		.amdhsa_group_segment_fixed_size 4096
		.amdhsa_private_segment_fixed_size 0
		.amdhsa_kernarg_size 100
		.amdhsa_user_sgpr_count 6
		.amdhsa_user_sgpr_private_segment_buffer 1
		.amdhsa_user_sgpr_dispatch_ptr 0
		.amdhsa_user_sgpr_queue_ptr 0
		.amdhsa_user_sgpr_kernarg_segment_ptr 1
		.amdhsa_user_sgpr_dispatch_id 0
		.amdhsa_user_sgpr_flat_scratch_init 0
		.amdhsa_user_sgpr_private_segment_size 0
		.amdhsa_uses_dynamic_stack 0
		.amdhsa_system_sgpr_private_segment_wavefront_offset 0
		.amdhsa_system_sgpr_workgroup_id_x 1
		.amdhsa_system_sgpr_workgroup_id_y 1
		.amdhsa_system_sgpr_workgroup_id_z 1
		.amdhsa_system_sgpr_workgroup_info 0
		.amdhsa_system_vgpr_workitem_id 1
		.amdhsa_next_free_vgpr 48
		.amdhsa_next_free_sgpr 27
		.amdhsa_reserve_vcc 1
		.amdhsa_reserve_flat_scratch 0
		.amdhsa_float_round_mode_32 0
		.amdhsa_float_round_mode_16_64 0
		.amdhsa_float_denorm_mode_32 3
		.amdhsa_float_denorm_mode_16_64 3
		.amdhsa_dx10_clamp 1
		.amdhsa_ieee_mode 1
		.amdhsa_fp16_overflow 0
		.amdhsa_exception_fp_ieee_invalid_op 0
		.amdhsa_exception_fp_denorm_src 0
		.amdhsa_exception_fp_ieee_div_zero 0
		.amdhsa_exception_fp_ieee_overflow 0
		.amdhsa_exception_fp_ieee_underflow 0
		.amdhsa_exception_fp_ieee_inexact 0
		.amdhsa_exception_int_div_zero 0
	.end_amdhsa_kernel
	.section	.text._ZL34rocblas_syrkx_herkx_general_kernelIi19rocblas_complex_numIfELi16ELi32ELi8ELb0ELb0ELc67ELc76EKS1_S1_EviT_T0_PT8_S3_lS6_S3_lS4_PT9_S3_li,"axG",@progbits,_ZL34rocblas_syrkx_herkx_general_kernelIi19rocblas_complex_numIfELi16ELi32ELi8ELb0ELb0ELc67ELc76EKS1_S1_EviT_T0_PT8_S3_lS6_S3_lS4_PT9_S3_li,comdat
.Lfunc_end223:
	.size	_ZL34rocblas_syrkx_herkx_general_kernelIi19rocblas_complex_numIfELi16ELi32ELi8ELb0ELb0ELc67ELc76EKS1_S1_EviT_T0_PT8_S3_lS6_S3_lS4_PT9_S3_li, .Lfunc_end223-_ZL34rocblas_syrkx_herkx_general_kernelIi19rocblas_complex_numIfELi16ELi32ELi8ELb0ELb0ELc67ELc76EKS1_S1_EviT_T0_PT8_S3_lS6_S3_lS4_PT9_S3_li
                                        ; -- End function
	.set _ZL34rocblas_syrkx_herkx_general_kernelIi19rocblas_complex_numIfELi16ELi32ELi8ELb0ELb0ELc67ELc76EKS1_S1_EviT_T0_PT8_S3_lS6_S3_lS4_PT9_S3_li.num_vgpr, 48
	.set _ZL34rocblas_syrkx_herkx_general_kernelIi19rocblas_complex_numIfELi16ELi32ELi8ELb0ELb0ELc67ELc76EKS1_S1_EviT_T0_PT8_S3_lS6_S3_lS4_PT9_S3_li.num_agpr, 0
	.set _ZL34rocblas_syrkx_herkx_general_kernelIi19rocblas_complex_numIfELi16ELi32ELi8ELb0ELb0ELc67ELc76EKS1_S1_EviT_T0_PT8_S3_lS6_S3_lS4_PT9_S3_li.numbered_sgpr, 27
	.set _ZL34rocblas_syrkx_herkx_general_kernelIi19rocblas_complex_numIfELi16ELi32ELi8ELb0ELb0ELc67ELc76EKS1_S1_EviT_T0_PT8_S3_lS6_S3_lS4_PT9_S3_li.num_named_barrier, 0
	.set _ZL34rocblas_syrkx_herkx_general_kernelIi19rocblas_complex_numIfELi16ELi32ELi8ELb0ELb0ELc67ELc76EKS1_S1_EviT_T0_PT8_S3_lS6_S3_lS4_PT9_S3_li.private_seg_size, 0
	.set _ZL34rocblas_syrkx_herkx_general_kernelIi19rocblas_complex_numIfELi16ELi32ELi8ELb0ELb0ELc67ELc76EKS1_S1_EviT_T0_PT8_S3_lS6_S3_lS4_PT9_S3_li.uses_vcc, 1
	.set _ZL34rocblas_syrkx_herkx_general_kernelIi19rocblas_complex_numIfELi16ELi32ELi8ELb0ELb0ELc67ELc76EKS1_S1_EviT_T0_PT8_S3_lS6_S3_lS4_PT9_S3_li.uses_flat_scratch, 0
	.set _ZL34rocblas_syrkx_herkx_general_kernelIi19rocblas_complex_numIfELi16ELi32ELi8ELb0ELb0ELc67ELc76EKS1_S1_EviT_T0_PT8_S3_lS6_S3_lS4_PT9_S3_li.has_dyn_sized_stack, 0
	.set _ZL34rocblas_syrkx_herkx_general_kernelIi19rocblas_complex_numIfELi16ELi32ELi8ELb0ELb0ELc67ELc76EKS1_S1_EviT_T0_PT8_S3_lS6_S3_lS4_PT9_S3_li.has_recursion, 0
	.set _ZL34rocblas_syrkx_herkx_general_kernelIi19rocblas_complex_numIfELi16ELi32ELi8ELb0ELb0ELc67ELc76EKS1_S1_EviT_T0_PT8_S3_lS6_S3_lS4_PT9_S3_li.has_indirect_call, 0
	.section	.AMDGPU.csdata,"",@progbits
; Kernel info:
; codeLenInByte = 2312
; TotalNumSgprs: 31
; NumVgprs: 48
; ScratchSize: 0
; MemoryBound: 1
; FloatMode: 240
; IeeeMode: 1
; LDSByteSize: 4096 bytes/workgroup (compile time only)
; SGPRBlocks: 3
; VGPRBlocks: 11
; NumSGPRsForWavesPerEU: 31
; NumVGPRsForWavesPerEU: 48
; Occupancy: 5
; WaveLimiterHint : 0
; COMPUTE_PGM_RSRC2:SCRATCH_EN: 0
; COMPUTE_PGM_RSRC2:USER_SGPR: 6
; COMPUTE_PGM_RSRC2:TRAP_HANDLER: 0
; COMPUTE_PGM_RSRC2:TGID_X_EN: 1
; COMPUTE_PGM_RSRC2:TGID_Y_EN: 1
; COMPUTE_PGM_RSRC2:TGID_Z_EN: 1
; COMPUTE_PGM_RSRC2:TIDIG_COMP_CNT: 1
	.section	.text._ZL34rocblas_syrkx_herkx_general_kernelIi19rocblas_complex_numIfELi16ELi32ELi8ELb0ELb0ELc78ELc76EKS1_S1_EviT_T0_PT8_S3_lS6_S3_lS4_PT9_S3_li,"axG",@progbits,_ZL34rocblas_syrkx_herkx_general_kernelIi19rocblas_complex_numIfELi16ELi32ELi8ELb0ELb0ELc78ELc76EKS1_S1_EviT_T0_PT8_S3_lS6_S3_lS4_PT9_S3_li,comdat
	.globl	_ZL34rocblas_syrkx_herkx_general_kernelIi19rocblas_complex_numIfELi16ELi32ELi8ELb0ELb0ELc78ELc76EKS1_S1_EviT_T0_PT8_S3_lS6_S3_lS4_PT9_S3_li ; -- Begin function _ZL34rocblas_syrkx_herkx_general_kernelIi19rocblas_complex_numIfELi16ELi32ELi8ELb0ELb0ELc78ELc76EKS1_S1_EviT_T0_PT8_S3_lS6_S3_lS4_PT9_S3_li
	.p2align	8
	.type	_ZL34rocblas_syrkx_herkx_general_kernelIi19rocblas_complex_numIfELi16ELi32ELi8ELb0ELb0ELc78ELc76EKS1_S1_EviT_T0_PT8_S3_lS6_S3_lS4_PT9_S3_li,@function
_ZL34rocblas_syrkx_herkx_general_kernelIi19rocblas_complex_numIfELi16ELi32ELi8ELb0ELb0ELc78ELc76EKS1_S1_EviT_T0_PT8_S3_lS6_S3_lS4_PT9_S3_li: ; @_ZL34rocblas_syrkx_herkx_general_kernelIi19rocblas_complex_numIfELi16ELi32ELi8ELb0ELb0ELc78ELc76EKS1_S1_EviT_T0_PT8_S3_lS6_S3_lS4_PT9_S3_li
; %bb.0:
	s_load_dwordx2 s[10:11], s[4:5], 0x0
	s_load_dwordx4 s[16:19], s[4:5], 0x8
	s_load_dwordx4 s[12:15], s[4:5], 0x38
	s_load_dwordx2 s[24:25], s[4:5], 0x48
	s_lshl_b32 s9, s6, 5
	s_lshl_b32 s26, s7, 5
	s_waitcnt lgkmcnt(0)
	s_cmp_lt_i32 s11, 1
	s_mov_b32 s27, 0
	s_cbranch_scc1 .LBB224_9
; %bb.1:
	v_lshl_add_u32 v2, v1, 4, v0
	v_and_b32_e32 v6, 31, v2
	v_lshrrev_b32_e32 v10, 5, v2
	v_lshrrev_b32_e32 v3, 3, v2
	v_or_b32_e32 v2, s9, v6
	s_load_dword s6, s[4:5], 0x18
	s_load_dword s28, s[4:5], 0x30
	s_load_dwordx4 s[20:23], s[4:5], 0x20
	v_and_b32_e32 v9, 7, v0
	v_cmp_gt_i32_e64 s[0:1], s10, v2
	v_lshlrev_b32_e32 v2, 3, v6
	v_lshl_or_b32 v11, v10, 8, v2
	v_lshlrev_b32_e32 v2, 3, v9
	v_lshl_or_b32 v2, v3, 6, v2
	v_add_u32_e32 v4, s26, v3
	v_add_u32_e32 v12, 0x800, v2
	s_waitcnt lgkmcnt(0)
	v_mad_i64_i32 v[2:3], s[2:3], v10, s6, 0
	s_mul_i32 s2, s21, s8
	s_mul_hi_u32 s3, s20, s8
	v_lshlrev_b64 v[2:3], 3, v[2:3]
	s_add_i32 s3, s3, s2
	s_mul_i32 s2, s20, s8
	v_mov_b32_e32 v7, 0x800
	s_lshl_b64 s[2:3], s[2:3], 3
	v_lshl_add_u32 v14, v1, 6, v7
	v_mov_b32_e32 v7, s3
	v_add_co_u32_e64 v8, s[2:3], s2, v2
	v_add_u32_e32 v2, s9, v6
	v_addc_co_u32_e64 v7, s[2:3], v3, v7, s[2:3]
	v_ashrrev_i32_e32 v3, 31, v2
	v_lshlrev_b64 v[2:3], 3, v[2:3]
	v_mov_b32_e32 v6, s19
	v_add_co_u32_e64 v2, s[2:3], v8, v2
	v_addc_co_u32_e64 v3, s[2:3], v7, v3, s[2:3]
	v_add_co_u32_e64 v2, s[2:3], s18, v2
	v_addc_co_u32_e64 v3, s[2:3], v6, v3, s[2:3]
	v_mad_i64_i32 v[6:7], s[2:3], s28, v9, 0
	s_mul_i32 s13, s13, s8
	s_mul_hi_u32 s18, s12, s8
	s_add_i32 s3, s18, s13
	s_mul_i32 s2, s12, s8
	v_lshlrev_b64 v[6:7], 3, v[6:7]
	v_ashrrev_i32_e32 v5, 31, v4
	s_lshl_b64 s[2:3], s[2:3], 3
	v_cmp_gt_i32_e32 vcc, s10, v4
	v_mov_b32_e32 v8, s3
	v_add_co_u32_e64 v6, s[2:3], s2, v6
	v_lshlrev_b64 v[4:5], 3, v[4:5]
	v_addc_co_u32_e64 v7, s[2:3], v8, v7, s[2:3]
	v_add_co_u32_e64 v4, s[2:3], v6, v4
	v_addc_co_u32_e64 v5, s[2:3], v7, v5, s[2:3]
	v_mov_b32_e32 v6, s23
	v_add_co_u32_e64 v4, s[2:3], s22, v4
	v_addc_co_u32_e64 v5, s[2:3], v6, v5, s[2:3]
	v_add_co_u32_e64 v4, s[2:3], 4, v4
	s_ashr_i32 s7, s6, 31
	s_ashr_i32 s29, s28, 31
	v_addc_co_u32_e64 v5, s[2:3], 0, v5, s[2:3]
	s_lshl_b64 s[6:7], s[6:7], 6
	s_lshl_b64 s[2:3], s[28:29], 6
	v_lshlrev_b32_e32 v13, 3, v0
	s_xor_b64 s[12:13], s[0:1], -1
	v_mov_b32_e32 v15, s7
	v_mov_b32_e32 v16, s3
	;; [unrolled: 1-line block ×11, first 2 shown]
	s_branch .LBB224_3
.LBB224_2:                              ;   in Loop: Header=BB224_3 Depth=1
	s_or_b64 exec, exec, s[0:1]
	s_waitcnt vmcnt(0)
	ds_write_b64 v12, v[7:8]
	s_waitcnt lgkmcnt(0)
	s_barrier
	ds_read2_b64 v[25:28], v13 offset1:16
	ds_read_b128 v[29:32], v14
	ds_read_b128 v[33:36], v14 offset:16
	ds_read_b128 v[37:40], v14 offset:1024
	ds_read2_b64 v[41:44], v13 offset0:32 offset1:48
	v_add_co_u32_e64 v2, s[0:1], s6, v2
	s_waitcnt lgkmcnt(3)
	v_mul_f32_e32 v7, v30, v26
	v_mul_f32_e32 v8, v29, v26
	v_fma_f32 v7, v29, v25, -v7
	v_fmac_f32_e32 v8, v30, v25
	v_add_f32_e32 v7, v21, v7
	v_add_f32_e32 v8, v22, v8
	v_mul_f32_e32 v21, v30, v28
	v_mul_f32_e32 v22, v29, v28
	v_fma_f32 v21, v29, v27, -v21
	v_fmac_f32_e32 v22, v30, v27
	v_add_f32_e32 v45, v23, v21
	v_add_f32_e32 v46, v24, v22
	ds_read_b128 v[21:24], v14 offset:1040
	s_waitcnt lgkmcnt(2)
	v_mul_f32_e32 v29, v38, v26
	v_fma_f32 v29, v37, v25, -v29
	v_mul_f32_e32 v47, v37, v26
	v_add_f32_e32 v48, v18, v29
	v_mul_f32_e32 v18, v38, v28
	v_fmac_f32_e32 v47, v38, v25
	v_fma_f32 v18, v37, v27, -v18
	v_mul_f32_e32 v37, v37, v28
	s_waitcnt lgkmcnt(1)
	v_mul_f32_e32 v25, v32, v42
	v_fmac_f32_e32 v37, v38, v27
	v_fma_f32 v38, v31, v41, -v25
	v_mul_f32_e32 v25, v32, v44
	v_fma_f32 v50, v31, v43, -v25
	v_mul_f32_e32 v25, v40, v42
	v_mul_f32_e32 v49, v31, v42
	v_fma_f32 v52, v39, v41, -v25
	v_mul_f32_e32 v42, v39, v42
	v_mul_f32_e32 v25, v40, v44
	v_fmac_f32_e32 v49, v32, v41
	v_mul_f32_e32 v51, v31, v44
	v_fmac_f32_e32 v42, v40, v41
	v_fma_f32 v41, v39, v43, -v25
	v_mul_f32_e32 v39, v39, v44
	v_fmac_f32_e32 v51, v32, v43
	v_fmac_f32_e32 v39, v40, v43
	ds_read_b128 v[25:28], v14 offset:32
	ds_read_b128 v[29:32], v14 offset:48
	v_add_f32_e32 v40, v17, v47
	v_add_f32_e32 v43, v19, v18
	;; [unrolled: 1-line block ×3, first 2 shown]
	ds_read2_b64 v[17:20], v13 offset0:64 offset1:80
	v_add_f32_e32 v40, v40, v42
	v_add_f32_e32 v42, v37, v39
	;; [unrolled: 1-line block ×4, first 2 shown]
	s_waitcnt lgkmcnt(0)
	v_mul_f32_e32 v37, v34, v18
	v_fma_f32 v37, v33, v17, -v37
	v_add_f32_e32 v7, v7, v37
	v_mul_f32_e32 v37, v34, v20
	v_mul_f32_e32 v39, v33, v18
	v_fma_f32 v37, v33, v19, -v37
	v_mul_f32_e32 v33, v33, v20
	v_fmac_f32_e32 v39, v34, v17
	v_fmac_f32_e32 v33, v34, v19
	v_add_f32_e32 v34, v38, v37
	v_mul_f32_e32 v37, v22, v18
	v_add_f32_e32 v45, v48, v52
	v_fma_f32 v37, v21, v17, -v37
	v_mul_f32_e32 v18, v21, v18
	v_add_f32_e32 v8, v8, v49
	v_fmac_f32_e32 v18, v22, v17
	v_add_f32_e32 v17, v45, v37
	v_mul_f32_e32 v37, v22, v20
	v_add_f32_e32 v41, v43, v41
	v_add_f32_e32 v8, v8, v39
	;; [unrolled: 1-line block ×3, first 2 shown]
	v_fma_f32 v43, v21, v19, -v37
	ds_read2_b64 v[37:40], v13 offset0:96 offset1:112
	v_mul_f32_e32 v20, v21, v20
	v_fmac_f32_e32 v20, v22, v19
	v_add_f32_e32 v22, v42, v20
	v_add_f32_e32 v44, v46, v51
	s_waitcnt lgkmcnt(0)
	v_mul_f32_e32 v19, v36, v38
	v_fma_f32 v19, v35, v37, -v19
	v_mul_f32_e32 v20, v35, v38
	v_fmac_f32_e32 v20, v36, v37
	v_add_f32_e32 v7, v7, v19
	v_mul_f32_e32 v19, v36, v40
	v_add_f32_e32 v8, v8, v20
	v_fma_f32 v19, v35, v39, -v19
	v_mul_f32_e32 v20, v35, v40
	v_add_f32_e32 v33, v44, v33
	v_fmac_f32_e32 v20, v36, v39
	v_add_f32_e32 v34, v34, v19
	v_mul_f32_e32 v19, v24, v38
	v_add_f32_e32 v33, v33, v20
	v_fma_f32 v19, v23, v37, -v19
	v_mul_f32_e32 v20, v23, v38
	v_fmac_f32_e32 v20, v24, v37
	v_add_f32_e32 v37, v17, v19
	v_mul_f32_e32 v17, v24, v40
	v_add_f32_e32 v38, v18, v20
	v_fma_f32 v35, v23, v39, -v17
	ds_read2_b64 v[17:20], v13 offset0:128 offset1:144
	v_add_f32_e32 v21, v41, v43
	v_mul_f32_e32 v23, v23, v40
	v_fmac_f32_e32 v23, v24, v39
	v_add_f32_e32 v41, v21, v35
	s_waitcnt lgkmcnt(0)
	v_mul_f32_e32 v21, v26, v18
	v_add_f32_e32 v42, v22, v23
	v_fma_f32 v21, v25, v17, -v21
	v_mul_f32_e32 v22, v25, v18
	v_fmac_f32_e32 v22, v26, v17
	v_add_f32_e32 v7, v7, v21
	v_mul_f32_e32 v21, v26, v20
	v_add_f32_e32 v8, v8, v22
	v_fma_f32 v35, v25, v19, -v21
	ds_read_b128 v[21:24], v14 offset:1056
	v_mul_f32_e32 v25, v25, v20
	v_fmac_f32_e32 v25, v26, v19
	v_add_f32_e32 v26, v34, v35
	v_add_f32_e32 v25, v33, v25
	ds_read_b128 v[33:36], v14 offset:1072
	s_waitcnt lgkmcnt(1)
	v_mul_f32_e32 v39, v22, v18
	v_fma_f32 v39, v21, v17, -v39
	v_mul_f32_e32 v18, v21, v18
	v_fmac_f32_e32 v18, v22, v17
	v_add_f32_e32 v17, v37, v39
	v_mul_f32_e32 v37, v22, v20
	v_add_f32_e32 v18, v38, v18
	v_fma_f32 v43, v21, v19, -v37
	ds_read2_b64 v[37:40], v13 offset0:160 offset1:176
	v_mul_f32_e32 v20, v21, v20
	v_fmac_f32_e32 v20, v22, v19
	v_add_f32_e32 v22, v42, v20
	v_add_f32_e32 v21, v41, v43
	s_waitcnt lgkmcnt(0)
	v_mul_f32_e32 v19, v28, v38
	v_fma_f32 v19, v27, v37, -v19
	v_mul_f32_e32 v20, v27, v38
	v_fmac_f32_e32 v20, v28, v37
	v_add_f32_e32 v7, v7, v19
	v_mul_f32_e32 v19, v28, v40
	v_add_f32_e32 v8, v8, v20
	v_fma_f32 v19, v27, v39, -v19
	v_mul_f32_e32 v20, v27, v40
	v_fmac_f32_e32 v20, v28, v39
	v_add_f32_e32 v26, v26, v19
	v_mul_f32_e32 v19, v24, v38
	v_add_f32_e32 v25, v25, v20
	;; [unrolled: 6-line block ×3, first 2 shown]
	v_fma_f32 v37, v23, v39, -v17
	ds_read2_b64 v[17:20], v13 offset0:192 offset1:208
	v_mul_f32_e32 v23, v23, v40
	v_fmac_f32_e32 v23, v24, v39
	v_add_f32_e32 v22, v22, v23
	v_add_f32_e32 v21, v21, v37
	s_waitcnt lgkmcnt(0)
	v_mul_f32_e32 v24, v29, v18
	v_fmac_f32_e32 v24, v30, v17
	v_mul_f32_e32 v23, v30, v18
	v_add_f32_e32 v8, v8, v24
	v_mul_f32_e32 v24, v29, v20
	v_fma_f32 v23, v29, v17, -v23
	v_fmac_f32_e32 v24, v30, v19
	v_add_f32_e32 v7, v7, v23
	v_mul_f32_e32 v23, v30, v20
	v_add_f32_e32 v24, v25, v24
	v_mul_f32_e32 v25, v34, v18
	v_mul_f32_e32 v18, v33, v18
	v_fma_f32 v23, v29, v19, -v23
	v_fma_f32 v25, v33, v17, -v25
	v_fmac_f32_e32 v18, v34, v17
	v_add_f32_e32 v23, v26, v23
	v_add_f32_e32 v17, v27, v25
	;; [unrolled: 1-line block ×3, first 2 shown]
	ds_read2_b64 v[25:28], v13 offset0:224 offset1:240
	v_mul_f32_e32 v18, v34, v20
	v_mul_f32_e32 v20, v33, v20
	v_fma_f32 v18, v33, v19, -v18
	v_fmac_f32_e32 v20, v34, v19
	v_add_f32_e32 v19, v21, v18
	v_add_f32_e32 v20, v22, v20
	s_waitcnt lgkmcnt(0)
	v_mul_f32_e32 v18, v32, v26
	v_mul_f32_e32 v22, v31, v26
	v_fma_f32 v18, v31, v25, -v18
	v_fmac_f32_e32 v22, v32, v25
	v_add_f32_e32 v21, v7, v18
	v_add_f32_e32 v22, v8, v22
	v_mul_f32_e32 v7, v32, v28
	v_mul_f32_e32 v8, v31, v28
	v_fma_f32 v7, v31, v27, -v7
	v_fmac_f32_e32 v8, v32, v27
	v_add_f32_e32 v23, v23, v7
	v_add_f32_e32 v24, v24, v8
	;; [unrolled: 6-line block ×3, first 2 shown]
	v_mul_f32_e32 v7, v36, v28
	v_mul_f32_e32 v8, v35, v28
	v_addc_co_u32_e64 v3, s[0:1], v3, v15, s[0:1]
	v_fma_f32 v7, v35, v27, -v7
	v_fmac_f32_e32 v8, v36, v27
	s_add_i32 s27, s27, 8
	v_add_co_u32_e64 v4, s[0:1], s2, v4
	v_add_f32_e32 v19, v19, v7
	v_add_f32_e32 v20, v20, v8
	s_cmp_ge_i32 s27, s11
	v_addc_co_u32_e64 v5, s[0:1], v5, v16, s[0:1]
	s_barrier
	s_cbranch_scc1 .LBB224_10
.LBB224_3:                              ; =>This Inner Loop Header: Depth=1
	v_add_u32_e32 v7, s27, v10
	v_cmp_le_i32_e64 s[0:1], s11, v7
	s_or_b64 s[0:1], s[12:13], s[0:1]
	s_and_saveexec_b64 s[18:19], s[0:1]
	s_xor_b64 s[0:1], exec, s[18:19]
; %bb.4:                                ;   in Loop: Header=BB224_3 Depth=1
	v_mov_b32_e32 v7, v6
	ds_write_b64 v11, v[6:7]
; %bb.5:                                ;   in Loop: Header=BB224_3 Depth=1
	s_andn2_saveexec_b64 s[0:1], s[0:1]
	s_cbranch_execz .LBB224_7
; %bb.6:                                ;   in Loop: Header=BB224_3 Depth=1
	global_load_dwordx2 v[7:8], v[2:3], off
	s_waitcnt vmcnt(0)
	ds_write_b64 v11, v[7:8]
.LBB224_7:                              ;   in Loop: Header=BB224_3 Depth=1
	s_or_b64 exec, exec, s[0:1]
	v_add_u32_e32 v7, s27, v9
	v_cmp_gt_i32_e64 s[0:1], s11, v7
	s_and_b64 s[18:19], s[0:1], vcc
	v_mov_b32_e32 v7, 0
	v_mov_b32_e32 v8, 0
	s_and_saveexec_b64 s[0:1], s[18:19]
	s_cbranch_execz .LBB224_2
; %bb.8:                                ;   in Loop: Header=BB224_3 Depth=1
	global_load_dwordx2 v[7:8], v[4:5], off offset:-4
	s_branch .LBB224_2
.LBB224_9:
	v_mov_b32_e32 v21, 0
	v_mov_b32_e32 v22, 0
	;; [unrolled: 1-line block ×8, first 2 shown]
.LBB224_10:
	s_load_dwordx2 s[0:1], s[4:5], 0x58
	s_load_dword s6, s[4:5], 0x50
	v_add_u32_e32 v4, s26, v1
	v_add_u32_e32 v0, s9, v0
	s_waitcnt lgkmcnt(0)
	s_mul_i32 s1, s1, s8
	s_mul_hi_u32 s2, s0, s8
	s_add_i32 s1, s2, s1
	v_mad_i64_i32 v[1:2], s[2:3], v4, s6, 0
	s_mul_i32 s0, s0, s8
	s_lshl_b64 s[0:1], s[0:1], 3
	s_add_u32 s7, s24, s0
	v_lshlrev_b64 v[1:2], 3, v[1:2]
	s_addc_u32 s8, s25, s1
	v_mov_b32_e32 v3, s8
	v_add_co_u32_e32 v5, vcc, s7, v1
	v_addc_co_u32_e32 v6, vcc, v3, v2, vcc
	v_cmp_le_i32_e64 s[0:1], v4, v0
	v_cmp_gt_i32_e32 vcc, s10, v0
	s_and_b64 s[0:1], s[0:1], vcc
	s_and_saveexec_b64 s[2:3], s[0:1]
	s_cbranch_execz .LBB224_12
; %bb.11:
	v_ashrrev_i32_e32 v1, 31, v0
	v_lshlrev_b64 v[1:2], 3, v[0:1]
	v_mul_f32_e32 v3, s17, v22
	v_add_co_u32_e64 v1, s[0:1], v5, v1
	v_addc_co_u32_e64 v2, s[0:1], v6, v2, s[0:1]
	global_load_dwordx2 v[7:8], v[1:2], off
	v_mul_f32_e32 v9, s16, v22
	v_fma_f32 v3, v21, s16, -v3
	v_fmac_f32_e32 v9, s17, v21
	s_waitcnt vmcnt(0)
	v_mul_f32_e32 v10, s15, v8
	v_mul_f32_e32 v8, s14, v8
	v_fma_f32 v10, v7, s14, -v10
	v_fmac_f32_e32 v8, s15, v7
	v_add_f32_e32 v7, v3, v10
	v_add_f32_e32 v8, v9, v8
	global_store_dwordx2 v[1:2], v[7:8], off
.LBB224_12:
	s_or_b64 exec, exec, s[2:3]
	v_add_u32_e32 v2, 16, v0
	v_cmp_le_i32_e64 s[2:3], v4, v2
	v_cmp_gt_i32_e64 s[0:1], s10, v2
	s_and_b64 s[2:3], s[2:3], s[0:1]
	s_and_saveexec_b64 s[4:5], s[2:3]
	s_cbranch_execz .LBB224_14
; %bb.13:
	v_ashrrev_i32_e32 v3, 31, v2
	v_lshlrev_b64 v[7:8], 3, v[2:3]
	v_mul_f32_e32 v1, s17, v24
	v_add_co_u32_e64 v5, s[2:3], v5, v7
	v_addc_co_u32_e64 v6, s[2:3], v6, v8, s[2:3]
	global_load_dwordx2 v[7:8], v[5:6], off
	v_mul_f32_e32 v3, s16, v24
	v_fma_f32 v1, v23, s16, -v1
	v_fmac_f32_e32 v3, s17, v23
	s_waitcnt vmcnt(0)
	v_mul_f32_e32 v9, s15, v8
	v_mul_f32_e32 v8, s14, v8
	v_fma_f32 v9, v7, s14, -v9
	v_fmac_f32_e32 v8, s15, v7
	v_add_f32_e32 v7, v1, v9
	v_add_f32_e32 v8, v3, v8
	global_store_dwordx2 v[5:6], v[7:8], off
.LBB224_14:
	s_or_b64 exec, exec, s[4:5]
	v_add_u32_e32 v3, 16, v4
	v_mad_i64_i32 v[4:5], s[2:3], v3, s6, 0
	v_mov_b32_e32 v1, s8
	v_lshlrev_b64 v[4:5], 3, v[4:5]
	v_add_co_u32_e64 v4, s[2:3], s7, v4
	v_addc_co_u32_e64 v5, s[2:3], v1, v5, s[2:3]
	v_cmp_le_i32_e64 s[2:3], v3, v0
	s_and_b64 s[4:5], s[2:3], vcc
	s_and_saveexec_b64 s[2:3], s[4:5]
	s_cbranch_execz .LBB224_16
; %bb.15:
	v_ashrrev_i32_e32 v1, 31, v0
	v_lshlrev_b64 v[0:1], 3, v[0:1]
	v_mul_f32_e32 v8, s17, v17
	v_add_co_u32_e32 v0, vcc, v4, v0
	v_addc_co_u32_e32 v1, vcc, v5, v1, vcc
	global_load_dwordx2 v[6:7], v[0:1], off
	v_mul_f32_e32 v9, s16, v17
	v_fma_f32 v8, v18, s16, -v8
	v_fmac_f32_e32 v9, s17, v18
	s_waitcnt vmcnt(0)
	v_mul_f32_e32 v10, s15, v7
	v_mul_f32_e32 v7, s14, v7
	v_fma_f32 v10, v6, s14, -v10
	v_fmac_f32_e32 v7, s15, v6
	v_add_f32_e32 v6, v8, v10
	v_add_f32_e32 v7, v9, v7
	global_store_dwordx2 v[0:1], v[6:7], off
.LBB224_16:
	s_or_b64 exec, exec, s[2:3]
	v_cmp_le_i32_e32 vcc, v3, v2
	s_and_b64 s[0:1], vcc, s[0:1]
	s_and_saveexec_b64 s[2:3], s[0:1]
	s_cbranch_execz .LBB224_18
; %bb.17:
	v_ashrrev_i32_e32 v3, 31, v2
	v_lshlrev_b64 v[0:1], 3, v[2:3]
	v_add_co_u32_e32 v0, vcc, v4, v0
	v_addc_co_u32_e32 v1, vcc, v5, v1, vcc
	global_load_dwordx2 v[2:3], v[0:1], off
	v_mul_f32_e32 v4, s17, v20
	v_mul_f32_e32 v5, s16, v20
	v_fma_f32 v4, v19, s16, -v4
	v_fmac_f32_e32 v5, s17, v19
	s_waitcnt vmcnt(0)
	v_mul_f32_e32 v6, s15, v3
	v_mul_f32_e32 v3, s14, v3
	v_fma_f32 v6, v2, s14, -v6
	v_fmac_f32_e32 v3, s15, v2
	v_add_f32_e32 v2, v4, v6
	v_add_f32_e32 v3, v5, v3
	global_store_dwordx2 v[0:1], v[2:3], off
.LBB224_18:
	s_endpgm
	.section	.rodata,"a",@progbits
	.p2align	6, 0x0
	.amdhsa_kernel _ZL34rocblas_syrkx_herkx_general_kernelIi19rocblas_complex_numIfELi16ELi32ELi8ELb0ELb0ELc78ELc76EKS1_S1_EviT_T0_PT8_S3_lS6_S3_lS4_PT9_S3_li
		.amdhsa_group_segment_fixed_size 4096
		.amdhsa_private_segment_fixed_size 0
		.amdhsa_kernarg_size 100
		.amdhsa_user_sgpr_count 6
		.amdhsa_user_sgpr_private_segment_buffer 1
		.amdhsa_user_sgpr_dispatch_ptr 0
		.amdhsa_user_sgpr_queue_ptr 0
		.amdhsa_user_sgpr_kernarg_segment_ptr 1
		.amdhsa_user_sgpr_dispatch_id 0
		.amdhsa_user_sgpr_flat_scratch_init 0
		.amdhsa_user_sgpr_private_segment_size 0
		.amdhsa_uses_dynamic_stack 0
		.amdhsa_system_sgpr_private_segment_wavefront_offset 0
		.amdhsa_system_sgpr_workgroup_id_x 1
		.amdhsa_system_sgpr_workgroup_id_y 1
		.amdhsa_system_sgpr_workgroup_id_z 1
		.amdhsa_system_sgpr_workgroup_info 0
		.amdhsa_system_vgpr_workitem_id 1
		.amdhsa_next_free_vgpr 53
		.amdhsa_next_free_sgpr 30
		.amdhsa_reserve_vcc 1
		.amdhsa_reserve_flat_scratch 0
		.amdhsa_float_round_mode_32 0
		.amdhsa_float_round_mode_16_64 0
		.amdhsa_float_denorm_mode_32 3
		.amdhsa_float_denorm_mode_16_64 3
		.amdhsa_dx10_clamp 1
		.amdhsa_ieee_mode 1
		.amdhsa_fp16_overflow 0
		.amdhsa_exception_fp_ieee_invalid_op 0
		.amdhsa_exception_fp_denorm_src 0
		.amdhsa_exception_fp_ieee_div_zero 0
		.amdhsa_exception_fp_ieee_overflow 0
		.amdhsa_exception_fp_ieee_underflow 0
		.amdhsa_exception_fp_ieee_inexact 0
		.amdhsa_exception_int_div_zero 0
	.end_amdhsa_kernel
	.section	.text._ZL34rocblas_syrkx_herkx_general_kernelIi19rocblas_complex_numIfELi16ELi32ELi8ELb0ELb0ELc78ELc76EKS1_S1_EviT_T0_PT8_S3_lS6_S3_lS4_PT9_S3_li,"axG",@progbits,_ZL34rocblas_syrkx_herkx_general_kernelIi19rocblas_complex_numIfELi16ELi32ELi8ELb0ELb0ELc78ELc76EKS1_S1_EviT_T0_PT8_S3_lS6_S3_lS4_PT9_S3_li,comdat
.Lfunc_end224:
	.size	_ZL34rocblas_syrkx_herkx_general_kernelIi19rocblas_complex_numIfELi16ELi32ELi8ELb0ELb0ELc78ELc76EKS1_S1_EviT_T0_PT8_S3_lS6_S3_lS4_PT9_S3_li, .Lfunc_end224-_ZL34rocblas_syrkx_herkx_general_kernelIi19rocblas_complex_numIfELi16ELi32ELi8ELb0ELb0ELc78ELc76EKS1_S1_EviT_T0_PT8_S3_lS6_S3_lS4_PT9_S3_li
                                        ; -- End function
	.set _ZL34rocblas_syrkx_herkx_general_kernelIi19rocblas_complex_numIfELi16ELi32ELi8ELb0ELb0ELc78ELc76EKS1_S1_EviT_T0_PT8_S3_lS6_S3_lS4_PT9_S3_li.num_vgpr, 53
	.set _ZL34rocblas_syrkx_herkx_general_kernelIi19rocblas_complex_numIfELi16ELi32ELi8ELb0ELb0ELc78ELc76EKS1_S1_EviT_T0_PT8_S3_lS6_S3_lS4_PT9_S3_li.num_agpr, 0
	.set _ZL34rocblas_syrkx_herkx_general_kernelIi19rocblas_complex_numIfELi16ELi32ELi8ELb0ELb0ELc78ELc76EKS1_S1_EviT_T0_PT8_S3_lS6_S3_lS4_PT9_S3_li.numbered_sgpr, 30
	.set _ZL34rocblas_syrkx_herkx_general_kernelIi19rocblas_complex_numIfELi16ELi32ELi8ELb0ELb0ELc78ELc76EKS1_S1_EviT_T0_PT8_S3_lS6_S3_lS4_PT9_S3_li.num_named_barrier, 0
	.set _ZL34rocblas_syrkx_herkx_general_kernelIi19rocblas_complex_numIfELi16ELi32ELi8ELb0ELb0ELc78ELc76EKS1_S1_EviT_T0_PT8_S3_lS6_S3_lS4_PT9_S3_li.private_seg_size, 0
	.set _ZL34rocblas_syrkx_herkx_general_kernelIi19rocblas_complex_numIfELi16ELi32ELi8ELb0ELb0ELc78ELc76EKS1_S1_EviT_T0_PT8_S3_lS6_S3_lS4_PT9_S3_li.uses_vcc, 1
	.set _ZL34rocblas_syrkx_herkx_general_kernelIi19rocblas_complex_numIfELi16ELi32ELi8ELb0ELb0ELc78ELc76EKS1_S1_EviT_T0_PT8_S3_lS6_S3_lS4_PT9_S3_li.uses_flat_scratch, 0
	.set _ZL34rocblas_syrkx_herkx_general_kernelIi19rocblas_complex_numIfELi16ELi32ELi8ELb0ELb0ELc78ELc76EKS1_S1_EviT_T0_PT8_S3_lS6_S3_lS4_PT9_S3_li.has_dyn_sized_stack, 0
	.set _ZL34rocblas_syrkx_herkx_general_kernelIi19rocblas_complex_numIfELi16ELi32ELi8ELb0ELb0ELc78ELc76EKS1_S1_EviT_T0_PT8_S3_lS6_S3_lS4_PT9_S3_li.has_recursion, 0
	.set _ZL34rocblas_syrkx_herkx_general_kernelIi19rocblas_complex_numIfELi16ELi32ELi8ELb0ELb0ELc78ELc76EKS1_S1_EviT_T0_PT8_S3_lS6_S3_lS4_PT9_S3_li.has_indirect_call, 0
	.section	.AMDGPU.csdata,"",@progbits
; Kernel info:
; codeLenInByte = 2356
; TotalNumSgprs: 34
; NumVgprs: 53
; ScratchSize: 0
; MemoryBound: 1
; FloatMode: 240
; IeeeMode: 1
; LDSByteSize: 4096 bytes/workgroup (compile time only)
; SGPRBlocks: 4
; VGPRBlocks: 13
; NumSGPRsForWavesPerEU: 34
; NumVGPRsForWavesPerEU: 53
; Occupancy: 4
; WaveLimiterHint : 0
; COMPUTE_PGM_RSRC2:SCRATCH_EN: 0
; COMPUTE_PGM_RSRC2:USER_SGPR: 6
; COMPUTE_PGM_RSRC2:TRAP_HANDLER: 0
; COMPUTE_PGM_RSRC2:TGID_X_EN: 1
; COMPUTE_PGM_RSRC2:TGID_Y_EN: 1
; COMPUTE_PGM_RSRC2:TGID_Z_EN: 1
; COMPUTE_PGM_RSRC2:TIDIG_COMP_CNT: 1
	.section	.text._ZL34rocblas_syrkx_herkx_general_kernelIi19rocblas_complex_numIfELi16ELi32ELi8ELb0ELb0ELc84ELc85EKS1_S1_EviT_T0_PT8_S3_lS6_S3_lS4_PT9_S3_li,"axG",@progbits,_ZL34rocblas_syrkx_herkx_general_kernelIi19rocblas_complex_numIfELi16ELi32ELi8ELb0ELb0ELc84ELc85EKS1_S1_EviT_T0_PT8_S3_lS6_S3_lS4_PT9_S3_li,comdat
	.globl	_ZL34rocblas_syrkx_herkx_general_kernelIi19rocblas_complex_numIfELi16ELi32ELi8ELb0ELb0ELc84ELc85EKS1_S1_EviT_T0_PT8_S3_lS6_S3_lS4_PT9_S3_li ; -- Begin function _ZL34rocblas_syrkx_herkx_general_kernelIi19rocblas_complex_numIfELi16ELi32ELi8ELb0ELb0ELc84ELc85EKS1_S1_EviT_T0_PT8_S3_lS6_S3_lS4_PT9_S3_li
	.p2align	8
	.type	_ZL34rocblas_syrkx_herkx_general_kernelIi19rocblas_complex_numIfELi16ELi32ELi8ELb0ELb0ELc84ELc85EKS1_S1_EviT_T0_PT8_S3_lS6_S3_lS4_PT9_S3_li,@function
_ZL34rocblas_syrkx_herkx_general_kernelIi19rocblas_complex_numIfELi16ELi32ELi8ELb0ELb0ELc84ELc85EKS1_S1_EviT_T0_PT8_S3_lS6_S3_lS4_PT9_S3_li: ; @_ZL34rocblas_syrkx_herkx_general_kernelIi19rocblas_complex_numIfELi16ELi32ELi8ELb0ELb0ELc84ELc85EKS1_S1_EviT_T0_PT8_S3_lS6_S3_lS4_PT9_S3_li
; %bb.0:
	s_load_dwordx2 s[10:11], s[4:5], 0x0
	s_load_dwordx4 s[16:19], s[4:5], 0x8
	s_load_dwordx4 s[12:15], s[4:5], 0x38
	s_load_dwordx2 s[24:25], s[4:5], 0x48
	s_lshl_b32 s9, s6, 5
	s_lshl_b32 s26, s7, 5
	s_waitcnt lgkmcnt(0)
	s_cmp_lt_i32 s11, 1
	s_mov_b32 s27, 0
	s_cbranch_scc1 .LBB225_11
; %bb.1:
	v_lshl_add_u32 v2, v1, 4, v0
	s_load_dword s2, s[4:5], 0x18
	s_load_dwordx4 s[20:23], s[4:5], 0x20
	s_load_dword s6, s[4:5], 0x30
	v_and_b32_e32 v8, 7, v0
	v_lshrrev_b32_e32 v9, 5, v2
	v_lshrrev_b32_e32 v3, 3, v2
	v_and_b32_e32 v2, 31, v2
	v_or_b32_e32 v5, s9, v2
	v_lshlrev_b32_e32 v6, 3, v8
	v_add_u32_e32 v4, s26, v3
	v_cmp_gt_i32_e32 vcc, s10, v5
	v_lshlrev_b32_e32 v5, 3, v2
	v_lshl_or_b32 v3, v3, 6, v6
	v_add_u32_e32 v2, s9, v2
	v_add_u32_e32 v11, 0x800, v3
	s_waitcnt lgkmcnt(0)
	v_mad_i64_i32 v[2:3], s[2:3], s2, v2, 0
	s_mul_i32 s2, s21, s8
	s_mul_hi_u32 s3, s20, s8
	v_lshlrev_b64 v[2:3], 3, v[2:3]
	s_add_i32 s3, s3, s2
	s_mul_i32 s2, s20, s8
	v_lshl_or_b32 v10, v9, 8, v5
	v_mov_b32_e32 v5, 0x800
	s_lshl_b64 s[2:3], s[2:3], 3
	v_lshl_add_u32 v13, v1, 6, v5
	v_mov_b32_e32 v5, s3
	v_add_co_u32_e64 v2, s[2:3], s2, v2
	v_addc_co_u32_e64 v3, s[2:3], v3, v5, s[2:3]
	v_lshlrev_b32_e32 v5, 3, v9
	v_add_co_u32_e64 v2, s[2:3], v2, v5
	v_cmp_gt_i32_e64 s[0:1], s10, v4
	v_addc_co_u32_e64 v3, s[2:3], 0, v3, s[2:3]
	v_mad_i64_i32 v[4:5], s[2:3], s6, v4, 0
	v_mov_b32_e32 v7, s19
	v_add_co_u32_e64 v2, s[2:3], s18, v2
	v_addc_co_u32_e64 v3, s[2:3], v7, v3, s[2:3]
	s_mul_i32 s2, s13, s8
	s_mul_hi_u32 s3, s12, s8
	v_lshlrev_b64 v[4:5], 3, v[4:5]
	s_add_i32 s3, s3, s2
	s_mul_i32 s2, s12, s8
	s_lshl_b64 s[2:3], s[2:3], 3
	v_mov_b32_e32 v7, s3
	v_add_co_u32_e64 v4, s[2:3], s2, v4
	v_addc_co_u32_e64 v5, s[2:3], v5, v7, s[2:3]
	v_add_co_u32_e64 v4, s[2:3], v4, v6
	v_addc_co_u32_e64 v5, s[2:3], 0, v5, s[2:3]
	v_mov_b32_e32 v6, s23
	v_add_co_u32_e64 v4, s[2:3], s22, v4
	v_addc_co_u32_e64 v5, s[2:3], v6, v5, s[2:3]
	v_lshlrev_b32_e32 v12, 3, v0
	s_xor_b64 s[2:3], vcc, -1
	s_xor_b64 s[0:1], s[0:1], -1
	v_mov_b32_e32 v17, 0
	v_mov_b32_e32 v16, 0
	;; [unrolled: 1-line block ×9, first 2 shown]
	s_branch .LBB225_3
.LBB225_2:                              ;   in Loop: Header=BB225_3 Depth=1
	s_or_b64 exec, exec, s[6:7]
	s_waitcnt lgkmcnt(0)
	s_barrier
	ds_read2_b64 v[22:25], v12 offset1:16
	ds_read_b128 v[26:29], v13
	ds_read_b128 v[30:33], v13 offset:16
	v_add_co_u32_e32 v2, vcc, 64, v2
	v_addc_co_u32_e32 v3, vcc, 0, v3, vcc
	s_waitcnt lgkmcnt(1)
	v_mul_f32_e32 v34, v26, v23
	v_fmac_f32_e32 v34, v27, v22
	v_add_f32_e32 v46, v21, v34
	ds_read_b128 v[34:37], v13 offset:1024
	v_mul_f32_e32 v7, v27, v23
	v_fma_f32 v7, v26, v22, -v7
	v_add_f32_e32 v7, v20, v7
	v_mul_f32_e32 v20, v27, v25
	v_mul_f32_e32 v21, v26, v25
	v_fma_f32 v20, v26, v24, -v20
	v_fmac_f32_e32 v21, v27, v24
	v_add_f32_e32 v26, v18, v20
	v_add_f32_e32 v27, v19, v21
	ds_read_b128 v[18:21], v13 offset:1040
	s_waitcnt lgkmcnt(1)
	v_mul_f32_e32 v38, v35, v23
	v_mul_f32_e32 v23, v34, v23
	v_fma_f32 v38, v34, v22, -v38
	v_fmac_f32_e32 v23, v35, v22
	v_mul_f32_e32 v22, v35, v25
	v_fma_f32 v47, v34, v24, -v22
	v_mul_f32_e32 v34, v34, v25
	v_add_f32_e32 v14, v14, v38
	v_add_f32_e32 v15, v15, v23
	v_fmac_f32_e32 v34, v35, v24
	ds_read2_b64 v[22:25], v12 offset0:32 offset1:48
	ds_read_b128 v[38:41], v13 offset:32
	ds_read_b128 v[42:45], v13 offset:48
	v_add_f32_e32 v35, v16, v47
	v_add_f32_e32 v34, v17, v34
	s_waitcnt lgkmcnt(2)
	v_mul_f32_e32 v16, v29, v23
	v_fma_f32 v16, v28, v22, -v16
	v_mul_f32_e32 v17, v28, v23
	v_fmac_f32_e32 v17, v29, v22
	v_add_f32_e32 v7, v7, v16
	v_mul_f32_e32 v16, v29, v25
	v_add_f32_e32 v46, v46, v17
	v_fma_f32 v16, v28, v24, -v16
	v_mul_f32_e32 v17, v28, v25
	v_fmac_f32_e32 v17, v29, v24
	v_add_f32_e32 v26, v26, v16
	v_mul_f32_e32 v16, v37, v23
	v_add_f32_e32 v27, v27, v17
	;; [unrolled: 6-line block ×3, first 2 shown]
	v_fma_f32 v28, v36, v24, -v14
	ds_read2_b64 v[14:17], v12 offset0:64 offset1:80
	v_mul_f32_e32 v25, v36, v25
	v_fmac_f32_e32 v25, v37, v24
	v_add_f32_e32 v29, v34, v25
	v_add_f32_e32 v28, v35, v28
	s_waitcnt lgkmcnt(0)
	v_mul_f32_e32 v24, v31, v15
	v_fma_f32 v24, v30, v14, -v24
	v_add_f32_e32 v7, v7, v24
	v_mul_f32_e32 v24, v31, v17
	v_mul_f32_e32 v25, v30, v15
	v_fma_f32 v24, v30, v16, -v24
	v_fmac_f32_e32 v25, v31, v14
	v_add_f32_e32 v26, v26, v24
	v_mul_f32_e32 v24, v19, v15
	v_add_f32_e32 v34, v46, v25
	v_mul_f32_e32 v25, v30, v17
	v_fma_f32 v24, v18, v14, -v24
	v_mul_f32_e32 v15, v18, v15
	v_fmac_f32_e32 v25, v31, v16
	v_fmac_f32_e32 v15, v19, v14
	v_add_f32_e32 v14, v22, v24
	v_mul_f32_e32 v22, v19, v17
	v_add_f32_e32 v27, v27, v25
	v_add_f32_e32 v15, v23, v15
	v_fma_f32 v30, v18, v16, -v22
	ds_read2_b64 v[22:25], v12 offset0:96 offset1:112
	v_mul_f32_e32 v17, v18, v17
	v_fmac_f32_e32 v17, v19, v16
	v_add_f32_e32 v19, v29, v17
	v_add_f32_e32 v18, v28, v30
	s_waitcnt lgkmcnt(0)
	v_mul_f32_e32 v16, v33, v23
	v_fma_f32 v16, v32, v22, -v16
	v_mul_f32_e32 v17, v32, v23
	v_fmac_f32_e32 v17, v33, v22
	v_add_f32_e32 v7, v7, v16
	v_mul_f32_e32 v16, v33, v25
	v_add_f32_e32 v28, v34, v17
	v_fma_f32 v16, v32, v24, -v16
	v_mul_f32_e32 v17, v32, v25
	v_fmac_f32_e32 v17, v33, v24
	v_add_f32_e32 v26, v26, v16
	v_mul_f32_e32 v16, v21, v23
	v_add_f32_e32 v27, v27, v17
	;; [unrolled: 6-line block ×3, first 2 shown]
	v_fma_f32 v22, v20, v24, -v14
	ds_read2_b64 v[14:17], v12 offset0:128 offset1:144
	v_mul_f32_e32 v20, v20, v25
	v_fmac_f32_e32 v20, v21, v24
	v_add_f32_e32 v31, v18, v22
	v_add_f32_e32 v32, v19, v20
	s_waitcnt lgkmcnt(0)
	v_mul_f32_e32 v18, v39, v15
	v_fma_f32 v18, v38, v14, -v18
	v_mul_f32_e32 v19, v38, v15
	v_fmac_f32_e32 v19, v39, v14
	v_add_f32_e32 v7, v7, v18
	v_mul_f32_e32 v18, v39, v17
	v_add_f32_e32 v33, v28, v19
	v_fma_f32 v22, v38, v16, -v18
	ds_read_b128 v[18:21], v13 offset:1056
	v_mul_f32_e32 v23, v38, v17
	v_fmac_f32_e32 v23, v39, v16
	v_add_f32_e32 v34, v26, v22
	v_add_f32_e32 v35, v27, v23
	ds_read_b128 v[22:25], v13 offset:1072
	s_waitcnt lgkmcnt(1)
	v_mul_f32_e32 v26, v19, v15
	v_fma_f32 v26, v18, v14, -v26
	v_mul_f32_e32 v15, v18, v15
	v_fmac_f32_e32 v15, v19, v14
	v_add_f32_e32 v14, v29, v26
	v_mul_f32_e32 v26, v19, v17
	v_add_f32_e32 v15, v30, v15
	v_fma_f32 v30, v18, v16, -v26
	ds_read2_b64 v[26:29], v12 offset0:160 offset1:176
	v_mul_f32_e32 v17, v18, v17
	v_fmac_f32_e32 v17, v19, v16
	v_add_f32_e32 v19, v32, v17
	v_add_f32_e32 v18, v31, v30
	s_waitcnt lgkmcnt(0)
	v_mul_f32_e32 v16, v41, v27
	v_fma_f32 v16, v40, v26, -v16
	v_mul_f32_e32 v17, v40, v27
	v_fmac_f32_e32 v17, v41, v26
	v_add_f32_e32 v7, v7, v16
	v_mul_f32_e32 v16, v41, v29
	v_add_f32_e32 v30, v33, v17
	v_fma_f32 v16, v40, v28, -v16
	v_mul_f32_e32 v17, v40, v29
	v_fmac_f32_e32 v17, v41, v28
	v_add_f32_e32 v31, v34, v16
	v_mul_f32_e32 v16, v21, v27
	v_add_f32_e32 v32, v35, v17
	;; [unrolled: 6-line block ×3, first 2 shown]
	v_fma_f32 v33, v20, v28, -v14
	ds_read2_b64 v[14:17], v12 offset0:192 offset1:208
	v_mul_f32_e32 v20, v20, v29
	v_fmac_f32_e32 v20, v21, v28
	v_add_f32_e32 v19, v19, v20
	v_add_f32_e32 v18, v18, v33
	s_waitcnt lgkmcnt(0)
	v_mul_f32_e32 v20, v43, v15
	v_fma_f32 v20, v42, v14, -v20
	v_mul_f32_e32 v21, v42, v15
	v_add_f32_e32 v7, v7, v20
	v_mul_f32_e32 v20, v43, v17
	v_fmac_f32_e32 v21, v43, v14
	v_fma_f32 v20, v42, v16, -v20
	v_add_f32_e32 v21, v30, v21
	v_mul_f32_e32 v28, v42, v17
	v_add_f32_e32 v30, v31, v20
	v_mul_f32_e32 v20, v23, v15
	v_mul_f32_e32 v15, v22, v15
	v_fmac_f32_e32 v28, v43, v16
	v_fma_f32 v20, v22, v14, -v20
	v_fmac_f32_e32 v15, v23, v14
	v_add_f32_e32 v31, v32, v28
	v_add_f32_e32 v14, v26, v20
	;; [unrolled: 1-line block ×3, first 2 shown]
	ds_read2_b64 v[26:29], v12 offset0:224 offset1:240
	v_mul_f32_e32 v20, v23, v17
	v_fma_f32 v20, v22, v16, -v20
	v_mul_f32_e32 v17, v22, v17
	v_fmac_f32_e32 v17, v23, v16
	v_add_f32_e32 v16, v18, v20
	s_waitcnt lgkmcnt(0)
	v_mul_f32_e32 v18, v45, v27
	v_fma_f32 v18, v44, v26, -v18
	v_add_f32_e32 v20, v7, v18
	v_mul_f32_e32 v7, v45, v29
	v_fma_f32 v7, v44, v28, -v7
	v_add_f32_e32 v17, v19, v17
	v_mul_f32_e32 v19, v44, v27
	v_add_f32_e32 v18, v30, v7
	v_mul_f32_e32 v7, v25, v27
	v_mul_f32_e32 v22, v24, v27
	v_fmac_f32_e32 v19, v45, v26
	v_fma_f32 v7, v24, v26, -v7
	v_fmac_f32_e32 v22, v25, v26
	v_add_f32_e32 v21, v21, v19
	v_mul_f32_e32 v19, v44, v29
	v_add_f32_e32 v14, v14, v7
	v_add_f32_e32 v15, v15, v22
	v_mul_f32_e32 v7, v25, v29
	v_mul_f32_e32 v22, v24, v29
	v_fmac_f32_e32 v19, v45, v28
	v_fma_f32 v7, v24, v28, -v7
	v_fmac_f32_e32 v22, v25, v28
	s_add_i32 s27, s27, 8
	v_add_co_u32_e32 v4, vcc, 64, v4
	v_add_f32_e32 v19, v31, v19
	v_add_f32_e32 v16, v16, v7
	;; [unrolled: 1-line block ×3, first 2 shown]
	s_cmp_ge_i32 s27, s11
	v_addc_co_u32_e32 v5, vcc, 0, v5, vcc
	s_barrier
	s_cbranch_scc1 .LBB225_12
.LBB225_3:                              ; =>This Inner Loop Header: Depth=1
	v_add_u32_e32 v7, s27, v9
	v_cmp_le_i32_e32 vcc, s11, v7
	s_or_b64 s[6:7], s[2:3], vcc
	s_and_saveexec_b64 s[12:13], s[6:7]
	s_xor_b64 s[6:7], exec, s[12:13]
; %bb.4:                                ;   in Loop: Header=BB225_3 Depth=1
	v_mov_b32_e32 v7, v6
	ds_write_b64 v10, v[6:7]
; %bb.5:                                ;   in Loop: Header=BB225_3 Depth=1
	s_andn2_saveexec_b64 s[6:7], s[6:7]
	s_cbranch_execz .LBB225_7
; %bb.6:                                ;   in Loop: Header=BB225_3 Depth=1
	global_load_dwordx2 v[22:23], v[2:3], off
	s_waitcnt vmcnt(0)
	ds_write_b64 v10, v[22:23]
.LBB225_7:                              ;   in Loop: Header=BB225_3 Depth=1
	s_or_b64 exec, exec, s[6:7]
	v_add_u32_e32 v7, s27, v8
	v_cmp_le_i32_e32 vcc, s11, v7
	s_or_b64 s[6:7], vcc, s[0:1]
	s_and_saveexec_b64 s[12:13], s[6:7]
	s_xor_b64 s[6:7], exec, s[12:13]
; %bb.8:                                ;   in Loop: Header=BB225_3 Depth=1
	v_mov_b32_e32 v7, v6
	ds_write_b64 v11, v[6:7]
; %bb.9:                                ;   in Loop: Header=BB225_3 Depth=1
	s_andn2_saveexec_b64 s[6:7], s[6:7]
	s_cbranch_execz .LBB225_2
; %bb.10:                               ;   in Loop: Header=BB225_3 Depth=1
	global_load_dwordx2 v[22:23], v[4:5], off
	s_waitcnt vmcnt(0)
	ds_write_b64 v11, v[22:23]
	s_branch .LBB225_2
.LBB225_11:
	v_mov_b32_e32 v20, 0
	v_mov_b32_e32 v21, 0
	;; [unrolled: 1-line block ×8, first 2 shown]
.LBB225_12:
	s_load_dwordx2 s[0:1], s[4:5], 0x58
	s_load_dword s6, s[4:5], 0x50
	v_add_u32_e32 v4, s26, v1
	v_add_u32_e32 v0, s9, v0
	v_cmp_gt_i32_e32 vcc, s10, v4
	s_waitcnt lgkmcnt(0)
	s_mul_i32 s1, s1, s8
	s_mul_hi_u32 s2, s0, s8
	s_add_i32 s1, s2, s1
	v_mad_i64_i32 v[1:2], s[2:3], v4, s6, 0
	s_mul_i32 s0, s0, s8
	s_lshl_b64 s[0:1], s[0:1], 3
	s_add_u32 s4, s24, s0
	v_lshlrev_b64 v[1:2], 3, v[1:2]
	s_addc_u32 s5, s25, s1
	v_mov_b32_e32 v3, s5
	v_add_co_u32_e64 v5, s[0:1], s4, v1
	v_addc_co_u32_e64 v6, s[0:1], v3, v2, s[0:1]
	v_cmp_le_i32_e64 s[0:1], v0, v4
	s_and_b64 s[0:1], vcc, s[0:1]
	s_and_saveexec_b64 s[2:3], s[0:1]
	s_cbranch_execz .LBB225_14
; %bb.13:
	v_ashrrev_i32_e32 v1, 31, v0
	v_lshlrev_b64 v[1:2], 3, v[0:1]
	v_mul_f32_e32 v3, s17, v21
	v_add_co_u32_e64 v1, s[0:1], v5, v1
	v_addc_co_u32_e64 v2, s[0:1], v6, v2, s[0:1]
	global_load_dwordx2 v[7:8], v[1:2], off
	v_mul_f32_e32 v9, s16, v21
	v_fma_f32 v3, v20, s16, -v3
	v_fmac_f32_e32 v9, s17, v20
	s_waitcnt vmcnt(0)
	v_mul_f32_e32 v10, s15, v8
	v_mul_f32_e32 v8, s14, v8
	v_fma_f32 v10, v7, s14, -v10
	v_fmac_f32_e32 v8, s15, v7
	v_add_f32_e32 v7, v3, v10
	v_add_f32_e32 v8, v9, v8
	global_store_dwordx2 v[1:2], v[7:8], off
.LBB225_14:
	s_or_b64 exec, exec, s[2:3]
	v_add_u32_e32 v2, 16, v0
	v_cmp_le_i32_e64 s[0:1], v2, v4
	s_and_b64 s[2:3], vcc, s[0:1]
	s_and_saveexec_b64 s[0:1], s[2:3]
	s_cbranch_execz .LBB225_16
; %bb.15:
	v_ashrrev_i32_e32 v3, 31, v2
	v_lshlrev_b64 v[7:8], 3, v[2:3]
	v_mul_f32_e32 v1, s17, v19
	v_add_co_u32_e32 v5, vcc, v5, v7
	v_addc_co_u32_e32 v6, vcc, v6, v8, vcc
	global_load_dwordx2 v[7:8], v[5:6], off
	v_mul_f32_e32 v3, s16, v19
	v_fma_f32 v1, v18, s16, -v1
	v_fmac_f32_e32 v3, s17, v18
	s_waitcnt vmcnt(0)
	v_mul_f32_e32 v9, s15, v8
	v_mul_f32_e32 v8, s14, v8
	v_fma_f32 v9, v7, s14, -v9
	v_fmac_f32_e32 v8, s15, v7
	v_add_f32_e32 v7, v1, v9
	v_add_f32_e32 v8, v3, v8
	global_store_dwordx2 v[5:6], v[7:8], off
.LBB225_16:
	s_or_b64 exec, exec, s[0:1]
	v_add_u32_e32 v3, 16, v4
	v_mad_i64_i32 v[4:5], s[0:1], v3, s6, 0
	v_mov_b32_e32 v1, s5
	v_cmp_gt_i32_e32 vcc, s10, v3
	v_lshlrev_b64 v[4:5], 3, v[4:5]
	v_add_co_u32_e64 v4, s[0:1], s4, v4
	v_addc_co_u32_e64 v5, s[0:1], v1, v5, s[0:1]
	v_cmp_le_i32_e64 s[0:1], v0, v3
	s_and_b64 s[0:1], vcc, s[0:1]
	s_and_saveexec_b64 s[2:3], s[0:1]
	s_cbranch_execz .LBB225_18
; %bb.17:
	v_ashrrev_i32_e32 v1, 31, v0
	v_lshlrev_b64 v[0:1], 3, v[0:1]
	v_mul_f32_e32 v8, s17, v15
	v_add_co_u32_e64 v0, s[0:1], v4, v0
	v_addc_co_u32_e64 v1, s[0:1], v5, v1, s[0:1]
	global_load_dwordx2 v[6:7], v[0:1], off
	v_mul_f32_e32 v9, s16, v15
	v_fma_f32 v8, v14, s16, -v8
	v_fmac_f32_e32 v9, s17, v14
	s_waitcnt vmcnt(0)
	v_mul_f32_e32 v10, s15, v7
	v_mul_f32_e32 v7, s14, v7
	v_fma_f32 v10, v6, s14, -v10
	v_fmac_f32_e32 v7, s15, v6
	v_add_f32_e32 v6, v8, v10
	v_add_f32_e32 v7, v9, v7
	global_store_dwordx2 v[0:1], v[6:7], off
.LBB225_18:
	s_or_b64 exec, exec, s[2:3]
	v_cmp_le_i32_e64 s[0:1], v2, v3
	s_and_b64 s[0:1], vcc, s[0:1]
	s_and_saveexec_b64 s[2:3], s[0:1]
	s_cbranch_execz .LBB225_20
; %bb.19:
	v_ashrrev_i32_e32 v3, 31, v2
	v_lshlrev_b64 v[0:1], 3, v[2:3]
	v_add_co_u32_e32 v0, vcc, v4, v0
	v_addc_co_u32_e32 v1, vcc, v5, v1, vcc
	global_load_dwordx2 v[2:3], v[0:1], off
	v_mul_f32_e32 v4, s17, v17
	v_mul_f32_e32 v5, s16, v17
	v_fma_f32 v4, v16, s16, -v4
	v_fmac_f32_e32 v5, s17, v16
	s_waitcnt vmcnt(0)
	v_mul_f32_e32 v6, s15, v3
	v_mul_f32_e32 v3, s14, v3
	v_fma_f32 v6, v2, s14, -v6
	v_fmac_f32_e32 v3, s15, v2
	v_add_f32_e32 v2, v4, v6
	v_add_f32_e32 v3, v5, v3
	global_store_dwordx2 v[0:1], v[2:3], off
.LBB225_20:
	s_endpgm
	.section	.rodata,"a",@progbits
	.p2align	6, 0x0
	.amdhsa_kernel _ZL34rocblas_syrkx_herkx_general_kernelIi19rocblas_complex_numIfELi16ELi32ELi8ELb0ELb0ELc84ELc85EKS1_S1_EviT_T0_PT8_S3_lS6_S3_lS4_PT9_S3_li
		.amdhsa_group_segment_fixed_size 4096
		.amdhsa_private_segment_fixed_size 0
		.amdhsa_kernarg_size 100
		.amdhsa_user_sgpr_count 6
		.amdhsa_user_sgpr_private_segment_buffer 1
		.amdhsa_user_sgpr_dispatch_ptr 0
		.amdhsa_user_sgpr_queue_ptr 0
		.amdhsa_user_sgpr_kernarg_segment_ptr 1
		.amdhsa_user_sgpr_dispatch_id 0
		.amdhsa_user_sgpr_flat_scratch_init 0
		.amdhsa_user_sgpr_private_segment_size 0
		.amdhsa_uses_dynamic_stack 0
		.amdhsa_system_sgpr_private_segment_wavefront_offset 0
		.amdhsa_system_sgpr_workgroup_id_x 1
		.amdhsa_system_sgpr_workgroup_id_y 1
		.amdhsa_system_sgpr_workgroup_id_z 1
		.amdhsa_system_sgpr_workgroup_info 0
		.amdhsa_system_vgpr_workitem_id 1
		.amdhsa_next_free_vgpr 48
		.amdhsa_next_free_sgpr 28
		.amdhsa_reserve_vcc 1
		.amdhsa_reserve_flat_scratch 0
		.amdhsa_float_round_mode_32 0
		.amdhsa_float_round_mode_16_64 0
		.amdhsa_float_denorm_mode_32 3
		.amdhsa_float_denorm_mode_16_64 3
		.amdhsa_dx10_clamp 1
		.amdhsa_ieee_mode 1
		.amdhsa_fp16_overflow 0
		.amdhsa_exception_fp_ieee_invalid_op 0
		.amdhsa_exception_fp_denorm_src 0
		.amdhsa_exception_fp_ieee_div_zero 0
		.amdhsa_exception_fp_ieee_overflow 0
		.amdhsa_exception_fp_ieee_underflow 0
		.amdhsa_exception_fp_ieee_inexact 0
		.amdhsa_exception_int_div_zero 0
	.end_amdhsa_kernel
	.section	.text._ZL34rocblas_syrkx_herkx_general_kernelIi19rocblas_complex_numIfELi16ELi32ELi8ELb0ELb0ELc84ELc85EKS1_S1_EviT_T0_PT8_S3_lS6_S3_lS4_PT9_S3_li,"axG",@progbits,_ZL34rocblas_syrkx_herkx_general_kernelIi19rocblas_complex_numIfELi16ELi32ELi8ELb0ELb0ELc84ELc85EKS1_S1_EviT_T0_PT8_S3_lS6_S3_lS4_PT9_S3_li,comdat
.Lfunc_end225:
	.size	_ZL34rocblas_syrkx_herkx_general_kernelIi19rocblas_complex_numIfELi16ELi32ELi8ELb0ELb0ELc84ELc85EKS1_S1_EviT_T0_PT8_S3_lS6_S3_lS4_PT9_S3_li, .Lfunc_end225-_ZL34rocblas_syrkx_herkx_general_kernelIi19rocblas_complex_numIfELi16ELi32ELi8ELb0ELb0ELc84ELc85EKS1_S1_EviT_T0_PT8_S3_lS6_S3_lS4_PT9_S3_li
                                        ; -- End function
	.set _ZL34rocblas_syrkx_herkx_general_kernelIi19rocblas_complex_numIfELi16ELi32ELi8ELb0ELb0ELc84ELc85EKS1_S1_EviT_T0_PT8_S3_lS6_S3_lS4_PT9_S3_li.num_vgpr, 48
	.set _ZL34rocblas_syrkx_herkx_general_kernelIi19rocblas_complex_numIfELi16ELi32ELi8ELb0ELb0ELc84ELc85EKS1_S1_EviT_T0_PT8_S3_lS6_S3_lS4_PT9_S3_li.num_agpr, 0
	.set _ZL34rocblas_syrkx_herkx_general_kernelIi19rocblas_complex_numIfELi16ELi32ELi8ELb0ELb0ELc84ELc85EKS1_S1_EviT_T0_PT8_S3_lS6_S3_lS4_PT9_S3_li.numbered_sgpr, 28
	.set _ZL34rocblas_syrkx_herkx_general_kernelIi19rocblas_complex_numIfELi16ELi32ELi8ELb0ELb0ELc84ELc85EKS1_S1_EviT_T0_PT8_S3_lS6_S3_lS4_PT9_S3_li.num_named_barrier, 0
	.set _ZL34rocblas_syrkx_herkx_general_kernelIi19rocblas_complex_numIfELi16ELi32ELi8ELb0ELb0ELc84ELc85EKS1_S1_EviT_T0_PT8_S3_lS6_S3_lS4_PT9_S3_li.private_seg_size, 0
	.set _ZL34rocblas_syrkx_herkx_general_kernelIi19rocblas_complex_numIfELi16ELi32ELi8ELb0ELb0ELc84ELc85EKS1_S1_EviT_T0_PT8_S3_lS6_S3_lS4_PT9_S3_li.uses_vcc, 1
	.set _ZL34rocblas_syrkx_herkx_general_kernelIi19rocblas_complex_numIfELi16ELi32ELi8ELb0ELb0ELc84ELc85EKS1_S1_EviT_T0_PT8_S3_lS6_S3_lS4_PT9_S3_li.uses_flat_scratch, 0
	.set _ZL34rocblas_syrkx_herkx_general_kernelIi19rocblas_complex_numIfELi16ELi32ELi8ELb0ELb0ELc84ELc85EKS1_S1_EviT_T0_PT8_S3_lS6_S3_lS4_PT9_S3_li.has_dyn_sized_stack, 0
	.set _ZL34rocblas_syrkx_herkx_general_kernelIi19rocblas_complex_numIfELi16ELi32ELi8ELb0ELb0ELc84ELc85EKS1_S1_EviT_T0_PT8_S3_lS6_S3_lS4_PT9_S3_li.has_recursion, 0
	.set _ZL34rocblas_syrkx_herkx_general_kernelIi19rocblas_complex_numIfELi16ELi32ELi8ELb0ELb0ELc84ELc85EKS1_S1_EviT_T0_PT8_S3_lS6_S3_lS4_PT9_S3_li.has_indirect_call, 0
	.section	.AMDGPU.csdata,"",@progbits
; Kernel info:
; codeLenInByte = 2296
; TotalNumSgprs: 32
; NumVgprs: 48
; ScratchSize: 0
; MemoryBound: 1
; FloatMode: 240
; IeeeMode: 1
; LDSByteSize: 4096 bytes/workgroup (compile time only)
; SGPRBlocks: 3
; VGPRBlocks: 11
; NumSGPRsForWavesPerEU: 32
; NumVGPRsForWavesPerEU: 48
; Occupancy: 5
; WaveLimiterHint : 0
; COMPUTE_PGM_RSRC2:SCRATCH_EN: 0
; COMPUTE_PGM_RSRC2:USER_SGPR: 6
; COMPUTE_PGM_RSRC2:TRAP_HANDLER: 0
; COMPUTE_PGM_RSRC2:TGID_X_EN: 1
; COMPUTE_PGM_RSRC2:TGID_Y_EN: 1
; COMPUTE_PGM_RSRC2:TGID_Z_EN: 1
; COMPUTE_PGM_RSRC2:TIDIG_COMP_CNT: 1
	.section	.text._ZL34rocblas_syrkx_herkx_general_kernelIi19rocblas_complex_numIfELi16ELi32ELi8ELb0ELb0ELc67ELc85EKS1_S1_EviT_T0_PT8_S3_lS6_S3_lS4_PT9_S3_li,"axG",@progbits,_ZL34rocblas_syrkx_herkx_general_kernelIi19rocblas_complex_numIfELi16ELi32ELi8ELb0ELb0ELc67ELc85EKS1_S1_EviT_T0_PT8_S3_lS6_S3_lS4_PT9_S3_li,comdat
	.globl	_ZL34rocblas_syrkx_herkx_general_kernelIi19rocblas_complex_numIfELi16ELi32ELi8ELb0ELb0ELc67ELc85EKS1_S1_EviT_T0_PT8_S3_lS6_S3_lS4_PT9_S3_li ; -- Begin function _ZL34rocblas_syrkx_herkx_general_kernelIi19rocblas_complex_numIfELi16ELi32ELi8ELb0ELb0ELc67ELc85EKS1_S1_EviT_T0_PT8_S3_lS6_S3_lS4_PT9_S3_li
	.p2align	8
	.type	_ZL34rocblas_syrkx_herkx_general_kernelIi19rocblas_complex_numIfELi16ELi32ELi8ELb0ELb0ELc67ELc85EKS1_S1_EviT_T0_PT8_S3_lS6_S3_lS4_PT9_S3_li,@function
_ZL34rocblas_syrkx_herkx_general_kernelIi19rocblas_complex_numIfELi16ELi32ELi8ELb0ELb0ELc67ELc85EKS1_S1_EviT_T0_PT8_S3_lS6_S3_lS4_PT9_S3_li: ; @_ZL34rocblas_syrkx_herkx_general_kernelIi19rocblas_complex_numIfELi16ELi32ELi8ELb0ELb0ELc67ELc85EKS1_S1_EviT_T0_PT8_S3_lS6_S3_lS4_PT9_S3_li
; %bb.0:
	s_load_dwordx2 s[10:11], s[4:5], 0x0
	s_load_dwordx4 s[16:19], s[4:5], 0x8
	s_load_dwordx4 s[12:15], s[4:5], 0x38
	s_load_dwordx2 s[24:25], s[4:5], 0x48
	s_lshl_b32 s6, s6, 5
	s_lshl_b32 s7, s7, 5
	s_waitcnt lgkmcnt(0)
	s_cmp_lt_i32 s11, 1
	s_mov_b32 s9, 0
	s_cbranch_scc1 .LBB226_9
; %bb.1:
	v_lshl_add_u32 v2, v1, 4, v0
	s_load_dword s2, s[4:5], 0x18
	s_load_dwordx4 s[20:23], s[4:5], 0x20
	s_load_dword s26, s[4:5], 0x30
	v_and_b32_e32 v9, 7, v0
	v_lshrrev_b32_e32 v10, 5, v2
	v_lshrrev_b32_e32 v3, 3, v2
	v_and_b32_e32 v2, 31, v2
	v_or_b32_e32 v5, s6, v2
	v_lshlrev_b32_e32 v6, 3, v9
	v_add_u32_e32 v4, s7, v3
	v_cmp_gt_i32_e32 vcc, s10, v5
	v_lshlrev_b32_e32 v5, 3, v2
	v_lshl_or_b32 v3, v3, 6, v6
	v_add_u32_e32 v2, s6, v2
	v_add_u32_e32 v12, 0x800, v3
	s_waitcnt lgkmcnt(0)
	v_mad_i64_i32 v[2:3], s[2:3], s2, v2, 0
	s_mul_i32 s2, s21, s8
	s_mul_hi_u32 s3, s20, s8
	v_lshlrev_b64 v[2:3], 3, v[2:3]
	s_add_i32 s3, s3, s2
	s_mul_i32 s2, s20, s8
	v_lshl_or_b32 v11, v10, 8, v5
	v_mov_b32_e32 v5, 0x800
	s_lshl_b64 s[2:3], s[2:3], 3
	v_lshl_add_u32 v14, v1, 6, v5
	v_mov_b32_e32 v5, s3
	v_add_co_u32_e64 v2, s[2:3], s2, v2
	v_addc_co_u32_e64 v3, s[2:3], v3, v5, s[2:3]
	v_lshlrev_b32_e32 v5, 3, v10
	v_add_co_u32_e64 v2, s[2:3], v2, v5
	v_addc_co_u32_e64 v3, s[2:3], 0, v3, s[2:3]
	v_mov_b32_e32 v5, s19
	v_add_co_u32_e64 v2, s[2:3], s18, v2
	v_cmp_gt_i32_e64 s[0:1], s10, v4
	v_addc_co_u32_e64 v3, s[2:3], v5, v3, s[2:3]
	v_mad_i64_i32 v[4:5], s[2:3], s26, v4, 0
	v_add_co_u32_e64 v2, s[2:3], 4, v2
	v_addc_co_u32_e64 v3, s[2:3], 0, v3, s[2:3]
	s_mul_i32 s2, s13, s8
	s_mul_hi_u32 s3, s12, s8
	v_lshlrev_b64 v[4:5], 3, v[4:5]
	s_add_i32 s3, s3, s2
	s_mul_i32 s2, s12, s8
	s_lshl_b64 s[2:3], s[2:3], 3
	v_mov_b32_e32 v7, s3
	v_add_co_u32_e64 v4, s[2:3], s2, v4
	v_addc_co_u32_e64 v5, s[2:3], v5, v7, s[2:3]
	v_add_co_u32_e64 v4, s[2:3], v4, v6
	v_addc_co_u32_e64 v5, s[2:3], 0, v5, s[2:3]
	v_mov_b32_e32 v6, s23
	v_add_co_u32_e64 v4, s[2:3], s22, v4
	v_addc_co_u32_e64 v5, s[2:3], v6, v5, s[2:3]
	v_lshlrev_b32_e32 v13, 3, v0
	s_xor_b64 s[2:3], s[0:1], -1
	v_mov_b32_e32 v18, 0
	v_mov_b32_e32 v17, 0
	;; [unrolled: 1-line block ×9, first 2 shown]
	s_branch .LBB226_3
.LBB226_2:                              ;   in Loop: Header=BB226_3 Depth=1
	s_or_b64 exec, exec, s[0:1]
	s_waitcnt lgkmcnt(0)
	s_barrier
	ds_read2_b64 v[23:26], v13 offset1:16
	ds_read_b128 v[27:30], v14
	ds_read_b128 v[31:34], v14 offset:16
	ds_read_b128 v[35:38], v14 offset:1024
	v_add_co_u32_e64 v2, s[0:1], 64, v2
	s_waitcnt lgkmcnt(2)
	v_mul_f32_e32 v7, v28, v24
	v_mul_f32_e32 v8, v27, v24
	v_fma_f32 v7, v27, v23, -v7
	v_fmac_f32_e32 v8, v28, v23
	v_add_f32_e32 v7, v21, v7
	v_add_f32_e32 v8, v22, v8
	v_mul_f32_e32 v21, v28, v26
	v_mul_f32_e32 v22, v27, v26
	v_fma_f32 v21, v27, v25, -v21
	v_fmac_f32_e32 v22, v28, v25
	v_add_f32_e32 v27, v19, v21
	v_add_f32_e32 v28, v20, v22
	ds_read_b128 v[19:22], v14 offset:1040
	s_waitcnt lgkmcnt(1)
	v_mul_f32_e32 v39, v36, v24
	v_mul_f32_e32 v24, v35, v24
	v_fma_f32 v39, v35, v23, -v39
	v_fmac_f32_e32 v24, v36, v23
	v_mul_f32_e32 v23, v36, v26
	v_fma_f32 v47, v35, v25, -v23
	v_mul_f32_e32 v35, v35, v26
	v_add_f32_e32 v15, v15, v39
	v_add_f32_e32 v16, v16, v24
	v_fmac_f32_e32 v35, v36, v25
	ds_read2_b64 v[23:26], v13 offset0:32 offset1:48
	ds_read_b128 v[39:42], v14 offset:32
	ds_read_b128 v[43:46], v14 offset:48
	v_add_f32_e32 v36, v17, v47
	v_add_f32_e32 v35, v18, v35
	s_waitcnt lgkmcnt(2)
	v_mul_f32_e32 v17, v30, v24
	v_fma_f32 v17, v29, v23, -v17
	v_mul_f32_e32 v18, v29, v24
	v_fmac_f32_e32 v18, v30, v23
	v_add_f32_e32 v7, v7, v17
	v_mul_f32_e32 v17, v30, v26
	v_add_f32_e32 v8, v8, v18
	v_fma_f32 v17, v29, v25, -v17
	v_mul_f32_e32 v18, v29, v26
	v_fmac_f32_e32 v18, v30, v25
	v_add_f32_e32 v27, v27, v17
	v_mul_f32_e32 v17, v38, v24
	v_add_f32_e32 v28, v28, v18
	;; [unrolled: 6-line block ×3, first 2 shown]
	v_fma_f32 v29, v37, v25, -v15
	ds_read2_b64 v[15:18], v13 offset0:64 offset1:80
	v_mul_f32_e32 v26, v37, v26
	v_fmac_f32_e32 v26, v38, v25
	v_add_f32_e32 v30, v35, v26
	v_add_f32_e32 v29, v36, v29
	s_waitcnt lgkmcnt(0)
	v_mul_f32_e32 v25, v32, v16
	v_fma_f32 v25, v31, v15, -v25
	v_add_f32_e32 v7, v7, v25
	v_mul_f32_e32 v25, v32, v18
	v_mul_f32_e32 v26, v31, v16
	v_fma_f32 v25, v31, v17, -v25
	v_fmac_f32_e32 v26, v32, v15
	v_add_f32_e32 v27, v27, v25
	v_mul_f32_e32 v25, v20, v16
	v_add_f32_e32 v8, v8, v26
	v_mul_f32_e32 v26, v31, v18
	v_fma_f32 v25, v19, v15, -v25
	v_mul_f32_e32 v16, v19, v16
	v_fmac_f32_e32 v26, v32, v17
	v_fmac_f32_e32 v16, v20, v15
	v_add_f32_e32 v15, v23, v25
	v_mul_f32_e32 v23, v20, v18
	v_add_f32_e32 v28, v28, v26
	v_add_f32_e32 v16, v24, v16
	v_fma_f32 v31, v19, v17, -v23
	ds_read2_b64 v[23:26], v13 offset0:96 offset1:112
	v_mul_f32_e32 v18, v19, v18
	v_fmac_f32_e32 v18, v20, v17
	v_add_f32_e32 v20, v30, v18
	v_add_f32_e32 v19, v29, v31
	s_waitcnt lgkmcnt(0)
	v_mul_f32_e32 v17, v34, v24
	v_fma_f32 v17, v33, v23, -v17
	v_mul_f32_e32 v18, v33, v24
	v_fmac_f32_e32 v18, v34, v23
	v_add_f32_e32 v7, v7, v17
	v_mul_f32_e32 v17, v34, v26
	v_add_f32_e32 v8, v8, v18
	v_fma_f32 v17, v33, v25, -v17
	v_mul_f32_e32 v18, v33, v26
	v_fmac_f32_e32 v18, v34, v25
	v_add_f32_e32 v27, v27, v17
	v_mul_f32_e32 v17, v22, v24
	v_add_f32_e32 v28, v28, v18
	v_fma_f32 v17, v21, v23, -v17
	v_mul_f32_e32 v18, v21, v24
	v_fmac_f32_e32 v18, v22, v23
	v_add_f32_e32 v29, v15, v17
	v_mul_f32_e32 v15, v22, v26
	v_add_f32_e32 v30, v16, v18
	v_fma_f32 v23, v21, v25, -v15
	ds_read2_b64 v[15:18], v13 offset0:128 offset1:144
	v_mul_f32_e32 v21, v21, v26
	v_fmac_f32_e32 v21, v22, v25
	v_add_f32_e32 v31, v19, v23
	v_add_f32_e32 v32, v20, v21
	s_waitcnt lgkmcnt(0)
	v_mul_f32_e32 v19, v40, v16
	v_fma_f32 v19, v39, v15, -v19
	v_mul_f32_e32 v20, v39, v16
	v_fmac_f32_e32 v20, v40, v15
	v_add_f32_e32 v7, v7, v19
	v_mul_f32_e32 v19, v40, v18
	v_add_f32_e32 v8, v8, v20
	v_fma_f32 v23, v39, v17, -v19
	ds_read_b128 v[19:22], v14 offset:1056
	v_mul_f32_e32 v24, v39, v18
	v_fmac_f32_e32 v24, v40, v17
	v_add_f32_e32 v33, v27, v23
	v_add_f32_e32 v34, v28, v24
	ds_read_b128 v[23:26], v14 offset:1072
	s_waitcnt lgkmcnt(1)
	v_mul_f32_e32 v27, v20, v16
	v_fma_f32 v27, v19, v15, -v27
	v_mul_f32_e32 v16, v19, v16
	v_fmac_f32_e32 v16, v20, v15
	v_add_f32_e32 v15, v29, v27
	v_mul_f32_e32 v27, v20, v18
	v_add_f32_e32 v16, v30, v16
	v_fma_f32 v35, v19, v17, -v27
	ds_read2_b64 v[27:30], v13 offset0:160 offset1:176
	v_mul_f32_e32 v18, v19, v18
	v_fmac_f32_e32 v18, v20, v17
	v_add_f32_e32 v20, v32, v18
	v_add_f32_e32 v19, v31, v35
	s_waitcnt lgkmcnt(0)
	v_mul_f32_e32 v17, v42, v28
	v_fma_f32 v17, v41, v27, -v17
	v_mul_f32_e32 v18, v41, v28
	v_fmac_f32_e32 v18, v42, v27
	v_add_f32_e32 v7, v7, v17
	v_mul_f32_e32 v17, v42, v30
	v_add_f32_e32 v8, v8, v18
	v_fma_f32 v17, v41, v29, -v17
	v_mul_f32_e32 v18, v41, v30
	v_fmac_f32_e32 v18, v42, v29
	v_add_f32_e32 v31, v33, v17
	v_mul_f32_e32 v17, v22, v28
	v_add_f32_e32 v32, v34, v18
	;; [unrolled: 6-line block ×3, first 2 shown]
	v_fma_f32 v33, v21, v29, -v15
	ds_read2_b64 v[15:18], v13 offset0:192 offset1:208
	v_mul_f32_e32 v21, v21, v30
	v_fmac_f32_e32 v21, v22, v29
	v_add_f32_e32 v20, v20, v21
	v_add_f32_e32 v19, v19, v33
	s_waitcnt lgkmcnt(0)
	v_mul_f32_e32 v21, v44, v16
	v_fma_f32 v21, v43, v15, -v21
	v_add_f32_e32 v7, v7, v21
	v_mul_f32_e32 v21, v44, v18
	v_fma_f32 v21, v43, v17, -v21
	v_mul_f32_e32 v22, v43, v16
	v_add_f32_e32 v31, v31, v21
	v_mul_f32_e32 v21, v24, v16
	v_mul_f32_e32 v16, v23, v16
	v_fma_f32 v21, v23, v15, -v21
	v_fmac_f32_e32 v16, v24, v15
	v_fmac_f32_e32 v22, v44, v15
	v_add_f32_e32 v15, v27, v21
	v_add_f32_e32 v16, v28, v16
	ds_read2_b64 v[27:30], v13 offset0:224 offset1:240
	v_add_f32_e32 v8, v8, v22
	v_mul_f32_e32 v22, v43, v18
	v_mul_f32_e32 v21, v24, v18
	v_mul_f32_e32 v18, v23, v18
	v_fma_f32 v21, v23, v17, -v21
	v_fmac_f32_e32 v18, v24, v17
	v_fmac_f32_e32 v22, v44, v17
	v_add_f32_e32 v17, v19, v21
	v_add_f32_e32 v18, v20, v18
	s_waitcnt lgkmcnt(0)
	v_mul_f32_e32 v19, v46, v28
	v_mul_f32_e32 v20, v45, v28
	v_fma_f32 v19, v45, v27, -v19
	v_fmac_f32_e32 v20, v46, v27
	v_add_f32_e32 v32, v32, v22
	v_add_f32_e32 v21, v7, v19
	;; [unrolled: 1-line block ×3, first 2 shown]
	v_mul_f32_e32 v7, v46, v30
	v_mul_f32_e32 v8, v45, v30
	v_fma_f32 v7, v45, v29, -v7
	v_fmac_f32_e32 v8, v46, v29
	v_add_f32_e32 v19, v31, v7
	v_add_f32_e32 v20, v32, v8
	v_mul_f32_e32 v7, v26, v28
	v_mul_f32_e32 v8, v25, v28
	v_fma_f32 v7, v25, v27, -v7
	v_fmac_f32_e32 v8, v26, v27
	v_add_f32_e32 v15, v15, v7
	v_add_f32_e32 v16, v16, v8
	v_mul_f32_e32 v7, v26, v30
	v_mul_f32_e32 v8, v25, v30
	v_addc_co_u32_e64 v3, s[0:1], 0, v3, s[0:1]
	v_fma_f32 v7, v25, v29, -v7
	v_fmac_f32_e32 v8, v26, v29
	s_add_i32 s9, s9, 8
	v_add_co_u32_e64 v4, s[0:1], 64, v4
	v_add_f32_e32 v17, v17, v7
	v_add_f32_e32 v18, v18, v8
	s_cmp_ge_i32 s9, s11
	v_addc_co_u32_e64 v5, s[0:1], 0, v5, s[0:1]
	s_barrier
	s_cbranch_scc1 .LBB226_10
.LBB226_3:                              ; =>This Inner Loop Header: Depth=1
	v_add_u32_e32 v7, s9, v10
	v_cmp_gt_i32_e64 s[0:1], s11, v7
	s_and_b64 s[12:13], vcc, s[0:1]
	v_mov_b32_e32 v7, 0
	v_mov_b32_e32 v8, 0
	s_and_saveexec_b64 s[0:1], s[12:13]
	s_cbranch_execz .LBB226_5
; %bb.4:                                ;   in Loop: Header=BB226_3 Depth=1
	global_load_dwordx2 v[7:8], v[2:3], off offset:-4
.LBB226_5:                              ;   in Loop: Header=BB226_3 Depth=1
	s_or_b64 exec, exec, s[0:1]
	s_waitcnt vmcnt(0)
	ds_write_b64 v11, v[7:8]
	v_add_u32_e32 v7, s9, v9
	v_cmp_le_i32_e64 s[0:1], s11, v7
	s_or_b64 s[0:1], s[0:1], s[2:3]
	s_and_saveexec_b64 s[12:13], s[0:1]
	s_xor_b64 s[0:1], exec, s[12:13]
; %bb.6:                                ;   in Loop: Header=BB226_3 Depth=1
	v_mov_b32_e32 v7, v6
	ds_write_b64 v12, v[6:7]
; %bb.7:                                ;   in Loop: Header=BB226_3 Depth=1
	s_andn2_saveexec_b64 s[0:1], s[0:1]
	s_cbranch_execz .LBB226_2
; %bb.8:                                ;   in Loop: Header=BB226_3 Depth=1
	global_load_dwordx2 v[7:8], v[4:5], off
	s_waitcnt vmcnt(0)
	ds_write_b64 v12, v[7:8]
	s_branch .LBB226_2
.LBB226_9:
	v_mov_b32_e32 v21, 0
	v_mov_b32_e32 v22, 0
	;; [unrolled: 1-line block ×8, first 2 shown]
.LBB226_10:
	s_load_dwordx2 s[0:1], s[4:5], 0x58
	s_load_dword s9, s[4:5], 0x50
	v_add_u32_e32 v4, s7, v1
	v_add_u32_e32 v0, s6, v0
	v_cmp_gt_i32_e32 vcc, s10, v4
	s_waitcnt lgkmcnt(0)
	s_mul_i32 s1, s1, s8
	s_mul_hi_u32 s2, s0, s8
	s_add_i32 s1, s2, s1
	v_mad_i64_i32 v[1:2], s[2:3], v4, s9, 0
	s_mul_i32 s0, s0, s8
	s_lshl_b64 s[0:1], s[0:1], 3
	s_add_u32 s4, s24, s0
	v_lshlrev_b64 v[1:2], 3, v[1:2]
	s_addc_u32 s5, s25, s1
	v_mov_b32_e32 v3, s5
	v_add_co_u32_e64 v5, s[0:1], s4, v1
	v_addc_co_u32_e64 v6, s[0:1], v3, v2, s[0:1]
	v_cmp_le_i32_e64 s[0:1], v0, v4
	s_and_b64 s[0:1], vcc, s[0:1]
	s_and_saveexec_b64 s[2:3], s[0:1]
	s_cbranch_execz .LBB226_12
; %bb.11:
	v_ashrrev_i32_e32 v1, 31, v0
	v_lshlrev_b64 v[1:2], 3, v[0:1]
	v_mul_f32_e32 v3, s17, v22
	v_add_co_u32_e64 v1, s[0:1], v5, v1
	v_addc_co_u32_e64 v2, s[0:1], v6, v2, s[0:1]
	global_load_dwordx2 v[7:8], v[1:2], off
	v_mul_f32_e32 v9, s16, v22
	v_fma_f32 v3, v21, s16, -v3
	v_fmac_f32_e32 v9, s17, v21
	s_waitcnt vmcnt(0)
	v_mul_f32_e32 v10, s15, v8
	v_mul_f32_e32 v8, s14, v8
	v_fma_f32 v10, v7, s14, -v10
	v_fmac_f32_e32 v8, s15, v7
	v_add_f32_e32 v7, v3, v10
	v_add_f32_e32 v8, v9, v8
	global_store_dwordx2 v[1:2], v[7:8], off
.LBB226_12:
	s_or_b64 exec, exec, s[2:3]
	v_add_u32_e32 v2, 16, v0
	v_cmp_le_i32_e64 s[0:1], v2, v4
	s_and_b64 s[2:3], vcc, s[0:1]
	s_and_saveexec_b64 s[0:1], s[2:3]
	s_cbranch_execz .LBB226_14
; %bb.13:
	v_ashrrev_i32_e32 v3, 31, v2
	v_lshlrev_b64 v[7:8], 3, v[2:3]
	v_mul_f32_e32 v1, s17, v20
	v_add_co_u32_e32 v5, vcc, v5, v7
	v_addc_co_u32_e32 v6, vcc, v6, v8, vcc
	global_load_dwordx2 v[7:8], v[5:6], off
	v_mul_f32_e32 v3, s16, v20
	v_fma_f32 v1, v19, s16, -v1
	v_fmac_f32_e32 v3, s17, v19
	s_waitcnt vmcnt(0)
	v_mul_f32_e32 v9, s15, v8
	v_mul_f32_e32 v8, s14, v8
	v_fma_f32 v9, v7, s14, -v9
	v_fmac_f32_e32 v8, s15, v7
	v_add_f32_e32 v7, v1, v9
	v_add_f32_e32 v8, v3, v8
	global_store_dwordx2 v[5:6], v[7:8], off
.LBB226_14:
	s_or_b64 exec, exec, s[0:1]
	v_add_u32_e32 v3, 16, v4
	v_mad_i64_i32 v[4:5], s[0:1], v3, s9, 0
	v_mov_b32_e32 v1, s5
	v_cmp_gt_i32_e32 vcc, s10, v3
	v_lshlrev_b64 v[4:5], 3, v[4:5]
	v_add_co_u32_e64 v4, s[0:1], s4, v4
	v_addc_co_u32_e64 v5, s[0:1], v1, v5, s[0:1]
	v_cmp_le_i32_e64 s[0:1], v0, v3
	s_and_b64 s[0:1], vcc, s[0:1]
	s_and_saveexec_b64 s[2:3], s[0:1]
	s_cbranch_execz .LBB226_16
; %bb.15:
	v_ashrrev_i32_e32 v1, 31, v0
	v_lshlrev_b64 v[0:1], 3, v[0:1]
	v_mul_f32_e32 v8, s17, v16
	v_add_co_u32_e64 v0, s[0:1], v4, v0
	v_addc_co_u32_e64 v1, s[0:1], v5, v1, s[0:1]
	global_load_dwordx2 v[6:7], v[0:1], off
	v_mul_f32_e32 v9, s16, v16
	v_fma_f32 v8, v15, s16, -v8
	v_fmac_f32_e32 v9, s17, v15
	s_waitcnt vmcnt(0)
	v_mul_f32_e32 v10, s15, v7
	v_mul_f32_e32 v7, s14, v7
	v_fma_f32 v10, v6, s14, -v10
	v_fmac_f32_e32 v7, s15, v6
	v_add_f32_e32 v6, v8, v10
	v_add_f32_e32 v7, v9, v7
	global_store_dwordx2 v[0:1], v[6:7], off
.LBB226_16:
	s_or_b64 exec, exec, s[2:3]
	v_cmp_le_i32_e64 s[0:1], v2, v3
	s_and_b64 s[0:1], vcc, s[0:1]
	s_and_saveexec_b64 s[2:3], s[0:1]
	s_cbranch_execz .LBB226_18
; %bb.17:
	v_ashrrev_i32_e32 v3, 31, v2
	v_lshlrev_b64 v[0:1], 3, v[2:3]
	v_add_co_u32_e32 v0, vcc, v4, v0
	v_addc_co_u32_e32 v1, vcc, v5, v1, vcc
	global_load_dwordx2 v[2:3], v[0:1], off
	v_mul_f32_e32 v4, s17, v18
	v_mul_f32_e32 v5, s16, v18
	v_fma_f32 v4, v17, s16, -v4
	v_fmac_f32_e32 v5, s17, v17
	s_waitcnt vmcnt(0)
	v_mul_f32_e32 v6, s15, v3
	v_mul_f32_e32 v3, s14, v3
	v_fma_f32 v6, v2, s14, -v6
	v_fmac_f32_e32 v3, s15, v2
	v_add_f32_e32 v2, v4, v6
	v_add_f32_e32 v3, v5, v3
	global_store_dwordx2 v[0:1], v[2:3], off
.LBB226_18:
	s_endpgm
	.section	.rodata,"a",@progbits
	.p2align	6, 0x0
	.amdhsa_kernel _ZL34rocblas_syrkx_herkx_general_kernelIi19rocblas_complex_numIfELi16ELi32ELi8ELb0ELb0ELc67ELc85EKS1_S1_EviT_T0_PT8_S3_lS6_S3_lS4_PT9_S3_li
		.amdhsa_group_segment_fixed_size 4096
		.amdhsa_private_segment_fixed_size 0
		.amdhsa_kernarg_size 100
		.amdhsa_user_sgpr_count 6
		.amdhsa_user_sgpr_private_segment_buffer 1
		.amdhsa_user_sgpr_dispatch_ptr 0
		.amdhsa_user_sgpr_queue_ptr 0
		.amdhsa_user_sgpr_kernarg_segment_ptr 1
		.amdhsa_user_sgpr_dispatch_id 0
		.amdhsa_user_sgpr_flat_scratch_init 0
		.amdhsa_user_sgpr_private_segment_size 0
		.amdhsa_uses_dynamic_stack 0
		.amdhsa_system_sgpr_private_segment_wavefront_offset 0
		.amdhsa_system_sgpr_workgroup_id_x 1
		.amdhsa_system_sgpr_workgroup_id_y 1
		.amdhsa_system_sgpr_workgroup_id_z 1
		.amdhsa_system_sgpr_workgroup_info 0
		.amdhsa_system_vgpr_workitem_id 1
		.amdhsa_next_free_vgpr 48
		.amdhsa_next_free_sgpr 27
		.amdhsa_reserve_vcc 1
		.amdhsa_reserve_flat_scratch 0
		.amdhsa_float_round_mode_32 0
		.amdhsa_float_round_mode_16_64 0
		.amdhsa_float_denorm_mode_32 3
		.amdhsa_float_denorm_mode_16_64 3
		.amdhsa_dx10_clamp 1
		.amdhsa_ieee_mode 1
		.amdhsa_fp16_overflow 0
		.amdhsa_exception_fp_ieee_invalid_op 0
		.amdhsa_exception_fp_denorm_src 0
		.amdhsa_exception_fp_ieee_div_zero 0
		.amdhsa_exception_fp_ieee_overflow 0
		.amdhsa_exception_fp_ieee_underflow 0
		.amdhsa_exception_fp_ieee_inexact 0
		.amdhsa_exception_int_div_zero 0
	.end_amdhsa_kernel
	.section	.text._ZL34rocblas_syrkx_herkx_general_kernelIi19rocblas_complex_numIfELi16ELi32ELi8ELb0ELb0ELc67ELc85EKS1_S1_EviT_T0_PT8_S3_lS6_S3_lS4_PT9_S3_li,"axG",@progbits,_ZL34rocblas_syrkx_herkx_general_kernelIi19rocblas_complex_numIfELi16ELi32ELi8ELb0ELb0ELc67ELc85EKS1_S1_EviT_T0_PT8_S3_lS6_S3_lS4_PT9_S3_li,comdat
.Lfunc_end226:
	.size	_ZL34rocblas_syrkx_herkx_general_kernelIi19rocblas_complex_numIfELi16ELi32ELi8ELb0ELb0ELc67ELc85EKS1_S1_EviT_T0_PT8_S3_lS6_S3_lS4_PT9_S3_li, .Lfunc_end226-_ZL34rocblas_syrkx_herkx_general_kernelIi19rocblas_complex_numIfELi16ELi32ELi8ELb0ELb0ELc67ELc85EKS1_S1_EviT_T0_PT8_S3_lS6_S3_lS4_PT9_S3_li
                                        ; -- End function
	.set _ZL34rocblas_syrkx_herkx_general_kernelIi19rocblas_complex_numIfELi16ELi32ELi8ELb0ELb0ELc67ELc85EKS1_S1_EviT_T0_PT8_S3_lS6_S3_lS4_PT9_S3_li.num_vgpr, 48
	.set _ZL34rocblas_syrkx_herkx_general_kernelIi19rocblas_complex_numIfELi16ELi32ELi8ELb0ELb0ELc67ELc85EKS1_S1_EviT_T0_PT8_S3_lS6_S3_lS4_PT9_S3_li.num_agpr, 0
	.set _ZL34rocblas_syrkx_herkx_general_kernelIi19rocblas_complex_numIfELi16ELi32ELi8ELb0ELb0ELc67ELc85EKS1_S1_EviT_T0_PT8_S3_lS6_S3_lS4_PT9_S3_li.numbered_sgpr, 27
	.set _ZL34rocblas_syrkx_herkx_general_kernelIi19rocblas_complex_numIfELi16ELi32ELi8ELb0ELb0ELc67ELc85EKS1_S1_EviT_T0_PT8_S3_lS6_S3_lS4_PT9_S3_li.num_named_barrier, 0
	.set _ZL34rocblas_syrkx_herkx_general_kernelIi19rocblas_complex_numIfELi16ELi32ELi8ELb0ELb0ELc67ELc85EKS1_S1_EviT_T0_PT8_S3_lS6_S3_lS4_PT9_S3_li.private_seg_size, 0
	.set _ZL34rocblas_syrkx_herkx_general_kernelIi19rocblas_complex_numIfELi16ELi32ELi8ELb0ELb0ELc67ELc85EKS1_S1_EviT_T0_PT8_S3_lS6_S3_lS4_PT9_S3_li.uses_vcc, 1
	.set _ZL34rocblas_syrkx_herkx_general_kernelIi19rocblas_complex_numIfELi16ELi32ELi8ELb0ELb0ELc67ELc85EKS1_S1_EviT_T0_PT8_S3_lS6_S3_lS4_PT9_S3_li.uses_flat_scratch, 0
	.set _ZL34rocblas_syrkx_herkx_general_kernelIi19rocblas_complex_numIfELi16ELi32ELi8ELb0ELb0ELc67ELc85EKS1_S1_EviT_T0_PT8_S3_lS6_S3_lS4_PT9_S3_li.has_dyn_sized_stack, 0
	.set _ZL34rocblas_syrkx_herkx_general_kernelIi19rocblas_complex_numIfELi16ELi32ELi8ELb0ELb0ELc67ELc85EKS1_S1_EviT_T0_PT8_S3_lS6_S3_lS4_PT9_S3_li.has_recursion, 0
	.set _ZL34rocblas_syrkx_herkx_general_kernelIi19rocblas_complex_numIfELi16ELi32ELi8ELb0ELb0ELc67ELc85EKS1_S1_EviT_T0_PT8_S3_lS6_S3_lS4_PT9_S3_li.has_indirect_call, 0
	.section	.AMDGPU.csdata,"",@progbits
; Kernel info:
; codeLenInByte = 2320
; TotalNumSgprs: 31
; NumVgprs: 48
; ScratchSize: 0
; MemoryBound: 1
; FloatMode: 240
; IeeeMode: 1
; LDSByteSize: 4096 bytes/workgroup (compile time only)
; SGPRBlocks: 3
; VGPRBlocks: 11
; NumSGPRsForWavesPerEU: 31
; NumVGPRsForWavesPerEU: 48
; Occupancy: 5
; WaveLimiterHint : 0
; COMPUTE_PGM_RSRC2:SCRATCH_EN: 0
; COMPUTE_PGM_RSRC2:USER_SGPR: 6
; COMPUTE_PGM_RSRC2:TRAP_HANDLER: 0
; COMPUTE_PGM_RSRC2:TGID_X_EN: 1
; COMPUTE_PGM_RSRC2:TGID_Y_EN: 1
; COMPUTE_PGM_RSRC2:TGID_Z_EN: 1
; COMPUTE_PGM_RSRC2:TIDIG_COMP_CNT: 1
	.section	.text._ZL34rocblas_syrkx_herkx_general_kernelIi19rocblas_complex_numIfELi16ELi32ELi8ELb0ELb0ELc78ELc85EKS1_S1_EviT_T0_PT8_S3_lS6_S3_lS4_PT9_S3_li,"axG",@progbits,_ZL34rocblas_syrkx_herkx_general_kernelIi19rocblas_complex_numIfELi16ELi32ELi8ELb0ELb0ELc78ELc85EKS1_S1_EviT_T0_PT8_S3_lS6_S3_lS4_PT9_S3_li,comdat
	.globl	_ZL34rocblas_syrkx_herkx_general_kernelIi19rocblas_complex_numIfELi16ELi32ELi8ELb0ELb0ELc78ELc85EKS1_S1_EviT_T0_PT8_S3_lS6_S3_lS4_PT9_S3_li ; -- Begin function _ZL34rocblas_syrkx_herkx_general_kernelIi19rocblas_complex_numIfELi16ELi32ELi8ELb0ELb0ELc78ELc85EKS1_S1_EviT_T0_PT8_S3_lS6_S3_lS4_PT9_S3_li
	.p2align	8
	.type	_ZL34rocblas_syrkx_herkx_general_kernelIi19rocblas_complex_numIfELi16ELi32ELi8ELb0ELb0ELc78ELc85EKS1_S1_EviT_T0_PT8_S3_lS6_S3_lS4_PT9_S3_li,@function
_ZL34rocblas_syrkx_herkx_general_kernelIi19rocblas_complex_numIfELi16ELi32ELi8ELb0ELb0ELc78ELc85EKS1_S1_EviT_T0_PT8_S3_lS6_S3_lS4_PT9_S3_li: ; @_ZL34rocblas_syrkx_herkx_general_kernelIi19rocblas_complex_numIfELi16ELi32ELi8ELb0ELb0ELc78ELc85EKS1_S1_EviT_T0_PT8_S3_lS6_S3_lS4_PT9_S3_li
; %bb.0:
	s_load_dwordx2 s[10:11], s[4:5], 0x0
	s_load_dwordx4 s[16:19], s[4:5], 0x8
	s_load_dwordx4 s[12:15], s[4:5], 0x38
	s_load_dwordx2 s[24:25], s[4:5], 0x48
	s_lshl_b32 s9, s6, 5
	s_lshl_b32 s26, s7, 5
	s_waitcnt lgkmcnt(0)
	s_cmp_lt_i32 s11, 1
	s_mov_b32 s27, 0
	s_cbranch_scc1 .LBB227_9
; %bb.1:
	v_lshl_add_u32 v2, v1, 4, v0
	v_and_b32_e32 v6, 31, v2
	v_lshrrev_b32_e32 v10, 5, v2
	v_lshrrev_b32_e32 v3, 3, v2
	v_or_b32_e32 v2, s9, v6
	s_load_dword s6, s[4:5], 0x18
	s_load_dword s28, s[4:5], 0x30
	s_load_dwordx4 s[20:23], s[4:5], 0x20
	v_and_b32_e32 v9, 7, v0
	v_cmp_gt_i32_e64 s[0:1], s10, v2
	v_lshlrev_b32_e32 v2, 3, v6
	v_lshl_or_b32 v11, v10, 8, v2
	v_lshlrev_b32_e32 v2, 3, v9
	v_lshl_or_b32 v2, v3, 6, v2
	v_add_u32_e32 v4, s26, v3
	v_add_u32_e32 v12, 0x800, v2
	s_waitcnt lgkmcnt(0)
	v_mad_i64_i32 v[2:3], s[2:3], v10, s6, 0
	s_mul_i32 s2, s21, s8
	s_mul_hi_u32 s3, s20, s8
	v_lshlrev_b64 v[2:3], 3, v[2:3]
	s_add_i32 s3, s3, s2
	s_mul_i32 s2, s20, s8
	v_mov_b32_e32 v7, 0x800
	s_lshl_b64 s[2:3], s[2:3], 3
	v_lshl_add_u32 v14, v1, 6, v7
	v_mov_b32_e32 v7, s3
	v_add_co_u32_e64 v8, s[2:3], s2, v2
	v_add_u32_e32 v2, s9, v6
	v_addc_co_u32_e64 v7, s[2:3], v3, v7, s[2:3]
	v_ashrrev_i32_e32 v3, 31, v2
	v_lshlrev_b64 v[2:3], 3, v[2:3]
	v_mov_b32_e32 v6, s19
	v_add_co_u32_e64 v2, s[2:3], v8, v2
	v_addc_co_u32_e64 v3, s[2:3], v7, v3, s[2:3]
	v_add_co_u32_e64 v2, s[2:3], s18, v2
	v_addc_co_u32_e64 v3, s[2:3], v6, v3, s[2:3]
	v_mad_i64_i32 v[6:7], s[2:3], s28, v9, 0
	s_mul_i32 s13, s13, s8
	s_mul_hi_u32 s18, s12, s8
	s_add_i32 s3, s18, s13
	s_mul_i32 s2, s12, s8
	v_lshlrev_b64 v[6:7], 3, v[6:7]
	v_ashrrev_i32_e32 v5, 31, v4
	s_lshl_b64 s[2:3], s[2:3], 3
	v_cmp_gt_i32_e32 vcc, s10, v4
	v_mov_b32_e32 v8, s3
	v_add_co_u32_e64 v6, s[2:3], s2, v6
	v_lshlrev_b64 v[4:5], 3, v[4:5]
	v_addc_co_u32_e64 v7, s[2:3], v8, v7, s[2:3]
	v_add_co_u32_e64 v4, s[2:3], v6, v4
	v_addc_co_u32_e64 v5, s[2:3], v7, v5, s[2:3]
	v_mov_b32_e32 v6, s23
	v_add_co_u32_e64 v4, s[2:3], s22, v4
	v_addc_co_u32_e64 v5, s[2:3], v6, v5, s[2:3]
	v_add_co_u32_e64 v4, s[2:3], 4, v4
	s_ashr_i32 s7, s6, 31
	s_ashr_i32 s29, s28, 31
	v_addc_co_u32_e64 v5, s[2:3], 0, v5, s[2:3]
	s_lshl_b64 s[6:7], s[6:7], 6
	s_lshl_b64 s[2:3], s[28:29], 6
	v_lshlrev_b32_e32 v13, 3, v0
	s_xor_b64 s[12:13], s[0:1], -1
	v_mov_b32_e32 v15, s7
	v_mov_b32_e32 v16, s3
	;; [unrolled: 1-line block ×11, first 2 shown]
	s_branch .LBB227_3
.LBB227_2:                              ;   in Loop: Header=BB227_3 Depth=1
	s_or_b64 exec, exec, s[0:1]
	s_waitcnt vmcnt(0)
	ds_write_b64 v12, v[7:8]
	s_waitcnt lgkmcnt(0)
	s_barrier
	ds_read2_b64 v[25:28], v13 offset1:16
	ds_read_b128 v[29:32], v14
	ds_read_b128 v[33:36], v14 offset:16
	ds_read_b128 v[37:40], v14 offset:1024
	ds_read2_b64 v[41:44], v13 offset0:32 offset1:48
	v_add_co_u32_e64 v2, s[0:1], s6, v2
	s_waitcnt lgkmcnt(3)
	v_mul_f32_e32 v7, v30, v26
	v_mul_f32_e32 v8, v29, v26
	v_fma_f32 v7, v29, v25, -v7
	v_fmac_f32_e32 v8, v30, v25
	v_add_f32_e32 v7, v21, v7
	v_add_f32_e32 v8, v22, v8
	v_mul_f32_e32 v21, v30, v28
	v_mul_f32_e32 v22, v29, v28
	v_fma_f32 v21, v29, v27, -v21
	v_fmac_f32_e32 v22, v30, v27
	v_add_f32_e32 v45, v23, v21
	v_add_f32_e32 v46, v24, v22
	ds_read_b128 v[21:24], v14 offset:1040
	s_waitcnt lgkmcnt(2)
	v_mul_f32_e32 v29, v38, v26
	v_fma_f32 v29, v37, v25, -v29
	v_mul_f32_e32 v47, v37, v26
	v_add_f32_e32 v48, v18, v29
	v_mul_f32_e32 v18, v38, v28
	v_fmac_f32_e32 v47, v38, v25
	v_fma_f32 v18, v37, v27, -v18
	v_mul_f32_e32 v37, v37, v28
	s_waitcnt lgkmcnt(1)
	v_mul_f32_e32 v25, v32, v42
	v_fmac_f32_e32 v37, v38, v27
	v_fma_f32 v38, v31, v41, -v25
	v_mul_f32_e32 v25, v32, v44
	v_fma_f32 v50, v31, v43, -v25
	v_mul_f32_e32 v25, v40, v42
	v_mul_f32_e32 v49, v31, v42
	v_fma_f32 v52, v39, v41, -v25
	v_mul_f32_e32 v42, v39, v42
	v_mul_f32_e32 v25, v40, v44
	v_fmac_f32_e32 v49, v32, v41
	v_mul_f32_e32 v51, v31, v44
	v_fmac_f32_e32 v42, v40, v41
	v_fma_f32 v41, v39, v43, -v25
	v_mul_f32_e32 v39, v39, v44
	v_fmac_f32_e32 v51, v32, v43
	v_fmac_f32_e32 v39, v40, v43
	ds_read_b128 v[25:28], v14 offset:32
	ds_read_b128 v[29:32], v14 offset:48
	v_add_f32_e32 v40, v17, v47
	v_add_f32_e32 v43, v19, v18
	;; [unrolled: 1-line block ×3, first 2 shown]
	ds_read2_b64 v[17:20], v13 offset0:64 offset1:80
	v_add_f32_e32 v40, v40, v42
	v_add_f32_e32 v42, v37, v39
	;; [unrolled: 1-line block ×4, first 2 shown]
	s_waitcnt lgkmcnt(0)
	v_mul_f32_e32 v37, v34, v18
	v_fma_f32 v37, v33, v17, -v37
	v_add_f32_e32 v7, v7, v37
	v_mul_f32_e32 v37, v34, v20
	v_mul_f32_e32 v39, v33, v18
	v_fma_f32 v37, v33, v19, -v37
	v_mul_f32_e32 v33, v33, v20
	v_fmac_f32_e32 v39, v34, v17
	v_fmac_f32_e32 v33, v34, v19
	v_add_f32_e32 v34, v38, v37
	v_mul_f32_e32 v37, v22, v18
	v_add_f32_e32 v45, v48, v52
	v_fma_f32 v37, v21, v17, -v37
	v_mul_f32_e32 v18, v21, v18
	v_add_f32_e32 v8, v8, v49
	v_fmac_f32_e32 v18, v22, v17
	v_add_f32_e32 v17, v45, v37
	v_mul_f32_e32 v37, v22, v20
	v_add_f32_e32 v41, v43, v41
	v_add_f32_e32 v8, v8, v39
	;; [unrolled: 1-line block ×3, first 2 shown]
	v_fma_f32 v43, v21, v19, -v37
	ds_read2_b64 v[37:40], v13 offset0:96 offset1:112
	v_mul_f32_e32 v20, v21, v20
	v_fmac_f32_e32 v20, v22, v19
	v_add_f32_e32 v22, v42, v20
	v_add_f32_e32 v44, v46, v51
	s_waitcnt lgkmcnt(0)
	v_mul_f32_e32 v19, v36, v38
	v_fma_f32 v19, v35, v37, -v19
	v_mul_f32_e32 v20, v35, v38
	v_fmac_f32_e32 v20, v36, v37
	v_add_f32_e32 v7, v7, v19
	v_mul_f32_e32 v19, v36, v40
	v_add_f32_e32 v8, v8, v20
	v_fma_f32 v19, v35, v39, -v19
	v_mul_f32_e32 v20, v35, v40
	v_add_f32_e32 v33, v44, v33
	v_fmac_f32_e32 v20, v36, v39
	v_add_f32_e32 v34, v34, v19
	v_mul_f32_e32 v19, v24, v38
	v_add_f32_e32 v33, v33, v20
	v_fma_f32 v19, v23, v37, -v19
	v_mul_f32_e32 v20, v23, v38
	v_fmac_f32_e32 v20, v24, v37
	v_add_f32_e32 v37, v17, v19
	v_mul_f32_e32 v17, v24, v40
	v_add_f32_e32 v38, v18, v20
	v_fma_f32 v35, v23, v39, -v17
	ds_read2_b64 v[17:20], v13 offset0:128 offset1:144
	v_add_f32_e32 v21, v41, v43
	v_mul_f32_e32 v23, v23, v40
	v_fmac_f32_e32 v23, v24, v39
	v_add_f32_e32 v41, v21, v35
	s_waitcnt lgkmcnt(0)
	v_mul_f32_e32 v21, v26, v18
	v_add_f32_e32 v42, v22, v23
	v_fma_f32 v21, v25, v17, -v21
	v_mul_f32_e32 v22, v25, v18
	v_fmac_f32_e32 v22, v26, v17
	v_add_f32_e32 v7, v7, v21
	v_mul_f32_e32 v21, v26, v20
	v_add_f32_e32 v8, v8, v22
	v_fma_f32 v35, v25, v19, -v21
	ds_read_b128 v[21:24], v14 offset:1056
	v_mul_f32_e32 v25, v25, v20
	v_fmac_f32_e32 v25, v26, v19
	v_add_f32_e32 v26, v34, v35
	v_add_f32_e32 v25, v33, v25
	ds_read_b128 v[33:36], v14 offset:1072
	s_waitcnt lgkmcnt(1)
	v_mul_f32_e32 v39, v22, v18
	v_fma_f32 v39, v21, v17, -v39
	v_mul_f32_e32 v18, v21, v18
	v_fmac_f32_e32 v18, v22, v17
	v_add_f32_e32 v17, v37, v39
	v_mul_f32_e32 v37, v22, v20
	v_add_f32_e32 v18, v38, v18
	v_fma_f32 v43, v21, v19, -v37
	ds_read2_b64 v[37:40], v13 offset0:160 offset1:176
	v_mul_f32_e32 v20, v21, v20
	v_fmac_f32_e32 v20, v22, v19
	v_add_f32_e32 v22, v42, v20
	v_add_f32_e32 v21, v41, v43
	s_waitcnt lgkmcnt(0)
	v_mul_f32_e32 v19, v28, v38
	v_fma_f32 v19, v27, v37, -v19
	v_mul_f32_e32 v20, v27, v38
	v_fmac_f32_e32 v20, v28, v37
	v_add_f32_e32 v7, v7, v19
	v_mul_f32_e32 v19, v28, v40
	v_add_f32_e32 v8, v8, v20
	v_fma_f32 v19, v27, v39, -v19
	v_mul_f32_e32 v20, v27, v40
	v_fmac_f32_e32 v20, v28, v39
	v_add_f32_e32 v26, v26, v19
	v_mul_f32_e32 v19, v24, v38
	v_add_f32_e32 v25, v25, v20
	;; [unrolled: 6-line block ×3, first 2 shown]
	v_fma_f32 v37, v23, v39, -v17
	ds_read2_b64 v[17:20], v13 offset0:192 offset1:208
	v_mul_f32_e32 v23, v23, v40
	v_fmac_f32_e32 v23, v24, v39
	v_add_f32_e32 v22, v22, v23
	v_add_f32_e32 v21, v21, v37
	s_waitcnt lgkmcnt(0)
	v_mul_f32_e32 v24, v29, v18
	v_fmac_f32_e32 v24, v30, v17
	v_mul_f32_e32 v23, v30, v18
	v_add_f32_e32 v8, v8, v24
	v_mul_f32_e32 v24, v29, v20
	v_fma_f32 v23, v29, v17, -v23
	v_fmac_f32_e32 v24, v30, v19
	v_add_f32_e32 v7, v7, v23
	v_mul_f32_e32 v23, v30, v20
	v_add_f32_e32 v24, v25, v24
	v_mul_f32_e32 v25, v34, v18
	v_mul_f32_e32 v18, v33, v18
	v_fma_f32 v23, v29, v19, -v23
	v_fma_f32 v25, v33, v17, -v25
	v_fmac_f32_e32 v18, v34, v17
	v_add_f32_e32 v23, v26, v23
	v_add_f32_e32 v17, v27, v25
	;; [unrolled: 1-line block ×3, first 2 shown]
	ds_read2_b64 v[25:28], v13 offset0:224 offset1:240
	v_mul_f32_e32 v18, v34, v20
	v_mul_f32_e32 v20, v33, v20
	v_fma_f32 v18, v33, v19, -v18
	v_fmac_f32_e32 v20, v34, v19
	v_add_f32_e32 v19, v21, v18
	v_add_f32_e32 v20, v22, v20
	s_waitcnt lgkmcnt(0)
	v_mul_f32_e32 v18, v32, v26
	v_mul_f32_e32 v22, v31, v26
	v_fma_f32 v18, v31, v25, -v18
	v_fmac_f32_e32 v22, v32, v25
	v_add_f32_e32 v21, v7, v18
	v_add_f32_e32 v22, v8, v22
	v_mul_f32_e32 v7, v32, v28
	v_mul_f32_e32 v8, v31, v28
	v_fma_f32 v7, v31, v27, -v7
	v_fmac_f32_e32 v8, v32, v27
	v_add_f32_e32 v23, v23, v7
	v_add_f32_e32 v24, v24, v8
	;; [unrolled: 6-line block ×3, first 2 shown]
	v_mul_f32_e32 v7, v36, v28
	v_mul_f32_e32 v8, v35, v28
	v_addc_co_u32_e64 v3, s[0:1], v3, v15, s[0:1]
	v_fma_f32 v7, v35, v27, -v7
	v_fmac_f32_e32 v8, v36, v27
	s_add_i32 s27, s27, 8
	v_add_co_u32_e64 v4, s[0:1], s2, v4
	v_add_f32_e32 v19, v19, v7
	v_add_f32_e32 v20, v20, v8
	s_cmp_ge_i32 s27, s11
	v_addc_co_u32_e64 v5, s[0:1], v5, v16, s[0:1]
	s_barrier
	s_cbranch_scc1 .LBB227_10
.LBB227_3:                              ; =>This Inner Loop Header: Depth=1
	v_add_u32_e32 v7, s27, v10
	v_cmp_le_i32_e64 s[0:1], s11, v7
	s_or_b64 s[0:1], s[12:13], s[0:1]
	s_and_saveexec_b64 s[18:19], s[0:1]
	s_xor_b64 s[0:1], exec, s[18:19]
; %bb.4:                                ;   in Loop: Header=BB227_3 Depth=1
	v_mov_b32_e32 v7, v6
	ds_write_b64 v11, v[6:7]
; %bb.5:                                ;   in Loop: Header=BB227_3 Depth=1
	s_andn2_saveexec_b64 s[0:1], s[0:1]
	s_cbranch_execz .LBB227_7
; %bb.6:                                ;   in Loop: Header=BB227_3 Depth=1
	global_load_dwordx2 v[7:8], v[2:3], off
	s_waitcnt vmcnt(0)
	ds_write_b64 v11, v[7:8]
.LBB227_7:                              ;   in Loop: Header=BB227_3 Depth=1
	s_or_b64 exec, exec, s[0:1]
	v_add_u32_e32 v7, s27, v9
	v_cmp_gt_i32_e64 s[0:1], s11, v7
	s_and_b64 s[18:19], s[0:1], vcc
	v_mov_b32_e32 v7, 0
	v_mov_b32_e32 v8, 0
	s_and_saveexec_b64 s[0:1], s[18:19]
	s_cbranch_execz .LBB227_2
; %bb.8:                                ;   in Loop: Header=BB227_3 Depth=1
	global_load_dwordx2 v[7:8], v[4:5], off offset:-4
	s_branch .LBB227_2
.LBB227_9:
	v_mov_b32_e32 v21, 0
	v_mov_b32_e32 v22, 0
	;; [unrolled: 1-line block ×8, first 2 shown]
.LBB227_10:
	s_load_dwordx2 s[0:1], s[4:5], 0x58
	s_load_dword s6, s[4:5], 0x50
	v_add_u32_e32 v4, s26, v1
	v_add_u32_e32 v0, s9, v0
	v_cmp_gt_i32_e32 vcc, s10, v4
	s_waitcnt lgkmcnt(0)
	s_mul_i32 s1, s1, s8
	s_mul_hi_u32 s2, s0, s8
	s_add_i32 s1, s2, s1
	v_mad_i64_i32 v[1:2], s[2:3], v4, s6, 0
	s_mul_i32 s0, s0, s8
	s_lshl_b64 s[0:1], s[0:1], 3
	s_add_u32 s4, s24, s0
	v_lshlrev_b64 v[1:2], 3, v[1:2]
	s_addc_u32 s5, s25, s1
	v_mov_b32_e32 v3, s5
	v_add_co_u32_e64 v5, s[0:1], s4, v1
	v_addc_co_u32_e64 v6, s[0:1], v3, v2, s[0:1]
	v_cmp_le_i32_e64 s[0:1], v0, v4
	s_and_b64 s[0:1], vcc, s[0:1]
	s_and_saveexec_b64 s[2:3], s[0:1]
	s_cbranch_execz .LBB227_12
; %bb.11:
	v_ashrrev_i32_e32 v1, 31, v0
	v_lshlrev_b64 v[1:2], 3, v[0:1]
	v_mul_f32_e32 v3, s17, v22
	v_add_co_u32_e64 v1, s[0:1], v5, v1
	v_addc_co_u32_e64 v2, s[0:1], v6, v2, s[0:1]
	global_load_dwordx2 v[7:8], v[1:2], off
	v_mul_f32_e32 v9, s16, v22
	v_fma_f32 v3, v21, s16, -v3
	v_fmac_f32_e32 v9, s17, v21
	s_waitcnt vmcnt(0)
	v_mul_f32_e32 v10, s15, v8
	v_mul_f32_e32 v8, s14, v8
	v_fma_f32 v10, v7, s14, -v10
	v_fmac_f32_e32 v8, s15, v7
	v_add_f32_e32 v7, v3, v10
	v_add_f32_e32 v8, v9, v8
	global_store_dwordx2 v[1:2], v[7:8], off
.LBB227_12:
	s_or_b64 exec, exec, s[2:3]
	v_add_u32_e32 v2, 16, v0
	v_cmp_le_i32_e64 s[0:1], v2, v4
	s_and_b64 s[2:3], vcc, s[0:1]
	s_and_saveexec_b64 s[0:1], s[2:3]
	s_cbranch_execz .LBB227_14
; %bb.13:
	v_ashrrev_i32_e32 v3, 31, v2
	v_lshlrev_b64 v[7:8], 3, v[2:3]
	v_mul_f32_e32 v1, s17, v24
	v_add_co_u32_e32 v5, vcc, v5, v7
	v_addc_co_u32_e32 v6, vcc, v6, v8, vcc
	global_load_dwordx2 v[7:8], v[5:6], off
	v_mul_f32_e32 v3, s16, v24
	v_fma_f32 v1, v23, s16, -v1
	v_fmac_f32_e32 v3, s17, v23
	s_waitcnt vmcnt(0)
	v_mul_f32_e32 v9, s15, v8
	v_mul_f32_e32 v8, s14, v8
	v_fma_f32 v9, v7, s14, -v9
	v_fmac_f32_e32 v8, s15, v7
	v_add_f32_e32 v7, v1, v9
	v_add_f32_e32 v8, v3, v8
	global_store_dwordx2 v[5:6], v[7:8], off
.LBB227_14:
	s_or_b64 exec, exec, s[0:1]
	v_add_u32_e32 v3, 16, v4
	v_mad_i64_i32 v[4:5], s[0:1], v3, s6, 0
	v_mov_b32_e32 v1, s5
	v_cmp_gt_i32_e32 vcc, s10, v3
	v_lshlrev_b64 v[4:5], 3, v[4:5]
	v_add_co_u32_e64 v4, s[0:1], s4, v4
	v_addc_co_u32_e64 v5, s[0:1], v1, v5, s[0:1]
	v_cmp_le_i32_e64 s[0:1], v0, v3
	s_and_b64 s[0:1], vcc, s[0:1]
	s_and_saveexec_b64 s[2:3], s[0:1]
	s_cbranch_execz .LBB227_16
; %bb.15:
	v_ashrrev_i32_e32 v1, 31, v0
	v_lshlrev_b64 v[0:1], 3, v[0:1]
	v_mul_f32_e32 v8, s17, v17
	v_add_co_u32_e64 v0, s[0:1], v4, v0
	v_addc_co_u32_e64 v1, s[0:1], v5, v1, s[0:1]
	global_load_dwordx2 v[6:7], v[0:1], off
	v_mul_f32_e32 v9, s16, v17
	v_fma_f32 v8, v18, s16, -v8
	v_fmac_f32_e32 v9, s17, v18
	s_waitcnt vmcnt(0)
	v_mul_f32_e32 v10, s15, v7
	v_mul_f32_e32 v7, s14, v7
	v_fma_f32 v10, v6, s14, -v10
	v_fmac_f32_e32 v7, s15, v6
	v_add_f32_e32 v6, v8, v10
	v_add_f32_e32 v7, v9, v7
	global_store_dwordx2 v[0:1], v[6:7], off
.LBB227_16:
	s_or_b64 exec, exec, s[2:3]
	v_cmp_le_i32_e64 s[0:1], v2, v3
	s_and_b64 s[0:1], vcc, s[0:1]
	s_and_saveexec_b64 s[2:3], s[0:1]
	s_cbranch_execz .LBB227_18
; %bb.17:
	v_ashrrev_i32_e32 v3, 31, v2
	v_lshlrev_b64 v[0:1], 3, v[2:3]
	v_add_co_u32_e32 v0, vcc, v4, v0
	v_addc_co_u32_e32 v1, vcc, v5, v1, vcc
	global_load_dwordx2 v[2:3], v[0:1], off
	v_mul_f32_e32 v4, s17, v20
	v_mul_f32_e32 v5, s16, v20
	v_fma_f32 v4, v19, s16, -v4
	v_fmac_f32_e32 v5, s17, v19
	s_waitcnt vmcnt(0)
	v_mul_f32_e32 v6, s15, v3
	v_mul_f32_e32 v3, s14, v3
	v_fma_f32 v6, v2, s14, -v6
	v_fmac_f32_e32 v3, s15, v2
	v_add_f32_e32 v2, v4, v6
	v_add_f32_e32 v3, v5, v3
	global_store_dwordx2 v[0:1], v[2:3], off
.LBB227_18:
	s_endpgm
	.section	.rodata,"a",@progbits
	.p2align	6, 0x0
	.amdhsa_kernel _ZL34rocblas_syrkx_herkx_general_kernelIi19rocblas_complex_numIfELi16ELi32ELi8ELb0ELb0ELc78ELc85EKS1_S1_EviT_T0_PT8_S3_lS6_S3_lS4_PT9_S3_li
		.amdhsa_group_segment_fixed_size 4096
		.amdhsa_private_segment_fixed_size 0
		.amdhsa_kernarg_size 100
		.amdhsa_user_sgpr_count 6
		.amdhsa_user_sgpr_private_segment_buffer 1
		.amdhsa_user_sgpr_dispatch_ptr 0
		.amdhsa_user_sgpr_queue_ptr 0
		.amdhsa_user_sgpr_kernarg_segment_ptr 1
		.amdhsa_user_sgpr_dispatch_id 0
		.amdhsa_user_sgpr_flat_scratch_init 0
		.amdhsa_user_sgpr_private_segment_size 0
		.amdhsa_uses_dynamic_stack 0
		.amdhsa_system_sgpr_private_segment_wavefront_offset 0
		.amdhsa_system_sgpr_workgroup_id_x 1
		.amdhsa_system_sgpr_workgroup_id_y 1
		.amdhsa_system_sgpr_workgroup_id_z 1
		.amdhsa_system_sgpr_workgroup_info 0
		.amdhsa_system_vgpr_workitem_id 1
		.amdhsa_next_free_vgpr 53
		.amdhsa_next_free_sgpr 30
		.amdhsa_reserve_vcc 1
		.amdhsa_reserve_flat_scratch 0
		.amdhsa_float_round_mode_32 0
		.amdhsa_float_round_mode_16_64 0
		.amdhsa_float_denorm_mode_32 3
		.amdhsa_float_denorm_mode_16_64 3
		.amdhsa_dx10_clamp 1
		.amdhsa_ieee_mode 1
		.amdhsa_fp16_overflow 0
		.amdhsa_exception_fp_ieee_invalid_op 0
		.amdhsa_exception_fp_denorm_src 0
		.amdhsa_exception_fp_ieee_div_zero 0
		.amdhsa_exception_fp_ieee_overflow 0
		.amdhsa_exception_fp_ieee_underflow 0
		.amdhsa_exception_fp_ieee_inexact 0
		.amdhsa_exception_int_div_zero 0
	.end_amdhsa_kernel
	.section	.text._ZL34rocblas_syrkx_herkx_general_kernelIi19rocblas_complex_numIfELi16ELi32ELi8ELb0ELb0ELc78ELc85EKS1_S1_EviT_T0_PT8_S3_lS6_S3_lS4_PT9_S3_li,"axG",@progbits,_ZL34rocblas_syrkx_herkx_general_kernelIi19rocblas_complex_numIfELi16ELi32ELi8ELb0ELb0ELc78ELc85EKS1_S1_EviT_T0_PT8_S3_lS6_S3_lS4_PT9_S3_li,comdat
.Lfunc_end227:
	.size	_ZL34rocblas_syrkx_herkx_general_kernelIi19rocblas_complex_numIfELi16ELi32ELi8ELb0ELb0ELc78ELc85EKS1_S1_EviT_T0_PT8_S3_lS6_S3_lS4_PT9_S3_li, .Lfunc_end227-_ZL34rocblas_syrkx_herkx_general_kernelIi19rocblas_complex_numIfELi16ELi32ELi8ELb0ELb0ELc78ELc85EKS1_S1_EviT_T0_PT8_S3_lS6_S3_lS4_PT9_S3_li
                                        ; -- End function
	.set _ZL34rocblas_syrkx_herkx_general_kernelIi19rocblas_complex_numIfELi16ELi32ELi8ELb0ELb0ELc78ELc85EKS1_S1_EviT_T0_PT8_S3_lS6_S3_lS4_PT9_S3_li.num_vgpr, 53
	.set _ZL34rocblas_syrkx_herkx_general_kernelIi19rocblas_complex_numIfELi16ELi32ELi8ELb0ELb0ELc78ELc85EKS1_S1_EviT_T0_PT8_S3_lS6_S3_lS4_PT9_S3_li.num_agpr, 0
	.set _ZL34rocblas_syrkx_herkx_general_kernelIi19rocblas_complex_numIfELi16ELi32ELi8ELb0ELb0ELc78ELc85EKS1_S1_EviT_T0_PT8_S3_lS6_S3_lS4_PT9_S3_li.numbered_sgpr, 30
	.set _ZL34rocblas_syrkx_herkx_general_kernelIi19rocblas_complex_numIfELi16ELi32ELi8ELb0ELb0ELc78ELc85EKS1_S1_EviT_T0_PT8_S3_lS6_S3_lS4_PT9_S3_li.num_named_barrier, 0
	.set _ZL34rocblas_syrkx_herkx_general_kernelIi19rocblas_complex_numIfELi16ELi32ELi8ELb0ELb0ELc78ELc85EKS1_S1_EviT_T0_PT8_S3_lS6_S3_lS4_PT9_S3_li.private_seg_size, 0
	.set _ZL34rocblas_syrkx_herkx_general_kernelIi19rocblas_complex_numIfELi16ELi32ELi8ELb0ELb0ELc78ELc85EKS1_S1_EviT_T0_PT8_S3_lS6_S3_lS4_PT9_S3_li.uses_vcc, 1
	.set _ZL34rocblas_syrkx_herkx_general_kernelIi19rocblas_complex_numIfELi16ELi32ELi8ELb0ELb0ELc78ELc85EKS1_S1_EviT_T0_PT8_S3_lS6_S3_lS4_PT9_S3_li.uses_flat_scratch, 0
	.set _ZL34rocblas_syrkx_herkx_general_kernelIi19rocblas_complex_numIfELi16ELi32ELi8ELb0ELb0ELc78ELc85EKS1_S1_EviT_T0_PT8_S3_lS6_S3_lS4_PT9_S3_li.has_dyn_sized_stack, 0
	.set _ZL34rocblas_syrkx_herkx_general_kernelIi19rocblas_complex_numIfELi16ELi32ELi8ELb0ELb0ELc78ELc85EKS1_S1_EviT_T0_PT8_S3_lS6_S3_lS4_PT9_S3_li.has_recursion, 0
	.set _ZL34rocblas_syrkx_herkx_general_kernelIi19rocblas_complex_numIfELi16ELi32ELi8ELb0ELb0ELc78ELc85EKS1_S1_EviT_T0_PT8_S3_lS6_S3_lS4_PT9_S3_li.has_indirect_call, 0
	.section	.AMDGPU.csdata,"",@progbits
; Kernel info:
; codeLenInByte = 2364
; TotalNumSgprs: 34
; NumVgprs: 53
; ScratchSize: 0
; MemoryBound: 1
; FloatMode: 240
; IeeeMode: 1
; LDSByteSize: 4096 bytes/workgroup (compile time only)
; SGPRBlocks: 4
; VGPRBlocks: 13
; NumSGPRsForWavesPerEU: 34
; NumVGPRsForWavesPerEU: 53
; Occupancy: 4
; WaveLimiterHint : 0
; COMPUTE_PGM_RSRC2:SCRATCH_EN: 0
; COMPUTE_PGM_RSRC2:USER_SGPR: 6
; COMPUTE_PGM_RSRC2:TRAP_HANDLER: 0
; COMPUTE_PGM_RSRC2:TGID_X_EN: 1
; COMPUTE_PGM_RSRC2:TGID_Y_EN: 1
; COMPUTE_PGM_RSRC2:TGID_Z_EN: 1
; COMPUTE_PGM_RSRC2:TIDIG_COMP_CNT: 1
	.section	.text._ZL26rocblas_syr2k_scale_kernelIiLi128ELi8ELb0E19rocblas_complex_numIfES1_PS1_EvbiT_T3_T4_T5_S3_li,"axG",@progbits,_ZL26rocblas_syr2k_scale_kernelIiLi128ELi8ELb0E19rocblas_complex_numIfES1_PS1_EvbiT_T3_T4_T5_S3_li,comdat
	.globl	_ZL26rocblas_syr2k_scale_kernelIiLi128ELi8ELb0E19rocblas_complex_numIfES1_PS1_EvbiT_T3_T4_T5_S3_li ; -- Begin function _ZL26rocblas_syr2k_scale_kernelIiLi128ELi8ELb0E19rocblas_complex_numIfES1_PS1_EvbiT_T3_T4_T5_S3_li
	.p2align	8
	.type	_ZL26rocblas_syr2k_scale_kernelIiLi128ELi8ELb0E19rocblas_complex_numIfES1_PS1_EvbiT_T3_T4_T5_S3_li,@function
_ZL26rocblas_syr2k_scale_kernelIiLi128ELi8ELb0E19rocblas_complex_numIfES1_PS1_EvbiT_T3_T4_T5_S3_li: ; @_ZL26rocblas_syr2k_scale_kernelIiLi128ELi8ELb0E19rocblas_complex_numIfES1_PS1_EvbiT_T3_T4_T5_S3_li
; %bb.0:
	s_load_dwordx2 s[2:3], s[4:5], 0x14
	s_waitcnt lgkmcnt(0)
	v_cmp_eq_f32_e64 s[0:1], s2, 1.0
	v_cmp_eq_f32_e64 s[10:11], s3, 0
	s_and_b64 s[0:1], s[0:1], s[10:11]
	s_and_b64 vcc, exec, s[0:1]
	s_cbranch_vccnz .LBB228_5
; %bb.1:
	s_load_dwordx2 s[0:1], s[4:5], 0x0
	s_load_dword s9, s[4:5], 0x4c
	s_waitcnt lgkmcnt(0)
	s_bitcmp1_b32 s0, 0
	s_cselect_b64 vcc, -1, 0
	s_lshr_b32 s0, s9, 16
	s_and_b32 s9, s9, 0xffff
	s_mul_i32 s6, s6, s9
	s_mul_i32 s7, s7, s0
	v_add_u32_e32 v0, s6, v0
	v_add_u32_e32 v1, s7, v1
	v_cndmask_b32_e32 v2, v1, v0, vcc
	v_cndmask_b32_e32 v3, v0, v1, vcc
	v_max_u32_e32 v4, v0, v1
	v_cmp_gt_u32_e32 vcc, s1, v4
	v_cmp_le_i32_e64 s[0:1], v2, v3
	s_and_b64 s[0:1], vcc, s[0:1]
	s_and_saveexec_b64 s[6:7], s[0:1]
	s_cbranch_execz .LBB228_5
; %bb.2:
	s_load_dword s9, s[4:5], 0x28
	s_load_dwordx2 s[0:1], s[4:5], 0x30
	s_load_dwordx2 s[6:7], s[4:5], 0x20
	s_waitcnt lgkmcnt(0)
	v_mad_u64_u32 v[2:3], s[4:5], v1, s9, 0
	s_ashr_i32 s10, s9, 31
	s_mul_i32 s1, s1, s8
	s_mul_hi_u32 s4, s0, s8
	s_add_i32 s1, s4, s1
	v_mad_u64_u32 v[3:4], s[4:5], v1, s10, v[3:4]
	s_mul_i32 s0, s0, s8
	s_lshl_b64 s[0:1], s[0:1], 3
	s_add_u32 s0, s6, s0
	v_lshlrev_b64 v[2:3], 3, v[2:3]
	s_addc_u32 s1, s7, s1
	v_mov_b32_e32 v1, 0
	v_mov_b32_e32 v4, s1
	v_add_co_u32_e32 v5, vcc, s0, v2
	v_addc_co_u32_e32 v4, vcc, v4, v3, vcc
	v_lshlrev_b64 v[2:3], 3, v[0:1]
	s_or_b32 s0, s2, s3
	v_add_co_u32_e32 v2, vcc, v5, v2
	s_bitset0_b32 s0, 31
	v_addc_co_u32_e32 v3, vcc, v4, v3, vcc
	s_cmp_eq_u32 s0, 0
	v_mov_b32_e32 v0, v1
	s_cbranch_scc1 .LBB228_4
; %bb.3:
	global_load_dwordx2 v[4:5], v[2:3], off
	s_waitcnt vmcnt(0)
	v_mul_f32_e32 v0, s3, v5
	v_mul_f32_e32 v1, s2, v5
	v_fma_f32 v0, v4, s2, -v0
	v_fmac_f32_e32 v1, s3, v4
.LBB228_4:
	global_store_dwordx2 v[2:3], v[0:1], off
.LBB228_5:
	s_endpgm
	.section	.rodata,"a",@progbits
	.p2align	6, 0x0
	.amdhsa_kernel _ZL26rocblas_syr2k_scale_kernelIiLi128ELi8ELb0E19rocblas_complex_numIfES1_PS1_EvbiT_T3_T4_T5_S3_li
		.amdhsa_group_segment_fixed_size 0
		.amdhsa_private_segment_fixed_size 0
		.amdhsa_kernarg_size 320
		.amdhsa_user_sgpr_count 6
		.amdhsa_user_sgpr_private_segment_buffer 1
		.amdhsa_user_sgpr_dispatch_ptr 0
		.amdhsa_user_sgpr_queue_ptr 0
		.amdhsa_user_sgpr_kernarg_segment_ptr 1
		.amdhsa_user_sgpr_dispatch_id 0
		.amdhsa_user_sgpr_flat_scratch_init 0
		.amdhsa_user_sgpr_private_segment_size 0
		.amdhsa_uses_dynamic_stack 0
		.amdhsa_system_sgpr_private_segment_wavefront_offset 0
		.amdhsa_system_sgpr_workgroup_id_x 1
		.amdhsa_system_sgpr_workgroup_id_y 1
		.amdhsa_system_sgpr_workgroup_id_z 1
		.amdhsa_system_sgpr_workgroup_info 0
		.amdhsa_system_vgpr_workitem_id 1
		.amdhsa_next_free_vgpr 6
		.amdhsa_next_free_sgpr 12
		.amdhsa_reserve_vcc 1
		.amdhsa_reserve_flat_scratch 0
		.amdhsa_float_round_mode_32 0
		.amdhsa_float_round_mode_16_64 0
		.amdhsa_float_denorm_mode_32 3
		.amdhsa_float_denorm_mode_16_64 3
		.amdhsa_dx10_clamp 1
		.amdhsa_ieee_mode 1
		.amdhsa_fp16_overflow 0
		.amdhsa_exception_fp_ieee_invalid_op 0
		.amdhsa_exception_fp_denorm_src 0
		.amdhsa_exception_fp_ieee_div_zero 0
		.amdhsa_exception_fp_ieee_overflow 0
		.amdhsa_exception_fp_ieee_underflow 0
		.amdhsa_exception_fp_ieee_inexact 0
		.amdhsa_exception_int_div_zero 0
	.end_amdhsa_kernel
	.section	.text._ZL26rocblas_syr2k_scale_kernelIiLi128ELi8ELb0E19rocblas_complex_numIfES1_PS1_EvbiT_T3_T4_T5_S3_li,"axG",@progbits,_ZL26rocblas_syr2k_scale_kernelIiLi128ELi8ELb0E19rocblas_complex_numIfES1_PS1_EvbiT_T3_T4_T5_S3_li,comdat
.Lfunc_end228:
	.size	_ZL26rocblas_syr2k_scale_kernelIiLi128ELi8ELb0E19rocblas_complex_numIfES1_PS1_EvbiT_T3_T4_T5_S3_li, .Lfunc_end228-_ZL26rocblas_syr2k_scale_kernelIiLi128ELi8ELb0E19rocblas_complex_numIfES1_PS1_EvbiT_T3_T4_T5_S3_li
                                        ; -- End function
	.set _ZL26rocblas_syr2k_scale_kernelIiLi128ELi8ELb0E19rocblas_complex_numIfES1_PS1_EvbiT_T3_T4_T5_S3_li.num_vgpr, 6
	.set _ZL26rocblas_syr2k_scale_kernelIiLi128ELi8ELb0E19rocblas_complex_numIfES1_PS1_EvbiT_T3_T4_T5_S3_li.num_agpr, 0
	.set _ZL26rocblas_syr2k_scale_kernelIiLi128ELi8ELb0E19rocblas_complex_numIfES1_PS1_EvbiT_T3_T4_T5_S3_li.numbered_sgpr, 12
	.set _ZL26rocblas_syr2k_scale_kernelIiLi128ELi8ELb0E19rocblas_complex_numIfES1_PS1_EvbiT_T3_T4_T5_S3_li.num_named_barrier, 0
	.set _ZL26rocblas_syr2k_scale_kernelIiLi128ELi8ELb0E19rocblas_complex_numIfES1_PS1_EvbiT_T3_T4_T5_S3_li.private_seg_size, 0
	.set _ZL26rocblas_syr2k_scale_kernelIiLi128ELi8ELb0E19rocblas_complex_numIfES1_PS1_EvbiT_T3_T4_T5_S3_li.uses_vcc, 1
	.set _ZL26rocblas_syr2k_scale_kernelIiLi128ELi8ELb0E19rocblas_complex_numIfES1_PS1_EvbiT_T3_T4_T5_S3_li.uses_flat_scratch, 0
	.set _ZL26rocblas_syr2k_scale_kernelIiLi128ELi8ELb0E19rocblas_complex_numIfES1_PS1_EvbiT_T3_T4_T5_S3_li.has_dyn_sized_stack, 0
	.set _ZL26rocblas_syr2k_scale_kernelIiLi128ELi8ELb0E19rocblas_complex_numIfES1_PS1_EvbiT_T3_T4_T5_S3_li.has_recursion, 0
	.set _ZL26rocblas_syr2k_scale_kernelIiLi128ELi8ELb0E19rocblas_complex_numIfES1_PS1_EvbiT_T3_T4_T5_S3_li.has_indirect_call, 0
	.section	.AMDGPU.csdata,"",@progbits
; Kernel info:
; codeLenInByte = 312
; TotalNumSgprs: 16
; NumVgprs: 6
; ScratchSize: 0
; MemoryBound: 0
; FloatMode: 240
; IeeeMode: 1
; LDSByteSize: 0 bytes/workgroup (compile time only)
; SGPRBlocks: 1
; VGPRBlocks: 1
; NumSGPRsForWavesPerEU: 16
; NumVGPRsForWavesPerEU: 6
; Occupancy: 10
; WaveLimiterHint : 0
; COMPUTE_PGM_RSRC2:SCRATCH_EN: 0
; COMPUTE_PGM_RSRC2:USER_SGPR: 6
; COMPUTE_PGM_RSRC2:TRAP_HANDLER: 0
; COMPUTE_PGM_RSRC2:TGID_X_EN: 1
; COMPUTE_PGM_RSRC2:TGID_Y_EN: 1
; COMPUTE_PGM_RSRC2:TGID_Z_EN: 1
; COMPUTE_PGM_RSRC2:TIDIG_COMP_CNT: 1
	.section	.text._ZL26rocblas_syr2k_her2k_kernelIiLb0ELb0ELb0ELi32EPK19rocblas_complex_numIfES3_PS1_EvbiT_T4_T5_S5_lS7_S5_lT6_S5_li,"axG",@progbits,_ZL26rocblas_syr2k_her2k_kernelIiLb0ELb0ELb0ELi32EPK19rocblas_complex_numIfES3_PS1_EvbiT_T4_T5_S5_lS7_S5_lT6_S5_li,comdat
	.globl	_ZL26rocblas_syr2k_her2k_kernelIiLb0ELb0ELb0ELi32EPK19rocblas_complex_numIfES3_PS1_EvbiT_T4_T5_S5_lS7_S5_lT6_S5_li ; -- Begin function _ZL26rocblas_syr2k_her2k_kernelIiLb0ELb0ELb0ELi32EPK19rocblas_complex_numIfES3_PS1_EvbiT_T4_T5_S5_lS7_S5_lT6_S5_li
	.p2align	8
	.type	_ZL26rocblas_syr2k_her2k_kernelIiLb0ELb0ELb0ELi32EPK19rocblas_complex_numIfES3_PS1_EvbiT_T4_T5_S5_lS7_S5_lT6_S5_li,@function
_ZL26rocblas_syr2k_her2k_kernelIiLb0ELb0ELb0ELi32EPK19rocblas_complex_numIfES3_PS1_EvbiT_T4_T5_S5_lS7_S5_lT6_S5_li: ; @_ZL26rocblas_syr2k_her2k_kernelIiLb0ELb0ELb0ELi32EPK19rocblas_complex_numIfES3_PS1_EvbiT_T4_T5_S5_lS7_S5_lT6_S5_li
; %bb.0:
	s_load_dwordx4 s[0:3], s[4:5], 0x10
	s_waitcnt lgkmcnt(0)
	s_load_dwordx2 s[10:11], s[0:1], 0x0
	s_waitcnt lgkmcnt(0)
	v_cmp_eq_f32_e64 s[0:1], s10, 0
	v_cmp_eq_f32_e64 s[12:13], s11, 0
	s_and_b64 s[0:1], s[0:1], s[12:13]
	s_and_b64 vcc, exec, s[0:1]
	s_cbranch_vccnz .LBB229_11
; %bb.1:
	s_load_dwordx4 s[12:15], s[4:5], 0x0
	s_lshl_b32 s0, s7, 5
	s_lshl_b32 s1, s6, 5
	s_waitcnt lgkmcnt(0)
	s_and_b32 s6, 1, s12
	s_cmp_eq_u32 s6, 1
	s_cselect_b64 vcc, -1, 0
	s_and_b64 s[6:7], vcc, exec
	s_cselect_b32 s6, s1, s0
	s_cselect_b32 s7, s0, s1
	s_cmp_gt_i32 s6, s7
	s_cbranch_scc1 .LBB229_11
; %bb.2:
	s_cmp_lt_i32 s14, 1
	s_cbranch_scc1 .LBB229_11
; %bb.3:
	s_load_dword s9, s[4:5], 0x20
	s_load_dwordx4 s[16:19], s[4:5], 0x28
	s_load_dword s12, s[4:5], 0x38
	s_load_dwordx4 s[20:23], s[4:5], 0x40
	s_load_dword s15, s[4:5], 0x50
	s_load_dwordx2 s[6:7], s[4:5], 0x58
	s_waitcnt lgkmcnt(0)
	s_mul_i32 s4, s17, s8
	s_mul_hi_u32 s5, s16, s8
	s_add_i32 s5, s5, s4
	s_mul_i32 s4, s16, s8
	s_lshl_b64 s[4:5], s[4:5], 3
	s_add_u32 s4, s2, s4
	s_addc_u32 s5, s3, s5
	s_mul_i32 s2, s21, s8
	s_mul_hi_u32 s3, s20, s8
	v_add_u32_e32 v3, s1, v0
	s_add_i32 s3, s3, s2
	s_mul_i32 s2, s20, s8
	v_ashrrev_i32_e32 v4, 31, v3
	s_lshl_b64 s[2:3], s[2:3], 3
	v_lshlrev_b64 v[4:5], 3, v[3:4]
	s_add_u32 s16, s18, s2
	v_add_u32_e32 v2, s0, v1
	s_addc_u32 s17, s19, s3
	s_mul_i32 s2, s7, s8
	s_mul_hi_u32 s3, s6, s8
	v_cndmask_b32_e32 v8, v3, v2, vcc
	v_cndmask_b32_e32 v9, v2, v3, vcc
	v_cmp_gt_i32_e32 vcc, s13, v3
	v_mov_b32_e32 v3, s5
	v_add_co_u32_e64 v16, s[0:1], s4, v4
	s_add_i32 s3, s3, s2
	s_mul_i32 s2, s6, s8
	v_addc_co_u32_e64 v17, s[0:1], v3, v5, s[0:1]
	v_ashrrev_i32_e32 v3, 31, v2
	s_lshl_b64 s[2:3], s[2:3], 3
	v_lshlrev_b64 v[6:7], 3, v[2:3]
	s_add_u32 s6, s22, s2
	s_addc_u32 s7, s23, s3
	v_mov_b32_e32 v3, s17
	v_add_co_u32_e64 v20, s[2:3], s16, v6
	v_cmp_gt_i32_e64 s[0:1], s13, v2
	v_addc_co_u32_e64 v21, s[2:3], v3, v7, s[2:3]
	v_mad_i64_i32 v[2:3], s[2:3], s15, v2, 0
	v_cmp_le_i32_e64 s[2:3], v9, v8
	s_and_b64 s[4:5], s[0:1], vcc
	v_lshlrev_b64 v[2:3], 3, v[2:3]
	s_and_b64 s[4:5], s[4:5], s[2:3]
	v_mov_b32_e32 v6, s7
	v_add_co_u32_e64 v2, s[2:3], s6, v2
	v_lshlrev_b32_e32 v10, 3, v1
	v_addc_co_u32_e64 v3, s[2:3], v6, v3, s[2:3]
	v_lshlrev_b32_e32 v18, 8, v0
	v_or_b32_e32 v22, 0x2000, v10
	v_add_co_u32_e64 v14, s[2:3], v2, v4
	v_add_u32_e32 v19, v18, v10
	v_add_u32_e32 v23, v22, v18
	v_addc_co_u32_e64 v15, s[2:3], v3, v5, s[2:3]
	s_mov_b32 s8, 0
	v_add_u32_e32 v24, 0x800, v22
	v_add_u32_e32 v25, 0x1000, v22
	;; [unrolled: 1-line block ×3, first 2 shown]
	s_branch .LBB229_5
.LBB229_4:                              ;   in Loop: Header=BB229_5 Depth=1
	s_or_b64 exec, exec, s[2:3]
	s_add_i32 s8, s8, 32
	s_cmp_lt_i32 s8, s14
	s_waitcnt vmcnt(0)
	s_barrier
	s_cbranch_scc0 .LBB229_11
.LBB229_5:                              ; =>This Inner Loop Header: Depth=1
	v_add_u32_e32 v5, s8, v1
	v_cmp_gt_i32_e64 s[2:3], s14, v5
	s_and_b64 s[2:3], vcc, s[2:3]
	v_mov_b32_e32 v2, 0
	v_mov_b32_e32 v3, 0
	;; [unrolled: 1-line block ×3, first 2 shown]
	s_and_saveexec_b64 s[6:7], s[2:3]
	s_cbranch_execz .LBB229_7
; %bb.6:                                ;   in Loop: Header=BB229_5 Depth=1
	v_mad_i64_i32 v[3:4], s[2:3], v5, s9, 0
	v_lshlrev_b64 v[3:4], 3, v[3:4]
	v_add_co_u32_e64 v3, s[2:3], v16, v3
	v_addc_co_u32_e64 v4, s[2:3], v17, v4, s[2:3]
	global_load_dwordx2 v[3:4], v[3:4], off
.LBB229_7:                              ;   in Loop: Header=BB229_5 Depth=1
	s_or_b64 exec, exec, s[6:7]
	s_waitcnt vmcnt(0)
	ds_write_b64 v19, v[3:4]
	v_add_u32_e32 v4, s8, v0
	v_cmp_gt_i32_e64 s[2:3], s14, v4
	s_and_b64 s[2:3], s[0:1], s[2:3]
	v_mov_b32_e32 v3, 0
	s_and_saveexec_b64 s[6:7], s[2:3]
	s_cbranch_execz .LBB229_9
; %bb.8:                                ;   in Loop: Header=BB229_5 Depth=1
	v_mad_i64_i32 v[2:3], s[2:3], v4, s12, 0
	v_lshlrev_b64 v[2:3], 3, v[2:3]
	v_add_co_u32_e64 v2, s[2:3], v20, v2
	v_addc_co_u32_e64 v3, s[2:3], v21, v3, s[2:3]
	global_load_dwordx2 v[2:3], v[2:3], off
.LBB229_9:                              ;   in Loop: Header=BB229_5 Depth=1
	s_or_b64 exec, exec, s[6:7]
	s_waitcnt vmcnt(0)
	ds_write_b64 v23, v[2:3]
	s_waitcnt lgkmcnt(0)
	s_barrier
	s_and_saveexec_b64 s[2:3], s[4:5]
	s_cbranch_execz .LBB229_4
; %bb.10:                               ;   in Loop: Header=BB229_5 Depth=1
	ds_read2_b64 v[2:5], v22 offset1:32
	ds_read_b128 v[6:9], v18
	ds_read_b128 v[10:13], v18 offset:16
	s_waitcnt lgkmcnt(1)
	v_mul_f32_e32 v27, v3, v7
	v_fma_f32 v32, v2, v6, -v27
	ds_read2_b64 v[27:30], v22 offset0:64 offset1:96
	v_mul_f32_e32 v31, v2, v7
	v_mul_f32_e32 v2, v5, v9
	v_fma_f32 v33, v4, v8, -v2
	v_fmac_f32_e32 v31, v3, v6
	s_waitcnt lgkmcnt(0)
	v_mul_f32_e32 v2, v28, v11
	v_mul_f32_e32 v34, v4, v9
	v_fma_f32 v35, v27, v10, -v2
	v_mul_f32_e32 v27, v27, v11
	v_mul_f32_e32 v2, v30, v13
	v_fmac_f32_e32 v34, v5, v8
	v_fmac_f32_e32 v27, v28, v10
	v_fma_f32 v28, v29, v12, -v2
	v_mul_f32_e32 v29, v29, v13
	v_add_f32_e32 v10, 0, v32
	v_add_f32_e32 v11, 0, v31
	v_fmac_f32_e32 v29, v30, v12
	ds_read_b128 v[2:5], v18 offset:32
	ds_read_b128 v[6:9], v18 offset:48
	v_add_f32_e32 v30, v10, v33
	v_add_f32_e32 v31, v11, v34
	ds_read2_b64 v[10:13], v22 offset0:128 offset1:160
	v_add_f32_e32 v27, v31, v27
	v_add_f32_e32 v30, v30, v35
	;; [unrolled: 1-line block ×4, first 2 shown]
	s_waitcnt lgkmcnt(0)
	v_mul_f32_e32 v29, v11, v3
	v_mul_f32_e32 v3, v10, v3
	v_fma_f32 v29, v10, v2, -v29
	v_fmac_f32_e32 v3, v11, v2
	v_add_f32_e32 v2, v28, v29
	v_add_f32_e32 v3, v27, v3
	ds_read2_b64 v[27:30], v22 offset0:192 offset1:224
	v_mul_f32_e32 v10, v13, v5
	v_mul_f32_e32 v5, v12, v5
	v_fma_f32 v10, v12, v4, -v10
	v_fmac_f32_e32 v5, v13, v4
	s_waitcnt lgkmcnt(0)
	v_mul_f32_e32 v4, v28, v7
	v_add_f32_e32 v2, v2, v10
	v_add_f32_e32 v3, v3, v5
	v_fma_f32 v4, v27, v6, -v4
	v_mul_f32_e32 v5, v27, v7
	v_fmac_f32_e32 v5, v28, v6
	v_add_f32_e32 v6, v2, v4
	v_mul_f32_e32 v2, v30, v9
	v_add_f32_e32 v7, v3, v5
	v_fma_f32 v13, v29, v8, -v2
	v_mul_f32_e32 v27, v29, v9
	ds_read_b128 v[2:5], v18 offset:64
	ds_read2_b64 v[9:12], v24 offset1:32
	v_fmac_f32_e32 v27, v30, v8
	v_add_f32_e32 v6, v6, v13
	v_add_f32_e32 v7, v7, v27
	ds_read_b128 v[27:30], v18 offset:80
	s_waitcnt lgkmcnt(1)
	v_mul_f32_e32 v8, v10, v3
	v_fma_f32 v8, v9, v2, -v8
	v_mul_f32_e32 v3, v9, v3
	v_fmac_f32_e32 v3, v10, v2
	v_add_f32_e32 v2, v6, v8
	v_mul_f32_e32 v6, v12, v5
	v_add_f32_e32 v3, v7, v3
	v_fma_f32 v10, v11, v4, -v6
	ds_read2_b64 v[6:9], v24 offset0:64 offset1:96
	v_mul_f32_e32 v5, v11, v5
	v_fmac_f32_e32 v5, v12, v4
	v_add_f32_e32 v2, v2, v10
	v_add_f32_e32 v3, v3, v5
	s_waitcnt lgkmcnt(0)
	v_mul_f32_e32 v4, v7, v28
	v_fma_f32 v4, v6, v27, -v4
	v_mul_f32_e32 v5, v6, v28
	v_fmac_f32_e32 v5, v7, v27
	v_add_f32_e32 v6, v2, v4
	v_mul_f32_e32 v2, v9, v30
	v_add_f32_e32 v7, v3, v5
	v_fma_f32 v27, v8, v29, -v2
	ds_read_b128 v[2:5], v18 offset:96
	ds_read2_b64 v[10:13], v24 offset0:128 offset1:160
	v_mul_f32_e32 v8, v8, v30
	v_fmac_f32_e32 v8, v9, v29
	v_add_f32_e32 v27, v6, v27
	v_add_f32_e32 v28, v7, v8
	s_waitcnt lgkmcnt(0)
	v_mul_f32_e32 v29, v11, v3
	v_mul_f32_e32 v3, v10, v3
	v_fma_f32 v29, v10, v2, -v29
	v_fmac_f32_e32 v3, v11, v2
	ds_read_b128 v[6:9], v18 offset:112
	v_add_f32_e32 v2, v27, v29
	v_add_f32_e32 v3, v28, v3
	ds_read2_b64 v[27:30], v24 offset0:192 offset1:224
	v_mul_f32_e32 v10, v13, v5
	v_mul_f32_e32 v5, v12, v5
	v_fma_f32 v10, v12, v4, -v10
	v_fmac_f32_e32 v5, v13, v4
	s_waitcnt lgkmcnt(0)
	v_mul_f32_e32 v4, v28, v7
	v_add_f32_e32 v2, v2, v10
	v_add_f32_e32 v3, v3, v5
	v_fma_f32 v4, v27, v6, -v4
	v_mul_f32_e32 v5, v27, v7
	v_fmac_f32_e32 v5, v28, v6
	v_add_f32_e32 v6, v2, v4
	v_mul_f32_e32 v2, v30, v9
	v_add_f32_e32 v7, v3, v5
	v_fma_f32 v13, v29, v8, -v2
	v_mul_f32_e32 v27, v29, v9
	ds_read_b128 v[2:5], v18 offset:128
	ds_read2_b64 v[9:12], v25 offset1:32
	v_fmac_f32_e32 v27, v30, v8
	v_add_f32_e32 v6, v6, v13
	v_add_f32_e32 v7, v7, v27
	ds_read_b128 v[27:30], v18 offset:144
	s_waitcnt lgkmcnt(1)
	v_mul_f32_e32 v8, v10, v3
	v_fma_f32 v8, v9, v2, -v8
	v_mul_f32_e32 v3, v9, v3
	ds_read2_b64 v[31:34], v25 offset0:64 offset1:96
	v_fmac_f32_e32 v3, v10, v2
	v_add_f32_e32 v2, v6, v8
	v_mul_f32_e32 v6, v12, v5
	v_fma_f32 v6, v11, v4, -v6
	v_mul_f32_e32 v5, v11, v5
	v_add_f32_e32 v3, v7, v3
	v_fmac_f32_e32 v5, v12, v4
	v_add_f32_e32 v2, v2, v6
	ds_read_b128 v[6:9], v18 offset:160
	ds_read2_b64 v[10:13], v25 offset0:128 offset1:160
	v_add_f32_e32 v3, v3, v5
	s_waitcnt lgkmcnt(2)
	v_mul_f32_e32 v4, v32, v28
	v_mul_f32_e32 v5, v31, v28
	v_fma_f32 v4, v31, v27, -v4
	v_fmac_f32_e32 v5, v32, v27
	v_add_f32_e32 v2, v2, v4
	v_add_f32_e32 v3, v3, v5
	v_mul_f32_e32 v4, v34, v30
	v_mul_f32_e32 v5, v33, v30
	v_fma_f32 v4, v33, v29, -v4
	v_fmac_f32_e32 v5, v34, v29
	s_waitcnt lgkmcnt(0)
	v_mul_f32_e32 v29, v11, v7
	v_mul_f32_e32 v30, v10, v7
	v_fma_f32 v29, v10, v6, -v29
	v_fmac_f32_e32 v30, v11, v6
	v_mul_f32_e32 v6, v13, v9
	v_fma_f32 v31, v12, v8, -v6
	global_load_dwordx2 v[6:7], v[14:15], off
	v_mul_f32_e32 v12, v12, v9
	v_add_f32_e32 v27, v2, v4
	v_add_f32_e32 v28, v3, v5
	ds_read_b128 v[2:5], v18 offset:176
	v_fmac_f32_e32 v12, v13, v8
	ds_read2_b64 v[8:11], v25 offset0:192 offset1:224
	v_add_f32_e32 v13, v27, v29
	v_add_f32_e32 v27, v28, v30
	;; [unrolled: 1-line block ×4, first 2 shown]
	s_waitcnt lgkmcnt(0)
	v_mul_f32_e32 v27, v9, v3
	v_mul_f32_e32 v28, v8, v3
	v_fma_f32 v27, v8, v2, -v27
	v_fmac_f32_e32 v28, v9, v2
	v_mul_f32_e32 v2, v11, v5
	v_mul_f32_e32 v29, v10, v5
	v_add_f32_e32 v13, v13, v27
	v_fma_f32 v27, v10, v4, -v2
	v_fmac_f32_e32 v29, v11, v4
	ds_read_b128 v[2:5], v18 offset:192
	ds_read2_b64 v[8:11], v26 offset1:32
	v_add_f32_e32 v12, v12, v28
	v_add_f32_e32 v13, v13, v27
	;; [unrolled: 1-line block ×3, first 2 shown]
	ds_read_b128 v[27:30], v18 offset:208
	s_waitcnt lgkmcnt(1)
	v_mul_f32_e32 v31, v9, v3
	v_fma_f32 v31, v8, v2, -v31
	v_mul_f32_e32 v8, v8, v3
	v_fmac_f32_e32 v8, v9, v2
	v_mul_f32_e32 v2, v11, v5
	v_fma_f32 v9, v10, v4, -v2
	v_mul_f32_e32 v10, v10, v5
	v_fmac_f32_e32 v10, v11, v4
	ds_read2_b64 v[2:5], v26 offset0:64 offset1:96
	v_add_f32_e32 v8, v12, v8
	v_add_f32_e32 v11, v13, v31
	;; [unrolled: 1-line block ×4, first 2 shown]
	s_waitcnt lgkmcnt(0)
	v_mul_f32_e32 v8, v3, v28
	v_fma_f32 v8, v2, v27, -v8
	v_mul_f32_e32 v13, v2, v28
	v_mul_f32_e32 v2, v5, v30
	;; [unrolled: 1-line block ×3, first 2 shown]
	v_fmac_f32_e32 v13, v3, v27
	v_add_f32_e32 v27, v9, v8
	v_fma_f32 v28, v4, v29, -v2
	v_fmac_f32_e32 v30, v5, v29
	ds_read_b128 v[2:5], v18 offset:224
	ds_read2_b64 v[8:11], v26 offset0:128 offset1:160
	v_add_f32_e32 v12, v12, v13
	v_add_f32_e32 v13, v27, v28
	;; [unrolled: 1-line block ×3, first 2 shown]
	ds_read_b128 v[27:30], v18 offset:240
	s_waitcnt lgkmcnt(1)
	v_mul_f32_e32 v31, v9, v3
	v_fma_f32 v31, v8, v2, -v31
	v_mul_f32_e32 v8, v8, v3
	v_fmac_f32_e32 v8, v9, v2
	v_mul_f32_e32 v2, v11, v5
	v_fma_f32 v9, v10, v4, -v2
	v_mul_f32_e32 v10, v10, v5
	v_fmac_f32_e32 v10, v11, v4
	ds_read2_b64 v[2:5], v26 offset0:192 offset1:224
	v_add_f32_e32 v8, v12, v8
	v_add_f32_e32 v8, v8, v10
	;; [unrolled: 1-line block ×4, first 2 shown]
	s_waitcnt lgkmcnt(0)
	v_mul_f32_e32 v10, v3, v28
	v_fma_f32 v10, v2, v27, -v10
	v_mul_f32_e32 v2, v2, v28
	v_fmac_f32_e32 v2, v3, v27
	v_add_f32_e32 v2, v8, v2
	v_mul_f32_e32 v8, v5, v30
	v_fma_f32 v8, v4, v29, -v8
	v_mul_f32_e32 v4, v4, v30
	v_fmac_f32_e32 v4, v5, v29
	v_add_f32_e32 v3, v9, v10
	v_add_f32_e32 v2, v2, v4
	v_add_f32_e32 v3, v3, v8
	v_mul_f32_e32 v4, s11, v2
	v_fma_f32 v4, s10, v3, -v4
	v_mul_f32_e32 v3, s11, v3
	v_fmac_f32_e32 v3, s10, v2
	s_waitcnt vmcnt(0)
	v_add_f32_e32 v2, v6, v4
	v_add_f32_e32 v3, v7, v3
	global_store_dwordx2 v[14:15], v[2:3], off
	s_branch .LBB229_4
.LBB229_11:
	s_endpgm
	.section	.rodata,"a",@progbits
	.p2align	6, 0x0
	.amdhsa_kernel _ZL26rocblas_syr2k_her2k_kernelIiLb0ELb0ELb0ELi32EPK19rocblas_complex_numIfES3_PS1_EvbiT_T4_T5_S5_lS7_S5_lT6_S5_li
		.amdhsa_group_segment_fixed_size 16384
		.amdhsa_private_segment_fixed_size 0
		.amdhsa_kernarg_size 100
		.amdhsa_user_sgpr_count 6
		.amdhsa_user_sgpr_private_segment_buffer 1
		.amdhsa_user_sgpr_dispatch_ptr 0
		.amdhsa_user_sgpr_queue_ptr 0
		.amdhsa_user_sgpr_kernarg_segment_ptr 1
		.amdhsa_user_sgpr_dispatch_id 0
		.amdhsa_user_sgpr_flat_scratch_init 0
		.amdhsa_user_sgpr_private_segment_size 0
		.amdhsa_uses_dynamic_stack 0
		.amdhsa_system_sgpr_private_segment_wavefront_offset 0
		.amdhsa_system_sgpr_workgroup_id_x 1
		.amdhsa_system_sgpr_workgroup_id_y 1
		.amdhsa_system_sgpr_workgroup_id_z 1
		.amdhsa_system_sgpr_workgroup_info 0
		.amdhsa_system_vgpr_workitem_id 1
		.amdhsa_next_free_vgpr 36
		.amdhsa_next_free_sgpr 61
		.amdhsa_reserve_vcc 1
		.amdhsa_reserve_flat_scratch 0
		.amdhsa_float_round_mode_32 0
		.amdhsa_float_round_mode_16_64 0
		.amdhsa_float_denorm_mode_32 3
		.amdhsa_float_denorm_mode_16_64 3
		.amdhsa_dx10_clamp 1
		.amdhsa_ieee_mode 1
		.amdhsa_fp16_overflow 0
		.amdhsa_exception_fp_ieee_invalid_op 0
		.amdhsa_exception_fp_denorm_src 0
		.amdhsa_exception_fp_ieee_div_zero 0
		.amdhsa_exception_fp_ieee_overflow 0
		.amdhsa_exception_fp_ieee_underflow 0
		.amdhsa_exception_fp_ieee_inexact 0
		.amdhsa_exception_int_div_zero 0
	.end_amdhsa_kernel
	.section	.text._ZL26rocblas_syr2k_her2k_kernelIiLb0ELb0ELb0ELi32EPK19rocblas_complex_numIfES3_PS1_EvbiT_T4_T5_S5_lS7_S5_lT6_S5_li,"axG",@progbits,_ZL26rocblas_syr2k_her2k_kernelIiLb0ELb0ELb0ELi32EPK19rocblas_complex_numIfES3_PS1_EvbiT_T4_T5_S5_lS7_S5_lT6_S5_li,comdat
.Lfunc_end229:
	.size	_ZL26rocblas_syr2k_her2k_kernelIiLb0ELb0ELb0ELi32EPK19rocblas_complex_numIfES3_PS1_EvbiT_T4_T5_S5_lS7_S5_lT6_S5_li, .Lfunc_end229-_ZL26rocblas_syr2k_her2k_kernelIiLb0ELb0ELb0ELi32EPK19rocblas_complex_numIfES3_PS1_EvbiT_T4_T5_S5_lS7_S5_lT6_S5_li
                                        ; -- End function
	.set _ZL26rocblas_syr2k_her2k_kernelIiLb0ELb0ELb0ELi32EPK19rocblas_complex_numIfES3_PS1_EvbiT_T4_T5_S5_lS7_S5_lT6_S5_li.num_vgpr, 36
	.set _ZL26rocblas_syr2k_her2k_kernelIiLb0ELb0ELb0ELi32EPK19rocblas_complex_numIfES3_PS1_EvbiT_T4_T5_S5_lS7_S5_lT6_S5_li.num_agpr, 0
	.set _ZL26rocblas_syr2k_her2k_kernelIiLb0ELb0ELb0ELi32EPK19rocblas_complex_numIfES3_PS1_EvbiT_T4_T5_S5_lS7_S5_lT6_S5_li.numbered_sgpr, 24
	.set _ZL26rocblas_syr2k_her2k_kernelIiLb0ELb0ELb0ELi32EPK19rocblas_complex_numIfES3_PS1_EvbiT_T4_T5_S5_lS7_S5_lT6_S5_li.num_named_barrier, 0
	.set _ZL26rocblas_syr2k_her2k_kernelIiLb0ELb0ELb0ELi32EPK19rocblas_complex_numIfES3_PS1_EvbiT_T4_T5_S5_lS7_S5_lT6_S5_li.private_seg_size, 0
	.set _ZL26rocblas_syr2k_her2k_kernelIiLb0ELb0ELb0ELi32EPK19rocblas_complex_numIfES3_PS1_EvbiT_T4_T5_S5_lS7_S5_lT6_S5_li.uses_vcc, 1
	.set _ZL26rocblas_syr2k_her2k_kernelIiLb0ELb0ELb0ELi32EPK19rocblas_complex_numIfES3_PS1_EvbiT_T4_T5_S5_lS7_S5_lT6_S5_li.uses_flat_scratch, 0
	.set _ZL26rocblas_syr2k_her2k_kernelIiLb0ELb0ELb0ELi32EPK19rocblas_complex_numIfES3_PS1_EvbiT_T4_T5_S5_lS7_S5_lT6_S5_li.has_dyn_sized_stack, 0
	.set _ZL26rocblas_syr2k_her2k_kernelIiLb0ELb0ELb0ELi32EPK19rocblas_complex_numIfES3_PS1_EvbiT_T4_T5_S5_lS7_S5_lT6_S5_li.has_recursion, 0
	.set _ZL26rocblas_syr2k_her2k_kernelIiLb0ELb0ELb0ELi32EPK19rocblas_complex_numIfES3_PS1_EvbiT_T4_T5_S5_lS7_S5_lT6_S5_li.has_indirect_call, 0
	.section	.AMDGPU.csdata,"",@progbits
; Kernel info:
; codeLenInByte = 1952
; TotalNumSgprs: 28
; NumVgprs: 36
; ScratchSize: 0
; MemoryBound: 0
; FloatMode: 240
; IeeeMode: 1
; LDSByteSize: 16384 bytes/workgroup (compile time only)
; SGPRBlocks: 8
; VGPRBlocks: 8
; NumSGPRsForWavesPerEU: 65
; NumVGPRsForWavesPerEU: 36
; Occupancy: 7
; WaveLimiterHint : 0
; COMPUTE_PGM_RSRC2:SCRATCH_EN: 0
; COMPUTE_PGM_RSRC2:USER_SGPR: 6
; COMPUTE_PGM_RSRC2:TRAP_HANDLER: 0
; COMPUTE_PGM_RSRC2:TGID_X_EN: 1
; COMPUTE_PGM_RSRC2:TGID_Y_EN: 1
; COMPUTE_PGM_RSRC2:TGID_Z_EN: 1
; COMPUTE_PGM_RSRC2:TIDIG_COMP_CNT: 1
	.section	.text._ZL26rocblas_syr2k_her2k_kernelIiLb0ELb0ELb1ELi32EPK19rocblas_complex_numIfES3_PS1_EvbiT_T4_T5_S5_lS7_S5_lT6_S5_li,"axG",@progbits,_ZL26rocblas_syr2k_her2k_kernelIiLb0ELb0ELb1ELi32EPK19rocblas_complex_numIfES3_PS1_EvbiT_T4_T5_S5_lS7_S5_lT6_S5_li,comdat
	.globl	_ZL26rocblas_syr2k_her2k_kernelIiLb0ELb0ELb1ELi32EPK19rocblas_complex_numIfES3_PS1_EvbiT_T4_T5_S5_lS7_S5_lT6_S5_li ; -- Begin function _ZL26rocblas_syr2k_her2k_kernelIiLb0ELb0ELb1ELi32EPK19rocblas_complex_numIfES3_PS1_EvbiT_T4_T5_S5_lS7_S5_lT6_S5_li
	.p2align	8
	.type	_ZL26rocblas_syr2k_her2k_kernelIiLb0ELb0ELb1ELi32EPK19rocblas_complex_numIfES3_PS1_EvbiT_T4_T5_S5_lS7_S5_lT6_S5_li,@function
_ZL26rocblas_syr2k_her2k_kernelIiLb0ELb0ELb1ELi32EPK19rocblas_complex_numIfES3_PS1_EvbiT_T4_T5_S5_lS7_S5_lT6_S5_li: ; @_ZL26rocblas_syr2k_her2k_kernelIiLb0ELb0ELb1ELi32EPK19rocblas_complex_numIfES3_PS1_EvbiT_T4_T5_S5_lS7_S5_lT6_S5_li
; %bb.0:
	s_load_dwordx4 s[0:3], s[4:5], 0x10
	s_waitcnt lgkmcnt(0)
	s_load_dwordx2 s[10:11], s[0:1], 0x0
	s_waitcnt lgkmcnt(0)
	v_cmp_eq_f32_e64 s[0:1], s10, 0
	v_cmp_eq_f32_e64 s[12:13], s11, 0
	s_and_b64 s[0:1], s[0:1], s[12:13]
	s_and_b64 vcc, exec, s[0:1]
	s_cbranch_vccnz .LBB230_11
; %bb.1:
	s_load_dwordx4 s[12:15], s[4:5], 0x0
	s_lshl_b32 s0, s7, 5
	s_lshl_b32 s1, s6, 5
	s_waitcnt lgkmcnt(0)
	s_and_b32 s6, 1, s12
	s_cmp_eq_u32 s6, 1
	s_cselect_b64 vcc, -1, 0
	s_and_b64 s[6:7], vcc, exec
	s_cselect_b32 s6, s1, s0
	s_cselect_b32 s7, s0, s1
	s_cmp_gt_i32 s6, s7
	s_cbranch_scc1 .LBB230_11
; %bb.2:
	s_cmp_lt_i32 s14, 1
	s_cbranch_scc1 .LBB230_11
; %bb.3:
	v_add_u32_e32 v2, s1, v0
	s_load_dword s9, s[4:5], 0x20
	s_load_dwordx4 s[16:19], s[4:5], 0x28
	s_load_dword s12, s[4:5], 0x38
	s_load_dwordx4 s[20:23], s[4:5], 0x40
	s_load_dword s15, s[4:5], 0x50
	s_load_dwordx2 s[6:7], s[4:5], 0x58
	v_add_u32_e32 v6, s0, v1
	s_waitcnt lgkmcnt(0)
	v_mad_i64_i32 v[4:5], s[0:1], s9, v2, 0
	s_mul_i32 s4, s17, s8
	s_mul_hi_u32 s5, s16, s8
	s_add_i32 s5, s5, s4
	s_mul_i32 s4, s16, s8
	s_lshl_b64 s[4:5], s[4:5], 3
	s_add_u32 s4, s2, s4
	v_lshlrev_b64 v[4:5], 3, v[4:5]
	s_addc_u32 s5, s3, s5
	s_mul_i32 s2, s21, s8
	s_mul_hi_u32 s3, s20, s8
	s_add_i32 s3, s3, s2
	s_mul_i32 s2, s20, s8
	v_mov_b32_e32 v9, s5
	v_add_co_u32_e64 v16, s[0:1], s4, v4
	s_lshl_b64 s[2:3], s[2:3], 3
	v_addc_co_u32_e64 v17, s[0:1], v9, v5, s[0:1]
	v_mad_i64_i32 v[4:5], s[0:1], s12, v6, 0
	s_add_u32 s16, s18, s2
	s_addc_u32 s17, s19, s3
	s_mul_i32 s2, s7, s8
	s_mul_hi_u32 s3, s6, s8
	s_add_i32 s3, s3, s2
	s_mul_i32 s2, s6, s8
	s_lshl_b64 s[2:3], s[2:3], 3
	v_lshlrev_b64 v[4:5], 3, v[4:5]
	s_add_u32 s6, s22, s2
	s_addc_u32 s7, s23, s3
	v_mov_b32_e32 v10, s17
	v_add_co_u32_e64 v20, s[2:3], s16, v4
	v_addc_co_u32_e64 v21, s[2:3], v10, v5, s[2:3]
	v_mad_i64_i32 v[4:5], s[2:3], s15, v6, 0
	v_cndmask_b32_e32 v7, v2, v6, vcc
	v_cndmask_b32_e32 v8, v6, v2, vcc
	v_cmp_gt_i32_e32 vcc, s13, v2
	v_cmp_gt_i32_e64 s[0:1], s13, v6
	v_lshlrev_b64 v[4:5], 3, v[4:5]
	v_ashrrev_i32_e32 v3, 31, v2
	v_cmp_le_i32_e64 s[2:3], v8, v7
	s_and_b64 s[4:5], s[0:1], vcc
	s_and_b64 s[4:5], s[4:5], s[2:3]
	v_mov_b32_e32 v6, s7
	v_add_co_u32_e64 v4, s[2:3], s6, v4
	v_lshlrev_b64 v[2:3], 3, v[2:3]
	v_lshlrev_b32_e32 v9, 3, v1
	v_addc_co_u32_e64 v5, s[2:3], v6, v5, s[2:3]
	v_lshlrev_b32_e32 v18, 8, v0
	v_or_b32_e32 v22, 0x2000, v9
	v_add_co_u32_e64 v14, s[2:3], v4, v2
	v_add_u32_e32 v19, v18, v9
	v_add_u32_e32 v23, v22, v18
	v_addc_co_u32_e64 v15, s[2:3], v5, v3, s[2:3]
	s_mov_b32 s8, 0
	v_add_u32_e32 v24, 0x800, v22
	v_add_u32_e32 v25, 0x1000, v22
	;; [unrolled: 1-line block ×3, first 2 shown]
	s_branch .LBB230_5
.LBB230_4:                              ;   in Loop: Header=BB230_5 Depth=1
	s_or_b64 exec, exec, s[2:3]
	s_add_i32 s8, s8, 32
	s_cmp_lt_i32 s8, s14
	s_waitcnt vmcnt(0)
	s_barrier
	s_cbranch_scc0 .LBB230_11
.LBB230_5:                              ; =>This Inner Loop Header: Depth=1
	v_add_u32_e32 v5, s8, v1
	v_cmp_gt_i32_e64 s[2:3], s14, v5
	s_and_b64 s[2:3], vcc, s[2:3]
	v_mov_b32_e32 v2, 0
	v_mov_b32_e32 v3, 0
	v_mov_b32_e32 v4, 0
	s_and_saveexec_b64 s[6:7], s[2:3]
	s_cbranch_execz .LBB230_7
; %bb.6:                                ;   in Loop: Header=BB230_5 Depth=1
	v_ashrrev_i32_e32 v6, 31, v5
	v_lshlrev_b64 v[3:4], 3, v[5:6]
	v_add_co_u32_e64 v3, s[2:3], v16, v3
	v_addc_co_u32_e64 v4, s[2:3], v17, v4, s[2:3]
	global_load_dwordx2 v[3:4], v[3:4], off
.LBB230_7:                              ;   in Loop: Header=BB230_5 Depth=1
	s_or_b64 exec, exec, s[6:7]
	s_waitcnt vmcnt(0)
	ds_write_b64 v19, v[3:4]
	v_add_u32_e32 v4, s8, v0
	v_cmp_gt_i32_e64 s[2:3], s14, v4
	s_and_b64 s[2:3], s[0:1], s[2:3]
	v_mov_b32_e32 v3, 0
	s_and_saveexec_b64 s[6:7], s[2:3]
	s_cbranch_execz .LBB230_9
; %bb.8:                                ;   in Loop: Header=BB230_5 Depth=1
	v_ashrrev_i32_e32 v5, 31, v4
	v_lshlrev_b64 v[2:3], 3, v[4:5]
	v_add_co_u32_e64 v2, s[2:3], v20, v2
	v_addc_co_u32_e64 v3, s[2:3], v21, v3, s[2:3]
	global_load_dwordx2 v[2:3], v[2:3], off
.LBB230_9:                              ;   in Loop: Header=BB230_5 Depth=1
	s_or_b64 exec, exec, s[6:7]
	s_waitcnt vmcnt(0)
	ds_write_b64 v23, v[2:3]
	s_waitcnt lgkmcnt(0)
	s_barrier
	s_and_saveexec_b64 s[2:3], s[4:5]
	s_cbranch_execz .LBB230_4
; %bb.10:                               ;   in Loop: Header=BB230_5 Depth=1
	ds_read2_b64 v[2:5], v22 offset1:32
	ds_read_b128 v[6:9], v18
	ds_read_b128 v[10:13], v18 offset:16
	s_waitcnt lgkmcnt(1)
	v_mul_f32_e32 v27, v3, v7
	v_fma_f32 v32, v2, v6, -v27
	ds_read2_b64 v[27:30], v22 offset0:64 offset1:96
	v_mul_f32_e32 v31, v2, v7
	v_mul_f32_e32 v2, v5, v9
	v_fma_f32 v33, v4, v8, -v2
	v_fmac_f32_e32 v31, v3, v6
	s_waitcnt lgkmcnt(0)
	v_mul_f32_e32 v2, v28, v11
	v_mul_f32_e32 v34, v4, v9
	v_fma_f32 v35, v27, v10, -v2
	v_mul_f32_e32 v27, v27, v11
	v_mul_f32_e32 v2, v30, v13
	v_fmac_f32_e32 v34, v5, v8
	v_fmac_f32_e32 v27, v28, v10
	v_fma_f32 v28, v29, v12, -v2
	v_mul_f32_e32 v29, v29, v13
	v_add_f32_e32 v10, 0, v32
	v_add_f32_e32 v11, 0, v31
	v_fmac_f32_e32 v29, v30, v12
	ds_read_b128 v[2:5], v18 offset:32
	ds_read_b128 v[6:9], v18 offset:48
	v_add_f32_e32 v30, v10, v33
	v_add_f32_e32 v31, v11, v34
	ds_read2_b64 v[10:13], v22 offset0:128 offset1:160
	v_add_f32_e32 v27, v31, v27
	v_add_f32_e32 v30, v30, v35
	;; [unrolled: 1-line block ×4, first 2 shown]
	s_waitcnt lgkmcnt(0)
	v_mul_f32_e32 v29, v11, v3
	v_mul_f32_e32 v3, v10, v3
	v_fma_f32 v29, v10, v2, -v29
	v_fmac_f32_e32 v3, v11, v2
	v_add_f32_e32 v2, v28, v29
	v_add_f32_e32 v3, v27, v3
	ds_read2_b64 v[27:30], v22 offset0:192 offset1:224
	v_mul_f32_e32 v10, v13, v5
	v_mul_f32_e32 v5, v12, v5
	v_fma_f32 v10, v12, v4, -v10
	v_fmac_f32_e32 v5, v13, v4
	s_waitcnt lgkmcnt(0)
	v_mul_f32_e32 v4, v28, v7
	v_add_f32_e32 v2, v2, v10
	v_add_f32_e32 v3, v3, v5
	v_fma_f32 v4, v27, v6, -v4
	v_mul_f32_e32 v5, v27, v7
	v_fmac_f32_e32 v5, v28, v6
	v_add_f32_e32 v6, v2, v4
	v_mul_f32_e32 v2, v30, v9
	v_add_f32_e32 v7, v3, v5
	v_fma_f32 v13, v29, v8, -v2
	v_mul_f32_e32 v27, v29, v9
	ds_read_b128 v[2:5], v18 offset:64
	ds_read2_b64 v[9:12], v24 offset1:32
	v_fmac_f32_e32 v27, v30, v8
	v_add_f32_e32 v6, v6, v13
	v_add_f32_e32 v7, v7, v27
	ds_read_b128 v[27:30], v18 offset:80
	s_waitcnt lgkmcnt(1)
	v_mul_f32_e32 v8, v10, v3
	v_fma_f32 v8, v9, v2, -v8
	v_mul_f32_e32 v3, v9, v3
	v_fmac_f32_e32 v3, v10, v2
	v_add_f32_e32 v2, v6, v8
	v_mul_f32_e32 v6, v12, v5
	v_add_f32_e32 v3, v7, v3
	v_fma_f32 v10, v11, v4, -v6
	ds_read2_b64 v[6:9], v24 offset0:64 offset1:96
	v_mul_f32_e32 v5, v11, v5
	v_fmac_f32_e32 v5, v12, v4
	v_add_f32_e32 v2, v2, v10
	v_add_f32_e32 v3, v3, v5
	s_waitcnt lgkmcnt(0)
	v_mul_f32_e32 v4, v7, v28
	v_fma_f32 v4, v6, v27, -v4
	v_mul_f32_e32 v5, v6, v28
	v_fmac_f32_e32 v5, v7, v27
	v_add_f32_e32 v6, v2, v4
	v_mul_f32_e32 v2, v9, v30
	v_add_f32_e32 v7, v3, v5
	v_fma_f32 v27, v8, v29, -v2
	ds_read_b128 v[2:5], v18 offset:96
	ds_read2_b64 v[10:13], v24 offset0:128 offset1:160
	v_mul_f32_e32 v8, v8, v30
	v_fmac_f32_e32 v8, v9, v29
	v_add_f32_e32 v27, v6, v27
	v_add_f32_e32 v28, v7, v8
	s_waitcnt lgkmcnt(0)
	v_mul_f32_e32 v29, v11, v3
	v_mul_f32_e32 v3, v10, v3
	v_fma_f32 v29, v10, v2, -v29
	v_fmac_f32_e32 v3, v11, v2
	ds_read_b128 v[6:9], v18 offset:112
	v_add_f32_e32 v2, v27, v29
	v_add_f32_e32 v3, v28, v3
	ds_read2_b64 v[27:30], v24 offset0:192 offset1:224
	v_mul_f32_e32 v10, v13, v5
	v_mul_f32_e32 v5, v12, v5
	v_fma_f32 v10, v12, v4, -v10
	v_fmac_f32_e32 v5, v13, v4
	s_waitcnt lgkmcnt(0)
	v_mul_f32_e32 v4, v28, v7
	v_add_f32_e32 v2, v2, v10
	v_add_f32_e32 v3, v3, v5
	v_fma_f32 v4, v27, v6, -v4
	v_mul_f32_e32 v5, v27, v7
	v_fmac_f32_e32 v5, v28, v6
	v_add_f32_e32 v6, v2, v4
	v_mul_f32_e32 v2, v30, v9
	v_add_f32_e32 v7, v3, v5
	v_fma_f32 v13, v29, v8, -v2
	v_mul_f32_e32 v27, v29, v9
	ds_read_b128 v[2:5], v18 offset:128
	ds_read2_b64 v[9:12], v25 offset1:32
	v_fmac_f32_e32 v27, v30, v8
	v_add_f32_e32 v6, v6, v13
	v_add_f32_e32 v7, v7, v27
	ds_read_b128 v[27:30], v18 offset:144
	s_waitcnt lgkmcnt(1)
	v_mul_f32_e32 v8, v10, v3
	v_fma_f32 v8, v9, v2, -v8
	v_mul_f32_e32 v3, v9, v3
	ds_read2_b64 v[31:34], v25 offset0:64 offset1:96
	v_fmac_f32_e32 v3, v10, v2
	v_add_f32_e32 v2, v6, v8
	v_mul_f32_e32 v6, v12, v5
	v_fma_f32 v6, v11, v4, -v6
	v_mul_f32_e32 v5, v11, v5
	v_add_f32_e32 v3, v7, v3
	v_fmac_f32_e32 v5, v12, v4
	v_add_f32_e32 v2, v2, v6
	ds_read_b128 v[6:9], v18 offset:160
	ds_read2_b64 v[10:13], v25 offset0:128 offset1:160
	v_add_f32_e32 v3, v3, v5
	s_waitcnt lgkmcnt(2)
	v_mul_f32_e32 v4, v32, v28
	v_mul_f32_e32 v5, v31, v28
	v_fma_f32 v4, v31, v27, -v4
	v_fmac_f32_e32 v5, v32, v27
	v_add_f32_e32 v2, v2, v4
	v_add_f32_e32 v3, v3, v5
	v_mul_f32_e32 v4, v34, v30
	v_mul_f32_e32 v5, v33, v30
	v_fma_f32 v4, v33, v29, -v4
	v_fmac_f32_e32 v5, v34, v29
	s_waitcnt lgkmcnt(0)
	v_mul_f32_e32 v29, v11, v7
	v_mul_f32_e32 v30, v10, v7
	v_fma_f32 v29, v10, v6, -v29
	v_fmac_f32_e32 v30, v11, v6
	v_mul_f32_e32 v6, v13, v9
	v_fma_f32 v31, v12, v8, -v6
	global_load_dwordx2 v[6:7], v[14:15], off
	v_mul_f32_e32 v12, v12, v9
	v_add_f32_e32 v27, v2, v4
	v_add_f32_e32 v28, v3, v5
	ds_read_b128 v[2:5], v18 offset:176
	v_fmac_f32_e32 v12, v13, v8
	ds_read2_b64 v[8:11], v25 offset0:192 offset1:224
	v_add_f32_e32 v13, v27, v29
	v_add_f32_e32 v27, v28, v30
	;; [unrolled: 1-line block ×4, first 2 shown]
	s_waitcnt lgkmcnt(0)
	v_mul_f32_e32 v27, v9, v3
	v_mul_f32_e32 v28, v8, v3
	v_fma_f32 v27, v8, v2, -v27
	v_fmac_f32_e32 v28, v9, v2
	v_mul_f32_e32 v2, v11, v5
	v_mul_f32_e32 v29, v10, v5
	v_add_f32_e32 v13, v13, v27
	v_fma_f32 v27, v10, v4, -v2
	v_fmac_f32_e32 v29, v11, v4
	ds_read_b128 v[2:5], v18 offset:192
	ds_read2_b64 v[8:11], v26 offset1:32
	v_add_f32_e32 v12, v12, v28
	v_add_f32_e32 v13, v13, v27
	;; [unrolled: 1-line block ×3, first 2 shown]
	ds_read_b128 v[27:30], v18 offset:208
	s_waitcnt lgkmcnt(1)
	v_mul_f32_e32 v31, v9, v3
	v_fma_f32 v31, v8, v2, -v31
	v_mul_f32_e32 v8, v8, v3
	v_fmac_f32_e32 v8, v9, v2
	v_mul_f32_e32 v2, v11, v5
	v_fma_f32 v9, v10, v4, -v2
	v_mul_f32_e32 v10, v10, v5
	v_fmac_f32_e32 v10, v11, v4
	ds_read2_b64 v[2:5], v26 offset0:64 offset1:96
	v_add_f32_e32 v8, v12, v8
	v_add_f32_e32 v11, v13, v31
	;; [unrolled: 1-line block ×4, first 2 shown]
	s_waitcnt lgkmcnt(0)
	v_mul_f32_e32 v8, v3, v28
	v_fma_f32 v8, v2, v27, -v8
	v_mul_f32_e32 v13, v2, v28
	v_mul_f32_e32 v2, v5, v30
	;; [unrolled: 1-line block ×3, first 2 shown]
	v_fmac_f32_e32 v13, v3, v27
	v_add_f32_e32 v27, v9, v8
	v_fma_f32 v28, v4, v29, -v2
	v_fmac_f32_e32 v30, v5, v29
	ds_read_b128 v[2:5], v18 offset:224
	ds_read2_b64 v[8:11], v26 offset0:128 offset1:160
	v_add_f32_e32 v12, v12, v13
	v_add_f32_e32 v13, v27, v28
	v_add_f32_e32 v12, v12, v30
	ds_read_b128 v[27:30], v18 offset:240
	s_waitcnt lgkmcnt(1)
	v_mul_f32_e32 v31, v9, v3
	v_fma_f32 v31, v8, v2, -v31
	v_mul_f32_e32 v8, v8, v3
	v_fmac_f32_e32 v8, v9, v2
	v_mul_f32_e32 v2, v11, v5
	v_fma_f32 v9, v10, v4, -v2
	v_mul_f32_e32 v10, v10, v5
	v_fmac_f32_e32 v10, v11, v4
	ds_read2_b64 v[2:5], v26 offset0:192 offset1:224
	v_add_f32_e32 v8, v12, v8
	v_add_f32_e32 v8, v8, v10
	;; [unrolled: 1-line block ×4, first 2 shown]
	s_waitcnt lgkmcnt(0)
	v_mul_f32_e32 v10, v3, v28
	v_fma_f32 v10, v2, v27, -v10
	v_mul_f32_e32 v2, v2, v28
	v_fmac_f32_e32 v2, v3, v27
	v_add_f32_e32 v2, v8, v2
	v_mul_f32_e32 v8, v5, v30
	v_fma_f32 v8, v4, v29, -v8
	v_mul_f32_e32 v4, v4, v30
	v_fmac_f32_e32 v4, v5, v29
	v_add_f32_e32 v3, v9, v10
	v_add_f32_e32 v2, v2, v4
	;; [unrolled: 1-line block ×3, first 2 shown]
	v_mul_f32_e32 v4, s11, v2
	v_fma_f32 v4, s10, v3, -v4
	v_mul_f32_e32 v3, s11, v3
	v_fmac_f32_e32 v3, s10, v2
	s_waitcnt vmcnt(0)
	v_add_f32_e32 v2, v6, v4
	v_add_f32_e32 v3, v7, v3
	global_store_dwordx2 v[14:15], v[2:3], off
	s_branch .LBB230_4
.LBB230_11:
	s_endpgm
	.section	.rodata,"a",@progbits
	.p2align	6, 0x0
	.amdhsa_kernel _ZL26rocblas_syr2k_her2k_kernelIiLb0ELb0ELb1ELi32EPK19rocblas_complex_numIfES3_PS1_EvbiT_T4_T5_S5_lS7_S5_lT6_S5_li
		.amdhsa_group_segment_fixed_size 16384
		.amdhsa_private_segment_fixed_size 0
		.amdhsa_kernarg_size 100
		.amdhsa_user_sgpr_count 6
		.amdhsa_user_sgpr_private_segment_buffer 1
		.amdhsa_user_sgpr_dispatch_ptr 0
		.amdhsa_user_sgpr_queue_ptr 0
		.amdhsa_user_sgpr_kernarg_segment_ptr 1
		.amdhsa_user_sgpr_dispatch_id 0
		.amdhsa_user_sgpr_flat_scratch_init 0
		.amdhsa_user_sgpr_private_segment_size 0
		.amdhsa_uses_dynamic_stack 0
		.amdhsa_system_sgpr_private_segment_wavefront_offset 0
		.amdhsa_system_sgpr_workgroup_id_x 1
		.amdhsa_system_sgpr_workgroup_id_y 1
		.amdhsa_system_sgpr_workgroup_id_z 1
		.amdhsa_system_sgpr_workgroup_info 0
		.amdhsa_system_vgpr_workitem_id 1
		.amdhsa_next_free_vgpr 36
		.amdhsa_next_free_sgpr 61
		.amdhsa_reserve_vcc 1
		.amdhsa_reserve_flat_scratch 0
		.amdhsa_float_round_mode_32 0
		.amdhsa_float_round_mode_16_64 0
		.amdhsa_float_denorm_mode_32 3
		.amdhsa_float_denorm_mode_16_64 3
		.amdhsa_dx10_clamp 1
		.amdhsa_ieee_mode 1
		.amdhsa_fp16_overflow 0
		.amdhsa_exception_fp_ieee_invalid_op 0
		.amdhsa_exception_fp_denorm_src 0
		.amdhsa_exception_fp_ieee_div_zero 0
		.amdhsa_exception_fp_ieee_overflow 0
		.amdhsa_exception_fp_ieee_underflow 0
		.amdhsa_exception_fp_ieee_inexact 0
		.amdhsa_exception_int_div_zero 0
	.end_amdhsa_kernel
	.section	.text._ZL26rocblas_syr2k_her2k_kernelIiLb0ELb0ELb1ELi32EPK19rocblas_complex_numIfES3_PS1_EvbiT_T4_T5_S5_lS7_S5_lT6_S5_li,"axG",@progbits,_ZL26rocblas_syr2k_her2k_kernelIiLb0ELb0ELb1ELi32EPK19rocblas_complex_numIfES3_PS1_EvbiT_T4_T5_S5_lS7_S5_lT6_S5_li,comdat
.Lfunc_end230:
	.size	_ZL26rocblas_syr2k_her2k_kernelIiLb0ELb0ELb1ELi32EPK19rocblas_complex_numIfES3_PS1_EvbiT_T4_T5_S5_lS7_S5_lT6_S5_li, .Lfunc_end230-_ZL26rocblas_syr2k_her2k_kernelIiLb0ELb0ELb1ELi32EPK19rocblas_complex_numIfES3_PS1_EvbiT_T4_T5_S5_lS7_S5_lT6_S5_li
                                        ; -- End function
	.set _ZL26rocblas_syr2k_her2k_kernelIiLb0ELb0ELb1ELi32EPK19rocblas_complex_numIfES3_PS1_EvbiT_T4_T5_S5_lS7_S5_lT6_S5_li.num_vgpr, 36
	.set _ZL26rocblas_syr2k_her2k_kernelIiLb0ELb0ELb1ELi32EPK19rocblas_complex_numIfES3_PS1_EvbiT_T4_T5_S5_lS7_S5_lT6_S5_li.num_agpr, 0
	.set _ZL26rocblas_syr2k_her2k_kernelIiLb0ELb0ELb1ELi32EPK19rocblas_complex_numIfES3_PS1_EvbiT_T4_T5_S5_lS7_S5_lT6_S5_li.numbered_sgpr, 24
	.set _ZL26rocblas_syr2k_her2k_kernelIiLb0ELb0ELb1ELi32EPK19rocblas_complex_numIfES3_PS1_EvbiT_T4_T5_S5_lS7_S5_lT6_S5_li.num_named_barrier, 0
	.set _ZL26rocblas_syr2k_her2k_kernelIiLb0ELb0ELb1ELi32EPK19rocblas_complex_numIfES3_PS1_EvbiT_T4_T5_S5_lS7_S5_lT6_S5_li.private_seg_size, 0
	.set _ZL26rocblas_syr2k_her2k_kernelIiLb0ELb0ELb1ELi32EPK19rocblas_complex_numIfES3_PS1_EvbiT_T4_T5_S5_lS7_S5_lT6_S5_li.uses_vcc, 1
	.set _ZL26rocblas_syr2k_her2k_kernelIiLb0ELb0ELb1ELi32EPK19rocblas_complex_numIfES3_PS1_EvbiT_T4_T5_S5_lS7_S5_lT6_S5_li.uses_flat_scratch, 0
	.set _ZL26rocblas_syr2k_her2k_kernelIiLb0ELb0ELb1ELi32EPK19rocblas_complex_numIfES3_PS1_EvbiT_T4_T5_S5_lS7_S5_lT6_S5_li.has_dyn_sized_stack, 0
	.set _ZL26rocblas_syr2k_her2k_kernelIiLb0ELb0ELb1ELi32EPK19rocblas_complex_numIfES3_PS1_EvbiT_T4_T5_S5_lS7_S5_lT6_S5_li.has_recursion, 0
	.set _ZL26rocblas_syr2k_her2k_kernelIiLb0ELb0ELb1ELi32EPK19rocblas_complex_numIfES3_PS1_EvbiT_T4_T5_S5_lS7_S5_lT6_S5_li.has_indirect_call, 0
	.section	.AMDGPU.csdata,"",@progbits
; Kernel info:
; codeLenInByte = 1964
; TotalNumSgprs: 28
; NumVgprs: 36
; ScratchSize: 0
; MemoryBound: 0
; FloatMode: 240
; IeeeMode: 1
; LDSByteSize: 16384 bytes/workgroup (compile time only)
; SGPRBlocks: 8
; VGPRBlocks: 8
; NumSGPRsForWavesPerEU: 65
; NumVGPRsForWavesPerEU: 36
; Occupancy: 7
; WaveLimiterHint : 0
; COMPUTE_PGM_RSRC2:SCRATCH_EN: 0
; COMPUTE_PGM_RSRC2:USER_SGPR: 6
; COMPUTE_PGM_RSRC2:TRAP_HANDLER: 0
; COMPUTE_PGM_RSRC2:TGID_X_EN: 1
; COMPUTE_PGM_RSRC2:TGID_Y_EN: 1
; COMPUTE_PGM_RSRC2:TGID_Z_EN: 1
; COMPUTE_PGM_RSRC2:TIDIG_COMP_CNT: 1
	.section	.text._ZL26rocblas_syr2k_her2k_kernelIiLb0ELb0ELb0ELi32E19rocblas_complex_numIdEPKS1_PS1_EvbiT_T4_T5_S5_lS7_S5_lT6_S5_li,"axG",@progbits,_ZL26rocblas_syr2k_her2k_kernelIiLb0ELb0ELb0ELi32E19rocblas_complex_numIdEPKS1_PS1_EvbiT_T4_T5_S5_lS7_S5_lT6_S5_li,comdat
	.globl	_ZL26rocblas_syr2k_her2k_kernelIiLb0ELb0ELb0ELi32E19rocblas_complex_numIdEPKS1_PS1_EvbiT_T4_T5_S5_lS7_S5_lT6_S5_li ; -- Begin function _ZL26rocblas_syr2k_her2k_kernelIiLb0ELb0ELb0ELi32E19rocblas_complex_numIdEPKS1_PS1_EvbiT_T4_T5_S5_lS7_S5_lT6_S5_li
	.p2align	8
	.type	_ZL26rocblas_syr2k_her2k_kernelIiLb0ELb0ELb0ELi32E19rocblas_complex_numIdEPKS1_PS1_EvbiT_T4_T5_S5_lS7_S5_lT6_S5_li,@function
_ZL26rocblas_syr2k_her2k_kernelIiLb0ELb0ELb0ELi32E19rocblas_complex_numIdEPKS1_PS1_EvbiT_T4_T5_S5_lS7_S5_lT6_S5_li: ; @_ZL26rocblas_syr2k_her2k_kernelIiLb0ELb0ELb0ELi32E19rocblas_complex_numIdEPKS1_PS1_EvbiT_T4_T5_S5_lS7_S5_lT6_S5_li
; %bb.0:
	s_load_dwordx4 s[12:15], s[4:5], 0x10
	s_waitcnt lgkmcnt(0)
	v_cmp_eq_f64_e64 s[0:1], s[12:13], 0
	v_cmp_eq_f64_e64 s[2:3], s[14:15], 0
	s_and_b64 s[0:1], s[0:1], s[2:3]
	s_and_b64 vcc, exec, s[0:1]
	s_cbranch_vccnz .LBB231_11
; %bb.1:
	s_load_dwordx4 s[16:19], s[4:5], 0x0
	s_lshl_b32 s0, s7, 5
	s_lshl_b32 s1, s6, 5
	s_waitcnt lgkmcnt(0)
	s_and_b32 s2, 1, s16
	s_cmp_eq_u32 s2, 1
	s_cselect_b64 vcc, -1, 0
	s_and_b64 s[2:3], vcc, exec
	s_cselect_b32 s2, s1, s0
	s_cselect_b32 s3, s0, s1
	s_cmp_gt_i32 s2, s3
	s_cbranch_scc1 .LBB231_11
; %bb.2:
	s_cmp_lt_i32 s18, 1
	s_cbranch_scc1 .LBB231_11
; %bb.3:
	s_load_dwordx2 s[2:3], s[4:5], 0x20
	s_load_dword s9, s[4:5], 0x28
	s_load_dwordx4 s[20:23], s[4:5], 0x30
	s_load_dword s10, s[4:5], 0x40
	s_load_dwordx4 s[24:27], s[4:5], 0x48
	s_load_dword s11, s[4:5], 0x58
	s_load_dwordx2 s[6:7], s[4:5], 0x60
	s_waitcnt lgkmcnt(0)
	s_mul_i32 s4, s21, s8
	s_mul_hi_u32 s5, s20, s8
	s_add_i32 s5, s5, s4
	s_mul_i32 s4, s20, s8
	s_lshl_b64 s[4:5], s[4:5], 4
	s_add_u32 s4, s2, s4
	s_addc_u32 s5, s3, s5
	s_mul_i32 s2, s25, s8
	s_mul_hi_u32 s3, s24, s8
	v_add_u32_e32 v3, s1, v0
	s_add_i32 s3, s3, s2
	s_mul_i32 s2, s24, s8
	v_ashrrev_i32_e32 v4, 31, v3
	s_lshl_b64 s[2:3], s[2:3], 4
	v_lshlrev_b64 v[4:5], 4, v[3:4]
	s_add_u32 s16, s22, s2
	v_add_u32_e32 v2, s0, v1
	s_addc_u32 s19, s23, s3
	s_mul_i32 s2, s7, s8
	s_mul_hi_u32 s3, s6, s8
	v_cndmask_b32_e32 v8, v3, v2, vcc
	v_cndmask_b32_e32 v9, v2, v3, vcc
	v_cmp_gt_i32_e32 vcc, s17, v3
	v_mov_b32_e32 v3, s5
	v_add_co_u32_e64 v10, s[0:1], s4, v4
	s_add_i32 s3, s3, s2
	s_mul_i32 s2, s6, s8
	v_addc_co_u32_e64 v11, s[0:1], v3, v5, s[0:1]
	v_ashrrev_i32_e32 v3, 31, v2
	s_lshl_b64 s[2:3], s[2:3], 4
	v_lshlrev_b64 v[6:7], 4, v[2:3]
	s_add_u32 s6, s26, s2
	s_addc_u32 s7, s27, s3
	v_mov_b32_e32 v3, s19
	v_add_co_u32_e64 v14, s[2:3], s16, v6
	v_cmp_gt_i32_e64 s[0:1], s17, v2
	v_addc_co_u32_e64 v15, s[2:3], v3, v7, s[2:3]
	v_mad_i64_i32 v[2:3], s[2:3], s11, v2, 0
	v_cmp_le_i32_e64 s[2:3], v9, v8
	s_and_b64 s[4:5], s[0:1], vcc
	v_lshlrev_b64 v[2:3], 4, v[2:3]
	s_and_b64 s[4:5], s[4:5], s[2:3]
	v_mov_b32_e32 v6, s7
	v_add_co_u32_e64 v2, s[2:3], s6, v2
	v_lshlrev_b32_e32 v12, 9, v0
	v_lshlrev_b32_e32 v16, 4, v1
	v_addc_co_u32_e64 v3, s[2:3], v6, v3, s[2:3]
	v_add_u32_e32 v13, v12, v16
	v_or_b32_e32 v16, 0x4000, v16
	v_add_co_u32_e64 v8, s[2:3], v2, v4
	v_add_u32_e32 v17, v16, v12
	v_addc_co_u32_e64 v9, s[2:3], v3, v5, s[2:3]
	s_mov_b32 s8, 0
	s_branch .LBB231_5
.LBB231_4:                              ;   in Loop: Header=BB231_5 Depth=1
	s_or_b64 exec, exec, s[2:3]
	s_add_i32 s8, s8, 32
	s_cmp_lt_i32 s8, s18
	s_waitcnt vmcnt(0)
	s_barrier
	s_cbranch_scc0 .LBB231_11
.LBB231_5:                              ; =>This Inner Loop Header: Depth=1
	v_add_u32_e32 v18, s8, v1
	v_cmp_gt_i32_e64 s[2:3], s18, v18
	v_mov_b32_e32 v2, 0
	v_mov_b32_e32 v4, 0
	;; [unrolled: 1-line block ×6, first 2 shown]
	s_and_b64 s[2:3], vcc, s[2:3]
	s_and_saveexec_b64 s[6:7], s[2:3]
	s_cbranch_execz .LBB231_7
; %bb.6:                                ;   in Loop: Header=BB231_5 Depth=1
	v_mad_i64_i32 v[4:5], s[2:3], v18, s9, 0
	v_lshlrev_b64 v[4:5], 4, v[4:5]
	v_add_co_u32_e64 v4, s[2:3], v10, v4
	v_addc_co_u32_e64 v5, s[2:3], v11, v5, s[2:3]
	global_load_dwordx4 v[4:7], v[4:5], off
.LBB231_7:                              ;   in Loop: Header=BB231_5 Depth=1
	s_or_b64 exec, exec, s[6:7]
	s_waitcnt vmcnt(0)
	ds_write_b128 v13, v[4:7]
	v_add_u32_e32 v6, s8, v0
	v_cmp_gt_i32_e64 s[2:3], s18, v6
	v_mov_b32_e32 v4, 0
	v_mov_b32_e32 v5, 0
	s_and_b64 s[2:3], s[0:1], s[2:3]
	s_and_saveexec_b64 s[6:7], s[2:3]
	s_cbranch_execz .LBB231_9
; %bb.8:                                ;   in Loop: Header=BB231_5 Depth=1
	v_mad_i64_i32 v[2:3], s[2:3], v6, s10, 0
	v_lshlrev_b64 v[2:3], 4, v[2:3]
	v_add_co_u32_e64 v2, s[2:3], v14, v2
	v_addc_co_u32_e64 v3, s[2:3], v15, v3, s[2:3]
	global_load_dwordx4 v[2:5], v[2:3], off
.LBB231_9:                              ;   in Loop: Header=BB231_5 Depth=1
	s_or_b64 exec, exec, s[6:7]
	s_waitcnt vmcnt(0)
	ds_write_b128 v17, v[2:5]
	s_waitcnt lgkmcnt(0)
	s_barrier
	s_and_saveexec_b64 s[2:3], s[4:5]
	s_cbranch_execz .LBB231_4
; %bb.10:                               ;   in Loop: Header=BB231_5 Depth=1
	ds_read_b128 v[18:21], v16
	ds_read_b128 v[22:25], v12
	ds_read_b128 v[26:29], v12 offset:16
	ds_read_b128 v[30:33], v12 offset:32
	;; [unrolled: 1-line block ×3, first 2 shown]
	s_waitcnt lgkmcnt(3)
	v_mul_f64 v[6:7], v[20:21], v[24:25]
	v_fma_f64 v[6:7], v[18:19], v[22:23], -v[6:7]
	v_mul_f64 v[18:19], v[18:19], v[24:25]
	v_add_f64 v[6:7], v[6:7], 0
	v_fma_f64 v[18:19], v[20:21], v[22:23], v[18:19]
	v_add_f64 v[22:23], v[18:19], 0
	ds_read_b128 v[18:21], v16 offset:512
	s_waitcnt lgkmcnt(0)
	v_mul_f64 v[24:25], v[20:21], v[28:29]
	v_fma_f64 v[24:25], v[18:19], v[26:27], -v[24:25]
	v_mul_f64 v[18:19], v[18:19], v[28:29]
	v_add_f64 v[6:7], v[6:7], v[24:25]
	v_fma_f64 v[18:19], v[20:21], v[26:27], v[18:19]
	v_add_f64 v[22:23], v[22:23], v[18:19]
	ds_read_b128 v[18:21], v16 offset:1024
	;; [unrolled: 8-line block ×3, first 2 shown]
	s_waitcnt lgkmcnt(0)
	v_mul_f64 v[24:25], v[20:21], v[4:5]
	v_mul_f64 v[4:5], v[18:19], v[4:5]
	v_fma_f64 v[24:25], v[18:19], v[2:3], -v[24:25]
	v_fma_f64 v[2:3], v[20:21], v[2:3], v[4:5]
	v_add_f64 v[6:7], v[6:7], v[24:25]
	v_add_f64 v[22:23], v[22:23], v[2:3]
	ds_read_b128 v[2:5], v16 offset:2048
	ds_read_b128 v[18:21], v12 offset:64
	s_waitcnt lgkmcnt(0)
	v_mul_f64 v[24:25], v[4:5], v[20:21]
	v_fma_f64 v[24:25], v[2:3], v[18:19], -v[24:25]
	v_mul_f64 v[2:3], v[2:3], v[20:21]
	v_add_f64 v[6:7], v[6:7], v[24:25]
	v_fma_f64 v[2:3], v[4:5], v[18:19], v[2:3]
	v_add_f64 v[22:23], v[22:23], v[2:3]
	ds_read_b128 v[2:5], v16 offset:2560
	ds_read_b128 v[18:21], v12 offset:80
	s_waitcnt lgkmcnt(0)
	v_mul_f64 v[24:25], v[4:5], v[20:21]
	v_fma_f64 v[24:25], v[2:3], v[18:19], -v[24:25]
	v_mul_f64 v[2:3], v[2:3], v[20:21]
	v_add_f64 v[6:7], v[6:7], v[24:25]
	v_fma_f64 v[2:3], v[4:5], v[18:19], v[2:3]
	;; [unrolled: 9-line block ×27, first 2 shown]
	v_add_f64 v[22:23], v[22:23], v[2:3]
	ds_read_b128 v[2:5], v16 offset:15872
	ds_read_b128 v[18:21], v12 offset:496
	s_waitcnt lgkmcnt(0)
	v_mul_f64 v[24:25], v[4:5], v[20:21]
	v_fma_f64 v[24:25], v[2:3], v[18:19], -v[24:25]
	v_mul_f64 v[2:3], v[2:3], v[20:21]
	v_fma_f64 v[2:3], v[4:5], v[18:19], v[2:3]
	global_load_dwordx4 v[18:21], v[8:9], off
	v_add_f64 v[4:5], v[6:7], v[24:25]
	v_add_f64 v[6:7], v[22:23], v[2:3]
	v_mul_f64 v[2:3], s[14:15], v[6:7]
	v_fma_f64 v[2:3], s[12:13], v[4:5], -v[2:3]
	v_mul_f64 v[4:5], s[14:15], v[4:5]
	v_fma_f64 v[4:5], s[12:13], v[6:7], v[4:5]
	s_waitcnt vmcnt(0)
	v_add_f64 v[2:3], v[18:19], v[2:3]
	v_add_f64 v[4:5], v[20:21], v[4:5]
	global_store_dwordx4 v[8:9], v[2:5], off
	s_branch .LBB231_4
.LBB231_11:
	s_endpgm
	.section	.rodata,"a",@progbits
	.p2align	6, 0x0
	.amdhsa_kernel _ZL26rocblas_syr2k_her2k_kernelIiLb0ELb0ELb0ELi32E19rocblas_complex_numIdEPKS1_PS1_EvbiT_T4_T5_S5_lS7_S5_lT6_S5_li
		.amdhsa_group_segment_fixed_size 32768
		.amdhsa_private_segment_fixed_size 0
		.amdhsa_kernarg_size 108
		.amdhsa_user_sgpr_count 6
		.amdhsa_user_sgpr_private_segment_buffer 1
		.amdhsa_user_sgpr_dispatch_ptr 0
		.amdhsa_user_sgpr_queue_ptr 0
		.amdhsa_user_sgpr_kernarg_segment_ptr 1
		.amdhsa_user_sgpr_dispatch_id 0
		.amdhsa_user_sgpr_flat_scratch_init 0
		.amdhsa_user_sgpr_private_segment_size 0
		.amdhsa_uses_dynamic_stack 0
		.amdhsa_system_sgpr_private_segment_wavefront_offset 0
		.amdhsa_system_sgpr_workgroup_id_x 1
		.amdhsa_system_sgpr_workgroup_id_y 1
		.amdhsa_system_sgpr_workgroup_id_z 1
		.amdhsa_system_sgpr_workgroup_info 0
		.amdhsa_system_vgpr_workitem_id 1
		.amdhsa_next_free_vgpr 34
		.amdhsa_next_free_sgpr 61
		.amdhsa_reserve_vcc 1
		.amdhsa_reserve_flat_scratch 0
		.amdhsa_float_round_mode_32 0
		.amdhsa_float_round_mode_16_64 0
		.amdhsa_float_denorm_mode_32 3
		.amdhsa_float_denorm_mode_16_64 3
		.amdhsa_dx10_clamp 1
		.amdhsa_ieee_mode 1
		.amdhsa_fp16_overflow 0
		.amdhsa_exception_fp_ieee_invalid_op 0
		.amdhsa_exception_fp_denorm_src 0
		.amdhsa_exception_fp_ieee_div_zero 0
		.amdhsa_exception_fp_ieee_overflow 0
		.amdhsa_exception_fp_ieee_underflow 0
		.amdhsa_exception_fp_ieee_inexact 0
		.amdhsa_exception_int_div_zero 0
	.end_amdhsa_kernel
	.section	.text._ZL26rocblas_syr2k_her2k_kernelIiLb0ELb0ELb0ELi32E19rocblas_complex_numIdEPKS1_PS1_EvbiT_T4_T5_S5_lS7_S5_lT6_S5_li,"axG",@progbits,_ZL26rocblas_syr2k_her2k_kernelIiLb0ELb0ELb0ELi32E19rocblas_complex_numIdEPKS1_PS1_EvbiT_T4_T5_S5_lS7_S5_lT6_S5_li,comdat
.Lfunc_end231:
	.size	_ZL26rocblas_syr2k_her2k_kernelIiLb0ELb0ELb0ELi32E19rocblas_complex_numIdEPKS1_PS1_EvbiT_T4_T5_S5_lS7_S5_lT6_S5_li, .Lfunc_end231-_ZL26rocblas_syr2k_her2k_kernelIiLb0ELb0ELb0ELi32E19rocblas_complex_numIdEPKS1_PS1_EvbiT_T4_T5_S5_lS7_S5_lT6_S5_li
                                        ; -- End function
	.set _ZL26rocblas_syr2k_her2k_kernelIiLb0ELb0ELb0ELi32E19rocblas_complex_numIdEPKS1_PS1_EvbiT_T4_T5_S5_lS7_S5_lT6_S5_li.num_vgpr, 34
	.set _ZL26rocblas_syr2k_her2k_kernelIiLb0ELb0ELb0ELi32E19rocblas_complex_numIdEPKS1_PS1_EvbiT_T4_T5_S5_lS7_S5_lT6_S5_li.num_agpr, 0
	.set _ZL26rocblas_syr2k_her2k_kernelIiLb0ELb0ELb0ELi32E19rocblas_complex_numIdEPKS1_PS1_EvbiT_T4_T5_S5_lS7_S5_lT6_S5_li.numbered_sgpr, 28
	.set _ZL26rocblas_syr2k_her2k_kernelIiLb0ELb0ELb0ELi32E19rocblas_complex_numIdEPKS1_PS1_EvbiT_T4_T5_S5_lS7_S5_lT6_S5_li.num_named_barrier, 0
	.set _ZL26rocblas_syr2k_her2k_kernelIiLb0ELb0ELb0ELi32E19rocblas_complex_numIdEPKS1_PS1_EvbiT_T4_T5_S5_lS7_S5_lT6_S5_li.private_seg_size, 0
	.set _ZL26rocblas_syr2k_her2k_kernelIiLb0ELb0ELb0ELi32E19rocblas_complex_numIdEPKS1_PS1_EvbiT_T4_T5_S5_lS7_S5_lT6_S5_li.uses_vcc, 1
	.set _ZL26rocblas_syr2k_her2k_kernelIiLb0ELb0ELb0ELi32E19rocblas_complex_numIdEPKS1_PS1_EvbiT_T4_T5_S5_lS7_S5_lT6_S5_li.uses_flat_scratch, 0
	.set _ZL26rocblas_syr2k_her2k_kernelIiLb0ELb0ELb0ELi32E19rocblas_complex_numIdEPKS1_PS1_EvbiT_T4_T5_S5_lS7_S5_lT6_S5_li.has_dyn_sized_stack, 0
	.set _ZL26rocblas_syr2k_her2k_kernelIiLb0ELb0ELb0ELi32E19rocblas_complex_numIdEPKS1_PS1_EvbiT_T4_T5_S5_lS7_S5_lT6_S5_li.has_recursion, 0
	.set _ZL26rocblas_syr2k_her2k_kernelIiLb0ELb0ELb0ELi32E19rocblas_complex_numIdEPKS1_PS1_EvbiT_T4_T5_S5_lS7_S5_lT6_S5_li.has_indirect_call, 0
	.section	.AMDGPU.csdata,"",@progbits
; Kernel info:
; codeLenInByte = 2920
; TotalNumSgprs: 32
; NumVgprs: 34
; ScratchSize: 0
; MemoryBound: 1
; FloatMode: 240
; IeeeMode: 1
; LDSByteSize: 32768 bytes/workgroup (compile time only)
; SGPRBlocks: 8
; VGPRBlocks: 8
; NumSGPRsForWavesPerEU: 65
; NumVGPRsForWavesPerEU: 34
; Occupancy: 7
; WaveLimiterHint : 0
; COMPUTE_PGM_RSRC2:SCRATCH_EN: 0
; COMPUTE_PGM_RSRC2:USER_SGPR: 6
; COMPUTE_PGM_RSRC2:TRAP_HANDLER: 0
; COMPUTE_PGM_RSRC2:TGID_X_EN: 1
; COMPUTE_PGM_RSRC2:TGID_Y_EN: 1
; COMPUTE_PGM_RSRC2:TGID_Z_EN: 1
; COMPUTE_PGM_RSRC2:TIDIG_COMP_CNT: 1
	.section	.text._ZL26rocblas_syr2k_her2k_kernelIiLb0ELb0ELb1ELi32E19rocblas_complex_numIdEPKS1_PS1_EvbiT_T4_T5_S5_lS7_S5_lT6_S5_li,"axG",@progbits,_ZL26rocblas_syr2k_her2k_kernelIiLb0ELb0ELb1ELi32E19rocblas_complex_numIdEPKS1_PS1_EvbiT_T4_T5_S5_lS7_S5_lT6_S5_li,comdat
	.globl	_ZL26rocblas_syr2k_her2k_kernelIiLb0ELb0ELb1ELi32E19rocblas_complex_numIdEPKS1_PS1_EvbiT_T4_T5_S5_lS7_S5_lT6_S5_li ; -- Begin function _ZL26rocblas_syr2k_her2k_kernelIiLb0ELb0ELb1ELi32E19rocblas_complex_numIdEPKS1_PS1_EvbiT_T4_T5_S5_lS7_S5_lT6_S5_li
	.p2align	8
	.type	_ZL26rocblas_syr2k_her2k_kernelIiLb0ELb0ELb1ELi32E19rocblas_complex_numIdEPKS1_PS1_EvbiT_T4_T5_S5_lS7_S5_lT6_S5_li,@function
_ZL26rocblas_syr2k_her2k_kernelIiLb0ELb0ELb1ELi32E19rocblas_complex_numIdEPKS1_PS1_EvbiT_T4_T5_S5_lS7_S5_lT6_S5_li: ; @_ZL26rocblas_syr2k_her2k_kernelIiLb0ELb0ELb1ELi32E19rocblas_complex_numIdEPKS1_PS1_EvbiT_T4_T5_S5_lS7_S5_lT6_S5_li
; %bb.0:
	s_load_dwordx4 s[12:15], s[4:5], 0x10
	s_waitcnt lgkmcnt(0)
	v_cmp_eq_f64_e64 s[0:1], s[12:13], 0
	v_cmp_eq_f64_e64 s[2:3], s[14:15], 0
	s_and_b64 s[0:1], s[0:1], s[2:3]
	s_and_b64 vcc, exec, s[0:1]
	s_cbranch_vccnz .LBB232_11
; %bb.1:
	s_load_dwordx4 s[16:19], s[4:5], 0x0
	s_lshl_b32 s0, s7, 5
	s_lshl_b32 s1, s6, 5
	s_waitcnt lgkmcnt(0)
	s_and_b32 s2, 1, s16
	s_cmp_eq_u32 s2, 1
	s_cselect_b64 vcc, -1, 0
	s_and_b64 s[2:3], vcc, exec
	s_cselect_b32 s2, s1, s0
	s_cselect_b32 s3, s0, s1
	s_cmp_gt_i32 s2, s3
	s_cbranch_scc1 .LBB232_11
; %bb.2:
	s_cmp_lt_i32 s18, 1
	s_cbranch_scc1 .LBB232_11
; %bb.3:
	v_add_u32_e32 v2, s1, v0
	s_load_dwordx2 s[2:3], s[4:5], 0x20
	s_load_dword s9, s[4:5], 0x28
	s_load_dwordx4 s[20:23], s[4:5], 0x30
	s_load_dword s10, s[4:5], 0x40
	s_load_dwordx4 s[24:27], s[4:5], 0x48
	s_load_dword s11, s[4:5], 0x58
	s_load_dwordx2 s[6:7], s[4:5], 0x60
	v_add_u32_e32 v6, s0, v1
	s_waitcnt lgkmcnt(0)
	v_mad_i64_i32 v[4:5], s[0:1], s9, v2, 0
	s_mul_i32 s4, s21, s8
	s_mul_hi_u32 s5, s20, s8
	s_add_i32 s5, s5, s4
	s_mul_i32 s4, s20, s8
	s_lshl_b64 s[4:5], s[4:5], 4
	s_add_u32 s4, s2, s4
	v_lshlrev_b64 v[4:5], 4, v[4:5]
	s_addc_u32 s5, s3, s5
	s_mul_i32 s2, s25, s8
	s_mul_hi_u32 s3, s24, s8
	s_add_i32 s3, s3, s2
	s_mul_i32 s2, s24, s8
	v_mov_b32_e32 v9, s5
	v_add_co_u32_e64 v12, s[0:1], s4, v4
	s_lshl_b64 s[2:3], s[2:3], 4
	v_addc_co_u32_e64 v13, s[0:1], v9, v5, s[0:1]
	v_mad_i64_i32 v[4:5], s[0:1], s10, v6, 0
	s_add_u32 s16, s22, s2
	s_addc_u32 s19, s23, s3
	s_mul_i32 s2, s7, s8
	s_mul_hi_u32 s3, s6, s8
	s_add_i32 s3, s3, s2
	s_mul_i32 s2, s6, s8
	s_lshl_b64 s[2:3], s[2:3], 4
	v_lshlrev_b64 v[4:5], 4, v[4:5]
	s_add_u32 s6, s26, s2
	s_addc_u32 s7, s27, s3
	v_mov_b32_e32 v10, s19
	v_add_co_u32_e64 v16, s[2:3], s16, v4
	v_addc_co_u32_e64 v17, s[2:3], v10, v5, s[2:3]
	v_mad_i64_i32 v[4:5], s[2:3], s11, v6, 0
	v_cndmask_b32_e32 v7, v2, v6, vcc
	v_cndmask_b32_e32 v8, v6, v2, vcc
	v_cmp_gt_i32_e32 vcc, s17, v2
	v_cmp_gt_i32_e64 s[0:1], s17, v6
	v_lshlrev_b64 v[4:5], 4, v[4:5]
	v_ashrrev_i32_e32 v3, 31, v2
	v_cmp_le_i32_e64 s[2:3], v8, v7
	s_and_b64 s[4:5], s[0:1], vcc
	s_and_b64 s[4:5], s[4:5], s[2:3]
	v_mov_b32_e32 v6, s7
	v_add_co_u32_e64 v4, s[2:3], s6, v4
	v_lshlrev_b64 v[2:3], 4, v[2:3]
	v_lshlrev_b32_e32 v9, 4, v1
	v_addc_co_u32_e64 v5, s[2:3], v6, v5, s[2:3]
	v_lshlrev_b32_e32 v14, 9, v0
	v_or_b32_e32 v18, 0x4000, v9
	v_add_co_u32_e64 v8, s[2:3], v4, v2
	v_add_u32_e32 v15, v14, v9
	v_add_u32_e32 v19, v18, v14
	v_addc_co_u32_e64 v9, s[2:3], v5, v3, s[2:3]
	s_mov_b32 s8, 0
	s_branch .LBB232_5
.LBB232_4:                              ;   in Loop: Header=BB232_5 Depth=1
	s_or_b64 exec, exec, s[2:3]
	s_add_i32 s8, s8, 32
	s_cmp_lt_i32 s8, s18
	s_waitcnt vmcnt(0)
	s_barrier
	s_cbranch_scc0 .LBB232_11
.LBB232_5:                              ; =>This Inner Loop Header: Depth=1
	v_add_u32_e32 v10, s8, v1
	v_cmp_gt_i32_e64 s[2:3], s18, v10
	v_mov_b32_e32 v2, 0
	v_mov_b32_e32 v4, 0
	;; [unrolled: 1-line block ×6, first 2 shown]
	s_and_b64 s[2:3], vcc, s[2:3]
	s_and_saveexec_b64 s[6:7], s[2:3]
	s_cbranch_execz .LBB232_7
; %bb.6:                                ;   in Loop: Header=BB232_5 Depth=1
	v_ashrrev_i32_e32 v11, 31, v10
	v_lshlrev_b64 v[4:5], 4, v[10:11]
	v_add_co_u32_e64 v4, s[2:3], v12, v4
	v_addc_co_u32_e64 v5, s[2:3], v13, v5, s[2:3]
	global_load_dwordx4 v[4:7], v[4:5], off
.LBB232_7:                              ;   in Loop: Header=BB232_5 Depth=1
	s_or_b64 exec, exec, s[6:7]
	s_waitcnt vmcnt(0)
	ds_write_b128 v15, v[4:7]
	v_add_u32_e32 v6, s8, v0
	v_cmp_gt_i32_e64 s[2:3], s18, v6
	v_mov_b32_e32 v4, 0
	v_mov_b32_e32 v5, 0
	s_and_b64 s[2:3], s[0:1], s[2:3]
	s_and_saveexec_b64 s[6:7], s[2:3]
	s_cbranch_execz .LBB232_9
; %bb.8:                                ;   in Loop: Header=BB232_5 Depth=1
	v_ashrrev_i32_e32 v7, 31, v6
	v_lshlrev_b64 v[2:3], 4, v[6:7]
	v_add_co_u32_e64 v2, s[2:3], v16, v2
	v_addc_co_u32_e64 v3, s[2:3], v17, v3, s[2:3]
	global_load_dwordx4 v[2:5], v[2:3], off
.LBB232_9:                              ;   in Loop: Header=BB232_5 Depth=1
	s_or_b64 exec, exec, s[6:7]
	s_waitcnt vmcnt(0)
	ds_write_b128 v19, v[2:5]
	s_waitcnt lgkmcnt(0)
	s_barrier
	s_and_saveexec_b64 s[2:3], s[4:5]
	s_cbranch_execz .LBB232_4
; %bb.10:                               ;   in Loop: Header=BB232_5 Depth=1
	ds_read_b128 v[20:23], v18
	ds_read_b128 v[24:27], v14
	ds_read_b128 v[28:31], v14 offset:16
	ds_read_b128 v[32:35], v14 offset:32
	;; [unrolled: 1-line block ×3, first 2 shown]
	s_waitcnt lgkmcnt(3)
	v_mul_f64 v[6:7], v[22:23], v[26:27]
	v_mul_f64 v[10:11], v[20:21], v[26:27]
	v_fma_f64 v[6:7], v[20:21], v[24:25], -v[6:7]
	v_fma_f64 v[10:11], v[22:23], v[24:25], v[10:11]
	ds_read_b128 v[20:23], v18 offset:512
	s_waitcnt lgkmcnt(0)
	v_mul_f64 v[24:25], v[22:23], v[30:31]
	v_add_f64 v[6:7], v[6:7], 0
	v_add_f64 v[10:11], v[10:11], 0
	v_fma_f64 v[24:25], v[20:21], v[28:29], -v[24:25]
	v_mul_f64 v[20:21], v[20:21], v[30:31]
	v_add_f64 v[6:7], v[6:7], v[24:25]
	v_fma_f64 v[20:21], v[22:23], v[28:29], v[20:21]
	v_add_f64 v[10:11], v[10:11], v[20:21]
	ds_read_b128 v[20:23], v18 offset:1024
	s_waitcnt lgkmcnt(0)
	v_mul_f64 v[24:25], v[22:23], v[34:35]
	v_fma_f64 v[24:25], v[20:21], v[32:33], -v[24:25]
	v_mul_f64 v[20:21], v[20:21], v[34:35]
	v_add_f64 v[6:7], v[6:7], v[24:25]
	v_fma_f64 v[20:21], v[22:23], v[32:33], v[20:21]
	v_add_f64 v[10:11], v[10:11], v[20:21]
	ds_read_b128 v[20:23], v18 offset:1536
	s_waitcnt lgkmcnt(0)
	v_mul_f64 v[24:25], v[22:23], v[4:5]
	v_mul_f64 v[4:5], v[20:21], v[4:5]
	v_fma_f64 v[24:25], v[20:21], v[2:3], -v[24:25]
	v_fma_f64 v[2:3], v[22:23], v[2:3], v[4:5]
	v_add_f64 v[6:7], v[6:7], v[24:25]
	v_add_f64 v[10:11], v[10:11], v[2:3]
	ds_read_b128 v[2:5], v18 offset:2048
	ds_read_b128 v[20:23], v14 offset:64
	s_waitcnt lgkmcnt(0)
	v_mul_f64 v[24:25], v[4:5], v[22:23]
	v_fma_f64 v[24:25], v[2:3], v[20:21], -v[24:25]
	v_mul_f64 v[2:3], v[2:3], v[22:23]
	v_add_f64 v[6:7], v[6:7], v[24:25]
	v_fma_f64 v[2:3], v[4:5], v[20:21], v[2:3]
	v_add_f64 v[10:11], v[10:11], v[2:3]
	ds_read_b128 v[2:5], v18 offset:2560
	ds_read_b128 v[20:23], v14 offset:80
	s_waitcnt lgkmcnt(0)
	v_mul_f64 v[24:25], v[4:5], v[22:23]
	v_fma_f64 v[24:25], v[2:3], v[20:21], -v[24:25]
	v_mul_f64 v[2:3], v[2:3], v[22:23]
	v_add_f64 v[6:7], v[6:7], v[24:25]
	v_fma_f64 v[2:3], v[4:5], v[20:21], v[2:3]
	;; [unrolled: 9-line block ×27, first 2 shown]
	v_add_f64 v[10:11], v[10:11], v[2:3]
	ds_read_b128 v[2:5], v18 offset:15872
	ds_read_b128 v[20:23], v14 offset:496
	s_waitcnt lgkmcnt(0)
	v_mul_f64 v[24:25], v[4:5], v[22:23]
	v_fma_f64 v[24:25], v[2:3], v[20:21], -v[24:25]
	v_mul_f64 v[2:3], v[2:3], v[22:23]
	v_fma_f64 v[2:3], v[4:5], v[20:21], v[2:3]
	global_load_dwordx4 v[20:23], v[8:9], off
	v_add_f64 v[4:5], v[6:7], v[24:25]
	v_add_f64 v[6:7], v[10:11], v[2:3]
	v_mul_f64 v[2:3], s[14:15], v[6:7]
	v_fma_f64 v[2:3], s[12:13], v[4:5], -v[2:3]
	v_mul_f64 v[4:5], s[14:15], v[4:5]
	v_fma_f64 v[4:5], s[12:13], v[6:7], v[4:5]
	s_waitcnt vmcnt(0)
	v_add_f64 v[2:3], v[20:21], v[2:3]
	v_add_f64 v[4:5], v[22:23], v[4:5]
	global_store_dwordx4 v[8:9], v[2:5], off
	s_branch .LBB232_4
.LBB232_11:
	s_endpgm
	.section	.rodata,"a",@progbits
	.p2align	6, 0x0
	.amdhsa_kernel _ZL26rocblas_syr2k_her2k_kernelIiLb0ELb0ELb1ELi32E19rocblas_complex_numIdEPKS1_PS1_EvbiT_T4_T5_S5_lS7_S5_lT6_S5_li
		.amdhsa_group_segment_fixed_size 32768
		.amdhsa_private_segment_fixed_size 0
		.amdhsa_kernarg_size 108
		.amdhsa_user_sgpr_count 6
		.amdhsa_user_sgpr_private_segment_buffer 1
		.amdhsa_user_sgpr_dispatch_ptr 0
		.amdhsa_user_sgpr_queue_ptr 0
		.amdhsa_user_sgpr_kernarg_segment_ptr 1
		.amdhsa_user_sgpr_dispatch_id 0
		.amdhsa_user_sgpr_flat_scratch_init 0
		.amdhsa_user_sgpr_private_segment_size 0
		.amdhsa_uses_dynamic_stack 0
		.amdhsa_system_sgpr_private_segment_wavefront_offset 0
		.amdhsa_system_sgpr_workgroup_id_x 1
		.amdhsa_system_sgpr_workgroup_id_y 1
		.amdhsa_system_sgpr_workgroup_id_z 1
		.amdhsa_system_sgpr_workgroup_info 0
		.amdhsa_system_vgpr_workitem_id 1
		.amdhsa_next_free_vgpr 36
		.amdhsa_next_free_sgpr 61
		.amdhsa_reserve_vcc 1
		.amdhsa_reserve_flat_scratch 0
		.amdhsa_float_round_mode_32 0
		.amdhsa_float_round_mode_16_64 0
		.amdhsa_float_denorm_mode_32 3
		.amdhsa_float_denorm_mode_16_64 3
		.amdhsa_dx10_clamp 1
		.amdhsa_ieee_mode 1
		.amdhsa_fp16_overflow 0
		.amdhsa_exception_fp_ieee_invalid_op 0
		.amdhsa_exception_fp_denorm_src 0
		.amdhsa_exception_fp_ieee_div_zero 0
		.amdhsa_exception_fp_ieee_overflow 0
		.amdhsa_exception_fp_ieee_underflow 0
		.amdhsa_exception_fp_ieee_inexact 0
		.amdhsa_exception_int_div_zero 0
	.end_amdhsa_kernel
	.section	.text._ZL26rocblas_syr2k_her2k_kernelIiLb0ELb0ELb1ELi32E19rocblas_complex_numIdEPKS1_PS1_EvbiT_T4_T5_S5_lS7_S5_lT6_S5_li,"axG",@progbits,_ZL26rocblas_syr2k_her2k_kernelIiLb0ELb0ELb1ELi32E19rocblas_complex_numIdEPKS1_PS1_EvbiT_T4_T5_S5_lS7_S5_lT6_S5_li,comdat
.Lfunc_end232:
	.size	_ZL26rocblas_syr2k_her2k_kernelIiLb0ELb0ELb1ELi32E19rocblas_complex_numIdEPKS1_PS1_EvbiT_T4_T5_S5_lS7_S5_lT6_S5_li, .Lfunc_end232-_ZL26rocblas_syr2k_her2k_kernelIiLb0ELb0ELb1ELi32E19rocblas_complex_numIdEPKS1_PS1_EvbiT_T4_T5_S5_lS7_S5_lT6_S5_li
                                        ; -- End function
	.set _ZL26rocblas_syr2k_her2k_kernelIiLb0ELb0ELb1ELi32E19rocblas_complex_numIdEPKS1_PS1_EvbiT_T4_T5_S5_lS7_S5_lT6_S5_li.num_vgpr, 36
	.set _ZL26rocblas_syr2k_her2k_kernelIiLb0ELb0ELb1ELi32E19rocblas_complex_numIdEPKS1_PS1_EvbiT_T4_T5_S5_lS7_S5_lT6_S5_li.num_agpr, 0
	.set _ZL26rocblas_syr2k_her2k_kernelIiLb0ELb0ELb1ELi32E19rocblas_complex_numIdEPKS1_PS1_EvbiT_T4_T5_S5_lS7_S5_lT6_S5_li.numbered_sgpr, 28
	.set _ZL26rocblas_syr2k_her2k_kernelIiLb0ELb0ELb1ELi32E19rocblas_complex_numIdEPKS1_PS1_EvbiT_T4_T5_S5_lS7_S5_lT6_S5_li.num_named_barrier, 0
	.set _ZL26rocblas_syr2k_her2k_kernelIiLb0ELb0ELb1ELi32E19rocblas_complex_numIdEPKS1_PS1_EvbiT_T4_T5_S5_lS7_S5_lT6_S5_li.private_seg_size, 0
	.set _ZL26rocblas_syr2k_her2k_kernelIiLb0ELb0ELb1ELi32E19rocblas_complex_numIdEPKS1_PS1_EvbiT_T4_T5_S5_lS7_S5_lT6_S5_li.uses_vcc, 1
	.set _ZL26rocblas_syr2k_her2k_kernelIiLb0ELb0ELb1ELi32E19rocblas_complex_numIdEPKS1_PS1_EvbiT_T4_T5_S5_lS7_S5_lT6_S5_li.uses_flat_scratch, 0
	.set _ZL26rocblas_syr2k_her2k_kernelIiLb0ELb0ELb1ELi32E19rocblas_complex_numIdEPKS1_PS1_EvbiT_T4_T5_S5_lS7_S5_lT6_S5_li.has_dyn_sized_stack, 0
	.set _ZL26rocblas_syr2k_her2k_kernelIiLb0ELb0ELb1ELi32E19rocblas_complex_numIdEPKS1_PS1_EvbiT_T4_T5_S5_lS7_S5_lT6_S5_li.has_recursion, 0
	.set _ZL26rocblas_syr2k_her2k_kernelIiLb0ELb0ELb1ELi32E19rocblas_complex_numIdEPKS1_PS1_EvbiT_T4_T5_S5_lS7_S5_lT6_S5_li.has_indirect_call, 0
	.section	.AMDGPU.csdata,"",@progbits
; Kernel info:
; codeLenInByte = 2932
; TotalNumSgprs: 32
; NumVgprs: 36
; ScratchSize: 0
; MemoryBound: 1
; FloatMode: 240
; IeeeMode: 1
; LDSByteSize: 32768 bytes/workgroup (compile time only)
; SGPRBlocks: 8
; VGPRBlocks: 8
; NumSGPRsForWavesPerEU: 65
; NumVGPRsForWavesPerEU: 36
; Occupancy: 7
; WaveLimiterHint : 0
; COMPUTE_PGM_RSRC2:SCRATCH_EN: 0
; COMPUTE_PGM_RSRC2:USER_SGPR: 6
; COMPUTE_PGM_RSRC2:TRAP_HANDLER: 0
; COMPUTE_PGM_RSRC2:TGID_X_EN: 1
; COMPUTE_PGM_RSRC2:TGID_Y_EN: 1
; COMPUTE_PGM_RSRC2:TGID_Z_EN: 1
; COMPUTE_PGM_RSRC2:TIDIG_COMP_CNT: 1
	.section	.text._ZL37rocblas_syrkx_herkx_restricted_kernelIi19rocblas_complex_numIdELi16ELi32ELi8ELi1ELi1ELb0ELc84ELc76EKS1_S1_EviT_PT9_S3_lS5_S3_lPT10_S3_li,"axG",@progbits,_ZL37rocblas_syrkx_herkx_restricted_kernelIi19rocblas_complex_numIdELi16ELi32ELi8ELi1ELi1ELb0ELc84ELc76EKS1_S1_EviT_PT9_S3_lS5_S3_lPT10_S3_li,comdat
	.globl	_ZL37rocblas_syrkx_herkx_restricted_kernelIi19rocblas_complex_numIdELi16ELi32ELi8ELi1ELi1ELb0ELc84ELc76EKS1_S1_EviT_PT9_S3_lS5_S3_lPT10_S3_li ; -- Begin function _ZL37rocblas_syrkx_herkx_restricted_kernelIi19rocblas_complex_numIdELi16ELi32ELi8ELi1ELi1ELb0ELc84ELc76EKS1_S1_EviT_PT9_S3_lS5_S3_lPT10_S3_li
	.p2align	8
	.type	_ZL37rocblas_syrkx_herkx_restricted_kernelIi19rocblas_complex_numIdELi16ELi32ELi8ELi1ELi1ELb0ELc84ELc76EKS1_S1_EviT_PT9_S3_lS5_S3_lPT10_S3_li,@function
_ZL37rocblas_syrkx_herkx_restricted_kernelIi19rocblas_complex_numIdELi16ELi32ELi8ELi1ELi1ELb0ELc84ELc76EKS1_S1_EviT_PT9_S3_lS5_S3_lPT10_S3_li: ; @_ZL37rocblas_syrkx_herkx_restricted_kernelIi19rocblas_complex_numIdELi16ELi32ELi8ELi1ELi1ELb0ELc84ELc76EKS1_S1_EviT_PT9_S3_lS5_S3_lPT10_S3_li
; %bb.0:
	s_load_dwordx2 s[10:11], s[4:5], 0x0
	s_load_dwordx4 s[0:3], s[4:5], 0x30
	s_lshl_b32 s6, s6, 5
	s_lshl_b32 s7, s7, 5
	s_mov_b32 s9, 0
	s_waitcnt lgkmcnt(0)
	s_cmp_lt_i32 s11, 1
	s_cbranch_scc1 .LBB233_3
; %bb.1:
	s_load_dwordx2 s[16:17], s[4:5], 0x8
	s_load_dword s20, s[4:5], 0x10
	s_load_dwordx4 s[12:15], s[4:5], 0x18
	s_load_dword s18, s[4:5], 0x28
	v_lshl_add_u32 v6, v1, 4, v0
	v_lshrrev_b32_e32 v8, 3, v6
	v_add_u32_e32 v4, s7, v8
	v_and_b32_e32 v2, 7, v0
	v_mov_b32_e32 v3, 0
	s_waitcnt lgkmcnt(0)
	v_mad_i64_i32 v[4:5], s[18:19], s18, v4, v[2:3]
	v_lshlrev_b32_e32 v2, 4, v2
	v_lshl_or_b32 v2, v8, 7, v2
	v_and_b32_e32 v9, 31, v6
	v_add_u32_e32 v23, 0x1000, v2
	v_mov_b32_e32 v2, 0x1000
	v_lshrrev_b32_e32 v6, 5, v6
	v_mov_b32_e32 v7, v3
	v_lshlrev_b32_e32 v3, 4, v9
	v_lshl_add_u32 v25, v1, 7, v2
	v_add_u32_e32 v2, s6, v9
	v_lshl_or_b32 v22, v6, 9, v3
	v_mad_i64_i32 v[2:3], s[18:19], s20, v2, v[6:7]
	s_mul_i32 s13, s13, s8
	s_mul_hi_u32 s21, s12, s8
	s_add_i32 s13, s21, s13
	s_mul_i32 s12, s12, s8
	s_lshl_b64 s[12:13], s[12:13], 4
	v_lshlrev_b64 v[2:3], 4, v[2:3]
	s_add_u32 s12, s16, s12
	s_addc_u32 s13, s17, s13
	v_add_co_u32_e32 v2, vcc, s12, v2
	s_mul_i32 s1, s1, s8
	s_mul_hi_u32 s12, s0, s8
	v_mov_b32_e32 v6, s13
	s_add_i32 s1, s12, s1
	s_mul_i32 s0, s0, s8
	v_addc_co_u32_e32 v3, vcc, v6, v3, vcc
	s_lshl_b64 s[0:1], s[0:1], 4
	v_add_co_u32_e32 v2, vcc, 8, v2
	v_lshlrev_b64 v[4:5], 4, v[4:5]
	s_add_u32 s0, s14, s0
	v_addc_co_u32_e32 v3, vcc, 0, v3, vcc
	s_addc_u32 s1, s15, s1
	v_mov_b32_e32 v6, s1
	v_add_co_u32_e32 v4, vcc, s0, v4
	v_addc_co_u32_e32 v5, vcc, v6, v5, vcc
	v_mov_b32_e32 v10, 0
	v_mov_b32_e32 v12, 0
	;; [unrolled: 1-line block ×8, first 2 shown]
	v_add_co_u32_e32 v4, vcc, 8, v4
	v_lshlrev_b32_e32 v24, 4, v0
	v_mov_b32_e32 v11, 0
	v_mov_b32_e32 v13, 0
	;; [unrolled: 1-line block ×8, first 2 shown]
	v_addc_co_u32_e32 v5, vcc, 0, v5, vcc
.LBB233_2:                              ; =>This Inner Loop Header: Depth=1
	global_load_dwordx4 v[26:29], v[2:3], off offset:-8
	v_add_co_u32_e32 v2, vcc, 0x80, v2
	v_addc_co_u32_e32 v3, vcc, 0, v3, vcc
	s_add_i32 s9, s9, 8
	s_cmp_ge_i32 s9, s11
	s_waitcnt vmcnt(0)
	ds_write_b128 v22, v[26:29]
	global_load_dwordx4 v[26:29], v[4:5], off offset:-8
	v_add_co_u32_e32 v4, vcc, 0x80, v4
	v_addc_co_u32_e32 v5, vcc, 0, v5, vcc
	s_waitcnt vmcnt(0)
	ds_write_b128 v23, v[26:29]
	s_waitcnt lgkmcnt(0)
	s_barrier
	ds_read_b128 v[26:29], v25
	ds_read_b128 v[30:33], v25 offset:16
	ds_read_b128 v[34:37], v25 offset:32
	;; [unrolled: 1-line block ×3, first 2 shown]
	ds_read_b128 v[42:45], v24
	s_waitcnt lgkmcnt(0)
	v_mul_f64 v[46:47], v[28:29], v[44:45]
	v_mul_f64 v[48:49], v[26:27], v[44:45]
	v_fma_f64 v[46:47], v[26:27], v[42:43], -v[46:47]
	v_fma_f64 v[48:49], v[28:29], v[42:43], v[48:49]
	v_add_f64 v[46:47], v[14:15], v[46:47]
	v_add_f64 v[48:49], v[48:49], v[16:17]
	ds_read_b128 v[14:17], v24 offset:256
	s_waitcnt lgkmcnt(0)
	v_mul_f64 v[50:51], v[28:29], v[16:17]
	v_fma_f64 v[50:51], v[26:27], v[14:15], -v[50:51]
	v_mul_f64 v[26:27], v[26:27], v[16:17]
	v_fma_f64 v[26:27], v[28:29], v[14:15], v[26:27]
	v_add_f64 v[28:29], v[8:9], v[50:51]
	v_add_f64 v[26:27], v[26:27], v[6:7]
	ds_read_b128 v[6:9], v25 offset:2048
	s_waitcnt lgkmcnt(0)
	v_mul_f64 v[50:51], v[8:9], v[44:45]
	v_mul_f64 v[44:45], v[6:7], v[44:45]
	v_fma_f64 v[50:51], v[6:7], v[42:43], -v[50:51]
	v_fma_f64 v[42:43], v[8:9], v[42:43], v[44:45]
	v_add_f64 v[20:21], v[20:21], v[50:51]
	v_add_f64 v[18:19], v[42:43], v[18:19]
	v_mul_f64 v[42:43], v[8:9], v[16:17]
	v_fma_f64 v[42:43], v[6:7], v[14:15], -v[42:43]
	v_mul_f64 v[6:7], v[6:7], v[16:17]
	v_add_f64 v[42:43], v[12:13], v[42:43]
	v_fma_f64 v[6:7], v[8:9], v[14:15], v[6:7]
	v_add_f64 v[44:45], v[6:7], v[10:11]
	ds_read_b128 v[6:9], v24 offset:512
	s_waitcnt lgkmcnt(0)
	v_mul_f64 v[10:11], v[32:33], v[8:9]
	v_mul_f64 v[12:13], v[30:31], v[8:9]
	v_fma_f64 v[10:11], v[30:31], v[6:7], -v[10:11]
	v_fma_f64 v[12:13], v[32:33], v[6:7], v[12:13]
	v_add_f64 v[46:47], v[46:47], v[10:11]
	v_add_f64 v[48:49], v[12:13], v[48:49]
	ds_read_b128 v[10:13], v24 offset:768
	s_waitcnt lgkmcnt(0)
	v_mul_f64 v[14:15], v[32:33], v[12:13]
	v_mul_f64 v[16:17], v[30:31], v[12:13]
	v_fma_f64 v[14:15], v[30:31], v[10:11], -v[14:15]
	v_fma_f64 v[16:17], v[32:33], v[10:11], v[16:17]
	v_add_f64 v[28:29], v[28:29], v[14:15]
	v_add_f64 v[26:27], v[16:17], v[26:27]
	ds_read_b128 v[14:17], v25 offset:2064
	s_waitcnt lgkmcnt(0)
	v_mul_f64 v[30:31], v[16:17], v[8:9]
	v_mul_f64 v[8:9], v[14:15], v[8:9]
	v_fma_f64 v[30:31], v[14:15], v[6:7], -v[30:31]
	v_fma_f64 v[6:7], v[16:17], v[6:7], v[8:9]
	v_mul_f64 v[8:9], v[14:15], v[12:13]
	v_add_f64 v[20:21], v[20:21], v[30:31]
	v_add_f64 v[18:19], v[6:7], v[18:19]
	v_mul_f64 v[6:7], v[16:17], v[12:13]
	v_fma_f64 v[8:9], v[16:17], v[10:11], v[8:9]
	v_fma_f64 v[6:7], v[14:15], v[10:11], -v[6:7]
	v_add_f64 v[32:33], v[8:9], v[44:45]
	v_add_f64 v[30:31], v[42:43], v[6:7]
	ds_read_b128 v[6:9], v24 offset:1024
	s_waitcnt lgkmcnt(0)
	v_mul_f64 v[10:11], v[36:37], v[8:9]
	v_mul_f64 v[12:13], v[34:35], v[8:9]
	v_fma_f64 v[10:11], v[34:35], v[6:7], -v[10:11]
	v_fma_f64 v[12:13], v[36:37], v[6:7], v[12:13]
	v_add_f64 v[42:43], v[46:47], v[10:11]
	v_add_f64 v[44:45], v[12:13], v[48:49]
	ds_read_b128 v[10:13], v24 offset:1280
	s_waitcnt lgkmcnt(0)
	v_mul_f64 v[14:15], v[36:37], v[12:13]
	v_mul_f64 v[16:17], v[34:35], v[12:13]
	v_fma_f64 v[14:15], v[34:35], v[10:11], -v[14:15]
	v_fma_f64 v[16:17], v[36:37], v[10:11], v[16:17]
	v_add_f64 v[28:29], v[28:29], v[14:15]
	v_add_f64 v[26:27], v[16:17], v[26:27]
	ds_read_b128 v[14:17], v25 offset:2080
	s_waitcnt lgkmcnt(0)
	v_mul_f64 v[34:35], v[16:17], v[8:9]
	v_mul_f64 v[8:9], v[14:15], v[8:9]
	v_fma_f64 v[34:35], v[14:15], v[6:7], -v[34:35]
	v_fma_f64 v[6:7], v[16:17], v[6:7], v[8:9]
	v_mul_f64 v[8:9], v[14:15], v[12:13]
	v_add_f64 v[20:21], v[20:21], v[34:35]
	v_add_f64 v[18:19], v[6:7], v[18:19]
	v_mul_f64 v[6:7], v[16:17], v[12:13]
	v_fma_f64 v[8:9], v[16:17], v[10:11], v[8:9]
	v_fma_f64 v[6:7], v[14:15], v[10:11], -v[6:7]
	v_add_f64 v[32:33], v[8:9], v[32:33]
	;; [unrolled: 30-line block ×3, first 2 shown]
	v_add_f64 v[30:31], v[30:31], v[6:7]
	ds_read_b128 v[6:9], v25 offset:64
	ds_read_b128 v[10:13], v24 offset:2048
	s_waitcnt lgkmcnt(0)
	v_mul_f64 v[14:15], v[8:9], v[12:13]
	v_mul_f64 v[16:17], v[6:7], v[12:13]
	v_fma_f64 v[14:15], v[6:7], v[10:11], -v[14:15]
	v_fma_f64 v[16:17], v[8:9], v[10:11], v[16:17]
	v_add_f64 v[34:35], v[34:35], v[14:15]
	v_add_f64 v[36:37], v[16:17], v[36:37]
	ds_read_b128 v[14:17], v24 offset:2304
	s_waitcnt lgkmcnt(0)
	v_mul_f64 v[38:39], v[8:9], v[16:17]
	v_fma_f64 v[38:39], v[6:7], v[14:15], -v[38:39]
	v_mul_f64 v[6:7], v[6:7], v[16:17]
	v_add_f64 v[28:29], v[28:29], v[38:39]
	v_fma_f64 v[6:7], v[8:9], v[14:15], v[6:7]
	v_add_f64 v[26:27], v[6:7], v[26:27]
	ds_read_b128 v[6:9], v25 offset:2112
	s_waitcnt lgkmcnt(0)
	v_mul_f64 v[38:39], v[8:9], v[12:13]
	v_mul_f64 v[12:13], v[6:7], v[12:13]
	v_fma_f64 v[38:39], v[6:7], v[10:11], -v[38:39]
	v_fma_f64 v[10:11], v[8:9], v[10:11], v[12:13]
	v_add_f64 v[20:21], v[20:21], v[38:39]
	v_add_f64 v[18:19], v[10:11], v[18:19]
	v_mul_f64 v[10:11], v[8:9], v[16:17]
	v_fma_f64 v[10:11], v[6:7], v[14:15], -v[10:11]
	v_mul_f64 v[6:7], v[6:7], v[16:17]
	v_add_f64 v[30:31], v[30:31], v[10:11]
	v_fma_f64 v[6:7], v[8:9], v[14:15], v[6:7]
	v_add_f64 v[32:33], v[6:7], v[32:33]
	ds_read_b128 v[6:9], v25 offset:80
	ds_read_b128 v[10:13], v24 offset:2560
	s_waitcnt lgkmcnt(0)
	v_mul_f64 v[14:15], v[8:9], v[12:13]
	v_mul_f64 v[16:17], v[6:7], v[12:13]
	v_fma_f64 v[14:15], v[6:7], v[10:11], -v[14:15]
	v_fma_f64 v[16:17], v[8:9], v[10:11], v[16:17]
	v_add_f64 v[34:35], v[34:35], v[14:15]
	v_add_f64 v[36:37], v[16:17], v[36:37]
	ds_read_b128 v[14:17], v24 offset:2816
	s_waitcnt lgkmcnt(0)
	v_mul_f64 v[38:39], v[8:9], v[16:17]
	v_fma_f64 v[38:39], v[6:7], v[14:15], -v[38:39]
	v_mul_f64 v[6:7], v[6:7], v[16:17]
	v_add_f64 v[28:29], v[28:29], v[38:39]
	v_fma_f64 v[6:7], v[8:9], v[14:15], v[6:7]
	v_add_f64 v[26:27], v[6:7], v[26:27]
	ds_read_b128 v[6:9], v25 offset:2128
	s_waitcnt lgkmcnt(0)
	v_mul_f64 v[38:39], v[8:9], v[12:13]
	v_mul_f64 v[12:13], v[6:7], v[12:13]
	v_fma_f64 v[38:39], v[6:7], v[10:11], -v[38:39]
	v_fma_f64 v[10:11], v[8:9], v[10:11], v[12:13]
	v_add_f64 v[20:21], v[20:21], v[38:39]
	v_add_f64 v[18:19], v[10:11], v[18:19]
	v_mul_f64 v[10:11], v[8:9], v[16:17]
	v_fma_f64 v[10:11], v[6:7], v[14:15], -v[10:11]
	v_mul_f64 v[6:7], v[6:7], v[16:17]
	v_add_f64 v[30:31], v[30:31], v[10:11]
	v_fma_f64 v[6:7], v[8:9], v[14:15], v[6:7]
	;; [unrolled: 31-line block ×3, first 2 shown]
	v_add_f64 v[44:45], v[6:7], v[32:33]
	ds_read_b128 v[6:9], v25 offset:112
	ds_read_b128 v[10:13], v24 offset:3584
	;; [unrolled: 1-line block ×3, first 2 shown]
	s_waitcnt lgkmcnt(1)
	v_mul_f64 v[14:15], v[8:9], v[12:13]
	s_waitcnt lgkmcnt(0)
	v_mul_f64 v[30:31], v[8:9], v[28:29]
	v_mul_f64 v[16:17], v[6:7], v[12:13]
	v_fma_f64 v[14:15], v[6:7], v[10:11], -v[14:15]
	v_fma_f64 v[30:31], v[6:7], v[26:27], -v[30:31]
	v_mul_f64 v[6:7], v[6:7], v[28:29]
	v_fma_f64 v[16:17], v[8:9], v[10:11], v[16:17]
	v_add_f64 v[14:15], v[34:35], v[14:15]
	v_fma_f64 v[6:7], v[8:9], v[26:27], v[6:7]
	v_add_f64 v[8:9], v[38:39], v[30:31]
	ds_read_b128 v[30:33], v25 offset:2160
	v_add_f64 v[16:17], v[16:17], v[36:37]
	s_waitcnt lgkmcnt(0)
	s_barrier
	v_mul_f64 v[34:35], v[32:33], v[12:13]
	v_mul_f64 v[12:13], v[30:31], v[12:13]
	v_add_f64 v[6:7], v[6:7], v[40:41]
	v_fma_f64 v[34:35], v[30:31], v[10:11], -v[34:35]
	v_fma_f64 v[10:11], v[32:33], v[10:11], v[12:13]
	v_mul_f64 v[12:13], v[30:31], v[28:29]
	v_add_f64 v[20:21], v[20:21], v[34:35]
	v_add_f64 v[18:19], v[10:11], v[18:19]
	v_mul_f64 v[10:11], v[32:33], v[28:29]
	v_fma_f64 v[10:11], v[30:31], v[26:27], -v[10:11]
	v_fma_f64 v[26:27], v[32:33], v[26:27], v[12:13]
	v_add_f64 v[12:13], v[42:43], v[10:11]
	v_add_f64 v[10:11], v[26:27], v[44:45]
	s_cbranch_scc0 .LBB233_2
	s_branch .LBB233_4
.LBB233_3:
	v_mov_b32_e32 v14, 0
	v_mov_b32_e32 v16, 0
	v_mov_b32_e32 v8, 0
	v_mov_b32_e32 v6, 0
	v_mov_b32_e32 v20, 0
	v_mov_b32_e32 v18, 0
	v_mov_b32_e32 v12, 0
	v_mov_b32_e32 v10, 0
	v_mov_b32_e32 v15, 0
	v_mov_b32_e32 v17, 0
	v_mov_b32_e32 v9, 0
	v_mov_b32_e32 v7, 0
	v_mov_b32_e32 v21, 0
	v_mov_b32_e32 v19, 0
	v_mov_b32_e32 v13, 0
	v_mov_b32_e32 v11, 0
.LBB233_4:
	s_load_dwordx2 s[0:1], s[4:5], 0x48
	s_load_dword s9, s[4:5], 0x40
	v_add_u32_e32 v4, s7, v1
	v_add_u32_e32 v0, s6, v0
	s_waitcnt lgkmcnt(0)
	s_mul_i32 s1, s1, s8
	s_mul_hi_u32 s4, s0, s8
	s_add_i32 s1, s4, s1
	v_mad_i64_i32 v[1:2], s[4:5], v4, s9, 0
	s_mul_i32 s0, s0, s8
	s_lshl_b64 s[0:1], s[0:1], 4
	s_add_u32 s7, s2, s0
	v_lshlrev_b64 v[1:2], 4, v[1:2]
	s_addc_u32 s8, s3, s1
	v_mov_b32_e32 v3, s8
	v_add_co_u32_e32 v5, vcc, s7, v1
	v_addc_co_u32_e32 v22, vcc, v3, v2, vcc
	v_cmp_le_i32_e64 s[0:1], v4, v0
	v_cmp_gt_i32_e32 vcc, s10, v0
	s_and_b64 s[0:1], s[0:1], vcc
	s_and_saveexec_b64 s[2:3], s[0:1]
	s_cbranch_execz .LBB233_6
; %bb.5:
	v_ashrrev_i32_e32 v1, 31, v0
	v_lshlrev_b64 v[1:2], 4, v[0:1]
	v_add_co_u32_e64 v1, s[0:1], v5, v1
	v_addc_co_u32_e64 v2, s[0:1], v22, v2, s[0:1]
	global_load_dwordx4 v[23:26], v[1:2], off
	s_waitcnt vmcnt(0)
	v_add_f64 v[14:15], v[14:15], v[23:24]
	v_add_f64 v[16:17], v[16:17], v[25:26]
	global_store_dwordx4 v[1:2], v[14:17], off
.LBB233_6:
	s_or_b64 exec, exec, s[2:3]
	v_add_u32_e32 v2, 16, v0
	v_cmp_le_i32_e64 s[2:3], v4, v2
	v_cmp_gt_i32_e64 s[0:1], s10, v2
	s_and_b64 s[2:3], s[2:3], s[0:1]
	s_and_saveexec_b64 s[4:5], s[2:3]
	s_cbranch_execz .LBB233_8
; %bb.7:
	v_ashrrev_i32_e32 v3, 31, v2
	v_lshlrev_b64 v[14:15], 4, v[2:3]
	v_add_co_u32_e64 v23, s[2:3], v5, v14
	v_addc_co_u32_e64 v24, s[2:3], v22, v15, s[2:3]
	global_load_dwordx4 v[14:17], v[23:24], off
	s_waitcnt vmcnt(0)
	v_add_f64 v[14:15], v[8:9], v[14:15]
	v_add_f64 v[16:17], v[6:7], v[16:17]
	global_store_dwordx4 v[23:24], v[14:17], off
.LBB233_8:
	s_or_b64 exec, exec, s[4:5]
	v_add_u32_e32 v3, 16, v4
	v_mad_i64_i32 v[4:5], s[2:3], v3, s9, 0
	v_mov_b32_e32 v1, s8
	v_lshlrev_b64 v[4:5], 4, v[4:5]
	v_add_co_u32_e64 v4, s[2:3], s7, v4
	v_addc_co_u32_e64 v5, s[2:3], v1, v5, s[2:3]
	v_cmp_le_i32_e64 s[2:3], v3, v0
	s_and_b64 s[4:5], s[2:3], vcc
	s_and_saveexec_b64 s[2:3], s[4:5]
	s_cbranch_execz .LBB233_10
; %bb.9:
	v_ashrrev_i32_e32 v1, 31, v0
	v_lshlrev_b64 v[0:1], 4, v[0:1]
	v_add_co_u32_e32 v0, vcc, v4, v0
	v_addc_co_u32_e32 v1, vcc, v5, v1, vcc
	global_load_dwordx4 v[6:9], v[0:1], off
	s_waitcnt vmcnt(0)
	v_add_f64 v[6:7], v[20:21], v[6:7]
	v_add_f64 v[8:9], v[18:19], v[8:9]
	global_store_dwordx4 v[0:1], v[6:9], off
.LBB233_10:
	s_or_b64 exec, exec, s[2:3]
	v_cmp_le_i32_e32 vcc, v3, v2
	s_and_b64 s[0:1], vcc, s[0:1]
	s_and_saveexec_b64 s[2:3], s[0:1]
	s_cbranch_execz .LBB233_12
; %bb.11:
	v_ashrrev_i32_e32 v3, 31, v2
	v_lshlrev_b64 v[0:1], 4, v[2:3]
	v_add_co_u32_e32 v4, vcc, v4, v0
	v_addc_co_u32_e32 v5, vcc, v5, v1, vcc
	global_load_dwordx4 v[0:3], v[4:5], off
	s_waitcnt vmcnt(0)
	v_add_f64 v[0:1], v[12:13], v[0:1]
	v_add_f64 v[2:3], v[10:11], v[2:3]
	global_store_dwordx4 v[4:5], v[0:3], off
.LBB233_12:
	s_endpgm
	.section	.rodata,"a",@progbits
	.p2align	6, 0x0
	.amdhsa_kernel _ZL37rocblas_syrkx_herkx_restricted_kernelIi19rocblas_complex_numIdELi16ELi32ELi8ELi1ELi1ELb0ELc84ELc76EKS1_S1_EviT_PT9_S3_lS5_S3_lPT10_S3_li
		.amdhsa_group_segment_fixed_size 8192
		.amdhsa_private_segment_fixed_size 0
		.amdhsa_kernarg_size 84
		.amdhsa_user_sgpr_count 6
		.amdhsa_user_sgpr_private_segment_buffer 1
		.amdhsa_user_sgpr_dispatch_ptr 0
		.amdhsa_user_sgpr_queue_ptr 0
		.amdhsa_user_sgpr_kernarg_segment_ptr 1
		.amdhsa_user_sgpr_dispatch_id 0
		.amdhsa_user_sgpr_flat_scratch_init 0
		.amdhsa_user_sgpr_private_segment_size 0
		.amdhsa_uses_dynamic_stack 0
		.amdhsa_system_sgpr_private_segment_wavefront_offset 0
		.amdhsa_system_sgpr_workgroup_id_x 1
		.amdhsa_system_sgpr_workgroup_id_y 1
		.amdhsa_system_sgpr_workgroup_id_z 1
		.amdhsa_system_sgpr_workgroup_info 0
		.amdhsa_system_vgpr_workitem_id 1
		.amdhsa_next_free_vgpr 52
		.amdhsa_next_free_sgpr 61
		.amdhsa_reserve_vcc 1
		.amdhsa_reserve_flat_scratch 0
		.amdhsa_float_round_mode_32 0
		.amdhsa_float_round_mode_16_64 0
		.amdhsa_float_denorm_mode_32 3
		.amdhsa_float_denorm_mode_16_64 3
		.amdhsa_dx10_clamp 1
		.amdhsa_ieee_mode 1
		.amdhsa_fp16_overflow 0
		.amdhsa_exception_fp_ieee_invalid_op 0
		.amdhsa_exception_fp_denorm_src 0
		.amdhsa_exception_fp_ieee_div_zero 0
		.amdhsa_exception_fp_ieee_overflow 0
		.amdhsa_exception_fp_ieee_underflow 0
		.amdhsa_exception_fp_ieee_inexact 0
		.amdhsa_exception_int_div_zero 0
	.end_amdhsa_kernel
	.section	.text._ZL37rocblas_syrkx_herkx_restricted_kernelIi19rocblas_complex_numIdELi16ELi32ELi8ELi1ELi1ELb0ELc84ELc76EKS1_S1_EviT_PT9_S3_lS5_S3_lPT10_S3_li,"axG",@progbits,_ZL37rocblas_syrkx_herkx_restricted_kernelIi19rocblas_complex_numIdELi16ELi32ELi8ELi1ELi1ELb0ELc84ELc76EKS1_S1_EviT_PT9_S3_lS5_S3_lPT10_S3_li,comdat
.Lfunc_end233:
	.size	_ZL37rocblas_syrkx_herkx_restricted_kernelIi19rocblas_complex_numIdELi16ELi32ELi8ELi1ELi1ELb0ELc84ELc76EKS1_S1_EviT_PT9_S3_lS5_S3_lPT10_S3_li, .Lfunc_end233-_ZL37rocblas_syrkx_herkx_restricted_kernelIi19rocblas_complex_numIdELi16ELi32ELi8ELi1ELi1ELb0ELc84ELc76EKS1_S1_EviT_PT9_S3_lS5_S3_lPT10_S3_li
                                        ; -- End function
	.set _ZL37rocblas_syrkx_herkx_restricted_kernelIi19rocblas_complex_numIdELi16ELi32ELi8ELi1ELi1ELb0ELc84ELc76EKS1_S1_EviT_PT9_S3_lS5_S3_lPT10_S3_li.num_vgpr, 52
	.set _ZL37rocblas_syrkx_herkx_restricted_kernelIi19rocblas_complex_numIdELi16ELi32ELi8ELi1ELi1ELb0ELc84ELc76EKS1_S1_EviT_PT9_S3_lS5_S3_lPT10_S3_li.num_agpr, 0
	.set _ZL37rocblas_syrkx_herkx_restricted_kernelIi19rocblas_complex_numIdELi16ELi32ELi8ELi1ELi1ELb0ELc84ELc76EKS1_S1_EviT_PT9_S3_lS5_S3_lPT10_S3_li.numbered_sgpr, 22
	.set _ZL37rocblas_syrkx_herkx_restricted_kernelIi19rocblas_complex_numIdELi16ELi32ELi8ELi1ELi1ELb0ELc84ELc76EKS1_S1_EviT_PT9_S3_lS5_S3_lPT10_S3_li.num_named_barrier, 0
	.set _ZL37rocblas_syrkx_herkx_restricted_kernelIi19rocblas_complex_numIdELi16ELi32ELi8ELi1ELi1ELb0ELc84ELc76EKS1_S1_EviT_PT9_S3_lS5_S3_lPT10_S3_li.private_seg_size, 0
	.set _ZL37rocblas_syrkx_herkx_restricted_kernelIi19rocblas_complex_numIdELi16ELi32ELi8ELi1ELi1ELb0ELc84ELc76EKS1_S1_EviT_PT9_S3_lS5_S3_lPT10_S3_li.uses_vcc, 1
	.set _ZL37rocblas_syrkx_herkx_restricted_kernelIi19rocblas_complex_numIdELi16ELi32ELi8ELi1ELi1ELb0ELc84ELc76EKS1_S1_EviT_PT9_S3_lS5_S3_lPT10_S3_li.uses_flat_scratch, 0
	.set _ZL37rocblas_syrkx_herkx_restricted_kernelIi19rocblas_complex_numIdELi16ELi32ELi8ELi1ELi1ELb0ELc84ELc76EKS1_S1_EviT_PT9_S3_lS5_S3_lPT10_S3_li.has_dyn_sized_stack, 0
	.set _ZL37rocblas_syrkx_herkx_restricted_kernelIi19rocblas_complex_numIdELi16ELi32ELi8ELi1ELi1ELb0ELc84ELc76EKS1_S1_EviT_PT9_S3_lS5_S3_lPT10_S3_li.has_recursion, 0
	.set _ZL37rocblas_syrkx_herkx_restricted_kernelIi19rocblas_complex_numIdELi16ELi32ELi8ELi1ELi1ELb0ELc84ELc76EKS1_S1_EviT_PT9_S3_lS5_S3_lPT10_S3_li.has_indirect_call, 0
	.section	.AMDGPU.csdata,"",@progbits
; Kernel info:
; codeLenInByte = 2876
; TotalNumSgprs: 26
; NumVgprs: 52
; ScratchSize: 0
; MemoryBound: 0
; FloatMode: 240
; IeeeMode: 1
; LDSByteSize: 8192 bytes/workgroup (compile time only)
; SGPRBlocks: 8
; VGPRBlocks: 12
; NumSGPRsForWavesPerEU: 65
; NumVGPRsForWavesPerEU: 52
; Occupancy: 4
; WaveLimiterHint : 0
; COMPUTE_PGM_RSRC2:SCRATCH_EN: 0
; COMPUTE_PGM_RSRC2:USER_SGPR: 6
; COMPUTE_PGM_RSRC2:TRAP_HANDLER: 0
; COMPUTE_PGM_RSRC2:TGID_X_EN: 1
; COMPUTE_PGM_RSRC2:TGID_Y_EN: 1
; COMPUTE_PGM_RSRC2:TGID_Z_EN: 1
; COMPUTE_PGM_RSRC2:TIDIG_COMP_CNT: 1
	.section	.text._ZL37rocblas_syrkx_herkx_restricted_kernelIi19rocblas_complex_numIdELi16ELi32ELi8ELi1ELi1ELb0ELc67ELc76EKS1_S1_EviT_PT9_S3_lS5_S3_lPT10_S3_li,"axG",@progbits,_ZL37rocblas_syrkx_herkx_restricted_kernelIi19rocblas_complex_numIdELi16ELi32ELi8ELi1ELi1ELb0ELc67ELc76EKS1_S1_EviT_PT9_S3_lS5_S3_lPT10_S3_li,comdat
	.globl	_ZL37rocblas_syrkx_herkx_restricted_kernelIi19rocblas_complex_numIdELi16ELi32ELi8ELi1ELi1ELb0ELc67ELc76EKS1_S1_EviT_PT9_S3_lS5_S3_lPT10_S3_li ; -- Begin function _ZL37rocblas_syrkx_herkx_restricted_kernelIi19rocblas_complex_numIdELi16ELi32ELi8ELi1ELi1ELb0ELc67ELc76EKS1_S1_EviT_PT9_S3_lS5_S3_lPT10_S3_li
	.p2align	8
	.type	_ZL37rocblas_syrkx_herkx_restricted_kernelIi19rocblas_complex_numIdELi16ELi32ELi8ELi1ELi1ELb0ELc67ELc76EKS1_S1_EviT_PT9_S3_lS5_S3_lPT10_S3_li,@function
_ZL37rocblas_syrkx_herkx_restricted_kernelIi19rocblas_complex_numIdELi16ELi32ELi8ELi1ELi1ELb0ELc67ELc76EKS1_S1_EviT_PT9_S3_lS5_S3_lPT10_S3_li: ; @_ZL37rocblas_syrkx_herkx_restricted_kernelIi19rocblas_complex_numIdELi16ELi32ELi8ELi1ELi1ELb0ELc67ELc76EKS1_S1_EviT_PT9_S3_lS5_S3_lPT10_S3_li
; %bb.0:
	s_load_dwordx2 s[10:11], s[4:5], 0x0
	s_load_dwordx4 s[0:3], s[4:5], 0x30
	s_lshl_b32 s6, s6, 5
	s_lshl_b32 s7, s7, 5
	s_mov_b32 s9, 0
	s_waitcnt lgkmcnt(0)
	s_cmp_lt_i32 s11, 1
	s_cbranch_scc1 .LBB234_3
; %bb.1:
	s_load_dwordx2 s[16:17], s[4:5], 0x8
	s_load_dword s20, s[4:5], 0x10
	s_load_dwordx4 s[12:15], s[4:5], 0x18
	s_load_dword s18, s[4:5], 0x28
	v_lshl_add_u32 v6, v1, 4, v0
	v_lshrrev_b32_e32 v8, 3, v6
	v_add_u32_e32 v4, s7, v8
	v_and_b32_e32 v2, 7, v0
	v_mov_b32_e32 v3, 0
	s_waitcnt lgkmcnt(0)
	v_mad_i64_i32 v[4:5], s[18:19], s18, v4, v[2:3]
	v_lshlrev_b32_e32 v2, 4, v2
	v_lshl_or_b32 v2, v8, 7, v2
	v_and_b32_e32 v9, 31, v6
	v_add_u32_e32 v23, 0x1000, v2
	v_mov_b32_e32 v2, 0x1000
	v_lshrrev_b32_e32 v6, 5, v6
	v_mov_b32_e32 v7, v3
	v_lshlrev_b32_e32 v3, 4, v9
	v_lshl_add_u32 v25, v1, 7, v2
	v_add_u32_e32 v2, s6, v9
	v_lshl_or_b32 v22, v6, 9, v3
	v_mad_i64_i32 v[2:3], s[18:19], s20, v2, v[6:7]
	s_mul_i32 s13, s13, s8
	s_mul_hi_u32 s21, s12, s8
	s_add_i32 s13, s21, s13
	s_mul_i32 s12, s12, s8
	s_lshl_b64 s[12:13], s[12:13], 4
	v_lshlrev_b64 v[2:3], 4, v[2:3]
	s_add_u32 s12, s16, s12
	s_addc_u32 s13, s17, s13
	v_add_co_u32_e32 v2, vcc, s12, v2
	s_mul_i32 s1, s1, s8
	s_mul_hi_u32 s12, s0, s8
	v_mov_b32_e32 v6, s13
	s_add_i32 s1, s12, s1
	s_mul_i32 s0, s0, s8
	v_addc_co_u32_e32 v3, vcc, v6, v3, vcc
	s_lshl_b64 s[0:1], s[0:1], 4
	v_add_co_u32_e32 v2, vcc, 8, v2
	v_lshlrev_b64 v[4:5], 4, v[4:5]
	s_add_u32 s0, s14, s0
	v_addc_co_u32_e32 v3, vcc, 0, v3, vcc
	s_addc_u32 s1, s15, s1
	v_mov_b32_e32 v6, s1
	v_add_co_u32_e32 v4, vcc, s0, v4
	v_addc_co_u32_e32 v5, vcc, v6, v5, vcc
	v_mov_b32_e32 v10, 0
	v_mov_b32_e32 v12, 0
	;; [unrolled: 1-line block ×8, first 2 shown]
	v_add_co_u32_e32 v4, vcc, 8, v4
	v_lshlrev_b32_e32 v24, 4, v0
	v_mov_b32_e32 v11, 0
	v_mov_b32_e32 v13, 0
	;; [unrolled: 1-line block ×8, first 2 shown]
	v_addc_co_u32_e32 v5, vcc, 0, v5, vcc
.LBB234_2:                              ; =>This Inner Loop Header: Depth=1
	global_load_dwordx4 v[26:29], v[2:3], off offset:-8
	v_add_co_u32_e32 v2, vcc, 0x80, v2
	v_addc_co_u32_e32 v3, vcc, 0, v3, vcc
	s_add_i32 s9, s9, 8
	s_cmp_ge_i32 s9, s11
	s_waitcnt vmcnt(0)
	ds_write_b128 v22, v[26:29]
	global_load_dwordx4 v[26:29], v[4:5], off offset:-8
	v_add_co_u32_e32 v4, vcc, 0x80, v4
	v_addc_co_u32_e32 v5, vcc, 0, v5, vcc
	s_waitcnt vmcnt(0)
	ds_write_b128 v23, v[26:29]
	s_waitcnt lgkmcnt(0)
	s_barrier
	ds_read_b128 v[26:29], v25
	ds_read_b128 v[30:33], v25 offset:16
	ds_read_b128 v[34:37], v25 offset:32
	;; [unrolled: 1-line block ×3, first 2 shown]
	ds_read_b128 v[42:45], v24
	s_waitcnt lgkmcnt(0)
	v_mul_f64 v[46:47], v[28:29], v[44:45]
	v_mul_f64 v[48:49], v[26:27], v[44:45]
	v_fma_f64 v[46:47], v[26:27], v[42:43], -v[46:47]
	v_fma_f64 v[48:49], v[28:29], v[42:43], v[48:49]
	v_add_f64 v[46:47], v[14:15], v[46:47]
	v_add_f64 v[48:49], v[48:49], v[16:17]
	ds_read_b128 v[14:17], v24 offset:256
	s_waitcnt lgkmcnt(0)
	v_mul_f64 v[50:51], v[28:29], v[16:17]
	v_fma_f64 v[50:51], v[26:27], v[14:15], -v[50:51]
	v_mul_f64 v[26:27], v[26:27], v[16:17]
	v_fma_f64 v[26:27], v[28:29], v[14:15], v[26:27]
	v_add_f64 v[28:29], v[8:9], v[50:51]
	v_add_f64 v[26:27], v[26:27], v[6:7]
	ds_read_b128 v[6:9], v25 offset:2048
	s_waitcnt lgkmcnt(0)
	v_mul_f64 v[50:51], v[8:9], v[44:45]
	v_mul_f64 v[44:45], v[6:7], v[44:45]
	v_fma_f64 v[50:51], v[6:7], v[42:43], -v[50:51]
	v_fma_f64 v[42:43], v[8:9], v[42:43], v[44:45]
	v_add_f64 v[20:21], v[20:21], v[50:51]
	v_add_f64 v[18:19], v[42:43], v[18:19]
	v_mul_f64 v[42:43], v[8:9], v[16:17]
	v_fma_f64 v[42:43], v[6:7], v[14:15], -v[42:43]
	v_mul_f64 v[6:7], v[6:7], v[16:17]
	v_add_f64 v[42:43], v[12:13], v[42:43]
	v_fma_f64 v[6:7], v[8:9], v[14:15], v[6:7]
	v_add_f64 v[44:45], v[6:7], v[10:11]
	ds_read_b128 v[6:9], v24 offset:512
	s_waitcnt lgkmcnt(0)
	v_mul_f64 v[10:11], v[32:33], v[8:9]
	v_mul_f64 v[12:13], v[30:31], v[8:9]
	v_fma_f64 v[10:11], v[30:31], v[6:7], -v[10:11]
	v_fma_f64 v[12:13], v[32:33], v[6:7], v[12:13]
	v_add_f64 v[46:47], v[46:47], v[10:11]
	v_add_f64 v[48:49], v[12:13], v[48:49]
	ds_read_b128 v[10:13], v24 offset:768
	s_waitcnt lgkmcnt(0)
	v_mul_f64 v[14:15], v[32:33], v[12:13]
	v_mul_f64 v[16:17], v[30:31], v[12:13]
	v_fma_f64 v[14:15], v[30:31], v[10:11], -v[14:15]
	v_fma_f64 v[16:17], v[32:33], v[10:11], v[16:17]
	v_add_f64 v[28:29], v[28:29], v[14:15]
	v_add_f64 v[26:27], v[16:17], v[26:27]
	ds_read_b128 v[14:17], v25 offset:2064
	s_waitcnt lgkmcnt(0)
	v_mul_f64 v[30:31], v[16:17], v[8:9]
	v_mul_f64 v[8:9], v[14:15], v[8:9]
	v_fma_f64 v[30:31], v[14:15], v[6:7], -v[30:31]
	v_fma_f64 v[6:7], v[16:17], v[6:7], v[8:9]
	v_mul_f64 v[8:9], v[14:15], v[12:13]
	v_add_f64 v[20:21], v[20:21], v[30:31]
	v_add_f64 v[18:19], v[6:7], v[18:19]
	v_mul_f64 v[6:7], v[16:17], v[12:13]
	v_fma_f64 v[8:9], v[16:17], v[10:11], v[8:9]
	v_fma_f64 v[6:7], v[14:15], v[10:11], -v[6:7]
	v_add_f64 v[32:33], v[8:9], v[44:45]
	v_add_f64 v[30:31], v[42:43], v[6:7]
	ds_read_b128 v[6:9], v24 offset:1024
	s_waitcnt lgkmcnt(0)
	v_mul_f64 v[10:11], v[36:37], v[8:9]
	v_mul_f64 v[12:13], v[34:35], v[8:9]
	v_fma_f64 v[10:11], v[34:35], v[6:7], -v[10:11]
	v_fma_f64 v[12:13], v[36:37], v[6:7], v[12:13]
	v_add_f64 v[42:43], v[46:47], v[10:11]
	v_add_f64 v[44:45], v[12:13], v[48:49]
	ds_read_b128 v[10:13], v24 offset:1280
	s_waitcnt lgkmcnt(0)
	v_mul_f64 v[14:15], v[36:37], v[12:13]
	v_mul_f64 v[16:17], v[34:35], v[12:13]
	v_fma_f64 v[14:15], v[34:35], v[10:11], -v[14:15]
	v_fma_f64 v[16:17], v[36:37], v[10:11], v[16:17]
	v_add_f64 v[28:29], v[28:29], v[14:15]
	v_add_f64 v[26:27], v[16:17], v[26:27]
	ds_read_b128 v[14:17], v25 offset:2080
	s_waitcnt lgkmcnt(0)
	v_mul_f64 v[34:35], v[16:17], v[8:9]
	v_mul_f64 v[8:9], v[14:15], v[8:9]
	v_fma_f64 v[34:35], v[14:15], v[6:7], -v[34:35]
	v_fma_f64 v[6:7], v[16:17], v[6:7], v[8:9]
	v_mul_f64 v[8:9], v[14:15], v[12:13]
	v_add_f64 v[20:21], v[20:21], v[34:35]
	v_add_f64 v[18:19], v[6:7], v[18:19]
	v_mul_f64 v[6:7], v[16:17], v[12:13]
	v_fma_f64 v[8:9], v[16:17], v[10:11], v[8:9]
	v_fma_f64 v[6:7], v[14:15], v[10:11], -v[6:7]
	v_add_f64 v[32:33], v[8:9], v[32:33]
	;; [unrolled: 30-line block ×3, first 2 shown]
	v_add_f64 v[30:31], v[30:31], v[6:7]
	ds_read_b128 v[6:9], v25 offset:64
	ds_read_b128 v[10:13], v24 offset:2048
	s_waitcnt lgkmcnt(0)
	v_mul_f64 v[14:15], v[8:9], v[12:13]
	v_mul_f64 v[16:17], v[6:7], v[12:13]
	v_fma_f64 v[14:15], v[6:7], v[10:11], -v[14:15]
	v_fma_f64 v[16:17], v[8:9], v[10:11], v[16:17]
	v_add_f64 v[34:35], v[34:35], v[14:15]
	v_add_f64 v[36:37], v[16:17], v[36:37]
	ds_read_b128 v[14:17], v24 offset:2304
	s_waitcnt lgkmcnt(0)
	v_mul_f64 v[38:39], v[8:9], v[16:17]
	v_fma_f64 v[38:39], v[6:7], v[14:15], -v[38:39]
	v_mul_f64 v[6:7], v[6:7], v[16:17]
	v_add_f64 v[28:29], v[28:29], v[38:39]
	v_fma_f64 v[6:7], v[8:9], v[14:15], v[6:7]
	v_add_f64 v[26:27], v[6:7], v[26:27]
	ds_read_b128 v[6:9], v25 offset:2112
	s_waitcnt lgkmcnt(0)
	v_mul_f64 v[38:39], v[8:9], v[12:13]
	v_mul_f64 v[12:13], v[6:7], v[12:13]
	v_fma_f64 v[38:39], v[6:7], v[10:11], -v[38:39]
	v_fma_f64 v[10:11], v[8:9], v[10:11], v[12:13]
	v_add_f64 v[20:21], v[20:21], v[38:39]
	v_add_f64 v[18:19], v[10:11], v[18:19]
	v_mul_f64 v[10:11], v[8:9], v[16:17]
	v_fma_f64 v[10:11], v[6:7], v[14:15], -v[10:11]
	v_mul_f64 v[6:7], v[6:7], v[16:17]
	v_add_f64 v[30:31], v[30:31], v[10:11]
	v_fma_f64 v[6:7], v[8:9], v[14:15], v[6:7]
	v_add_f64 v[32:33], v[6:7], v[32:33]
	ds_read_b128 v[6:9], v25 offset:80
	ds_read_b128 v[10:13], v24 offset:2560
	s_waitcnt lgkmcnt(0)
	v_mul_f64 v[14:15], v[8:9], v[12:13]
	v_mul_f64 v[16:17], v[6:7], v[12:13]
	v_fma_f64 v[14:15], v[6:7], v[10:11], -v[14:15]
	v_fma_f64 v[16:17], v[8:9], v[10:11], v[16:17]
	v_add_f64 v[34:35], v[34:35], v[14:15]
	v_add_f64 v[36:37], v[16:17], v[36:37]
	ds_read_b128 v[14:17], v24 offset:2816
	s_waitcnt lgkmcnt(0)
	v_mul_f64 v[38:39], v[8:9], v[16:17]
	v_fma_f64 v[38:39], v[6:7], v[14:15], -v[38:39]
	v_mul_f64 v[6:7], v[6:7], v[16:17]
	v_add_f64 v[28:29], v[28:29], v[38:39]
	v_fma_f64 v[6:7], v[8:9], v[14:15], v[6:7]
	v_add_f64 v[26:27], v[6:7], v[26:27]
	ds_read_b128 v[6:9], v25 offset:2128
	s_waitcnt lgkmcnt(0)
	v_mul_f64 v[38:39], v[8:9], v[12:13]
	v_mul_f64 v[12:13], v[6:7], v[12:13]
	v_fma_f64 v[38:39], v[6:7], v[10:11], -v[38:39]
	v_fma_f64 v[10:11], v[8:9], v[10:11], v[12:13]
	v_add_f64 v[20:21], v[20:21], v[38:39]
	v_add_f64 v[18:19], v[10:11], v[18:19]
	v_mul_f64 v[10:11], v[8:9], v[16:17]
	v_fma_f64 v[10:11], v[6:7], v[14:15], -v[10:11]
	v_mul_f64 v[6:7], v[6:7], v[16:17]
	v_add_f64 v[30:31], v[30:31], v[10:11]
	v_fma_f64 v[6:7], v[8:9], v[14:15], v[6:7]
	;; [unrolled: 31-line block ×3, first 2 shown]
	v_add_f64 v[44:45], v[6:7], v[32:33]
	ds_read_b128 v[6:9], v25 offset:112
	ds_read_b128 v[10:13], v24 offset:3584
	ds_read_b128 v[26:29], v24 offset:3840
	s_waitcnt lgkmcnt(1)
	v_mul_f64 v[14:15], v[8:9], v[12:13]
	s_waitcnt lgkmcnt(0)
	v_mul_f64 v[30:31], v[8:9], v[28:29]
	v_mul_f64 v[16:17], v[6:7], v[12:13]
	v_fma_f64 v[14:15], v[6:7], v[10:11], -v[14:15]
	v_fma_f64 v[30:31], v[6:7], v[26:27], -v[30:31]
	v_mul_f64 v[6:7], v[6:7], v[28:29]
	v_fma_f64 v[16:17], v[8:9], v[10:11], v[16:17]
	v_add_f64 v[14:15], v[34:35], v[14:15]
	v_fma_f64 v[6:7], v[8:9], v[26:27], v[6:7]
	v_add_f64 v[8:9], v[38:39], v[30:31]
	ds_read_b128 v[30:33], v25 offset:2160
	v_add_f64 v[16:17], v[16:17], v[36:37]
	s_waitcnt lgkmcnt(0)
	s_barrier
	v_mul_f64 v[34:35], v[32:33], v[12:13]
	v_mul_f64 v[12:13], v[30:31], v[12:13]
	v_add_f64 v[6:7], v[6:7], v[40:41]
	v_fma_f64 v[34:35], v[30:31], v[10:11], -v[34:35]
	v_fma_f64 v[10:11], v[32:33], v[10:11], v[12:13]
	v_mul_f64 v[12:13], v[30:31], v[28:29]
	v_add_f64 v[20:21], v[20:21], v[34:35]
	v_add_f64 v[18:19], v[10:11], v[18:19]
	v_mul_f64 v[10:11], v[32:33], v[28:29]
	v_fma_f64 v[10:11], v[30:31], v[26:27], -v[10:11]
	v_fma_f64 v[26:27], v[32:33], v[26:27], v[12:13]
	v_add_f64 v[12:13], v[42:43], v[10:11]
	v_add_f64 v[10:11], v[26:27], v[44:45]
	s_cbranch_scc0 .LBB234_2
	s_branch .LBB234_4
.LBB234_3:
	v_mov_b32_e32 v14, 0
	v_mov_b32_e32 v16, 0
	;; [unrolled: 1-line block ×16, first 2 shown]
.LBB234_4:
	s_load_dwordx2 s[0:1], s[4:5], 0x48
	s_load_dword s9, s[4:5], 0x40
	v_add_u32_e32 v4, s7, v1
	v_add_u32_e32 v0, s6, v0
	s_waitcnt lgkmcnt(0)
	s_mul_i32 s1, s1, s8
	s_mul_hi_u32 s4, s0, s8
	s_add_i32 s1, s4, s1
	v_mad_i64_i32 v[1:2], s[4:5], v4, s9, 0
	s_mul_i32 s0, s0, s8
	s_lshl_b64 s[0:1], s[0:1], 4
	s_add_u32 s7, s2, s0
	v_lshlrev_b64 v[1:2], 4, v[1:2]
	s_addc_u32 s8, s3, s1
	v_mov_b32_e32 v3, s8
	v_add_co_u32_e32 v5, vcc, s7, v1
	v_addc_co_u32_e32 v22, vcc, v3, v2, vcc
	v_cmp_le_i32_e64 s[0:1], v4, v0
	v_cmp_gt_i32_e32 vcc, s10, v0
	s_and_b64 s[0:1], s[0:1], vcc
	s_and_saveexec_b64 s[2:3], s[0:1]
	s_cbranch_execz .LBB234_6
; %bb.5:
	v_ashrrev_i32_e32 v1, 31, v0
	v_lshlrev_b64 v[1:2], 4, v[0:1]
	v_add_co_u32_e64 v1, s[0:1], v5, v1
	v_addc_co_u32_e64 v2, s[0:1], v22, v2, s[0:1]
	global_load_dwordx4 v[23:26], v[1:2], off
	s_waitcnt vmcnt(0)
	v_add_f64 v[14:15], v[14:15], v[23:24]
	v_add_f64 v[16:17], v[16:17], v[25:26]
	global_store_dwordx4 v[1:2], v[14:17], off
.LBB234_6:
	s_or_b64 exec, exec, s[2:3]
	v_add_u32_e32 v2, 16, v0
	v_cmp_le_i32_e64 s[2:3], v4, v2
	v_cmp_gt_i32_e64 s[0:1], s10, v2
	s_and_b64 s[2:3], s[2:3], s[0:1]
	s_and_saveexec_b64 s[4:5], s[2:3]
	s_cbranch_execz .LBB234_8
; %bb.7:
	v_ashrrev_i32_e32 v3, 31, v2
	v_lshlrev_b64 v[14:15], 4, v[2:3]
	v_add_co_u32_e64 v23, s[2:3], v5, v14
	v_addc_co_u32_e64 v24, s[2:3], v22, v15, s[2:3]
	global_load_dwordx4 v[14:17], v[23:24], off
	s_waitcnt vmcnt(0)
	v_add_f64 v[14:15], v[8:9], v[14:15]
	v_add_f64 v[16:17], v[6:7], v[16:17]
	global_store_dwordx4 v[23:24], v[14:17], off
.LBB234_8:
	s_or_b64 exec, exec, s[4:5]
	v_add_u32_e32 v3, 16, v4
	v_mad_i64_i32 v[4:5], s[2:3], v3, s9, 0
	v_mov_b32_e32 v1, s8
	v_lshlrev_b64 v[4:5], 4, v[4:5]
	v_add_co_u32_e64 v4, s[2:3], s7, v4
	v_addc_co_u32_e64 v5, s[2:3], v1, v5, s[2:3]
	v_cmp_le_i32_e64 s[2:3], v3, v0
	s_and_b64 s[4:5], s[2:3], vcc
	s_and_saveexec_b64 s[2:3], s[4:5]
	s_cbranch_execz .LBB234_10
; %bb.9:
	v_ashrrev_i32_e32 v1, 31, v0
	v_lshlrev_b64 v[0:1], 4, v[0:1]
	v_add_co_u32_e32 v0, vcc, v4, v0
	v_addc_co_u32_e32 v1, vcc, v5, v1, vcc
	global_load_dwordx4 v[6:9], v[0:1], off
	s_waitcnt vmcnt(0)
	v_add_f64 v[6:7], v[20:21], v[6:7]
	v_add_f64 v[8:9], v[18:19], v[8:9]
	global_store_dwordx4 v[0:1], v[6:9], off
.LBB234_10:
	s_or_b64 exec, exec, s[2:3]
	v_cmp_le_i32_e32 vcc, v3, v2
	s_and_b64 s[0:1], vcc, s[0:1]
	s_and_saveexec_b64 s[2:3], s[0:1]
	s_cbranch_execz .LBB234_12
; %bb.11:
	v_ashrrev_i32_e32 v3, 31, v2
	v_lshlrev_b64 v[0:1], 4, v[2:3]
	v_add_co_u32_e32 v4, vcc, v4, v0
	v_addc_co_u32_e32 v5, vcc, v5, v1, vcc
	global_load_dwordx4 v[0:3], v[4:5], off
	s_waitcnt vmcnt(0)
	v_add_f64 v[0:1], v[12:13], v[0:1]
	v_add_f64 v[2:3], v[10:11], v[2:3]
	global_store_dwordx4 v[4:5], v[0:3], off
.LBB234_12:
	s_endpgm
	.section	.rodata,"a",@progbits
	.p2align	6, 0x0
	.amdhsa_kernel _ZL37rocblas_syrkx_herkx_restricted_kernelIi19rocblas_complex_numIdELi16ELi32ELi8ELi1ELi1ELb0ELc67ELc76EKS1_S1_EviT_PT9_S3_lS5_S3_lPT10_S3_li
		.amdhsa_group_segment_fixed_size 8192
		.amdhsa_private_segment_fixed_size 0
		.amdhsa_kernarg_size 84
		.amdhsa_user_sgpr_count 6
		.amdhsa_user_sgpr_private_segment_buffer 1
		.amdhsa_user_sgpr_dispatch_ptr 0
		.amdhsa_user_sgpr_queue_ptr 0
		.amdhsa_user_sgpr_kernarg_segment_ptr 1
		.amdhsa_user_sgpr_dispatch_id 0
		.amdhsa_user_sgpr_flat_scratch_init 0
		.amdhsa_user_sgpr_private_segment_size 0
		.amdhsa_uses_dynamic_stack 0
		.amdhsa_system_sgpr_private_segment_wavefront_offset 0
		.amdhsa_system_sgpr_workgroup_id_x 1
		.amdhsa_system_sgpr_workgroup_id_y 1
		.amdhsa_system_sgpr_workgroup_id_z 1
		.amdhsa_system_sgpr_workgroup_info 0
		.amdhsa_system_vgpr_workitem_id 1
		.amdhsa_next_free_vgpr 52
		.amdhsa_next_free_sgpr 61
		.amdhsa_reserve_vcc 1
		.amdhsa_reserve_flat_scratch 0
		.amdhsa_float_round_mode_32 0
		.amdhsa_float_round_mode_16_64 0
		.amdhsa_float_denorm_mode_32 3
		.amdhsa_float_denorm_mode_16_64 3
		.amdhsa_dx10_clamp 1
		.amdhsa_ieee_mode 1
		.amdhsa_fp16_overflow 0
		.amdhsa_exception_fp_ieee_invalid_op 0
		.amdhsa_exception_fp_denorm_src 0
		.amdhsa_exception_fp_ieee_div_zero 0
		.amdhsa_exception_fp_ieee_overflow 0
		.amdhsa_exception_fp_ieee_underflow 0
		.amdhsa_exception_fp_ieee_inexact 0
		.amdhsa_exception_int_div_zero 0
	.end_amdhsa_kernel
	.section	.text._ZL37rocblas_syrkx_herkx_restricted_kernelIi19rocblas_complex_numIdELi16ELi32ELi8ELi1ELi1ELb0ELc67ELc76EKS1_S1_EviT_PT9_S3_lS5_S3_lPT10_S3_li,"axG",@progbits,_ZL37rocblas_syrkx_herkx_restricted_kernelIi19rocblas_complex_numIdELi16ELi32ELi8ELi1ELi1ELb0ELc67ELc76EKS1_S1_EviT_PT9_S3_lS5_S3_lPT10_S3_li,comdat
.Lfunc_end234:
	.size	_ZL37rocblas_syrkx_herkx_restricted_kernelIi19rocblas_complex_numIdELi16ELi32ELi8ELi1ELi1ELb0ELc67ELc76EKS1_S1_EviT_PT9_S3_lS5_S3_lPT10_S3_li, .Lfunc_end234-_ZL37rocblas_syrkx_herkx_restricted_kernelIi19rocblas_complex_numIdELi16ELi32ELi8ELi1ELi1ELb0ELc67ELc76EKS1_S1_EviT_PT9_S3_lS5_S3_lPT10_S3_li
                                        ; -- End function
	.set _ZL37rocblas_syrkx_herkx_restricted_kernelIi19rocblas_complex_numIdELi16ELi32ELi8ELi1ELi1ELb0ELc67ELc76EKS1_S1_EviT_PT9_S3_lS5_S3_lPT10_S3_li.num_vgpr, 52
	.set _ZL37rocblas_syrkx_herkx_restricted_kernelIi19rocblas_complex_numIdELi16ELi32ELi8ELi1ELi1ELb0ELc67ELc76EKS1_S1_EviT_PT9_S3_lS5_S3_lPT10_S3_li.num_agpr, 0
	.set _ZL37rocblas_syrkx_herkx_restricted_kernelIi19rocblas_complex_numIdELi16ELi32ELi8ELi1ELi1ELb0ELc67ELc76EKS1_S1_EviT_PT9_S3_lS5_S3_lPT10_S3_li.numbered_sgpr, 22
	.set _ZL37rocblas_syrkx_herkx_restricted_kernelIi19rocblas_complex_numIdELi16ELi32ELi8ELi1ELi1ELb0ELc67ELc76EKS1_S1_EviT_PT9_S3_lS5_S3_lPT10_S3_li.num_named_barrier, 0
	.set _ZL37rocblas_syrkx_herkx_restricted_kernelIi19rocblas_complex_numIdELi16ELi32ELi8ELi1ELi1ELb0ELc67ELc76EKS1_S1_EviT_PT9_S3_lS5_S3_lPT10_S3_li.private_seg_size, 0
	.set _ZL37rocblas_syrkx_herkx_restricted_kernelIi19rocblas_complex_numIdELi16ELi32ELi8ELi1ELi1ELb0ELc67ELc76EKS1_S1_EviT_PT9_S3_lS5_S3_lPT10_S3_li.uses_vcc, 1
	.set _ZL37rocblas_syrkx_herkx_restricted_kernelIi19rocblas_complex_numIdELi16ELi32ELi8ELi1ELi1ELb0ELc67ELc76EKS1_S1_EviT_PT9_S3_lS5_S3_lPT10_S3_li.uses_flat_scratch, 0
	.set _ZL37rocblas_syrkx_herkx_restricted_kernelIi19rocblas_complex_numIdELi16ELi32ELi8ELi1ELi1ELb0ELc67ELc76EKS1_S1_EviT_PT9_S3_lS5_S3_lPT10_S3_li.has_dyn_sized_stack, 0
	.set _ZL37rocblas_syrkx_herkx_restricted_kernelIi19rocblas_complex_numIdELi16ELi32ELi8ELi1ELi1ELb0ELc67ELc76EKS1_S1_EviT_PT9_S3_lS5_S3_lPT10_S3_li.has_recursion, 0
	.set _ZL37rocblas_syrkx_herkx_restricted_kernelIi19rocblas_complex_numIdELi16ELi32ELi8ELi1ELi1ELb0ELc67ELc76EKS1_S1_EviT_PT9_S3_lS5_S3_lPT10_S3_li.has_indirect_call, 0
	.section	.AMDGPU.csdata,"",@progbits
; Kernel info:
; codeLenInByte = 2876
; TotalNumSgprs: 26
; NumVgprs: 52
; ScratchSize: 0
; MemoryBound: 0
; FloatMode: 240
; IeeeMode: 1
; LDSByteSize: 8192 bytes/workgroup (compile time only)
; SGPRBlocks: 8
; VGPRBlocks: 12
; NumSGPRsForWavesPerEU: 65
; NumVGPRsForWavesPerEU: 52
; Occupancy: 4
; WaveLimiterHint : 0
; COMPUTE_PGM_RSRC2:SCRATCH_EN: 0
; COMPUTE_PGM_RSRC2:USER_SGPR: 6
; COMPUTE_PGM_RSRC2:TRAP_HANDLER: 0
; COMPUTE_PGM_RSRC2:TGID_X_EN: 1
; COMPUTE_PGM_RSRC2:TGID_Y_EN: 1
; COMPUTE_PGM_RSRC2:TGID_Z_EN: 1
; COMPUTE_PGM_RSRC2:TIDIG_COMP_CNT: 1
	.section	.text._ZL37rocblas_syrkx_herkx_restricted_kernelIi19rocblas_complex_numIdELi16ELi32ELi8ELi1ELi1ELb0ELc78ELc76EKS1_S1_EviT_PT9_S3_lS5_S3_lPT10_S3_li,"axG",@progbits,_ZL37rocblas_syrkx_herkx_restricted_kernelIi19rocblas_complex_numIdELi16ELi32ELi8ELi1ELi1ELb0ELc78ELc76EKS1_S1_EviT_PT9_S3_lS5_S3_lPT10_S3_li,comdat
	.globl	_ZL37rocblas_syrkx_herkx_restricted_kernelIi19rocblas_complex_numIdELi16ELi32ELi8ELi1ELi1ELb0ELc78ELc76EKS1_S1_EviT_PT9_S3_lS5_S3_lPT10_S3_li ; -- Begin function _ZL37rocblas_syrkx_herkx_restricted_kernelIi19rocblas_complex_numIdELi16ELi32ELi8ELi1ELi1ELb0ELc78ELc76EKS1_S1_EviT_PT9_S3_lS5_S3_lPT10_S3_li
	.p2align	8
	.type	_ZL37rocblas_syrkx_herkx_restricted_kernelIi19rocblas_complex_numIdELi16ELi32ELi8ELi1ELi1ELb0ELc78ELc76EKS1_S1_EviT_PT9_S3_lS5_S3_lPT10_S3_li,@function
_ZL37rocblas_syrkx_herkx_restricted_kernelIi19rocblas_complex_numIdELi16ELi32ELi8ELi1ELi1ELb0ELc78ELc76EKS1_S1_EviT_PT9_S3_lS5_S3_lPT10_S3_li: ; @_ZL37rocblas_syrkx_herkx_restricted_kernelIi19rocblas_complex_numIdELi16ELi32ELi8ELi1ELi1ELb0ELc78ELc76EKS1_S1_EviT_PT9_S3_lS5_S3_lPT10_S3_li
; %bb.0:
	s_load_dwordx2 s[10:11], s[4:5], 0x0
	s_load_dwordx4 s[0:3], s[4:5], 0x30
	s_lshl_b32 s9, s6, 5
	s_lshl_b32 s16, s7, 5
	s_mov_b32 s17, 0
	s_waitcnt lgkmcnt(0)
	s_cmp_lt_i32 s11, 1
	s_cbranch_scc1 .LBB235_3
; %bb.1:
	v_lshl_add_u32 v7, v1, 4, v0
	s_load_dword s6, s[4:5], 0x10
	s_load_dword s18, s[4:5], 0x28
	s_load_dwordx2 s[20:21], s[4:5], 0x8
	s_load_dwordx4 s[12:15], s[4:5], 0x18
	v_lshrrev_b32_e32 v8, 3, v7
	v_add_u32_e32 v2, s16, v8
	v_and_b32_e32 v6, 7, v0
	v_ashrrev_i32_e32 v3, 31, v2
	s_waitcnt lgkmcnt(0)
	v_mad_i64_i32 v[4:5], s[22:23], s18, v6, v[2:3]
	v_and_b32_e32 v2, 31, v7
	v_lshrrev_b32_e32 v9, 5, v7
	v_lshlrev_b32_e32 v3, 4, v2
	v_lshl_or_b32 v22, v9, 9, v3
	v_lshlrev_b32_e32 v3, 4, v6
	v_lshl_or_b32 v3, v8, 7, v3
	v_add_u32_e32 v23, 0x1000, v3
	v_mov_b32_e32 v3, 0x1000
	v_add_u32_e32 v2, s9, v2
	v_lshl_add_u32 v25, v1, 7, v3
	v_ashrrev_i32_e32 v3, 31, v2
	v_mad_i64_i32 v[2:3], s[22:23], s6, v9, v[2:3]
	s_mul_i32 s13, s13, s8
	s_mul_hi_u32 s24, s12, s8
	s_add_i32 s13, s24, s13
	s_mul_i32 s12, s12, s8
	s_ashr_i32 s7, s6, 31
	s_ashr_i32 s19, s18, 31
	s_lshl_b64 s[12:13], s[12:13], 4
	v_lshlrev_b64 v[2:3], 4, v[2:3]
	s_add_u32 s12, s20, s12
	s_addc_u32 s13, s21, s13
	v_add_co_u32_e32 v2, vcc, s12, v2
	s_mul_i32 s1, s1, s8
	s_mul_hi_u32 s12, s0, s8
	v_mov_b32_e32 v6, s13
	s_add_i32 s1, s12, s1
	s_mul_i32 s0, s0, s8
	v_addc_co_u32_e32 v3, vcc, v6, v3, vcc
	s_lshl_b64 s[6:7], s[6:7], 7
	s_lshl_b64 s[0:1], s[0:1], 4
	v_add_co_u32_e32 v2, vcc, 8, v2
	v_lshlrev_b64 v[4:5], 4, v[4:5]
	s_add_u32 s0, s14, s0
	v_addc_co_u32_e32 v3, vcc, 0, v3, vcc
	s_addc_u32 s1, s15, s1
	v_mov_b32_e32 v6, s1
	v_add_co_u32_e32 v4, vcc, s0, v4
	v_addc_co_u32_e32 v5, vcc, v6, v5, vcc
	v_add_co_u32_e32 v4, vcc, 8, v4
	s_lshl_b64 s[0:1], s[18:19], 7
	v_mov_b32_e32 v10, 0
	v_mov_b32_e32 v12, 0
	;; [unrolled: 1-line block ×8, first 2 shown]
	v_lshlrev_b32_e32 v24, 4, v0
	v_addc_co_u32_e32 v5, vcc, 0, v5, vcc
	v_mov_b32_e32 v11, 0
	v_mov_b32_e32 v26, s7
	;; [unrolled: 1-line block ×10, first 2 shown]
.LBB235_2:                              ; =>This Inner Loop Header: Depth=1
	global_load_dwordx4 v[28:31], v[2:3], off offset:-8
	v_add_co_u32_e32 v2, vcc, s6, v2
	v_addc_co_u32_e32 v3, vcc, v3, v26, vcc
	s_add_i32 s17, s17, 8
	s_cmp_ge_i32 s17, s11
	s_waitcnt vmcnt(0)
	ds_write_b128 v22, v[28:31]
	global_load_dwordx4 v[28:31], v[4:5], off offset:-8
	v_add_co_u32_e32 v4, vcc, s0, v4
	v_addc_co_u32_e32 v5, vcc, v5, v27, vcc
	s_waitcnt vmcnt(0)
	ds_write_b128 v23, v[28:31]
	s_waitcnt lgkmcnt(0)
	s_barrier
	ds_read_b128 v[28:31], v25
	ds_read_b128 v[32:35], v25 offset:16
	ds_read_b128 v[36:39], v25 offset:32
	ds_read_b128 v[40:43], v25 offset:48
	ds_read_b128 v[44:47], v24
	s_waitcnt lgkmcnt(0)
	v_mul_f64 v[48:49], v[30:31], v[46:47]
	v_mul_f64 v[50:51], v[28:29], v[46:47]
	v_fma_f64 v[48:49], v[28:29], v[44:45], -v[48:49]
	v_fma_f64 v[50:51], v[30:31], v[44:45], v[50:51]
	v_add_f64 v[48:49], v[18:19], v[48:49]
	v_add_f64 v[50:51], v[50:51], v[20:21]
	ds_read_b128 v[18:21], v24 offset:256
	s_waitcnt lgkmcnt(0)
	v_mul_f64 v[52:53], v[30:31], v[20:21]
	v_fma_f64 v[52:53], v[28:29], v[18:19], -v[52:53]
	v_mul_f64 v[28:29], v[28:29], v[20:21]
	v_fma_f64 v[28:29], v[30:31], v[18:19], v[28:29]
	v_add_f64 v[30:31], v[8:9], v[52:53]
	v_add_f64 v[28:29], v[28:29], v[6:7]
	ds_read_b128 v[6:9], v25 offset:2048
	s_waitcnt lgkmcnt(0)
	v_mul_f64 v[52:53], v[8:9], v[46:47]
	v_mul_f64 v[46:47], v[6:7], v[46:47]
	v_fma_f64 v[52:53], v[6:7], v[44:45], -v[52:53]
	v_fma_f64 v[44:45], v[8:9], v[44:45], v[46:47]
	v_add_f64 v[46:47], v[16:17], v[52:53]
	v_add_f64 v[44:45], v[44:45], v[14:15]
	v_mul_f64 v[14:15], v[8:9], v[20:21]
	v_fma_f64 v[14:15], v[6:7], v[18:19], -v[14:15]
	v_mul_f64 v[6:7], v[6:7], v[20:21]
	v_fma_f64 v[6:7], v[8:9], v[18:19], v[6:7]
	v_add_f64 v[18:19], v[12:13], v[14:15]
	v_add_f64 v[20:21], v[6:7], v[10:11]
	ds_read_b128 v[6:9], v24 offset:512
	s_waitcnt lgkmcnt(0)
	v_mul_f64 v[10:11], v[34:35], v[8:9]
	v_mul_f64 v[12:13], v[32:33], v[8:9]
	v_fma_f64 v[10:11], v[32:33], v[6:7], -v[10:11]
	v_fma_f64 v[12:13], v[34:35], v[6:7], v[12:13]
	v_add_f64 v[48:49], v[48:49], v[10:11]
	v_add_f64 v[50:51], v[12:13], v[50:51]
	ds_read_b128 v[10:13], v24 offset:768
	s_waitcnt lgkmcnt(0)
	v_mul_f64 v[14:15], v[34:35], v[12:13]
	v_mul_f64 v[16:17], v[32:33], v[12:13]
	v_fma_f64 v[14:15], v[32:33], v[10:11], -v[14:15]
	;; [unrolled: 8-line block ×3, first 2 shown]
	v_fma_f64 v[6:7], v[16:17], v[6:7], v[8:9]
	v_mul_f64 v[8:9], v[14:15], v[12:13]
	v_add_f64 v[32:33], v[46:47], v[32:33]
	v_add_f64 v[34:35], v[6:7], v[44:45]
	v_mul_f64 v[6:7], v[16:17], v[12:13]
	v_fma_f64 v[8:9], v[16:17], v[10:11], v[8:9]
	v_fma_f64 v[6:7], v[14:15], v[10:11], -v[6:7]
	v_add_f64 v[20:21], v[8:9], v[20:21]
	v_add_f64 v[18:19], v[18:19], v[6:7]
	ds_read_b128 v[6:9], v24 offset:1024
	s_waitcnt lgkmcnt(0)
	v_mul_f64 v[10:11], v[38:39], v[8:9]
	v_mul_f64 v[12:13], v[36:37], v[8:9]
	v_fma_f64 v[10:11], v[36:37], v[6:7], -v[10:11]
	v_fma_f64 v[12:13], v[38:39], v[6:7], v[12:13]
	v_add_f64 v[44:45], v[48:49], v[10:11]
	v_add_f64 v[46:47], v[12:13], v[50:51]
	ds_read_b128 v[10:13], v24 offset:1280
	s_waitcnt lgkmcnt(0)
	v_mul_f64 v[14:15], v[38:39], v[12:13]
	v_mul_f64 v[16:17], v[36:37], v[12:13]
	v_fma_f64 v[14:15], v[36:37], v[10:11], -v[14:15]
	v_fma_f64 v[16:17], v[38:39], v[10:11], v[16:17]
	;; [unrolled: 8-line block ×3, first 2 shown]
	v_mul_f64 v[8:9], v[14:15], v[12:13]
	v_add_f64 v[32:33], v[32:33], v[36:37]
	v_add_f64 v[34:35], v[6:7], v[34:35]
	v_mul_f64 v[6:7], v[16:17], v[12:13]
	v_fma_f64 v[8:9], v[16:17], v[10:11], v[8:9]
	v_fma_f64 v[6:7], v[14:15], v[10:11], -v[6:7]
	v_add_f64 v[20:21], v[8:9], v[20:21]
	v_add_f64 v[18:19], v[18:19], v[6:7]
	ds_read_b128 v[6:9], v24 offset:1536
	s_waitcnt lgkmcnt(0)
	v_mul_f64 v[10:11], v[42:43], v[8:9]
	v_mul_f64 v[12:13], v[40:41], v[8:9]
	v_fma_f64 v[10:11], v[40:41], v[6:7], -v[10:11]
	v_fma_f64 v[12:13], v[42:43], v[6:7], v[12:13]
	v_add_f64 v[36:37], v[44:45], v[10:11]
	v_add_f64 v[38:39], v[12:13], v[46:47]
	ds_read_b128 v[10:13], v24 offset:1792
	s_waitcnt lgkmcnt(0)
	v_mul_f64 v[14:15], v[42:43], v[12:13]
	v_mul_f64 v[16:17], v[40:41], v[12:13]
	v_fma_f64 v[14:15], v[40:41], v[10:11], -v[14:15]
	v_fma_f64 v[16:17], v[42:43], v[10:11], v[16:17]
	;; [unrolled: 8-line block ×3, first 2 shown]
	v_mul_f64 v[8:9], v[14:15], v[12:13]
	v_add_f64 v[32:33], v[32:33], v[40:41]
	v_add_f64 v[34:35], v[6:7], v[34:35]
	v_mul_f64 v[6:7], v[16:17], v[12:13]
	v_fma_f64 v[8:9], v[16:17], v[10:11], v[8:9]
	v_fma_f64 v[6:7], v[14:15], v[10:11], -v[6:7]
	v_add_f64 v[20:21], v[8:9], v[20:21]
	v_add_f64 v[18:19], v[18:19], v[6:7]
	ds_read_b128 v[6:9], v25 offset:64
	ds_read_b128 v[10:13], v24 offset:2048
	s_waitcnt lgkmcnt(0)
	v_mul_f64 v[14:15], v[8:9], v[12:13]
	v_mul_f64 v[16:17], v[6:7], v[12:13]
	v_fma_f64 v[14:15], v[6:7], v[10:11], -v[14:15]
	v_fma_f64 v[16:17], v[8:9], v[10:11], v[16:17]
	v_add_f64 v[36:37], v[36:37], v[14:15]
	v_add_f64 v[38:39], v[16:17], v[38:39]
	ds_read_b128 v[14:17], v24 offset:2304
	s_waitcnt lgkmcnt(0)
	v_mul_f64 v[40:41], v[8:9], v[16:17]
	v_fma_f64 v[40:41], v[6:7], v[14:15], -v[40:41]
	v_mul_f64 v[6:7], v[6:7], v[16:17]
	v_add_f64 v[30:31], v[30:31], v[40:41]
	v_fma_f64 v[6:7], v[8:9], v[14:15], v[6:7]
	v_add_f64 v[28:29], v[6:7], v[28:29]
	ds_read_b128 v[6:9], v25 offset:2112
	s_waitcnt lgkmcnt(0)
	v_mul_f64 v[40:41], v[8:9], v[12:13]
	v_mul_f64 v[12:13], v[6:7], v[12:13]
	v_fma_f64 v[40:41], v[6:7], v[10:11], -v[40:41]
	v_fma_f64 v[10:11], v[8:9], v[10:11], v[12:13]
	v_add_f64 v[32:33], v[32:33], v[40:41]
	v_add_f64 v[34:35], v[10:11], v[34:35]
	v_mul_f64 v[10:11], v[8:9], v[16:17]
	v_fma_f64 v[10:11], v[6:7], v[14:15], -v[10:11]
	v_mul_f64 v[6:7], v[6:7], v[16:17]
	v_add_f64 v[18:19], v[18:19], v[10:11]
	v_fma_f64 v[6:7], v[8:9], v[14:15], v[6:7]
	v_add_f64 v[20:21], v[6:7], v[20:21]
	ds_read_b128 v[6:9], v25 offset:80
	ds_read_b128 v[10:13], v24 offset:2560
	s_waitcnt lgkmcnt(0)
	v_mul_f64 v[14:15], v[8:9], v[12:13]
	v_mul_f64 v[16:17], v[6:7], v[12:13]
	v_fma_f64 v[14:15], v[6:7], v[10:11], -v[14:15]
	v_fma_f64 v[16:17], v[8:9], v[10:11], v[16:17]
	v_add_f64 v[36:37], v[36:37], v[14:15]
	v_add_f64 v[38:39], v[16:17], v[38:39]
	ds_read_b128 v[14:17], v24 offset:2816
	s_waitcnt lgkmcnt(0)
	v_mul_f64 v[40:41], v[8:9], v[16:17]
	v_fma_f64 v[40:41], v[6:7], v[14:15], -v[40:41]
	v_mul_f64 v[6:7], v[6:7], v[16:17]
	v_add_f64 v[30:31], v[30:31], v[40:41]
	v_fma_f64 v[6:7], v[8:9], v[14:15], v[6:7]
	v_add_f64 v[28:29], v[6:7], v[28:29]
	ds_read_b128 v[6:9], v25 offset:2128
	s_waitcnt lgkmcnt(0)
	v_mul_f64 v[40:41], v[8:9], v[12:13]
	v_mul_f64 v[12:13], v[6:7], v[12:13]
	v_fma_f64 v[40:41], v[6:7], v[10:11], -v[40:41]
	v_fma_f64 v[10:11], v[8:9], v[10:11], v[12:13]
	v_add_f64 v[32:33], v[32:33], v[40:41]
	v_add_f64 v[34:35], v[10:11], v[34:35]
	v_mul_f64 v[10:11], v[8:9], v[16:17]
	v_fma_f64 v[10:11], v[6:7], v[14:15], -v[10:11]
	v_mul_f64 v[6:7], v[6:7], v[16:17]
	v_add_f64 v[18:19], v[18:19], v[10:11]
	v_fma_f64 v[6:7], v[8:9], v[14:15], v[6:7]
	;; [unrolled: 31-line block ×3, first 2 shown]
	v_add_f64 v[50:51], v[6:7], v[20:21]
	ds_read_b128 v[6:9], v25 offset:112
	ds_read_b128 v[10:13], v24 offset:3584
	;; [unrolled: 1-line block ×4, first 2 shown]
	s_waitcnt lgkmcnt(0)
	s_barrier
	v_mul_f64 v[14:15], v[8:9], v[12:13]
	v_mul_f64 v[16:17], v[6:7], v[12:13]
	v_fma_f64 v[14:15], v[6:7], v[10:11], -v[14:15]
	v_fma_f64 v[16:17], v[8:9], v[10:11], v[16:17]
	v_add_f64 v[18:19], v[36:37], v[14:15]
	v_mul_f64 v[14:15], v[8:9], v[30:31]
	v_add_f64 v[20:21], v[16:17], v[38:39]
	v_fma_f64 v[14:15], v[6:7], v[28:29], -v[14:15]
	v_mul_f64 v[6:7], v[6:7], v[30:31]
	v_fma_f64 v[6:7], v[8:9], v[28:29], v[6:7]
	v_add_f64 v[8:9], v[40:41], v[14:15]
	v_mul_f64 v[14:15], v[34:35], v[12:13]
	v_mul_f64 v[12:13], v[32:33], v[12:13]
	v_add_f64 v[6:7], v[6:7], v[42:43]
	v_fma_f64 v[14:15], v[32:33], v[10:11], -v[14:15]
	v_fma_f64 v[10:11], v[34:35], v[10:11], v[12:13]
	v_mul_f64 v[12:13], v[32:33], v[30:31]
	v_add_f64 v[16:17], v[44:45], v[14:15]
	v_add_f64 v[14:15], v[10:11], v[46:47]
	v_mul_f64 v[10:11], v[34:35], v[30:31]
	v_fma_f64 v[10:11], v[32:33], v[28:29], -v[10:11]
	v_fma_f64 v[28:29], v[34:35], v[28:29], v[12:13]
	v_add_f64 v[12:13], v[48:49], v[10:11]
	v_add_f64 v[10:11], v[28:29], v[50:51]
	s_cbranch_scc0 .LBB235_2
	s_branch .LBB235_4
.LBB235_3:
	v_mov_b32_e32 v18, 0
	v_mov_b32_e32 v20, 0
	v_mov_b32_e32 v8, 0
	v_mov_b32_e32 v6, 0
	v_mov_b32_e32 v16, 0
	v_mov_b32_e32 v14, 0
	v_mov_b32_e32 v12, 0
	v_mov_b32_e32 v10, 0
	v_mov_b32_e32 v19, 0
	v_mov_b32_e32 v21, 0
	v_mov_b32_e32 v9, 0
	v_mov_b32_e32 v7, 0
	v_mov_b32_e32 v17, 0
	v_mov_b32_e32 v15, 0
	v_mov_b32_e32 v13, 0
	v_mov_b32_e32 v11, 0
.LBB235_4:
	s_load_dwordx2 s[0:1], s[4:5], 0x48
	s_load_dword s6, s[4:5], 0x40
	v_add_u32_e32 v4, s16, v1
	v_add_u32_e32 v0, s9, v0
	s_waitcnt lgkmcnt(0)
	s_mul_i32 s1, s1, s8
	s_mul_hi_u32 s4, s0, s8
	s_add_i32 s1, s4, s1
	v_mad_i64_i32 v[1:2], s[4:5], v4, s6, 0
	s_mul_i32 s0, s0, s8
	s_lshl_b64 s[0:1], s[0:1], 4
	s_add_u32 s7, s2, s0
	v_lshlrev_b64 v[1:2], 4, v[1:2]
	s_addc_u32 s8, s3, s1
	v_mov_b32_e32 v3, s8
	v_add_co_u32_e32 v5, vcc, s7, v1
	v_addc_co_u32_e32 v22, vcc, v3, v2, vcc
	v_cmp_le_i32_e64 s[0:1], v4, v0
	v_cmp_gt_i32_e32 vcc, s10, v0
	s_and_b64 s[0:1], s[0:1], vcc
	s_and_saveexec_b64 s[2:3], s[0:1]
	s_cbranch_execz .LBB235_6
; %bb.5:
	v_ashrrev_i32_e32 v1, 31, v0
	v_lshlrev_b64 v[1:2], 4, v[0:1]
	v_add_co_u32_e64 v1, s[0:1], v5, v1
	v_addc_co_u32_e64 v2, s[0:1], v22, v2, s[0:1]
	global_load_dwordx4 v[23:26], v[1:2], off
	s_waitcnt vmcnt(0)
	v_add_f64 v[18:19], v[18:19], v[23:24]
	v_add_f64 v[20:21], v[20:21], v[25:26]
	global_store_dwordx4 v[1:2], v[18:21], off
.LBB235_6:
	s_or_b64 exec, exec, s[2:3]
	v_add_u32_e32 v2, 16, v0
	v_cmp_le_i32_e64 s[2:3], v4, v2
	v_cmp_gt_i32_e64 s[0:1], s10, v2
	s_and_b64 s[2:3], s[2:3], s[0:1]
	s_and_saveexec_b64 s[4:5], s[2:3]
	s_cbranch_execz .LBB235_8
; %bb.7:
	v_ashrrev_i32_e32 v3, 31, v2
	v_lshlrev_b64 v[18:19], 4, v[2:3]
	v_add_co_u32_e64 v23, s[2:3], v5, v18
	v_addc_co_u32_e64 v24, s[2:3], v22, v19, s[2:3]
	global_load_dwordx4 v[18:21], v[23:24], off
	s_waitcnt vmcnt(0)
	v_add_f64 v[18:19], v[8:9], v[18:19]
	v_add_f64 v[20:21], v[6:7], v[20:21]
	global_store_dwordx4 v[23:24], v[18:21], off
.LBB235_8:
	s_or_b64 exec, exec, s[4:5]
	v_add_u32_e32 v3, 16, v4
	v_mad_i64_i32 v[4:5], s[2:3], v3, s6, 0
	v_mov_b32_e32 v1, s8
	v_lshlrev_b64 v[4:5], 4, v[4:5]
	v_add_co_u32_e64 v4, s[2:3], s7, v4
	v_addc_co_u32_e64 v5, s[2:3], v1, v5, s[2:3]
	v_cmp_le_i32_e64 s[2:3], v3, v0
	s_and_b64 s[4:5], s[2:3], vcc
	s_and_saveexec_b64 s[2:3], s[4:5]
	s_cbranch_execz .LBB235_10
; %bb.9:
	v_ashrrev_i32_e32 v1, 31, v0
	v_lshlrev_b64 v[0:1], 4, v[0:1]
	v_add_co_u32_e32 v0, vcc, v4, v0
	v_addc_co_u32_e32 v1, vcc, v5, v1, vcc
	global_load_dwordx4 v[6:9], v[0:1], off
	s_waitcnt vmcnt(0)
	v_add_f64 v[6:7], v[16:17], v[6:7]
	v_add_f64 v[8:9], v[14:15], v[8:9]
	global_store_dwordx4 v[0:1], v[6:9], off
.LBB235_10:
	s_or_b64 exec, exec, s[2:3]
	v_cmp_le_i32_e32 vcc, v3, v2
	s_and_b64 s[0:1], vcc, s[0:1]
	s_and_saveexec_b64 s[2:3], s[0:1]
	s_cbranch_execz .LBB235_12
; %bb.11:
	v_ashrrev_i32_e32 v3, 31, v2
	v_lshlrev_b64 v[0:1], 4, v[2:3]
	v_add_co_u32_e32 v4, vcc, v4, v0
	v_addc_co_u32_e32 v5, vcc, v5, v1, vcc
	global_load_dwordx4 v[0:3], v[4:5], off
	s_waitcnt vmcnt(0)
	v_add_f64 v[0:1], v[12:13], v[0:1]
	v_add_f64 v[2:3], v[10:11], v[2:3]
	global_store_dwordx4 v[4:5], v[0:3], off
.LBB235_12:
	s_endpgm
	.section	.rodata,"a",@progbits
	.p2align	6, 0x0
	.amdhsa_kernel _ZL37rocblas_syrkx_herkx_restricted_kernelIi19rocblas_complex_numIdELi16ELi32ELi8ELi1ELi1ELb0ELc78ELc76EKS1_S1_EviT_PT9_S3_lS5_S3_lPT10_S3_li
		.amdhsa_group_segment_fixed_size 8192
		.amdhsa_private_segment_fixed_size 0
		.amdhsa_kernarg_size 84
		.amdhsa_user_sgpr_count 6
		.amdhsa_user_sgpr_private_segment_buffer 1
		.amdhsa_user_sgpr_dispatch_ptr 0
		.amdhsa_user_sgpr_queue_ptr 0
		.amdhsa_user_sgpr_kernarg_segment_ptr 1
		.amdhsa_user_sgpr_dispatch_id 0
		.amdhsa_user_sgpr_flat_scratch_init 0
		.amdhsa_user_sgpr_private_segment_size 0
		.amdhsa_uses_dynamic_stack 0
		.amdhsa_system_sgpr_private_segment_wavefront_offset 0
		.amdhsa_system_sgpr_workgroup_id_x 1
		.amdhsa_system_sgpr_workgroup_id_y 1
		.amdhsa_system_sgpr_workgroup_id_z 1
		.amdhsa_system_sgpr_workgroup_info 0
		.amdhsa_system_vgpr_workitem_id 1
		.amdhsa_next_free_vgpr 54
		.amdhsa_next_free_sgpr 61
		.amdhsa_reserve_vcc 1
		.amdhsa_reserve_flat_scratch 0
		.amdhsa_float_round_mode_32 0
		.amdhsa_float_round_mode_16_64 0
		.amdhsa_float_denorm_mode_32 3
		.amdhsa_float_denorm_mode_16_64 3
		.amdhsa_dx10_clamp 1
		.amdhsa_ieee_mode 1
		.amdhsa_fp16_overflow 0
		.amdhsa_exception_fp_ieee_invalid_op 0
		.amdhsa_exception_fp_denorm_src 0
		.amdhsa_exception_fp_ieee_div_zero 0
		.amdhsa_exception_fp_ieee_overflow 0
		.amdhsa_exception_fp_ieee_underflow 0
		.amdhsa_exception_fp_ieee_inexact 0
		.amdhsa_exception_int_div_zero 0
	.end_amdhsa_kernel
	.section	.text._ZL37rocblas_syrkx_herkx_restricted_kernelIi19rocblas_complex_numIdELi16ELi32ELi8ELi1ELi1ELb0ELc78ELc76EKS1_S1_EviT_PT9_S3_lS5_S3_lPT10_S3_li,"axG",@progbits,_ZL37rocblas_syrkx_herkx_restricted_kernelIi19rocblas_complex_numIdELi16ELi32ELi8ELi1ELi1ELb0ELc78ELc76EKS1_S1_EviT_PT9_S3_lS5_S3_lPT10_S3_li,comdat
.Lfunc_end235:
	.size	_ZL37rocblas_syrkx_herkx_restricted_kernelIi19rocblas_complex_numIdELi16ELi32ELi8ELi1ELi1ELb0ELc78ELc76EKS1_S1_EviT_PT9_S3_lS5_S3_lPT10_S3_li, .Lfunc_end235-_ZL37rocblas_syrkx_herkx_restricted_kernelIi19rocblas_complex_numIdELi16ELi32ELi8ELi1ELi1ELb0ELc78ELc76EKS1_S1_EviT_PT9_S3_lS5_S3_lPT10_S3_li
                                        ; -- End function
	.set _ZL37rocblas_syrkx_herkx_restricted_kernelIi19rocblas_complex_numIdELi16ELi32ELi8ELi1ELi1ELb0ELc78ELc76EKS1_S1_EviT_PT9_S3_lS5_S3_lPT10_S3_li.num_vgpr, 54
	.set _ZL37rocblas_syrkx_herkx_restricted_kernelIi19rocblas_complex_numIdELi16ELi32ELi8ELi1ELi1ELb0ELc78ELc76EKS1_S1_EviT_PT9_S3_lS5_S3_lPT10_S3_li.num_agpr, 0
	.set _ZL37rocblas_syrkx_herkx_restricted_kernelIi19rocblas_complex_numIdELi16ELi32ELi8ELi1ELi1ELb0ELc78ELc76EKS1_S1_EviT_PT9_S3_lS5_S3_lPT10_S3_li.numbered_sgpr, 25
	.set _ZL37rocblas_syrkx_herkx_restricted_kernelIi19rocblas_complex_numIdELi16ELi32ELi8ELi1ELi1ELb0ELc78ELc76EKS1_S1_EviT_PT9_S3_lS5_S3_lPT10_S3_li.num_named_barrier, 0
	.set _ZL37rocblas_syrkx_herkx_restricted_kernelIi19rocblas_complex_numIdELi16ELi32ELi8ELi1ELi1ELb0ELc78ELc76EKS1_S1_EviT_PT9_S3_lS5_S3_lPT10_S3_li.private_seg_size, 0
	.set _ZL37rocblas_syrkx_herkx_restricted_kernelIi19rocblas_complex_numIdELi16ELi32ELi8ELi1ELi1ELb0ELc78ELc76EKS1_S1_EviT_PT9_S3_lS5_S3_lPT10_S3_li.uses_vcc, 1
	.set _ZL37rocblas_syrkx_herkx_restricted_kernelIi19rocblas_complex_numIdELi16ELi32ELi8ELi1ELi1ELb0ELc78ELc76EKS1_S1_EviT_PT9_S3_lS5_S3_lPT10_S3_li.uses_flat_scratch, 0
	.set _ZL37rocblas_syrkx_herkx_restricted_kernelIi19rocblas_complex_numIdELi16ELi32ELi8ELi1ELi1ELb0ELc78ELc76EKS1_S1_EviT_PT9_S3_lS5_S3_lPT10_S3_li.has_dyn_sized_stack, 0
	.set _ZL37rocblas_syrkx_herkx_restricted_kernelIi19rocblas_complex_numIdELi16ELi32ELi8ELi1ELi1ELb0ELc78ELc76EKS1_S1_EviT_PT9_S3_lS5_S3_lPT10_S3_li.has_recursion, 0
	.set _ZL37rocblas_syrkx_herkx_restricted_kernelIi19rocblas_complex_numIdELi16ELi32ELi8ELi1ELi1ELb0ELc78ELc76EKS1_S1_EviT_PT9_S3_lS5_S3_lPT10_S3_li.has_indirect_call, 0
	.section	.AMDGPU.csdata,"",@progbits
; Kernel info:
; codeLenInByte = 2884
; TotalNumSgprs: 29
; NumVgprs: 54
; ScratchSize: 0
; MemoryBound: 0
; FloatMode: 240
; IeeeMode: 1
; LDSByteSize: 8192 bytes/workgroup (compile time only)
; SGPRBlocks: 8
; VGPRBlocks: 13
; NumSGPRsForWavesPerEU: 65
; NumVGPRsForWavesPerEU: 54
; Occupancy: 4
; WaveLimiterHint : 0
; COMPUTE_PGM_RSRC2:SCRATCH_EN: 0
; COMPUTE_PGM_RSRC2:USER_SGPR: 6
; COMPUTE_PGM_RSRC2:TRAP_HANDLER: 0
; COMPUTE_PGM_RSRC2:TGID_X_EN: 1
; COMPUTE_PGM_RSRC2:TGID_Y_EN: 1
; COMPUTE_PGM_RSRC2:TGID_Z_EN: 1
; COMPUTE_PGM_RSRC2:TIDIG_COMP_CNT: 1
	.section	.text._ZL37rocblas_syrkx_herkx_restricted_kernelIi19rocblas_complex_numIdELi16ELi32ELi8ELi1ELi1ELb0ELc84ELc85EKS1_S1_EviT_PT9_S3_lS5_S3_lPT10_S3_li,"axG",@progbits,_ZL37rocblas_syrkx_herkx_restricted_kernelIi19rocblas_complex_numIdELi16ELi32ELi8ELi1ELi1ELb0ELc84ELc85EKS1_S1_EviT_PT9_S3_lS5_S3_lPT10_S3_li,comdat
	.globl	_ZL37rocblas_syrkx_herkx_restricted_kernelIi19rocblas_complex_numIdELi16ELi32ELi8ELi1ELi1ELb0ELc84ELc85EKS1_S1_EviT_PT9_S3_lS5_S3_lPT10_S3_li ; -- Begin function _ZL37rocblas_syrkx_herkx_restricted_kernelIi19rocblas_complex_numIdELi16ELi32ELi8ELi1ELi1ELb0ELc84ELc85EKS1_S1_EviT_PT9_S3_lS5_S3_lPT10_S3_li
	.p2align	8
	.type	_ZL37rocblas_syrkx_herkx_restricted_kernelIi19rocblas_complex_numIdELi16ELi32ELi8ELi1ELi1ELb0ELc84ELc85EKS1_S1_EviT_PT9_S3_lS5_S3_lPT10_S3_li,@function
_ZL37rocblas_syrkx_herkx_restricted_kernelIi19rocblas_complex_numIdELi16ELi32ELi8ELi1ELi1ELb0ELc84ELc85EKS1_S1_EviT_PT9_S3_lS5_S3_lPT10_S3_li: ; @_ZL37rocblas_syrkx_herkx_restricted_kernelIi19rocblas_complex_numIdELi16ELi32ELi8ELi1ELi1ELb0ELc84ELc85EKS1_S1_EviT_PT9_S3_lS5_S3_lPT10_S3_li
; %bb.0:
	s_load_dwordx2 s[10:11], s[4:5], 0x0
	s_load_dwordx4 s[0:3], s[4:5], 0x30
	s_lshl_b32 s6, s6, 5
	s_lshl_b32 s7, s7, 5
	s_mov_b32 s9, 0
	s_waitcnt lgkmcnt(0)
	s_cmp_lt_i32 s11, 1
	s_cbranch_scc1 .LBB236_3
; %bb.1:
	s_load_dwordx2 s[16:17], s[4:5], 0x8
	s_load_dword s20, s[4:5], 0x10
	s_load_dwordx4 s[12:15], s[4:5], 0x18
	s_load_dword s18, s[4:5], 0x28
	v_lshl_add_u32 v6, v1, 4, v0
	v_lshrrev_b32_e32 v8, 3, v6
	v_add_u32_e32 v4, s7, v8
	v_and_b32_e32 v2, 7, v0
	v_mov_b32_e32 v3, 0
	s_waitcnt lgkmcnt(0)
	v_mad_i64_i32 v[4:5], s[18:19], s18, v4, v[2:3]
	v_lshlrev_b32_e32 v2, 4, v2
	v_lshl_or_b32 v2, v8, 7, v2
	v_and_b32_e32 v9, 31, v6
	v_add_u32_e32 v23, 0x1000, v2
	v_mov_b32_e32 v2, 0x1000
	v_lshrrev_b32_e32 v6, 5, v6
	v_mov_b32_e32 v7, v3
	v_lshlrev_b32_e32 v3, 4, v9
	v_lshl_add_u32 v25, v1, 7, v2
	v_add_u32_e32 v2, s6, v9
	v_lshl_or_b32 v22, v6, 9, v3
	v_mad_i64_i32 v[2:3], s[18:19], s20, v2, v[6:7]
	s_mul_i32 s13, s13, s8
	s_mul_hi_u32 s21, s12, s8
	s_add_i32 s13, s21, s13
	s_mul_i32 s12, s12, s8
	s_lshl_b64 s[12:13], s[12:13], 4
	v_lshlrev_b64 v[2:3], 4, v[2:3]
	s_add_u32 s12, s16, s12
	s_addc_u32 s13, s17, s13
	v_add_co_u32_e32 v2, vcc, s12, v2
	s_mul_i32 s1, s1, s8
	s_mul_hi_u32 s12, s0, s8
	v_mov_b32_e32 v6, s13
	s_add_i32 s1, s12, s1
	s_mul_i32 s0, s0, s8
	v_addc_co_u32_e32 v3, vcc, v6, v3, vcc
	s_lshl_b64 s[0:1], s[0:1], 4
	v_add_co_u32_e32 v2, vcc, 8, v2
	v_lshlrev_b64 v[4:5], 4, v[4:5]
	s_add_u32 s0, s14, s0
	v_addc_co_u32_e32 v3, vcc, 0, v3, vcc
	s_addc_u32 s1, s15, s1
	v_mov_b32_e32 v6, s1
	v_add_co_u32_e32 v4, vcc, s0, v4
	v_addc_co_u32_e32 v5, vcc, v6, v5, vcc
	v_mov_b32_e32 v10, 0
	v_mov_b32_e32 v12, 0
	;; [unrolled: 1-line block ×8, first 2 shown]
	v_add_co_u32_e32 v4, vcc, 8, v4
	v_lshlrev_b32_e32 v24, 4, v0
	v_mov_b32_e32 v11, 0
	v_mov_b32_e32 v13, 0
	;; [unrolled: 1-line block ×8, first 2 shown]
	v_addc_co_u32_e32 v5, vcc, 0, v5, vcc
.LBB236_2:                              ; =>This Inner Loop Header: Depth=1
	global_load_dwordx4 v[26:29], v[2:3], off offset:-8
	v_add_co_u32_e32 v2, vcc, 0x80, v2
	v_addc_co_u32_e32 v3, vcc, 0, v3, vcc
	s_add_i32 s9, s9, 8
	s_cmp_ge_i32 s9, s11
	s_waitcnt vmcnt(0)
	ds_write_b128 v22, v[26:29]
	global_load_dwordx4 v[26:29], v[4:5], off offset:-8
	v_add_co_u32_e32 v4, vcc, 0x80, v4
	v_addc_co_u32_e32 v5, vcc, 0, v5, vcc
	s_waitcnt vmcnt(0)
	ds_write_b128 v23, v[26:29]
	s_waitcnt lgkmcnt(0)
	s_barrier
	ds_read_b128 v[26:29], v25
	ds_read_b128 v[30:33], v25 offset:16
	ds_read_b128 v[34:37], v25 offset:32
	;; [unrolled: 1-line block ×3, first 2 shown]
	ds_read_b128 v[42:45], v24
	s_waitcnt lgkmcnt(0)
	v_mul_f64 v[46:47], v[28:29], v[44:45]
	v_mul_f64 v[48:49], v[26:27], v[44:45]
	v_fma_f64 v[46:47], v[26:27], v[42:43], -v[46:47]
	v_fma_f64 v[48:49], v[28:29], v[42:43], v[48:49]
	v_add_f64 v[46:47], v[14:15], v[46:47]
	v_add_f64 v[48:49], v[48:49], v[16:17]
	ds_read_b128 v[14:17], v24 offset:256
	s_waitcnt lgkmcnt(0)
	v_mul_f64 v[50:51], v[28:29], v[16:17]
	v_fma_f64 v[50:51], v[26:27], v[14:15], -v[50:51]
	v_mul_f64 v[26:27], v[26:27], v[16:17]
	v_fma_f64 v[26:27], v[28:29], v[14:15], v[26:27]
	v_add_f64 v[28:29], v[8:9], v[50:51]
	v_add_f64 v[26:27], v[26:27], v[6:7]
	ds_read_b128 v[6:9], v25 offset:2048
	s_waitcnt lgkmcnt(0)
	v_mul_f64 v[50:51], v[8:9], v[44:45]
	v_mul_f64 v[44:45], v[6:7], v[44:45]
	v_fma_f64 v[50:51], v[6:7], v[42:43], -v[50:51]
	v_fma_f64 v[42:43], v[8:9], v[42:43], v[44:45]
	v_add_f64 v[20:21], v[20:21], v[50:51]
	v_add_f64 v[18:19], v[42:43], v[18:19]
	v_mul_f64 v[42:43], v[8:9], v[16:17]
	v_fma_f64 v[42:43], v[6:7], v[14:15], -v[42:43]
	v_mul_f64 v[6:7], v[6:7], v[16:17]
	v_add_f64 v[42:43], v[12:13], v[42:43]
	v_fma_f64 v[6:7], v[8:9], v[14:15], v[6:7]
	v_add_f64 v[44:45], v[6:7], v[10:11]
	ds_read_b128 v[6:9], v24 offset:512
	s_waitcnt lgkmcnt(0)
	v_mul_f64 v[10:11], v[32:33], v[8:9]
	v_mul_f64 v[12:13], v[30:31], v[8:9]
	v_fma_f64 v[10:11], v[30:31], v[6:7], -v[10:11]
	v_fma_f64 v[12:13], v[32:33], v[6:7], v[12:13]
	v_add_f64 v[46:47], v[46:47], v[10:11]
	v_add_f64 v[48:49], v[12:13], v[48:49]
	ds_read_b128 v[10:13], v24 offset:768
	s_waitcnt lgkmcnt(0)
	v_mul_f64 v[14:15], v[32:33], v[12:13]
	v_mul_f64 v[16:17], v[30:31], v[12:13]
	v_fma_f64 v[14:15], v[30:31], v[10:11], -v[14:15]
	v_fma_f64 v[16:17], v[32:33], v[10:11], v[16:17]
	v_add_f64 v[28:29], v[28:29], v[14:15]
	v_add_f64 v[26:27], v[16:17], v[26:27]
	ds_read_b128 v[14:17], v25 offset:2064
	s_waitcnt lgkmcnt(0)
	v_mul_f64 v[30:31], v[16:17], v[8:9]
	v_mul_f64 v[8:9], v[14:15], v[8:9]
	v_fma_f64 v[30:31], v[14:15], v[6:7], -v[30:31]
	v_fma_f64 v[6:7], v[16:17], v[6:7], v[8:9]
	v_mul_f64 v[8:9], v[14:15], v[12:13]
	v_add_f64 v[20:21], v[20:21], v[30:31]
	v_add_f64 v[18:19], v[6:7], v[18:19]
	v_mul_f64 v[6:7], v[16:17], v[12:13]
	v_fma_f64 v[8:9], v[16:17], v[10:11], v[8:9]
	v_fma_f64 v[6:7], v[14:15], v[10:11], -v[6:7]
	v_add_f64 v[32:33], v[8:9], v[44:45]
	v_add_f64 v[30:31], v[42:43], v[6:7]
	ds_read_b128 v[6:9], v24 offset:1024
	s_waitcnt lgkmcnt(0)
	v_mul_f64 v[10:11], v[36:37], v[8:9]
	v_mul_f64 v[12:13], v[34:35], v[8:9]
	v_fma_f64 v[10:11], v[34:35], v[6:7], -v[10:11]
	v_fma_f64 v[12:13], v[36:37], v[6:7], v[12:13]
	v_add_f64 v[42:43], v[46:47], v[10:11]
	v_add_f64 v[44:45], v[12:13], v[48:49]
	ds_read_b128 v[10:13], v24 offset:1280
	s_waitcnt lgkmcnt(0)
	v_mul_f64 v[14:15], v[36:37], v[12:13]
	v_mul_f64 v[16:17], v[34:35], v[12:13]
	v_fma_f64 v[14:15], v[34:35], v[10:11], -v[14:15]
	v_fma_f64 v[16:17], v[36:37], v[10:11], v[16:17]
	v_add_f64 v[28:29], v[28:29], v[14:15]
	v_add_f64 v[26:27], v[16:17], v[26:27]
	ds_read_b128 v[14:17], v25 offset:2080
	s_waitcnt lgkmcnt(0)
	v_mul_f64 v[34:35], v[16:17], v[8:9]
	v_mul_f64 v[8:9], v[14:15], v[8:9]
	v_fma_f64 v[34:35], v[14:15], v[6:7], -v[34:35]
	v_fma_f64 v[6:7], v[16:17], v[6:7], v[8:9]
	v_mul_f64 v[8:9], v[14:15], v[12:13]
	v_add_f64 v[20:21], v[20:21], v[34:35]
	v_add_f64 v[18:19], v[6:7], v[18:19]
	v_mul_f64 v[6:7], v[16:17], v[12:13]
	v_fma_f64 v[8:9], v[16:17], v[10:11], v[8:9]
	v_fma_f64 v[6:7], v[14:15], v[10:11], -v[6:7]
	v_add_f64 v[32:33], v[8:9], v[32:33]
	;; [unrolled: 30-line block ×3, first 2 shown]
	v_add_f64 v[30:31], v[30:31], v[6:7]
	ds_read_b128 v[6:9], v25 offset:64
	ds_read_b128 v[10:13], v24 offset:2048
	s_waitcnt lgkmcnt(0)
	v_mul_f64 v[14:15], v[8:9], v[12:13]
	v_mul_f64 v[16:17], v[6:7], v[12:13]
	v_fma_f64 v[14:15], v[6:7], v[10:11], -v[14:15]
	v_fma_f64 v[16:17], v[8:9], v[10:11], v[16:17]
	v_add_f64 v[34:35], v[34:35], v[14:15]
	v_add_f64 v[36:37], v[16:17], v[36:37]
	ds_read_b128 v[14:17], v24 offset:2304
	s_waitcnt lgkmcnt(0)
	v_mul_f64 v[38:39], v[8:9], v[16:17]
	v_fma_f64 v[38:39], v[6:7], v[14:15], -v[38:39]
	v_mul_f64 v[6:7], v[6:7], v[16:17]
	v_add_f64 v[28:29], v[28:29], v[38:39]
	v_fma_f64 v[6:7], v[8:9], v[14:15], v[6:7]
	v_add_f64 v[26:27], v[6:7], v[26:27]
	ds_read_b128 v[6:9], v25 offset:2112
	s_waitcnt lgkmcnt(0)
	v_mul_f64 v[38:39], v[8:9], v[12:13]
	v_mul_f64 v[12:13], v[6:7], v[12:13]
	v_fma_f64 v[38:39], v[6:7], v[10:11], -v[38:39]
	v_fma_f64 v[10:11], v[8:9], v[10:11], v[12:13]
	v_add_f64 v[20:21], v[20:21], v[38:39]
	v_add_f64 v[18:19], v[10:11], v[18:19]
	v_mul_f64 v[10:11], v[8:9], v[16:17]
	v_fma_f64 v[10:11], v[6:7], v[14:15], -v[10:11]
	v_mul_f64 v[6:7], v[6:7], v[16:17]
	v_add_f64 v[30:31], v[30:31], v[10:11]
	v_fma_f64 v[6:7], v[8:9], v[14:15], v[6:7]
	v_add_f64 v[32:33], v[6:7], v[32:33]
	ds_read_b128 v[6:9], v25 offset:80
	ds_read_b128 v[10:13], v24 offset:2560
	s_waitcnt lgkmcnt(0)
	v_mul_f64 v[14:15], v[8:9], v[12:13]
	v_mul_f64 v[16:17], v[6:7], v[12:13]
	v_fma_f64 v[14:15], v[6:7], v[10:11], -v[14:15]
	v_fma_f64 v[16:17], v[8:9], v[10:11], v[16:17]
	v_add_f64 v[34:35], v[34:35], v[14:15]
	v_add_f64 v[36:37], v[16:17], v[36:37]
	ds_read_b128 v[14:17], v24 offset:2816
	s_waitcnt lgkmcnt(0)
	v_mul_f64 v[38:39], v[8:9], v[16:17]
	v_fma_f64 v[38:39], v[6:7], v[14:15], -v[38:39]
	v_mul_f64 v[6:7], v[6:7], v[16:17]
	v_add_f64 v[28:29], v[28:29], v[38:39]
	v_fma_f64 v[6:7], v[8:9], v[14:15], v[6:7]
	v_add_f64 v[26:27], v[6:7], v[26:27]
	ds_read_b128 v[6:9], v25 offset:2128
	s_waitcnt lgkmcnt(0)
	v_mul_f64 v[38:39], v[8:9], v[12:13]
	v_mul_f64 v[12:13], v[6:7], v[12:13]
	v_fma_f64 v[38:39], v[6:7], v[10:11], -v[38:39]
	v_fma_f64 v[10:11], v[8:9], v[10:11], v[12:13]
	v_add_f64 v[20:21], v[20:21], v[38:39]
	v_add_f64 v[18:19], v[10:11], v[18:19]
	v_mul_f64 v[10:11], v[8:9], v[16:17]
	v_fma_f64 v[10:11], v[6:7], v[14:15], -v[10:11]
	v_mul_f64 v[6:7], v[6:7], v[16:17]
	v_add_f64 v[30:31], v[30:31], v[10:11]
	v_fma_f64 v[6:7], v[8:9], v[14:15], v[6:7]
	;; [unrolled: 31-line block ×3, first 2 shown]
	v_add_f64 v[44:45], v[6:7], v[32:33]
	ds_read_b128 v[6:9], v25 offset:112
	ds_read_b128 v[10:13], v24 offset:3584
	;; [unrolled: 1-line block ×3, first 2 shown]
	s_waitcnt lgkmcnt(1)
	v_mul_f64 v[14:15], v[8:9], v[12:13]
	s_waitcnt lgkmcnt(0)
	v_mul_f64 v[30:31], v[8:9], v[28:29]
	v_mul_f64 v[16:17], v[6:7], v[12:13]
	v_fma_f64 v[14:15], v[6:7], v[10:11], -v[14:15]
	v_fma_f64 v[30:31], v[6:7], v[26:27], -v[30:31]
	v_mul_f64 v[6:7], v[6:7], v[28:29]
	v_fma_f64 v[16:17], v[8:9], v[10:11], v[16:17]
	v_add_f64 v[14:15], v[34:35], v[14:15]
	v_fma_f64 v[6:7], v[8:9], v[26:27], v[6:7]
	v_add_f64 v[8:9], v[38:39], v[30:31]
	ds_read_b128 v[30:33], v25 offset:2160
	v_add_f64 v[16:17], v[16:17], v[36:37]
	s_waitcnt lgkmcnt(0)
	s_barrier
	v_mul_f64 v[34:35], v[32:33], v[12:13]
	v_mul_f64 v[12:13], v[30:31], v[12:13]
	v_add_f64 v[6:7], v[6:7], v[40:41]
	v_fma_f64 v[34:35], v[30:31], v[10:11], -v[34:35]
	v_fma_f64 v[10:11], v[32:33], v[10:11], v[12:13]
	v_mul_f64 v[12:13], v[30:31], v[28:29]
	v_add_f64 v[20:21], v[20:21], v[34:35]
	v_add_f64 v[18:19], v[10:11], v[18:19]
	v_mul_f64 v[10:11], v[32:33], v[28:29]
	v_fma_f64 v[10:11], v[30:31], v[26:27], -v[10:11]
	v_fma_f64 v[26:27], v[32:33], v[26:27], v[12:13]
	v_add_f64 v[12:13], v[42:43], v[10:11]
	v_add_f64 v[10:11], v[26:27], v[44:45]
	s_cbranch_scc0 .LBB236_2
	s_branch .LBB236_4
.LBB236_3:
	v_mov_b32_e32 v14, 0
	v_mov_b32_e32 v16, 0
	;; [unrolled: 1-line block ×16, first 2 shown]
.LBB236_4:
	s_load_dwordx2 s[0:1], s[4:5], 0x48
	s_load_dword s9, s[4:5], 0x40
	v_add_u32_e32 v4, s7, v1
	v_add_u32_e32 v0, s6, v0
	v_cmp_gt_i32_e32 vcc, s10, v4
	s_waitcnt lgkmcnt(0)
	s_mul_i32 s1, s1, s8
	v_mad_i64_i32 v[1:2], s[12:13], v4, s9, 0
	s_mul_hi_u32 s4, s0, s8
	s_mul_i32 s0, s0, s8
	s_add_i32 s1, s4, s1
	s_lshl_b64 s[0:1], s[0:1], 4
	s_add_u32 s4, s2, s0
	v_lshlrev_b64 v[1:2], 4, v[1:2]
	s_addc_u32 s5, s3, s1
	v_mov_b32_e32 v3, s5
	v_add_co_u32_e64 v5, s[0:1], s4, v1
	v_addc_co_u32_e64 v22, s[0:1], v3, v2, s[0:1]
	v_cmp_le_i32_e64 s[0:1], v0, v4
	s_and_b64 s[0:1], vcc, s[0:1]
	s_and_saveexec_b64 s[2:3], s[0:1]
	s_cbranch_execz .LBB236_6
; %bb.5:
	v_ashrrev_i32_e32 v1, 31, v0
	v_lshlrev_b64 v[1:2], 4, v[0:1]
	v_add_co_u32_e64 v1, s[0:1], v5, v1
	v_addc_co_u32_e64 v2, s[0:1], v22, v2, s[0:1]
	global_load_dwordx4 v[23:26], v[1:2], off
	s_waitcnt vmcnt(0)
	v_add_f64 v[14:15], v[14:15], v[23:24]
	v_add_f64 v[16:17], v[16:17], v[25:26]
	global_store_dwordx4 v[1:2], v[14:17], off
.LBB236_6:
	s_or_b64 exec, exec, s[2:3]
	v_add_u32_e32 v2, 16, v0
	v_cmp_le_i32_e64 s[0:1], v2, v4
	s_and_b64 s[2:3], vcc, s[0:1]
	s_and_saveexec_b64 s[0:1], s[2:3]
	s_cbranch_execz .LBB236_8
; %bb.7:
	v_ashrrev_i32_e32 v3, 31, v2
	v_lshlrev_b64 v[14:15], 4, v[2:3]
	v_add_co_u32_e32 v23, vcc, v5, v14
	v_addc_co_u32_e32 v24, vcc, v22, v15, vcc
	global_load_dwordx4 v[14:17], v[23:24], off
	s_waitcnt vmcnt(0)
	v_add_f64 v[14:15], v[8:9], v[14:15]
	v_add_f64 v[16:17], v[6:7], v[16:17]
	global_store_dwordx4 v[23:24], v[14:17], off
.LBB236_8:
	s_or_b64 exec, exec, s[0:1]
	v_add_u32_e32 v3, 16, v4
	v_mad_i64_i32 v[4:5], s[0:1], v3, s9, 0
	v_mov_b32_e32 v1, s5
	v_cmp_gt_i32_e32 vcc, s10, v3
	v_lshlrev_b64 v[4:5], 4, v[4:5]
	v_add_co_u32_e64 v4, s[0:1], s4, v4
	v_addc_co_u32_e64 v5, s[0:1], v1, v5, s[0:1]
	v_cmp_le_i32_e64 s[0:1], v0, v3
	s_and_b64 s[0:1], vcc, s[0:1]
	s_and_saveexec_b64 s[2:3], s[0:1]
	s_cbranch_execz .LBB236_10
; %bb.9:
	v_ashrrev_i32_e32 v1, 31, v0
	v_lshlrev_b64 v[0:1], 4, v[0:1]
	v_add_co_u32_e64 v0, s[0:1], v4, v0
	v_addc_co_u32_e64 v1, s[0:1], v5, v1, s[0:1]
	global_load_dwordx4 v[6:9], v[0:1], off
	s_waitcnt vmcnt(0)
	v_add_f64 v[6:7], v[20:21], v[6:7]
	v_add_f64 v[8:9], v[18:19], v[8:9]
	global_store_dwordx4 v[0:1], v[6:9], off
.LBB236_10:
	s_or_b64 exec, exec, s[2:3]
	v_cmp_le_i32_e64 s[0:1], v2, v3
	s_and_b64 s[0:1], vcc, s[0:1]
	s_and_saveexec_b64 s[2:3], s[0:1]
	s_cbranch_execz .LBB236_12
; %bb.11:
	v_ashrrev_i32_e32 v3, 31, v2
	v_lshlrev_b64 v[0:1], 4, v[2:3]
	v_add_co_u32_e32 v4, vcc, v4, v0
	v_addc_co_u32_e32 v5, vcc, v5, v1, vcc
	global_load_dwordx4 v[0:3], v[4:5], off
	s_waitcnt vmcnt(0)
	v_add_f64 v[0:1], v[12:13], v[0:1]
	v_add_f64 v[2:3], v[10:11], v[2:3]
	global_store_dwordx4 v[4:5], v[0:3], off
.LBB236_12:
	s_endpgm
	.section	.rodata,"a",@progbits
	.p2align	6, 0x0
	.amdhsa_kernel _ZL37rocblas_syrkx_herkx_restricted_kernelIi19rocblas_complex_numIdELi16ELi32ELi8ELi1ELi1ELb0ELc84ELc85EKS1_S1_EviT_PT9_S3_lS5_S3_lPT10_S3_li
		.amdhsa_group_segment_fixed_size 8192
		.amdhsa_private_segment_fixed_size 0
		.amdhsa_kernarg_size 84
		.amdhsa_user_sgpr_count 6
		.amdhsa_user_sgpr_private_segment_buffer 1
		.amdhsa_user_sgpr_dispatch_ptr 0
		.amdhsa_user_sgpr_queue_ptr 0
		.amdhsa_user_sgpr_kernarg_segment_ptr 1
		.amdhsa_user_sgpr_dispatch_id 0
		.amdhsa_user_sgpr_flat_scratch_init 0
		.amdhsa_user_sgpr_private_segment_size 0
		.amdhsa_uses_dynamic_stack 0
		.amdhsa_system_sgpr_private_segment_wavefront_offset 0
		.amdhsa_system_sgpr_workgroup_id_x 1
		.amdhsa_system_sgpr_workgroup_id_y 1
		.amdhsa_system_sgpr_workgroup_id_z 1
		.amdhsa_system_sgpr_workgroup_info 0
		.amdhsa_system_vgpr_workitem_id 1
		.amdhsa_next_free_vgpr 52
		.amdhsa_next_free_sgpr 61
		.amdhsa_reserve_vcc 1
		.amdhsa_reserve_flat_scratch 0
		.amdhsa_float_round_mode_32 0
		.amdhsa_float_round_mode_16_64 0
		.amdhsa_float_denorm_mode_32 3
		.amdhsa_float_denorm_mode_16_64 3
		.amdhsa_dx10_clamp 1
		.amdhsa_ieee_mode 1
		.amdhsa_fp16_overflow 0
		.amdhsa_exception_fp_ieee_invalid_op 0
		.amdhsa_exception_fp_denorm_src 0
		.amdhsa_exception_fp_ieee_div_zero 0
		.amdhsa_exception_fp_ieee_overflow 0
		.amdhsa_exception_fp_ieee_underflow 0
		.amdhsa_exception_fp_ieee_inexact 0
		.amdhsa_exception_int_div_zero 0
	.end_amdhsa_kernel
	.section	.text._ZL37rocblas_syrkx_herkx_restricted_kernelIi19rocblas_complex_numIdELi16ELi32ELi8ELi1ELi1ELb0ELc84ELc85EKS1_S1_EviT_PT9_S3_lS5_S3_lPT10_S3_li,"axG",@progbits,_ZL37rocblas_syrkx_herkx_restricted_kernelIi19rocblas_complex_numIdELi16ELi32ELi8ELi1ELi1ELb0ELc84ELc85EKS1_S1_EviT_PT9_S3_lS5_S3_lPT10_S3_li,comdat
.Lfunc_end236:
	.size	_ZL37rocblas_syrkx_herkx_restricted_kernelIi19rocblas_complex_numIdELi16ELi32ELi8ELi1ELi1ELb0ELc84ELc85EKS1_S1_EviT_PT9_S3_lS5_S3_lPT10_S3_li, .Lfunc_end236-_ZL37rocblas_syrkx_herkx_restricted_kernelIi19rocblas_complex_numIdELi16ELi32ELi8ELi1ELi1ELb0ELc84ELc85EKS1_S1_EviT_PT9_S3_lS5_S3_lPT10_S3_li
                                        ; -- End function
	.set _ZL37rocblas_syrkx_herkx_restricted_kernelIi19rocblas_complex_numIdELi16ELi32ELi8ELi1ELi1ELb0ELc84ELc85EKS1_S1_EviT_PT9_S3_lS5_S3_lPT10_S3_li.num_vgpr, 52
	.set _ZL37rocblas_syrkx_herkx_restricted_kernelIi19rocblas_complex_numIdELi16ELi32ELi8ELi1ELi1ELb0ELc84ELc85EKS1_S1_EviT_PT9_S3_lS5_S3_lPT10_S3_li.num_agpr, 0
	.set _ZL37rocblas_syrkx_herkx_restricted_kernelIi19rocblas_complex_numIdELi16ELi32ELi8ELi1ELi1ELb0ELc84ELc85EKS1_S1_EviT_PT9_S3_lS5_S3_lPT10_S3_li.numbered_sgpr, 22
	.set _ZL37rocblas_syrkx_herkx_restricted_kernelIi19rocblas_complex_numIdELi16ELi32ELi8ELi1ELi1ELb0ELc84ELc85EKS1_S1_EviT_PT9_S3_lS5_S3_lPT10_S3_li.num_named_barrier, 0
	.set _ZL37rocblas_syrkx_herkx_restricted_kernelIi19rocblas_complex_numIdELi16ELi32ELi8ELi1ELi1ELb0ELc84ELc85EKS1_S1_EviT_PT9_S3_lS5_S3_lPT10_S3_li.private_seg_size, 0
	.set _ZL37rocblas_syrkx_herkx_restricted_kernelIi19rocblas_complex_numIdELi16ELi32ELi8ELi1ELi1ELb0ELc84ELc85EKS1_S1_EviT_PT9_S3_lS5_S3_lPT10_S3_li.uses_vcc, 1
	.set _ZL37rocblas_syrkx_herkx_restricted_kernelIi19rocblas_complex_numIdELi16ELi32ELi8ELi1ELi1ELb0ELc84ELc85EKS1_S1_EviT_PT9_S3_lS5_S3_lPT10_S3_li.uses_flat_scratch, 0
	.set _ZL37rocblas_syrkx_herkx_restricted_kernelIi19rocblas_complex_numIdELi16ELi32ELi8ELi1ELi1ELb0ELc84ELc85EKS1_S1_EviT_PT9_S3_lS5_S3_lPT10_S3_li.has_dyn_sized_stack, 0
	.set _ZL37rocblas_syrkx_herkx_restricted_kernelIi19rocblas_complex_numIdELi16ELi32ELi8ELi1ELi1ELb0ELc84ELc85EKS1_S1_EviT_PT9_S3_lS5_S3_lPT10_S3_li.has_recursion, 0
	.set _ZL37rocblas_syrkx_herkx_restricted_kernelIi19rocblas_complex_numIdELi16ELi32ELi8ELi1ELi1ELb0ELc84ELc85EKS1_S1_EviT_PT9_S3_lS5_S3_lPT10_S3_li.has_indirect_call, 0
	.section	.AMDGPU.csdata,"",@progbits
; Kernel info:
; codeLenInByte = 2884
; TotalNumSgprs: 26
; NumVgprs: 52
; ScratchSize: 0
; MemoryBound: 0
; FloatMode: 240
; IeeeMode: 1
; LDSByteSize: 8192 bytes/workgroup (compile time only)
; SGPRBlocks: 8
; VGPRBlocks: 12
; NumSGPRsForWavesPerEU: 65
; NumVGPRsForWavesPerEU: 52
; Occupancy: 4
; WaveLimiterHint : 0
; COMPUTE_PGM_RSRC2:SCRATCH_EN: 0
; COMPUTE_PGM_RSRC2:USER_SGPR: 6
; COMPUTE_PGM_RSRC2:TRAP_HANDLER: 0
; COMPUTE_PGM_RSRC2:TGID_X_EN: 1
; COMPUTE_PGM_RSRC2:TGID_Y_EN: 1
; COMPUTE_PGM_RSRC2:TGID_Z_EN: 1
; COMPUTE_PGM_RSRC2:TIDIG_COMP_CNT: 1
	.section	.text._ZL37rocblas_syrkx_herkx_restricted_kernelIi19rocblas_complex_numIdELi16ELi32ELi8ELi1ELi1ELb0ELc67ELc85EKS1_S1_EviT_PT9_S3_lS5_S3_lPT10_S3_li,"axG",@progbits,_ZL37rocblas_syrkx_herkx_restricted_kernelIi19rocblas_complex_numIdELi16ELi32ELi8ELi1ELi1ELb0ELc67ELc85EKS1_S1_EviT_PT9_S3_lS5_S3_lPT10_S3_li,comdat
	.globl	_ZL37rocblas_syrkx_herkx_restricted_kernelIi19rocblas_complex_numIdELi16ELi32ELi8ELi1ELi1ELb0ELc67ELc85EKS1_S1_EviT_PT9_S3_lS5_S3_lPT10_S3_li ; -- Begin function _ZL37rocblas_syrkx_herkx_restricted_kernelIi19rocblas_complex_numIdELi16ELi32ELi8ELi1ELi1ELb0ELc67ELc85EKS1_S1_EviT_PT9_S3_lS5_S3_lPT10_S3_li
	.p2align	8
	.type	_ZL37rocblas_syrkx_herkx_restricted_kernelIi19rocblas_complex_numIdELi16ELi32ELi8ELi1ELi1ELb0ELc67ELc85EKS1_S1_EviT_PT9_S3_lS5_S3_lPT10_S3_li,@function
_ZL37rocblas_syrkx_herkx_restricted_kernelIi19rocblas_complex_numIdELi16ELi32ELi8ELi1ELi1ELb0ELc67ELc85EKS1_S1_EviT_PT9_S3_lS5_S3_lPT10_S3_li: ; @_ZL37rocblas_syrkx_herkx_restricted_kernelIi19rocblas_complex_numIdELi16ELi32ELi8ELi1ELi1ELb0ELc67ELc85EKS1_S1_EviT_PT9_S3_lS5_S3_lPT10_S3_li
; %bb.0:
	s_load_dwordx2 s[10:11], s[4:5], 0x0
	s_load_dwordx4 s[0:3], s[4:5], 0x30
	s_lshl_b32 s6, s6, 5
	s_lshl_b32 s7, s7, 5
	s_mov_b32 s9, 0
	s_waitcnt lgkmcnt(0)
	s_cmp_lt_i32 s11, 1
	s_cbranch_scc1 .LBB237_3
; %bb.1:
	s_load_dwordx2 s[16:17], s[4:5], 0x8
	s_load_dword s20, s[4:5], 0x10
	s_load_dwordx4 s[12:15], s[4:5], 0x18
	s_load_dword s18, s[4:5], 0x28
	v_lshl_add_u32 v6, v1, 4, v0
	v_lshrrev_b32_e32 v8, 3, v6
	v_add_u32_e32 v4, s7, v8
	v_and_b32_e32 v2, 7, v0
	v_mov_b32_e32 v3, 0
	s_waitcnt lgkmcnt(0)
	v_mad_i64_i32 v[4:5], s[18:19], s18, v4, v[2:3]
	v_lshlrev_b32_e32 v2, 4, v2
	v_lshl_or_b32 v2, v8, 7, v2
	v_and_b32_e32 v9, 31, v6
	v_add_u32_e32 v23, 0x1000, v2
	v_mov_b32_e32 v2, 0x1000
	v_lshrrev_b32_e32 v6, 5, v6
	v_mov_b32_e32 v7, v3
	v_lshlrev_b32_e32 v3, 4, v9
	v_lshl_add_u32 v25, v1, 7, v2
	v_add_u32_e32 v2, s6, v9
	v_lshl_or_b32 v22, v6, 9, v3
	v_mad_i64_i32 v[2:3], s[18:19], s20, v2, v[6:7]
	s_mul_i32 s13, s13, s8
	s_mul_hi_u32 s21, s12, s8
	s_add_i32 s13, s21, s13
	s_mul_i32 s12, s12, s8
	s_lshl_b64 s[12:13], s[12:13], 4
	v_lshlrev_b64 v[2:3], 4, v[2:3]
	s_add_u32 s12, s16, s12
	s_addc_u32 s13, s17, s13
	v_add_co_u32_e32 v2, vcc, s12, v2
	s_mul_i32 s1, s1, s8
	s_mul_hi_u32 s12, s0, s8
	v_mov_b32_e32 v6, s13
	s_add_i32 s1, s12, s1
	s_mul_i32 s0, s0, s8
	v_addc_co_u32_e32 v3, vcc, v6, v3, vcc
	s_lshl_b64 s[0:1], s[0:1], 4
	v_add_co_u32_e32 v2, vcc, 8, v2
	v_lshlrev_b64 v[4:5], 4, v[4:5]
	s_add_u32 s0, s14, s0
	v_addc_co_u32_e32 v3, vcc, 0, v3, vcc
	s_addc_u32 s1, s15, s1
	v_mov_b32_e32 v6, s1
	v_add_co_u32_e32 v4, vcc, s0, v4
	v_addc_co_u32_e32 v5, vcc, v6, v5, vcc
	v_mov_b32_e32 v10, 0
	v_mov_b32_e32 v12, 0
	;; [unrolled: 1-line block ×8, first 2 shown]
	v_add_co_u32_e32 v4, vcc, 8, v4
	v_lshlrev_b32_e32 v24, 4, v0
	v_mov_b32_e32 v11, 0
	v_mov_b32_e32 v13, 0
	;; [unrolled: 1-line block ×8, first 2 shown]
	v_addc_co_u32_e32 v5, vcc, 0, v5, vcc
.LBB237_2:                              ; =>This Inner Loop Header: Depth=1
	global_load_dwordx4 v[26:29], v[2:3], off offset:-8
	v_add_co_u32_e32 v2, vcc, 0x80, v2
	v_addc_co_u32_e32 v3, vcc, 0, v3, vcc
	s_add_i32 s9, s9, 8
	s_cmp_ge_i32 s9, s11
	s_waitcnt vmcnt(0)
	ds_write_b128 v22, v[26:29]
	global_load_dwordx4 v[26:29], v[4:5], off offset:-8
	v_add_co_u32_e32 v4, vcc, 0x80, v4
	v_addc_co_u32_e32 v5, vcc, 0, v5, vcc
	s_waitcnt vmcnt(0)
	ds_write_b128 v23, v[26:29]
	s_waitcnt lgkmcnt(0)
	s_barrier
	ds_read_b128 v[26:29], v25
	ds_read_b128 v[30:33], v25 offset:16
	ds_read_b128 v[34:37], v25 offset:32
	;; [unrolled: 1-line block ×3, first 2 shown]
	ds_read_b128 v[42:45], v24
	s_waitcnt lgkmcnt(0)
	v_mul_f64 v[46:47], v[28:29], v[44:45]
	v_mul_f64 v[48:49], v[26:27], v[44:45]
	v_fma_f64 v[46:47], v[26:27], v[42:43], -v[46:47]
	v_fma_f64 v[48:49], v[28:29], v[42:43], v[48:49]
	v_add_f64 v[46:47], v[14:15], v[46:47]
	v_add_f64 v[48:49], v[48:49], v[16:17]
	ds_read_b128 v[14:17], v24 offset:256
	s_waitcnt lgkmcnt(0)
	v_mul_f64 v[50:51], v[28:29], v[16:17]
	v_fma_f64 v[50:51], v[26:27], v[14:15], -v[50:51]
	v_mul_f64 v[26:27], v[26:27], v[16:17]
	v_fma_f64 v[26:27], v[28:29], v[14:15], v[26:27]
	v_add_f64 v[28:29], v[8:9], v[50:51]
	v_add_f64 v[26:27], v[26:27], v[6:7]
	ds_read_b128 v[6:9], v25 offset:2048
	s_waitcnt lgkmcnt(0)
	v_mul_f64 v[50:51], v[8:9], v[44:45]
	v_mul_f64 v[44:45], v[6:7], v[44:45]
	v_fma_f64 v[50:51], v[6:7], v[42:43], -v[50:51]
	v_fma_f64 v[42:43], v[8:9], v[42:43], v[44:45]
	v_add_f64 v[20:21], v[20:21], v[50:51]
	v_add_f64 v[18:19], v[42:43], v[18:19]
	v_mul_f64 v[42:43], v[8:9], v[16:17]
	v_fma_f64 v[42:43], v[6:7], v[14:15], -v[42:43]
	v_mul_f64 v[6:7], v[6:7], v[16:17]
	v_add_f64 v[42:43], v[12:13], v[42:43]
	v_fma_f64 v[6:7], v[8:9], v[14:15], v[6:7]
	v_add_f64 v[44:45], v[6:7], v[10:11]
	ds_read_b128 v[6:9], v24 offset:512
	s_waitcnt lgkmcnt(0)
	v_mul_f64 v[10:11], v[32:33], v[8:9]
	v_mul_f64 v[12:13], v[30:31], v[8:9]
	v_fma_f64 v[10:11], v[30:31], v[6:7], -v[10:11]
	v_fma_f64 v[12:13], v[32:33], v[6:7], v[12:13]
	v_add_f64 v[46:47], v[46:47], v[10:11]
	v_add_f64 v[48:49], v[12:13], v[48:49]
	ds_read_b128 v[10:13], v24 offset:768
	s_waitcnt lgkmcnt(0)
	v_mul_f64 v[14:15], v[32:33], v[12:13]
	v_mul_f64 v[16:17], v[30:31], v[12:13]
	v_fma_f64 v[14:15], v[30:31], v[10:11], -v[14:15]
	v_fma_f64 v[16:17], v[32:33], v[10:11], v[16:17]
	v_add_f64 v[28:29], v[28:29], v[14:15]
	v_add_f64 v[26:27], v[16:17], v[26:27]
	ds_read_b128 v[14:17], v25 offset:2064
	s_waitcnt lgkmcnt(0)
	v_mul_f64 v[30:31], v[16:17], v[8:9]
	v_mul_f64 v[8:9], v[14:15], v[8:9]
	v_fma_f64 v[30:31], v[14:15], v[6:7], -v[30:31]
	v_fma_f64 v[6:7], v[16:17], v[6:7], v[8:9]
	v_mul_f64 v[8:9], v[14:15], v[12:13]
	v_add_f64 v[20:21], v[20:21], v[30:31]
	v_add_f64 v[18:19], v[6:7], v[18:19]
	v_mul_f64 v[6:7], v[16:17], v[12:13]
	v_fma_f64 v[8:9], v[16:17], v[10:11], v[8:9]
	v_fma_f64 v[6:7], v[14:15], v[10:11], -v[6:7]
	v_add_f64 v[32:33], v[8:9], v[44:45]
	v_add_f64 v[30:31], v[42:43], v[6:7]
	ds_read_b128 v[6:9], v24 offset:1024
	s_waitcnt lgkmcnt(0)
	v_mul_f64 v[10:11], v[36:37], v[8:9]
	v_mul_f64 v[12:13], v[34:35], v[8:9]
	v_fma_f64 v[10:11], v[34:35], v[6:7], -v[10:11]
	v_fma_f64 v[12:13], v[36:37], v[6:7], v[12:13]
	v_add_f64 v[42:43], v[46:47], v[10:11]
	v_add_f64 v[44:45], v[12:13], v[48:49]
	ds_read_b128 v[10:13], v24 offset:1280
	s_waitcnt lgkmcnt(0)
	v_mul_f64 v[14:15], v[36:37], v[12:13]
	v_mul_f64 v[16:17], v[34:35], v[12:13]
	v_fma_f64 v[14:15], v[34:35], v[10:11], -v[14:15]
	v_fma_f64 v[16:17], v[36:37], v[10:11], v[16:17]
	v_add_f64 v[28:29], v[28:29], v[14:15]
	v_add_f64 v[26:27], v[16:17], v[26:27]
	ds_read_b128 v[14:17], v25 offset:2080
	s_waitcnt lgkmcnt(0)
	v_mul_f64 v[34:35], v[16:17], v[8:9]
	v_mul_f64 v[8:9], v[14:15], v[8:9]
	v_fma_f64 v[34:35], v[14:15], v[6:7], -v[34:35]
	v_fma_f64 v[6:7], v[16:17], v[6:7], v[8:9]
	v_mul_f64 v[8:9], v[14:15], v[12:13]
	v_add_f64 v[20:21], v[20:21], v[34:35]
	v_add_f64 v[18:19], v[6:7], v[18:19]
	v_mul_f64 v[6:7], v[16:17], v[12:13]
	v_fma_f64 v[8:9], v[16:17], v[10:11], v[8:9]
	v_fma_f64 v[6:7], v[14:15], v[10:11], -v[6:7]
	v_add_f64 v[32:33], v[8:9], v[32:33]
	;; [unrolled: 30-line block ×3, first 2 shown]
	v_add_f64 v[30:31], v[30:31], v[6:7]
	ds_read_b128 v[6:9], v25 offset:64
	ds_read_b128 v[10:13], v24 offset:2048
	s_waitcnt lgkmcnt(0)
	v_mul_f64 v[14:15], v[8:9], v[12:13]
	v_mul_f64 v[16:17], v[6:7], v[12:13]
	v_fma_f64 v[14:15], v[6:7], v[10:11], -v[14:15]
	v_fma_f64 v[16:17], v[8:9], v[10:11], v[16:17]
	v_add_f64 v[34:35], v[34:35], v[14:15]
	v_add_f64 v[36:37], v[16:17], v[36:37]
	ds_read_b128 v[14:17], v24 offset:2304
	s_waitcnt lgkmcnt(0)
	v_mul_f64 v[38:39], v[8:9], v[16:17]
	v_fma_f64 v[38:39], v[6:7], v[14:15], -v[38:39]
	v_mul_f64 v[6:7], v[6:7], v[16:17]
	v_add_f64 v[28:29], v[28:29], v[38:39]
	v_fma_f64 v[6:7], v[8:9], v[14:15], v[6:7]
	v_add_f64 v[26:27], v[6:7], v[26:27]
	ds_read_b128 v[6:9], v25 offset:2112
	s_waitcnt lgkmcnt(0)
	v_mul_f64 v[38:39], v[8:9], v[12:13]
	v_mul_f64 v[12:13], v[6:7], v[12:13]
	v_fma_f64 v[38:39], v[6:7], v[10:11], -v[38:39]
	v_fma_f64 v[10:11], v[8:9], v[10:11], v[12:13]
	v_add_f64 v[20:21], v[20:21], v[38:39]
	v_add_f64 v[18:19], v[10:11], v[18:19]
	v_mul_f64 v[10:11], v[8:9], v[16:17]
	v_fma_f64 v[10:11], v[6:7], v[14:15], -v[10:11]
	v_mul_f64 v[6:7], v[6:7], v[16:17]
	v_add_f64 v[30:31], v[30:31], v[10:11]
	v_fma_f64 v[6:7], v[8:9], v[14:15], v[6:7]
	v_add_f64 v[32:33], v[6:7], v[32:33]
	ds_read_b128 v[6:9], v25 offset:80
	ds_read_b128 v[10:13], v24 offset:2560
	s_waitcnt lgkmcnt(0)
	v_mul_f64 v[14:15], v[8:9], v[12:13]
	v_mul_f64 v[16:17], v[6:7], v[12:13]
	v_fma_f64 v[14:15], v[6:7], v[10:11], -v[14:15]
	v_fma_f64 v[16:17], v[8:9], v[10:11], v[16:17]
	v_add_f64 v[34:35], v[34:35], v[14:15]
	v_add_f64 v[36:37], v[16:17], v[36:37]
	ds_read_b128 v[14:17], v24 offset:2816
	s_waitcnt lgkmcnt(0)
	v_mul_f64 v[38:39], v[8:9], v[16:17]
	v_fma_f64 v[38:39], v[6:7], v[14:15], -v[38:39]
	v_mul_f64 v[6:7], v[6:7], v[16:17]
	v_add_f64 v[28:29], v[28:29], v[38:39]
	v_fma_f64 v[6:7], v[8:9], v[14:15], v[6:7]
	v_add_f64 v[26:27], v[6:7], v[26:27]
	ds_read_b128 v[6:9], v25 offset:2128
	s_waitcnt lgkmcnt(0)
	v_mul_f64 v[38:39], v[8:9], v[12:13]
	v_mul_f64 v[12:13], v[6:7], v[12:13]
	v_fma_f64 v[38:39], v[6:7], v[10:11], -v[38:39]
	v_fma_f64 v[10:11], v[8:9], v[10:11], v[12:13]
	v_add_f64 v[20:21], v[20:21], v[38:39]
	v_add_f64 v[18:19], v[10:11], v[18:19]
	v_mul_f64 v[10:11], v[8:9], v[16:17]
	v_fma_f64 v[10:11], v[6:7], v[14:15], -v[10:11]
	v_mul_f64 v[6:7], v[6:7], v[16:17]
	v_add_f64 v[30:31], v[30:31], v[10:11]
	v_fma_f64 v[6:7], v[8:9], v[14:15], v[6:7]
	;; [unrolled: 31-line block ×3, first 2 shown]
	v_add_f64 v[44:45], v[6:7], v[32:33]
	ds_read_b128 v[6:9], v25 offset:112
	ds_read_b128 v[10:13], v24 offset:3584
	;; [unrolled: 1-line block ×3, first 2 shown]
	s_waitcnt lgkmcnt(1)
	v_mul_f64 v[14:15], v[8:9], v[12:13]
	s_waitcnt lgkmcnt(0)
	v_mul_f64 v[30:31], v[8:9], v[28:29]
	v_mul_f64 v[16:17], v[6:7], v[12:13]
	v_fma_f64 v[14:15], v[6:7], v[10:11], -v[14:15]
	v_fma_f64 v[30:31], v[6:7], v[26:27], -v[30:31]
	v_mul_f64 v[6:7], v[6:7], v[28:29]
	v_fma_f64 v[16:17], v[8:9], v[10:11], v[16:17]
	v_add_f64 v[14:15], v[34:35], v[14:15]
	v_fma_f64 v[6:7], v[8:9], v[26:27], v[6:7]
	v_add_f64 v[8:9], v[38:39], v[30:31]
	ds_read_b128 v[30:33], v25 offset:2160
	v_add_f64 v[16:17], v[16:17], v[36:37]
	s_waitcnt lgkmcnt(0)
	s_barrier
	v_mul_f64 v[34:35], v[32:33], v[12:13]
	v_mul_f64 v[12:13], v[30:31], v[12:13]
	v_add_f64 v[6:7], v[6:7], v[40:41]
	v_fma_f64 v[34:35], v[30:31], v[10:11], -v[34:35]
	v_fma_f64 v[10:11], v[32:33], v[10:11], v[12:13]
	v_mul_f64 v[12:13], v[30:31], v[28:29]
	v_add_f64 v[20:21], v[20:21], v[34:35]
	v_add_f64 v[18:19], v[10:11], v[18:19]
	v_mul_f64 v[10:11], v[32:33], v[28:29]
	v_fma_f64 v[10:11], v[30:31], v[26:27], -v[10:11]
	v_fma_f64 v[26:27], v[32:33], v[26:27], v[12:13]
	v_add_f64 v[12:13], v[42:43], v[10:11]
	v_add_f64 v[10:11], v[26:27], v[44:45]
	s_cbranch_scc0 .LBB237_2
	s_branch .LBB237_4
.LBB237_3:
	v_mov_b32_e32 v14, 0
	v_mov_b32_e32 v16, 0
	;; [unrolled: 1-line block ×16, first 2 shown]
.LBB237_4:
	s_load_dwordx2 s[0:1], s[4:5], 0x48
	s_load_dword s9, s[4:5], 0x40
	v_add_u32_e32 v4, s7, v1
	v_add_u32_e32 v0, s6, v0
	v_cmp_gt_i32_e32 vcc, s10, v4
	s_waitcnt lgkmcnt(0)
	s_mul_i32 s1, s1, s8
	v_mad_i64_i32 v[1:2], s[12:13], v4, s9, 0
	s_mul_hi_u32 s4, s0, s8
	s_mul_i32 s0, s0, s8
	s_add_i32 s1, s4, s1
	s_lshl_b64 s[0:1], s[0:1], 4
	s_add_u32 s4, s2, s0
	v_lshlrev_b64 v[1:2], 4, v[1:2]
	s_addc_u32 s5, s3, s1
	v_mov_b32_e32 v3, s5
	v_add_co_u32_e64 v5, s[0:1], s4, v1
	v_addc_co_u32_e64 v22, s[0:1], v3, v2, s[0:1]
	v_cmp_le_i32_e64 s[0:1], v0, v4
	s_and_b64 s[0:1], vcc, s[0:1]
	s_and_saveexec_b64 s[2:3], s[0:1]
	s_cbranch_execz .LBB237_6
; %bb.5:
	v_ashrrev_i32_e32 v1, 31, v0
	v_lshlrev_b64 v[1:2], 4, v[0:1]
	v_add_co_u32_e64 v1, s[0:1], v5, v1
	v_addc_co_u32_e64 v2, s[0:1], v22, v2, s[0:1]
	global_load_dwordx4 v[23:26], v[1:2], off
	s_waitcnt vmcnt(0)
	v_add_f64 v[14:15], v[14:15], v[23:24]
	v_add_f64 v[16:17], v[16:17], v[25:26]
	global_store_dwordx4 v[1:2], v[14:17], off
.LBB237_6:
	s_or_b64 exec, exec, s[2:3]
	v_add_u32_e32 v2, 16, v0
	v_cmp_le_i32_e64 s[0:1], v2, v4
	s_and_b64 s[2:3], vcc, s[0:1]
	s_and_saveexec_b64 s[0:1], s[2:3]
	s_cbranch_execz .LBB237_8
; %bb.7:
	v_ashrrev_i32_e32 v3, 31, v2
	v_lshlrev_b64 v[14:15], 4, v[2:3]
	v_add_co_u32_e32 v23, vcc, v5, v14
	v_addc_co_u32_e32 v24, vcc, v22, v15, vcc
	global_load_dwordx4 v[14:17], v[23:24], off
	s_waitcnt vmcnt(0)
	v_add_f64 v[14:15], v[8:9], v[14:15]
	v_add_f64 v[16:17], v[6:7], v[16:17]
	global_store_dwordx4 v[23:24], v[14:17], off
.LBB237_8:
	s_or_b64 exec, exec, s[0:1]
	v_add_u32_e32 v3, 16, v4
	v_mad_i64_i32 v[4:5], s[0:1], v3, s9, 0
	v_mov_b32_e32 v1, s5
	v_cmp_gt_i32_e32 vcc, s10, v3
	v_lshlrev_b64 v[4:5], 4, v[4:5]
	v_add_co_u32_e64 v4, s[0:1], s4, v4
	v_addc_co_u32_e64 v5, s[0:1], v1, v5, s[0:1]
	v_cmp_le_i32_e64 s[0:1], v0, v3
	s_and_b64 s[0:1], vcc, s[0:1]
	s_and_saveexec_b64 s[2:3], s[0:1]
	s_cbranch_execz .LBB237_10
; %bb.9:
	v_ashrrev_i32_e32 v1, 31, v0
	v_lshlrev_b64 v[0:1], 4, v[0:1]
	v_add_co_u32_e64 v0, s[0:1], v4, v0
	v_addc_co_u32_e64 v1, s[0:1], v5, v1, s[0:1]
	global_load_dwordx4 v[6:9], v[0:1], off
	s_waitcnt vmcnt(0)
	v_add_f64 v[6:7], v[20:21], v[6:7]
	v_add_f64 v[8:9], v[18:19], v[8:9]
	global_store_dwordx4 v[0:1], v[6:9], off
.LBB237_10:
	s_or_b64 exec, exec, s[2:3]
	v_cmp_le_i32_e64 s[0:1], v2, v3
	s_and_b64 s[0:1], vcc, s[0:1]
	s_and_saveexec_b64 s[2:3], s[0:1]
	s_cbranch_execz .LBB237_12
; %bb.11:
	v_ashrrev_i32_e32 v3, 31, v2
	v_lshlrev_b64 v[0:1], 4, v[2:3]
	v_add_co_u32_e32 v4, vcc, v4, v0
	v_addc_co_u32_e32 v5, vcc, v5, v1, vcc
	global_load_dwordx4 v[0:3], v[4:5], off
	s_waitcnt vmcnt(0)
	v_add_f64 v[0:1], v[12:13], v[0:1]
	v_add_f64 v[2:3], v[10:11], v[2:3]
	global_store_dwordx4 v[4:5], v[0:3], off
.LBB237_12:
	s_endpgm
	.section	.rodata,"a",@progbits
	.p2align	6, 0x0
	.amdhsa_kernel _ZL37rocblas_syrkx_herkx_restricted_kernelIi19rocblas_complex_numIdELi16ELi32ELi8ELi1ELi1ELb0ELc67ELc85EKS1_S1_EviT_PT9_S3_lS5_S3_lPT10_S3_li
		.amdhsa_group_segment_fixed_size 8192
		.amdhsa_private_segment_fixed_size 0
		.amdhsa_kernarg_size 84
		.amdhsa_user_sgpr_count 6
		.amdhsa_user_sgpr_private_segment_buffer 1
		.amdhsa_user_sgpr_dispatch_ptr 0
		.amdhsa_user_sgpr_queue_ptr 0
		.amdhsa_user_sgpr_kernarg_segment_ptr 1
		.amdhsa_user_sgpr_dispatch_id 0
		.amdhsa_user_sgpr_flat_scratch_init 0
		.amdhsa_user_sgpr_private_segment_size 0
		.amdhsa_uses_dynamic_stack 0
		.amdhsa_system_sgpr_private_segment_wavefront_offset 0
		.amdhsa_system_sgpr_workgroup_id_x 1
		.amdhsa_system_sgpr_workgroup_id_y 1
		.amdhsa_system_sgpr_workgroup_id_z 1
		.amdhsa_system_sgpr_workgroup_info 0
		.amdhsa_system_vgpr_workitem_id 1
		.amdhsa_next_free_vgpr 52
		.amdhsa_next_free_sgpr 61
		.amdhsa_reserve_vcc 1
		.amdhsa_reserve_flat_scratch 0
		.amdhsa_float_round_mode_32 0
		.amdhsa_float_round_mode_16_64 0
		.amdhsa_float_denorm_mode_32 3
		.amdhsa_float_denorm_mode_16_64 3
		.amdhsa_dx10_clamp 1
		.amdhsa_ieee_mode 1
		.amdhsa_fp16_overflow 0
		.amdhsa_exception_fp_ieee_invalid_op 0
		.amdhsa_exception_fp_denorm_src 0
		.amdhsa_exception_fp_ieee_div_zero 0
		.amdhsa_exception_fp_ieee_overflow 0
		.amdhsa_exception_fp_ieee_underflow 0
		.amdhsa_exception_fp_ieee_inexact 0
		.amdhsa_exception_int_div_zero 0
	.end_amdhsa_kernel
	.section	.text._ZL37rocblas_syrkx_herkx_restricted_kernelIi19rocblas_complex_numIdELi16ELi32ELi8ELi1ELi1ELb0ELc67ELc85EKS1_S1_EviT_PT9_S3_lS5_S3_lPT10_S3_li,"axG",@progbits,_ZL37rocblas_syrkx_herkx_restricted_kernelIi19rocblas_complex_numIdELi16ELi32ELi8ELi1ELi1ELb0ELc67ELc85EKS1_S1_EviT_PT9_S3_lS5_S3_lPT10_S3_li,comdat
.Lfunc_end237:
	.size	_ZL37rocblas_syrkx_herkx_restricted_kernelIi19rocblas_complex_numIdELi16ELi32ELi8ELi1ELi1ELb0ELc67ELc85EKS1_S1_EviT_PT9_S3_lS5_S3_lPT10_S3_li, .Lfunc_end237-_ZL37rocblas_syrkx_herkx_restricted_kernelIi19rocblas_complex_numIdELi16ELi32ELi8ELi1ELi1ELb0ELc67ELc85EKS1_S1_EviT_PT9_S3_lS5_S3_lPT10_S3_li
                                        ; -- End function
	.set _ZL37rocblas_syrkx_herkx_restricted_kernelIi19rocblas_complex_numIdELi16ELi32ELi8ELi1ELi1ELb0ELc67ELc85EKS1_S1_EviT_PT9_S3_lS5_S3_lPT10_S3_li.num_vgpr, 52
	.set _ZL37rocblas_syrkx_herkx_restricted_kernelIi19rocblas_complex_numIdELi16ELi32ELi8ELi1ELi1ELb0ELc67ELc85EKS1_S1_EviT_PT9_S3_lS5_S3_lPT10_S3_li.num_agpr, 0
	.set _ZL37rocblas_syrkx_herkx_restricted_kernelIi19rocblas_complex_numIdELi16ELi32ELi8ELi1ELi1ELb0ELc67ELc85EKS1_S1_EviT_PT9_S3_lS5_S3_lPT10_S3_li.numbered_sgpr, 22
	.set _ZL37rocblas_syrkx_herkx_restricted_kernelIi19rocblas_complex_numIdELi16ELi32ELi8ELi1ELi1ELb0ELc67ELc85EKS1_S1_EviT_PT9_S3_lS5_S3_lPT10_S3_li.num_named_barrier, 0
	.set _ZL37rocblas_syrkx_herkx_restricted_kernelIi19rocblas_complex_numIdELi16ELi32ELi8ELi1ELi1ELb0ELc67ELc85EKS1_S1_EviT_PT9_S3_lS5_S3_lPT10_S3_li.private_seg_size, 0
	.set _ZL37rocblas_syrkx_herkx_restricted_kernelIi19rocblas_complex_numIdELi16ELi32ELi8ELi1ELi1ELb0ELc67ELc85EKS1_S1_EviT_PT9_S3_lS5_S3_lPT10_S3_li.uses_vcc, 1
	.set _ZL37rocblas_syrkx_herkx_restricted_kernelIi19rocblas_complex_numIdELi16ELi32ELi8ELi1ELi1ELb0ELc67ELc85EKS1_S1_EviT_PT9_S3_lS5_S3_lPT10_S3_li.uses_flat_scratch, 0
	.set _ZL37rocblas_syrkx_herkx_restricted_kernelIi19rocblas_complex_numIdELi16ELi32ELi8ELi1ELi1ELb0ELc67ELc85EKS1_S1_EviT_PT9_S3_lS5_S3_lPT10_S3_li.has_dyn_sized_stack, 0
	.set _ZL37rocblas_syrkx_herkx_restricted_kernelIi19rocblas_complex_numIdELi16ELi32ELi8ELi1ELi1ELb0ELc67ELc85EKS1_S1_EviT_PT9_S3_lS5_S3_lPT10_S3_li.has_recursion, 0
	.set _ZL37rocblas_syrkx_herkx_restricted_kernelIi19rocblas_complex_numIdELi16ELi32ELi8ELi1ELi1ELb0ELc67ELc85EKS1_S1_EviT_PT9_S3_lS5_S3_lPT10_S3_li.has_indirect_call, 0
	.section	.AMDGPU.csdata,"",@progbits
; Kernel info:
; codeLenInByte = 2884
; TotalNumSgprs: 26
; NumVgprs: 52
; ScratchSize: 0
; MemoryBound: 0
; FloatMode: 240
; IeeeMode: 1
; LDSByteSize: 8192 bytes/workgroup (compile time only)
; SGPRBlocks: 8
; VGPRBlocks: 12
; NumSGPRsForWavesPerEU: 65
; NumVGPRsForWavesPerEU: 52
; Occupancy: 4
; WaveLimiterHint : 0
; COMPUTE_PGM_RSRC2:SCRATCH_EN: 0
; COMPUTE_PGM_RSRC2:USER_SGPR: 6
; COMPUTE_PGM_RSRC2:TRAP_HANDLER: 0
; COMPUTE_PGM_RSRC2:TGID_X_EN: 1
; COMPUTE_PGM_RSRC2:TGID_Y_EN: 1
; COMPUTE_PGM_RSRC2:TGID_Z_EN: 1
; COMPUTE_PGM_RSRC2:TIDIG_COMP_CNT: 1
	.section	.text._ZL37rocblas_syrkx_herkx_restricted_kernelIi19rocblas_complex_numIdELi16ELi32ELi8ELi1ELi1ELb0ELc78ELc85EKS1_S1_EviT_PT9_S3_lS5_S3_lPT10_S3_li,"axG",@progbits,_ZL37rocblas_syrkx_herkx_restricted_kernelIi19rocblas_complex_numIdELi16ELi32ELi8ELi1ELi1ELb0ELc78ELc85EKS1_S1_EviT_PT9_S3_lS5_S3_lPT10_S3_li,comdat
	.globl	_ZL37rocblas_syrkx_herkx_restricted_kernelIi19rocblas_complex_numIdELi16ELi32ELi8ELi1ELi1ELb0ELc78ELc85EKS1_S1_EviT_PT9_S3_lS5_S3_lPT10_S3_li ; -- Begin function _ZL37rocblas_syrkx_herkx_restricted_kernelIi19rocblas_complex_numIdELi16ELi32ELi8ELi1ELi1ELb0ELc78ELc85EKS1_S1_EviT_PT9_S3_lS5_S3_lPT10_S3_li
	.p2align	8
	.type	_ZL37rocblas_syrkx_herkx_restricted_kernelIi19rocblas_complex_numIdELi16ELi32ELi8ELi1ELi1ELb0ELc78ELc85EKS1_S1_EviT_PT9_S3_lS5_S3_lPT10_S3_li,@function
_ZL37rocblas_syrkx_herkx_restricted_kernelIi19rocblas_complex_numIdELi16ELi32ELi8ELi1ELi1ELb0ELc78ELc85EKS1_S1_EviT_PT9_S3_lS5_S3_lPT10_S3_li: ; @_ZL37rocblas_syrkx_herkx_restricted_kernelIi19rocblas_complex_numIdELi16ELi32ELi8ELi1ELi1ELb0ELc78ELc85EKS1_S1_EviT_PT9_S3_lS5_S3_lPT10_S3_li
; %bb.0:
	s_load_dwordx2 s[10:11], s[4:5], 0x0
	s_load_dwordx4 s[0:3], s[4:5], 0x30
	s_lshl_b32 s9, s6, 5
	s_lshl_b32 s16, s7, 5
	s_mov_b32 s17, 0
	s_waitcnt lgkmcnt(0)
	s_cmp_lt_i32 s11, 1
	s_cbranch_scc1 .LBB238_3
; %bb.1:
	v_lshl_add_u32 v7, v1, 4, v0
	s_load_dword s6, s[4:5], 0x10
	s_load_dword s18, s[4:5], 0x28
	s_load_dwordx2 s[20:21], s[4:5], 0x8
	s_load_dwordx4 s[12:15], s[4:5], 0x18
	v_lshrrev_b32_e32 v8, 3, v7
	v_add_u32_e32 v2, s16, v8
	v_and_b32_e32 v6, 7, v0
	v_ashrrev_i32_e32 v3, 31, v2
	s_waitcnt lgkmcnt(0)
	v_mad_i64_i32 v[4:5], s[22:23], s18, v6, v[2:3]
	v_and_b32_e32 v2, 31, v7
	v_lshrrev_b32_e32 v9, 5, v7
	v_lshlrev_b32_e32 v3, 4, v2
	v_lshl_or_b32 v22, v9, 9, v3
	v_lshlrev_b32_e32 v3, 4, v6
	v_lshl_or_b32 v3, v8, 7, v3
	v_add_u32_e32 v23, 0x1000, v3
	v_mov_b32_e32 v3, 0x1000
	v_add_u32_e32 v2, s9, v2
	v_lshl_add_u32 v25, v1, 7, v3
	v_ashrrev_i32_e32 v3, 31, v2
	v_mad_i64_i32 v[2:3], s[22:23], s6, v9, v[2:3]
	s_mul_i32 s13, s13, s8
	s_mul_hi_u32 s24, s12, s8
	s_add_i32 s13, s24, s13
	s_mul_i32 s12, s12, s8
	s_ashr_i32 s7, s6, 31
	s_ashr_i32 s19, s18, 31
	s_lshl_b64 s[12:13], s[12:13], 4
	v_lshlrev_b64 v[2:3], 4, v[2:3]
	s_add_u32 s12, s20, s12
	s_addc_u32 s13, s21, s13
	v_add_co_u32_e32 v2, vcc, s12, v2
	s_mul_i32 s1, s1, s8
	s_mul_hi_u32 s12, s0, s8
	v_mov_b32_e32 v6, s13
	s_add_i32 s1, s12, s1
	s_mul_i32 s0, s0, s8
	v_addc_co_u32_e32 v3, vcc, v6, v3, vcc
	s_lshl_b64 s[6:7], s[6:7], 7
	s_lshl_b64 s[0:1], s[0:1], 4
	v_add_co_u32_e32 v2, vcc, 8, v2
	v_lshlrev_b64 v[4:5], 4, v[4:5]
	s_add_u32 s0, s14, s0
	v_addc_co_u32_e32 v3, vcc, 0, v3, vcc
	s_addc_u32 s1, s15, s1
	v_mov_b32_e32 v6, s1
	v_add_co_u32_e32 v4, vcc, s0, v4
	v_addc_co_u32_e32 v5, vcc, v6, v5, vcc
	v_add_co_u32_e32 v4, vcc, 8, v4
	s_lshl_b64 s[0:1], s[18:19], 7
	v_mov_b32_e32 v10, 0
	v_mov_b32_e32 v12, 0
	;; [unrolled: 1-line block ×8, first 2 shown]
	v_lshlrev_b32_e32 v24, 4, v0
	v_addc_co_u32_e32 v5, vcc, 0, v5, vcc
	v_mov_b32_e32 v11, 0
	v_mov_b32_e32 v26, s7
	;; [unrolled: 1-line block ×10, first 2 shown]
.LBB238_2:                              ; =>This Inner Loop Header: Depth=1
	global_load_dwordx4 v[28:31], v[2:3], off offset:-8
	v_add_co_u32_e32 v2, vcc, s6, v2
	v_addc_co_u32_e32 v3, vcc, v3, v26, vcc
	s_add_i32 s17, s17, 8
	s_cmp_ge_i32 s17, s11
	s_waitcnt vmcnt(0)
	ds_write_b128 v22, v[28:31]
	global_load_dwordx4 v[28:31], v[4:5], off offset:-8
	v_add_co_u32_e32 v4, vcc, s0, v4
	v_addc_co_u32_e32 v5, vcc, v5, v27, vcc
	s_waitcnt vmcnt(0)
	ds_write_b128 v23, v[28:31]
	s_waitcnt lgkmcnt(0)
	s_barrier
	ds_read_b128 v[28:31], v25
	ds_read_b128 v[32:35], v25 offset:16
	ds_read_b128 v[36:39], v25 offset:32
	;; [unrolled: 1-line block ×3, first 2 shown]
	ds_read_b128 v[44:47], v24
	s_waitcnt lgkmcnt(0)
	v_mul_f64 v[48:49], v[30:31], v[46:47]
	v_mul_f64 v[50:51], v[28:29], v[46:47]
	v_fma_f64 v[48:49], v[28:29], v[44:45], -v[48:49]
	v_fma_f64 v[50:51], v[30:31], v[44:45], v[50:51]
	v_add_f64 v[48:49], v[18:19], v[48:49]
	v_add_f64 v[50:51], v[50:51], v[20:21]
	ds_read_b128 v[18:21], v24 offset:256
	s_waitcnt lgkmcnt(0)
	v_mul_f64 v[52:53], v[30:31], v[20:21]
	v_fma_f64 v[52:53], v[28:29], v[18:19], -v[52:53]
	v_mul_f64 v[28:29], v[28:29], v[20:21]
	v_fma_f64 v[28:29], v[30:31], v[18:19], v[28:29]
	v_add_f64 v[30:31], v[8:9], v[52:53]
	v_add_f64 v[28:29], v[28:29], v[6:7]
	ds_read_b128 v[6:9], v25 offset:2048
	s_waitcnt lgkmcnt(0)
	v_mul_f64 v[52:53], v[8:9], v[46:47]
	v_mul_f64 v[46:47], v[6:7], v[46:47]
	v_fma_f64 v[52:53], v[6:7], v[44:45], -v[52:53]
	v_fma_f64 v[44:45], v[8:9], v[44:45], v[46:47]
	v_add_f64 v[46:47], v[16:17], v[52:53]
	v_add_f64 v[44:45], v[44:45], v[14:15]
	v_mul_f64 v[14:15], v[8:9], v[20:21]
	v_fma_f64 v[14:15], v[6:7], v[18:19], -v[14:15]
	v_mul_f64 v[6:7], v[6:7], v[20:21]
	v_fma_f64 v[6:7], v[8:9], v[18:19], v[6:7]
	v_add_f64 v[18:19], v[12:13], v[14:15]
	v_add_f64 v[20:21], v[6:7], v[10:11]
	ds_read_b128 v[6:9], v24 offset:512
	s_waitcnt lgkmcnt(0)
	v_mul_f64 v[10:11], v[34:35], v[8:9]
	v_mul_f64 v[12:13], v[32:33], v[8:9]
	v_fma_f64 v[10:11], v[32:33], v[6:7], -v[10:11]
	v_fma_f64 v[12:13], v[34:35], v[6:7], v[12:13]
	v_add_f64 v[48:49], v[48:49], v[10:11]
	v_add_f64 v[50:51], v[12:13], v[50:51]
	ds_read_b128 v[10:13], v24 offset:768
	s_waitcnt lgkmcnt(0)
	v_mul_f64 v[14:15], v[34:35], v[12:13]
	v_mul_f64 v[16:17], v[32:33], v[12:13]
	v_fma_f64 v[14:15], v[32:33], v[10:11], -v[14:15]
	;; [unrolled: 8-line block ×3, first 2 shown]
	v_fma_f64 v[6:7], v[16:17], v[6:7], v[8:9]
	v_mul_f64 v[8:9], v[14:15], v[12:13]
	v_add_f64 v[32:33], v[46:47], v[32:33]
	v_add_f64 v[34:35], v[6:7], v[44:45]
	v_mul_f64 v[6:7], v[16:17], v[12:13]
	v_fma_f64 v[8:9], v[16:17], v[10:11], v[8:9]
	v_fma_f64 v[6:7], v[14:15], v[10:11], -v[6:7]
	v_add_f64 v[20:21], v[8:9], v[20:21]
	v_add_f64 v[18:19], v[18:19], v[6:7]
	ds_read_b128 v[6:9], v24 offset:1024
	s_waitcnt lgkmcnt(0)
	v_mul_f64 v[10:11], v[38:39], v[8:9]
	v_mul_f64 v[12:13], v[36:37], v[8:9]
	v_fma_f64 v[10:11], v[36:37], v[6:7], -v[10:11]
	v_fma_f64 v[12:13], v[38:39], v[6:7], v[12:13]
	v_add_f64 v[44:45], v[48:49], v[10:11]
	v_add_f64 v[46:47], v[12:13], v[50:51]
	ds_read_b128 v[10:13], v24 offset:1280
	s_waitcnt lgkmcnt(0)
	v_mul_f64 v[14:15], v[38:39], v[12:13]
	v_mul_f64 v[16:17], v[36:37], v[12:13]
	v_fma_f64 v[14:15], v[36:37], v[10:11], -v[14:15]
	v_fma_f64 v[16:17], v[38:39], v[10:11], v[16:17]
	;; [unrolled: 8-line block ×3, first 2 shown]
	v_mul_f64 v[8:9], v[14:15], v[12:13]
	v_add_f64 v[32:33], v[32:33], v[36:37]
	v_add_f64 v[34:35], v[6:7], v[34:35]
	v_mul_f64 v[6:7], v[16:17], v[12:13]
	v_fma_f64 v[8:9], v[16:17], v[10:11], v[8:9]
	v_fma_f64 v[6:7], v[14:15], v[10:11], -v[6:7]
	v_add_f64 v[20:21], v[8:9], v[20:21]
	v_add_f64 v[18:19], v[18:19], v[6:7]
	ds_read_b128 v[6:9], v24 offset:1536
	s_waitcnt lgkmcnt(0)
	v_mul_f64 v[10:11], v[42:43], v[8:9]
	v_mul_f64 v[12:13], v[40:41], v[8:9]
	v_fma_f64 v[10:11], v[40:41], v[6:7], -v[10:11]
	v_fma_f64 v[12:13], v[42:43], v[6:7], v[12:13]
	v_add_f64 v[36:37], v[44:45], v[10:11]
	v_add_f64 v[38:39], v[12:13], v[46:47]
	ds_read_b128 v[10:13], v24 offset:1792
	s_waitcnt lgkmcnt(0)
	v_mul_f64 v[14:15], v[42:43], v[12:13]
	v_mul_f64 v[16:17], v[40:41], v[12:13]
	v_fma_f64 v[14:15], v[40:41], v[10:11], -v[14:15]
	v_fma_f64 v[16:17], v[42:43], v[10:11], v[16:17]
	;; [unrolled: 8-line block ×3, first 2 shown]
	v_mul_f64 v[8:9], v[14:15], v[12:13]
	v_add_f64 v[32:33], v[32:33], v[40:41]
	v_add_f64 v[34:35], v[6:7], v[34:35]
	v_mul_f64 v[6:7], v[16:17], v[12:13]
	v_fma_f64 v[8:9], v[16:17], v[10:11], v[8:9]
	v_fma_f64 v[6:7], v[14:15], v[10:11], -v[6:7]
	v_add_f64 v[20:21], v[8:9], v[20:21]
	v_add_f64 v[18:19], v[18:19], v[6:7]
	ds_read_b128 v[6:9], v25 offset:64
	ds_read_b128 v[10:13], v24 offset:2048
	s_waitcnt lgkmcnt(0)
	v_mul_f64 v[14:15], v[8:9], v[12:13]
	v_mul_f64 v[16:17], v[6:7], v[12:13]
	v_fma_f64 v[14:15], v[6:7], v[10:11], -v[14:15]
	v_fma_f64 v[16:17], v[8:9], v[10:11], v[16:17]
	v_add_f64 v[36:37], v[36:37], v[14:15]
	v_add_f64 v[38:39], v[16:17], v[38:39]
	ds_read_b128 v[14:17], v24 offset:2304
	s_waitcnt lgkmcnt(0)
	v_mul_f64 v[40:41], v[8:9], v[16:17]
	v_fma_f64 v[40:41], v[6:7], v[14:15], -v[40:41]
	v_mul_f64 v[6:7], v[6:7], v[16:17]
	v_add_f64 v[30:31], v[30:31], v[40:41]
	v_fma_f64 v[6:7], v[8:9], v[14:15], v[6:7]
	v_add_f64 v[28:29], v[6:7], v[28:29]
	ds_read_b128 v[6:9], v25 offset:2112
	s_waitcnt lgkmcnt(0)
	v_mul_f64 v[40:41], v[8:9], v[12:13]
	v_mul_f64 v[12:13], v[6:7], v[12:13]
	v_fma_f64 v[40:41], v[6:7], v[10:11], -v[40:41]
	v_fma_f64 v[10:11], v[8:9], v[10:11], v[12:13]
	v_add_f64 v[32:33], v[32:33], v[40:41]
	v_add_f64 v[34:35], v[10:11], v[34:35]
	v_mul_f64 v[10:11], v[8:9], v[16:17]
	v_fma_f64 v[10:11], v[6:7], v[14:15], -v[10:11]
	v_mul_f64 v[6:7], v[6:7], v[16:17]
	v_add_f64 v[18:19], v[18:19], v[10:11]
	v_fma_f64 v[6:7], v[8:9], v[14:15], v[6:7]
	v_add_f64 v[20:21], v[6:7], v[20:21]
	ds_read_b128 v[6:9], v25 offset:80
	ds_read_b128 v[10:13], v24 offset:2560
	s_waitcnt lgkmcnt(0)
	v_mul_f64 v[14:15], v[8:9], v[12:13]
	v_mul_f64 v[16:17], v[6:7], v[12:13]
	v_fma_f64 v[14:15], v[6:7], v[10:11], -v[14:15]
	v_fma_f64 v[16:17], v[8:9], v[10:11], v[16:17]
	v_add_f64 v[36:37], v[36:37], v[14:15]
	v_add_f64 v[38:39], v[16:17], v[38:39]
	ds_read_b128 v[14:17], v24 offset:2816
	s_waitcnt lgkmcnt(0)
	v_mul_f64 v[40:41], v[8:9], v[16:17]
	v_fma_f64 v[40:41], v[6:7], v[14:15], -v[40:41]
	v_mul_f64 v[6:7], v[6:7], v[16:17]
	v_add_f64 v[30:31], v[30:31], v[40:41]
	v_fma_f64 v[6:7], v[8:9], v[14:15], v[6:7]
	v_add_f64 v[28:29], v[6:7], v[28:29]
	ds_read_b128 v[6:9], v25 offset:2128
	s_waitcnt lgkmcnt(0)
	v_mul_f64 v[40:41], v[8:9], v[12:13]
	v_mul_f64 v[12:13], v[6:7], v[12:13]
	v_fma_f64 v[40:41], v[6:7], v[10:11], -v[40:41]
	v_fma_f64 v[10:11], v[8:9], v[10:11], v[12:13]
	v_add_f64 v[32:33], v[32:33], v[40:41]
	v_add_f64 v[34:35], v[10:11], v[34:35]
	v_mul_f64 v[10:11], v[8:9], v[16:17]
	v_fma_f64 v[10:11], v[6:7], v[14:15], -v[10:11]
	v_mul_f64 v[6:7], v[6:7], v[16:17]
	v_add_f64 v[18:19], v[18:19], v[10:11]
	v_fma_f64 v[6:7], v[8:9], v[14:15], v[6:7]
	;; [unrolled: 31-line block ×3, first 2 shown]
	v_add_f64 v[50:51], v[6:7], v[20:21]
	ds_read_b128 v[6:9], v25 offset:112
	ds_read_b128 v[10:13], v24 offset:3584
	;; [unrolled: 1-line block ×4, first 2 shown]
	s_waitcnt lgkmcnt(0)
	s_barrier
	v_mul_f64 v[14:15], v[8:9], v[12:13]
	v_mul_f64 v[16:17], v[6:7], v[12:13]
	v_fma_f64 v[14:15], v[6:7], v[10:11], -v[14:15]
	v_fma_f64 v[16:17], v[8:9], v[10:11], v[16:17]
	v_add_f64 v[18:19], v[36:37], v[14:15]
	v_mul_f64 v[14:15], v[8:9], v[30:31]
	v_add_f64 v[20:21], v[16:17], v[38:39]
	v_fma_f64 v[14:15], v[6:7], v[28:29], -v[14:15]
	v_mul_f64 v[6:7], v[6:7], v[30:31]
	v_fma_f64 v[6:7], v[8:9], v[28:29], v[6:7]
	v_add_f64 v[8:9], v[40:41], v[14:15]
	v_mul_f64 v[14:15], v[34:35], v[12:13]
	v_mul_f64 v[12:13], v[32:33], v[12:13]
	v_add_f64 v[6:7], v[6:7], v[42:43]
	v_fma_f64 v[14:15], v[32:33], v[10:11], -v[14:15]
	v_fma_f64 v[10:11], v[34:35], v[10:11], v[12:13]
	v_mul_f64 v[12:13], v[32:33], v[30:31]
	v_add_f64 v[16:17], v[44:45], v[14:15]
	v_add_f64 v[14:15], v[10:11], v[46:47]
	v_mul_f64 v[10:11], v[34:35], v[30:31]
	v_fma_f64 v[10:11], v[32:33], v[28:29], -v[10:11]
	v_fma_f64 v[28:29], v[34:35], v[28:29], v[12:13]
	v_add_f64 v[12:13], v[48:49], v[10:11]
	v_add_f64 v[10:11], v[28:29], v[50:51]
	s_cbranch_scc0 .LBB238_2
	s_branch .LBB238_4
.LBB238_3:
	v_mov_b32_e32 v18, 0
	v_mov_b32_e32 v20, 0
	;; [unrolled: 1-line block ×16, first 2 shown]
.LBB238_4:
	s_load_dwordx2 s[0:1], s[4:5], 0x48
	s_load_dword s6, s[4:5], 0x40
	v_add_u32_e32 v4, s16, v1
	v_add_u32_e32 v0, s9, v0
	v_cmp_gt_i32_e32 vcc, s10, v4
	s_waitcnt lgkmcnt(0)
	s_mul_i32 s1, s1, s8
	v_mad_i64_i32 v[1:2], s[12:13], v4, s6, 0
	s_mul_hi_u32 s4, s0, s8
	s_mul_i32 s0, s0, s8
	s_add_i32 s1, s4, s1
	s_lshl_b64 s[0:1], s[0:1], 4
	s_add_u32 s4, s2, s0
	v_lshlrev_b64 v[1:2], 4, v[1:2]
	s_addc_u32 s5, s3, s1
	v_mov_b32_e32 v3, s5
	v_add_co_u32_e64 v5, s[0:1], s4, v1
	v_addc_co_u32_e64 v22, s[0:1], v3, v2, s[0:1]
	v_cmp_le_i32_e64 s[0:1], v0, v4
	s_and_b64 s[0:1], vcc, s[0:1]
	s_and_saveexec_b64 s[2:3], s[0:1]
	s_cbranch_execz .LBB238_6
; %bb.5:
	v_ashrrev_i32_e32 v1, 31, v0
	v_lshlrev_b64 v[1:2], 4, v[0:1]
	v_add_co_u32_e64 v1, s[0:1], v5, v1
	v_addc_co_u32_e64 v2, s[0:1], v22, v2, s[0:1]
	global_load_dwordx4 v[23:26], v[1:2], off
	s_waitcnt vmcnt(0)
	v_add_f64 v[18:19], v[18:19], v[23:24]
	v_add_f64 v[20:21], v[20:21], v[25:26]
	global_store_dwordx4 v[1:2], v[18:21], off
.LBB238_6:
	s_or_b64 exec, exec, s[2:3]
	v_add_u32_e32 v2, 16, v0
	v_cmp_le_i32_e64 s[0:1], v2, v4
	s_and_b64 s[2:3], vcc, s[0:1]
	s_and_saveexec_b64 s[0:1], s[2:3]
	s_cbranch_execz .LBB238_8
; %bb.7:
	v_ashrrev_i32_e32 v3, 31, v2
	v_lshlrev_b64 v[18:19], 4, v[2:3]
	v_add_co_u32_e32 v23, vcc, v5, v18
	v_addc_co_u32_e32 v24, vcc, v22, v19, vcc
	global_load_dwordx4 v[18:21], v[23:24], off
	s_waitcnt vmcnt(0)
	v_add_f64 v[18:19], v[8:9], v[18:19]
	v_add_f64 v[20:21], v[6:7], v[20:21]
	global_store_dwordx4 v[23:24], v[18:21], off
.LBB238_8:
	s_or_b64 exec, exec, s[0:1]
	v_add_u32_e32 v3, 16, v4
	v_mad_i64_i32 v[4:5], s[0:1], v3, s6, 0
	v_mov_b32_e32 v1, s5
	v_cmp_gt_i32_e32 vcc, s10, v3
	v_lshlrev_b64 v[4:5], 4, v[4:5]
	v_add_co_u32_e64 v4, s[0:1], s4, v4
	v_addc_co_u32_e64 v5, s[0:1], v1, v5, s[0:1]
	v_cmp_le_i32_e64 s[0:1], v0, v3
	s_and_b64 s[0:1], vcc, s[0:1]
	s_and_saveexec_b64 s[2:3], s[0:1]
	s_cbranch_execz .LBB238_10
; %bb.9:
	v_ashrrev_i32_e32 v1, 31, v0
	v_lshlrev_b64 v[0:1], 4, v[0:1]
	v_add_co_u32_e64 v0, s[0:1], v4, v0
	v_addc_co_u32_e64 v1, s[0:1], v5, v1, s[0:1]
	global_load_dwordx4 v[6:9], v[0:1], off
	s_waitcnt vmcnt(0)
	v_add_f64 v[6:7], v[16:17], v[6:7]
	v_add_f64 v[8:9], v[14:15], v[8:9]
	global_store_dwordx4 v[0:1], v[6:9], off
.LBB238_10:
	s_or_b64 exec, exec, s[2:3]
	v_cmp_le_i32_e64 s[0:1], v2, v3
	s_and_b64 s[0:1], vcc, s[0:1]
	s_and_saveexec_b64 s[2:3], s[0:1]
	s_cbranch_execz .LBB238_12
; %bb.11:
	v_ashrrev_i32_e32 v3, 31, v2
	v_lshlrev_b64 v[0:1], 4, v[2:3]
	v_add_co_u32_e32 v4, vcc, v4, v0
	v_addc_co_u32_e32 v5, vcc, v5, v1, vcc
	global_load_dwordx4 v[0:3], v[4:5], off
	s_waitcnt vmcnt(0)
	v_add_f64 v[0:1], v[12:13], v[0:1]
	v_add_f64 v[2:3], v[10:11], v[2:3]
	global_store_dwordx4 v[4:5], v[0:3], off
.LBB238_12:
	s_endpgm
	.section	.rodata,"a",@progbits
	.p2align	6, 0x0
	.amdhsa_kernel _ZL37rocblas_syrkx_herkx_restricted_kernelIi19rocblas_complex_numIdELi16ELi32ELi8ELi1ELi1ELb0ELc78ELc85EKS1_S1_EviT_PT9_S3_lS5_S3_lPT10_S3_li
		.amdhsa_group_segment_fixed_size 8192
		.amdhsa_private_segment_fixed_size 0
		.amdhsa_kernarg_size 84
		.amdhsa_user_sgpr_count 6
		.amdhsa_user_sgpr_private_segment_buffer 1
		.amdhsa_user_sgpr_dispatch_ptr 0
		.amdhsa_user_sgpr_queue_ptr 0
		.amdhsa_user_sgpr_kernarg_segment_ptr 1
		.amdhsa_user_sgpr_dispatch_id 0
		.amdhsa_user_sgpr_flat_scratch_init 0
		.amdhsa_user_sgpr_private_segment_size 0
		.amdhsa_uses_dynamic_stack 0
		.amdhsa_system_sgpr_private_segment_wavefront_offset 0
		.amdhsa_system_sgpr_workgroup_id_x 1
		.amdhsa_system_sgpr_workgroup_id_y 1
		.amdhsa_system_sgpr_workgroup_id_z 1
		.amdhsa_system_sgpr_workgroup_info 0
		.amdhsa_system_vgpr_workitem_id 1
		.amdhsa_next_free_vgpr 54
		.amdhsa_next_free_sgpr 61
		.amdhsa_reserve_vcc 1
		.amdhsa_reserve_flat_scratch 0
		.amdhsa_float_round_mode_32 0
		.amdhsa_float_round_mode_16_64 0
		.amdhsa_float_denorm_mode_32 3
		.amdhsa_float_denorm_mode_16_64 3
		.amdhsa_dx10_clamp 1
		.amdhsa_ieee_mode 1
		.amdhsa_fp16_overflow 0
		.amdhsa_exception_fp_ieee_invalid_op 0
		.amdhsa_exception_fp_denorm_src 0
		.amdhsa_exception_fp_ieee_div_zero 0
		.amdhsa_exception_fp_ieee_overflow 0
		.amdhsa_exception_fp_ieee_underflow 0
		.amdhsa_exception_fp_ieee_inexact 0
		.amdhsa_exception_int_div_zero 0
	.end_amdhsa_kernel
	.section	.text._ZL37rocblas_syrkx_herkx_restricted_kernelIi19rocblas_complex_numIdELi16ELi32ELi8ELi1ELi1ELb0ELc78ELc85EKS1_S1_EviT_PT9_S3_lS5_S3_lPT10_S3_li,"axG",@progbits,_ZL37rocblas_syrkx_herkx_restricted_kernelIi19rocblas_complex_numIdELi16ELi32ELi8ELi1ELi1ELb0ELc78ELc85EKS1_S1_EviT_PT9_S3_lS5_S3_lPT10_S3_li,comdat
.Lfunc_end238:
	.size	_ZL37rocblas_syrkx_herkx_restricted_kernelIi19rocblas_complex_numIdELi16ELi32ELi8ELi1ELi1ELb0ELc78ELc85EKS1_S1_EviT_PT9_S3_lS5_S3_lPT10_S3_li, .Lfunc_end238-_ZL37rocblas_syrkx_herkx_restricted_kernelIi19rocblas_complex_numIdELi16ELi32ELi8ELi1ELi1ELb0ELc78ELc85EKS1_S1_EviT_PT9_S3_lS5_S3_lPT10_S3_li
                                        ; -- End function
	.set _ZL37rocblas_syrkx_herkx_restricted_kernelIi19rocblas_complex_numIdELi16ELi32ELi8ELi1ELi1ELb0ELc78ELc85EKS1_S1_EviT_PT9_S3_lS5_S3_lPT10_S3_li.num_vgpr, 54
	.set _ZL37rocblas_syrkx_herkx_restricted_kernelIi19rocblas_complex_numIdELi16ELi32ELi8ELi1ELi1ELb0ELc78ELc85EKS1_S1_EviT_PT9_S3_lS5_S3_lPT10_S3_li.num_agpr, 0
	.set _ZL37rocblas_syrkx_herkx_restricted_kernelIi19rocblas_complex_numIdELi16ELi32ELi8ELi1ELi1ELb0ELc78ELc85EKS1_S1_EviT_PT9_S3_lS5_S3_lPT10_S3_li.numbered_sgpr, 25
	.set _ZL37rocblas_syrkx_herkx_restricted_kernelIi19rocblas_complex_numIdELi16ELi32ELi8ELi1ELi1ELb0ELc78ELc85EKS1_S1_EviT_PT9_S3_lS5_S3_lPT10_S3_li.num_named_barrier, 0
	.set _ZL37rocblas_syrkx_herkx_restricted_kernelIi19rocblas_complex_numIdELi16ELi32ELi8ELi1ELi1ELb0ELc78ELc85EKS1_S1_EviT_PT9_S3_lS5_S3_lPT10_S3_li.private_seg_size, 0
	.set _ZL37rocblas_syrkx_herkx_restricted_kernelIi19rocblas_complex_numIdELi16ELi32ELi8ELi1ELi1ELb0ELc78ELc85EKS1_S1_EviT_PT9_S3_lS5_S3_lPT10_S3_li.uses_vcc, 1
	.set _ZL37rocblas_syrkx_herkx_restricted_kernelIi19rocblas_complex_numIdELi16ELi32ELi8ELi1ELi1ELb0ELc78ELc85EKS1_S1_EviT_PT9_S3_lS5_S3_lPT10_S3_li.uses_flat_scratch, 0
	.set _ZL37rocblas_syrkx_herkx_restricted_kernelIi19rocblas_complex_numIdELi16ELi32ELi8ELi1ELi1ELb0ELc78ELc85EKS1_S1_EviT_PT9_S3_lS5_S3_lPT10_S3_li.has_dyn_sized_stack, 0
	.set _ZL37rocblas_syrkx_herkx_restricted_kernelIi19rocblas_complex_numIdELi16ELi32ELi8ELi1ELi1ELb0ELc78ELc85EKS1_S1_EviT_PT9_S3_lS5_S3_lPT10_S3_li.has_recursion, 0
	.set _ZL37rocblas_syrkx_herkx_restricted_kernelIi19rocblas_complex_numIdELi16ELi32ELi8ELi1ELi1ELb0ELc78ELc85EKS1_S1_EviT_PT9_S3_lS5_S3_lPT10_S3_li.has_indirect_call, 0
	.section	.AMDGPU.csdata,"",@progbits
; Kernel info:
; codeLenInByte = 2892
; TotalNumSgprs: 29
; NumVgprs: 54
; ScratchSize: 0
; MemoryBound: 0
; FloatMode: 240
; IeeeMode: 1
; LDSByteSize: 8192 bytes/workgroup (compile time only)
; SGPRBlocks: 8
; VGPRBlocks: 13
; NumSGPRsForWavesPerEU: 65
; NumVGPRsForWavesPerEU: 54
; Occupancy: 4
; WaveLimiterHint : 0
; COMPUTE_PGM_RSRC2:SCRATCH_EN: 0
; COMPUTE_PGM_RSRC2:USER_SGPR: 6
; COMPUTE_PGM_RSRC2:TRAP_HANDLER: 0
; COMPUTE_PGM_RSRC2:TGID_X_EN: 1
; COMPUTE_PGM_RSRC2:TGID_Y_EN: 1
; COMPUTE_PGM_RSRC2:TGID_Z_EN: 1
; COMPUTE_PGM_RSRC2:TIDIG_COMP_CNT: 1
	.section	.text._ZL37rocblas_syrkx_herkx_restricted_kernelIi19rocblas_complex_numIdELi16ELi32ELi8ELi1ELin1ELb0ELc84ELc76EKS1_S1_EviT_PT9_S3_lS5_S3_lPT10_S3_li,"axG",@progbits,_ZL37rocblas_syrkx_herkx_restricted_kernelIi19rocblas_complex_numIdELi16ELi32ELi8ELi1ELin1ELb0ELc84ELc76EKS1_S1_EviT_PT9_S3_lS5_S3_lPT10_S3_li,comdat
	.globl	_ZL37rocblas_syrkx_herkx_restricted_kernelIi19rocblas_complex_numIdELi16ELi32ELi8ELi1ELin1ELb0ELc84ELc76EKS1_S1_EviT_PT9_S3_lS5_S3_lPT10_S3_li ; -- Begin function _ZL37rocblas_syrkx_herkx_restricted_kernelIi19rocblas_complex_numIdELi16ELi32ELi8ELi1ELin1ELb0ELc84ELc76EKS1_S1_EviT_PT9_S3_lS5_S3_lPT10_S3_li
	.p2align	8
	.type	_ZL37rocblas_syrkx_herkx_restricted_kernelIi19rocblas_complex_numIdELi16ELi32ELi8ELi1ELin1ELb0ELc84ELc76EKS1_S1_EviT_PT9_S3_lS5_S3_lPT10_S3_li,@function
_ZL37rocblas_syrkx_herkx_restricted_kernelIi19rocblas_complex_numIdELi16ELi32ELi8ELi1ELin1ELb0ELc84ELc76EKS1_S1_EviT_PT9_S3_lS5_S3_lPT10_S3_li: ; @_ZL37rocblas_syrkx_herkx_restricted_kernelIi19rocblas_complex_numIdELi16ELi32ELi8ELi1ELin1ELb0ELc84ELc76EKS1_S1_EviT_PT9_S3_lS5_S3_lPT10_S3_li
; %bb.0:
	s_load_dwordx2 s[10:11], s[4:5], 0x0
	s_load_dwordx4 s[0:3], s[4:5], 0x30
	s_lshl_b32 s6, s6, 5
	s_lshl_b32 s7, s7, 5
	s_mov_b32 s9, 0
	s_waitcnt lgkmcnt(0)
	s_cmp_lt_i32 s11, 1
	s_cbranch_scc1 .LBB239_3
; %bb.1:
	s_load_dwordx2 s[16:17], s[4:5], 0x8
	s_load_dword s20, s[4:5], 0x10
	s_load_dwordx4 s[12:15], s[4:5], 0x18
	s_load_dword s18, s[4:5], 0x28
	v_lshl_add_u32 v6, v1, 4, v0
	v_lshrrev_b32_e32 v8, 3, v6
	v_add_u32_e32 v4, s7, v8
	v_and_b32_e32 v2, 7, v0
	v_mov_b32_e32 v3, 0
	s_waitcnt lgkmcnt(0)
	v_mad_i64_i32 v[4:5], s[18:19], s18, v4, v[2:3]
	v_lshlrev_b32_e32 v2, 4, v2
	v_lshl_or_b32 v2, v8, 7, v2
	v_and_b32_e32 v9, 31, v6
	v_add_u32_e32 v23, 0x1000, v2
	v_mov_b32_e32 v2, 0x1000
	v_lshrrev_b32_e32 v6, 5, v6
	v_mov_b32_e32 v7, v3
	v_lshlrev_b32_e32 v3, 4, v9
	v_lshl_add_u32 v25, v1, 7, v2
	v_add_u32_e32 v2, s6, v9
	v_lshl_or_b32 v22, v6, 9, v3
	v_mad_i64_i32 v[2:3], s[18:19], s20, v2, v[6:7]
	s_mul_i32 s13, s13, s8
	s_mul_hi_u32 s21, s12, s8
	s_add_i32 s13, s21, s13
	s_mul_i32 s12, s12, s8
	s_lshl_b64 s[12:13], s[12:13], 4
	v_lshlrev_b64 v[2:3], 4, v[2:3]
	s_add_u32 s12, s16, s12
	s_addc_u32 s13, s17, s13
	v_add_co_u32_e32 v2, vcc, s12, v2
	s_mul_i32 s1, s1, s8
	s_mul_hi_u32 s12, s0, s8
	v_mov_b32_e32 v6, s13
	s_add_i32 s1, s12, s1
	s_mul_i32 s0, s0, s8
	v_addc_co_u32_e32 v3, vcc, v6, v3, vcc
	s_lshl_b64 s[0:1], s[0:1], 4
	v_add_co_u32_e32 v2, vcc, 8, v2
	v_lshlrev_b64 v[4:5], 4, v[4:5]
	s_add_u32 s0, s14, s0
	v_addc_co_u32_e32 v3, vcc, 0, v3, vcc
	s_addc_u32 s1, s15, s1
	v_mov_b32_e32 v6, s1
	v_add_co_u32_e32 v4, vcc, s0, v4
	v_addc_co_u32_e32 v5, vcc, v6, v5, vcc
	v_mov_b32_e32 v10, 0
	v_mov_b32_e32 v12, 0
	;; [unrolled: 1-line block ×8, first 2 shown]
	v_add_co_u32_e32 v4, vcc, 8, v4
	v_lshlrev_b32_e32 v24, 4, v0
	v_mov_b32_e32 v11, 0
	v_mov_b32_e32 v13, 0
	;; [unrolled: 1-line block ×8, first 2 shown]
	v_addc_co_u32_e32 v5, vcc, 0, v5, vcc
.LBB239_2:                              ; =>This Inner Loop Header: Depth=1
	global_load_dwordx4 v[26:29], v[2:3], off offset:-8
	v_add_co_u32_e32 v2, vcc, 0x80, v2
	v_addc_co_u32_e32 v3, vcc, 0, v3, vcc
	s_add_i32 s9, s9, 8
	s_cmp_ge_i32 s9, s11
	s_waitcnt vmcnt(0)
	ds_write_b128 v22, v[26:29]
	global_load_dwordx4 v[26:29], v[4:5], off offset:-8
	v_add_co_u32_e32 v4, vcc, 0x80, v4
	v_addc_co_u32_e32 v5, vcc, 0, v5, vcc
	s_waitcnt vmcnt(0)
	ds_write_b128 v23, v[26:29]
	s_waitcnt lgkmcnt(0)
	s_barrier
	ds_read_b128 v[26:29], v25
	ds_read_b128 v[30:33], v25 offset:16
	ds_read_b128 v[34:37], v25 offset:32
	;; [unrolled: 1-line block ×3, first 2 shown]
	ds_read_b128 v[42:45], v24
	s_waitcnt lgkmcnt(0)
	v_mul_f64 v[46:47], v[28:29], v[44:45]
	v_mul_f64 v[48:49], v[26:27], v[44:45]
	v_fma_f64 v[46:47], v[26:27], v[42:43], -v[46:47]
	v_fma_f64 v[48:49], v[28:29], v[42:43], v[48:49]
	v_add_f64 v[46:47], v[14:15], v[46:47]
	v_add_f64 v[48:49], v[48:49], v[16:17]
	ds_read_b128 v[14:17], v24 offset:256
	s_waitcnt lgkmcnt(0)
	v_mul_f64 v[50:51], v[28:29], v[16:17]
	v_fma_f64 v[50:51], v[26:27], v[14:15], -v[50:51]
	v_mul_f64 v[26:27], v[26:27], v[16:17]
	v_fma_f64 v[26:27], v[28:29], v[14:15], v[26:27]
	v_add_f64 v[28:29], v[8:9], v[50:51]
	v_add_f64 v[26:27], v[26:27], v[6:7]
	ds_read_b128 v[6:9], v25 offset:2048
	s_waitcnt lgkmcnt(0)
	v_mul_f64 v[50:51], v[8:9], v[44:45]
	v_mul_f64 v[44:45], v[6:7], v[44:45]
	v_fma_f64 v[50:51], v[6:7], v[42:43], -v[50:51]
	v_fma_f64 v[42:43], v[8:9], v[42:43], v[44:45]
	v_add_f64 v[20:21], v[20:21], v[50:51]
	v_add_f64 v[18:19], v[42:43], v[18:19]
	v_mul_f64 v[42:43], v[8:9], v[16:17]
	v_fma_f64 v[42:43], v[6:7], v[14:15], -v[42:43]
	v_mul_f64 v[6:7], v[6:7], v[16:17]
	v_add_f64 v[42:43], v[12:13], v[42:43]
	v_fma_f64 v[6:7], v[8:9], v[14:15], v[6:7]
	v_add_f64 v[44:45], v[6:7], v[10:11]
	ds_read_b128 v[6:9], v24 offset:512
	s_waitcnt lgkmcnt(0)
	v_mul_f64 v[10:11], v[32:33], v[8:9]
	v_mul_f64 v[12:13], v[30:31], v[8:9]
	v_fma_f64 v[10:11], v[30:31], v[6:7], -v[10:11]
	v_fma_f64 v[12:13], v[32:33], v[6:7], v[12:13]
	v_add_f64 v[46:47], v[46:47], v[10:11]
	v_add_f64 v[48:49], v[12:13], v[48:49]
	ds_read_b128 v[10:13], v24 offset:768
	s_waitcnt lgkmcnt(0)
	v_mul_f64 v[14:15], v[32:33], v[12:13]
	v_mul_f64 v[16:17], v[30:31], v[12:13]
	v_fma_f64 v[14:15], v[30:31], v[10:11], -v[14:15]
	v_fma_f64 v[16:17], v[32:33], v[10:11], v[16:17]
	v_add_f64 v[28:29], v[28:29], v[14:15]
	v_add_f64 v[26:27], v[16:17], v[26:27]
	ds_read_b128 v[14:17], v25 offset:2064
	s_waitcnt lgkmcnt(0)
	v_mul_f64 v[30:31], v[16:17], v[8:9]
	v_mul_f64 v[8:9], v[14:15], v[8:9]
	v_fma_f64 v[30:31], v[14:15], v[6:7], -v[30:31]
	v_fma_f64 v[6:7], v[16:17], v[6:7], v[8:9]
	v_mul_f64 v[8:9], v[14:15], v[12:13]
	v_add_f64 v[20:21], v[20:21], v[30:31]
	v_add_f64 v[18:19], v[6:7], v[18:19]
	v_mul_f64 v[6:7], v[16:17], v[12:13]
	v_fma_f64 v[8:9], v[16:17], v[10:11], v[8:9]
	v_fma_f64 v[6:7], v[14:15], v[10:11], -v[6:7]
	v_add_f64 v[32:33], v[8:9], v[44:45]
	v_add_f64 v[30:31], v[42:43], v[6:7]
	ds_read_b128 v[6:9], v24 offset:1024
	s_waitcnt lgkmcnt(0)
	v_mul_f64 v[10:11], v[36:37], v[8:9]
	v_mul_f64 v[12:13], v[34:35], v[8:9]
	v_fma_f64 v[10:11], v[34:35], v[6:7], -v[10:11]
	v_fma_f64 v[12:13], v[36:37], v[6:7], v[12:13]
	v_add_f64 v[42:43], v[46:47], v[10:11]
	v_add_f64 v[44:45], v[12:13], v[48:49]
	ds_read_b128 v[10:13], v24 offset:1280
	s_waitcnt lgkmcnt(0)
	v_mul_f64 v[14:15], v[36:37], v[12:13]
	v_mul_f64 v[16:17], v[34:35], v[12:13]
	v_fma_f64 v[14:15], v[34:35], v[10:11], -v[14:15]
	v_fma_f64 v[16:17], v[36:37], v[10:11], v[16:17]
	v_add_f64 v[28:29], v[28:29], v[14:15]
	v_add_f64 v[26:27], v[16:17], v[26:27]
	ds_read_b128 v[14:17], v25 offset:2080
	s_waitcnt lgkmcnt(0)
	v_mul_f64 v[34:35], v[16:17], v[8:9]
	v_mul_f64 v[8:9], v[14:15], v[8:9]
	v_fma_f64 v[34:35], v[14:15], v[6:7], -v[34:35]
	v_fma_f64 v[6:7], v[16:17], v[6:7], v[8:9]
	v_mul_f64 v[8:9], v[14:15], v[12:13]
	v_add_f64 v[20:21], v[20:21], v[34:35]
	v_add_f64 v[18:19], v[6:7], v[18:19]
	v_mul_f64 v[6:7], v[16:17], v[12:13]
	v_fma_f64 v[8:9], v[16:17], v[10:11], v[8:9]
	v_fma_f64 v[6:7], v[14:15], v[10:11], -v[6:7]
	v_add_f64 v[32:33], v[8:9], v[32:33]
	v_add_f64 v[30:31], v[30:31], v[6:7]
	ds_read_b128 v[6:9], v24 offset:1536
	s_waitcnt lgkmcnt(0)
	v_mul_f64 v[10:11], v[40:41], v[8:9]
	v_mul_f64 v[12:13], v[38:39], v[8:9]
	v_fma_f64 v[10:11], v[38:39], v[6:7], -v[10:11]
	v_fma_f64 v[12:13], v[40:41], v[6:7], v[12:13]
	v_add_f64 v[34:35], v[42:43], v[10:11]
	v_add_f64 v[36:37], v[12:13], v[44:45]
	ds_read_b128 v[10:13], v24 offset:1792
	s_waitcnt lgkmcnt(0)
	v_mul_f64 v[14:15], v[40:41], v[12:13]
	v_mul_f64 v[16:17], v[38:39], v[12:13]
	v_fma_f64 v[14:15], v[38:39], v[10:11], -v[14:15]
	v_fma_f64 v[16:17], v[40:41], v[10:11], v[16:17]
	v_add_f64 v[28:29], v[28:29], v[14:15]
	v_add_f64 v[26:27], v[16:17], v[26:27]
	ds_read_b128 v[14:17], v25 offset:2096
	s_waitcnt lgkmcnt(0)
	v_mul_f64 v[38:39], v[16:17], v[8:9]
	v_mul_f64 v[8:9], v[14:15], v[8:9]
	v_fma_f64 v[38:39], v[14:15], v[6:7], -v[38:39]
	v_fma_f64 v[6:7], v[16:17], v[6:7], v[8:9]
	v_mul_f64 v[8:9], v[14:15], v[12:13]
	v_add_f64 v[20:21], v[20:21], v[38:39]
	v_add_f64 v[18:19], v[6:7], v[18:19]
	v_mul_f64 v[6:7], v[16:17], v[12:13]
	v_fma_f64 v[8:9], v[16:17], v[10:11], v[8:9]
	v_fma_f64 v[6:7], v[14:15], v[10:11], -v[6:7]
	v_add_f64 v[32:33], v[8:9], v[32:33]
	v_add_f64 v[30:31], v[30:31], v[6:7]
	ds_read_b128 v[6:9], v25 offset:64
	ds_read_b128 v[10:13], v24 offset:2048
	s_waitcnt lgkmcnt(0)
	v_mul_f64 v[14:15], v[8:9], v[12:13]
	v_mul_f64 v[16:17], v[6:7], v[12:13]
	v_fma_f64 v[14:15], v[6:7], v[10:11], -v[14:15]
	v_fma_f64 v[16:17], v[8:9], v[10:11], v[16:17]
	v_add_f64 v[34:35], v[34:35], v[14:15]
	v_add_f64 v[36:37], v[16:17], v[36:37]
	ds_read_b128 v[14:17], v24 offset:2304
	s_waitcnt lgkmcnt(0)
	v_mul_f64 v[38:39], v[8:9], v[16:17]
	v_fma_f64 v[38:39], v[6:7], v[14:15], -v[38:39]
	v_mul_f64 v[6:7], v[6:7], v[16:17]
	v_add_f64 v[28:29], v[28:29], v[38:39]
	v_fma_f64 v[6:7], v[8:9], v[14:15], v[6:7]
	v_add_f64 v[26:27], v[6:7], v[26:27]
	ds_read_b128 v[6:9], v25 offset:2112
	s_waitcnt lgkmcnt(0)
	v_mul_f64 v[38:39], v[8:9], v[12:13]
	v_mul_f64 v[12:13], v[6:7], v[12:13]
	v_fma_f64 v[38:39], v[6:7], v[10:11], -v[38:39]
	v_fma_f64 v[10:11], v[8:9], v[10:11], v[12:13]
	v_add_f64 v[20:21], v[20:21], v[38:39]
	v_add_f64 v[18:19], v[10:11], v[18:19]
	v_mul_f64 v[10:11], v[8:9], v[16:17]
	v_fma_f64 v[10:11], v[6:7], v[14:15], -v[10:11]
	v_mul_f64 v[6:7], v[6:7], v[16:17]
	v_add_f64 v[30:31], v[30:31], v[10:11]
	v_fma_f64 v[6:7], v[8:9], v[14:15], v[6:7]
	v_add_f64 v[32:33], v[6:7], v[32:33]
	ds_read_b128 v[6:9], v25 offset:80
	ds_read_b128 v[10:13], v24 offset:2560
	s_waitcnt lgkmcnt(0)
	v_mul_f64 v[14:15], v[8:9], v[12:13]
	v_mul_f64 v[16:17], v[6:7], v[12:13]
	v_fma_f64 v[14:15], v[6:7], v[10:11], -v[14:15]
	v_fma_f64 v[16:17], v[8:9], v[10:11], v[16:17]
	v_add_f64 v[34:35], v[34:35], v[14:15]
	v_add_f64 v[36:37], v[16:17], v[36:37]
	ds_read_b128 v[14:17], v24 offset:2816
	s_waitcnt lgkmcnt(0)
	v_mul_f64 v[38:39], v[8:9], v[16:17]
	v_fma_f64 v[38:39], v[6:7], v[14:15], -v[38:39]
	v_mul_f64 v[6:7], v[6:7], v[16:17]
	v_add_f64 v[28:29], v[28:29], v[38:39]
	v_fma_f64 v[6:7], v[8:9], v[14:15], v[6:7]
	v_add_f64 v[26:27], v[6:7], v[26:27]
	ds_read_b128 v[6:9], v25 offset:2128
	s_waitcnt lgkmcnt(0)
	v_mul_f64 v[38:39], v[8:9], v[12:13]
	v_mul_f64 v[12:13], v[6:7], v[12:13]
	v_fma_f64 v[38:39], v[6:7], v[10:11], -v[38:39]
	v_fma_f64 v[10:11], v[8:9], v[10:11], v[12:13]
	v_add_f64 v[20:21], v[20:21], v[38:39]
	v_add_f64 v[18:19], v[10:11], v[18:19]
	v_mul_f64 v[10:11], v[8:9], v[16:17]
	v_fma_f64 v[10:11], v[6:7], v[14:15], -v[10:11]
	v_mul_f64 v[6:7], v[6:7], v[16:17]
	v_add_f64 v[30:31], v[30:31], v[10:11]
	v_fma_f64 v[6:7], v[8:9], v[14:15], v[6:7]
	;; [unrolled: 31-line block ×3, first 2 shown]
	v_add_f64 v[44:45], v[6:7], v[32:33]
	ds_read_b128 v[6:9], v25 offset:112
	ds_read_b128 v[10:13], v24 offset:3584
	;; [unrolled: 1-line block ×3, first 2 shown]
	s_waitcnt lgkmcnt(1)
	v_mul_f64 v[14:15], v[8:9], v[12:13]
	s_waitcnt lgkmcnt(0)
	v_mul_f64 v[30:31], v[8:9], v[28:29]
	v_mul_f64 v[16:17], v[6:7], v[12:13]
	v_fma_f64 v[14:15], v[6:7], v[10:11], -v[14:15]
	v_fma_f64 v[30:31], v[6:7], v[26:27], -v[30:31]
	v_mul_f64 v[6:7], v[6:7], v[28:29]
	v_fma_f64 v[16:17], v[8:9], v[10:11], v[16:17]
	v_add_f64 v[14:15], v[34:35], v[14:15]
	v_fma_f64 v[6:7], v[8:9], v[26:27], v[6:7]
	v_add_f64 v[8:9], v[38:39], v[30:31]
	ds_read_b128 v[30:33], v25 offset:2160
	v_add_f64 v[16:17], v[16:17], v[36:37]
	s_waitcnt lgkmcnt(0)
	s_barrier
	v_mul_f64 v[34:35], v[32:33], v[12:13]
	v_mul_f64 v[12:13], v[30:31], v[12:13]
	v_add_f64 v[6:7], v[6:7], v[40:41]
	v_fma_f64 v[34:35], v[30:31], v[10:11], -v[34:35]
	v_fma_f64 v[10:11], v[32:33], v[10:11], v[12:13]
	v_mul_f64 v[12:13], v[30:31], v[28:29]
	v_add_f64 v[20:21], v[20:21], v[34:35]
	v_add_f64 v[18:19], v[10:11], v[18:19]
	v_mul_f64 v[10:11], v[32:33], v[28:29]
	v_fma_f64 v[10:11], v[30:31], v[26:27], -v[10:11]
	v_fma_f64 v[26:27], v[32:33], v[26:27], v[12:13]
	v_add_f64 v[12:13], v[42:43], v[10:11]
	v_add_f64 v[10:11], v[26:27], v[44:45]
	s_cbranch_scc0 .LBB239_2
	s_branch .LBB239_4
.LBB239_3:
	v_mov_b32_e32 v14, 0
	v_mov_b32_e32 v16, 0
	;; [unrolled: 1-line block ×16, first 2 shown]
.LBB239_4:
	s_load_dwordx2 s[0:1], s[4:5], 0x48
	s_load_dword s9, s[4:5], 0x40
	v_add_u32_e32 v4, s7, v1
	v_add_u32_e32 v0, s6, v0
	s_waitcnt lgkmcnt(0)
	s_mul_i32 s1, s1, s8
	s_mul_hi_u32 s4, s0, s8
	s_add_i32 s1, s4, s1
	v_mad_i64_i32 v[1:2], s[4:5], v4, s9, 0
	s_mul_i32 s0, s0, s8
	s_lshl_b64 s[0:1], s[0:1], 4
	s_add_u32 s7, s2, s0
	v_lshlrev_b64 v[1:2], 4, v[1:2]
	s_addc_u32 s8, s3, s1
	v_mov_b32_e32 v3, s8
	v_add_co_u32_e32 v5, vcc, s7, v1
	v_addc_co_u32_e32 v22, vcc, v3, v2, vcc
	v_cmp_le_i32_e64 s[0:1], v4, v0
	v_cmp_gt_i32_e32 vcc, s10, v0
	s_and_b64 s[0:1], s[0:1], vcc
	s_and_saveexec_b64 s[2:3], s[0:1]
	s_cbranch_execz .LBB239_6
; %bb.5:
	v_ashrrev_i32_e32 v1, 31, v0
	v_lshlrev_b64 v[1:2], 4, v[0:1]
	v_add_co_u32_e64 v1, s[0:1], v5, v1
	v_addc_co_u32_e64 v2, s[0:1], v22, v2, s[0:1]
	global_load_dwordx4 v[23:26], v[1:2], off
	s_waitcnt vmcnt(0)
	v_add_f64 v[14:15], v[14:15], -v[23:24]
	v_add_f64 v[16:17], v[16:17], -v[25:26]
	global_store_dwordx4 v[1:2], v[14:17], off
.LBB239_6:
	s_or_b64 exec, exec, s[2:3]
	v_add_u32_e32 v2, 16, v0
	v_cmp_le_i32_e64 s[2:3], v4, v2
	v_cmp_gt_i32_e64 s[0:1], s10, v2
	s_and_b64 s[2:3], s[2:3], s[0:1]
	s_and_saveexec_b64 s[4:5], s[2:3]
	s_cbranch_execz .LBB239_8
; %bb.7:
	v_ashrrev_i32_e32 v3, 31, v2
	v_lshlrev_b64 v[14:15], 4, v[2:3]
	v_add_co_u32_e64 v23, s[2:3], v5, v14
	v_addc_co_u32_e64 v24, s[2:3], v22, v15, s[2:3]
	global_load_dwordx4 v[14:17], v[23:24], off
	s_waitcnt vmcnt(0)
	v_add_f64 v[14:15], v[8:9], -v[14:15]
	v_add_f64 v[16:17], v[6:7], -v[16:17]
	global_store_dwordx4 v[23:24], v[14:17], off
.LBB239_8:
	s_or_b64 exec, exec, s[4:5]
	v_add_u32_e32 v3, 16, v4
	v_mad_i64_i32 v[4:5], s[2:3], v3, s9, 0
	v_mov_b32_e32 v1, s8
	v_lshlrev_b64 v[4:5], 4, v[4:5]
	v_add_co_u32_e64 v4, s[2:3], s7, v4
	v_addc_co_u32_e64 v5, s[2:3], v1, v5, s[2:3]
	v_cmp_le_i32_e64 s[2:3], v3, v0
	s_and_b64 s[4:5], s[2:3], vcc
	s_and_saveexec_b64 s[2:3], s[4:5]
	s_cbranch_execz .LBB239_10
; %bb.9:
	v_ashrrev_i32_e32 v1, 31, v0
	v_lshlrev_b64 v[0:1], 4, v[0:1]
	v_add_co_u32_e32 v0, vcc, v4, v0
	v_addc_co_u32_e32 v1, vcc, v5, v1, vcc
	global_load_dwordx4 v[6:9], v[0:1], off
	s_waitcnt vmcnt(0)
	v_add_f64 v[6:7], v[20:21], -v[6:7]
	v_add_f64 v[8:9], v[18:19], -v[8:9]
	global_store_dwordx4 v[0:1], v[6:9], off
.LBB239_10:
	s_or_b64 exec, exec, s[2:3]
	v_cmp_le_i32_e32 vcc, v3, v2
	s_and_b64 s[0:1], vcc, s[0:1]
	s_and_saveexec_b64 s[2:3], s[0:1]
	s_cbranch_execz .LBB239_12
; %bb.11:
	v_ashrrev_i32_e32 v3, 31, v2
	v_lshlrev_b64 v[0:1], 4, v[2:3]
	v_add_co_u32_e32 v4, vcc, v4, v0
	v_addc_co_u32_e32 v5, vcc, v5, v1, vcc
	global_load_dwordx4 v[0:3], v[4:5], off
	s_waitcnt vmcnt(0)
	v_add_f64 v[0:1], v[12:13], -v[0:1]
	v_add_f64 v[2:3], v[10:11], -v[2:3]
	global_store_dwordx4 v[4:5], v[0:3], off
.LBB239_12:
	s_endpgm
	.section	.rodata,"a",@progbits
	.p2align	6, 0x0
	.amdhsa_kernel _ZL37rocblas_syrkx_herkx_restricted_kernelIi19rocblas_complex_numIdELi16ELi32ELi8ELi1ELin1ELb0ELc84ELc76EKS1_S1_EviT_PT9_S3_lS5_S3_lPT10_S3_li
		.amdhsa_group_segment_fixed_size 8192
		.amdhsa_private_segment_fixed_size 0
		.amdhsa_kernarg_size 84
		.amdhsa_user_sgpr_count 6
		.amdhsa_user_sgpr_private_segment_buffer 1
		.amdhsa_user_sgpr_dispatch_ptr 0
		.amdhsa_user_sgpr_queue_ptr 0
		.amdhsa_user_sgpr_kernarg_segment_ptr 1
		.amdhsa_user_sgpr_dispatch_id 0
		.amdhsa_user_sgpr_flat_scratch_init 0
		.amdhsa_user_sgpr_private_segment_size 0
		.amdhsa_uses_dynamic_stack 0
		.amdhsa_system_sgpr_private_segment_wavefront_offset 0
		.amdhsa_system_sgpr_workgroup_id_x 1
		.amdhsa_system_sgpr_workgroup_id_y 1
		.amdhsa_system_sgpr_workgroup_id_z 1
		.amdhsa_system_sgpr_workgroup_info 0
		.amdhsa_system_vgpr_workitem_id 1
		.amdhsa_next_free_vgpr 52
		.amdhsa_next_free_sgpr 61
		.amdhsa_reserve_vcc 1
		.amdhsa_reserve_flat_scratch 0
		.amdhsa_float_round_mode_32 0
		.amdhsa_float_round_mode_16_64 0
		.amdhsa_float_denorm_mode_32 3
		.amdhsa_float_denorm_mode_16_64 3
		.amdhsa_dx10_clamp 1
		.amdhsa_ieee_mode 1
		.amdhsa_fp16_overflow 0
		.amdhsa_exception_fp_ieee_invalid_op 0
		.amdhsa_exception_fp_denorm_src 0
		.amdhsa_exception_fp_ieee_div_zero 0
		.amdhsa_exception_fp_ieee_overflow 0
		.amdhsa_exception_fp_ieee_underflow 0
		.amdhsa_exception_fp_ieee_inexact 0
		.amdhsa_exception_int_div_zero 0
	.end_amdhsa_kernel
	.section	.text._ZL37rocblas_syrkx_herkx_restricted_kernelIi19rocblas_complex_numIdELi16ELi32ELi8ELi1ELin1ELb0ELc84ELc76EKS1_S1_EviT_PT9_S3_lS5_S3_lPT10_S3_li,"axG",@progbits,_ZL37rocblas_syrkx_herkx_restricted_kernelIi19rocblas_complex_numIdELi16ELi32ELi8ELi1ELin1ELb0ELc84ELc76EKS1_S1_EviT_PT9_S3_lS5_S3_lPT10_S3_li,comdat
.Lfunc_end239:
	.size	_ZL37rocblas_syrkx_herkx_restricted_kernelIi19rocblas_complex_numIdELi16ELi32ELi8ELi1ELin1ELb0ELc84ELc76EKS1_S1_EviT_PT9_S3_lS5_S3_lPT10_S3_li, .Lfunc_end239-_ZL37rocblas_syrkx_herkx_restricted_kernelIi19rocblas_complex_numIdELi16ELi32ELi8ELi1ELin1ELb0ELc84ELc76EKS1_S1_EviT_PT9_S3_lS5_S3_lPT10_S3_li
                                        ; -- End function
	.set _ZL37rocblas_syrkx_herkx_restricted_kernelIi19rocblas_complex_numIdELi16ELi32ELi8ELi1ELin1ELb0ELc84ELc76EKS1_S1_EviT_PT9_S3_lS5_S3_lPT10_S3_li.num_vgpr, 52
	.set _ZL37rocblas_syrkx_herkx_restricted_kernelIi19rocblas_complex_numIdELi16ELi32ELi8ELi1ELin1ELb0ELc84ELc76EKS1_S1_EviT_PT9_S3_lS5_S3_lPT10_S3_li.num_agpr, 0
	.set _ZL37rocblas_syrkx_herkx_restricted_kernelIi19rocblas_complex_numIdELi16ELi32ELi8ELi1ELin1ELb0ELc84ELc76EKS1_S1_EviT_PT9_S3_lS5_S3_lPT10_S3_li.numbered_sgpr, 22
	.set _ZL37rocblas_syrkx_herkx_restricted_kernelIi19rocblas_complex_numIdELi16ELi32ELi8ELi1ELin1ELb0ELc84ELc76EKS1_S1_EviT_PT9_S3_lS5_S3_lPT10_S3_li.num_named_barrier, 0
	.set _ZL37rocblas_syrkx_herkx_restricted_kernelIi19rocblas_complex_numIdELi16ELi32ELi8ELi1ELin1ELb0ELc84ELc76EKS1_S1_EviT_PT9_S3_lS5_S3_lPT10_S3_li.private_seg_size, 0
	.set _ZL37rocblas_syrkx_herkx_restricted_kernelIi19rocblas_complex_numIdELi16ELi32ELi8ELi1ELin1ELb0ELc84ELc76EKS1_S1_EviT_PT9_S3_lS5_S3_lPT10_S3_li.uses_vcc, 1
	.set _ZL37rocblas_syrkx_herkx_restricted_kernelIi19rocblas_complex_numIdELi16ELi32ELi8ELi1ELin1ELb0ELc84ELc76EKS1_S1_EviT_PT9_S3_lS5_S3_lPT10_S3_li.uses_flat_scratch, 0
	.set _ZL37rocblas_syrkx_herkx_restricted_kernelIi19rocblas_complex_numIdELi16ELi32ELi8ELi1ELin1ELb0ELc84ELc76EKS1_S1_EviT_PT9_S3_lS5_S3_lPT10_S3_li.has_dyn_sized_stack, 0
	.set _ZL37rocblas_syrkx_herkx_restricted_kernelIi19rocblas_complex_numIdELi16ELi32ELi8ELi1ELin1ELb0ELc84ELc76EKS1_S1_EviT_PT9_S3_lS5_S3_lPT10_S3_li.has_recursion, 0
	.set _ZL37rocblas_syrkx_herkx_restricted_kernelIi19rocblas_complex_numIdELi16ELi32ELi8ELi1ELin1ELb0ELc84ELc76EKS1_S1_EviT_PT9_S3_lS5_S3_lPT10_S3_li.has_indirect_call, 0
	.section	.AMDGPU.csdata,"",@progbits
; Kernel info:
; codeLenInByte = 2876
; TotalNumSgprs: 26
; NumVgprs: 52
; ScratchSize: 0
; MemoryBound: 0
; FloatMode: 240
; IeeeMode: 1
; LDSByteSize: 8192 bytes/workgroup (compile time only)
; SGPRBlocks: 8
; VGPRBlocks: 12
; NumSGPRsForWavesPerEU: 65
; NumVGPRsForWavesPerEU: 52
; Occupancy: 4
; WaveLimiterHint : 0
; COMPUTE_PGM_RSRC2:SCRATCH_EN: 0
; COMPUTE_PGM_RSRC2:USER_SGPR: 6
; COMPUTE_PGM_RSRC2:TRAP_HANDLER: 0
; COMPUTE_PGM_RSRC2:TGID_X_EN: 1
; COMPUTE_PGM_RSRC2:TGID_Y_EN: 1
; COMPUTE_PGM_RSRC2:TGID_Z_EN: 1
; COMPUTE_PGM_RSRC2:TIDIG_COMP_CNT: 1
	.section	.text._ZL37rocblas_syrkx_herkx_restricted_kernelIi19rocblas_complex_numIdELi16ELi32ELi8ELi1ELin1ELb0ELc67ELc76EKS1_S1_EviT_PT9_S3_lS5_S3_lPT10_S3_li,"axG",@progbits,_ZL37rocblas_syrkx_herkx_restricted_kernelIi19rocblas_complex_numIdELi16ELi32ELi8ELi1ELin1ELb0ELc67ELc76EKS1_S1_EviT_PT9_S3_lS5_S3_lPT10_S3_li,comdat
	.globl	_ZL37rocblas_syrkx_herkx_restricted_kernelIi19rocblas_complex_numIdELi16ELi32ELi8ELi1ELin1ELb0ELc67ELc76EKS1_S1_EviT_PT9_S3_lS5_S3_lPT10_S3_li ; -- Begin function _ZL37rocblas_syrkx_herkx_restricted_kernelIi19rocblas_complex_numIdELi16ELi32ELi8ELi1ELin1ELb0ELc67ELc76EKS1_S1_EviT_PT9_S3_lS5_S3_lPT10_S3_li
	.p2align	8
	.type	_ZL37rocblas_syrkx_herkx_restricted_kernelIi19rocblas_complex_numIdELi16ELi32ELi8ELi1ELin1ELb0ELc67ELc76EKS1_S1_EviT_PT9_S3_lS5_S3_lPT10_S3_li,@function
_ZL37rocblas_syrkx_herkx_restricted_kernelIi19rocblas_complex_numIdELi16ELi32ELi8ELi1ELin1ELb0ELc67ELc76EKS1_S1_EviT_PT9_S3_lS5_S3_lPT10_S3_li: ; @_ZL37rocblas_syrkx_herkx_restricted_kernelIi19rocblas_complex_numIdELi16ELi32ELi8ELi1ELin1ELb0ELc67ELc76EKS1_S1_EviT_PT9_S3_lS5_S3_lPT10_S3_li
; %bb.0:
	s_load_dwordx2 s[10:11], s[4:5], 0x0
	s_load_dwordx4 s[0:3], s[4:5], 0x30
	s_lshl_b32 s6, s6, 5
	s_lshl_b32 s7, s7, 5
	s_mov_b32 s9, 0
	s_waitcnt lgkmcnt(0)
	s_cmp_lt_i32 s11, 1
	s_cbranch_scc1 .LBB240_3
; %bb.1:
	s_load_dwordx2 s[16:17], s[4:5], 0x8
	s_load_dword s20, s[4:5], 0x10
	s_load_dwordx4 s[12:15], s[4:5], 0x18
	s_load_dword s18, s[4:5], 0x28
	v_lshl_add_u32 v6, v1, 4, v0
	v_lshrrev_b32_e32 v8, 3, v6
	v_add_u32_e32 v4, s7, v8
	v_and_b32_e32 v2, 7, v0
	v_mov_b32_e32 v3, 0
	s_waitcnt lgkmcnt(0)
	v_mad_i64_i32 v[4:5], s[18:19], s18, v4, v[2:3]
	v_lshlrev_b32_e32 v2, 4, v2
	v_lshl_or_b32 v2, v8, 7, v2
	v_and_b32_e32 v9, 31, v6
	v_add_u32_e32 v23, 0x1000, v2
	v_mov_b32_e32 v2, 0x1000
	v_lshrrev_b32_e32 v6, 5, v6
	v_mov_b32_e32 v7, v3
	v_lshlrev_b32_e32 v3, 4, v9
	v_lshl_add_u32 v25, v1, 7, v2
	v_add_u32_e32 v2, s6, v9
	v_lshl_or_b32 v22, v6, 9, v3
	v_mad_i64_i32 v[2:3], s[18:19], s20, v2, v[6:7]
	s_mul_i32 s13, s13, s8
	s_mul_hi_u32 s21, s12, s8
	s_add_i32 s13, s21, s13
	s_mul_i32 s12, s12, s8
	s_lshl_b64 s[12:13], s[12:13], 4
	v_lshlrev_b64 v[2:3], 4, v[2:3]
	s_add_u32 s12, s16, s12
	s_addc_u32 s13, s17, s13
	v_add_co_u32_e32 v2, vcc, s12, v2
	s_mul_i32 s1, s1, s8
	s_mul_hi_u32 s12, s0, s8
	v_mov_b32_e32 v6, s13
	s_add_i32 s1, s12, s1
	s_mul_i32 s0, s0, s8
	v_addc_co_u32_e32 v3, vcc, v6, v3, vcc
	s_lshl_b64 s[0:1], s[0:1], 4
	v_add_co_u32_e32 v2, vcc, 8, v2
	v_lshlrev_b64 v[4:5], 4, v[4:5]
	s_add_u32 s0, s14, s0
	v_addc_co_u32_e32 v3, vcc, 0, v3, vcc
	s_addc_u32 s1, s15, s1
	v_mov_b32_e32 v6, s1
	v_add_co_u32_e32 v4, vcc, s0, v4
	v_addc_co_u32_e32 v5, vcc, v6, v5, vcc
	v_mov_b32_e32 v10, 0
	v_mov_b32_e32 v12, 0
	;; [unrolled: 1-line block ×8, first 2 shown]
	v_add_co_u32_e32 v4, vcc, 8, v4
	v_lshlrev_b32_e32 v24, 4, v0
	v_mov_b32_e32 v11, 0
	v_mov_b32_e32 v13, 0
	;; [unrolled: 1-line block ×8, first 2 shown]
	v_addc_co_u32_e32 v5, vcc, 0, v5, vcc
.LBB240_2:                              ; =>This Inner Loop Header: Depth=1
	global_load_dwordx4 v[26:29], v[2:3], off offset:-8
	v_add_co_u32_e32 v2, vcc, 0x80, v2
	v_addc_co_u32_e32 v3, vcc, 0, v3, vcc
	s_add_i32 s9, s9, 8
	s_cmp_ge_i32 s9, s11
	s_waitcnt vmcnt(0)
	ds_write_b128 v22, v[26:29]
	global_load_dwordx4 v[26:29], v[4:5], off offset:-8
	v_add_co_u32_e32 v4, vcc, 0x80, v4
	v_addc_co_u32_e32 v5, vcc, 0, v5, vcc
	s_waitcnt vmcnt(0)
	ds_write_b128 v23, v[26:29]
	s_waitcnt lgkmcnt(0)
	s_barrier
	ds_read_b128 v[26:29], v25
	ds_read_b128 v[30:33], v25 offset:16
	ds_read_b128 v[34:37], v25 offset:32
	;; [unrolled: 1-line block ×3, first 2 shown]
	ds_read_b128 v[42:45], v24
	s_waitcnt lgkmcnt(0)
	v_mul_f64 v[46:47], v[28:29], v[44:45]
	v_mul_f64 v[48:49], v[26:27], v[44:45]
	v_fma_f64 v[46:47], v[26:27], v[42:43], -v[46:47]
	v_fma_f64 v[48:49], v[28:29], v[42:43], v[48:49]
	v_add_f64 v[46:47], v[14:15], v[46:47]
	v_add_f64 v[48:49], v[48:49], v[16:17]
	ds_read_b128 v[14:17], v24 offset:256
	s_waitcnt lgkmcnt(0)
	v_mul_f64 v[50:51], v[28:29], v[16:17]
	v_fma_f64 v[50:51], v[26:27], v[14:15], -v[50:51]
	v_mul_f64 v[26:27], v[26:27], v[16:17]
	v_fma_f64 v[26:27], v[28:29], v[14:15], v[26:27]
	v_add_f64 v[28:29], v[8:9], v[50:51]
	v_add_f64 v[26:27], v[26:27], v[6:7]
	ds_read_b128 v[6:9], v25 offset:2048
	s_waitcnt lgkmcnt(0)
	v_mul_f64 v[50:51], v[8:9], v[44:45]
	v_mul_f64 v[44:45], v[6:7], v[44:45]
	v_fma_f64 v[50:51], v[6:7], v[42:43], -v[50:51]
	v_fma_f64 v[42:43], v[8:9], v[42:43], v[44:45]
	v_add_f64 v[20:21], v[20:21], v[50:51]
	v_add_f64 v[18:19], v[42:43], v[18:19]
	v_mul_f64 v[42:43], v[8:9], v[16:17]
	v_fma_f64 v[42:43], v[6:7], v[14:15], -v[42:43]
	v_mul_f64 v[6:7], v[6:7], v[16:17]
	v_add_f64 v[42:43], v[12:13], v[42:43]
	v_fma_f64 v[6:7], v[8:9], v[14:15], v[6:7]
	v_add_f64 v[44:45], v[6:7], v[10:11]
	ds_read_b128 v[6:9], v24 offset:512
	s_waitcnt lgkmcnt(0)
	v_mul_f64 v[10:11], v[32:33], v[8:9]
	v_mul_f64 v[12:13], v[30:31], v[8:9]
	v_fma_f64 v[10:11], v[30:31], v[6:7], -v[10:11]
	v_fma_f64 v[12:13], v[32:33], v[6:7], v[12:13]
	v_add_f64 v[46:47], v[46:47], v[10:11]
	v_add_f64 v[48:49], v[12:13], v[48:49]
	ds_read_b128 v[10:13], v24 offset:768
	s_waitcnt lgkmcnt(0)
	v_mul_f64 v[14:15], v[32:33], v[12:13]
	v_mul_f64 v[16:17], v[30:31], v[12:13]
	v_fma_f64 v[14:15], v[30:31], v[10:11], -v[14:15]
	v_fma_f64 v[16:17], v[32:33], v[10:11], v[16:17]
	v_add_f64 v[28:29], v[28:29], v[14:15]
	v_add_f64 v[26:27], v[16:17], v[26:27]
	ds_read_b128 v[14:17], v25 offset:2064
	s_waitcnt lgkmcnt(0)
	v_mul_f64 v[30:31], v[16:17], v[8:9]
	v_mul_f64 v[8:9], v[14:15], v[8:9]
	v_fma_f64 v[30:31], v[14:15], v[6:7], -v[30:31]
	v_fma_f64 v[6:7], v[16:17], v[6:7], v[8:9]
	v_mul_f64 v[8:9], v[14:15], v[12:13]
	v_add_f64 v[20:21], v[20:21], v[30:31]
	v_add_f64 v[18:19], v[6:7], v[18:19]
	v_mul_f64 v[6:7], v[16:17], v[12:13]
	v_fma_f64 v[8:9], v[16:17], v[10:11], v[8:9]
	v_fma_f64 v[6:7], v[14:15], v[10:11], -v[6:7]
	v_add_f64 v[32:33], v[8:9], v[44:45]
	v_add_f64 v[30:31], v[42:43], v[6:7]
	ds_read_b128 v[6:9], v24 offset:1024
	s_waitcnt lgkmcnt(0)
	v_mul_f64 v[10:11], v[36:37], v[8:9]
	v_mul_f64 v[12:13], v[34:35], v[8:9]
	v_fma_f64 v[10:11], v[34:35], v[6:7], -v[10:11]
	v_fma_f64 v[12:13], v[36:37], v[6:7], v[12:13]
	v_add_f64 v[42:43], v[46:47], v[10:11]
	v_add_f64 v[44:45], v[12:13], v[48:49]
	ds_read_b128 v[10:13], v24 offset:1280
	s_waitcnt lgkmcnt(0)
	v_mul_f64 v[14:15], v[36:37], v[12:13]
	v_mul_f64 v[16:17], v[34:35], v[12:13]
	v_fma_f64 v[14:15], v[34:35], v[10:11], -v[14:15]
	v_fma_f64 v[16:17], v[36:37], v[10:11], v[16:17]
	v_add_f64 v[28:29], v[28:29], v[14:15]
	v_add_f64 v[26:27], v[16:17], v[26:27]
	ds_read_b128 v[14:17], v25 offset:2080
	s_waitcnt lgkmcnt(0)
	v_mul_f64 v[34:35], v[16:17], v[8:9]
	v_mul_f64 v[8:9], v[14:15], v[8:9]
	v_fma_f64 v[34:35], v[14:15], v[6:7], -v[34:35]
	v_fma_f64 v[6:7], v[16:17], v[6:7], v[8:9]
	v_mul_f64 v[8:9], v[14:15], v[12:13]
	v_add_f64 v[20:21], v[20:21], v[34:35]
	v_add_f64 v[18:19], v[6:7], v[18:19]
	v_mul_f64 v[6:7], v[16:17], v[12:13]
	v_fma_f64 v[8:9], v[16:17], v[10:11], v[8:9]
	v_fma_f64 v[6:7], v[14:15], v[10:11], -v[6:7]
	v_add_f64 v[32:33], v[8:9], v[32:33]
	;; [unrolled: 30-line block ×3, first 2 shown]
	v_add_f64 v[30:31], v[30:31], v[6:7]
	ds_read_b128 v[6:9], v25 offset:64
	ds_read_b128 v[10:13], v24 offset:2048
	s_waitcnt lgkmcnt(0)
	v_mul_f64 v[14:15], v[8:9], v[12:13]
	v_mul_f64 v[16:17], v[6:7], v[12:13]
	v_fma_f64 v[14:15], v[6:7], v[10:11], -v[14:15]
	v_fma_f64 v[16:17], v[8:9], v[10:11], v[16:17]
	v_add_f64 v[34:35], v[34:35], v[14:15]
	v_add_f64 v[36:37], v[16:17], v[36:37]
	ds_read_b128 v[14:17], v24 offset:2304
	s_waitcnt lgkmcnt(0)
	v_mul_f64 v[38:39], v[8:9], v[16:17]
	v_fma_f64 v[38:39], v[6:7], v[14:15], -v[38:39]
	v_mul_f64 v[6:7], v[6:7], v[16:17]
	v_add_f64 v[28:29], v[28:29], v[38:39]
	v_fma_f64 v[6:7], v[8:9], v[14:15], v[6:7]
	v_add_f64 v[26:27], v[6:7], v[26:27]
	ds_read_b128 v[6:9], v25 offset:2112
	s_waitcnt lgkmcnt(0)
	v_mul_f64 v[38:39], v[8:9], v[12:13]
	v_mul_f64 v[12:13], v[6:7], v[12:13]
	v_fma_f64 v[38:39], v[6:7], v[10:11], -v[38:39]
	v_fma_f64 v[10:11], v[8:9], v[10:11], v[12:13]
	v_add_f64 v[20:21], v[20:21], v[38:39]
	v_add_f64 v[18:19], v[10:11], v[18:19]
	v_mul_f64 v[10:11], v[8:9], v[16:17]
	v_fma_f64 v[10:11], v[6:7], v[14:15], -v[10:11]
	v_mul_f64 v[6:7], v[6:7], v[16:17]
	v_add_f64 v[30:31], v[30:31], v[10:11]
	v_fma_f64 v[6:7], v[8:9], v[14:15], v[6:7]
	v_add_f64 v[32:33], v[6:7], v[32:33]
	ds_read_b128 v[6:9], v25 offset:80
	ds_read_b128 v[10:13], v24 offset:2560
	s_waitcnt lgkmcnt(0)
	v_mul_f64 v[14:15], v[8:9], v[12:13]
	v_mul_f64 v[16:17], v[6:7], v[12:13]
	v_fma_f64 v[14:15], v[6:7], v[10:11], -v[14:15]
	v_fma_f64 v[16:17], v[8:9], v[10:11], v[16:17]
	v_add_f64 v[34:35], v[34:35], v[14:15]
	v_add_f64 v[36:37], v[16:17], v[36:37]
	ds_read_b128 v[14:17], v24 offset:2816
	s_waitcnt lgkmcnt(0)
	v_mul_f64 v[38:39], v[8:9], v[16:17]
	v_fma_f64 v[38:39], v[6:7], v[14:15], -v[38:39]
	v_mul_f64 v[6:7], v[6:7], v[16:17]
	v_add_f64 v[28:29], v[28:29], v[38:39]
	v_fma_f64 v[6:7], v[8:9], v[14:15], v[6:7]
	v_add_f64 v[26:27], v[6:7], v[26:27]
	ds_read_b128 v[6:9], v25 offset:2128
	s_waitcnt lgkmcnt(0)
	v_mul_f64 v[38:39], v[8:9], v[12:13]
	v_mul_f64 v[12:13], v[6:7], v[12:13]
	v_fma_f64 v[38:39], v[6:7], v[10:11], -v[38:39]
	v_fma_f64 v[10:11], v[8:9], v[10:11], v[12:13]
	v_add_f64 v[20:21], v[20:21], v[38:39]
	v_add_f64 v[18:19], v[10:11], v[18:19]
	v_mul_f64 v[10:11], v[8:9], v[16:17]
	v_fma_f64 v[10:11], v[6:7], v[14:15], -v[10:11]
	v_mul_f64 v[6:7], v[6:7], v[16:17]
	v_add_f64 v[30:31], v[30:31], v[10:11]
	v_fma_f64 v[6:7], v[8:9], v[14:15], v[6:7]
	;; [unrolled: 31-line block ×3, first 2 shown]
	v_add_f64 v[44:45], v[6:7], v[32:33]
	ds_read_b128 v[6:9], v25 offset:112
	ds_read_b128 v[10:13], v24 offset:3584
	;; [unrolled: 1-line block ×3, first 2 shown]
	s_waitcnt lgkmcnt(1)
	v_mul_f64 v[14:15], v[8:9], v[12:13]
	s_waitcnt lgkmcnt(0)
	v_mul_f64 v[30:31], v[8:9], v[28:29]
	v_mul_f64 v[16:17], v[6:7], v[12:13]
	v_fma_f64 v[14:15], v[6:7], v[10:11], -v[14:15]
	v_fma_f64 v[30:31], v[6:7], v[26:27], -v[30:31]
	v_mul_f64 v[6:7], v[6:7], v[28:29]
	v_fma_f64 v[16:17], v[8:9], v[10:11], v[16:17]
	v_add_f64 v[14:15], v[34:35], v[14:15]
	v_fma_f64 v[6:7], v[8:9], v[26:27], v[6:7]
	v_add_f64 v[8:9], v[38:39], v[30:31]
	ds_read_b128 v[30:33], v25 offset:2160
	v_add_f64 v[16:17], v[16:17], v[36:37]
	s_waitcnt lgkmcnt(0)
	s_barrier
	v_mul_f64 v[34:35], v[32:33], v[12:13]
	v_mul_f64 v[12:13], v[30:31], v[12:13]
	v_add_f64 v[6:7], v[6:7], v[40:41]
	v_fma_f64 v[34:35], v[30:31], v[10:11], -v[34:35]
	v_fma_f64 v[10:11], v[32:33], v[10:11], v[12:13]
	v_mul_f64 v[12:13], v[30:31], v[28:29]
	v_add_f64 v[20:21], v[20:21], v[34:35]
	v_add_f64 v[18:19], v[10:11], v[18:19]
	v_mul_f64 v[10:11], v[32:33], v[28:29]
	v_fma_f64 v[10:11], v[30:31], v[26:27], -v[10:11]
	v_fma_f64 v[26:27], v[32:33], v[26:27], v[12:13]
	v_add_f64 v[12:13], v[42:43], v[10:11]
	v_add_f64 v[10:11], v[26:27], v[44:45]
	s_cbranch_scc0 .LBB240_2
	s_branch .LBB240_4
.LBB240_3:
	v_mov_b32_e32 v14, 0
	v_mov_b32_e32 v16, 0
	;; [unrolled: 1-line block ×16, first 2 shown]
.LBB240_4:
	s_load_dwordx2 s[0:1], s[4:5], 0x48
	s_load_dword s9, s[4:5], 0x40
	v_add_u32_e32 v4, s7, v1
	v_add_u32_e32 v0, s6, v0
	s_waitcnt lgkmcnt(0)
	s_mul_i32 s1, s1, s8
	s_mul_hi_u32 s4, s0, s8
	s_add_i32 s1, s4, s1
	v_mad_i64_i32 v[1:2], s[4:5], v4, s9, 0
	s_mul_i32 s0, s0, s8
	s_lshl_b64 s[0:1], s[0:1], 4
	s_add_u32 s7, s2, s0
	v_lshlrev_b64 v[1:2], 4, v[1:2]
	s_addc_u32 s8, s3, s1
	v_mov_b32_e32 v3, s8
	v_add_co_u32_e32 v5, vcc, s7, v1
	v_addc_co_u32_e32 v22, vcc, v3, v2, vcc
	v_cmp_le_i32_e64 s[0:1], v4, v0
	v_cmp_gt_i32_e32 vcc, s10, v0
	s_and_b64 s[0:1], s[0:1], vcc
	s_and_saveexec_b64 s[2:3], s[0:1]
	s_cbranch_execz .LBB240_6
; %bb.5:
	v_ashrrev_i32_e32 v1, 31, v0
	v_lshlrev_b64 v[1:2], 4, v[0:1]
	v_add_co_u32_e64 v1, s[0:1], v5, v1
	v_addc_co_u32_e64 v2, s[0:1], v22, v2, s[0:1]
	global_load_dwordx4 v[23:26], v[1:2], off
	s_waitcnt vmcnt(0)
	v_add_f64 v[14:15], v[14:15], -v[23:24]
	v_add_f64 v[16:17], v[16:17], -v[25:26]
	global_store_dwordx4 v[1:2], v[14:17], off
.LBB240_6:
	s_or_b64 exec, exec, s[2:3]
	v_add_u32_e32 v2, 16, v0
	v_cmp_le_i32_e64 s[2:3], v4, v2
	v_cmp_gt_i32_e64 s[0:1], s10, v2
	s_and_b64 s[2:3], s[2:3], s[0:1]
	s_and_saveexec_b64 s[4:5], s[2:3]
	s_cbranch_execz .LBB240_8
; %bb.7:
	v_ashrrev_i32_e32 v3, 31, v2
	v_lshlrev_b64 v[14:15], 4, v[2:3]
	v_add_co_u32_e64 v23, s[2:3], v5, v14
	v_addc_co_u32_e64 v24, s[2:3], v22, v15, s[2:3]
	global_load_dwordx4 v[14:17], v[23:24], off
	s_waitcnt vmcnt(0)
	v_add_f64 v[14:15], v[8:9], -v[14:15]
	v_add_f64 v[16:17], v[6:7], -v[16:17]
	global_store_dwordx4 v[23:24], v[14:17], off
.LBB240_8:
	s_or_b64 exec, exec, s[4:5]
	v_add_u32_e32 v3, 16, v4
	v_mad_i64_i32 v[4:5], s[2:3], v3, s9, 0
	v_mov_b32_e32 v1, s8
	v_lshlrev_b64 v[4:5], 4, v[4:5]
	v_add_co_u32_e64 v4, s[2:3], s7, v4
	v_addc_co_u32_e64 v5, s[2:3], v1, v5, s[2:3]
	v_cmp_le_i32_e64 s[2:3], v3, v0
	s_and_b64 s[4:5], s[2:3], vcc
	s_and_saveexec_b64 s[2:3], s[4:5]
	s_cbranch_execz .LBB240_10
; %bb.9:
	v_ashrrev_i32_e32 v1, 31, v0
	v_lshlrev_b64 v[0:1], 4, v[0:1]
	v_add_co_u32_e32 v0, vcc, v4, v0
	v_addc_co_u32_e32 v1, vcc, v5, v1, vcc
	global_load_dwordx4 v[6:9], v[0:1], off
	s_waitcnt vmcnt(0)
	v_add_f64 v[6:7], v[20:21], -v[6:7]
	v_add_f64 v[8:9], v[18:19], -v[8:9]
	global_store_dwordx4 v[0:1], v[6:9], off
.LBB240_10:
	s_or_b64 exec, exec, s[2:3]
	v_cmp_le_i32_e32 vcc, v3, v2
	s_and_b64 s[0:1], vcc, s[0:1]
	s_and_saveexec_b64 s[2:3], s[0:1]
	s_cbranch_execz .LBB240_12
; %bb.11:
	v_ashrrev_i32_e32 v3, 31, v2
	v_lshlrev_b64 v[0:1], 4, v[2:3]
	v_add_co_u32_e32 v4, vcc, v4, v0
	v_addc_co_u32_e32 v5, vcc, v5, v1, vcc
	global_load_dwordx4 v[0:3], v[4:5], off
	s_waitcnt vmcnt(0)
	v_add_f64 v[0:1], v[12:13], -v[0:1]
	v_add_f64 v[2:3], v[10:11], -v[2:3]
	global_store_dwordx4 v[4:5], v[0:3], off
.LBB240_12:
	s_endpgm
	.section	.rodata,"a",@progbits
	.p2align	6, 0x0
	.amdhsa_kernel _ZL37rocblas_syrkx_herkx_restricted_kernelIi19rocblas_complex_numIdELi16ELi32ELi8ELi1ELin1ELb0ELc67ELc76EKS1_S1_EviT_PT9_S3_lS5_S3_lPT10_S3_li
		.amdhsa_group_segment_fixed_size 8192
		.amdhsa_private_segment_fixed_size 0
		.amdhsa_kernarg_size 84
		.amdhsa_user_sgpr_count 6
		.amdhsa_user_sgpr_private_segment_buffer 1
		.amdhsa_user_sgpr_dispatch_ptr 0
		.amdhsa_user_sgpr_queue_ptr 0
		.amdhsa_user_sgpr_kernarg_segment_ptr 1
		.amdhsa_user_sgpr_dispatch_id 0
		.amdhsa_user_sgpr_flat_scratch_init 0
		.amdhsa_user_sgpr_private_segment_size 0
		.amdhsa_uses_dynamic_stack 0
		.amdhsa_system_sgpr_private_segment_wavefront_offset 0
		.amdhsa_system_sgpr_workgroup_id_x 1
		.amdhsa_system_sgpr_workgroup_id_y 1
		.amdhsa_system_sgpr_workgroup_id_z 1
		.amdhsa_system_sgpr_workgroup_info 0
		.amdhsa_system_vgpr_workitem_id 1
		.amdhsa_next_free_vgpr 52
		.amdhsa_next_free_sgpr 61
		.amdhsa_reserve_vcc 1
		.amdhsa_reserve_flat_scratch 0
		.amdhsa_float_round_mode_32 0
		.amdhsa_float_round_mode_16_64 0
		.amdhsa_float_denorm_mode_32 3
		.amdhsa_float_denorm_mode_16_64 3
		.amdhsa_dx10_clamp 1
		.amdhsa_ieee_mode 1
		.amdhsa_fp16_overflow 0
		.amdhsa_exception_fp_ieee_invalid_op 0
		.amdhsa_exception_fp_denorm_src 0
		.amdhsa_exception_fp_ieee_div_zero 0
		.amdhsa_exception_fp_ieee_overflow 0
		.amdhsa_exception_fp_ieee_underflow 0
		.amdhsa_exception_fp_ieee_inexact 0
		.amdhsa_exception_int_div_zero 0
	.end_amdhsa_kernel
	.section	.text._ZL37rocblas_syrkx_herkx_restricted_kernelIi19rocblas_complex_numIdELi16ELi32ELi8ELi1ELin1ELb0ELc67ELc76EKS1_S1_EviT_PT9_S3_lS5_S3_lPT10_S3_li,"axG",@progbits,_ZL37rocblas_syrkx_herkx_restricted_kernelIi19rocblas_complex_numIdELi16ELi32ELi8ELi1ELin1ELb0ELc67ELc76EKS1_S1_EviT_PT9_S3_lS5_S3_lPT10_S3_li,comdat
.Lfunc_end240:
	.size	_ZL37rocblas_syrkx_herkx_restricted_kernelIi19rocblas_complex_numIdELi16ELi32ELi8ELi1ELin1ELb0ELc67ELc76EKS1_S1_EviT_PT9_S3_lS5_S3_lPT10_S3_li, .Lfunc_end240-_ZL37rocblas_syrkx_herkx_restricted_kernelIi19rocblas_complex_numIdELi16ELi32ELi8ELi1ELin1ELb0ELc67ELc76EKS1_S1_EviT_PT9_S3_lS5_S3_lPT10_S3_li
                                        ; -- End function
	.set _ZL37rocblas_syrkx_herkx_restricted_kernelIi19rocblas_complex_numIdELi16ELi32ELi8ELi1ELin1ELb0ELc67ELc76EKS1_S1_EviT_PT9_S3_lS5_S3_lPT10_S3_li.num_vgpr, 52
	.set _ZL37rocblas_syrkx_herkx_restricted_kernelIi19rocblas_complex_numIdELi16ELi32ELi8ELi1ELin1ELb0ELc67ELc76EKS1_S1_EviT_PT9_S3_lS5_S3_lPT10_S3_li.num_agpr, 0
	.set _ZL37rocblas_syrkx_herkx_restricted_kernelIi19rocblas_complex_numIdELi16ELi32ELi8ELi1ELin1ELb0ELc67ELc76EKS1_S1_EviT_PT9_S3_lS5_S3_lPT10_S3_li.numbered_sgpr, 22
	.set _ZL37rocblas_syrkx_herkx_restricted_kernelIi19rocblas_complex_numIdELi16ELi32ELi8ELi1ELin1ELb0ELc67ELc76EKS1_S1_EviT_PT9_S3_lS5_S3_lPT10_S3_li.num_named_barrier, 0
	.set _ZL37rocblas_syrkx_herkx_restricted_kernelIi19rocblas_complex_numIdELi16ELi32ELi8ELi1ELin1ELb0ELc67ELc76EKS1_S1_EviT_PT9_S3_lS5_S3_lPT10_S3_li.private_seg_size, 0
	.set _ZL37rocblas_syrkx_herkx_restricted_kernelIi19rocblas_complex_numIdELi16ELi32ELi8ELi1ELin1ELb0ELc67ELc76EKS1_S1_EviT_PT9_S3_lS5_S3_lPT10_S3_li.uses_vcc, 1
	.set _ZL37rocblas_syrkx_herkx_restricted_kernelIi19rocblas_complex_numIdELi16ELi32ELi8ELi1ELin1ELb0ELc67ELc76EKS1_S1_EviT_PT9_S3_lS5_S3_lPT10_S3_li.uses_flat_scratch, 0
	.set _ZL37rocblas_syrkx_herkx_restricted_kernelIi19rocblas_complex_numIdELi16ELi32ELi8ELi1ELin1ELb0ELc67ELc76EKS1_S1_EviT_PT9_S3_lS5_S3_lPT10_S3_li.has_dyn_sized_stack, 0
	.set _ZL37rocblas_syrkx_herkx_restricted_kernelIi19rocblas_complex_numIdELi16ELi32ELi8ELi1ELin1ELb0ELc67ELc76EKS1_S1_EviT_PT9_S3_lS5_S3_lPT10_S3_li.has_recursion, 0
	.set _ZL37rocblas_syrkx_herkx_restricted_kernelIi19rocblas_complex_numIdELi16ELi32ELi8ELi1ELin1ELb0ELc67ELc76EKS1_S1_EviT_PT9_S3_lS5_S3_lPT10_S3_li.has_indirect_call, 0
	.section	.AMDGPU.csdata,"",@progbits
; Kernel info:
; codeLenInByte = 2876
; TotalNumSgprs: 26
; NumVgprs: 52
; ScratchSize: 0
; MemoryBound: 0
; FloatMode: 240
; IeeeMode: 1
; LDSByteSize: 8192 bytes/workgroup (compile time only)
; SGPRBlocks: 8
; VGPRBlocks: 12
; NumSGPRsForWavesPerEU: 65
; NumVGPRsForWavesPerEU: 52
; Occupancy: 4
; WaveLimiterHint : 0
; COMPUTE_PGM_RSRC2:SCRATCH_EN: 0
; COMPUTE_PGM_RSRC2:USER_SGPR: 6
; COMPUTE_PGM_RSRC2:TRAP_HANDLER: 0
; COMPUTE_PGM_RSRC2:TGID_X_EN: 1
; COMPUTE_PGM_RSRC2:TGID_Y_EN: 1
; COMPUTE_PGM_RSRC2:TGID_Z_EN: 1
; COMPUTE_PGM_RSRC2:TIDIG_COMP_CNT: 1
	.section	.text._ZL37rocblas_syrkx_herkx_restricted_kernelIi19rocblas_complex_numIdELi16ELi32ELi8ELi1ELin1ELb0ELc78ELc76EKS1_S1_EviT_PT9_S3_lS5_S3_lPT10_S3_li,"axG",@progbits,_ZL37rocblas_syrkx_herkx_restricted_kernelIi19rocblas_complex_numIdELi16ELi32ELi8ELi1ELin1ELb0ELc78ELc76EKS1_S1_EviT_PT9_S3_lS5_S3_lPT10_S3_li,comdat
	.globl	_ZL37rocblas_syrkx_herkx_restricted_kernelIi19rocblas_complex_numIdELi16ELi32ELi8ELi1ELin1ELb0ELc78ELc76EKS1_S1_EviT_PT9_S3_lS5_S3_lPT10_S3_li ; -- Begin function _ZL37rocblas_syrkx_herkx_restricted_kernelIi19rocblas_complex_numIdELi16ELi32ELi8ELi1ELin1ELb0ELc78ELc76EKS1_S1_EviT_PT9_S3_lS5_S3_lPT10_S3_li
	.p2align	8
	.type	_ZL37rocblas_syrkx_herkx_restricted_kernelIi19rocblas_complex_numIdELi16ELi32ELi8ELi1ELin1ELb0ELc78ELc76EKS1_S1_EviT_PT9_S3_lS5_S3_lPT10_S3_li,@function
_ZL37rocblas_syrkx_herkx_restricted_kernelIi19rocblas_complex_numIdELi16ELi32ELi8ELi1ELin1ELb0ELc78ELc76EKS1_S1_EviT_PT9_S3_lS5_S3_lPT10_S3_li: ; @_ZL37rocblas_syrkx_herkx_restricted_kernelIi19rocblas_complex_numIdELi16ELi32ELi8ELi1ELin1ELb0ELc78ELc76EKS1_S1_EviT_PT9_S3_lS5_S3_lPT10_S3_li
; %bb.0:
	s_load_dwordx2 s[10:11], s[4:5], 0x0
	s_load_dwordx4 s[0:3], s[4:5], 0x30
	s_lshl_b32 s9, s6, 5
	s_lshl_b32 s16, s7, 5
	s_mov_b32 s17, 0
	s_waitcnt lgkmcnt(0)
	s_cmp_lt_i32 s11, 1
	s_cbranch_scc1 .LBB241_3
; %bb.1:
	v_lshl_add_u32 v7, v1, 4, v0
	s_load_dword s6, s[4:5], 0x10
	s_load_dword s18, s[4:5], 0x28
	s_load_dwordx2 s[20:21], s[4:5], 0x8
	s_load_dwordx4 s[12:15], s[4:5], 0x18
	v_lshrrev_b32_e32 v8, 3, v7
	v_add_u32_e32 v2, s16, v8
	v_and_b32_e32 v6, 7, v0
	v_ashrrev_i32_e32 v3, 31, v2
	s_waitcnt lgkmcnt(0)
	v_mad_i64_i32 v[4:5], s[22:23], s18, v6, v[2:3]
	v_and_b32_e32 v2, 31, v7
	v_lshrrev_b32_e32 v9, 5, v7
	v_lshlrev_b32_e32 v3, 4, v2
	v_lshl_or_b32 v22, v9, 9, v3
	v_lshlrev_b32_e32 v3, 4, v6
	v_lshl_or_b32 v3, v8, 7, v3
	v_add_u32_e32 v23, 0x1000, v3
	v_mov_b32_e32 v3, 0x1000
	v_add_u32_e32 v2, s9, v2
	v_lshl_add_u32 v25, v1, 7, v3
	v_ashrrev_i32_e32 v3, 31, v2
	v_mad_i64_i32 v[2:3], s[22:23], s6, v9, v[2:3]
	s_mul_i32 s13, s13, s8
	s_mul_hi_u32 s24, s12, s8
	s_add_i32 s13, s24, s13
	s_mul_i32 s12, s12, s8
	s_ashr_i32 s7, s6, 31
	s_ashr_i32 s19, s18, 31
	s_lshl_b64 s[12:13], s[12:13], 4
	v_lshlrev_b64 v[2:3], 4, v[2:3]
	s_add_u32 s12, s20, s12
	s_addc_u32 s13, s21, s13
	v_add_co_u32_e32 v2, vcc, s12, v2
	s_mul_i32 s1, s1, s8
	s_mul_hi_u32 s12, s0, s8
	v_mov_b32_e32 v6, s13
	s_add_i32 s1, s12, s1
	s_mul_i32 s0, s0, s8
	v_addc_co_u32_e32 v3, vcc, v6, v3, vcc
	s_lshl_b64 s[6:7], s[6:7], 7
	s_lshl_b64 s[0:1], s[0:1], 4
	v_add_co_u32_e32 v2, vcc, 8, v2
	v_lshlrev_b64 v[4:5], 4, v[4:5]
	s_add_u32 s0, s14, s0
	v_addc_co_u32_e32 v3, vcc, 0, v3, vcc
	s_addc_u32 s1, s15, s1
	v_mov_b32_e32 v6, s1
	v_add_co_u32_e32 v4, vcc, s0, v4
	v_addc_co_u32_e32 v5, vcc, v6, v5, vcc
	v_add_co_u32_e32 v4, vcc, 8, v4
	s_lshl_b64 s[0:1], s[18:19], 7
	v_mov_b32_e32 v10, 0
	v_mov_b32_e32 v12, 0
	;; [unrolled: 1-line block ×8, first 2 shown]
	v_lshlrev_b32_e32 v24, 4, v0
	v_addc_co_u32_e32 v5, vcc, 0, v5, vcc
	v_mov_b32_e32 v11, 0
	v_mov_b32_e32 v26, s7
	;; [unrolled: 1-line block ×10, first 2 shown]
.LBB241_2:                              ; =>This Inner Loop Header: Depth=1
	global_load_dwordx4 v[28:31], v[2:3], off offset:-8
	v_add_co_u32_e32 v2, vcc, s6, v2
	v_addc_co_u32_e32 v3, vcc, v3, v26, vcc
	s_add_i32 s17, s17, 8
	s_cmp_ge_i32 s17, s11
	s_waitcnt vmcnt(0)
	ds_write_b128 v22, v[28:31]
	global_load_dwordx4 v[28:31], v[4:5], off offset:-8
	v_add_co_u32_e32 v4, vcc, s0, v4
	v_addc_co_u32_e32 v5, vcc, v5, v27, vcc
	s_waitcnt vmcnt(0)
	ds_write_b128 v23, v[28:31]
	s_waitcnt lgkmcnt(0)
	s_barrier
	ds_read_b128 v[28:31], v25
	ds_read_b128 v[32:35], v25 offset:16
	ds_read_b128 v[36:39], v25 offset:32
	;; [unrolled: 1-line block ×3, first 2 shown]
	ds_read_b128 v[44:47], v24
	s_waitcnt lgkmcnt(0)
	v_mul_f64 v[48:49], v[30:31], v[46:47]
	v_mul_f64 v[50:51], v[28:29], v[46:47]
	v_fma_f64 v[48:49], v[28:29], v[44:45], -v[48:49]
	v_fma_f64 v[50:51], v[30:31], v[44:45], v[50:51]
	v_add_f64 v[48:49], v[18:19], v[48:49]
	v_add_f64 v[50:51], v[50:51], v[20:21]
	ds_read_b128 v[18:21], v24 offset:256
	s_waitcnt lgkmcnt(0)
	v_mul_f64 v[52:53], v[30:31], v[20:21]
	v_fma_f64 v[52:53], v[28:29], v[18:19], -v[52:53]
	v_mul_f64 v[28:29], v[28:29], v[20:21]
	v_fma_f64 v[28:29], v[30:31], v[18:19], v[28:29]
	v_add_f64 v[30:31], v[8:9], v[52:53]
	v_add_f64 v[28:29], v[28:29], v[6:7]
	ds_read_b128 v[6:9], v25 offset:2048
	s_waitcnt lgkmcnt(0)
	v_mul_f64 v[52:53], v[8:9], v[46:47]
	v_mul_f64 v[46:47], v[6:7], v[46:47]
	v_fma_f64 v[52:53], v[6:7], v[44:45], -v[52:53]
	v_fma_f64 v[44:45], v[8:9], v[44:45], v[46:47]
	v_add_f64 v[46:47], v[16:17], v[52:53]
	v_add_f64 v[44:45], v[44:45], v[14:15]
	v_mul_f64 v[14:15], v[8:9], v[20:21]
	v_fma_f64 v[14:15], v[6:7], v[18:19], -v[14:15]
	v_mul_f64 v[6:7], v[6:7], v[20:21]
	v_fma_f64 v[6:7], v[8:9], v[18:19], v[6:7]
	v_add_f64 v[18:19], v[12:13], v[14:15]
	v_add_f64 v[20:21], v[6:7], v[10:11]
	ds_read_b128 v[6:9], v24 offset:512
	s_waitcnt lgkmcnt(0)
	v_mul_f64 v[10:11], v[34:35], v[8:9]
	v_mul_f64 v[12:13], v[32:33], v[8:9]
	v_fma_f64 v[10:11], v[32:33], v[6:7], -v[10:11]
	v_fma_f64 v[12:13], v[34:35], v[6:7], v[12:13]
	v_add_f64 v[48:49], v[48:49], v[10:11]
	v_add_f64 v[50:51], v[12:13], v[50:51]
	ds_read_b128 v[10:13], v24 offset:768
	s_waitcnt lgkmcnt(0)
	v_mul_f64 v[14:15], v[34:35], v[12:13]
	v_mul_f64 v[16:17], v[32:33], v[12:13]
	v_fma_f64 v[14:15], v[32:33], v[10:11], -v[14:15]
	;; [unrolled: 8-line block ×3, first 2 shown]
	v_fma_f64 v[6:7], v[16:17], v[6:7], v[8:9]
	v_mul_f64 v[8:9], v[14:15], v[12:13]
	v_add_f64 v[32:33], v[46:47], v[32:33]
	v_add_f64 v[34:35], v[6:7], v[44:45]
	v_mul_f64 v[6:7], v[16:17], v[12:13]
	v_fma_f64 v[8:9], v[16:17], v[10:11], v[8:9]
	v_fma_f64 v[6:7], v[14:15], v[10:11], -v[6:7]
	v_add_f64 v[20:21], v[8:9], v[20:21]
	v_add_f64 v[18:19], v[18:19], v[6:7]
	ds_read_b128 v[6:9], v24 offset:1024
	s_waitcnt lgkmcnt(0)
	v_mul_f64 v[10:11], v[38:39], v[8:9]
	v_mul_f64 v[12:13], v[36:37], v[8:9]
	v_fma_f64 v[10:11], v[36:37], v[6:7], -v[10:11]
	v_fma_f64 v[12:13], v[38:39], v[6:7], v[12:13]
	v_add_f64 v[44:45], v[48:49], v[10:11]
	v_add_f64 v[46:47], v[12:13], v[50:51]
	ds_read_b128 v[10:13], v24 offset:1280
	s_waitcnt lgkmcnt(0)
	v_mul_f64 v[14:15], v[38:39], v[12:13]
	v_mul_f64 v[16:17], v[36:37], v[12:13]
	v_fma_f64 v[14:15], v[36:37], v[10:11], -v[14:15]
	v_fma_f64 v[16:17], v[38:39], v[10:11], v[16:17]
	;; [unrolled: 8-line block ×3, first 2 shown]
	v_mul_f64 v[8:9], v[14:15], v[12:13]
	v_add_f64 v[32:33], v[32:33], v[36:37]
	v_add_f64 v[34:35], v[6:7], v[34:35]
	v_mul_f64 v[6:7], v[16:17], v[12:13]
	v_fma_f64 v[8:9], v[16:17], v[10:11], v[8:9]
	v_fma_f64 v[6:7], v[14:15], v[10:11], -v[6:7]
	v_add_f64 v[20:21], v[8:9], v[20:21]
	v_add_f64 v[18:19], v[18:19], v[6:7]
	ds_read_b128 v[6:9], v24 offset:1536
	s_waitcnt lgkmcnt(0)
	v_mul_f64 v[10:11], v[42:43], v[8:9]
	v_mul_f64 v[12:13], v[40:41], v[8:9]
	v_fma_f64 v[10:11], v[40:41], v[6:7], -v[10:11]
	v_fma_f64 v[12:13], v[42:43], v[6:7], v[12:13]
	v_add_f64 v[36:37], v[44:45], v[10:11]
	v_add_f64 v[38:39], v[12:13], v[46:47]
	ds_read_b128 v[10:13], v24 offset:1792
	s_waitcnt lgkmcnt(0)
	v_mul_f64 v[14:15], v[42:43], v[12:13]
	v_mul_f64 v[16:17], v[40:41], v[12:13]
	v_fma_f64 v[14:15], v[40:41], v[10:11], -v[14:15]
	v_fma_f64 v[16:17], v[42:43], v[10:11], v[16:17]
	v_add_f64 v[30:31], v[30:31], v[14:15]
	v_add_f64 v[28:29], v[16:17], v[28:29]
	ds_read_b128 v[14:17], v25 offset:2096
	s_waitcnt lgkmcnt(0)
	v_mul_f64 v[40:41], v[16:17], v[8:9]
	v_mul_f64 v[8:9], v[14:15], v[8:9]
	v_fma_f64 v[40:41], v[14:15], v[6:7], -v[40:41]
	v_fma_f64 v[6:7], v[16:17], v[6:7], v[8:9]
	v_mul_f64 v[8:9], v[14:15], v[12:13]
	v_add_f64 v[32:33], v[32:33], v[40:41]
	v_add_f64 v[34:35], v[6:7], v[34:35]
	v_mul_f64 v[6:7], v[16:17], v[12:13]
	v_fma_f64 v[8:9], v[16:17], v[10:11], v[8:9]
	v_fma_f64 v[6:7], v[14:15], v[10:11], -v[6:7]
	v_add_f64 v[20:21], v[8:9], v[20:21]
	v_add_f64 v[18:19], v[18:19], v[6:7]
	ds_read_b128 v[6:9], v25 offset:64
	ds_read_b128 v[10:13], v24 offset:2048
	s_waitcnt lgkmcnt(0)
	v_mul_f64 v[14:15], v[8:9], v[12:13]
	v_mul_f64 v[16:17], v[6:7], v[12:13]
	v_fma_f64 v[14:15], v[6:7], v[10:11], -v[14:15]
	v_fma_f64 v[16:17], v[8:9], v[10:11], v[16:17]
	v_add_f64 v[36:37], v[36:37], v[14:15]
	v_add_f64 v[38:39], v[16:17], v[38:39]
	ds_read_b128 v[14:17], v24 offset:2304
	s_waitcnt lgkmcnt(0)
	v_mul_f64 v[40:41], v[8:9], v[16:17]
	v_fma_f64 v[40:41], v[6:7], v[14:15], -v[40:41]
	v_mul_f64 v[6:7], v[6:7], v[16:17]
	v_add_f64 v[30:31], v[30:31], v[40:41]
	v_fma_f64 v[6:7], v[8:9], v[14:15], v[6:7]
	v_add_f64 v[28:29], v[6:7], v[28:29]
	ds_read_b128 v[6:9], v25 offset:2112
	s_waitcnt lgkmcnt(0)
	v_mul_f64 v[40:41], v[8:9], v[12:13]
	v_mul_f64 v[12:13], v[6:7], v[12:13]
	v_fma_f64 v[40:41], v[6:7], v[10:11], -v[40:41]
	v_fma_f64 v[10:11], v[8:9], v[10:11], v[12:13]
	v_add_f64 v[32:33], v[32:33], v[40:41]
	v_add_f64 v[34:35], v[10:11], v[34:35]
	v_mul_f64 v[10:11], v[8:9], v[16:17]
	v_fma_f64 v[10:11], v[6:7], v[14:15], -v[10:11]
	v_mul_f64 v[6:7], v[6:7], v[16:17]
	v_add_f64 v[18:19], v[18:19], v[10:11]
	v_fma_f64 v[6:7], v[8:9], v[14:15], v[6:7]
	v_add_f64 v[20:21], v[6:7], v[20:21]
	ds_read_b128 v[6:9], v25 offset:80
	ds_read_b128 v[10:13], v24 offset:2560
	s_waitcnt lgkmcnt(0)
	v_mul_f64 v[14:15], v[8:9], v[12:13]
	v_mul_f64 v[16:17], v[6:7], v[12:13]
	v_fma_f64 v[14:15], v[6:7], v[10:11], -v[14:15]
	v_fma_f64 v[16:17], v[8:9], v[10:11], v[16:17]
	v_add_f64 v[36:37], v[36:37], v[14:15]
	v_add_f64 v[38:39], v[16:17], v[38:39]
	ds_read_b128 v[14:17], v24 offset:2816
	s_waitcnt lgkmcnt(0)
	v_mul_f64 v[40:41], v[8:9], v[16:17]
	v_fma_f64 v[40:41], v[6:7], v[14:15], -v[40:41]
	v_mul_f64 v[6:7], v[6:7], v[16:17]
	v_add_f64 v[30:31], v[30:31], v[40:41]
	v_fma_f64 v[6:7], v[8:9], v[14:15], v[6:7]
	v_add_f64 v[28:29], v[6:7], v[28:29]
	ds_read_b128 v[6:9], v25 offset:2128
	s_waitcnt lgkmcnt(0)
	v_mul_f64 v[40:41], v[8:9], v[12:13]
	v_mul_f64 v[12:13], v[6:7], v[12:13]
	v_fma_f64 v[40:41], v[6:7], v[10:11], -v[40:41]
	v_fma_f64 v[10:11], v[8:9], v[10:11], v[12:13]
	v_add_f64 v[32:33], v[32:33], v[40:41]
	v_add_f64 v[34:35], v[10:11], v[34:35]
	v_mul_f64 v[10:11], v[8:9], v[16:17]
	v_fma_f64 v[10:11], v[6:7], v[14:15], -v[10:11]
	v_mul_f64 v[6:7], v[6:7], v[16:17]
	v_add_f64 v[18:19], v[18:19], v[10:11]
	v_fma_f64 v[6:7], v[8:9], v[14:15], v[6:7]
	;; [unrolled: 31-line block ×3, first 2 shown]
	v_add_f64 v[50:51], v[6:7], v[20:21]
	ds_read_b128 v[6:9], v25 offset:112
	ds_read_b128 v[10:13], v24 offset:3584
	;; [unrolled: 1-line block ×4, first 2 shown]
	s_waitcnt lgkmcnt(0)
	s_barrier
	v_mul_f64 v[14:15], v[8:9], v[12:13]
	v_mul_f64 v[16:17], v[6:7], v[12:13]
	v_fma_f64 v[14:15], v[6:7], v[10:11], -v[14:15]
	v_fma_f64 v[16:17], v[8:9], v[10:11], v[16:17]
	v_add_f64 v[18:19], v[36:37], v[14:15]
	v_mul_f64 v[14:15], v[8:9], v[30:31]
	v_add_f64 v[20:21], v[16:17], v[38:39]
	v_fma_f64 v[14:15], v[6:7], v[28:29], -v[14:15]
	v_mul_f64 v[6:7], v[6:7], v[30:31]
	v_fma_f64 v[6:7], v[8:9], v[28:29], v[6:7]
	v_add_f64 v[8:9], v[40:41], v[14:15]
	v_mul_f64 v[14:15], v[34:35], v[12:13]
	v_mul_f64 v[12:13], v[32:33], v[12:13]
	v_add_f64 v[6:7], v[6:7], v[42:43]
	v_fma_f64 v[14:15], v[32:33], v[10:11], -v[14:15]
	v_fma_f64 v[10:11], v[34:35], v[10:11], v[12:13]
	v_mul_f64 v[12:13], v[32:33], v[30:31]
	v_add_f64 v[16:17], v[44:45], v[14:15]
	v_add_f64 v[14:15], v[10:11], v[46:47]
	v_mul_f64 v[10:11], v[34:35], v[30:31]
	v_fma_f64 v[10:11], v[32:33], v[28:29], -v[10:11]
	v_fma_f64 v[28:29], v[34:35], v[28:29], v[12:13]
	v_add_f64 v[12:13], v[48:49], v[10:11]
	v_add_f64 v[10:11], v[28:29], v[50:51]
	s_cbranch_scc0 .LBB241_2
	s_branch .LBB241_4
.LBB241_3:
	v_mov_b32_e32 v18, 0
	v_mov_b32_e32 v20, 0
	v_mov_b32_e32 v8, 0
	v_mov_b32_e32 v6, 0
	v_mov_b32_e32 v16, 0
	v_mov_b32_e32 v14, 0
	v_mov_b32_e32 v12, 0
	v_mov_b32_e32 v10, 0
	v_mov_b32_e32 v19, 0
	v_mov_b32_e32 v21, 0
	v_mov_b32_e32 v9, 0
	v_mov_b32_e32 v7, 0
	v_mov_b32_e32 v17, 0
	v_mov_b32_e32 v15, 0
	v_mov_b32_e32 v13, 0
	v_mov_b32_e32 v11, 0
.LBB241_4:
	s_load_dwordx2 s[0:1], s[4:5], 0x48
	s_load_dword s6, s[4:5], 0x40
	v_add_u32_e32 v4, s16, v1
	v_add_u32_e32 v0, s9, v0
	s_waitcnt lgkmcnt(0)
	s_mul_i32 s1, s1, s8
	s_mul_hi_u32 s4, s0, s8
	s_add_i32 s1, s4, s1
	v_mad_i64_i32 v[1:2], s[4:5], v4, s6, 0
	s_mul_i32 s0, s0, s8
	s_lshl_b64 s[0:1], s[0:1], 4
	s_add_u32 s7, s2, s0
	v_lshlrev_b64 v[1:2], 4, v[1:2]
	s_addc_u32 s8, s3, s1
	v_mov_b32_e32 v3, s8
	v_add_co_u32_e32 v5, vcc, s7, v1
	v_addc_co_u32_e32 v22, vcc, v3, v2, vcc
	v_cmp_le_i32_e64 s[0:1], v4, v0
	v_cmp_gt_i32_e32 vcc, s10, v0
	s_and_b64 s[0:1], s[0:1], vcc
	s_and_saveexec_b64 s[2:3], s[0:1]
	s_cbranch_execz .LBB241_6
; %bb.5:
	v_ashrrev_i32_e32 v1, 31, v0
	v_lshlrev_b64 v[1:2], 4, v[0:1]
	v_add_co_u32_e64 v1, s[0:1], v5, v1
	v_addc_co_u32_e64 v2, s[0:1], v22, v2, s[0:1]
	global_load_dwordx4 v[23:26], v[1:2], off
	s_waitcnt vmcnt(0)
	v_add_f64 v[18:19], v[18:19], -v[23:24]
	v_add_f64 v[20:21], v[20:21], -v[25:26]
	global_store_dwordx4 v[1:2], v[18:21], off
.LBB241_6:
	s_or_b64 exec, exec, s[2:3]
	v_add_u32_e32 v2, 16, v0
	v_cmp_le_i32_e64 s[2:3], v4, v2
	v_cmp_gt_i32_e64 s[0:1], s10, v2
	s_and_b64 s[2:3], s[2:3], s[0:1]
	s_and_saveexec_b64 s[4:5], s[2:3]
	s_cbranch_execz .LBB241_8
; %bb.7:
	v_ashrrev_i32_e32 v3, 31, v2
	v_lshlrev_b64 v[18:19], 4, v[2:3]
	v_add_co_u32_e64 v23, s[2:3], v5, v18
	v_addc_co_u32_e64 v24, s[2:3], v22, v19, s[2:3]
	global_load_dwordx4 v[18:21], v[23:24], off
	s_waitcnt vmcnt(0)
	v_add_f64 v[18:19], v[8:9], -v[18:19]
	v_add_f64 v[20:21], v[6:7], -v[20:21]
	global_store_dwordx4 v[23:24], v[18:21], off
.LBB241_8:
	s_or_b64 exec, exec, s[4:5]
	v_add_u32_e32 v3, 16, v4
	v_mad_i64_i32 v[4:5], s[2:3], v3, s6, 0
	v_mov_b32_e32 v1, s8
	v_lshlrev_b64 v[4:5], 4, v[4:5]
	v_add_co_u32_e64 v4, s[2:3], s7, v4
	v_addc_co_u32_e64 v5, s[2:3], v1, v5, s[2:3]
	v_cmp_le_i32_e64 s[2:3], v3, v0
	s_and_b64 s[4:5], s[2:3], vcc
	s_and_saveexec_b64 s[2:3], s[4:5]
	s_cbranch_execz .LBB241_10
; %bb.9:
	v_ashrrev_i32_e32 v1, 31, v0
	v_lshlrev_b64 v[0:1], 4, v[0:1]
	v_add_co_u32_e32 v0, vcc, v4, v0
	v_addc_co_u32_e32 v1, vcc, v5, v1, vcc
	global_load_dwordx4 v[6:9], v[0:1], off
	s_waitcnt vmcnt(0)
	v_add_f64 v[6:7], v[16:17], -v[6:7]
	v_add_f64 v[8:9], v[14:15], -v[8:9]
	global_store_dwordx4 v[0:1], v[6:9], off
.LBB241_10:
	s_or_b64 exec, exec, s[2:3]
	v_cmp_le_i32_e32 vcc, v3, v2
	s_and_b64 s[0:1], vcc, s[0:1]
	s_and_saveexec_b64 s[2:3], s[0:1]
	s_cbranch_execz .LBB241_12
; %bb.11:
	v_ashrrev_i32_e32 v3, 31, v2
	v_lshlrev_b64 v[0:1], 4, v[2:3]
	v_add_co_u32_e32 v4, vcc, v4, v0
	v_addc_co_u32_e32 v5, vcc, v5, v1, vcc
	global_load_dwordx4 v[0:3], v[4:5], off
	s_waitcnt vmcnt(0)
	v_add_f64 v[0:1], v[12:13], -v[0:1]
	v_add_f64 v[2:3], v[10:11], -v[2:3]
	global_store_dwordx4 v[4:5], v[0:3], off
.LBB241_12:
	s_endpgm
	.section	.rodata,"a",@progbits
	.p2align	6, 0x0
	.amdhsa_kernel _ZL37rocblas_syrkx_herkx_restricted_kernelIi19rocblas_complex_numIdELi16ELi32ELi8ELi1ELin1ELb0ELc78ELc76EKS1_S1_EviT_PT9_S3_lS5_S3_lPT10_S3_li
		.amdhsa_group_segment_fixed_size 8192
		.amdhsa_private_segment_fixed_size 0
		.amdhsa_kernarg_size 84
		.amdhsa_user_sgpr_count 6
		.amdhsa_user_sgpr_private_segment_buffer 1
		.amdhsa_user_sgpr_dispatch_ptr 0
		.amdhsa_user_sgpr_queue_ptr 0
		.amdhsa_user_sgpr_kernarg_segment_ptr 1
		.amdhsa_user_sgpr_dispatch_id 0
		.amdhsa_user_sgpr_flat_scratch_init 0
		.amdhsa_user_sgpr_private_segment_size 0
		.amdhsa_uses_dynamic_stack 0
		.amdhsa_system_sgpr_private_segment_wavefront_offset 0
		.amdhsa_system_sgpr_workgroup_id_x 1
		.amdhsa_system_sgpr_workgroup_id_y 1
		.amdhsa_system_sgpr_workgroup_id_z 1
		.amdhsa_system_sgpr_workgroup_info 0
		.amdhsa_system_vgpr_workitem_id 1
		.amdhsa_next_free_vgpr 54
		.amdhsa_next_free_sgpr 61
		.amdhsa_reserve_vcc 1
		.amdhsa_reserve_flat_scratch 0
		.amdhsa_float_round_mode_32 0
		.amdhsa_float_round_mode_16_64 0
		.amdhsa_float_denorm_mode_32 3
		.amdhsa_float_denorm_mode_16_64 3
		.amdhsa_dx10_clamp 1
		.amdhsa_ieee_mode 1
		.amdhsa_fp16_overflow 0
		.amdhsa_exception_fp_ieee_invalid_op 0
		.amdhsa_exception_fp_denorm_src 0
		.amdhsa_exception_fp_ieee_div_zero 0
		.amdhsa_exception_fp_ieee_overflow 0
		.amdhsa_exception_fp_ieee_underflow 0
		.amdhsa_exception_fp_ieee_inexact 0
		.amdhsa_exception_int_div_zero 0
	.end_amdhsa_kernel
	.section	.text._ZL37rocblas_syrkx_herkx_restricted_kernelIi19rocblas_complex_numIdELi16ELi32ELi8ELi1ELin1ELb0ELc78ELc76EKS1_S1_EviT_PT9_S3_lS5_S3_lPT10_S3_li,"axG",@progbits,_ZL37rocblas_syrkx_herkx_restricted_kernelIi19rocblas_complex_numIdELi16ELi32ELi8ELi1ELin1ELb0ELc78ELc76EKS1_S1_EviT_PT9_S3_lS5_S3_lPT10_S3_li,comdat
.Lfunc_end241:
	.size	_ZL37rocblas_syrkx_herkx_restricted_kernelIi19rocblas_complex_numIdELi16ELi32ELi8ELi1ELin1ELb0ELc78ELc76EKS1_S1_EviT_PT9_S3_lS5_S3_lPT10_S3_li, .Lfunc_end241-_ZL37rocblas_syrkx_herkx_restricted_kernelIi19rocblas_complex_numIdELi16ELi32ELi8ELi1ELin1ELb0ELc78ELc76EKS1_S1_EviT_PT9_S3_lS5_S3_lPT10_S3_li
                                        ; -- End function
	.set _ZL37rocblas_syrkx_herkx_restricted_kernelIi19rocblas_complex_numIdELi16ELi32ELi8ELi1ELin1ELb0ELc78ELc76EKS1_S1_EviT_PT9_S3_lS5_S3_lPT10_S3_li.num_vgpr, 54
	.set _ZL37rocblas_syrkx_herkx_restricted_kernelIi19rocblas_complex_numIdELi16ELi32ELi8ELi1ELin1ELb0ELc78ELc76EKS1_S1_EviT_PT9_S3_lS5_S3_lPT10_S3_li.num_agpr, 0
	.set _ZL37rocblas_syrkx_herkx_restricted_kernelIi19rocblas_complex_numIdELi16ELi32ELi8ELi1ELin1ELb0ELc78ELc76EKS1_S1_EviT_PT9_S3_lS5_S3_lPT10_S3_li.numbered_sgpr, 25
	.set _ZL37rocblas_syrkx_herkx_restricted_kernelIi19rocblas_complex_numIdELi16ELi32ELi8ELi1ELin1ELb0ELc78ELc76EKS1_S1_EviT_PT9_S3_lS5_S3_lPT10_S3_li.num_named_barrier, 0
	.set _ZL37rocblas_syrkx_herkx_restricted_kernelIi19rocblas_complex_numIdELi16ELi32ELi8ELi1ELin1ELb0ELc78ELc76EKS1_S1_EviT_PT9_S3_lS5_S3_lPT10_S3_li.private_seg_size, 0
	.set _ZL37rocblas_syrkx_herkx_restricted_kernelIi19rocblas_complex_numIdELi16ELi32ELi8ELi1ELin1ELb0ELc78ELc76EKS1_S1_EviT_PT9_S3_lS5_S3_lPT10_S3_li.uses_vcc, 1
	.set _ZL37rocblas_syrkx_herkx_restricted_kernelIi19rocblas_complex_numIdELi16ELi32ELi8ELi1ELin1ELb0ELc78ELc76EKS1_S1_EviT_PT9_S3_lS5_S3_lPT10_S3_li.uses_flat_scratch, 0
	.set _ZL37rocblas_syrkx_herkx_restricted_kernelIi19rocblas_complex_numIdELi16ELi32ELi8ELi1ELin1ELb0ELc78ELc76EKS1_S1_EviT_PT9_S3_lS5_S3_lPT10_S3_li.has_dyn_sized_stack, 0
	.set _ZL37rocblas_syrkx_herkx_restricted_kernelIi19rocblas_complex_numIdELi16ELi32ELi8ELi1ELin1ELb0ELc78ELc76EKS1_S1_EviT_PT9_S3_lS5_S3_lPT10_S3_li.has_recursion, 0
	.set _ZL37rocblas_syrkx_herkx_restricted_kernelIi19rocblas_complex_numIdELi16ELi32ELi8ELi1ELin1ELb0ELc78ELc76EKS1_S1_EviT_PT9_S3_lS5_S3_lPT10_S3_li.has_indirect_call, 0
	.section	.AMDGPU.csdata,"",@progbits
; Kernel info:
; codeLenInByte = 2884
; TotalNumSgprs: 29
; NumVgprs: 54
; ScratchSize: 0
; MemoryBound: 0
; FloatMode: 240
; IeeeMode: 1
; LDSByteSize: 8192 bytes/workgroup (compile time only)
; SGPRBlocks: 8
; VGPRBlocks: 13
; NumSGPRsForWavesPerEU: 65
; NumVGPRsForWavesPerEU: 54
; Occupancy: 4
; WaveLimiterHint : 0
; COMPUTE_PGM_RSRC2:SCRATCH_EN: 0
; COMPUTE_PGM_RSRC2:USER_SGPR: 6
; COMPUTE_PGM_RSRC2:TRAP_HANDLER: 0
; COMPUTE_PGM_RSRC2:TGID_X_EN: 1
; COMPUTE_PGM_RSRC2:TGID_Y_EN: 1
; COMPUTE_PGM_RSRC2:TGID_Z_EN: 1
; COMPUTE_PGM_RSRC2:TIDIG_COMP_CNT: 1
	.section	.text._ZL37rocblas_syrkx_herkx_restricted_kernelIi19rocblas_complex_numIdELi16ELi32ELi8ELi1ELin1ELb0ELc84ELc85EKS1_S1_EviT_PT9_S3_lS5_S3_lPT10_S3_li,"axG",@progbits,_ZL37rocblas_syrkx_herkx_restricted_kernelIi19rocblas_complex_numIdELi16ELi32ELi8ELi1ELin1ELb0ELc84ELc85EKS1_S1_EviT_PT9_S3_lS5_S3_lPT10_S3_li,comdat
	.globl	_ZL37rocblas_syrkx_herkx_restricted_kernelIi19rocblas_complex_numIdELi16ELi32ELi8ELi1ELin1ELb0ELc84ELc85EKS1_S1_EviT_PT9_S3_lS5_S3_lPT10_S3_li ; -- Begin function _ZL37rocblas_syrkx_herkx_restricted_kernelIi19rocblas_complex_numIdELi16ELi32ELi8ELi1ELin1ELb0ELc84ELc85EKS1_S1_EviT_PT9_S3_lS5_S3_lPT10_S3_li
	.p2align	8
	.type	_ZL37rocblas_syrkx_herkx_restricted_kernelIi19rocblas_complex_numIdELi16ELi32ELi8ELi1ELin1ELb0ELc84ELc85EKS1_S1_EviT_PT9_S3_lS5_S3_lPT10_S3_li,@function
_ZL37rocblas_syrkx_herkx_restricted_kernelIi19rocblas_complex_numIdELi16ELi32ELi8ELi1ELin1ELb0ELc84ELc85EKS1_S1_EviT_PT9_S3_lS5_S3_lPT10_S3_li: ; @_ZL37rocblas_syrkx_herkx_restricted_kernelIi19rocblas_complex_numIdELi16ELi32ELi8ELi1ELin1ELb0ELc84ELc85EKS1_S1_EviT_PT9_S3_lS5_S3_lPT10_S3_li
; %bb.0:
	s_load_dwordx2 s[10:11], s[4:5], 0x0
	s_load_dwordx4 s[0:3], s[4:5], 0x30
	s_lshl_b32 s6, s6, 5
	s_lshl_b32 s7, s7, 5
	s_mov_b32 s9, 0
	s_waitcnt lgkmcnt(0)
	s_cmp_lt_i32 s11, 1
	s_cbranch_scc1 .LBB242_3
; %bb.1:
	s_load_dwordx2 s[16:17], s[4:5], 0x8
	s_load_dword s20, s[4:5], 0x10
	s_load_dwordx4 s[12:15], s[4:5], 0x18
	s_load_dword s18, s[4:5], 0x28
	v_lshl_add_u32 v6, v1, 4, v0
	v_lshrrev_b32_e32 v8, 3, v6
	v_add_u32_e32 v4, s7, v8
	v_and_b32_e32 v2, 7, v0
	v_mov_b32_e32 v3, 0
	s_waitcnt lgkmcnt(0)
	v_mad_i64_i32 v[4:5], s[18:19], s18, v4, v[2:3]
	v_lshlrev_b32_e32 v2, 4, v2
	v_lshl_or_b32 v2, v8, 7, v2
	v_and_b32_e32 v9, 31, v6
	v_add_u32_e32 v23, 0x1000, v2
	v_mov_b32_e32 v2, 0x1000
	v_lshrrev_b32_e32 v6, 5, v6
	v_mov_b32_e32 v7, v3
	v_lshlrev_b32_e32 v3, 4, v9
	v_lshl_add_u32 v25, v1, 7, v2
	v_add_u32_e32 v2, s6, v9
	v_lshl_or_b32 v22, v6, 9, v3
	v_mad_i64_i32 v[2:3], s[18:19], s20, v2, v[6:7]
	s_mul_i32 s13, s13, s8
	s_mul_hi_u32 s21, s12, s8
	s_add_i32 s13, s21, s13
	s_mul_i32 s12, s12, s8
	s_lshl_b64 s[12:13], s[12:13], 4
	v_lshlrev_b64 v[2:3], 4, v[2:3]
	s_add_u32 s12, s16, s12
	s_addc_u32 s13, s17, s13
	v_add_co_u32_e32 v2, vcc, s12, v2
	s_mul_i32 s1, s1, s8
	s_mul_hi_u32 s12, s0, s8
	v_mov_b32_e32 v6, s13
	s_add_i32 s1, s12, s1
	s_mul_i32 s0, s0, s8
	v_addc_co_u32_e32 v3, vcc, v6, v3, vcc
	s_lshl_b64 s[0:1], s[0:1], 4
	v_add_co_u32_e32 v2, vcc, 8, v2
	v_lshlrev_b64 v[4:5], 4, v[4:5]
	s_add_u32 s0, s14, s0
	v_addc_co_u32_e32 v3, vcc, 0, v3, vcc
	s_addc_u32 s1, s15, s1
	v_mov_b32_e32 v6, s1
	v_add_co_u32_e32 v4, vcc, s0, v4
	v_addc_co_u32_e32 v5, vcc, v6, v5, vcc
	v_mov_b32_e32 v10, 0
	v_mov_b32_e32 v12, 0
	;; [unrolled: 1-line block ×8, first 2 shown]
	v_add_co_u32_e32 v4, vcc, 8, v4
	v_lshlrev_b32_e32 v24, 4, v0
	v_mov_b32_e32 v11, 0
	v_mov_b32_e32 v13, 0
	;; [unrolled: 1-line block ×8, first 2 shown]
	v_addc_co_u32_e32 v5, vcc, 0, v5, vcc
.LBB242_2:                              ; =>This Inner Loop Header: Depth=1
	global_load_dwordx4 v[26:29], v[2:3], off offset:-8
	v_add_co_u32_e32 v2, vcc, 0x80, v2
	v_addc_co_u32_e32 v3, vcc, 0, v3, vcc
	s_add_i32 s9, s9, 8
	s_cmp_ge_i32 s9, s11
	s_waitcnt vmcnt(0)
	ds_write_b128 v22, v[26:29]
	global_load_dwordx4 v[26:29], v[4:5], off offset:-8
	v_add_co_u32_e32 v4, vcc, 0x80, v4
	v_addc_co_u32_e32 v5, vcc, 0, v5, vcc
	s_waitcnt vmcnt(0)
	ds_write_b128 v23, v[26:29]
	s_waitcnt lgkmcnt(0)
	s_barrier
	ds_read_b128 v[26:29], v25
	ds_read_b128 v[30:33], v25 offset:16
	ds_read_b128 v[34:37], v25 offset:32
	;; [unrolled: 1-line block ×3, first 2 shown]
	ds_read_b128 v[42:45], v24
	s_waitcnt lgkmcnt(0)
	v_mul_f64 v[46:47], v[28:29], v[44:45]
	v_mul_f64 v[48:49], v[26:27], v[44:45]
	v_fma_f64 v[46:47], v[26:27], v[42:43], -v[46:47]
	v_fma_f64 v[48:49], v[28:29], v[42:43], v[48:49]
	v_add_f64 v[46:47], v[14:15], v[46:47]
	v_add_f64 v[48:49], v[48:49], v[16:17]
	ds_read_b128 v[14:17], v24 offset:256
	s_waitcnt lgkmcnt(0)
	v_mul_f64 v[50:51], v[28:29], v[16:17]
	v_fma_f64 v[50:51], v[26:27], v[14:15], -v[50:51]
	v_mul_f64 v[26:27], v[26:27], v[16:17]
	v_fma_f64 v[26:27], v[28:29], v[14:15], v[26:27]
	v_add_f64 v[28:29], v[8:9], v[50:51]
	v_add_f64 v[26:27], v[26:27], v[6:7]
	ds_read_b128 v[6:9], v25 offset:2048
	s_waitcnt lgkmcnt(0)
	v_mul_f64 v[50:51], v[8:9], v[44:45]
	v_mul_f64 v[44:45], v[6:7], v[44:45]
	v_fma_f64 v[50:51], v[6:7], v[42:43], -v[50:51]
	v_fma_f64 v[42:43], v[8:9], v[42:43], v[44:45]
	v_add_f64 v[20:21], v[20:21], v[50:51]
	v_add_f64 v[18:19], v[42:43], v[18:19]
	v_mul_f64 v[42:43], v[8:9], v[16:17]
	v_fma_f64 v[42:43], v[6:7], v[14:15], -v[42:43]
	v_mul_f64 v[6:7], v[6:7], v[16:17]
	v_add_f64 v[42:43], v[12:13], v[42:43]
	v_fma_f64 v[6:7], v[8:9], v[14:15], v[6:7]
	v_add_f64 v[44:45], v[6:7], v[10:11]
	ds_read_b128 v[6:9], v24 offset:512
	s_waitcnt lgkmcnt(0)
	v_mul_f64 v[10:11], v[32:33], v[8:9]
	v_mul_f64 v[12:13], v[30:31], v[8:9]
	v_fma_f64 v[10:11], v[30:31], v[6:7], -v[10:11]
	v_fma_f64 v[12:13], v[32:33], v[6:7], v[12:13]
	v_add_f64 v[46:47], v[46:47], v[10:11]
	v_add_f64 v[48:49], v[12:13], v[48:49]
	ds_read_b128 v[10:13], v24 offset:768
	s_waitcnt lgkmcnt(0)
	v_mul_f64 v[14:15], v[32:33], v[12:13]
	v_mul_f64 v[16:17], v[30:31], v[12:13]
	v_fma_f64 v[14:15], v[30:31], v[10:11], -v[14:15]
	v_fma_f64 v[16:17], v[32:33], v[10:11], v[16:17]
	v_add_f64 v[28:29], v[28:29], v[14:15]
	v_add_f64 v[26:27], v[16:17], v[26:27]
	ds_read_b128 v[14:17], v25 offset:2064
	s_waitcnt lgkmcnt(0)
	v_mul_f64 v[30:31], v[16:17], v[8:9]
	v_mul_f64 v[8:9], v[14:15], v[8:9]
	v_fma_f64 v[30:31], v[14:15], v[6:7], -v[30:31]
	v_fma_f64 v[6:7], v[16:17], v[6:7], v[8:9]
	v_mul_f64 v[8:9], v[14:15], v[12:13]
	v_add_f64 v[20:21], v[20:21], v[30:31]
	v_add_f64 v[18:19], v[6:7], v[18:19]
	v_mul_f64 v[6:7], v[16:17], v[12:13]
	v_fma_f64 v[8:9], v[16:17], v[10:11], v[8:9]
	v_fma_f64 v[6:7], v[14:15], v[10:11], -v[6:7]
	v_add_f64 v[32:33], v[8:9], v[44:45]
	v_add_f64 v[30:31], v[42:43], v[6:7]
	ds_read_b128 v[6:9], v24 offset:1024
	s_waitcnt lgkmcnt(0)
	v_mul_f64 v[10:11], v[36:37], v[8:9]
	v_mul_f64 v[12:13], v[34:35], v[8:9]
	v_fma_f64 v[10:11], v[34:35], v[6:7], -v[10:11]
	v_fma_f64 v[12:13], v[36:37], v[6:7], v[12:13]
	v_add_f64 v[42:43], v[46:47], v[10:11]
	v_add_f64 v[44:45], v[12:13], v[48:49]
	ds_read_b128 v[10:13], v24 offset:1280
	s_waitcnt lgkmcnt(0)
	v_mul_f64 v[14:15], v[36:37], v[12:13]
	v_mul_f64 v[16:17], v[34:35], v[12:13]
	v_fma_f64 v[14:15], v[34:35], v[10:11], -v[14:15]
	v_fma_f64 v[16:17], v[36:37], v[10:11], v[16:17]
	v_add_f64 v[28:29], v[28:29], v[14:15]
	v_add_f64 v[26:27], v[16:17], v[26:27]
	ds_read_b128 v[14:17], v25 offset:2080
	s_waitcnt lgkmcnt(0)
	v_mul_f64 v[34:35], v[16:17], v[8:9]
	v_mul_f64 v[8:9], v[14:15], v[8:9]
	v_fma_f64 v[34:35], v[14:15], v[6:7], -v[34:35]
	v_fma_f64 v[6:7], v[16:17], v[6:7], v[8:9]
	v_mul_f64 v[8:9], v[14:15], v[12:13]
	v_add_f64 v[20:21], v[20:21], v[34:35]
	v_add_f64 v[18:19], v[6:7], v[18:19]
	v_mul_f64 v[6:7], v[16:17], v[12:13]
	v_fma_f64 v[8:9], v[16:17], v[10:11], v[8:9]
	v_fma_f64 v[6:7], v[14:15], v[10:11], -v[6:7]
	v_add_f64 v[32:33], v[8:9], v[32:33]
	;; [unrolled: 30-line block ×3, first 2 shown]
	v_add_f64 v[30:31], v[30:31], v[6:7]
	ds_read_b128 v[6:9], v25 offset:64
	ds_read_b128 v[10:13], v24 offset:2048
	s_waitcnt lgkmcnt(0)
	v_mul_f64 v[14:15], v[8:9], v[12:13]
	v_mul_f64 v[16:17], v[6:7], v[12:13]
	v_fma_f64 v[14:15], v[6:7], v[10:11], -v[14:15]
	v_fma_f64 v[16:17], v[8:9], v[10:11], v[16:17]
	v_add_f64 v[34:35], v[34:35], v[14:15]
	v_add_f64 v[36:37], v[16:17], v[36:37]
	ds_read_b128 v[14:17], v24 offset:2304
	s_waitcnt lgkmcnt(0)
	v_mul_f64 v[38:39], v[8:9], v[16:17]
	v_fma_f64 v[38:39], v[6:7], v[14:15], -v[38:39]
	v_mul_f64 v[6:7], v[6:7], v[16:17]
	v_add_f64 v[28:29], v[28:29], v[38:39]
	v_fma_f64 v[6:7], v[8:9], v[14:15], v[6:7]
	v_add_f64 v[26:27], v[6:7], v[26:27]
	ds_read_b128 v[6:9], v25 offset:2112
	s_waitcnt lgkmcnt(0)
	v_mul_f64 v[38:39], v[8:9], v[12:13]
	v_mul_f64 v[12:13], v[6:7], v[12:13]
	v_fma_f64 v[38:39], v[6:7], v[10:11], -v[38:39]
	v_fma_f64 v[10:11], v[8:9], v[10:11], v[12:13]
	v_add_f64 v[20:21], v[20:21], v[38:39]
	v_add_f64 v[18:19], v[10:11], v[18:19]
	v_mul_f64 v[10:11], v[8:9], v[16:17]
	v_fma_f64 v[10:11], v[6:7], v[14:15], -v[10:11]
	v_mul_f64 v[6:7], v[6:7], v[16:17]
	v_add_f64 v[30:31], v[30:31], v[10:11]
	v_fma_f64 v[6:7], v[8:9], v[14:15], v[6:7]
	v_add_f64 v[32:33], v[6:7], v[32:33]
	ds_read_b128 v[6:9], v25 offset:80
	ds_read_b128 v[10:13], v24 offset:2560
	s_waitcnt lgkmcnt(0)
	v_mul_f64 v[14:15], v[8:9], v[12:13]
	v_mul_f64 v[16:17], v[6:7], v[12:13]
	v_fma_f64 v[14:15], v[6:7], v[10:11], -v[14:15]
	v_fma_f64 v[16:17], v[8:9], v[10:11], v[16:17]
	v_add_f64 v[34:35], v[34:35], v[14:15]
	v_add_f64 v[36:37], v[16:17], v[36:37]
	ds_read_b128 v[14:17], v24 offset:2816
	s_waitcnt lgkmcnt(0)
	v_mul_f64 v[38:39], v[8:9], v[16:17]
	v_fma_f64 v[38:39], v[6:7], v[14:15], -v[38:39]
	v_mul_f64 v[6:7], v[6:7], v[16:17]
	v_add_f64 v[28:29], v[28:29], v[38:39]
	v_fma_f64 v[6:7], v[8:9], v[14:15], v[6:7]
	v_add_f64 v[26:27], v[6:7], v[26:27]
	ds_read_b128 v[6:9], v25 offset:2128
	s_waitcnt lgkmcnt(0)
	v_mul_f64 v[38:39], v[8:9], v[12:13]
	v_mul_f64 v[12:13], v[6:7], v[12:13]
	v_fma_f64 v[38:39], v[6:7], v[10:11], -v[38:39]
	v_fma_f64 v[10:11], v[8:9], v[10:11], v[12:13]
	v_add_f64 v[20:21], v[20:21], v[38:39]
	v_add_f64 v[18:19], v[10:11], v[18:19]
	v_mul_f64 v[10:11], v[8:9], v[16:17]
	v_fma_f64 v[10:11], v[6:7], v[14:15], -v[10:11]
	v_mul_f64 v[6:7], v[6:7], v[16:17]
	v_add_f64 v[30:31], v[30:31], v[10:11]
	v_fma_f64 v[6:7], v[8:9], v[14:15], v[6:7]
	;; [unrolled: 31-line block ×3, first 2 shown]
	v_add_f64 v[44:45], v[6:7], v[32:33]
	ds_read_b128 v[6:9], v25 offset:112
	ds_read_b128 v[10:13], v24 offset:3584
	;; [unrolled: 1-line block ×3, first 2 shown]
	s_waitcnt lgkmcnt(1)
	v_mul_f64 v[14:15], v[8:9], v[12:13]
	s_waitcnt lgkmcnt(0)
	v_mul_f64 v[30:31], v[8:9], v[28:29]
	v_mul_f64 v[16:17], v[6:7], v[12:13]
	v_fma_f64 v[14:15], v[6:7], v[10:11], -v[14:15]
	v_fma_f64 v[30:31], v[6:7], v[26:27], -v[30:31]
	v_mul_f64 v[6:7], v[6:7], v[28:29]
	v_fma_f64 v[16:17], v[8:9], v[10:11], v[16:17]
	v_add_f64 v[14:15], v[34:35], v[14:15]
	v_fma_f64 v[6:7], v[8:9], v[26:27], v[6:7]
	v_add_f64 v[8:9], v[38:39], v[30:31]
	ds_read_b128 v[30:33], v25 offset:2160
	v_add_f64 v[16:17], v[16:17], v[36:37]
	s_waitcnt lgkmcnt(0)
	s_barrier
	v_mul_f64 v[34:35], v[32:33], v[12:13]
	v_mul_f64 v[12:13], v[30:31], v[12:13]
	v_add_f64 v[6:7], v[6:7], v[40:41]
	v_fma_f64 v[34:35], v[30:31], v[10:11], -v[34:35]
	v_fma_f64 v[10:11], v[32:33], v[10:11], v[12:13]
	v_mul_f64 v[12:13], v[30:31], v[28:29]
	v_add_f64 v[20:21], v[20:21], v[34:35]
	v_add_f64 v[18:19], v[10:11], v[18:19]
	v_mul_f64 v[10:11], v[32:33], v[28:29]
	v_fma_f64 v[10:11], v[30:31], v[26:27], -v[10:11]
	v_fma_f64 v[26:27], v[32:33], v[26:27], v[12:13]
	v_add_f64 v[12:13], v[42:43], v[10:11]
	v_add_f64 v[10:11], v[26:27], v[44:45]
	s_cbranch_scc0 .LBB242_2
	s_branch .LBB242_4
.LBB242_3:
	v_mov_b32_e32 v14, 0
	v_mov_b32_e32 v16, 0
	;; [unrolled: 1-line block ×16, first 2 shown]
.LBB242_4:
	s_load_dwordx2 s[0:1], s[4:5], 0x48
	s_load_dword s9, s[4:5], 0x40
	v_add_u32_e32 v4, s7, v1
	v_add_u32_e32 v0, s6, v0
	v_cmp_gt_i32_e32 vcc, s10, v4
	s_waitcnt lgkmcnt(0)
	s_mul_i32 s1, s1, s8
	v_mad_i64_i32 v[1:2], s[12:13], v4, s9, 0
	s_mul_hi_u32 s4, s0, s8
	s_mul_i32 s0, s0, s8
	s_add_i32 s1, s4, s1
	s_lshl_b64 s[0:1], s[0:1], 4
	s_add_u32 s4, s2, s0
	v_lshlrev_b64 v[1:2], 4, v[1:2]
	s_addc_u32 s5, s3, s1
	v_mov_b32_e32 v3, s5
	v_add_co_u32_e64 v5, s[0:1], s4, v1
	v_addc_co_u32_e64 v22, s[0:1], v3, v2, s[0:1]
	v_cmp_le_i32_e64 s[0:1], v0, v4
	s_and_b64 s[0:1], vcc, s[0:1]
	s_and_saveexec_b64 s[2:3], s[0:1]
	s_cbranch_execz .LBB242_6
; %bb.5:
	v_ashrrev_i32_e32 v1, 31, v0
	v_lshlrev_b64 v[1:2], 4, v[0:1]
	v_add_co_u32_e64 v1, s[0:1], v5, v1
	v_addc_co_u32_e64 v2, s[0:1], v22, v2, s[0:1]
	global_load_dwordx4 v[23:26], v[1:2], off
	s_waitcnt vmcnt(0)
	v_add_f64 v[14:15], v[14:15], -v[23:24]
	v_add_f64 v[16:17], v[16:17], -v[25:26]
	global_store_dwordx4 v[1:2], v[14:17], off
.LBB242_6:
	s_or_b64 exec, exec, s[2:3]
	v_add_u32_e32 v2, 16, v0
	v_cmp_le_i32_e64 s[0:1], v2, v4
	s_and_b64 s[2:3], vcc, s[0:1]
	s_and_saveexec_b64 s[0:1], s[2:3]
	s_cbranch_execz .LBB242_8
; %bb.7:
	v_ashrrev_i32_e32 v3, 31, v2
	v_lshlrev_b64 v[14:15], 4, v[2:3]
	v_add_co_u32_e32 v23, vcc, v5, v14
	v_addc_co_u32_e32 v24, vcc, v22, v15, vcc
	global_load_dwordx4 v[14:17], v[23:24], off
	s_waitcnt vmcnt(0)
	v_add_f64 v[14:15], v[8:9], -v[14:15]
	v_add_f64 v[16:17], v[6:7], -v[16:17]
	global_store_dwordx4 v[23:24], v[14:17], off
.LBB242_8:
	s_or_b64 exec, exec, s[0:1]
	v_add_u32_e32 v3, 16, v4
	v_mad_i64_i32 v[4:5], s[0:1], v3, s9, 0
	v_mov_b32_e32 v1, s5
	v_cmp_gt_i32_e32 vcc, s10, v3
	v_lshlrev_b64 v[4:5], 4, v[4:5]
	v_add_co_u32_e64 v4, s[0:1], s4, v4
	v_addc_co_u32_e64 v5, s[0:1], v1, v5, s[0:1]
	v_cmp_le_i32_e64 s[0:1], v0, v3
	s_and_b64 s[0:1], vcc, s[0:1]
	s_and_saveexec_b64 s[2:3], s[0:1]
	s_cbranch_execz .LBB242_10
; %bb.9:
	v_ashrrev_i32_e32 v1, 31, v0
	v_lshlrev_b64 v[0:1], 4, v[0:1]
	v_add_co_u32_e64 v0, s[0:1], v4, v0
	v_addc_co_u32_e64 v1, s[0:1], v5, v1, s[0:1]
	global_load_dwordx4 v[6:9], v[0:1], off
	s_waitcnt vmcnt(0)
	v_add_f64 v[6:7], v[20:21], -v[6:7]
	v_add_f64 v[8:9], v[18:19], -v[8:9]
	global_store_dwordx4 v[0:1], v[6:9], off
.LBB242_10:
	s_or_b64 exec, exec, s[2:3]
	v_cmp_le_i32_e64 s[0:1], v2, v3
	s_and_b64 s[0:1], vcc, s[0:1]
	s_and_saveexec_b64 s[2:3], s[0:1]
	s_cbranch_execz .LBB242_12
; %bb.11:
	v_ashrrev_i32_e32 v3, 31, v2
	v_lshlrev_b64 v[0:1], 4, v[2:3]
	v_add_co_u32_e32 v4, vcc, v4, v0
	v_addc_co_u32_e32 v5, vcc, v5, v1, vcc
	global_load_dwordx4 v[0:3], v[4:5], off
	s_waitcnt vmcnt(0)
	v_add_f64 v[0:1], v[12:13], -v[0:1]
	v_add_f64 v[2:3], v[10:11], -v[2:3]
	global_store_dwordx4 v[4:5], v[0:3], off
.LBB242_12:
	s_endpgm
	.section	.rodata,"a",@progbits
	.p2align	6, 0x0
	.amdhsa_kernel _ZL37rocblas_syrkx_herkx_restricted_kernelIi19rocblas_complex_numIdELi16ELi32ELi8ELi1ELin1ELb0ELc84ELc85EKS1_S1_EviT_PT9_S3_lS5_S3_lPT10_S3_li
		.amdhsa_group_segment_fixed_size 8192
		.amdhsa_private_segment_fixed_size 0
		.amdhsa_kernarg_size 84
		.amdhsa_user_sgpr_count 6
		.amdhsa_user_sgpr_private_segment_buffer 1
		.amdhsa_user_sgpr_dispatch_ptr 0
		.amdhsa_user_sgpr_queue_ptr 0
		.amdhsa_user_sgpr_kernarg_segment_ptr 1
		.amdhsa_user_sgpr_dispatch_id 0
		.amdhsa_user_sgpr_flat_scratch_init 0
		.amdhsa_user_sgpr_private_segment_size 0
		.amdhsa_uses_dynamic_stack 0
		.amdhsa_system_sgpr_private_segment_wavefront_offset 0
		.amdhsa_system_sgpr_workgroup_id_x 1
		.amdhsa_system_sgpr_workgroup_id_y 1
		.amdhsa_system_sgpr_workgroup_id_z 1
		.amdhsa_system_sgpr_workgroup_info 0
		.amdhsa_system_vgpr_workitem_id 1
		.amdhsa_next_free_vgpr 52
		.amdhsa_next_free_sgpr 61
		.amdhsa_reserve_vcc 1
		.amdhsa_reserve_flat_scratch 0
		.amdhsa_float_round_mode_32 0
		.amdhsa_float_round_mode_16_64 0
		.amdhsa_float_denorm_mode_32 3
		.amdhsa_float_denorm_mode_16_64 3
		.amdhsa_dx10_clamp 1
		.amdhsa_ieee_mode 1
		.amdhsa_fp16_overflow 0
		.amdhsa_exception_fp_ieee_invalid_op 0
		.amdhsa_exception_fp_denorm_src 0
		.amdhsa_exception_fp_ieee_div_zero 0
		.amdhsa_exception_fp_ieee_overflow 0
		.amdhsa_exception_fp_ieee_underflow 0
		.amdhsa_exception_fp_ieee_inexact 0
		.amdhsa_exception_int_div_zero 0
	.end_amdhsa_kernel
	.section	.text._ZL37rocblas_syrkx_herkx_restricted_kernelIi19rocblas_complex_numIdELi16ELi32ELi8ELi1ELin1ELb0ELc84ELc85EKS1_S1_EviT_PT9_S3_lS5_S3_lPT10_S3_li,"axG",@progbits,_ZL37rocblas_syrkx_herkx_restricted_kernelIi19rocblas_complex_numIdELi16ELi32ELi8ELi1ELin1ELb0ELc84ELc85EKS1_S1_EviT_PT9_S3_lS5_S3_lPT10_S3_li,comdat
.Lfunc_end242:
	.size	_ZL37rocblas_syrkx_herkx_restricted_kernelIi19rocblas_complex_numIdELi16ELi32ELi8ELi1ELin1ELb0ELc84ELc85EKS1_S1_EviT_PT9_S3_lS5_S3_lPT10_S3_li, .Lfunc_end242-_ZL37rocblas_syrkx_herkx_restricted_kernelIi19rocblas_complex_numIdELi16ELi32ELi8ELi1ELin1ELb0ELc84ELc85EKS1_S1_EviT_PT9_S3_lS5_S3_lPT10_S3_li
                                        ; -- End function
	.set _ZL37rocblas_syrkx_herkx_restricted_kernelIi19rocblas_complex_numIdELi16ELi32ELi8ELi1ELin1ELb0ELc84ELc85EKS1_S1_EviT_PT9_S3_lS5_S3_lPT10_S3_li.num_vgpr, 52
	.set _ZL37rocblas_syrkx_herkx_restricted_kernelIi19rocblas_complex_numIdELi16ELi32ELi8ELi1ELin1ELb0ELc84ELc85EKS1_S1_EviT_PT9_S3_lS5_S3_lPT10_S3_li.num_agpr, 0
	.set _ZL37rocblas_syrkx_herkx_restricted_kernelIi19rocblas_complex_numIdELi16ELi32ELi8ELi1ELin1ELb0ELc84ELc85EKS1_S1_EviT_PT9_S3_lS5_S3_lPT10_S3_li.numbered_sgpr, 22
	.set _ZL37rocblas_syrkx_herkx_restricted_kernelIi19rocblas_complex_numIdELi16ELi32ELi8ELi1ELin1ELb0ELc84ELc85EKS1_S1_EviT_PT9_S3_lS5_S3_lPT10_S3_li.num_named_barrier, 0
	.set _ZL37rocblas_syrkx_herkx_restricted_kernelIi19rocblas_complex_numIdELi16ELi32ELi8ELi1ELin1ELb0ELc84ELc85EKS1_S1_EviT_PT9_S3_lS5_S3_lPT10_S3_li.private_seg_size, 0
	.set _ZL37rocblas_syrkx_herkx_restricted_kernelIi19rocblas_complex_numIdELi16ELi32ELi8ELi1ELin1ELb0ELc84ELc85EKS1_S1_EviT_PT9_S3_lS5_S3_lPT10_S3_li.uses_vcc, 1
	.set _ZL37rocblas_syrkx_herkx_restricted_kernelIi19rocblas_complex_numIdELi16ELi32ELi8ELi1ELin1ELb0ELc84ELc85EKS1_S1_EviT_PT9_S3_lS5_S3_lPT10_S3_li.uses_flat_scratch, 0
	.set _ZL37rocblas_syrkx_herkx_restricted_kernelIi19rocblas_complex_numIdELi16ELi32ELi8ELi1ELin1ELb0ELc84ELc85EKS1_S1_EviT_PT9_S3_lS5_S3_lPT10_S3_li.has_dyn_sized_stack, 0
	.set _ZL37rocblas_syrkx_herkx_restricted_kernelIi19rocblas_complex_numIdELi16ELi32ELi8ELi1ELin1ELb0ELc84ELc85EKS1_S1_EviT_PT9_S3_lS5_S3_lPT10_S3_li.has_recursion, 0
	.set _ZL37rocblas_syrkx_herkx_restricted_kernelIi19rocblas_complex_numIdELi16ELi32ELi8ELi1ELin1ELb0ELc84ELc85EKS1_S1_EviT_PT9_S3_lS5_S3_lPT10_S3_li.has_indirect_call, 0
	.section	.AMDGPU.csdata,"",@progbits
; Kernel info:
; codeLenInByte = 2884
; TotalNumSgprs: 26
; NumVgprs: 52
; ScratchSize: 0
; MemoryBound: 0
; FloatMode: 240
; IeeeMode: 1
; LDSByteSize: 8192 bytes/workgroup (compile time only)
; SGPRBlocks: 8
; VGPRBlocks: 12
; NumSGPRsForWavesPerEU: 65
; NumVGPRsForWavesPerEU: 52
; Occupancy: 4
; WaveLimiterHint : 0
; COMPUTE_PGM_RSRC2:SCRATCH_EN: 0
; COMPUTE_PGM_RSRC2:USER_SGPR: 6
; COMPUTE_PGM_RSRC2:TRAP_HANDLER: 0
; COMPUTE_PGM_RSRC2:TGID_X_EN: 1
; COMPUTE_PGM_RSRC2:TGID_Y_EN: 1
; COMPUTE_PGM_RSRC2:TGID_Z_EN: 1
; COMPUTE_PGM_RSRC2:TIDIG_COMP_CNT: 1
	.section	.text._ZL37rocblas_syrkx_herkx_restricted_kernelIi19rocblas_complex_numIdELi16ELi32ELi8ELi1ELin1ELb0ELc67ELc85EKS1_S1_EviT_PT9_S3_lS5_S3_lPT10_S3_li,"axG",@progbits,_ZL37rocblas_syrkx_herkx_restricted_kernelIi19rocblas_complex_numIdELi16ELi32ELi8ELi1ELin1ELb0ELc67ELc85EKS1_S1_EviT_PT9_S3_lS5_S3_lPT10_S3_li,comdat
	.globl	_ZL37rocblas_syrkx_herkx_restricted_kernelIi19rocblas_complex_numIdELi16ELi32ELi8ELi1ELin1ELb0ELc67ELc85EKS1_S1_EviT_PT9_S3_lS5_S3_lPT10_S3_li ; -- Begin function _ZL37rocblas_syrkx_herkx_restricted_kernelIi19rocblas_complex_numIdELi16ELi32ELi8ELi1ELin1ELb0ELc67ELc85EKS1_S1_EviT_PT9_S3_lS5_S3_lPT10_S3_li
	.p2align	8
	.type	_ZL37rocblas_syrkx_herkx_restricted_kernelIi19rocblas_complex_numIdELi16ELi32ELi8ELi1ELin1ELb0ELc67ELc85EKS1_S1_EviT_PT9_S3_lS5_S3_lPT10_S3_li,@function
_ZL37rocblas_syrkx_herkx_restricted_kernelIi19rocblas_complex_numIdELi16ELi32ELi8ELi1ELin1ELb0ELc67ELc85EKS1_S1_EviT_PT9_S3_lS5_S3_lPT10_S3_li: ; @_ZL37rocblas_syrkx_herkx_restricted_kernelIi19rocblas_complex_numIdELi16ELi32ELi8ELi1ELin1ELb0ELc67ELc85EKS1_S1_EviT_PT9_S3_lS5_S3_lPT10_S3_li
; %bb.0:
	s_load_dwordx2 s[10:11], s[4:5], 0x0
	s_load_dwordx4 s[0:3], s[4:5], 0x30
	s_lshl_b32 s6, s6, 5
	s_lshl_b32 s7, s7, 5
	s_mov_b32 s9, 0
	s_waitcnt lgkmcnt(0)
	s_cmp_lt_i32 s11, 1
	s_cbranch_scc1 .LBB243_3
; %bb.1:
	s_load_dwordx2 s[16:17], s[4:5], 0x8
	s_load_dword s20, s[4:5], 0x10
	s_load_dwordx4 s[12:15], s[4:5], 0x18
	s_load_dword s18, s[4:5], 0x28
	v_lshl_add_u32 v6, v1, 4, v0
	v_lshrrev_b32_e32 v8, 3, v6
	v_add_u32_e32 v4, s7, v8
	v_and_b32_e32 v2, 7, v0
	v_mov_b32_e32 v3, 0
	s_waitcnt lgkmcnt(0)
	v_mad_i64_i32 v[4:5], s[18:19], s18, v4, v[2:3]
	v_lshlrev_b32_e32 v2, 4, v2
	v_lshl_or_b32 v2, v8, 7, v2
	v_and_b32_e32 v9, 31, v6
	v_add_u32_e32 v23, 0x1000, v2
	v_mov_b32_e32 v2, 0x1000
	v_lshrrev_b32_e32 v6, 5, v6
	v_mov_b32_e32 v7, v3
	v_lshlrev_b32_e32 v3, 4, v9
	v_lshl_add_u32 v25, v1, 7, v2
	v_add_u32_e32 v2, s6, v9
	v_lshl_or_b32 v22, v6, 9, v3
	v_mad_i64_i32 v[2:3], s[18:19], s20, v2, v[6:7]
	s_mul_i32 s13, s13, s8
	s_mul_hi_u32 s21, s12, s8
	s_add_i32 s13, s21, s13
	s_mul_i32 s12, s12, s8
	s_lshl_b64 s[12:13], s[12:13], 4
	v_lshlrev_b64 v[2:3], 4, v[2:3]
	s_add_u32 s12, s16, s12
	s_addc_u32 s13, s17, s13
	v_add_co_u32_e32 v2, vcc, s12, v2
	s_mul_i32 s1, s1, s8
	s_mul_hi_u32 s12, s0, s8
	v_mov_b32_e32 v6, s13
	s_add_i32 s1, s12, s1
	s_mul_i32 s0, s0, s8
	v_addc_co_u32_e32 v3, vcc, v6, v3, vcc
	s_lshl_b64 s[0:1], s[0:1], 4
	v_add_co_u32_e32 v2, vcc, 8, v2
	v_lshlrev_b64 v[4:5], 4, v[4:5]
	s_add_u32 s0, s14, s0
	v_addc_co_u32_e32 v3, vcc, 0, v3, vcc
	s_addc_u32 s1, s15, s1
	v_mov_b32_e32 v6, s1
	v_add_co_u32_e32 v4, vcc, s0, v4
	v_addc_co_u32_e32 v5, vcc, v6, v5, vcc
	v_mov_b32_e32 v10, 0
	v_mov_b32_e32 v12, 0
	;; [unrolled: 1-line block ×8, first 2 shown]
	v_add_co_u32_e32 v4, vcc, 8, v4
	v_lshlrev_b32_e32 v24, 4, v0
	v_mov_b32_e32 v11, 0
	v_mov_b32_e32 v13, 0
	;; [unrolled: 1-line block ×8, first 2 shown]
	v_addc_co_u32_e32 v5, vcc, 0, v5, vcc
.LBB243_2:                              ; =>This Inner Loop Header: Depth=1
	global_load_dwordx4 v[26:29], v[2:3], off offset:-8
	v_add_co_u32_e32 v2, vcc, 0x80, v2
	v_addc_co_u32_e32 v3, vcc, 0, v3, vcc
	s_add_i32 s9, s9, 8
	s_cmp_ge_i32 s9, s11
	s_waitcnt vmcnt(0)
	ds_write_b128 v22, v[26:29]
	global_load_dwordx4 v[26:29], v[4:5], off offset:-8
	v_add_co_u32_e32 v4, vcc, 0x80, v4
	v_addc_co_u32_e32 v5, vcc, 0, v5, vcc
	s_waitcnt vmcnt(0)
	ds_write_b128 v23, v[26:29]
	s_waitcnt lgkmcnt(0)
	s_barrier
	ds_read_b128 v[26:29], v25
	ds_read_b128 v[30:33], v25 offset:16
	ds_read_b128 v[34:37], v25 offset:32
	;; [unrolled: 1-line block ×3, first 2 shown]
	ds_read_b128 v[42:45], v24
	s_waitcnt lgkmcnt(0)
	v_mul_f64 v[46:47], v[28:29], v[44:45]
	v_mul_f64 v[48:49], v[26:27], v[44:45]
	v_fma_f64 v[46:47], v[26:27], v[42:43], -v[46:47]
	v_fma_f64 v[48:49], v[28:29], v[42:43], v[48:49]
	v_add_f64 v[46:47], v[14:15], v[46:47]
	v_add_f64 v[48:49], v[48:49], v[16:17]
	ds_read_b128 v[14:17], v24 offset:256
	s_waitcnt lgkmcnt(0)
	v_mul_f64 v[50:51], v[28:29], v[16:17]
	v_fma_f64 v[50:51], v[26:27], v[14:15], -v[50:51]
	v_mul_f64 v[26:27], v[26:27], v[16:17]
	v_fma_f64 v[26:27], v[28:29], v[14:15], v[26:27]
	v_add_f64 v[28:29], v[8:9], v[50:51]
	v_add_f64 v[26:27], v[26:27], v[6:7]
	ds_read_b128 v[6:9], v25 offset:2048
	s_waitcnt lgkmcnt(0)
	v_mul_f64 v[50:51], v[8:9], v[44:45]
	v_mul_f64 v[44:45], v[6:7], v[44:45]
	v_fma_f64 v[50:51], v[6:7], v[42:43], -v[50:51]
	v_fma_f64 v[42:43], v[8:9], v[42:43], v[44:45]
	v_add_f64 v[20:21], v[20:21], v[50:51]
	v_add_f64 v[18:19], v[42:43], v[18:19]
	v_mul_f64 v[42:43], v[8:9], v[16:17]
	v_fma_f64 v[42:43], v[6:7], v[14:15], -v[42:43]
	v_mul_f64 v[6:7], v[6:7], v[16:17]
	v_add_f64 v[42:43], v[12:13], v[42:43]
	v_fma_f64 v[6:7], v[8:9], v[14:15], v[6:7]
	v_add_f64 v[44:45], v[6:7], v[10:11]
	ds_read_b128 v[6:9], v24 offset:512
	s_waitcnt lgkmcnt(0)
	v_mul_f64 v[10:11], v[32:33], v[8:9]
	v_mul_f64 v[12:13], v[30:31], v[8:9]
	v_fma_f64 v[10:11], v[30:31], v[6:7], -v[10:11]
	v_fma_f64 v[12:13], v[32:33], v[6:7], v[12:13]
	v_add_f64 v[46:47], v[46:47], v[10:11]
	v_add_f64 v[48:49], v[12:13], v[48:49]
	ds_read_b128 v[10:13], v24 offset:768
	s_waitcnt lgkmcnt(0)
	v_mul_f64 v[14:15], v[32:33], v[12:13]
	v_mul_f64 v[16:17], v[30:31], v[12:13]
	v_fma_f64 v[14:15], v[30:31], v[10:11], -v[14:15]
	v_fma_f64 v[16:17], v[32:33], v[10:11], v[16:17]
	v_add_f64 v[28:29], v[28:29], v[14:15]
	v_add_f64 v[26:27], v[16:17], v[26:27]
	ds_read_b128 v[14:17], v25 offset:2064
	s_waitcnt lgkmcnt(0)
	v_mul_f64 v[30:31], v[16:17], v[8:9]
	v_mul_f64 v[8:9], v[14:15], v[8:9]
	v_fma_f64 v[30:31], v[14:15], v[6:7], -v[30:31]
	v_fma_f64 v[6:7], v[16:17], v[6:7], v[8:9]
	v_mul_f64 v[8:9], v[14:15], v[12:13]
	v_add_f64 v[20:21], v[20:21], v[30:31]
	v_add_f64 v[18:19], v[6:7], v[18:19]
	v_mul_f64 v[6:7], v[16:17], v[12:13]
	v_fma_f64 v[8:9], v[16:17], v[10:11], v[8:9]
	v_fma_f64 v[6:7], v[14:15], v[10:11], -v[6:7]
	v_add_f64 v[32:33], v[8:9], v[44:45]
	v_add_f64 v[30:31], v[42:43], v[6:7]
	ds_read_b128 v[6:9], v24 offset:1024
	s_waitcnt lgkmcnt(0)
	v_mul_f64 v[10:11], v[36:37], v[8:9]
	v_mul_f64 v[12:13], v[34:35], v[8:9]
	v_fma_f64 v[10:11], v[34:35], v[6:7], -v[10:11]
	v_fma_f64 v[12:13], v[36:37], v[6:7], v[12:13]
	v_add_f64 v[42:43], v[46:47], v[10:11]
	v_add_f64 v[44:45], v[12:13], v[48:49]
	ds_read_b128 v[10:13], v24 offset:1280
	s_waitcnt lgkmcnt(0)
	v_mul_f64 v[14:15], v[36:37], v[12:13]
	v_mul_f64 v[16:17], v[34:35], v[12:13]
	v_fma_f64 v[14:15], v[34:35], v[10:11], -v[14:15]
	v_fma_f64 v[16:17], v[36:37], v[10:11], v[16:17]
	v_add_f64 v[28:29], v[28:29], v[14:15]
	v_add_f64 v[26:27], v[16:17], v[26:27]
	ds_read_b128 v[14:17], v25 offset:2080
	s_waitcnt lgkmcnt(0)
	v_mul_f64 v[34:35], v[16:17], v[8:9]
	v_mul_f64 v[8:9], v[14:15], v[8:9]
	v_fma_f64 v[34:35], v[14:15], v[6:7], -v[34:35]
	v_fma_f64 v[6:7], v[16:17], v[6:7], v[8:9]
	v_mul_f64 v[8:9], v[14:15], v[12:13]
	v_add_f64 v[20:21], v[20:21], v[34:35]
	v_add_f64 v[18:19], v[6:7], v[18:19]
	v_mul_f64 v[6:7], v[16:17], v[12:13]
	v_fma_f64 v[8:9], v[16:17], v[10:11], v[8:9]
	v_fma_f64 v[6:7], v[14:15], v[10:11], -v[6:7]
	v_add_f64 v[32:33], v[8:9], v[32:33]
	;; [unrolled: 30-line block ×3, first 2 shown]
	v_add_f64 v[30:31], v[30:31], v[6:7]
	ds_read_b128 v[6:9], v25 offset:64
	ds_read_b128 v[10:13], v24 offset:2048
	s_waitcnt lgkmcnt(0)
	v_mul_f64 v[14:15], v[8:9], v[12:13]
	v_mul_f64 v[16:17], v[6:7], v[12:13]
	v_fma_f64 v[14:15], v[6:7], v[10:11], -v[14:15]
	v_fma_f64 v[16:17], v[8:9], v[10:11], v[16:17]
	v_add_f64 v[34:35], v[34:35], v[14:15]
	v_add_f64 v[36:37], v[16:17], v[36:37]
	ds_read_b128 v[14:17], v24 offset:2304
	s_waitcnt lgkmcnt(0)
	v_mul_f64 v[38:39], v[8:9], v[16:17]
	v_fma_f64 v[38:39], v[6:7], v[14:15], -v[38:39]
	v_mul_f64 v[6:7], v[6:7], v[16:17]
	v_add_f64 v[28:29], v[28:29], v[38:39]
	v_fma_f64 v[6:7], v[8:9], v[14:15], v[6:7]
	v_add_f64 v[26:27], v[6:7], v[26:27]
	ds_read_b128 v[6:9], v25 offset:2112
	s_waitcnt lgkmcnt(0)
	v_mul_f64 v[38:39], v[8:9], v[12:13]
	v_mul_f64 v[12:13], v[6:7], v[12:13]
	v_fma_f64 v[38:39], v[6:7], v[10:11], -v[38:39]
	v_fma_f64 v[10:11], v[8:9], v[10:11], v[12:13]
	v_add_f64 v[20:21], v[20:21], v[38:39]
	v_add_f64 v[18:19], v[10:11], v[18:19]
	v_mul_f64 v[10:11], v[8:9], v[16:17]
	v_fma_f64 v[10:11], v[6:7], v[14:15], -v[10:11]
	v_mul_f64 v[6:7], v[6:7], v[16:17]
	v_add_f64 v[30:31], v[30:31], v[10:11]
	v_fma_f64 v[6:7], v[8:9], v[14:15], v[6:7]
	v_add_f64 v[32:33], v[6:7], v[32:33]
	ds_read_b128 v[6:9], v25 offset:80
	ds_read_b128 v[10:13], v24 offset:2560
	s_waitcnt lgkmcnt(0)
	v_mul_f64 v[14:15], v[8:9], v[12:13]
	v_mul_f64 v[16:17], v[6:7], v[12:13]
	v_fma_f64 v[14:15], v[6:7], v[10:11], -v[14:15]
	v_fma_f64 v[16:17], v[8:9], v[10:11], v[16:17]
	v_add_f64 v[34:35], v[34:35], v[14:15]
	v_add_f64 v[36:37], v[16:17], v[36:37]
	ds_read_b128 v[14:17], v24 offset:2816
	s_waitcnt lgkmcnt(0)
	v_mul_f64 v[38:39], v[8:9], v[16:17]
	v_fma_f64 v[38:39], v[6:7], v[14:15], -v[38:39]
	v_mul_f64 v[6:7], v[6:7], v[16:17]
	v_add_f64 v[28:29], v[28:29], v[38:39]
	v_fma_f64 v[6:7], v[8:9], v[14:15], v[6:7]
	v_add_f64 v[26:27], v[6:7], v[26:27]
	ds_read_b128 v[6:9], v25 offset:2128
	s_waitcnt lgkmcnt(0)
	v_mul_f64 v[38:39], v[8:9], v[12:13]
	v_mul_f64 v[12:13], v[6:7], v[12:13]
	v_fma_f64 v[38:39], v[6:7], v[10:11], -v[38:39]
	v_fma_f64 v[10:11], v[8:9], v[10:11], v[12:13]
	v_add_f64 v[20:21], v[20:21], v[38:39]
	v_add_f64 v[18:19], v[10:11], v[18:19]
	v_mul_f64 v[10:11], v[8:9], v[16:17]
	v_fma_f64 v[10:11], v[6:7], v[14:15], -v[10:11]
	v_mul_f64 v[6:7], v[6:7], v[16:17]
	v_add_f64 v[30:31], v[30:31], v[10:11]
	v_fma_f64 v[6:7], v[8:9], v[14:15], v[6:7]
	;; [unrolled: 31-line block ×3, first 2 shown]
	v_add_f64 v[44:45], v[6:7], v[32:33]
	ds_read_b128 v[6:9], v25 offset:112
	ds_read_b128 v[10:13], v24 offset:3584
	;; [unrolled: 1-line block ×3, first 2 shown]
	s_waitcnt lgkmcnt(1)
	v_mul_f64 v[14:15], v[8:9], v[12:13]
	s_waitcnt lgkmcnt(0)
	v_mul_f64 v[30:31], v[8:9], v[28:29]
	v_mul_f64 v[16:17], v[6:7], v[12:13]
	v_fma_f64 v[14:15], v[6:7], v[10:11], -v[14:15]
	v_fma_f64 v[30:31], v[6:7], v[26:27], -v[30:31]
	v_mul_f64 v[6:7], v[6:7], v[28:29]
	v_fma_f64 v[16:17], v[8:9], v[10:11], v[16:17]
	v_add_f64 v[14:15], v[34:35], v[14:15]
	v_fma_f64 v[6:7], v[8:9], v[26:27], v[6:7]
	v_add_f64 v[8:9], v[38:39], v[30:31]
	ds_read_b128 v[30:33], v25 offset:2160
	v_add_f64 v[16:17], v[16:17], v[36:37]
	s_waitcnt lgkmcnt(0)
	s_barrier
	v_mul_f64 v[34:35], v[32:33], v[12:13]
	v_mul_f64 v[12:13], v[30:31], v[12:13]
	v_add_f64 v[6:7], v[6:7], v[40:41]
	v_fma_f64 v[34:35], v[30:31], v[10:11], -v[34:35]
	v_fma_f64 v[10:11], v[32:33], v[10:11], v[12:13]
	v_mul_f64 v[12:13], v[30:31], v[28:29]
	v_add_f64 v[20:21], v[20:21], v[34:35]
	v_add_f64 v[18:19], v[10:11], v[18:19]
	v_mul_f64 v[10:11], v[32:33], v[28:29]
	v_fma_f64 v[10:11], v[30:31], v[26:27], -v[10:11]
	v_fma_f64 v[26:27], v[32:33], v[26:27], v[12:13]
	v_add_f64 v[12:13], v[42:43], v[10:11]
	v_add_f64 v[10:11], v[26:27], v[44:45]
	s_cbranch_scc0 .LBB243_2
	s_branch .LBB243_4
.LBB243_3:
	v_mov_b32_e32 v14, 0
	v_mov_b32_e32 v16, 0
	;; [unrolled: 1-line block ×16, first 2 shown]
.LBB243_4:
	s_load_dwordx2 s[0:1], s[4:5], 0x48
	s_load_dword s9, s[4:5], 0x40
	v_add_u32_e32 v4, s7, v1
	v_add_u32_e32 v0, s6, v0
	v_cmp_gt_i32_e32 vcc, s10, v4
	s_waitcnt lgkmcnt(0)
	s_mul_i32 s1, s1, s8
	v_mad_i64_i32 v[1:2], s[12:13], v4, s9, 0
	s_mul_hi_u32 s4, s0, s8
	s_mul_i32 s0, s0, s8
	s_add_i32 s1, s4, s1
	s_lshl_b64 s[0:1], s[0:1], 4
	s_add_u32 s4, s2, s0
	v_lshlrev_b64 v[1:2], 4, v[1:2]
	s_addc_u32 s5, s3, s1
	v_mov_b32_e32 v3, s5
	v_add_co_u32_e64 v5, s[0:1], s4, v1
	v_addc_co_u32_e64 v22, s[0:1], v3, v2, s[0:1]
	v_cmp_le_i32_e64 s[0:1], v0, v4
	s_and_b64 s[0:1], vcc, s[0:1]
	s_and_saveexec_b64 s[2:3], s[0:1]
	s_cbranch_execz .LBB243_6
; %bb.5:
	v_ashrrev_i32_e32 v1, 31, v0
	v_lshlrev_b64 v[1:2], 4, v[0:1]
	v_add_co_u32_e64 v1, s[0:1], v5, v1
	v_addc_co_u32_e64 v2, s[0:1], v22, v2, s[0:1]
	global_load_dwordx4 v[23:26], v[1:2], off
	s_waitcnt vmcnt(0)
	v_add_f64 v[14:15], v[14:15], -v[23:24]
	v_add_f64 v[16:17], v[16:17], -v[25:26]
	global_store_dwordx4 v[1:2], v[14:17], off
.LBB243_6:
	s_or_b64 exec, exec, s[2:3]
	v_add_u32_e32 v2, 16, v0
	v_cmp_le_i32_e64 s[0:1], v2, v4
	s_and_b64 s[2:3], vcc, s[0:1]
	s_and_saveexec_b64 s[0:1], s[2:3]
	s_cbranch_execz .LBB243_8
; %bb.7:
	v_ashrrev_i32_e32 v3, 31, v2
	v_lshlrev_b64 v[14:15], 4, v[2:3]
	v_add_co_u32_e32 v23, vcc, v5, v14
	v_addc_co_u32_e32 v24, vcc, v22, v15, vcc
	global_load_dwordx4 v[14:17], v[23:24], off
	s_waitcnt vmcnt(0)
	v_add_f64 v[14:15], v[8:9], -v[14:15]
	v_add_f64 v[16:17], v[6:7], -v[16:17]
	global_store_dwordx4 v[23:24], v[14:17], off
.LBB243_8:
	s_or_b64 exec, exec, s[0:1]
	v_add_u32_e32 v3, 16, v4
	v_mad_i64_i32 v[4:5], s[0:1], v3, s9, 0
	v_mov_b32_e32 v1, s5
	v_cmp_gt_i32_e32 vcc, s10, v3
	v_lshlrev_b64 v[4:5], 4, v[4:5]
	v_add_co_u32_e64 v4, s[0:1], s4, v4
	v_addc_co_u32_e64 v5, s[0:1], v1, v5, s[0:1]
	v_cmp_le_i32_e64 s[0:1], v0, v3
	s_and_b64 s[0:1], vcc, s[0:1]
	s_and_saveexec_b64 s[2:3], s[0:1]
	s_cbranch_execz .LBB243_10
; %bb.9:
	v_ashrrev_i32_e32 v1, 31, v0
	v_lshlrev_b64 v[0:1], 4, v[0:1]
	v_add_co_u32_e64 v0, s[0:1], v4, v0
	v_addc_co_u32_e64 v1, s[0:1], v5, v1, s[0:1]
	global_load_dwordx4 v[6:9], v[0:1], off
	s_waitcnt vmcnt(0)
	v_add_f64 v[6:7], v[20:21], -v[6:7]
	v_add_f64 v[8:9], v[18:19], -v[8:9]
	global_store_dwordx4 v[0:1], v[6:9], off
.LBB243_10:
	s_or_b64 exec, exec, s[2:3]
	v_cmp_le_i32_e64 s[0:1], v2, v3
	s_and_b64 s[0:1], vcc, s[0:1]
	s_and_saveexec_b64 s[2:3], s[0:1]
	s_cbranch_execz .LBB243_12
; %bb.11:
	v_ashrrev_i32_e32 v3, 31, v2
	v_lshlrev_b64 v[0:1], 4, v[2:3]
	v_add_co_u32_e32 v4, vcc, v4, v0
	v_addc_co_u32_e32 v5, vcc, v5, v1, vcc
	global_load_dwordx4 v[0:3], v[4:5], off
	s_waitcnt vmcnt(0)
	v_add_f64 v[0:1], v[12:13], -v[0:1]
	v_add_f64 v[2:3], v[10:11], -v[2:3]
	global_store_dwordx4 v[4:5], v[0:3], off
.LBB243_12:
	s_endpgm
	.section	.rodata,"a",@progbits
	.p2align	6, 0x0
	.amdhsa_kernel _ZL37rocblas_syrkx_herkx_restricted_kernelIi19rocblas_complex_numIdELi16ELi32ELi8ELi1ELin1ELb0ELc67ELc85EKS1_S1_EviT_PT9_S3_lS5_S3_lPT10_S3_li
		.amdhsa_group_segment_fixed_size 8192
		.amdhsa_private_segment_fixed_size 0
		.amdhsa_kernarg_size 84
		.amdhsa_user_sgpr_count 6
		.amdhsa_user_sgpr_private_segment_buffer 1
		.amdhsa_user_sgpr_dispatch_ptr 0
		.amdhsa_user_sgpr_queue_ptr 0
		.amdhsa_user_sgpr_kernarg_segment_ptr 1
		.amdhsa_user_sgpr_dispatch_id 0
		.amdhsa_user_sgpr_flat_scratch_init 0
		.amdhsa_user_sgpr_private_segment_size 0
		.amdhsa_uses_dynamic_stack 0
		.amdhsa_system_sgpr_private_segment_wavefront_offset 0
		.amdhsa_system_sgpr_workgroup_id_x 1
		.amdhsa_system_sgpr_workgroup_id_y 1
		.amdhsa_system_sgpr_workgroup_id_z 1
		.amdhsa_system_sgpr_workgroup_info 0
		.amdhsa_system_vgpr_workitem_id 1
		.amdhsa_next_free_vgpr 52
		.amdhsa_next_free_sgpr 61
		.amdhsa_reserve_vcc 1
		.amdhsa_reserve_flat_scratch 0
		.amdhsa_float_round_mode_32 0
		.amdhsa_float_round_mode_16_64 0
		.amdhsa_float_denorm_mode_32 3
		.amdhsa_float_denorm_mode_16_64 3
		.amdhsa_dx10_clamp 1
		.amdhsa_ieee_mode 1
		.amdhsa_fp16_overflow 0
		.amdhsa_exception_fp_ieee_invalid_op 0
		.amdhsa_exception_fp_denorm_src 0
		.amdhsa_exception_fp_ieee_div_zero 0
		.amdhsa_exception_fp_ieee_overflow 0
		.amdhsa_exception_fp_ieee_underflow 0
		.amdhsa_exception_fp_ieee_inexact 0
		.amdhsa_exception_int_div_zero 0
	.end_amdhsa_kernel
	.section	.text._ZL37rocblas_syrkx_herkx_restricted_kernelIi19rocblas_complex_numIdELi16ELi32ELi8ELi1ELin1ELb0ELc67ELc85EKS1_S1_EviT_PT9_S3_lS5_S3_lPT10_S3_li,"axG",@progbits,_ZL37rocblas_syrkx_herkx_restricted_kernelIi19rocblas_complex_numIdELi16ELi32ELi8ELi1ELin1ELb0ELc67ELc85EKS1_S1_EviT_PT9_S3_lS5_S3_lPT10_S3_li,comdat
.Lfunc_end243:
	.size	_ZL37rocblas_syrkx_herkx_restricted_kernelIi19rocblas_complex_numIdELi16ELi32ELi8ELi1ELin1ELb0ELc67ELc85EKS1_S1_EviT_PT9_S3_lS5_S3_lPT10_S3_li, .Lfunc_end243-_ZL37rocblas_syrkx_herkx_restricted_kernelIi19rocblas_complex_numIdELi16ELi32ELi8ELi1ELin1ELb0ELc67ELc85EKS1_S1_EviT_PT9_S3_lS5_S3_lPT10_S3_li
                                        ; -- End function
	.set _ZL37rocblas_syrkx_herkx_restricted_kernelIi19rocblas_complex_numIdELi16ELi32ELi8ELi1ELin1ELb0ELc67ELc85EKS1_S1_EviT_PT9_S3_lS5_S3_lPT10_S3_li.num_vgpr, 52
	.set _ZL37rocblas_syrkx_herkx_restricted_kernelIi19rocblas_complex_numIdELi16ELi32ELi8ELi1ELin1ELb0ELc67ELc85EKS1_S1_EviT_PT9_S3_lS5_S3_lPT10_S3_li.num_agpr, 0
	.set _ZL37rocblas_syrkx_herkx_restricted_kernelIi19rocblas_complex_numIdELi16ELi32ELi8ELi1ELin1ELb0ELc67ELc85EKS1_S1_EviT_PT9_S3_lS5_S3_lPT10_S3_li.numbered_sgpr, 22
	.set _ZL37rocblas_syrkx_herkx_restricted_kernelIi19rocblas_complex_numIdELi16ELi32ELi8ELi1ELin1ELb0ELc67ELc85EKS1_S1_EviT_PT9_S3_lS5_S3_lPT10_S3_li.num_named_barrier, 0
	.set _ZL37rocblas_syrkx_herkx_restricted_kernelIi19rocblas_complex_numIdELi16ELi32ELi8ELi1ELin1ELb0ELc67ELc85EKS1_S1_EviT_PT9_S3_lS5_S3_lPT10_S3_li.private_seg_size, 0
	.set _ZL37rocblas_syrkx_herkx_restricted_kernelIi19rocblas_complex_numIdELi16ELi32ELi8ELi1ELin1ELb0ELc67ELc85EKS1_S1_EviT_PT9_S3_lS5_S3_lPT10_S3_li.uses_vcc, 1
	.set _ZL37rocblas_syrkx_herkx_restricted_kernelIi19rocblas_complex_numIdELi16ELi32ELi8ELi1ELin1ELb0ELc67ELc85EKS1_S1_EviT_PT9_S3_lS5_S3_lPT10_S3_li.uses_flat_scratch, 0
	.set _ZL37rocblas_syrkx_herkx_restricted_kernelIi19rocblas_complex_numIdELi16ELi32ELi8ELi1ELin1ELb0ELc67ELc85EKS1_S1_EviT_PT9_S3_lS5_S3_lPT10_S3_li.has_dyn_sized_stack, 0
	.set _ZL37rocblas_syrkx_herkx_restricted_kernelIi19rocblas_complex_numIdELi16ELi32ELi8ELi1ELin1ELb0ELc67ELc85EKS1_S1_EviT_PT9_S3_lS5_S3_lPT10_S3_li.has_recursion, 0
	.set _ZL37rocblas_syrkx_herkx_restricted_kernelIi19rocblas_complex_numIdELi16ELi32ELi8ELi1ELin1ELb0ELc67ELc85EKS1_S1_EviT_PT9_S3_lS5_S3_lPT10_S3_li.has_indirect_call, 0
	.section	.AMDGPU.csdata,"",@progbits
; Kernel info:
; codeLenInByte = 2884
; TotalNumSgprs: 26
; NumVgprs: 52
; ScratchSize: 0
; MemoryBound: 0
; FloatMode: 240
; IeeeMode: 1
; LDSByteSize: 8192 bytes/workgroup (compile time only)
; SGPRBlocks: 8
; VGPRBlocks: 12
; NumSGPRsForWavesPerEU: 65
; NumVGPRsForWavesPerEU: 52
; Occupancy: 4
; WaveLimiterHint : 0
; COMPUTE_PGM_RSRC2:SCRATCH_EN: 0
; COMPUTE_PGM_RSRC2:USER_SGPR: 6
; COMPUTE_PGM_RSRC2:TRAP_HANDLER: 0
; COMPUTE_PGM_RSRC2:TGID_X_EN: 1
; COMPUTE_PGM_RSRC2:TGID_Y_EN: 1
; COMPUTE_PGM_RSRC2:TGID_Z_EN: 1
; COMPUTE_PGM_RSRC2:TIDIG_COMP_CNT: 1
	.section	.text._ZL37rocblas_syrkx_herkx_restricted_kernelIi19rocblas_complex_numIdELi16ELi32ELi8ELi1ELin1ELb0ELc78ELc85EKS1_S1_EviT_PT9_S3_lS5_S3_lPT10_S3_li,"axG",@progbits,_ZL37rocblas_syrkx_herkx_restricted_kernelIi19rocblas_complex_numIdELi16ELi32ELi8ELi1ELin1ELb0ELc78ELc85EKS1_S1_EviT_PT9_S3_lS5_S3_lPT10_S3_li,comdat
	.globl	_ZL37rocblas_syrkx_herkx_restricted_kernelIi19rocblas_complex_numIdELi16ELi32ELi8ELi1ELin1ELb0ELc78ELc85EKS1_S1_EviT_PT9_S3_lS5_S3_lPT10_S3_li ; -- Begin function _ZL37rocblas_syrkx_herkx_restricted_kernelIi19rocblas_complex_numIdELi16ELi32ELi8ELi1ELin1ELb0ELc78ELc85EKS1_S1_EviT_PT9_S3_lS5_S3_lPT10_S3_li
	.p2align	8
	.type	_ZL37rocblas_syrkx_herkx_restricted_kernelIi19rocblas_complex_numIdELi16ELi32ELi8ELi1ELin1ELb0ELc78ELc85EKS1_S1_EviT_PT9_S3_lS5_S3_lPT10_S3_li,@function
_ZL37rocblas_syrkx_herkx_restricted_kernelIi19rocblas_complex_numIdELi16ELi32ELi8ELi1ELin1ELb0ELc78ELc85EKS1_S1_EviT_PT9_S3_lS5_S3_lPT10_S3_li: ; @_ZL37rocblas_syrkx_herkx_restricted_kernelIi19rocblas_complex_numIdELi16ELi32ELi8ELi1ELin1ELb0ELc78ELc85EKS1_S1_EviT_PT9_S3_lS5_S3_lPT10_S3_li
; %bb.0:
	s_load_dwordx2 s[10:11], s[4:5], 0x0
	s_load_dwordx4 s[0:3], s[4:5], 0x30
	s_lshl_b32 s9, s6, 5
	s_lshl_b32 s16, s7, 5
	s_mov_b32 s17, 0
	s_waitcnt lgkmcnt(0)
	s_cmp_lt_i32 s11, 1
	s_cbranch_scc1 .LBB244_3
; %bb.1:
	v_lshl_add_u32 v7, v1, 4, v0
	s_load_dword s6, s[4:5], 0x10
	s_load_dword s18, s[4:5], 0x28
	s_load_dwordx2 s[20:21], s[4:5], 0x8
	s_load_dwordx4 s[12:15], s[4:5], 0x18
	v_lshrrev_b32_e32 v8, 3, v7
	v_add_u32_e32 v2, s16, v8
	v_and_b32_e32 v6, 7, v0
	v_ashrrev_i32_e32 v3, 31, v2
	s_waitcnt lgkmcnt(0)
	v_mad_i64_i32 v[4:5], s[22:23], s18, v6, v[2:3]
	v_and_b32_e32 v2, 31, v7
	v_lshrrev_b32_e32 v9, 5, v7
	v_lshlrev_b32_e32 v3, 4, v2
	v_lshl_or_b32 v22, v9, 9, v3
	v_lshlrev_b32_e32 v3, 4, v6
	v_lshl_or_b32 v3, v8, 7, v3
	v_add_u32_e32 v23, 0x1000, v3
	v_mov_b32_e32 v3, 0x1000
	v_add_u32_e32 v2, s9, v2
	v_lshl_add_u32 v25, v1, 7, v3
	v_ashrrev_i32_e32 v3, 31, v2
	v_mad_i64_i32 v[2:3], s[22:23], s6, v9, v[2:3]
	s_mul_i32 s13, s13, s8
	s_mul_hi_u32 s24, s12, s8
	s_add_i32 s13, s24, s13
	s_mul_i32 s12, s12, s8
	s_ashr_i32 s7, s6, 31
	s_ashr_i32 s19, s18, 31
	s_lshl_b64 s[12:13], s[12:13], 4
	v_lshlrev_b64 v[2:3], 4, v[2:3]
	s_add_u32 s12, s20, s12
	s_addc_u32 s13, s21, s13
	v_add_co_u32_e32 v2, vcc, s12, v2
	s_mul_i32 s1, s1, s8
	s_mul_hi_u32 s12, s0, s8
	v_mov_b32_e32 v6, s13
	s_add_i32 s1, s12, s1
	s_mul_i32 s0, s0, s8
	v_addc_co_u32_e32 v3, vcc, v6, v3, vcc
	s_lshl_b64 s[6:7], s[6:7], 7
	s_lshl_b64 s[0:1], s[0:1], 4
	v_add_co_u32_e32 v2, vcc, 8, v2
	v_lshlrev_b64 v[4:5], 4, v[4:5]
	s_add_u32 s0, s14, s0
	v_addc_co_u32_e32 v3, vcc, 0, v3, vcc
	s_addc_u32 s1, s15, s1
	v_mov_b32_e32 v6, s1
	v_add_co_u32_e32 v4, vcc, s0, v4
	v_addc_co_u32_e32 v5, vcc, v6, v5, vcc
	v_add_co_u32_e32 v4, vcc, 8, v4
	s_lshl_b64 s[0:1], s[18:19], 7
	v_mov_b32_e32 v10, 0
	v_mov_b32_e32 v12, 0
	;; [unrolled: 1-line block ×8, first 2 shown]
	v_lshlrev_b32_e32 v24, 4, v0
	v_addc_co_u32_e32 v5, vcc, 0, v5, vcc
	v_mov_b32_e32 v11, 0
	v_mov_b32_e32 v26, s7
	;; [unrolled: 1-line block ×10, first 2 shown]
.LBB244_2:                              ; =>This Inner Loop Header: Depth=1
	global_load_dwordx4 v[28:31], v[2:3], off offset:-8
	v_add_co_u32_e32 v2, vcc, s6, v2
	v_addc_co_u32_e32 v3, vcc, v3, v26, vcc
	s_add_i32 s17, s17, 8
	s_cmp_ge_i32 s17, s11
	s_waitcnt vmcnt(0)
	ds_write_b128 v22, v[28:31]
	global_load_dwordx4 v[28:31], v[4:5], off offset:-8
	v_add_co_u32_e32 v4, vcc, s0, v4
	v_addc_co_u32_e32 v5, vcc, v5, v27, vcc
	s_waitcnt vmcnt(0)
	ds_write_b128 v23, v[28:31]
	s_waitcnt lgkmcnt(0)
	s_barrier
	ds_read_b128 v[28:31], v25
	ds_read_b128 v[32:35], v25 offset:16
	ds_read_b128 v[36:39], v25 offset:32
	;; [unrolled: 1-line block ×3, first 2 shown]
	ds_read_b128 v[44:47], v24
	s_waitcnt lgkmcnt(0)
	v_mul_f64 v[48:49], v[30:31], v[46:47]
	v_mul_f64 v[50:51], v[28:29], v[46:47]
	v_fma_f64 v[48:49], v[28:29], v[44:45], -v[48:49]
	v_fma_f64 v[50:51], v[30:31], v[44:45], v[50:51]
	v_add_f64 v[48:49], v[18:19], v[48:49]
	v_add_f64 v[50:51], v[50:51], v[20:21]
	ds_read_b128 v[18:21], v24 offset:256
	s_waitcnt lgkmcnt(0)
	v_mul_f64 v[52:53], v[30:31], v[20:21]
	v_fma_f64 v[52:53], v[28:29], v[18:19], -v[52:53]
	v_mul_f64 v[28:29], v[28:29], v[20:21]
	v_fma_f64 v[28:29], v[30:31], v[18:19], v[28:29]
	v_add_f64 v[30:31], v[8:9], v[52:53]
	v_add_f64 v[28:29], v[28:29], v[6:7]
	ds_read_b128 v[6:9], v25 offset:2048
	s_waitcnt lgkmcnt(0)
	v_mul_f64 v[52:53], v[8:9], v[46:47]
	v_mul_f64 v[46:47], v[6:7], v[46:47]
	v_fma_f64 v[52:53], v[6:7], v[44:45], -v[52:53]
	v_fma_f64 v[44:45], v[8:9], v[44:45], v[46:47]
	v_add_f64 v[46:47], v[16:17], v[52:53]
	v_add_f64 v[44:45], v[44:45], v[14:15]
	v_mul_f64 v[14:15], v[8:9], v[20:21]
	v_fma_f64 v[14:15], v[6:7], v[18:19], -v[14:15]
	v_mul_f64 v[6:7], v[6:7], v[20:21]
	v_fma_f64 v[6:7], v[8:9], v[18:19], v[6:7]
	v_add_f64 v[18:19], v[12:13], v[14:15]
	v_add_f64 v[20:21], v[6:7], v[10:11]
	ds_read_b128 v[6:9], v24 offset:512
	s_waitcnt lgkmcnt(0)
	v_mul_f64 v[10:11], v[34:35], v[8:9]
	v_mul_f64 v[12:13], v[32:33], v[8:9]
	v_fma_f64 v[10:11], v[32:33], v[6:7], -v[10:11]
	v_fma_f64 v[12:13], v[34:35], v[6:7], v[12:13]
	v_add_f64 v[48:49], v[48:49], v[10:11]
	v_add_f64 v[50:51], v[12:13], v[50:51]
	ds_read_b128 v[10:13], v24 offset:768
	s_waitcnt lgkmcnt(0)
	v_mul_f64 v[14:15], v[34:35], v[12:13]
	v_mul_f64 v[16:17], v[32:33], v[12:13]
	v_fma_f64 v[14:15], v[32:33], v[10:11], -v[14:15]
	;; [unrolled: 8-line block ×3, first 2 shown]
	v_fma_f64 v[6:7], v[16:17], v[6:7], v[8:9]
	v_mul_f64 v[8:9], v[14:15], v[12:13]
	v_add_f64 v[32:33], v[46:47], v[32:33]
	v_add_f64 v[34:35], v[6:7], v[44:45]
	v_mul_f64 v[6:7], v[16:17], v[12:13]
	v_fma_f64 v[8:9], v[16:17], v[10:11], v[8:9]
	v_fma_f64 v[6:7], v[14:15], v[10:11], -v[6:7]
	v_add_f64 v[20:21], v[8:9], v[20:21]
	v_add_f64 v[18:19], v[18:19], v[6:7]
	ds_read_b128 v[6:9], v24 offset:1024
	s_waitcnt lgkmcnt(0)
	v_mul_f64 v[10:11], v[38:39], v[8:9]
	v_mul_f64 v[12:13], v[36:37], v[8:9]
	v_fma_f64 v[10:11], v[36:37], v[6:7], -v[10:11]
	v_fma_f64 v[12:13], v[38:39], v[6:7], v[12:13]
	v_add_f64 v[44:45], v[48:49], v[10:11]
	v_add_f64 v[46:47], v[12:13], v[50:51]
	ds_read_b128 v[10:13], v24 offset:1280
	s_waitcnt lgkmcnt(0)
	v_mul_f64 v[14:15], v[38:39], v[12:13]
	v_mul_f64 v[16:17], v[36:37], v[12:13]
	v_fma_f64 v[14:15], v[36:37], v[10:11], -v[14:15]
	v_fma_f64 v[16:17], v[38:39], v[10:11], v[16:17]
	;; [unrolled: 8-line block ×3, first 2 shown]
	v_mul_f64 v[8:9], v[14:15], v[12:13]
	v_add_f64 v[32:33], v[32:33], v[36:37]
	v_add_f64 v[34:35], v[6:7], v[34:35]
	v_mul_f64 v[6:7], v[16:17], v[12:13]
	v_fma_f64 v[8:9], v[16:17], v[10:11], v[8:9]
	v_fma_f64 v[6:7], v[14:15], v[10:11], -v[6:7]
	v_add_f64 v[20:21], v[8:9], v[20:21]
	v_add_f64 v[18:19], v[18:19], v[6:7]
	ds_read_b128 v[6:9], v24 offset:1536
	s_waitcnt lgkmcnt(0)
	v_mul_f64 v[10:11], v[42:43], v[8:9]
	v_mul_f64 v[12:13], v[40:41], v[8:9]
	v_fma_f64 v[10:11], v[40:41], v[6:7], -v[10:11]
	v_fma_f64 v[12:13], v[42:43], v[6:7], v[12:13]
	v_add_f64 v[36:37], v[44:45], v[10:11]
	v_add_f64 v[38:39], v[12:13], v[46:47]
	ds_read_b128 v[10:13], v24 offset:1792
	s_waitcnt lgkmcnt(0)
	v_mul_f64 v[14:15], v[42:43], v[12:13]
	v_mul_f64 v[16:17], v[40:41], v[12:13]
	v_fma_f64 v[14:15], v[40:41], v[10:11], -v[14:15]
	v_fma_f64 v[16:17], v[42:43], v[10:11], v[16:17]
	;; [unrolled: 8-line block ×3, first 2 shown]
	v_mul_f64 v[8:9], v[14:15], v[12:13]
	v_add_f64 v[32:33], v[32:33], v[40:41]
	v_add_f64 v[34:35], v[6:7], v[34:35]
	v_mul_f64 v[6:7], v[16:17], v[12:13]
	v_fma_f64 v[8:9], v[16:17], v[10:11], v[8:9]
	v_fma_f64 v[6:7], v[14:15], v[10:11], -v[6:7]
	v_add_f64 v[20:21], v[8:9], v[20:21]
	v_add_f64 v[18:19], v[18:19], v[6:7]
	ds_read_b128 v[6:9], v25 offset:64
	ds_read_b128 v[10:13], v24 offset:2048
	s_waitcnt lgkmcnt(0)
	v_mul_f64 v[14:15], v[8:9], v[12:13]
	v_mul_f64 v[16:17], v[6:7], v[12:13]
	v_fma_f64 v[14:15], v[6:7], v[10:11], -v[14:15]
	v_fma_f64 v[16:17], v[8:9], v[10:11], v[16:17]
	v_add_f64 v[36:37], v[36:37], v[14:15]
	v_add_f64 v[38:39], v[16:17], v[38:39]
	ds_read_b128 v[14:17], v24 offset:2304
	s_waitcnt lgkmcnt(0)
	v_mul_f64 v[40:41], v[8:9], v[16:17]
	v_fma_f64 v[40:41], v[6:7], v[14:15], -v[40:41]
	v_mul_f64 v[6:7], v[6:7], v[16:17]
	v_add_f64 v[30:31], v[30:31], v[40:41]
	v_fma_f64 v[6:7], v[8:9], v[14:15], v[6:7]
	v_add_f64 v[28:29], v[6:7], v[28:29]
	ds_read_b128 v[6:9], v25 offset:2112
	s_waitcnt lgkmcnt(0)
	v_mul_f64 v[40:41], v[8:9], v[12:13]
	v_mul_f64 v[12:13], v[6:7], v[12:13]
	v_fma_f64 v[40:41], v[6:7], v[10:11], -v[40:41]
	v_fma_f64 v[10:11], v[8:9], v[10:11], v[12:13]
	v_add_f64 v[32:33], v[32:33], v[40:41]
	v_add_f64 v[34:35], v[10:11], v[34:35]
	v_mul_f64 v[10:11], v[8:9], v[16:17]
	v_fma_f64 v[10:11], v[6:7], v[14:15], -v[10:11]
	v_mul_f64 v[6:7], v[6:7], v[16:17]
	v_add_f64 v[18:19], v[18:19], v[10:11]
	v_fma_f64 v[6:7], v[8:9], v[14:15], v[6:7]
	v_add_f64 v[20:21], v[6:7], v[20:21]
	ds_read_b128 v[6:9], v25 offset:80
	ds_read_b128 v[10:13], v24 offset:2560
	s_waitcnt lgkmcnt(0)
	v_mul_f64 v[14:15], v[8:9], v[12:13]
	v_mul_f64 v[16:17], v[6:7], v[12:13]
	v_fma_f64 v[14:15], v[6:7], v[10:11], -v[14:15]
	v_fma_f64 v[16:17], v[8:9], v[10:11], v[16:17]
	v_add_f64 v[36:37], v[36:37], v[14:15]
	v_add_f64 v[38:39], v[16:17], v[38:39]
	ds_read_b128 v[14:17], v24 offset:2816
	s_waitcnt lgkmcnt(0)
	v_mul_f64 v[40:41], v[8:9], v[16:17]
	v_fma_f64 v[40:41], v[6:7], v[14:15], -v[40:41]
	v_mul_f64 v[6:7], v[6:7], v[16:17]
	v_add_f64 v[30:31], v[30:31], v[40:41]
	v_fma_f64 v[6:7], v[8:9], v[14:15], v[6:7]
	v_add_f64 v[28:29], v[6:7], v[28:29]
	ds_read_b128 v[6:9], v25 offset:2128
	s_waitcnt lgkmcnt(0)
	v_mul_f64 v[40:41], v[8:9], v[12:13]
	v_mul_f64 v[12:13], v[6:7], v[12:13]
	v_fma_f64 v[40:41], v[6:7], v[10:11], -v[40:41]
	v_fma_f64 v[10:11], v[8:9], v[10:11], v[12:13]
	v_add_f64 v[32:33], v[32:33], v[40:41]
	v_add_f64 v[34:35], v[10:11], v[34:35]
	v_mul_f64 v[10:11], v[8:9], v[16:17]
	v_fma_f64 v[10:11], v[6:7], v[14:15], -v[10:11]
	v_mul_f64 v[6:7], v[6:7], v[16:17]
	v_add_f64 v[18:19], v[18:19], v[10:11]
	v_fma_f64 v[6:7], v[8:9], v[14:15], v[6:7]
	;; [unrolled: 31-line block ×3, first 2 shown]
	v_add_f64 v[50:51], v[6:7], v[20:21]
	ds_read_b128 v[6:9], v25 offset:112
	ds_read_b128 v[10:13], v24 offset:3584
	;; [unrolled: 1-line block ×4, first 2 shown]
	s_waitcnt lgkmcnt(0)
	s_barrier
	v_mul_f64 v[14:15], v[8:9], v[12:13]
	v_mul_f64 v[16:17], v[6:7], v[12:13]
	v_fma_f64 v[14:15], v[6:7], v[10:11], -v[14:15]
	v_fma_f64 v[16:17], v[8:9], v[10:11], v[16:17]
	v_add_f64 v[18:19], v[36:37], v[14:15]
	v_mul_f64 v[14:15], v[8:9], v[30:31]
	v_add_f64 v[20:21], v[16:17], v[38:39]
	v_fma_f64 v[14:15], v[6:7], v[28:29], -v[14:15]
	v_mul_f64 v[6:7], v[6:7], v[30:31]
	v_fma_f64 v[6:7], v[8:9], v[28:29], v[6:7]
	v_add_f64 v[8:9], v[40:41], v[14:15]
	v_mul_f64 v[14:15], v[34:35], v[12:13]
	v_mul_f64 v[12:13], v[32:33], v[12:13]
	v_add_f64 v[6:7], v[6:7], v[42:43]
	v_fma_f64 v[14:15], v[32:33], v[10:11], -v[14:15]
	v_fma_f64 v[10:11], v[34:35], v[10:11], v[12:13]
	v_mul_f64 v[12:13], v[32:33], v[30:31]
	v_add_f64 v[16:17], v[44:45], v[14:15]
	v_add_f64 v[14:15], v[10:11], v[46:47]
	v_mul_f64 v[10:11], v[34:35], v[30:31]
	v_fma_f64 v[10:11], v[32:33], v[28:29], -v[10:11]
	v_fma_f64 v[28:29], v[34:35], v[28:29], v[12:13]
	v_add_f64 v[12:13], v[48:49], v[10:11]
	v_add_f64 v[10:11], v[28:29], v[50:51]
	s_cbranch_scc0 .LBB244_2
	s_branch .LBB244_4
.LBB244_3:
	v_mov_b32_e32 v18, 0
	v_mov_b32_e32 v20, 0
	;; [unrolled: 1-line block ×16, first 2 shown]
.LBB244_4:
	s_load_dwordx2 s[0:1], s[4:5], 0x48
	s_load_dword s6, s[4:5], 0x40
	v_add_u32_e32 v4, s16, v1
	v_add_u32_e32 v0, s9, v0
	v_cmp_gt_i32_e32 vcc, s10, v4
	s_waitcnt lgkmcnt(0)
	s_mul_i32 s1, s1, s8
	v_mad_i64_i32 v[1:2], s[12:13], v4, s6, 0
	s_mul_hi_u32 s4, s0, s8
	s_mul_i32 s0, s0, s8
	s_add_i32 s1, s4, s1
	s_lshl_b64 s[0:1], s[0:1], 4
	s_add_u32 s4, s2, s0
	v_lshlrev_b64 v[1:2], 4, v[1:2]
	s_addc_u32 s5, s3, s1
	v_mov_b32_e32 v3, s5
	v_add_co_u32_e64 v5, s[0:1], s4, v1
	v_addc_co_u32_e64 v22, s[0:1], v3, v2, s[0:1]
	v_cmp_le_i32_e64 s[0:1], v0, v4
	s_and_b64 s[0:1], vcc, s[0:1]
	s_and_saveexec_b64 s[2:3], s[0:1]
	s_cbranch_execz .LBB244_6
; %bb.5:
	v_ashrrev_i32_e32 v1, 31, v0
	v_lshlrev_b64 v[1:2], 4, v[0:1]
	v_add_co_u32_e64 v1, s[0:1], v5, v1
	v_addc_co_u32_e64 v2, s[0:1], v22, v2, s[0:1]
	global_load_dwordx4 v[23:26], v[1:2], off
	s_waitcnt vmcnt(0)
	v_add_f64 v[18:19], v[18:19], -v[23:24]
	v_add_f64 v[20:21], v[20:21], -v[25:26]
	global_store_dwordx4 v[1:2], v[18:21], off
.LBB244_6:
	s_or_b64 exec, exec, s[2:3]
	v_add_u32_e32 v2, 16, v0
	v_cmp_le_i32_e64 s[0:1], v2, v4
	s_and_b64 s[2:3], vcc, s[0:1]
	s_and_saveexec_b64 s[0:1], s[2:3]
	s_cbranch_execz .LBB244_8
; %bb.7:
	v_ashrrev_i32_e32 v3, 31, v2
	v_lshlrev_b64 v[18:19], 4, v[2:3]
	v_add_co_u32_e32 v23, vcc, v5, v18
	v_addc_co_u32_e32 v24, vcc, v22, v19, vcc
	global_load_dwordx4 v[18:21], v[23:24], off
	s_waitcnt vmcnt(0)
	v_add_f64 v[18:19], v[8:9], -v[18:19]
	v_add_f64 v[20:21], v[6:7], -v[20:21]
	global_store_dwordx4 v[23:24], v[18:21], off
.LBB244_8:
	s_or_b64 exec, exec, s[0:1]
	v_add_u32_e32 v3, 16, v4
	v_mad_i64_i32 v[4:5], s[0:1], v3, s6, 0
	v_mov_b32_e32 v1, s5
	v_cmp_gt_i32_e32 vcc, s10, v3
	v_lshlrev_b64 v[4:5], 4, v[4:5]
	v_add_co_u32_e64 v4, s[0:1], s4, v4
	v_addc_co_u32_e64 v5, s[0:1], v1, v5, s[0:1]
	v_cmp_le_i32_e64 s[0:1], v0, v3
	s_and_b64 s[0:1], vcc, s[0:1]
	s_and_saveexec_b64 s[2:3], s[0:1]
	s_cbranch_execz .LBB244_10
; %bb.9:
	v_ashrrev_i32_e32 v1, 31, v0
	v_lshlrev_b64 v[0:1], 4, v[0:1]
	v_add_co_u32_e64 v0, s[0:1], v4, v0
	v_addc_co_u32_e64 v1, s[0:1], v5, v1, s[0:1]
	global_load_dwordx4 v[6:9], v[0:1], off
	s_waitcnt vmcnt(0)
	v_add_f64 v[6:7], v[16:17], -v[6:7]
	v_add_f64 v[8:9], v[14:15], -v[8:9]
	global_store_dwordx4 v[0:1], v[6:9], off
.LBB244_10:
	s_or_b64 exec, exec, s[2:3]
	v_cmp_le_i32_e64 s[0:1], v2, v3
	s_and_b64 s[0:1], vcc, s[0:1]
	s_and_saveexec_b64 s[2:3], s[0:1]
	s_cbranch_execz .LBB244_12
; %bb.11:
	v_ashrrev_i32_e32 v3, 31, v2
	v_lshlrev_b64 v[0:1], 4, v[2:3]
	v_add_co_u32_e32 v4, vcc, v4, v0
	v_addc_co_u32_e32 v5, vcc, v5, v1, vcc
	global_load_dwordx4 v[0:3], v[4:5], off
	s_waitcnt vmcnt(0)
	v_add_f64 v[0:1], v[12:13], -v[0:1]
	v_add_f64 v[2:3], v[10:11], -v[2:3]
	global_store_dwordx4 v[4:5], v[0:3], off
.LBB244_12:
	s_endpgm
	.section	.rodata,"a",@progbits
	.p2align	6, 0x0
	.amdhsa_kernel _ZL37rocblas_syrkx_herkx_restricted_kernelIi19rocblas_complex_numIdELi16ELi32ELi8ELi1ELin1ELb0ELc78ELc85EKS1_S1_EviT_PT9_S3_lS5_S3_lPT10_S3_li
		.amdhsa_group_segment_fixed_size 8192
		.amdhsa_private_segment_fixed_size 0
		.amdhsa_kernarg_size 84
		.amdhsa_user_sgpr_count 6
		.amdhsa_user_sgpr_private_segment_buffer 1
		.amdhsa_user_sgpr_dispatch_ptr 0
		.amdhsa_user_sgpr_queue_ptr 0
		.amdhsa_user_sgpr_kernarg_segment_ptr 1
		.amdhsa_user_sgpr_dispatch_id 0
		.amdhsa_user_sgpr_flat_scratch_init 0
		.amdhsa_user_sgpr_private_segment_size 0
		.amdhsa_uses_dynamic_stack 0
		.amdhsa_system_sgpr_private_segment_wavefront_offset 0
		.amdhsa_system_sgpr_workgroup_id_x 1
		.amdhsa_system_sgpr_workgroup_id_y 1
		.amdhsa_system_sgpr_workgroup_id_z 1
		.amdhsa_system_sgpr_workgroup_info 0
		.amdhsa_system_vgpr_workitem_id 1
		.amdhsa_next_free_vgpr 54
		.amdhsa_next_free_sgpr 61
		.amdhsa_reserve_vcc 1
		.amdhsa_reserve_flat_scratch 0
		.amdhsa_float_round_mode_32 0
		.amdhsa_float_round_mode_16_64 0
		.amdhsa_float_denorm_mode_32 3
		.amdhsa_float_denorm_mode_16_64 3
		.amdhsa_dx10_clamp 1
		.amdhsa_ieee_mode 1
		.amdhsa_fp16_overflow 0
		.amdhsa_exception_fp_ieee_invalid_op 0
		.amdhsa_exception_fp_denorm_src 0
		.amdhsa_exception_fp_ieee_div_zero 0
		.amdhsa_exception_fp_ieee_overflow 0
		.amdhsa_exception_fp_ieee_underflow 0
		.amdhsa_exception_fp_ieee_inexact 0
		.amdhsa_exception_int_div_zero 0
	.end_amdhsa_kernel
	.section	.text._ZL37rocblas_syrkx_herkx_restricted_kernelIi19rocblas_complex_numIdELi16ELi32ELi8ELi1ELin1ELb0ELc78ELc85EKS1_S1_EviT_PT9_S3_lS5_S3_lPT10_S3_li,"axG",@progbits,_ZL37rocblas_syrkx_herkx_restricted_kernelIi19rocblas_complex_numIdELi16ELi32ELi8ELi1ELin1ELb0ELc78ELc85EKS1_S1_EviT_PT9_S3_lS5_S3_lPT10_S3_li,comdat
.Lfunc_end244:
	.size	_ZL37rocblas_syrkx_herkx_restricted_kernelIi19rocblas_complex_numIdELi16ELi32ELi8ELi1ELin1ELb0ELc78ELc85EKS1_S1_EviT_PT9_S3_lS5_S3_lPT10_S3_li, .Lfunc_end244-_ZL37rocblas_syrkx_herkx_restricted_kernelIi19rocblas_complex_numIdELi16ELi32ELi8ELi1ELin1ELb0ELc78ELc85EKS1_S1_EviT_PT9_S3_lS5_S3_lPT10_S3_li
                                        ; -- End function
	.set _ZL37rocblas_syrkx_herkx_restricted_kernelIi19rocblas_complex_numIdELi16ELi32ELi8ELi1ELin1ELb0ELc78ELc85EKS1_S1_EviT_PT9_S3_lS5_S3_lPT10_S3_li.num_vgpr, 54
	.set _ZL37rocblas_syrkx_herkx_restricted_kernelIi19rocblas_complex_numIdELi16ELi32ELi8ELi1ELin1ELb0ELc78ELc85EKS1_S1_EviT_PT9_S3_lS5_S3_lPT10_S3_li.num_agpr, 0
	.set _ZL37rocblas_syrkx_herkx_restricted_kernelIi19rocblas_complex_numIdELi16ELi32ELi8ELi1ELin1ELb0ELc78ELc85EKS1_S1_EviT_PT9_S3_lS5_S3_lPT10_S3_li.numbered_sgpr, 25
	.set _ZL37rocblas_syrkx_herkx_restricted_kernelIi19rocblas_complex_numIdELi16ELi32ELi8ELi1ELin1ELb0ELc78ELc85EKS1_S1_EviT_PT9_S3_lS5_S3_lPT10_S3_li.num_named_barrier, 0
	.set _ZL37rocblas_syrkx_herkx_restricted_kernelIi19rocblas_complex_numIdELi16ELi32ELi8ELi1ELin1ELb0ELc78ELc85EKS1_S1_EviT_PT9_S3_lS5_S3_lPT10_S3_li.private_seg_size, 0
	.set _ZL37rocblas_syrkx_herkx_restricted_kernelIi19rocblas_complex_numIdELi16ELi32ELi8ELi1ELin1ELb0ELc78ELc85EKS1_S1_EviT_PT9_S3_lS5_S3_lPT10_S3_li.uses_vcc, 1
	.set _ZL37rocblas_syrkx_herkx_restricted_kernelIi19rocblas_complex_numIdELi16ELi32ELi8ELi1ELin1ELb0ELc78ELc85EKS1_S1_EviT_PT9_S3_lS5_S3_lPT10_S3_li.uses_flat_scratch, 0
	.set _ZL37rocblas_syrkx_herkx_restricted_kernelIi19rocblas_complex_numIdELi16ELi32ELi8ELi1ELin1ELb0ELc78ELc85EKS1_S1_EviT_PT9_S3_lS5_S3_lPT10_S3_li.has_dyn_sized_stack, 0
	.set _ZL37rocblas_syrkx_herkx_restricted_kernelIi19rocblas_complex_numIdELi16ELi32ELi8ELi1ELin1ELb0ELc78ELc85EKS1_S1_EviT_PT9_S3_lS5_S3_lPT10_S3_li.has_recursion, 0
	.set _ZL37rocblas_syrkx_herkx_restricted_kernelIi19rocblas_complex_numIdELi16ELi32ELi8ELi1ELin1ELb0ELc78ELc85EKS1_S1_EviT_PT9_S3_lS5_S3_lPT10_S3_li.has_indirect_call, 0
	.section	.AMDGPU.csdata,"",@progbits
; Kernel info:
; codeLenInByte = 2892
; TotalNumSgprs: 29
; NumVgprs: 54
; ScratchSize: 0
; MemoryBound: 0
; FloatMode: 240
; IeeeMode: 1
; LDSByteSize: 8192 bytes/workgroup (compile time only)
; SGPRBlocks: 8
; VGPRBlocks: 13
; NumSGPRsForWavesPerEU: 65
; NumVGPRsForWavesPerEU: 54
; Occupancy: 4
; WaveLimiterHint : 0
; COMPUTE_PGM_RSRC2:SCRATCH_EN: 0
; COMPUTE_PGM_RSRC2:USER_SGPR: 6
; COMPUTE_PGM_RSRC2:TRAP_HANDLER: 0
; COMPUTE_PGM_RSRC2:TGID_X_EN: 1
; COMPUTE_PGM_RSRC2:TGID_Y_EN: 1
; COMPUTE_PGM_RSRC2:TGID_Z_EN: 1
; COMPUTE_PGM_RSRC2:TIDIG_COMP_CNT: 1
	.section	.text._ZL37rocblas_syrkx_herkx_restricted_kernelIi19rocblas_complex_numIdELi16ELi32ELi8ELi1ELi0ELb0ELc84ELc76EKS1_S1_EviT_PT9_S3_lS5_S3_lPT10_S3_li,"axG",@progbits,_ZL37rocblas_syrkx_herkx_restricted_kernelIi19rocblas_complex_numIdELi16ELi32ELi8ELi1ELi0ELb0ELc84ELc76EKS1_S1_EviT_PT9_S3_lS5_S3_lPT10_S3_li,comdat
	.globl	_ZL37rocblas_syrkx_herkx_restricted_kernelIi19rocblas_complex_numIdELi16ELi32ELi8ELi1ELi0ELb0ELc84ELc76EKS1_S1_EviT_PT9_S3_lS5_S3_lPT10_S3_li ; -- Begin function _ZL37rocblas_syrkx_herkx_restricted_kernelIi19rocblas_complex_numIdELi16ELi32ELi8ELi1ELi0ELb0ELc84ELc76EKS1_S1_EviT_PT9_S3_lS5_S3_lPT10_S3_li
	.p2align	8
	.type	_ZL37rocblas_syrkx_herkx_restricted_kernelIi19rocblas_complex_numIdELi16ELi32ELi8ELi1ELi0ELb0ELc84ELc76EKS1_S1_EviT_PT9_S3_lS5_S3_lPT10_S3_li,@function
_ZL37rocblas_syrkx_herkx_restricted_kernelIi19rocblas_complex_numIdELi16ELi32ELi8ELi1ELi0ELb0ELc84ELc76EKS1_S1_EviT_PT9_S3_lS5_S3_lPT10_S3_li: ; @_ZL37rocblas_syrkx_herkx_restricted_kernelIi19rocblas_complex_numIdELi16ELi32ELi8ELi1ELi0ELb0ELc84ELc76EKS1_S1_EviT_PT9_S3_lS5_S3_lPT10_S3_li
; %bb.0:
	s_load_dwordx2 s[10:11], s[4:5], 0x0
	s_load_dwordx4 s[0:3], s[4:5], 0x30
	s_lshl_b32 s6, s6, 5
	s_lshl_b32 s7, s7, 5
	s_mov_b32 s9, 0
	s_waitcnt lgkmcnt(0)
	s_cmp_lt_i32 s11, 1
	s_cbranch_scc1 .LBB245_3
; %bb.1:
	s_load_dwordx2 s[16:17], s[4:5], 0x8
	s_load_dword s20, s[4:5], 0x10
	s_load_dwordx4 s[12:15], s[4:5], 0x18
	s_load_dword s18, s[4:5], 0x28
	v_lshl_add_u32 v6, v1, 4, v0
	v_lshrrev_b32_e32 v8, 3, v6
	v_add_u32_e32 v4, s7, v8
	v_and_b32_e32 v2, 7, v0
	v_mov_b32_e32 v3, 0
	s_waitcnt lgkmcnt(0)
	v_mad_i64_i32 v[4:5], s[18:19], s18, v4, v[2:3]
	v_lshlrev_b32_e32 v2, 4, v2
	v_lshl_or_b32 v2, v8, 7, v2
	v_and_b32_e32 v9, 31, v6
	v_add_u32_e32 v23, 0x1000, v2
	v_mov_b32_e32 v2, 0x1000
	v_lshrrev_b32_e32 v6, 5, v6
	v_mov_b32_e32 v7, v3
	v_lshlrev_b32_e32 v3, 4, v9
	v_lshl_add_u32 v25, v1, 7, v2
	v_add_u32_e32 v2, s6, v9
	v_lshl_or_b32 v22, v6, 9, v3
	v_mad_i64_i32 v[2:3], s[18:19], s20, v2, v[6:7]
	s_mul_i32 s13, s13, s8
	s_mul_hi_u32 s21, s12, s8
	s_add_i32 s13, s21, s13
	s_mul_i32 s12, s12, s8
	s_lshl_b64 s[12:13], s[12:13], 4
	v_lshlrev_b64 v[2:3], 4, v[2:3]
	s_add_u32 s12, s16, s12
	s_addc_u32 s13, s17, s13
	v_mov_b32_e32 v6, s13
	v_add_co_u32_e32 v2, vcc, s12, v2
	s_mul_i32 s1, s1, s8
	s_mul_hi_u32 s12, s0, s8
	v_addc_co_u32_e32 v3, vcc, v6, v3, vcc
	s_add_i32 s1, s12, s1
	s_mul_i32 s0, s0, s8
	v_add_co_u32_e32 v18, vcc, 8, v2
	s_lshl_b64 s[0:1], s[0:1], 4
	v_addc_co_u32_e32 v19, vcc, 0, v3, vcc
	v_lshlrev_b64 v[2:3], 4, v[4:5]
	s_add_u32 s0, s14, s0
	s_addc_u32 s1, s15, s1
	v_mov_b32_e32 v4, s1
	v_add_co_u32_e32 v20, vcc, s0, v2
	v_addc_co_u32_e32 v21, vcc, v4, v3, vcc
	v_mov_b32_e32 v12, 0
	v_mov_b32_e32 v10, 0
	;; [unrolled: 1-line block ×8, first 2 shown]
	v_add_co_u32_e32 v20, vcc, 8, v20
	v_lshlrev_b32_e32 v24, 4, v0
	v_mov_b32_e32 v13, 0
	v_mov_b32_e32 v11, 0
	;; [unrolled: 1-line block ×8, first 2 shown]
	v_addc_co_u32_e32 v21, vcc, 0, v21, vcc
.LBB245_2:                              ; =>This Inner Loop Header: Depth=1
	global_load_dwordx4 v[26:29], v[18:19], off offset:-8
	v_add_co_u32_e32 v18, vcc, 0x80, v18
	v_addc_co_u32_e32 v19, vcc, 0, v19, vcc
	s_add_i32 s9, s9, 8
	s_cmp_ge_i32 s9, s11
	s_waitcnt vmcnt(0)
	ds_write_b128 v22, v[26:29]
	global_load_dwordx4 v[26:29], v[20:21], off offset:-8
	v_add_co_u32_e32 v20, vcc, 0x80, v20
	v_addc_co_u32_e32 v21, vcc, 0, v21, vcc
	s_waitcnt vmcnt(0)
	ds_write_b128 v23, v[26:29]
	s_waitcnt lgkmcnt(0)
	s_barrier
	ds_read_b128 v[26:29], v25
	ds_read_b128 v[30:33], v25 offset:16
	ds_read_b128 v[34:37], v25 offset:32
	;; [unrolled: 1-line block ×3, first 2 shown]
	ds_read_b128 v[42:45], v24
	s_waitcnt lgkmcnt(0)
	v_mul_f64 v[46:47], v[28:29], v[44:45]
	v_mul_f64 v[48:49], v[26:27], v[44:45]
	v_fma_f64 v[46:47], v[26:27], v[42:43], -v[46:47]
	v_fma_f64 v[48:49], v[28:29], v[42:43], v[48:49]
	v_add_f64 v[46:47], v[6:7], v[46:47]
	v_add_f64 v[48:49], v[48:49], v[8:9]
	ds_read_b128 v[6:9], v24 offset:256
	s_waitcnt lgkmcnt(0)
	v_mul_f64 v[50:51], v[28:29], v[8:9]
	v_fma_f64 v[50:51], v[26:27], v[6:7], -v[50:51]
	v_mul_f64 v[26:27], v[26:27], v[8:9]
	v_fma_f64 v[26:27], v[28:29], v[6:7], v[26:27]
	v_add_f64 v[28:29], v[2:3], v[50:51]
	v_add_f64 v[26:27], v[26:27], v[4:5]
	ds_read_b128 v[2:5], v25 offset:2048
	s_waitcnt lgkmcnt(0)
	v_mul_f64 v[50:51], v[4:5], v[44:45]
	v_mul_f64 v[44:45], v[2:3], v[44:45]
	v_fma_f64 v[50:51], v[2:3], v[42:43], -v[50:51]
	v_fma_f64 v[42:43], v[4:5], v[42:43], v[44:45]
	v_add_f64 v[14:15], v[14:15], v[50:51]
	v_add_f64 v[16:17], v[42:43], v[16:17]
	v_mul_f64 v[42:43], v[4:5], v[8:9]
	v_fma_f64 v[42:43], v[2:3], v[6:7], -v[42:43]
	v_mul_f64 v[2:3], v[2:3], v[8:9]
	v_add_f64 v[42:43], v[10:11], v[42:43]
	v_fma_f64 v[2:3], v[4:5], v[6:7], v[2:3]
	v_add_f64 v[44:45], v[2:3], v[12:13]
	ds_read_b128 v[2:5], v24 offset:512
	s_waitcnt lgkmcnt(0)
	v_mul_f64 v[6:7], v[32:33], v[4:5]
	v_mul_f64 v[8:9], v[30:31], v[4:5]
	v_fma_f64 v[6:7], v[30:31], v[2:3], -v[6:7]
	v_fma_f64 v[8:9], v[32:33], v[2:3], v[8:9]
	v_add_f64 v[46:47], v[46:47], v[6:7]
	v_add_f64 v[48:49], v[8:9], v[48:49]
	ds_read_b128 v[6:9], v24 offset:768
	s_waitcnt lgkmcnt(0)
	v_mul_f64 v[10:11], v[32:33], v[8:9]
	v_mul_f64 v[12:13], v[30:31], v[8:9]
	v_fma_f64 v[10:11], v[30:31], v[6:7], -v[10:11]
	v_fma_f64 v[12:13], v[32:33], v[6:7], v[12:13]
	v_add_f64 v[28:29], v[28:29], v[10:11]
	v_add_f64 v[26:27], v[12:13], v[26:27]
	ds_read_b128 v[10:13], v25 offset:2064
	s_waitcnt lgkmcnt(0)
	v_mul_f64 v[30:31], v[12:13], v[4:5]
	v_mul_f64 v[4:5], v[10:11], v[4:5]
	v_fma_f64 v[30:31], v[10:11], v[2:3], -v[30:31]
	v_fma_f64 v[2:3], v[12:13], v[2:3], v[4:5]
	v_mul_f64 v[4:5], v[10:11], v[8:9]
	v_add_f64 v[14:15], v[14:15], v[30:31]
	v_add_f64 v[16:17], v[2:3], v[16:17]
	v_mul_f64 v[2:3], v[12:13], v[8:9]
	v_fma_f64 v[4:5], v[12:13], v[6:7], v[4:5]
	v_fma_f64 v[2:3], v[10:11], v[6:7], -v[2:3]
	v_add_f64 v[32:33], v[4:5], v[44:45]
	v_add_f64 v[30:31], v[42:43], v[2:3]
	ds_read_b128 v[2:5], v24 offset:1024
	s_waitcnt lgkmcnt(0)
	v_mul_f64 v[6:7], v[36:37], v[4:5]
	v_mul_f64 v[8:9], v[34:35], v[4:5]
	v_fma_f64 v[6:7], v[34:35], v[2:3], -v[6:7]
	v_fma_f64 v[8:9], v[36:37], v[2:3], v[8:9]
	v_add_f64 v[42:43], v[46:47], v[6:7]
	v_add_f64 v[44:45], v[8:9], v[48:49]
	ds_read_b128 v[6:9], v24 offset:1280
	s_waitcnt lgkmcnt(0)
	v_mul_f64 v[10:11], v[36:37], v[8:9]
	v_mul_f64 v[12:13], v[34:35], v[8:9]
	v_fma_f64 v[10:11], v[34:35], v[6:7], -v[10:11]
	v_fma_f64 v[12:13], v[36:37], v[6:7], v[12:13]
	v_add_f64 v[28:29], v[28:29], v[10:11]
	v_add_f64 v[26:27], v[12:13], v[26:27]
	ds_read_b128 v[10:13], v25 offset:2080
	s_waitcnt lgkmcnt(0)
	v_mul_f64 v[34:35], v[12:13], v[4:5]
	v_mul_f64 v[4:5], v[10:11], v[4:5]
	v_fma_f64 v[34:35], v[10:11], v[2:3], -v[34:35]
	v_fma_f64 v[2:3], v[12:13], v[2:3], v[4:5]
	v_mul_f64 v[4:5], v[10:11], v[8:9]
	v_add_f64 v[14:15], v[14:15], v[34:35]
	v_add_f64 v[16:17], v[2:3], v[16:17]
	v_mul_f64 v[2:3], v[12:13], v[8:9]
	v_fma_f64 v[4:5], v[12:13], v[6:7], v[4:5]
	v_fma_f64 v[2:3], v[10:11], v[6:7], -v[2:3]
	v_add_f64 v[32:33], v[4:5], v[32:33]
	;; [unrolled: 30-line block ×3, first 2 shown]
	v_add_f64 v[30:31], v[30:31], v[2:3]
	ds_read_b128 v[2:5], v25 offset:64
	ds_read_b128 v[6:9], v24 offset:2048
	s_waitcnt lgkmcnt(0)
	v_mul_f64 v[10:11], v[4:5], v[8:9]
	v_mul_f64 v[12:13], v[2:3], v[8:9]
	v_fma_f64 v[10:11], v[2:3], v[6:7], -v[10:11]
	v_fma_f64 v[12:13], v[4:5], v[6:7], v[12:13]
	v_add_f64 v[34:35], v[34:35], v[10:11]
	v_add_f64 v[36:37], v[12:13], v[36:37]
	ds_read_b128 v[10:13], v24 offset:2304
	s_waitcnt lgkmcnt(0)
	v_mul_f64 v[38:39], v[4:5], v[12:13]
	v_fma_f64 v[38:39], v[2:3], v[10:11], -v[38:39]
	v_mul_f64 v[2:3], v[2:3], v[12:13]
	v_add_f64 v[28:29], v[28:29], v[38:39]
	v_fma_f64 v[2:3], v[4:5], v[10:11], v[2:3]
	v_add_f64 v[26:27], v[2:3], v[26:27]
	ds_read_b128 v[2:5], v25 offset:2112
	s_waitcnt lgkmcnt(0)
	v_mul_f64 v[38:39], v[4:5], v[8:9]
	v_mul_f64 v[8:9], v[2:3], v[8:9]
	v_fma_f64 v[38:39], v[2:3], v[6:7], -v[38:39]
	v_fma_f64 v[6:7], v[4:5], v[6:7], v[8:9]
	v_add_f64 v[14:15], v[14:15], v[38:39]
	v_add_f64 v[16:17], v[6:7], v[16:17]
	v_mul_f64 v[6:7], v[4:5], v[12:13]
	v_fma_f64 v[6:7], v[2:3], v[10:11], -v[6:7]
	v_mul_f64 v[2:3], v[2:3], v[12:13]
	v_add_f64 v[30:31], v[30:31], v[6:7]
	v_fma_f64 v[2:3], v[4:5], v[10:11], v[2:3]
	v_add_f64 v[32:33], v[2:3], v[32:33]
	ds_read_b128 v[2:5], v25 offset:80
	ds_read_b128 v[6:9], v24 offset:2560
	s_waitcnt lgkmcnt(0)
	v_mul_f64 v[10:11], v[4:5], v[8:9]
	v_mul_f64 v[12:13], v[2:3], v[8:9]
	v_fma_f64 v[10:11], v[2:3], v[6:7], -v[10:11]
	v_fma_f64 v[12:13], v[4:5], v[6:7], v[12:13]
	v_add_f64 v[34:35], v[34:35], v[10:11]
	v_add_f64 v[36:37], v[12:13], v[36:37]
	ds_read_b128 v[10:13], v24 offset:2816
	s_waitcnt lgkmcnt(0)
	v_mul_f64 v[38:39], v[4:5], v[12:13]
	v_fma_f64 v[38:39], v[2:3], v[10:11], -v[38:39]
	v_mul_f64 v[2:3], v[2:3], v[12:13]
	v_add_f64 v[28:29], v[28:29], v[38:39]
	v_fma_f64 v[2:3], v[4:5], v[10:11], v[2:3]
	v_add_f64 v[26:27], v[2:3], v[26:27]
	ds_read_b128 v[2:5], v25 offset:2128
	s_waitcnt lgkmcnt(0)
	v_mul_f64 v[38:39], v[4:5], v[8:9]
	v_mul_f64 v[8:9], v[2:3], v[8:9]
	v_fma_f64 v[38:39], v[2:3], v[6:7], -v[38:39]
	v_fma_f64 v[6:7], v[4:5], v[6:7], v[8:9]
	v_add_f64 v[14:15], v[14:15], v[38:39]
	v_add_f64 v[16:17], v[6:7], v[16:17]
	v_mul_f64 v[6:7], v[4:5], v[12:13]
	v_fma_f64 v[6:7], v[2:3], v[10:11], -v[6:7]
	v_mul_f64 v[2:3], v[2:3], v[12:13]
	v_add_f64 v[30:31], v[30:31], v[6:7]
	v_fma_f64 v[2:3], v[4:5], v[10:11], v[2:3]
	;; [unrolled: 31-line block ×3, first 2 shown]
	v_add_f64 v[44:45], v[2:3], v[32:33]
	ds_read_b128 v[2:5], v25 offset:112
	ds_read_b128 v[10:13], v24 offset:3584
	;; [unrolled: 1-line block ×3, first 2 shown]
	s_waitcnt lgkmcnt(1)
	v_mul_f64 v[6:7], v[4:5], v[12:13]
	s_waitcnt lgkmcnt(0)
	v_mul_f64 v[30:31], v[4:5], v[28:29]
	v_mul_f64 v[8:9], v[2:3], v[12:13]
	v_fma_f64 v[6:7], v[2:3], v[10:11], -v[6:7]
	v_fma_f64 v[30:31], v[2:3], v[26:27], -v[30:31]
	v_mul_f64 v[2:3], v[2:3], v[28:29]
	v_fma_f64 v[8:9], v[4:5], v[10:11], v[8:9]
	v_add_f64 v[6:7], v[34:35], v[6:7]
	v_fma_f64 v[4:5], v[4:5], v[26:27], v[2:3]
	v_add_f64 v[2:3], v[38:39], v[30:31]
	ds_read_b128 v[30:33], v25 offset:2160
	v_add_f64 v[8:9], v[8:9], v[36:37]
	s_waitcnt lgkmcnt(0)
	s_barrier
	v_mul_f64 v[34:35], v[32:33], v[12:13]
	v_mul_f64 v[12:13], v[30:31], v[12:13]
	v_add_f64 v[4:5], v[4:5], v[40:41]
	v_fma_f64 v[34:35], v[30:31], v[10:11], -v[34:35]
	v_fma_f64 v[10:11], v[32:33], v[10:11], v[12:13]
	v_mul_f64 v[12:13], v[30:31], v[28:29]
	v_add_f64 v[14:15], v[14:15], v[34:35]
	v_add_f64 v[16:17], v[10:11], v[16:17]
	v_mul_f64 v[10:11], v[32:33], v[28:29]
	v_fma_f64 v[12:13], v[32:33], v[26:27], v[12:13]
	v_fma_f64 v[10:11], v[30:31], v[26:27], -v[10:11]
	v_add_f64 v[12:13], v[12:13], v[44:45]
	v_add_f64 v[10:11], v[42:43], v[10:11]
	s_cbranch_scc0 .LBB245_2
	s_branch .LBB245_4
.LBB245_3:
	v_mov_b32_e32 v6, 0
	v_mov_b32_e32 v8, 0
	v_mov_b32_e32 v2, 0
	v_mov_b32_e32 v4, 0
	v_mov_b32_e32 v14, 0
	v_mov_b32_e32 v16, 0
	v_mov_b32_e32 v10, 0
	v_mov_b32_e32 v12, 0
	v_mov_b32_e32 v7, 0
	v_mov_b32_e32 v9, 0
	v_mov_b32_e32 v3, 0
	v_mov_b32_e32 v5, 0
	v_mov_b32_e32 v15, 0
	v_mov_b32_e32 v17, 0
	v_mov_b32_e32 v11, 0
	v_mov_b32_e32 v13, 0
.LBB245_4:
	s_load_dwordx2 s[0:1], s[4:5], 0x48
	s_load_dword s9, s[4:5], 0x40
	v_add_u32_e32 v18, s7, v1
	v_add_u32_e32 v0, s6, v0
	s_waitcnt lgkmcnt(0)
	s_mul_i32 s1, s1, s8
	s_mul_hi_u32 s4, s0, s8
	s_add_i32 s1, s4, s1
	v_mad_i64_i32 v[19:20], s[4:5], v18, s9, 0
	s_mul_i32 s0, s0, s8
	s_lshl_b64 s[0:1], s[0:1], 4
	s_add_u32 s7, s2, s0
	v_lshlrev_b64 v[19:20], 4, v[19:20]
	s_addc_u32 s8, s3, s1
	v_mov_b32_e32 v1, s8
	v_add_co_u32_e32 v19, vcc, s7, v19
	v_addc_co_u32_e32 v20, vcc, v1, v20, vcc
	v_cmp_le_i32_e64 s[0:1], v18, v0
	v_cmp_gt_i32_e32 vcc, s10, v0
	s_and_b64 s[0:1], s[0:1], vcc
	s_and_saveexec_b64 s[2:3], s[0:1]
	s_cbranch_execz .LBB245_6
; %bb.5:
	v_ashrrev_i32_e32 v1, 31, v0
	v_lshlrev_b64 v[21:22], 4, v[0:1]
	v_add_co_u32_e64 v21, s[0:1], v19, v21
	v_addc_co_u32_e64 v22, s[0:1], v20, v22, s[0:1]
	global_store_dwordx4 v[21:22], v[6:9], off
.LBB245_6:
	s_or_b64 exec, exec, s[2:3]
	v_add_u32_e32 v6, 16, v0
	v_cmp_le_i32_e64 s[2:3], v18, v6
	v_cmp_gt_i32_e64 s[0:1], s10, v6
	s_and_b64 s[2:3], s[2:3], s[0:1]
	s_and_saveexec_b64 s[4:5], s[2:3]
	s_cbranch_execz .LBB245_8
; %bb.7:
	v_ashrrev_i32_e32 v7, 31, v6
	v_lshlrev_b64 v[7:8], 4, v[6:7]
	v_add_co_u32_e64 v7, s[2:3], v19, v7
	v_addc_co_u32_e64 v8, s[2:3], v20, v8, s[2:3]
	global_store_dwordx4 v[7:8], v[2:5], off
.LBB245_8:
	s_or_b64 exec, exec, s[4:5]
	v_add_u32_e32 v4, 16, v18
	v_mad_i64_i32 v[1:2], s[2:3], v4, s9, 0
	v_mov_b32_e32 v5, s8
	v_lshlrev_b64 v[2:3], 4, v[1:2]
	v_add_co_u32_e64 v2, s[2:3], s7, v2
	v_addc_co_u32_e64 v3, s[2:3], v5, v3, s[2:3]
	v_cmp_le_i32_e64 s[2:3], v4, v0
	s_and_b64 s[4:5], s[2:3], vcc
	s_and_saveexec_b64 s[2:3], s[4:5]
	s_cbranch_execz .LBB245_10
; %bb.9:
	v_ashrrev_i32_e32 v1, 31, v0
	v_lshlrev_b64 v[0:1], 4, v[0:1]
	v_add_co_u32_e32 v0, vcc, v2, v0
	v_addc_co_u32_e32 v1, vcc, v3, v1, vcc
	global_store_dwordx4 v[0:1], v[14:17], off
.LBB245_10:
	s_or_b64 exec, exec, s[2:3]
	v_cmp_le_i32_e32 vcc, v4, v6
	s_and_b64 s[0:1], vcc, s[0:1]
	s_and_saveexec_b64 s[2:3], s[0:1]
	s_cbranch_execz .LBB245_12
; %bb.11:
	v_ashrrev_i32_e32 v7, 31, v6
	v_lshlrev_b64 v[0:1], 4, v[6:7]
	v_add_co_u32_e32 v0, vcc, v2, v0
	v_addc_co_u32_e32 v1, vcc, v3, v1, vcc
	global_store_dwordx4 v[0:1], v[10:13], off
.LBB245_12:
	s_endpgm
	.section	.rodata,"a",@progbits
	.p2align	6, 0x0
	.amdhsa_kernel _ZL37rocblas_syrkx_herkx_restricted_kernelIi19rocblas_complex_numIdELi16ELi32ELi8ELi1ELi0ELb0ELc84ELc76EKS1_S1_EviT_PT9_S3_lS5_S3_lPT10_S3_li
		.amdhsa_group_segment_fixed_size 8192
		.amdhsa_private_segment_fixed_size 0
		.amdhsa_kernarg_size 84
		.amdhsa_user_sgpr_count 6
		.amdhsa_user_sgpr_private_segment_buffer 1
		.amdhsa_user_sgpr_dispatch_ptr 0
		.amdhsa_user_sgpr_queue_ptr 0
		.amdhsa_user_sgpr_kernarg_segment_ptr 1
		.amdhsa_user_sgpr_dispatch_id 0
		.amdhsa_user_sgpr_flat_scratch_init 0
		.amdhsa_user_sgpr_private_segment_size 0
		.amdhsa_uses_dynamic_stack 0
		.amdhsa_system_sgpr_private_segment_wavefront_offset 0
		.amdhsa_system_sgpr_workgroup_id_x 1
		.amdhsa_system_sgpr_workgroup_id_y 1
		.amdhsa_system_sgpr_workgroup_id_z 1
		.amdhsa_system_sgpr_workgroup_info 0
		.amdhsa_system_vgpr_workitem_id 1
		.amdhsa_next_free_vgpr 52
		.amdhsa_next_free_sgpr 61
		.amdhsa_reserve_vcc 1
		.amdhsa_reserve_flat_scratch 0
		.amdhsa_float_round_mode_32 0
		.amdhsa_float_round_mode_16_64 0
		.amdhsa_float_denorm_mode_32 3
		.amdhsa_float_denorm_mode_16_64 3
		.amdhsa_dx10_clamp 1
		.amdhsa_ieee_mode 1
		.amdhsa_fp16_overflow 0
		.amdhsa_exception_fp_ieee_invalid_op 0
		.amdhsa_exception_fp_denorm_src 0
		.amdhsa_exception_fp_ieee_div_zero 0
		.amdhsa_exception_fp_ieee_overflow 0
		.amdhsa_exception_fp_ieee_underflow 0
		.amdhsa_exception_fp_ieee_inexact 0
		.amdhsa_exception_int_div_zero 0
	.end_amdhsa_kernel
	.section	.text._ZL37rocblas_syrkx_herkx_restricted_kernelIi19rocblas_complex_numIdELi16ELi32ELi8ELi1ELi0ELb0ELc84ELc76EKS1_S1_EviT_PT9_S3_lS5_S3_lPT10_S3_li,"axG",@progbits,_ZL37rocblas_syrkx_herkx_restricted_kernelIi19rocblas_complex_numIdELi16ELi32ELi8ELi1ELi0ELb0ELc84ELc76EKS1_S1_EviT_PT9_S3_lS5_S3_lPT10_S3_li,comdat
.Lfunc_end245:
	.size	_ZL37rocblas_syrkx_herkx_restricted_kernelIi19rocblas_complex_numIdELi16ELi32ELi8ELi1ELi0ELb0ELc84ELc76EKS1_S1_EviT_PT9_S3_lS5_S3_lPT10_S3_li, .Lfunc_end245-_ZL37rocblas_syrkx_herkx_restricted_kernelIi19rocblas_complex_numIdELi16ELi32ELi8ELi1ELi0ELb0ELc84ELc76EKS1_S1_EviT_PT9_S3_lS5_S3_lPT10_S3_li
                                        ; -- End function
	.set _ZL37rocblas_syrkx_herkx_restricted_kernelIi19rocblas_complex_numIdELi16ELi32ELi8ELi1ELi0ELb0ELc84ELc76EKS1_S1_EviT_PT9_S3_lS5_S3_lPT10_S3_li.num_vgpr, 52
	.set _ZL37rocblas_syrkx_herkx_restricted_kernelIi19rocblas_complex_numIdELi16ELi32ELi8ELi1ELi0ELb0ELc84ELc76EKS1_S1_EviT_PT9_S3_lS5_S3_lPT10_S3_li.num_agpr, 0
	.set _ZL37rocblas_syrkx_herkx_restricted_kernelIi19rocblas_complex_numIdELi16ELi32ELi8ELi1ELi0ELb0ELc84ELc76EKS1_S1_EviT_PT9_S3_lS5_S3_lPT10_S3_li.numbered_sgpr, 22
	.set _ZL37rocblas_syrkx_herkx_restricted_kernelIi19rocblas_complex_numIdELi16ELi32ELi8ELi1ELi0ELb0ELc84ELc76EKS1_S1_EviT_PT9_S3_lS5_S3_lPT10_S3_li.num_named_barrier, 0
	.set _ZL37rocblas_syrkx_herkx_restricted_kernelIi19rocblas_complex_numIdELi16ELi32ELi8ELi1ELi0ELb0ELc84ELc76EKS1_S1_EviT_PT9_S3_lS5_S3_lPT10_S3_li.private_seg_size, 0
	.set _ZL37rocblas_syrkx_herkx_restricted_kernelIi19rocblas_complex_numIdELi16ELi32ELi8ELi1ELi0ELb0ELc84ELc76EKS1_S1_EviT_PT9_S3_lS5_S3_lPT10_S3_li.uses_vcc, 1
	.set _ZL37rocblas_syrkx_herkx_restricted_kernelIi19rocblas_complex_numIdELi16ELi32ELi8ELi1ELi0ELb0ELc84ELc76EKS1_S1_EviT_PT9_S3_lS5_S3_lPT10_S3_li.uses_flat_scratch, 0
	.set _ZL37rocblas_syrkx_herkx_restricted_kernelIi19rocblas_complex_numIdELi16ELi32ELi8ELi1ELi0ELb0ELc84ELc76EKS1_S1_EviT_PT9_S3_lS5_S3_lPT10_S3_li.has_dyn_sized_stack, 0
	.set _ZL37rocblas_syrkx_herkx_restricted_kernelIi19rocblas_complex_numIdELi16ELi32ELi8ELi1ELi0ELb0ELc84ELc76EKS1_S1_EviT_PT9_S3_lS5_S3_lPT10_S3_li.has_recursion, 0
	.set _ZL37rocblas_syrkx_herkx_restricted_kernelIi19rocblas_complex_numIdELi16ELi32ELi8ELi1ELi0ELb0ELc84ELc76EKS1_S1_EviT_PT9_S3_lS5_S3_lPT10_S3_li.has_indirect_call, 0
	.section	.AMDGPU.csdata,"",@progbits
; Kernel info:
; codeLenInByte = 2764
; TotalNumSgprs: 26
; NumVgprs: 52
; ScratchSize: 0
; MemoryBound: 0
; FloatMode: 240
; IeeeMode: 1
; LDSByteSize: 8192 bytes/workgroup (compile time only)
; SGPRBlocks: 8
; VGPRBlocks: 12
; NumSGPRsForWavesPerEU: 65
; NumVGPRsForWavesPerEU: 52
; Occupancy: 4
; WaveLimiterHint : 0
; COMPUTE_PGM_RSRC2:SCRATCH_EN: 0
; COMPUTE_PGM_RSRC2:USER_SGPR: 6
; COMPUTE_PGM_RSRC2:TRAP_HANDLER: 0
; COMPUTE_PGM_RSRC2:TGID_X_EN: 1
; COMPUTE_PGM_RSRC2:TGID_Y_EN: 1
; COMPUTE_PGM_RSRC2:TGID_Z_EN: 1
; COMPUTE_PGM_RSRC2:TIDIG_COMP_CNT: 1
	.section	.text._ZL37rocblas_syrkx_herkx_restricted_kernelIi19rocblas_complex_numIdELi16ELi32ELi8ELi1ELi0ELb0ELc67ELc76EKS1_S1_EviT_PT9_S3_lS5_S3_lPT10_S3_li,"axG",@progbits,_ZL37rocblas_syrkx_herkx_restricted_kernelIi19rocblas_complex_numIdELi16ELi32ELi8ELi1ELi0ELb0ELc67ELc76EKS1_S1_EviT_PT9_S3_lS5_S3_lPT10_S3_li,comdat
	.globl	_ZL37rocblas_syrkx_herkx_restricted_kernelIi19rocblas_complex_numIdELi16ELi32ELi8ELi1ELi0ELb0ELc67ELc76EKS1_S1_EviT_PT9_S3_lS5_S3_lPT10_S3_li ; -- Begin function _ZL37rocblas_syrkx_herkx_restricted_kernelIi19rocblas_complex_numIdELi16ELi32ELi8ELi1ELi0ELb0ELc67ELc76EKS1_S1_EviT_PT9_S3_lS5_S3_lPT10_S3_li
	.p2align	8
	.type	_ZL37rocblas_syrkx_herkx_restricted_kernelIi19rocblas_complex_numIdELi16ELi32ELi8ELi1ELi0ELb0ELc67ELc76EKS1_S1_EviT_PT9_S3_lS5_S3_lPT10_S3_li,@function
_ZL37rocblas_syrkx_herkx_restricted_kernelIi19rocblas_complex_numIdELi16ELi32ELi8ELi1ELi0ELb0ELc67ELc76EKS1_S1_EviT_PT9_S3_lS5_S3_lPT10_S3_li: ; @_ZL37rocblas_syrkx_herkx_restricted_kernelIi19rocblas_complex_numIdELi16ELi32ELi8ELi1ELi0ELb0ELc67ELc76EKS1_S1_EviT_PT9_S3_lS5_S3_lPT10_S3_li
; %bb.0:
	s_load_dwordx2 s[10:11], s[4:5], 0x0
	s_load_dwordx4 s[0:3], s[4:5], 0x30
	s_lshl_b32 s6, s6, 5
	s_lshl_b32 s7, s7, 5
	s_mov_b32 s9, 0
	s_waitcnt lgkmcnt(0)
	s_cmp_lt_i32 s11, 1
	s_cbranch_scc1 .LBB246_3
; %bb.1:
	s_load_dwordx2 s[16:17], s[4:5], 0x8
	s_load_dword s20, s[4:5], 0x10
	s_load_dwordx4 s[12:15], s[4:5], 0x18
	s_load_dword s18, s[4:5], 0x28
	v_lshl_add_u32 v6, v1, 4, v0
	v_lshrrev_b32_e32 v8, 3, v6
	v_add_u32_e32 v4, s7, v8
	v_and_b32_e32 v2, 7, v0
	v_mov_b32_e32 v3, 0
	s_waitcnt lgkmcnt(0)
	v_mad_i64_i32 v[4:5], s[18:19], s18, v4, v[2:3]
	v_lshlrev_b32_e32 v2, 4, v2
	v_lshl_or_b32 v2, v8, 7, v2
	v_and_b32_e32 v9, 31, v6
	v_add_u32_e32 v23, 0x1000, v2
	v_mov_b32_e32 v2, 0x1000
	v_lshrrev_b32_e32 v6, 5, v6
	v_mov_b32_e32 v7, v3
	v_lshlrev_b32_e32 v3, 4, v9
	v_lshl_add_u32 v25, v1, 7, v2
	v_add_u32_e32 v2, s6, v9
	v_lshl_or_b32 v22, v6, 9, v3
	v_mad_i64_i32 v[2:3], s[18:19], s20, v2, v[6:7]
	s_mul_i32 s13, s13, s8
	s_mul_hi_u32 s21, s12, s8
	s_add_i32 s13, s21, s13
	s_mul_i32 s12, s12, s8
	s_lshl_b64 s[12:13], s[12:13], 4
	v_lshlrev_b64 v[2:3], 4, v[2:3]
	s_add_u32 s12, s16, s12
	s_addc_u32 s13, s17, s13
	v_mov_b32_e32 v6, s13
	v_add_co_u32_e32 v2, vcc, s12, v2
	s_mul_i32 s1, s1, s8
	s_mul_hi_u32 s12, s0, s8
	v_addc_co_u32_e32 v3, vcc, v6, v3, vcc
	s_add_i32 s1, s12, s1
	s_mul_i32 s0, s0, s8
	v_add_co_u32_e32 v18, vcc, 8, v2
	s_lshl_b64 s[0:1], s[0:1], 4
	v_addc_co_u32_e32 v19, vcc, 0, v3, vcc
	v_lshlrev_b64 v[2:3], 4, v[4:5]
	s_add_u32 s0, s14, s0
	s_addc_u32 s1, s15, s1
	v_mov_b32_e32 v4, s1
	v_add_co_u32_e32 v20, vcc, s0, v2
	v_addc_co_u32_e32 v21, vcc, v4, v3, vcc
	v_mov_b32_e32 v12, 0
	v_mov_b32_e32 v10, 0
	;; [unrolled: 1-line block ×8, first 2 shown]
	v_add_co_u32_e32 v20, vcc, 8, v20
	v_lshlrev_b32_e32 v24, 4, v0
	v_mov_b32_e32 v13, 0
	v_mov_b32_e32 v11, 0
	;; [unrolled: 1-line block ×8, first 2 shown]
	v_addc_co_u32_e32 v21, vcc, 0, v21, vcc
.LBB246_2:                              ; =>This Inner Loop Header: Depth=1
	global_load_dwordx4 v[26:29], v[18:19], off offset:-8
	v_add_co_u32_e32 v18, vcc, 0x80, v18
	v_addc_co_u32_e32 v19, vcc, 0, v19, vcc
	s_add_i32 s9, s9, 8
	s_cmp_ge_i32 s9, s11
	s_waitcnt vmcnt(0)
	ds_write_b128 v22, v[26:29]
	global_load_dwordx4 v[26:29], v[20:21], off offset:-8
	v_add_co_u32_e32 v20, vcc, 0x80, v20
	v_addc_co_u32_e32 v21, vcc, 0, v21, vcc
	s_waitcnt vmcnt(0)
	ds_write_b128 v23, v[26:29]
	s_waitcnt lgkmcnt(0)
	s_barrier
	ds_read_b128 v[26:29], v25
	ds_read_b128 v[30:33], v25 offset:16
	ds_read_b128 v[34:37], v25 offset:32
	ds_read_b128 v[38:41], v25 offset:48
	ds_read_b128 v[42:45], v24
	s_waitcnt lgkmcnt(0)
	v_mul_f64 v[46:47], v[28:29], v[44:45]
	v_mul_f64 v[48:49], v[26:27], v[44:45]
	v_fma_f64 v[46:47], v[26:27], v[42:43], -v[46:47]
	v_fma_f64 v[48:49], v[28:29], v[42:43], v[48:49]
	v_add_f64 v[46:47], v[6:7], v[46:47]
	v_add_f64 v[48:49], v[48:49], v[8:9]
	ds_read_b128 v[6:9], v24 offset:256
	s_waitcnt lgkmcnt(0)
	v_mul_f64 v[50:51], v[28:29], v[8:9]
	v_fma_f64 v[50:51], v[26:27], v[6:7], -v[50:51]
	v_mul_f64 v[26:27], v[26:27], v[8:9]
	v_fma_f64 v[26:27], v[28:29], v[6:7], v[26:27]
	v_add_f64 v[28:29], v[2:3], v[50:51]
	v_add_f64 v[26:27], v[26:27], v[4:5]
	ds_read_b128 v[2:5], v25 offset:2048
	s_waitcnt lgkmcnt(0)
	v_mul_f64 v[50:51], v[4:5], v[44:45]
	v_mul_f64 v[44:45], v[2:3], v[44:45]
	v_fma_f64 v[50:51], v[2:3], v[42:43], -v[50:51]
	v_fma_f64 v[42:43], v[4:5], v[42:43], v[44:45]
	v_add_f64 v[14:15], v[14:15], v[50:51]
	v_add_f64 v[16:17], v[42:43], v[16:17]
	v_mul_f64 v[42:43], v[4:5], v[8:9]
	v_fma_f64 v[42:43], v[2:3], v[6:7], -v[42:43]
	v_mul_f64 v[2:3], v[2:3], v[8:9]
	v_add_f64 v[42:43], v[10:11], v[42:43]
	v_fma_f64 v[2:3], v[4:5], v[6:7], v[2:3]
	v_add_f64 v[44:45], v[2:3], v[12:13]
	ds_read_b128 v[2:5], v24 offset:512
	s_waitcnt lgkmcnt(0)
	v_mul_f64 v[6:7], v[32:33], v[4:5]
	v_mul_f64 v[8:9], v[30:31], v[4:5]
	v_fma_f64 v[6:7], v[30:31], v[2:3], -v[6:7]
	v_fma_f64 v[8:9], v[32:33], v[2:3], v[8:9]
	v_add_f64 v[46:47], v[46:47], v[6:7]
	v_add_f64 v[48:49], v[8:9], v[48:49]
	ds_read_b128 v[6:9], v24 offset:768
	s_waitcnt lgkmcnt(0)
	v_mul_f64 v[10:11], v[32:33], v[8:9]
	v_mul_f64 v[12:13], v[30:31], v[8:9]
	v_fma_f64 v[10:11], v[30:31], v[6:7], -v[10:11]
	v_fma_f64 v[12:13], v[32:33], v[6:7], v[12:13]
	v_add_f64 v[28:29], v[28:29], v[10:11]
	v_add_f64 v[26:27], v[12:13], v[26:27]
	ds_read_b128 v[10:13], v25 offset:2064
	s_waitcnt lgkmcnt(0)
	v_mul_f64 v[30:31], v[12:13], v[4:5]
	v_mul_f64 v[4:5], v[10:11], v[4:5]
	v_fma_f64 v[30:31], v[10:11], v[2:3], -v[30:31]
	v_fma_f64 v[2:3], v[12:13], v[2:3], v[4:5]
	v_mul_f64 v[4:5], v[10:11], v[8:9]
	v_add_f64 v[14:15], v[14:15], v[30:31]
	v_add_f64 v[16:17], v[2:3], v[16:17]
	v_mul_f64 v[2:3], v[12:13], v[8:9]
	v_fma_f64 v[4:5], v[12:13], v[6:7], v[4:5]
	v_fma_f64 v[2:3], v[10:11], v[6:7], -v[2:3]
	v_add_f64 v[32:33], v[4:5], v[44:45]
	v_add_f64 v[30:31], v[42:43], v[2:3]
	ds_read_b128 v[2:5], v24 offset:1024
	s_waitcnt lgkmcnt(0)
	v_mul_f64 v[6:7], v[36:37], v[4:5]
	v_mul_f64 v[8:9], v[34:35], v[4:5]
	v_fma_f64 v[6:7], v[34:35], v[2:3], -v[6:7]
	v_fma_f64 v[8:9], v[36:37], v[2:3], v[8:9]
	v_add_f64 v[42:43], v[46:47], v[6:7]
	v_add_f64 v[44:45], v[8:9], v[48:49]
	ds_read_b128 v[6:9], v24 offset:1280
	s_waitcnt lgkmcnt(0)
	v_mul_f64 v[10:11], v[36:37], v[8:9]
	v_mul_f64 v[12:13], v[34:35], v[8:9]
	v_fma_f64 v[10:11], v[34:35], v[6:7], -v[10:11]
	v_fma_f64 v[12:13], v[36:37], v[6:7], v[12:13]
	v_add_f64 v[28:29], v[28:29], v[10:11]
	v_add_f64 v[26:27], v[12:13], v[26:27]
	ds_read_b128 v[10:13], v25 offset:2080
	s_waitcnt lgkmcnt(0)
	v_mul_f64 v[34:35], v[12:13], v[4:5]
	v_mul_f64 v[4:5], v[10:11], v[4:5]
	v_fma_f64 v[34:35], v[10:11], v[2:3], -v[34:35]
	v_fma_f64 v[2:3], v[12:13], v[2:3], v[4:5]
	v_mul_f64 v[4:5], v[10:11], v[8:9]
	v_add_f64 v[14:15], v[14:15], v[34:35]
	v_add_f64 v[16:17], v[2:3], v[16:17]
	v_mul_f64 v[2:3], v[12:13], v[8:9]
	v_fma_f64 v[4:5], v[12:13], v[6:7], v[4:5]
	v_fma_f64 v[2:3], v[10:11], v[6:7], -v[2:3]
	v_add_f64 v[32:33], v[4:5], v[32:33]
	;; [unrolled: 30-line block ×3, first 2 shown]
	v_add_f64 v[30:31], v[30:31], v[2:3]
	ds_read_b128 v[2:5], v25 offset:64
	ds_read_b128 v[6:9], v24 offset:2048
	s_waitcnt lgkmcnt(0)
	v_mul_f64 v[10:11], v[4:5], v[8:9]
	v_mul_f64 v[12:13], v[2:3], v[8:9]
	v_fma_f64 v[10:11], v[2:3], v[6:7], -v[10:11]
	v_fma_f64 v[12:13], v[4:5], v[6:7], v[12:13]
	v_add_f64 v[34:35], v[34:35], v[10:11]
	v_add_f64 v[36:37], v[12:13], v[36:37]
	ds_read_b128 v[10:13], v24 offset:2304
	s_waitcnt lgkmcnt(0)
	v_mul_f64 v[38:39], v[4:5], v[12:13]
	v_fma_f64 v[38:39], v[2:3], v[10:11], -v[38:39]
	v_mul_f64 v[2:3], v[2:3], v[12:13]
	v_add_f64 v[28:29], v[28:29], v[38:39]
	v_fma_f64 v[2:3], v[4:5], v[10:11], v[2:3]
	v_add_f64 v[26:27], v[2:3], v[26:27]
	ds_read_b128 v[2:5], v25 offset:2112
	s_waitcnt lgkmcnt(0)
	v_mul_f64 v[38:39], v[4:5], v[8:9]
	v_mul_f64 v[8:9], v[2:3], v[8:9]
	v_fma_f64 v[38:39], v[2:3], v[6:7], -v[38:39]
	v_fma_f64 v[6:7], v[4:5], v[6:7], v[8:9]
	v_add_f64 v[14:15], v[14:15], v[38:39]
	v_add_f64 v[16:17], v[6:7], v[16:17]
	v_mul_f64 v[6:7], v[4:5], v[12:13]
	v_fma_f64 v[6:7], v[2:3], v[10:11], -v[6:7]
	v_mul_f64 v[2:3], v[2:3], v[12:13]
	v_add_f64 v[30:31], v[30:31], v[6:7]
	v_fma_f64 v[2:3], v[4:5], v[10:11], v[2:3]
	v_add_f64 v[32:33], v[2:3], v[32:33]
	ds_read_b128 v[2:5], v25 offset:80
	ds_read_b128 v[6:9], v24 offset:2560
	s_waitcnt lgkmcnt(0)
	v_mul_f64 v[10:11], v[4:5], v[8:9]
	v_mul_f64 v[12:13], v[2:3], v[8:9]
	v_fma_f64 v[10:11], v[2:3], v[6:7], -v[10:11]
	v_fma_f64 v[12:13], v[4:5], v[6:7], v[12:13]
	v_add_f64 v[34:35], v[34:35], v[10:11]
	v_add_f64 v[36:37], v[12:13], v[36:37]
	ds_read_b128 v[10:13], v24 offset:2816
	s_waitcnt lgkmcnt(0)
	v_mul_f64 v[38:39], v[4:5], v[12:13]
	v_fma_f64 v[38:39], v[2:3], v[10:11], -v[38:39]
	v_mul_f64 v[2:3], v[2:3], v[12:13]
	v_add_f64 v[28:29], v[28:29], v[38:39]
	v_fma_f64 v[2:3], v[4:5], v[10:11], v[2:3]
	v_add_f64 v[26:27], v[2:3], v[26:27]
	ds_read_b128 v[2:5], v25 offset:2128
	s_waitcnt lgkmcnt(0)
	v_mul_f64 v[38:39], v[4:5], v[8:9]
	v_mul_f64 v[8:9], v[2:3], v[8:9]
	v_fma_f64 v[38:39], v[2:3], v[6:7], -v[38:39]
	v_fma_f64 v[6:7], v[4:5], v[6:7], v[8:9]
	v_add_f64 v[14:15], v[14:15], v[38:39]
	v_add_f64 v[16:17], v[6:7], v[16:17]
	v_mul_f64 v[6:7], v[4:5], v[12:13]
	v_fma_f64 v[6:7], v[2:3], v[10:11], -v[6:7]
	v_mul_f64 v[2:3], v[2:3], v[12:13]
	v_add_f64 v[30:31], v[30:31], v[6:7]
	v_fma_f64 v[2:3], v[4:5], v[10:11], v[2:3]
	;; [unrolled: 31-line block ×3, first 2 shown]
	v_add_f64 v[44:45], v[2:3], v[32:33]
	ds_read_b128 v[2:5], v25 offset:112
	ds_read_b128 v[10:13], v24 offset:3584
	;; [unrolled: 1-line block ×3, first 2 shown]
	s_waitcnt lgkmcnt(1)
	v_mul_f64 v[6:7], v[4:5], v[12:13]
	s_waitcnt lgkmcnt(0)
	v_mul_f64 v[30:31], v[4:5], v[28:29]
	v_mul_f64 v[8:9], v[2:3], v[12:13]
	v_fma_f64 v[6:7], v[2:3], v[10:11], -v[6:7]
	v_fma_f64 v[30:31], v[2:3], v[26:27], -v[30:31]
	v_mul_f64 v[2:3], v[2:3], v[28:29]
	v_fma_f64 v[8:9], v[4:5], v[10:11], v[8:9]
	v_add_f64 v[6:7], v[34:35], v[6:7]
	v_fma_f64 v[4:5], v[4:5], v[26:27], v[2:3]
	v_add_f64 v[2:3], v[38:39], v[30:31]
	ds_read_b128 v[30:33], v25 offset:2160
	v_add_f64 v[8:9], v[8:9], v[36:37]
	s_waitcnt lgkmcnt(0)
	s_barrier
	v_mul_f64 v[34:35], v[32:33], v[12:13]
	v_mul_f64 v[12:13], v[30:31], v[12:13]
	v_add_f64 v[4:5], v[4:5], v[40:41]
	v_fma_f64 v[34:35], v[30:31], v[10:11], -v[34:35]
	v_fma_f64 v[10:11], v[32:33], v[10:11], v[12:13]
	v_mul_f64 v[12:13], v[30:31], v[28:29]
	v_add_f64 v[14:15], v[14:15], v[34:35]
	v_add_f64 v[16:17], v[10:11], v[16:17]
	v_mul_f64 v[10:11], v[32:33], v[28:29]
	v_fma_f64 v[12:13], v[32:33], v[26:27], v[12:13]
	v_fma_f64 v[10:11], v[30:31], v[26:27], -v[10:11]
	v_add_f64 v[12:13], v[12:13], v[44:45]
	v_add_f64 v[10:11], v[42:43], v[10:11]
	s_cbranch_scc0 .LBB246_2
	s_branch .LBB246_4
.LBB246_3:
	v_mov_b32_e32 v6, 0
	v_mov_b32_e32 v8, 0
	;; [unrolled: 1-line block ×16, first 2 shown]
.LBB246_4:
	s_load_dwordx2 s[0:1], s[4:5], 0x48
	s_load_dword s9, s[4:5], 0x40
	v_add_u32_e32 v18, s7, v1
	v_add_u32_e32 v0, s6, v0
	s_waitcnt lgkmcnt(0)
	s_mul_i32 s1, s1, s8
	s_mul_hi_u32 s4, s0, s8
	s_add_i32 s1, s4, s1
	v_mad_i64_i32 v[19:20], s[4:5], v18, s9, 0
	s_mul_i32 s0, s0, s8
	s_lshl_b64 s[0:1], s[0:1], 4
	s_add_u32 s7, s2, s0
	v_lshlrev_b64 v[19:20], 4, v[19:20]
	s_addc_u32 s8, s3, s1
	v_mov_b32_e32 v1, s8
	v_add_co_u32_e32 v19, vcc, s7, v19
	v_addc_co_u32_e32 v20, vcc, v1, v20, vcc
	v_cmp_le_i32_e64 s[0:1], v18, v0
	v_cmp_gt_i32_e32 vcc, s10, v0
	s_and_b64 s[0:1], s[0:1], vcc
	s_and_saveexec_b64 s[2:3], s[0:1]
	s_cbranch_execz .LBB246_6
; %bb.5:
	v_ashrrev_i32_e32 v1, 31, v0
	v_lshlrev_b64 v[21:22], 4, v[0:1]
	v_add_co_u32_e64 v21, s[0:1], v19, v21
	v_addc_co_u32_e64 v22, s[0:1], v20, v22, s[0:1]
	global_store_dwordx4 v[21:22], v[6:9], off
.LBB246_6:
	s_or_b64 exec, exec, s[2:3]
	v_add_u32_e32 v6, 16, v0
	v_cmp_le_i32_e64 s[2:3], v18, v6
	v_cmp_gt_i32_e64 s[0:1], s10, v6
	s_and_b64 s[2:3], s[2:3], s[0:1]
	s_and_saveexec_b64 s[4:5], s[2:3]
	s_cbranch_execz .LBB246_8
; %bb.7:
	v_ashrrev_i32_e32 v7, 31, v6
	v_lshlrev_b64 v[7:8], 4, v[6:7]
	v_add_co_u32_e64 v7, s[2:3], v19, v7
	v_addc_co_u32_e64 v8, s[2:3], v20, v8, s[2:3]
	global_store_dwordx4 v[7:8], v[2:5], off
.LBB246_8:
	s_or_b64 exec, exec, s[4:5]
	v_add_u32_e32 v4, 16, v18
	v_mad_i64_i32 v[1:2], s[2:3], v4, s9, 0
	v_mov_b32_e32 v5, s8
	v_lshlrev_b64 v[2:3], 4, v[1:2]
	v_add_co_u32_e64 v2, s[2:3], s7, v2
	v_addc_co_u32_e64 v3, s[2:3], v5, v3, s[2:3]
	v_cmp_le_i32_e64 s[2:3], v4, v0
	s_and_b64 s[4:5], s[2:3], vcc
	s_and_saveexec_b64 s[2:3], s[4:5]
	s_cbranch_execz .LBB246_10
; %bb.9:
	v_ashrrev_i32_e32 v1, 31, v0
	v_lshlrev_b64 v[0:1], 4, v[0:1]
	v_add_co_u32_e32 v0, vcc, v2, v0
	v_addc_co_u32_e32 v1, vcc, v3, v1, vcc
	global_store_dwordx4 v[0:1], v[14:17], off
.LBB246_10:
	s_or_b64 exec, exec, s[2:3]
	v_cmp_le_i32_e32 vcc, v4, v6
	s_and_b64 s[0:1], vcc, s[0:1]
	s_and_saveexec_b64 s[2:3], s[0:1]
	s_cbranch_execz .LBB246_12
; %bb.11:
	v_ashrrev_i32_e32 v7, 31, v6
	v_lshlrev_b64 v[0:1], 4, v[6:7]
	v_add_co_u32_e32 v0, vcc, v2, v0
	v_addc_co_u32_e32 v1, vcc, v3, v1, vcc
	global_store_dwordx4 v[0:1], v[10:13], off
.LBB246_12:
	s_endpgm
	.section	.rodata,"a",@progbits
	.p2align	6, 0x0
	.amdhsa_kernel _ZL37rocblas_syrkx_herkx_restricted_kernelIi19rocblas_complex_numIdELi16ELi32ELi8ELi1ELi0ELb0ELc67ELc76EKS1_S1_EviT_PT9_S3_lS5_S3_lPT10_S3_li
		.amdhsa_group_segment_fixed_size 8192
		.amdhsa_private_segment_fixed_size 0
		.amdhsa_kernarg_size 84
		.amdhsa_user_sgpr_count 6
		.amdhsa_user_sgpr_private_segment_buffer 1
		.amdhsa_user_sgpr_dispatch_ptr 0
		.amdhsa_user_sgpr_queue_ptr 0
		.amdhsa_user_sgpr_kernarg_segment_ptr 1
		.amdhsa_user_sgpr_dispatch_id 0
		.amdhsa_user_sgpr_flat_scratch_init 0
		.amdhsa_user_sgpr_private_segment_size 0
		.amdhsa_uses_dynamic_stack 0
		.amdhsa_system_sgpr_private_segment_wavefront_offset 0
		.amdhsa_system_sgpr_workgroup_id_x 1
		.amdhsa_system_sgpr_workgroup_id_y 1
		.amdhsa_system_sgpr_workgroup_id_z 1
		.amdhsa_system_sgpr_workgroup_info 0
		.amdhsa_system_vgpr_workitem_id 1
		.amdhsa_next_free_vgpr 52
		.amdhsa_next_free_sgpr 61
		.amdhsa_reserve_vcc 1
		.amdhsa_reserve_flat_scratch 0
		.amdhsa_float_round_mode_32 0
		.amdhsa_float_round_mode_16_64 0
		.amdhsa_float_denorm_mode_32 3
		.amdhsa_float_denorm_mode_16_64 3
		.amdhsa_dx10_clamp 1
		.amdhsa_ieee_mode 1
		.amdhsa_fp16_overflow 0
		.amdhsa_exception_fp_ieee_invalid_op 0
		.amdhsa_exception_fp_denorm_src 0
		.amdhsa_exception_fp_ieee_div_zero 0
		.amdhsa_exception_fp_ieee_overflow 0
		.amdhsa_exception_fp_ieee_underflow 0
		.amdhsa_exception_fp_ieee_inexact 0
		.amdhsa_exception_int_div_zero 0
	.end_amdhsa_kernel
	.section	.text._ZL37rocblas_syrkx_herkx_restricted_kernelIi19rocblas_complex_numIdELi16ELi32ELi8ELi1ELi0ELb0ELc67ELc76EKS1_S1_EviT_PT9_S3_lS5_S3_lPT10_S3_li,"axG",@progbits,_ZL37rocblas_syrkx_herkx_restricted_kernelIi19rocblas_complex_numIdELi16ELi32ELi8ELi1ELi0ELb0ELc67ELc76EKS1_S1_EviT_PT9_S3_lS5_S3_lPT10_S3_li,comdat
.Lfunc_end246:
	.size	_ZL37rocblas_syrkx_herkx_restricted_kernelIi19rocblas_complex_numIdELi16ELi32ELi8ELi1ELi0ELb0ELc67ELc76EKS1_S1_EviT_PT9_S3_lS5_S3_lPT10_S3_li, .Lfunc_end246-_ZL37rocblas_syrkx_herkx_restricted_kernelIi19rocblas_complex_numIdELi16ELi32ELi8ELi1ELi0ELb0ELc67ELc76EKS1_S1_EviT_PT9_S3_lS5_S3_lPT10_S3_li
                                        ; -- End function
	.set _ZL37rocblas_syrkx_herkx_restricted_kernelIi19rocblas_complex_numIdELi16ELi32ELi8ELi1ELi0ELb0ELc67ELc76EKS1_S1_EviT_PT9_S3_lS5_S3_lPT10_S3_li.num_vgpr, 52
	.set _ZL37rocblas_syrkx_herkx_restricted_kernelIi19rocblas_complex_numIdELi16ELi32ELi8ELi1ELi0ELb0ELc67ELc76EKS1_S1_EviT_PT9_S3_lS5_S3_lPT10_S3_li.num_agpr, 0
	.set _ZL37rocblas_syrkx_herkx_restricted_kernelIi19rocblas_complex_numIdELi16ELi32ELi8ELi1ELi0ELb0ELc67ELc76EKS1_S1_EviT_PT9_S3_lS5_S3_lPT10_S3_li.numbered_sgpr, 22
	.set _ZL37rocblas_syrkx_herkx_restricted_kernelIi19rocblas_complex_numIdELi16ELi32ELi8ELi1ELi0ELb0ELc67ELc76EKS1_S1_EviT_PT9_S3_lS5_S3_lPT10_S3_li.num_named_barrier, 0
	.set _ZL37rocblas_syrkx_herkx_restricted_kernelIi19rocblas_complex_numIdELi16ELi32ELi8ELi1ELi0ELb0ELc67ELc76EKS1_S1_EviT_PT9_S3_lS5_S3_lPT10_S3_li.private_seg_size, 0
	.set _ZL37rocblas_syrkx_herkx_restricted_kernelIi19rocblas_complex_numIdELi16ELi32ELi8ELi1ELi0ELb0ELc67ELc76EKS1_S1_EviT_PT9_S3_lS5_S3_lPT10_S3_li.uses_vcc, 1
	.set _ZL37rocblas_syrkx_herkx_restricted_kernelIi19rocblas_complex_numIdELi16ELi32ELi8ELi1ELi0ELb0ELc67ELc76EKS1_S1_EviT_PT9_S3_lS5_S3_lPT10_S3_li.uses_flat_scratch, 0
	.set _ZL37rocblas_syrkx_herkx_restricted_kernelIi19rocblas_complex_numIdELi16ELi32ELi8ELi1ELi0ELb0ELc67ELc76EKS1_S1_EviT_PT9_S3_lS5_S3_lPT10_S3_li.has_dyn_sized_stack, 0
	.set _ZL37rocblas_syrkx_herkx_restricted_kernelIi19rocblas_complex_numIdELi16ELi32ELi8ELi1ELi0ELb0ELc67ELc76EKS1_S1_EviT_PT9_S3_lS5_S3_lPT10_S3_li.has_recursion, 0
	.set _ZL37rocblas_syrkx_herkx_restricted_kernelIi19rocblas_complex_numIdELi16ELi32ELi8ELi1ELi0ELb0ELc67ELc76EKS1_S1_EviT_PT9_S3_lS5_S3_lPT10_S3_li.has_indirect_call, 0
	.section	.AMDGPU.csdata,"",@progbits
; Kernel info:
; codeLenInByte = 2764
; TotalNumSgprs: 26
; NumVgprs: 52
; ScratchSize: 0
; MemoryBound: 0
; FloatMode: 240
; IeeeMode: 1
; LDSByteSize: 8192 bytes/workgroup (compile time only)
; SGPRBlocks: 8
; VGPRBlocks: 12
; NumSGPRsForWavesPerEU: 65
; NumVGPRsForWavesPerEU: 52
; Occupancy: 4
; WaveLimiterHint : 0
; COMPUTE_PGM_RSRC2:SCRATCH_EN: 0
; COMPUTE_PGM_RSRC2:USER_SGPR: 6
; COMPUTE_PGM_RSRC2:TRAP_HANDLER: 0
; COMPUTE_PGM_RSRC2:TGID_X_EN: 1
; COMPUTE_PGM_RSRC2:TGID_Y_EN: 1
; COMPUTE_PGM_RSRC2:TGID_Z_EN: 1
; COMPUTE_PGM_RSRC2:TIDIG_COMP_CNT: 1
	.section	.text._ZL37rocblas_syrkx_herkx_restricted_kernelIi19rocblas_complex_numIdELi16ELi32ELi8ELi1ELi0ELb0ELc78ELc76EKS1_S1_EviT_PT9_S3_lS5_S3_lPT10_S3_li,"axG",@progbits,_ZL37rocblas_syrkx_herkx_restricted_kernelIi19rocblas_complex_numIdELi16ELi32ELi8ELi1ELi0ELb0ELc78ELc76EKS1_S1_EviT_PT9_S3_lS5_S3_lPT10_S3_li,comdat
	.globl	_ZL37rocblas_syrkx_herkx_restricted_kernelIi19rocblas_complex_numIdELi16ELi32ELi8ELi1ELi0ELb0ELc78ELc76EKS1_S1_EviT_PT9_S3_lS5_S3_lPT10_S3_li ; -- Begin function _ZL37rocblas_syrkx_herkx_restricted_kernelIi19rocblas_complex_numIdELi16ELi32ELi8ELi1ELi0ELb0ELc78ELc76EKS1_S1_EviT_PT9_S3_lS5_S3_lPT10_S3_li
	.p2align	8
	.type	_ZL37rocblas_syrkx_herkx_restricted_kernelIi19rocblas_complex_numIdELi16ELi32ELi8ELi1ELi0ELb0ELc78ELc76EKS1_S1_EviT_PT9_S3_lS5_S3_lPT10_S3_li,@function
_ZL37rocblas_syrkx_herkx_restricted_kernelIi19rocblas_complex_numIdELi16ELi32ELi8ELi1ELi0ELb0ELc78ELc76EKS1_S1_EviT_PT9_S3_lS5_S3_lPT10_S3_li: ; @_ZL37rocblas_syrkx_herkx_restricted_kernelIi19rocblas_complex_numIdELi16ELi32ELi8ELi1ELi0ELb0ELc78ELc76EKS1_S1_EviT_PT9_S3_lS5_S3_lPT10_S3_li
; %bb.0:
	s_load_dwordx2 s[10:11], s[4:5], 0x0
	s_load_dwordx4 s[0:3], s[4:5], 0x30
	s_lshl_b32 s9, s6, 5
	s_lshl_b32 s16, s7, 5
	s_mov_b32 s17, 0
	s_waitcnt lgkmcnt(0)
	s_cmp_lt_i32 s11, 1
	s_cbranch_scc1 .LBB247_3
; %bb.1:
	v_lshl_add_u32 v5, v1, 4, v0
	s_load_dword s6, s[4:5], 0x10
	s_load_dword s18, s[4:5], 0x28
	s_load_dwordx2 s[20:21], s[4:5], 0x8
	s_load_dwordx4 s[12:15], s[4:5], 0x18
	v_lshrrev_b32_e32 v6, 3, v5
	v_add_u32_e32 v2, s16, v6
	v_and_b32_e32 v4, 7, v0
	v_ashrrev_i32_e32 v3, 31, v2
	s_waitcnt lgkmcnt(0)
	v_mad_i64_i32 v[2:3], s[22:23], s18, v4, v[2:3]
	v_lshlrev_b32_e32 v4, 4, v4
	v_lshl_or_b32 v4, v6, 7, v4
	v_lshrrev_b32_e32 v7, 5, v5
	v_and_b32_e32 v5, 31, v5
	v_add_u32_e32 v23, 0x1000, v4
	v_mov_b32_e32 v4, 0x1000
	v_lshl_add_u32 v25, v1, 7, v4
	v_add_u32_e32 v4, s9, v5
	v_lshlrev_b32_e32 v8, 4, v5
	v_ashrrev_i32_e32 v5, 31, v4
	v_mad_i64_i32 v[4:5], s[22:23], s6, v7, v[4:5]
	s_mul_i32 s13, s13, s8
	s_mul_hi_u32 s24, s12, s8
	s_add_i32 s13, s24, s13
	s_mul_i32 s12, s12, s8
	s_ashr_i32 s7, s6, 31
	s_ashr_i32 s19, s18, 31
	s_lshl_b64 s[12:13], s[12:13], 4
	v_lshlrev_b64 v[4:5], 4, v[4:5]
	s_add_u32 s12, s20, s12
	s_addc_u32 s13, s21, s13
	v_add_co_u32_e32 v4, vcc, s12, v4
	s_mul_i32 s1, s1, s8
	s_mul_hi_u32 s12, s0, s8
	v_mov_b32_e32 v6, s13
	s_add_i32 s1, s12, s1
	s_mul_i32 s0, s0, s8
	v_addc_co_u32_e32 v5, vcc, v6, v5, vcc
	s_lshl_b64 s[6:7], s[6:7], 7
	s_lshl_b64 s[0:1], s[0:1], 4
	v_add_co_u32_e32 v18, vcc, 8, v4
	v_lshlrev_b64 v[2:3], 4, v[2:3]
	s_add_u32 s0, s14, s0
	v_addc_co_u32_e32 v19, vcc, 0, v5, vcc
	s_addc_u32 s1, s15, s1
	v_mov_b32_e32 v4, s1
	v_add_co_u32_e32 v2, vcc, s0, v2
	v_addc_co_u32_e32 v3, vcc, v4, v3, vcc
	v_add_co_u32_e32 v20, vcc, 8, v2
	v_lshl_or_b32 v22, v7, 9, v8
	v_addc_co_u32_e32 v21, vcc, 0, v3, vcc
	s_lshl_b64 s[0:1], s[18:19], 7
	v_mov_b32_e32 v8, 0
	v_mov_b32_e32 v6, 0
	v_mov_b32_e32 v16, 0
	v_mov_b32_e32 v14, 0
	v_mov_b32_e32 v4, 0
	v_mov_b32_e32 v2, 0
	v_mov_b32_e32 v12, 0
	v_mov_b32_e32 v10, 0
	v_lshlrev_b32_e32 v24, 4, v0
	v_mov_b32_e32 v9, 0
	v_mov_b32_e32 v26, s7
	;; [unrolled: 1-line block ×10, first 2 shown]
.LBB247_2:                              ; =>This Inner Loop Header: Depth=1
	global_load_dwordx4 v[28:31], v[18:19], off offset:-8
	v_add_co_u32_e32 v18, vcc, s6, v18
	v_addc_co_u32_e32 v19, vcc, v19, v26, vcc
	s_add_i32 s17, s17, 8
	s_cmp_ge_i32 s17, s11
	s_waitcnt vmcnt(0)
	ds_write_b128 v22, v[28:31]
	global_load_dwordx4 v[28:31], v[20:21], off offset:-8
	v_add_co_u32_e32 v20, vcc, s0, v20
	v_addc_co_u32_e32 v21, vcc, v21, v27, vcc
	s_waitcnt vmcnt(0)
	ds_write_b128 v23, v[28:31]
	s_waitcnt lgkmcnt(0)
	s_barrier
	ds_read_b128 v[28:31], v25
	ds_read_b128 v[32:35], v25 offset:16
	ds_read_b128 v[36:39], v25 offset:32
	;; [unrolled: 1-line block ×3, first 2 shown]
	ds_read_b128 v[44:47], v24
	s_waitcnt lgkmcnt(0)
	v_mul_f64 v[48:49], v[30:31], v[46:47]
	v_mul_f64 v[50:51], v[28:29], v[46:47]
	v_fma_f64 v[48:49], v[28:29], v[44:45], -v[48:49]
	v_fma_f64 v[50:51], v[30:31], v[44:45], v[50:51]
	v_add_f64 v[48:49], v[10:11], v[48:49]
	v_add_f64 v[50:51], v[50:51], v[12:13]
	ds_read_b128 v[10:13], v24 offset:256
	s_waitcnt lgkmcnt(0)
	v_mul_f64 v[52:53], v[30:31], v[12:13]
	v_fma_f64 v[52:53], v[28:29], v[10:11], -v[52:53]
	v_mul_f64 v[28:29], v[28:29], v[12:13]
	v_fma_f64 v[28:29], v[30:31], v[10:11], v[28:29]
	v_add_f64 v[30:31], v[2:3], v[52:53]
	v_add_f64 v[28:29], v[28:29], v[4:5]
	ds_read_b128 v[2:5], v25 offset:2048
	s_waitcnt lgkmcnt(0)
	v_mul_f64 v[52:53], v[4:5], v[46:47]
	v_mul_f64 v[46:47], v[2:3], v[46:47]
	v_fma_f64 v[52:53], v[2:3], v[44:45], -v[52:53]
	v_fma_f64 v[44:45], v[4:5], v[44:45], v[46:47]
	v_add_f64 v[14:15], v[14:15], v[52:53]
	v_add_f64 v[16:17], v[44:45], v[16:17]
	v_mul_f64 v[44:45], v[4:5], v[12:13]
	v_fma_f64 v[44:45], v[2:3], v[10:11], -v[44:45]
	v_mul_f64 v[2:3], v[2:3], v[12:13]
	v_add_f64 v[44:45], v[6:7], v[44:45]
	v_fma_f64 v[2:3], v[4:5], v[10:11], v[2:3]
	v_add_f64 v[46:47], v[2:3], v[8:9]
	ds_read_b128 v[2:5], v24 offset:512
	s_waitcnt lgkmcnt(0)
	v_mul_f64 v[6:7], v[34:35], v[4:5]
	v_mul_f64 v[8:9], v[32:33], v[4:5]
	v_fma_f64 v[6:7], v[32:33], v[2:3], -v[6:7]
	v_fma_f64 v[8:9], v[34:35], v[2:3], v[8:9]
	v_add_f64 v[48:49], v[48:49], v[6:7]
	v_add_f64 v[50:51], v[8:9], v[50:51]
	ds_read_b128 v[6:9], v24 offset:768
	s_waitcnt lgkmcnt(0)
	v_mul_f64 v[10:11], v[34:35], v[8:9]
	v_mul_f64 v[12:13], v[32:33], v[8:9]
	v_fma_f64 v[10:11], v[32:33], v[6:7], -v[10:11]
	v_fma_f64 v[12:13], v[34:35], v[6:7], v[12:13]
	v_add_f64 v[30:31], v[30:31], v[10:11]
	v_add_f64 v[28:29], v[12:13], v[28:29]
	ds_read_b128 v[10:13], v25 offset:2064
	s_waitcnt lgkmcnt(0)
	v_mul_f64 v[32:33], v[12:13], v[4:5]
	v_mul_f64 v[4:5], v[10:11], v[4:5]
	v_fma_f64 v[32:33], v[10:11], v[2:3], -v[32:33]
	v_fma_f64 v[2:3], v[12:13], v[2:3], v[4:5]
	v_mul_f64 v[4:5], v[10:11], v[8:9]
	v_add_f64 v[14:15], v[14:15], v[32:33]
	v_add_f64 v[16:17], v[2:3], v[16:17]
	v_mul_f64 v[2:3], v[12:13], v[8:9]
	v_fma_f64 v[4:5], v[12:13], v[6:7], v[4:5]
	v_fma_f64 v[2:3], v[10:11], v[6:7], -v[2:3]
	v_add_f64 v[34:35], v[4:5], v[46:47]
	v_add_f64 v[32:33], v[44:45], v[2:3]
	ds_read_b128 v[2:5], v24 offset:1024
	s_waitcnt lgkmcnt(0)
	v_mul_f64 v[6:7], v[38:39], v[4:5]
	v_mul_f64 v[8:9], v[36:37], v[4:5]
	v_fma_f64 v[6:7], v[36:37], v[2:3], -v[6:7]
	v_fma_f64 v[8:9], v[38:39], v[2:3], v[8:9]
	v_add_f64 v[44:45], v[48:49], v[6:7]
	v_add_f64 v[46:47], v[8:9], v[50:51]
	ds_read_b128 v[6:9], v24 offset:1280
	s_waitcnt lgkmcnt(0)
	v_mul_f64 v[10:11], v[38:39], v[8:9]
	v_mul_f64 v[12:13], v[36:37], v[8:9]
	v_fma_f64 v[10:11], v[36:37], v[6:7], -v[10:11]
	v_fma_f64 v[12:13], v[38:39], v[6:7], v[12:13]
	v_add_f64 v[30:31], v[30:31], v[10:11]
	v_add_f64 v[28:29], v[12:13], v[28:29]
	ds_read_b128 v[10:13], v25 offset:2080
	s_waitcnt lgkmcnt(0)
	v_mul_f64 v[36:37], v[12:13], v[4:5]
	v_mul_f64 v[4:5], v[10:11], v[4:5]
	v_fma_f64 v[36:37], v[10:11], v[2:3], -v[36:37]
	v_fma_f64 v[2:3], v[12:13], v[2:3], v[4:5]
	v_mul_f64 v[4:5], v[10:11], v[8:9]
	v_add_f64 v[14:15], v[14:15], v[36:37]
	v_add_f64 v[16:17], v[2:3], v[16:17]
	v_mul_f64 v[2:3], v[12:13], v[8:9]
	v_fma_f64 v[4:5], v[12:13], v[6:7], v[4:5]
	v_fma_f64 v[2:3], v[10:11], v[6:7], -v[2:3]
	v_add_f64 v[34:35], v[4:5], v[34:35]
	;; [unrolled: 30-line block ×3, first 2 shown]
	v_add_f64 v[32:33], v[32:33], v[2:3]
	ds_read_b128 v[2:5], v25 offset:64
	ds_read_b128 v[6:9], v24 offset:2048
	s_waitcnt lgkmcnt(0)
	v_mul_f64 v[10:11], v[4:5], v[8:9]
	v_mul_f64 v[12:13], v[2:3], v[8:9]
	v_fma_f64 v[10:11], v[2:3], v[6:7], -v[10:11]
	v_fma_f64 v[12:13], v[4:5], v[6:7], v[12:13]
	v_add_f64 v[36:37], v[36:37], v[10:11]
	v_add_f64 v[38:39], v[12:13], v[38:39]
	ds_read_b128 v[10:13], v24 offset:2304
	s_waitcnt lgkmcnt(0)
	v_mul_f64 v[40:41], v[4:5], v[12:13]
	v_fma_f64 v[40:41], v[2:3], v[10:11], -v[40:41]
	v_mul_f64 v[2:3], v[2:3], v[12:13]
	v_add_f64 v[30:31], v[30:31], v[40:41]
	v_fma_f64 v[2:3], v[4:5], v[10:11], v[2:3]
	v_add_f64 v[28:29], v[2:3], v[28:29]
	ds_read_b128 v[2:5], v25 offset:2112
	s_waitcnt lgkmcnt(0)
	v_mul_f64 v[40:41], v[4:5], v[8:9]
	v_mul_f64 v[8:9], v[2:3], v[8:9]
	v_fma_f64 v[40:41], v[2:3], v[6:7], -v[40:41]
	v_fma_f64 v[6:7], v[4:5], v[6:7], v[8:9]
	v_add_f64 v[14:15], v[14:15], v[40:41]
	v_add_f64 v[16:17], v[6:7], v[16:17]
	v_mul_f64 v[6:7], v[4:5], v[12:13]
	v_fma_f64 v[6:7], v[2:3], v[10:11], -v[6:7]
	v_mul_f64 v[2:3], v[2:3], v[12:13]
	v_add_f64 v[32:33], v[32:33], v[6:7]
	v_fma_f64 v[2:3], v[4:5], v[10:11], v[2:3]
	v_add_f64 v[34:35], v[2:3], v[34:35]
	ds_read_b128 v[2:5], v25 offset:80
	ds_read_b128 v[6:9], v24 offset:2560
	s_waitcnt lgkmcnt(0)
	v_mul_f64 v[10:11], v[4:5], v[8:9]
	v_mul_f64 v[12:13], v[2:3], v[8:9]
	v_fma_f64 v[10:11], v[2:3], v[6:7], -v[10:11]
	v_fma_f64 v[12:13], v[4:5], v[6:7], v[12:13]
	v_add_f64 v[36:37], v[36:37], v[10:11]
	v_add_f64 v[38:39], v[12:13], v[38:39]
	ds_read_b128 v[10:13], v24 offset:2816
	s_waitcnt lgkmcnt(0)
	v_mul_f64 v[40:41], v[4:5], v[12:13]
	v_fma_f64 v[40:41], v[2:3], v[10:11], -v[40:41]
	v_mul_f64 v[2:3], v[2:3], v[12:13]
	v_add_f64 v[30:31], v[30:31], v[40:41]
	v_fma_f64 v[2:3], v[4:5], v[10:11], v[2:3]
	v_add_f64 v[28:29], v[2:3], v[28:29]
	ds_read_b128 v[2:5], v25 offset:2128
	s_waitcnt lgkmcnt(0)
	v_mul_f64 v[40:41], v[4:5], v[8:9]
	v_mul_f64 v[8:9], v[2:3], v[8:9]
	v_fma_f64 v[40:41], v[2:3], v[6:7], -v[40:41]
	v_fma_f64 v[6:7], v[4:5], v[6:7], v[8:9]
	v_add_f64 v[14:15], v[14:15], v[40:41]
	v_add_f64 v[16:17], v[6:7], v[16:17]
	v_mul_f64 v[6:7], v[4:5], v[12:13]
	v_fma_f64 v[6:7], v[2:3], v[10:11], -v[6:7]
	v_mul_f64 v[2:3], v[2:3], v[12:13]
	v_add_f64 v[32:33], v[32:33], v[6:7]
	v_fma_f64 v[2:3], v[4:5], v[10:11], v[2:3]
	;; [unrolled: 31-line block ×3, first 2 shown]
	v_add_f64 v[46:47], v[2:3], v[34:35]
	ds_read_b128 v[2:5], v25 offset:112
	ds_read_b128 v[6:9], v24 offset:3584
	;; [unrolled: 1-line block ×3, first 2 shown]
	s_waitcnt lgkmcnt(1)
	v_mul_f64 v[10:11], v[4:5], v[8:9]
	s_waitcnt lgkmcnt(0)
	v_mul_f64 v[32:33], v[4:5], v[30:31]
	v_mul_f64 v[12:13], v[2:3], v[8:9]
	v_fma_f64 v[10:11], v[2:3], v[6:7], -v[10:11]
	v_fma_f64 v[32:33], v[2:3], v[28:29], -v[32:33]
	v_mul_f64 v[2:3], v[2:3], v[30:31]
	v_fma_f64 v[12:13], v[4:5], v[6:7], v[12:13]
	v_add_f64 v[10:11], v[36:37], v[10:11]
	v_fma_f64 v[4:5], v[4:5], v[28:29], v[2:3]
	v_add_f64 v[2:3], v[40:41], v[32:33]
	ds_read_b128 v[32:35], v25 offset:2160
	v_add_f64 v[12:13], v[12:13], v[38:39]
	s_waitcnt lgkmcnt(0)
	s_barrier
	v_mul_f64 v[36:37], v[34:35], v[8:9]
	v_mul_f64 v[8:9], v[32:33], v[8:9]
	v_add_f64 v[4:5], v[4:5], v[42:43]
	v_fma_f64 v[36:37], v[32:33], v[6:7], -v[36:37]
	v_fma_f64 v[6:7], v[34:35], v[6:7], v[8:9]
	v_mul_f64 v[8:9], v[32:33], v[30:31]
	v_add_f64 v[14:15], v[14:15], v[36:37]
	v_add_f64 v[16:17], v[6:7], v[16:17]
	v_mul_f64 v[6:7], v[34:35], v[30:31]
	v_fma_f64 v[8:9], v[34:35], v[28:29], v[8:9]
	v_fma_f64 v[6:7], v[32:33], v[28:29], -v[6:7]
	v_add_f64 v[8:9], v[8:9], v[46:47]
	v_add_f64 v[6:7], v[44:45], v[6:7]
	s_cbranch_scc0 .LBB247_2
	s_branch .LBB247_4
.LBB247_3:
	v_mov_b32_e32 v10, 0
	v_mov_b32_e32 v12, 0
	;; [unrolled: 1-line block ×16, first 2 shown]
.LBB247_4:
	s_load_dwordx2 s[0:1], s[4:5], 0x48
	s_load_dword s6, s[4:5], 0x40
	v_add_u32_e32 v18, s16, v1
	v_add_u32_e32 v0, s9, v0
	s_waitcnt lgkmcnt(0)
	s_mul_i32 s1, s1, s8
	s_mul_hi_u32 s4, s0, s8
	s_add_i32 s1, s4, s1
	v_mad_i64_i32 v[19:20], s[4:5], v18, s6, 0
	s_mul_i32 s0, s0, s8
	s_lshl_b64 s[0:1], s[0:1], 4
	s_add_u32 s7, s2, s0
	v_lshlrev_b64 v[19:20], 4, v[19:20]
	s_addc_u32 s8, s3, s1
	v_mov_b32_e32 v1, s8
	v_add_co_u32_e32 v19, vcc, s7, v19
	v_addc_co_u32_e32 v20, vcc, v1, v20, vcc
	v_cmp_le_i32_e64 s[0:1], v18, v0
	v_cmp_gt_i32_e32 vcc, s10, v0
	s_and_b64 s[0:1], s[0:1], vcc
	s_and_saveexec_b64 s[2:3], s[0:1]
	s_cbranch_execz .LBB247_6
; %bb.5:
	v_ashrrev_i32_e32 v1, 31, v0
	v_lshlrev_b64 v[21:22], 4, v[0:1]
	v_add_co_u32_e64 v21, s[0:1], v19, v21
	v_addc_co_u32_e64 v22, s[0:1], v20, v22, s[0:1]
	global_store_dwordx4 v[21:22], v[10:13], off
.LBB247_6:
	s_or_b64 exec, exec, s[2:3]
	v_add_u32_e32 v10, 16, v0
	v_cmp_le_i32_e64 s[2:3], v18, v10
	v_cmp_gt_i32_e64 s[0:1], s10, v10
	s_and_b64 s[2:3], s[2:3], s[0:1]
	s_and_saveexec_b64 s[4:5], s[2:3]
	s_cbranch_execz .LBB247_8
; %bb.7:
	v_ashrrev_i32_e32 v11, 31, v10
	v_lshlrev_b64 v[11:12], 4, v[10:11]
	v_add_co_u32_e64 v11, s[2:3], v19, v11
	v_addc_co_u32_e64 v12, s[2:3], v20, v12, s[2:3]
	global_store_dwordx4 v[11:12], v[2:5], off
.LBB247_8:
	s_or_b64 exec, exec, s[4:5]
	v_add_u32_e32 v4, 16, v18
	v_mad_i64_i32 v[1:2], s[2:3], v4, s6, 0
	v_mov_b32_e32 v5, s8
	v_lshlrev_b64 v[2:3], 4, v[1:2]
	v_add_co_u32_e64 v2, s[2:3], s7, v2
	v_addc_co_u32_e64 v3, s[2:3], v5, v3, s[2:3]
	v_cmp_le_i32_e64 s[2:3], v4, v0
	s_and_b64 s[4:5], s[2:3], vcc
	s_and_saveexec_b64 s[2:3], s[4:5]
	s_cbranch_execz .LBB247_10
; %bb.9:
	v_ashrrev_i32_e32 v1, 31, v0
	v_lshlrev_b64 v[0:1], 4, v[0:1]
	v_add_co_u32_e32 v0, vcc, v2, v0
	v_addc_co_u32_e32 v1, vcc, v3, v1, vcc
	global_store_dwordx4 v[0:1], v[14:17], off
.LBB247_10:
	s_or_b64 exec, exec, s[2:3]
	v_cmp_le_i32_e32 vcc, v4, v10
	s_and_b64 s[0:1], vcc, s[0:1]
	s_and_saveexec_b64 s[2:3], s[0:1]
	s_cbranch_execz .LBB247_12
; %bb.11:
	v_ashrrev_i32_e32 v11, 31, v10
	v_lshlrev_b64 v[0:1], 4, v[10:11]
	v_add_co_u32_e32 v0, vcc, v2, v0
	v_addc_co_u32_e32 v1, vcc, v3, v1, vcc
	global_store_dwordx4 v[0:1], v[6:9], off
.LBB247_12:
	s_endpgm
	.section	.rodata,"a",@progbits
	.p2align	6, 0x0
	.amdhsa_kernel _ZL37rocblas_syrkx_herkx_restricted_kernelIi19rocblas_complex_numIdELi16ELi32ELi8ELi1ELi0ELb0ELc78ELc76EKS1_S1_EviT_PT9_S3_lS5_S3_lPT10_S3_li
		.amdhsa_group_segment_fixed_size 8192
		.amdhsa_private_segment_fixed_size 0
		.amdhsa_kernarg_size 84
		.amdhsa_user_sgpr_count 6
		.amdhsa_user_sgpr_private_segment_buffer 1
		.amdhsa_user_sgpr_dispatch_ptr 0
		.amdhsa_user_sgpr_queue_ptr 0
		.amdhsa_user_sgpr_kernarg_segment_ptr 1
		.amdhsa_user_sgpr_dispatch_id 0
		.amdhsa_user_sgpr_flat_scratch_init 0
		.amdhsa_user_sgpr_private_segment_size 0
		.amdhsa_uses_dynamic_stack 0
		.amdhsa_system_sgpr_private_segment_wavefront_offset 0
		.amdhsa_system_sgpr_workgroup_id_x 1
		.amdhsa_system_sgpr_workgroup_id_y 1
		.amdhsa_system_sgpr_workgroup_id_z 1
		.amdhsa_system_sgpr_workgroup_info 0
		.amdhsa_system_vgpr_workitem_id 1
		.amdhsa_next_free_vgpr 54
		.amdhsa_next_free_sgpr 61
		.amdhsa_reserve_vcc 1
		.amdhsa_reserve_flat_scratch 0
		.amdhsa_float_round_mode_32 0
		.amdhsa_float_round_mode_16_64 0
		.amdhsa_float_denorm_mode_32 3
		.amdhsa_float_denorm_mode_16_64 3
		.amdhsa_dx10_clamp 1
		.amdhsa_ieee_mode 1
		.amdhsa_fp16_overflow 0
		.amdhsa_exception_fp_ieee_invalid_op 0
		.amdhsa_exception_fp_denorm_src 0
		.amdhsa_exception_fp_ieee_div_zero 0
		.amdhsa_exception_fp_ieee_overflow 0
		.amdhsa_exception_fp_ieee_underflow 0
		.amdhsa_exception_fp_ieee_inexact 0
		.amdhsa_exception_int_div_zero 0
	.end_amdhsa_kernel
	.section	.text._ZL37rocblas_syrkx_herkx_restricted_kernelIi19rocblas_complex_numIdELi16ELi32ELi8ELi1ELi0ELb0ELc78ELc76EKS1_S1_EviT_PT9_S3_lS5_S3_lPT10_S3_li,"axG",@progbits,_ZL37rocblas_syrkx_herkx_restricted_kernelIi19rocblas_complex_numIdELi16ELi32ELi8ELi1ELi0ELb0ELc78ELc76EKS1_S1_EviT_PT9_S3_lS5_S3_lPT10_S3_li,comdat
.Lfunc_end247:
	.size	_ZL37rocblas_syrkx_herkx_restricted_kernelIi19rocblas_complex_numIdELi16ELi32ELi8ELi1ELi0ELb0ELc78ELc76EKS1_S1_EviT_PT9_S3_lS5_S3_lPT10_S3_li, .Lfunc_end247-_ZL37rocblas_syrkx_herkx_restricted_kernelIi19rocblas_complex_numIdELi16ELi32ELi8ELi1ELi0ELb0ELc78ELc76EKS1_S1_EviT_PT9_S3_lS5_S3_lPT10_S3_li
                                        ; -- End function
	.set _ZL37rocblas_syrkx_herkx_restricted_kernelIi19rocblas_complex_numIdELi16ELi32ELi8ELi1ELi0ELb0ELc78ELc76EKS1_S1_EviT_PT9_S3_lS5_S3_lPT10_S3_li.num_vgpr, 54
	.set _ZL37rocblas_syrkx_herkx_restricted_kernelIi19rocblas_complex_numIdELi16ELi32ELi8ELi1ELi0ELb0ELc78ELc76EKS1_S1_EviT_PT9_S3_lS5_S3_lPT10_S3_li.num_agpr, 0
	.set _ZL37rocblas_syrkx_herkx_restricted_kernelIi19rocblas_complex_numIdELi16ELi32ELi8ELi1ELi0ELb0ELc78ELc76EKS1_S1_EviT_PT9_S3_lS5_S3_lPT10_S3_li.numbered_sgpr, 25
	.set _ZL37rocblas_syrkx_herkx_restricted_kernelIi19rocblas_complex_numIdELi16ELi32ELi8ELi1ELi0ELb0ELc78ELc76EKS1_S1_EviT_PT9_S3_lS5_S3_lPT10_S3_li.num_named_barrier, 0
	.set _ZL37rocblas_syrkx_herkx_restricted_kernelIi19rocblas_complex_numIdELi16ELi32ELi8ELi1ELi0ELb0ELc78ELc76EKS1_S1_EviT_PT9_S3_lS5_S3_lPT10_S3_li.private_seg_size, 0
	.set _ZL37rocblas_syrkx_herkx_restricted_kernelIi19rocblas_complex_numIdELi16ELi32ELi8ELi1ELi0ELb0ELc78ELc76EKS1_S1_EviT_PT9_S3_lS5_S3_lPT10_S3_li.uses_vcc, 1
	.set _ZL37rocblas_syrkx_herkx_restricted_kernelIi19rocblas_complex_numIdELi16ELi32ELi8ELi1ELi0ELb0ELc78ELc76EKS1_S1_EviT_PT9_S3_lS5_S3_lPT10_S3_li.uses_flat_scratch, 0
	.set _ZL37rocblas_syrkx_herkx_restricted_kernelIi19rocblas_complex_numIdELi16ELi32ELi8ELi1ELi0ELb0ELc78ELc76EKS1_S1_EviT_PT9_S3_lS5_S3_lPT10_S3_li.has_dyn_sized_stack, 0
	.set _ZL37rocblas_syrkx_herkx_restricted_kernelIi19rocblas_complex_numIdELi16ELi32ELi8ELi1ELi0ELb0ELc78ELc76EKS1_S1_EviT_PT9_S3_lS5_S3_lPT10_S3_li.has_recursion, 0
	.set _ZL37rocblas_syrkx_herkx_restricted_kernelIi19rocblas_complex_numIdELi16ELi32ELi8ELi1ELi0ELb0ELc78ELc76EKS1_S1_EviT_PT9_S3_lS5_S3_lPT10_S3_li.has_indirect_call, 0
	.section	.AMDGPU.csdata,"",@progbits
; Kernel info:
; codeLenInByte = 2780
; TotalNumSgprs: 29
; NumVgprs: 54
; ScratchSize: 0
; MemoryBound: 0
; FloatMode: 240
; IeeeMode: 1
; LDSByteSize: 8192 bytes/workgroup (compile time only)
; SGPRBlocks: 8
; VGPRBlocks: 13
; NumSGPRsForWavesPerEU: 65
; NumVGPRsForWavesPerEU: 54
; Occupancy: 4
; WaveLimiterHint : 0
; COMPUTE_PGM_RSRC2:SCRATCH_EN: 0
; COMPUTE_PGM_RSRC2:USER_SGPR: 6
; COMPUTE_PGM_RSRC2:TRAP_HANDLER: 0
; COMPUTE_PGM_RSRC2:TGID_X_EN: 1
; COMPUTE_PGM_RSRC2:TGID_Y_EN: 1
; COMPUTE_PGM_RSRC2:TGID_Z_EN: 1
; COMPUTE_PGM_RSRC2:TIDIG_COMP_CNT: 1
	.section	.text._ZL37rocblas_syrkx_herkx_restricted_kernelIi19rocblas_complex_numIdELi16ELi32ELi8ELi1ELi0ELb0ELc84ELc85EKS1_S1_EviT_PT9_S3_lS5_S3_lPT10_S3_li,"axG",@progbits,_ZL37rocblas_syrkx_herkx_restricted_kernelIi19rocblas_complex_numIdELi16ELi32ELi8ELi1ELi0ELb0ELc84ELc85EKS1_S1_EviT_PT9_S3_lS5_S3_lPT10_S3_li,comdat
	.globl	_ZL37rocblas_syrkx_herkx_restricted_kernelIi19rocblas_complex_numIdELi16ELi32ELi8ELi1ELi0ELb0ELc84ELc85EKS1_S1_EviT_PT9_S3_lS5_S3_lPT10_S3_li ; -- Begin function _ZL37rocblas_syrkx_herkx_restricted_kernelIi19rocblas_complex_numIdELi16ELi32ELi8ELi1ELi0ELb0ELc84ELc85EKS1_S1_EviT_PT9_S3_lS5_S3_lPT10_S3_li
	.p2align	8
	.type	_ZL37rocblas_syrkx_herkx_restricted_kernelIi19rocblas_complex_numIdELi16ELi32ELi8ELi1ELi0ELb0ELc84ELc85EKS1_S1_EviT_PT9_S3_lS5_S3_lPT10_S3_li,@function
_ZL37rocblas_syrkx_herkx_restricted_kernelIi19rocblas_complex_numIdELi16ELi32ELi8ELi1ELi0ELb0ELc84ELc85EKS1_S1_EviT_PT9_S3_lS5_S3_lPT10_S3_li: ; @_ZL37rocblas_syrkx_herkx_restricted_kernelIi19rocblas_complex_numIdELi16ELi32ELi8ELi1ELi0ELb0ELc84ELc85EKS1_S1_EviT_PT9_S3_lS5_S3_lPT10_S3_li
; %bb.0:
	s_load_dwordx2 s[10:11], s[4:5], 0x0
	s_load_dwordx4 s[0:3], s[4:5], 0x30
	s_lshl_b32 s6, s6, 5
	s_lshl_b32 s7, s7, 5
	s_mov_b32 s9, 0
	s_waitcnt lgkmcnt(0)
	s_cmp_lt_i32 s11, 1
	s_cbranch_scc1 .LBB248_3
; %bb.1:
	s_load_dwordx2 s[16:17], s[4:5], 0x8
	s_load_dword s20, s[4:5], 0x10
	s_load_dwordx4 s[12:15], s[4:5], 0x18
	s_load_dword s18, s[4:5], 0x28
	v_lshl_add_u32 v6, v1, 4, v0
	v_lshrrev_b32_e32 v8, 3, v6
	v_add_u32_e32 v4, s7, v8
	v_and_b32_e32 v2, 7, v0
	v_mov_b32_e32 v3, 0
	s_waitcnt lgkmcnt(0)
	v_mad_i64_i32 v[4:5], s[18:19], s18, v4, v[2:3]
	v_lshlrev_b32_e32 v2, 4, v2
	v_lshl_or_b32 v2, v8, 7, v2
	v_and_b32_e32 v9, 31, v6
	v_add_u32_e32 v23, 0x1000, v2
	v_mov_b32_e32 v2, 0x1000
	v_lshrrev_b32_e32 v6, 5, v6
	v_mov_b32_e32 v7, v3
	v_lshlrev_b32_e32 v3, 4, v9
	v_lshl_add_u32 v25, v1, 7, v2
	v_add_u32_e32 v2, s6, v9
	v_lshl_or_b32 v22, v6, 9, v3
	v_mad_i64_i32 v[2:3], s[18:19], s20, v2, v[6:7]
	s_mul_i32 s13, s13, s8
	s_mul_hi_u32 s21, s12, s8
	s_add_i32 s13, s21, s13
	s_mul_i32 s12, s12, s8
	s_lshl_b64 s[12:13], s[12:13], 4
	v_lshlrev_b64 v[2:3], 4, v[2:3]
	s_add_u32 s12, s16, s12
	s_addc_u32 s13, s17, s13
	v_mov_b32_e32 v6, s13
	v_add_co_u32_e32 v2, vcc, s12, v2
	s_mul_i32 s1, s1, s8
	s_mul_hi_u32 s12, s0, s8
	v_addc_co_u32_e32 v3, vcc, v6, v3, vcc
	s_add_i32 s1, s12, s1
	s_mul_i32 s0, s0, s8
	v_add_co_u32_e32 v18, vcc, 8, v2
	s_lshl_b64 s[0:1], s[0:1], 4
	v_addc_co_u32_e32 v19, vcc, 0, v3, vcc
	v_lshlrev_b64 v[2:3], 4, v[4:5]
	s_add_u32 s0, s14, s0
	s_addc_u32 s1, s15, s1
	v_mov_b32_e32 v4, s1
	v_add_co_u32_e32 v20, vcc, s0, v2
	v_addc_co_u32_e32 v21, vcc, v4, v3, vcc
	v_mov_b32_e32 v12, 0
	v_mov_b32_e32 v10, 0
	;; [unrolled: 1-line block ×8, first 2 shown]
	v_add_co_u32_e32 v20, vcc, 8, v20
	v_lshlrev_b32_e32 v24, 4, v0
	v_mov_b32_e32 v13, 0
	v_mov_b32_e32 v11, 0
	;; [unrolled: 1-line block ×8, first 2 shown]
	v_addc_co_u32_e32 v21, vcc, 0, v21, vcc
.LBB248_2:                              ; =>This Inner Loop Header: Depth=1
	global_load_dwordx4 v[26:29], v[18:19], off offset:-8
	v_add_co_u32_e32 v18, vcc, 0x80, v18
	v_addc_co_u32_e32 v19, vcc, 0, v19, vcc
	s_add_i32 s9, s9, 8
	s_cmp_ge_i32 s9, s11
	s_waitcnt vmcnt(0)
	ds_write_b128 v22, v[26:29]
	global_load_dwordx4 v[26:29], v[20:21], off offset:-8
	v_add_co_u32_e32 v20, vcc, 0x80, v20
	v_addc_co_u32_e32 v21, vcc, 0, v21, vcc
	s_waitcnt vmcnt(0)
	ds_write_b128 v23, v[26:29]
	s_waitcnt lgkmcnt(0)
	s_barrier
	ds_read_b128 v[26:29], v25
	ds_read_b128 v[30:33], v25 offset:16
	ds_read_b128 v[34:37], v25 offset:32
	;; [unrolled: 1-line block ×3, first 2 shown]
	ds_read_b128 v[42:45], v24
	s_waitcnt lgkmcnt(0)
	v_mul_f64 v[46:47], v[28:29], v[44:45]
	v_mul_f64 v[48:49], v[26:27], v[44:45]
	v_fma_f64 v[46:47], v[26:27], v[42:43], -v[46:47]
	v_fma_f64 v[48:49], v[28:29], v[42:43], v[48:49]
	v_add_f64 v[46:47], v[6:7], v[46:47]
	v_add_f64 v[48:49], v[48:49], v[8:9]
	ds_read_b128 v[6:9], v24 offset:256
	s_waitcnt lgkmcnt(0)
	v_mul_f64 v[50:51], v[28:29], v[8:9]
	v_fma_f64 v[50:51], v[26:27], v[6:7], -v[50:51]
	v_mul_f64 v[26:27], v[26:27], v[8:9]
	v_fma_f64 v[26:27], v[28:29], v[6:7], v[26:27]
	v_add_f64 v[28:29], v[2:3], v[50:51]
	v_add_f64 v[26:27], v[26:27], v[4:5]
	ds_read_b128 v[2:5], v25 offset:2048
	s_waitcnt lgkmcnt(0)
	v_mul_f64 v[50:51], v[4:5], v[44:45]
	v_mul_f64 v[44:45], v[2:3], v[44:45]
	v_fma_f64 v[50:51], v[2:3], v[42:43], -v[50:51]
	v_fma_f64 v[42:43], v[4:5], v[42:43], v[44:45]
	v_add_f64 v[14:15], v[14:15], v[50:51]
	v_add_f64 v[16:17], v[42:43], v[16:17]
	v_mul_f64 v[42:43], v[4:5], v[8:9]
	v_fma_f64 v[42:43], v[2:3], v[6:7], -v[42:43]
	v_mul_f64 v[2:3], v[2:3], v[8:9]
	v_add_f64 v[42:43], v[10:11], v[42:43]
	v_fma_f64 v[2:3], v[4:5], v[6:7], v[2:3]
	v_add_f64 v[44:45], v[2:3], v[12:13]
	ds_read_b128 v[2:5], v24 offset:512
	s_waitcnt lgkmcnt(0)
	v_mul_f64 v[6:7], v[32:33], v[4:5]
	v_mul_f64 v[8:9], v[30:31], v[4:5]
	v_fma_f64 v[6:7], v[30:31], v[2:3], -v[6:7]
	v_fma_f64 v[8:9], v[32:33], v[2:3], v[8:9]
	v_add_f64 v[46:47], v[46:47], v[6:7]
	v_add_f64 v[48:49], v[8:9], v[48:49]
	ds_read_b128 v[6:9], v24 offset:768
	s_waitcnt lgkmcnt(0)
	v_mul_f64 v[10:11], v[32:33], v[8:9]
	v_mul_f64 v[12:13], v[30:31], v[8:9]
	v_fma_f64 v[10:11], v[30:31], v[6:7], -v[10:11]
	v_fma_f64 v[12:13], v[32:33], v[6:7], v[12:13]
	v_add_f64 v[28:29], v[28:29], v[10:11]
	v_add_f64 v[26:27], v[12:13], v[26:27]
	ds_read_b128 v[10:13], v25 offset:2064
	s_waitcnt lgkmcnt(0)
	v_mul_f64 v[30:31], v[12:13], v[4:5]
	v_mul_f64 v[4:5], v[10:11], v[4:5]
	v_fma_f64 v[30:31], v[10:11], v[2:3], -v[30:31]
	v_fma_f64 v[2:3], v[12:13], v[2:3], v[4:5]
	v_mul_f64 v[4:5], v[10:11], v[8:9]
	v_add_f64 v[14:15], v[14:15], v[30:31]
	v_add_f64 v[16:17], v[2:3], v[16:17]
	v_mul_f64 v[2:3], v[12:13], v[8:9]
	v_fma_f64 v[4:5], v[12:13], v[6:7], v[4:5]
	v_fma_f64 v[2:3], v[10:11], v[6:7], -v[2:3]
	v_add_f64 v[32:33], v[4:5], v[44:45]
	v_add_f64 v[30:31], v[42:43], v[2:3]
	ds_read_b128 v[2:5], v24 offset:1024
	s_waitcnt lgkmcnt(0)
	v_mul_f64 v[6:7], v[36:37], v[4:5]
	v_mul_f64 v[8:9], v[34:35], v[4:5]
	v_fma_f64 v[6:7], v[34:35], v[2:3], -v[6:7]
	v_fma_f64 v[8:9], v[36:37], v[2:3], v[8:9]
	v_add_f64 v[42:43], v[46:47], v[6:7]
	v_add_f64 v[44:45], v[8:9], v[48:49]
	ds_read_b128 v[6:9], v24 offset:1280
	s_waitcnt lgkmcnt(0)
	v_mul_f64 v[10:11], v[36:37], v[8:9]
	v_mul_f64 v[12:13], v[34:35], v[8:9]
	v_fma_f64 v[10:11], v[34:35], v[6:7], -v[10:11]
	v_fma_f64 v[12:13], v[36:37], v[6:7], v[12:13]
	v_add_f64 v[28:29], v[28:29], v[10:11]
	v_add_f64 v[26:27], v[12:13], v[26:27]
	ds_read_b128 v[10:13], v25 offset:2080
	s_waitcnt lgkmcnt(0)
	v_mul_f64 v[34:35], v[12:13], v[4:5]
	v_mul_f64 v[4:5], v[10:11], v[4:5]
	v_fma_f64 v[34:35], v[10:11], v[2:3], -v[34:35]
	v_fma_f64 v[2:3], v[12:13], v[2:3], v[4:5]
	v_mul_f64 v[4:5], v[10:11], v[8:9]
	v_add_f64 v[14:15], v[14:15], v[34:35]
	v_add_f64 v[16:17], v[2:3], v[16:17]
	v_mul_f64 v[2:3], v[12:13], v[8:9]
	v_fma_f64 v[4:5], v[12:13], v[6:7], v[4:5]
	v_fma_f64 v[2:3], v[10:11], v[6:7], -v[2:3]
	v_add_f64 v[32:33], v[4:5], v[32:33]
	;; [unrolled: 30-line block ×3, first 2 shown]
	v_add_f64 v[30:31], v[30:31], v[2:3]
	ds_read_b128 v[2:5], v25 offset:64
	ds_read_b128 v[6:9], v24 offset:2048
	s_waitcnt lgkmcnt(0)
	v_mul_f64 v[10:11], v[4:5], v[8:9]
	v_mul_f64 v[12:13], v[2:3], v[8:9]
	v_fma_f64 v[10:11], v[2:3], v[6:7], -v[10:11]
	v_fma_f64 v[12:13], v[4:5], v[6:7], v[12:13]
	v_add_f64 v[34:35], v[34:35], v[10:11]
	v_add_f64 v[36:37], v[12:13], v[36:37]
	ds_read_b128 v[10:13], v24 offset:2304
	s_waitcnt lgkmcnt(0)
	v_mul_f64 v[38:39], v[4:5], v[12:13]
	v_fma_f64 v[38:39], v[2:3], v[10:11], -v[38:39]
	v_mul_f64 v[2:3], v[2:3], v[12:13]
	v_add_f64 v[28:29], v[28:29], v[38:39]
	v_fma_f64 v[2:3], v[4:5], v[10:11], v[2:3]
	v_add_f64 v[26:27], v[2:3], v[26:27]
	ds_read_b128 v[2:5], v25 offset:2112
	s_waitcnt lgkmcnt(0)
	v_mul_f64 v[38:39], v[4:5], v[8:9]
	v_mul_f64 v[8:9], v[2:3], v[8:9]
	v_fma_f64 v[38:39], v[2:3], v[6:7], -v[38:39]
	v_fma_f64 v[6:7], v[4:5], v[6:7], v[8:9]
	v_add_f64 v[14:15], v[14:15], v[38:39]
	v_add_f64 v[16:17], v[6:7], v[16:17]
	v_mul_f64 v[6:7], v[4:5], v[12:13]
	v_fma_f64 v[6:7], v[2:3], v[10:11], -v[6:7]
	v_mul_f64 v[2:3], v[2:3], v[12:13]
	v_add_f64 v[30:31], v[30:31], v[6:7]
	v_fma_f64 v[2:3], v[4:5], v[10:11], v[2:3]
	v_add_f64 v[32:33], v[2:3], v[32:33]
	ds_read_b128 v[2:5], v25 offset:80
	ds_read_b128 v[6:9], v24 offset:2560
	s_waitcnt lgkmcnt(0)
	v_mul_f64 v[10:11], v[4:5], v[8:9]
	v_mul_f64 v[12:13], v[2:3], v[8:9]
	v_fma_f64 v[10:11], v[2:3], v[6:7], -v[10:11]
	v_fma_f64 v[12:13], v[4:5], v[6:7], v[12:13]
	v_add_f64 v[34:35], v[34:35], v[10:11]
	v_add_f64 v[36:37], v[12:13], v[36:37]
	ds_read_b128 v[10:13], v24 offset:2816
	s_waitcnt lgkmcnt(0)
	v_mul_f64 v[38:39], v[4:5], v[12:13]
	v_fma_f64 v[38:39], v[2:3], v[10:11], -v[38:39]
	v_mul_f64 v[2:3], v[2:3], v[12:13]
	v_add_f64 v[28:29], v[28:29], v[38:39]
	v_fma_f64 v[2:3], v[4:5], v[10:11], v[2:3]
	v_add_f64 v[26:27], v[2:3], v[26:27]
	ds_read_b128 v[2:5], v25 offset:2128
	s_waitcnt lgkmcnt(0)
	v_mul_f64 v[38:39], v[4:5], v[8:9]
	v_mul_f64 v[8:9], v[2:3], v[8:9]
	v_fma_f64 v[38:39], v[2:3], v[6:7], -v[38:39]
	v_fma_f64 v[6:7], v[4:5], v[6:7], v[8:9]
	v_add_f64 v[14:15], v[14:15], v[38:39]
	v_add_f64 v[16:17], v[6:7], v[16:17]
	v_mul_f64 v[6:7], v[4:5], v[12:13]
	v_fma_f64 v[6:7], v[2:3], v[10:11], -v[6:7]
	v_mul_f64 v[2:3], v[2:3], v[12:13]
	v_add_f64 v[30:31], v[30:31], v[6:7]
	v_fma_f64 v[2:3], v[4:5], v[10:11], v[2:3]
	;; [unrolled: 31-line block ×3, first 2 shown]
	v_add_f64 v[44:45], v[2:3], v[32:33]
	ds_read_b128 v[2:5], v25 offset:112
	ds_read_b128 v[10:13], v24 offset:3584
	;; [unrolled: 1-line block ×3, first 2 shown]
	s_waitcnt lgkmcnt(1)
	v_mul_f64 v[6:7], v[4:5], v[12:13]
	s_waitcnt lgkmcnt(0)
	v_mul_f64 v[30:31], v[4:5], v[28:29]
	v_mul_f64 v[8:9], v[2:3], v[12:13]
	v_fma_f64 v[6:7], v[2:3], v[10:11], -v[6:7]
	v_fma_f64 v[30:31], v[2:3], v[26:27], -v[30:31]
	v_mul_f64 v[2:3], v[2:3], v[28:29]
	v_fma_f64 v[8:9], v[4:5], v[10:11], v[8:9]
	v_add_f64 v[6:7], v[34:35], v[6:7]
	v_fma_f64 v[4:5], v[4:5], v[26:27], v[2:3]
	v_add_f64 v[2:3], v[38:39], v[30:31]
	ds_read_b128 v[30:33], v25 offset:2160
	v_add_f64 v[8:9], v[8:9], v[36:37]
	s_waitcnt lgkmcnt(0)
	s_barrier
	v_mul_f64 v[34:35], v[32:33], v[12:13]
	v_mul_f64 v[12:13], v[30:31], v[12:13]
	v_add_f64 v[4:5], v[4:5], v[40:41]
	v_fma_f64 v[34:35], v[30:31], v[10:11], -v[34:35]
	v_fma_f64 v[10:11], v[32:33], v[10:11], v[12:13]
	v_mul_f64 v[12:13], v[30:31], v[28:29]
	v_add_f64 v[14:15], v[14:15], v[34:35]
	v_add_f64 v[16:17], v[10:11], v[16:17]
	v_mul_f64 v[10:11], v[32:33], v[28:29]
	v_fma_f64 v[12:13], v[32:33], v[26:27], v[12:13]
	v_fma_f64 v[10:11], v[30:31], v[26:27], -v[10:11]
	v_add_f64 v[12:13], v[12:13], v[44:45]
	v_add_f64 v[10:11], v[42:43], v[10:11]
	s_cbranch_scc0 .LBB248_2
	s_branch .LBB248_4
.LBB248_3:
	v_mov_b32_e32 v6, 0
	v_mov_b32_e32 v8, 0
	;; [unrolled: 1-line block ×16, first 2 shown]
.LBB248_4:
	s_load_dwordx2 s[0:1], s[4:5], 0x48
	s_load_dword s9, s[4:5], 0x40
	v_add_u32_e32 v18, s7, v1
	v_add_u32_e32 v0, s6, v0
	v_cmp_gt_i32_e32 vcc, s10, v18
	s_waitcnt lgkmcnt(0)
	s_mul_i32 s1, s1, s8
	v_mad_i64_i32 v[19:20], s[12:13], v18, s9, 0
	s_mul_hi_u32 s4, s0, s8
	s_mul_i32 s0, s0, s8
	s_add_i32 s1, s4, s1
	s_lshl_b64 s[0:1], s[0:1], 4
	s_add_u32 s4, s2, s0
	v_lshlrev_b64 v[19:20], 4, v[19:20]
	s_addc_u32 s5, s3, s1
	v_mov_b32_e32 v1, s5
	v_add_co_u32_e64 v19, s[0:1], s4, v19
	v_addc_co_u32_e64 v20, s[0:1], v1, v20, s[0:1]
	v_cmp_le_i32_e64 s[0:1], v0, v18
	s_and_b64 s[0:1], vcc, s[0:1]
	s_and_saveexec_b64 s[2:3], s[0:1]
	s_cbranch_execz .LBB248_6
; %bb.5:
	v_ashrrev_i32_e32 v1, 31, v0
	v_lshlrev_b64 v[21:22], 4, v[0:1]
	v_add_co_u32_e64 v21, s[0:1], v19, v21
	v_addc_co_u32_e64 v22, s[0:1], v20, v22, s[0:1]
	global_store_dwordx4 v[21:22], v[6:9], off
.LBB248_6:
	s_or_b64 exec, exec, s[2:3]
	v_add_u32_e32 v6, 16, v0
	v_cmp_le_i32_e64 s[0:1], v6, v18
	s_and_b64 s[2:3], vcc, s[0:1]
	s_and_saveexec_b64 s[0:1], s[2:3]
	s_cbranch_execz .LBB248_8
; %bb.7:
	v_ashrrev_i32_e32 v7, 31, v6
	v_lshlrev_b64 v[7:8], 4, v[6:7]
	v_add_co_u32_e32 v7, vcc, v19, v7
	v_addc_co_u32_e32 v8, vcc, v20, v8, vcc
	global_store_dwordx4 v[7:8], v[2:5], off
.LBB248_8:
	s_or_b64 exec, exec, s[0:1]
	v_add_u32_e32 v4, 16, v18
	v_mad_i64_i32 v[1:2], s[0:1], v4, s9, 0
	v_mov_b32_e32 v5, s5
	v_cmp_gt_i32_e32 vcc, s10, v4
	v_lshlrev_b64 v[2:3], 4, v[1:2]
	v_add_co_u32_e64 v2, s[0:1], s4, v2
	v_addc_co_u32_e64 v3, s[0:1], v5, v3, s[0:1]
	v_cmp_le_i32_e64 s[0:1], v0, v4
	s_and_b64 s[0:1], vcc, s[0:1]
	s_and_saveexec_b64 s[2:3], s[0:1]
	s_cbranch_execz .LBB248_10
; %bb.9:
	v_ashrrev_i32_e32 v1, 31, v0
	v_lshlrev_b64 v[0:1], 4, v[0:1]
	v_add_co_u32_e64 v0, s[0:1], v2, v0
	v_addc_co_u32_e64 v1, s[0:1], v3, v1, s[0:1]
	global_store_dwordx4 v[0:1], v[14:17], off
.LBB248_10:
	s_or_b64 exec, exec, s[2:3]
	v_cmp_le_i32_e64 s[0:1], v6, v4
	s_and_b64 s[0:1], vcc, s[0:1]
	s_and_saveexec_b64 s[2:3], s[0:1]
	s_cbranch_execz .LBB248_12
; %bb.11:
	v_ashrrev_i32_e32 v7, 31, v6
	v_lshlrev_b64 v[0:1], 4, v[6:7]
	v_add_co_u32_e32 v0, vcc, v2, v0
	v_addc_co_u32_e32 v1, vcc, v3, v1, vcc
	global_store_dwordx4 v[0:1], v[10:13], off
.LBB248_12:
	s_endpgm
	.section	.rodata,"a",@progbits
	.p2align	6, 0x0
	.amdhsa_kernel _ZL37rocblas_syrkx_herkx_restricted_kernelIi19rocblas_complex_numIdELi16ELi32ELi8ELi1ELi0ELb0ELc84ELc85EKS1_S1_EviT_PT9_S3_lS5_S3_lPT10_S3_li
		.amdhsa_group_segment_fixed_size 8192
		.amdhsa_private_segment_fixed_size 0
		.amdhsa_kernarg_size 84
		.amdhsa_user_sgpr_count 6
		.amdhsa_user_sgpr_private_segment_buffer 1
		.amdhsa_user_sgpr_dispatch_ptr 0
		.amdhsa_user_sgpr_queue_ptr 0
		.amdhsa_user_sgpr_kernarg_segment_ptr 1
		.amdhsa_user_sgpr_dispatch_id 0
		.amdhsa_user_sgpr_flat_scratch_init 0
		.amdhsa_user_sgpr_private_segment_size 0
		.amdhsa_uses_dynamic_stack 0
		.amdhsa_system_sgpr_private_segment_wavefront_offset 0
		.amdhsa_system_sgpr_workgroup_id_x 1
		.amdhsa_system_sgpr_workgroup_id_y 1
		.amdhsa_system_sgpr_workgroup_id_z 1
		.amdhsa_system_sgpr_workgroup_info 0
		.amdhsa_system_vgpr_workitem_id 1
		.amdhsa_next_free_vgpr 52
		.amdhsa_next_free_sgpr 61
		.amdhsa_reserve_vcc 1
		.amdhsa_reserve_flat_scratch 0
		.amdhsa_float_round_mode_32 0
		.amdhsa_float_round_mode_16_64 0
		.amdhsa_float_denorm_mode_32 3
		.amdhsa_float_denorm_mode_16_64 3
		.amdhsa_dx10_clamp 1
		.amdhsa_ieee_mode 1
		.amdhsa_fp16_overflow 0
		.amdhsa_exception_fp_ieee_invalid_op 0
		.amdhsa_exception_fp_denorm_src 0
		.amdhsa_exception_fp_ieee_div_zero 0
		.amdhsa_exception_fp_ieee_overflow 0
		.amdhsa_exception_fp_ieee_underflow 0
		.amdhsa_exception_fp_ieee_inexact 0
		.amdhsa_exception_int_div_zero 0
	.end_amdhsa_kernel
	.section	.text._ZL37rocblas_syrkx_herkx_restricted_kernelIi19rocblas_complex_numIdELi16ELi32ELi8ELi1ELi0ELb0ELc84ELc85EKS1_S1_EviT_PT9_S3_lS5_S3_lPT10_S3_li,"axG",@progbits,_ZL37rocblas_syrkx_herkx_restricted_kernelIi19rocblas_complex_numIdELi16ELi32ELi8ELi1ELi0ELb0ELc84ELc85EKS1_S1_EviT_PT9_S3_lS5_S3_lPT10_S3_li,comdat
.Lfunc_end248:
	.size	_ZL37rocblas_syrkx_herkx_restricted_kernelIi19rocblas_complex_numIdELi16ELi32ELi8ELi1ELi0ELb0ELc84ELc85EKS1_S1_EviT_PT9_S3_lS5_S3_lPT10_S3_li, .Lfunc_end248-_ZL37rocblas_syrkx_herkx_restricted_kernelIi19rocblas_complex_numIdELi16ELi32ELi8ELi1ELi0ELb0ELc84ELc85EKS1_S1_EviT_PT9_S3_lS5_S3_lPT10_S3_li
                                        ; -- End function
	.set _ZL37rocblas_syrkx_herkx_restricted_kernelIi19rocblas_complex_numIdELi16ELi32ELi8ELi1ELi0ELb0ELc84ELc85EKS1_S1_EviT_PT9_S3_lS5_S3_lPT10_S3_li.num_vgpr, 52
	.set _ZL37rocblas_syrkx_herkx_restricted_kernelIi19rocblas_complex_numIdELi16ELi32ELi8ELi1ELi0ELb0ELc84ELc85EKS1_S1_EviT_PT9_S3_lS5_S3_lPT10_S3_li.num_agpr, 0
	.set _ZL37rocblas_syrkx_herkx_restricted_kernelIi19rocblas_complex_numIdELi16ELi32ELi8ELi1ELi0ELb0ELc84ELc85EKS1_S1_EviT_PT9_S3_lS5_S3_lPT10_S3_li.numbered_sgpr, 22
	.set _ZL37rocblas_syrkx_herkx_restricted_kernelIi19rocblas_complex_numIdELi16ELi32ELi8ELi1ELi0ELb0ELc84ELc85EKS1_S1_EviT_PT9_S3_lS5_S3_lPT10_S3_li.num_named_barrier, 0
	.set _ZL37rocblas_syrkx_herkx_restricted_kernelIi19rocblas_complex_numIdELi16ELi32ELi8ELi1ELi0ELb0ELc84ELc85EKS1_S1_EviT_PT9_S3_lS5_S3_lPT10_S3_li.private_seg_size, 0
	.set _ZL37rocblas_syrkx_herkx_restricted_kernelIi19rocblas_complex_numIdELi16ELi32ELi8ELi1ELi0ELb0ELc84ELc85EKS1_S1_EviT_PT9_S3_lS5_S3_lPT10_S3_li.uses_vcc, 1
	.set _ZL37rocblas_syrkx_herkx_restricted_kernelIi19rocblas_complex_numIdELi16ELi32ELi8ELi1ELi0ELb0ELc84ELc85EKS1_S1_EviT_PT9_S3_lS5_S3_lPT10_S3_li.uses_flat_scratch, 0
	.set _ZL37rocblas_syrkx_herkx_restricted_kernelIi19rocblas_complex_numIdELi16ELi32ELi8ELi1ELi0ELb0ELc84ELc85EKS1_S1_EviT_PT9_S3_lS5_S3_lPT10_S3_li.has_dyn_sized_stack, 0
	.set _ZL37rocblas_syrkx_herkx_restricted_kernelIi19rocblas_complex_numIdELi16ELi32ELi8ELi1ELi0ELb0ELc84ELc85EKS1_S1_EviT_PT9_S3_lS5_S3_lPT10_S3_li.has_recursion, 0
	.set _ZL37rocblas_syrkx_herkx_restricted_kernelIi19rocblas_complex_numIdELi16ELi32ELi8ELi1ELi0ELb0ELc84ELc85EKS1_S1_EviT_PT9_S3_lS5_S3_lPT10_S3_li.has_indirect_call, 0
	.section	.AMDGPU.csdata,"",@progbits
; Kernel info:
; codeLenInByte = 2772
; TotalNumSgprs: 26
; NumVgprs: 52
; ScratchSize: 0
; MemoryBound: 0
; FloatMode: 240
; IeeeMode: 1
; LDSByteSize: 8192 bytes/workgroup (compile time only)
; SGPRBlocks: 8
; VGPRBlocks: 12
; NumSGPRsForWavesPerEU: 65
; NumVGPRsForWavesPerEU: 52
; Occupancy: 4
; WaveLimiterHint : 0
; COMPUTE_PGM_RSRC2:SCRATCH_EN: 0
; COMPUTE_PGM_RSRC2:USER_SGPR: 6
; COMPUTE_PGM_RSRC2:TRAP_HANDLER: 0
; COMPUTE_PGM_RSRC2:TGID_X_EN: 1
; COMPUTE_PGM_RSRC2:TGID_Y_EN: 1
; COMPUTE_PGM_RSRC2:TGID_Z_EN: 1
; COMPUTE_PGM_RSRC2:TIDIG_COMP_CNT: 1
	.section	.text._ZL37rocblas_syrkx_herkx_restricted_kernelIi19rocblas_complex_numIdELi16ELi32ELi8ELi1ELi0ELb0ELc67ELc85EKS1_S1_EviT_PT9_S3_lS5_S3_lPT10_S3_li,"axG",@progbits,_ZL37rocblas_syrkx_herkx_restricted_kernelIi19rocblas_complex_numIdELi16ELi32ELi8ELi1ELi0ELb0ELc67ELc85EKS1_S1_EviT_PT9_S3_lS5_S3_lPT10_S3_li,comdat
	.globl	_ZL37rocblas_syrkx_herkx_restricted_kernelIi19rocblas_complex_numIdELi16ELi32ELi8ELi1ELi0ELb0ELc67ELc85EKS1_S1_EviT_PT9_S3_lS5_S3_lPT10_S3_li ; -- Begin function _ZL37rocblas_syrkx_herkx_restricted_kernelIi19rocblas_complex_numIdELi16ELi32ELi8ELi1ELi0ELb0ELc67ELc85EKS1_S1_EviT_PT9_S3_lS5_S3_lPT10_S3_li
	.p2align	8
	.type	_ZL37rocblas_syrkx_herkx_restricted_kernelIi19rocblas_complex_numIdELi16ELi32ELi8ELi1ELi0ELb0ELc67ELc85EKS1_S1_EviT_PT9_S3_lS5_S3_lPT10_S3_li,@function
_ZL37rocblas_syrkx_herkx_restricted_kernelIi19rocblas_complex_numIdELi16ELi32ELi8ELi1ELi0ELb0ELc67ELc85EKS1_S1_EviT_PT9_S3_lS5_S3_lPT10_S3_li: ; @_ZL37rocblas_syrkx_herkx_restricted_kernelIi19rocblas_complex_numIdELi16ELi32ELi8ELi1ELi0ELb0ELc67ELc85EKS1_S1_EviT_PT9_S3_lS5_S3_lPT10_S3_li
; %bb.0:
	s_load_dwordx2 s[10:11], s[4:5], 0x0
	s_load_dwordx4 s[0:3], s[4:5], 0x30
	s_lshl_b32 s6, s6, 5
	s_lshl_b32 s7, s7, 5
	s_mov_b32 s9, 0
	s_waitcnt lgkmcnt(0)
	s_cmp_lt_i32 s11, 1
	s_cbranch_scc1 .LBB249_3
; %bb.1:
	s_load_dwordx2 s[16:17], s[4:5], 0x8
	s_load_dword s20, s[4:5], 0x10
	s_load_dwordx4 s[12:15], s[4:5], 0x18
	s_load_dword s18, s[4:5], 0x28
	v_lshl_add_u32 v6, v1, 4, v0
	v_lshrrev_b32_e32 v8, 3, v6
	v_add_u32_e32 v4, s7, v8
	v_and_b32_e32 v2, 7, v0
	v_mov_b32_e32 v3, 0
	s_waitcnt lgkmcnt(0)
	v_mad_i64_i32 v[4:5], s[18:19], s18, v4, v[2:3]
	v_lshlrev_b32_e32 v2, 4, v2
	v_lshl_or_b32 v2, v8, 7, v2
	v_and_b32_e32 v9, 31, v6
	v_add_u32_e32 v23, 0x1000, v2
	v_mov_b32_e32 v2, 0x1000
	v_lshrrev_b32_e32 v6, 5, v6
	v_mov_b32_e32 v7, v3
	v_lshlrev_b32_e32 v3, 4, v9
	v_lshl_add_u32 v25, v1, 7, v2
	v_add_u32_e32 v2, s6, v9
	v_lshl_or_b32 v22, v6, 9, v3
	v_mad_i64_i32 v[2:3], s[18:19], s20, v2, v[6:7]
	s_mul_i32 s13, s13, s8
	s_mul_hi_u32 s21, s12, s8
	s_add_i32 s13, s21, s13
	s_mul_i32 s12, s12, s8
	s_lshl_b64 s[12:13], s[12:13], 4
	v_lshlrev_b64 v[2:3], 4, v[2:3]
	s_add_u32 s12, s16, s12
	s_addc_u32 s13, s17, s13
	v_mov_b32_e32 v6, s13
	v_add_co_u32_e32 v2, vcc, s12, v2
	s_mul_i32 s1, s1, s8
	s_mul_hi_u32 s12, s0, s8
	v_addc_co_u32_e32 v3, vcc, v6, v3, vcc
	s_add_i32 s1, s12, s1
	s_mul_i32 s0, s0, s8
	v_add_co_u32_e32 v18, vcc, 8, v2
	s_lshl_b64 s[0:1], s[0:1], 4
	v_addc_co_u32_e32 v19, vcc, 0, v3, vcc
	v_lshlrev_b64 v[2:3], 4, v[4:5]
	s_add_u32 s0, s14, s0
	s_addc_u32 s1, s15, s1
	v_mov_b32_e32 v4, s1
	v_add_co_u32_e32 v20, vcc, s0, v2
	v_addc_co_u32_e32 v21, vcc, v4, v3, vcc
	v_mov_b32_e32 v12, 0
	v_mov_b32_e32 v10, 0
	v_mov_b32_e32 v16, 0
	v_mov_b32_e32 v14, 0
	v_mov_b32_e32 v4, 0
	v_mov_b32_e32 v2, 0
	v_mov_b32_e32 v8, 0
	v_mov_b32_e32 v6, 0
	v_add_co_u32_e32 v20, vcc, 8, v20
	v_lshlrev_b32_e32 v24, 4, v0
	v_mov_b32_e32 v13, 0
	v_mov_b32_e32 v11, 0
	;; [unrolled: 1-line block ×8, first 2 shown]
	v_addc_co_u32_e32 v21, vcc, 0, v21, vcc
.LBB249_2:                              ; =>This Inner Loop Header: Depth=1
	global_load_dwordx4 v[26:29], v[18:19], off offset:-8
	v_add_co_u32_e32 v18, vcc, 0x80, v18
	v_addc_co_u32_e32 v19, vcc, 0, v19, vcc
	s_add_i32 s9, s9, 8
	s_cmp_ge_i32 s9, s11
	s_waitcnt vmcnt(0)
	ds_write_b128 v22, v[26:29]
	global_load_dwordx4 v[26:29], v[20:21], off offset:-8
	v_add_co_u32_e32 v20, vcc, 0x80, v20
	v_addc_co_u32_e32 v21, vcc, 0, v21, vcc
	s_waitcnt vmcnt(0)
	ds_write_b128 v23, v[26:29]
	s_waitcnt lgkmcnt(0)
	s_barrier
	ds_read_b128 v[26:29], v25
	ds_read_b128 v[30:33], v25 offset:16
	ds_read_b128 v[34:37], v25 offset:32
	;; [unrolled: 1-line block ×3, first 2 shown]
	ds_read_b128 v[42:45], v24
	s_waitcnt lgkmcnt(0)
	v_mul_f64 v[46:47], v[28:29], v[44:45]
	v_mul_f64 v[48:49], v[26:27], v[44:45]
	v_fma_f64 v[46:47], v[26:27], v[42:43], -v[46:47]
	v_fma_f64 v[48:49], v[28:29], v[42:43], v[48:49]
	v_add_f64 v[46:47], v[6:7], v[46:47]
	v_add_f64 v[48:49], v[48:49], v[8:9]
	ds_read_b128 v[6:9], v24 offset:256
	s_waitcnt lgkmcnt(0)
	v_mul_f64 v[50:51], v[28:29], v[8:9]
	v_fma_f64 v[50:51], v[26:27], v[6:7], -v[50:51]
	v_mul_f64 v[26:27], v[26:27], v[8:9]
	v_fma_f64 v[26:27], v[28:29], v[6:7], v[26:27]
	v_add_f64 v[28:29], v[2:3], v[50:51]
	v_add_f64 v[26:27], v[26:27], v[4:5]
	ds_read_b128 v[2:5], v25 offset:2048
	s_waitcnt lgkmcnt(0)
	v_mul_f64 v[50:51], v[4:5], v[44:45]
	v_mul_f64 v[44:45], v[2:3], v[44:45]
	v_fma_f64 v[50:51], v[2:3], v[42:43], -v[50:51]
	v_fma_f64 v[42:43], v[4:5], v[42:43], v[44:45]
	v_add_f64 v[14:15], v[14:15], v[50:51]
	v_add_f64 v[16:17], v[42:43], v[16:17]
	v_mul_f64 v[42:43], v[4:5], v[8:9]
	v_fma_f64 v[42:43], v[2:3], v[6:7], -v[42:43]
	v_mul_f64 v[2:3], v[2:3], v[8:9]
	v_add_f64 v[42:43], v[10:11], v[42:43]
	v_fma_f64 v[2:3], v[4:5], v[6:7], v[2:3]
	v_add_f64 v[44:45], v[2:3], v[12:13]
	ds_read_b128 v[2:5], v24 offset:512
	s_waitcnt lgkmcnt(0)
	v_mul_f64 v[6:7], v[32:33], v[4:5]
	v_mul_f64 v[8:9], v[30:31], v[4:5]
	v_fma_f64 v[6:7], v[30:31], v[2:3], -v[6:7]
	v_fma_f64 v[8:9], v[32:33], v[2:3], v[8:9]
	v_add_f64 v[46:47], v[46:47], v[6:7]
	v_add_f64 v[48:49], v[8:9], v[48:49]
	ds_read_b128 v[6:9], v24 offset:768
	s_waitcnt lgkmcnt(0)
	v_mul_f64 v[10:11], v[32:33], v[8:9]
	v_mul_f64 v[12:13], v[30:31], v[8:9]
	v_fma_f64 v[10:11], v[30:31], v[6:7], -v[10:11]
	v_fma_f64 v[12:13], v[32:33], v[6:7], v[12:13]
	v_add_f64 v[28:29], v[28:29], v[10:11]
	v_add_f64 v[26:27], v[12:13], v[26:27]
	ds_read_b128 v[10:13], v25 offset:2064
	s_waitcnt lgkmcnt(0)
	v_mul_f64 v[30:31], v[12:13], v[4:5]
	v_mul_f64 v[4:5], v[10:11], v[4:5]
	v_fma_f64 v[30:31], v[10:11], v[2:3], -v[30:31]
	v_fma_f64 v[2:3], v[12:13], v[2:3], v[4:5]
	v_mul_f64 v[4:5], v[10:11], v[8:9]
	v_add_f64 v[14:15], v[14:15], v[30:31]
	v_add_f64 v[16:17], v[2:3], v[16:17]
	v_mul_f64 v[2:3], v[12:13], v[8:9]
	v_fma_f64 v[4:5], v[12:13], v[6:7], v[4:5]
	v_fma_f64 v[2:3], v[10:11], v[6:7], -v[2:3]
	v_add_f64 v[32:33], v[4:5], v[44:45]
	v_add_f64 v[30:31], v[42:43], v[2:3]
	ds_read_b128 v[2:5], v24 offset:1024
	s_waitcnt lgkmcnt(0)
	v_mul_f64 v[6:7], v[36:37], v[4:5]
	v_mul_f64 v[8:9], v[34:35], v[4:5]
	v_fma_f64 v[6:7], v[34:35], v[2:3], -v[6:7]
	v_fma_f64 v[8:9], v[36:37], v[2:3], v[8:9]
	v_add_f64 v[42:43], v[46:47], v[6:7]
	v_add_f64 v[44:45], v[8:9], v[48:49]
	ds_read_b128 v[6:9], v24 offset:1280
	s_waitcnt lgkmcnt(0)
	v_mul_f64 v[10:11], v[36:37], v[8:9]
	v_mul_f64 v[12:13], v[34:35], v[8:9]
	v_fma_f64 v[10:11], v[34:35], v[6:7], -v[10:11]
	v_fma_f64 v[12:13], v[36:37], v[6:7], v[12:13]
	v_add_f64 v[28:29], v[28:29], v[10:11]
	v_add_f64 v[26:27], v[12:13], v[26:27]
	ds_read_b128 v[10:13], v25 offset:2080
	s_waitcnt lgkmcnt(0)
	v_mul_f64 v[34:35], v[12:13], v[4:5]
	v_mul_f64 v[4:5], v[10:11], v[4:5]
	v_fma_f64 v[34:35], v[10:11], v[2:3], -v[34:35]
	v_fma_f64 v[2:3], v[12:13], v[2:3], v[4:5]
	v_mul_f64 v[4:5], v[10:11], v[8:9]
	v_add_f64 v[14:15], v[14:15], v[34:35]
	v_add_f64 v[16:17], v[2:3], v[16:17]
	v_mul_f64 v[2:3], v[12:13], v[8:9]
	v_fma_f64 v[4:5], v[12:13], v[6:7], v[4:5]
	v_fma_f64 v[2:3], v[10:11], v[6:7], -v[2:3]
	v_add_f64 v[32:33], v[4:5], v[32:33]
	;; [unrolled: 30-line block ×3, first 2 shown]
	v_add_f64 v[30:31], v[30:31], v[2:3]
	ds_read_b128 v[2:5], v25 offset:64
	ds_read_b128 v[6:9], v24 offset:2048
	s_waitcnt lgkmcnt(0)
	v_mul_f64 v[10:11], v[4:5], v[8:9]
	v_mul_f64 v[12:13], v[2:3], v[8:9]
	v_fma_f64 v[10:11], v[2:3], v[6:7], -v[10:11]
	v_fma_f64 v[12:13], v[4:5], v[6:7], v[12:13]
	v_add_f64 v[34:35], v[34:35], v[10:11]
	v_add_f64 v[36:37], v[12:13], v[36:37]
	ds_read_b128 v[10:13], v24 offset:2304
	s_waitcnt lgkmcnt(0)
	v_mul_f64 v[38:39], v[4:5], v[12:13]
	v_fma_f64 v[38:39], v[2:3], v[10:11], -v[38:39]
	v_mul_f64 v[2:3], v[2:3], v[12:13]
	v_add_f64 v[28:29], v[28:29], v[38:39]
	v_fma_f64 v[2:3], v[4:5], v[10:11], v[2:3]
	v_add_f64 v[26:27], v[2:3], v[26:27]
	ds_read_b128 v[2:5], v25 offset:2112
	s_waitcnt lgkmcnt(0)
	v_mul_f64 v[38:39], v[4:5], v[8:9]
	v_mul_f64 v[8:9], v[2:3], v[8:9]
	v_fma_f64 v[38:39], v[2:3], v[6:7], -v[38:39]
	v_fma_f64 v[6:7], v[4:5], v[6:7], v[8:9]
	v_add_f64 v[14:15], v[14:15], v[38:39]
	v_add_f64 v[16:17], v[6:7], v[16:17]
	v_mul_f64 v[6:7], v[4:5], v[12:13]
	v_fma_f64 v[6:7], v[2:3], v[10:11], -v[6:7]
	v_mul_f64 v[2:3], v[2:3], v[12:13]
	v_add_f64 v[30:31], v[30:31], v[6:7]
	v_fma_f64 v[2:3], v[4:5], v[10:11], v[2:3]
	v_add_f64 v[32:33], v[2:3], v[32:33]
	ds_read_b128 v[2:5], v25 offset:80
	ds_read_b128 v[6:9], v24 offset:2560
	s_waitcnt lgkmcnt(0)
	v_mul_f64 v[10:11], v[4:5], v[8:9]
	v_mul_f64 v[12:13], v[2:3], v[8:9]
	v_fma_f64 v[10:11], v[2:3], v[6:7], -v[10:11]
	v_fma_f64 v[12:13], v[4:5], v[6:7], v[12:13]
	v_add_f64 v[34:35], v[34:35], v[10:11]
	v_add_f64 v[36:37], v[12:13], v[36:37]
	ds_read_b128 v[10:13], v24 offset:2816
	s_waitcnt lgkmcnt(0)
	v_mul_f64 v[38:39], v[4:5], v[12:13]
	v_fma_f64 v[38:39], v[2:3], v[10:11], -v[38:39]
	v_mul_f64 v[2:3], v[2:3], v[12:13]
	v_add_f64 v[28:29], v[28:29], v[38:39]
	v_fma_f64 v[2:3], v[4:5], v[10:11], v[2:3]
	v_add_f64 v[26:27], v[2:3], v[26:27]
	ds_read_b128 v[2:5], v25 offset:2128
	s_waitcnt lgkmcnt(0)
	v_mul_f64 v[38:39], v[4:5], v[8:9]
	v_mul_f64 v[8:9], v[2:3], v[8:9]
	v_fma_f64 v[38:39], v[2:3], v[6:7], -v[38:39]
	v_fma_f64 v[6:7], v[4:5], v[6:7], v[8:9]
	v_add_f64 v[14:15], v[14:15], v[38:39]
	v_add_f64 v[16:17], v[6:7], v[16:17]
	v_mul_f64 v[6:7], v[4:5], v[12:13]
	v_fma_f64 v[6:7], v[2:3], v[10:11], -v[6:7]
	v_mul_f64 v[2:3], v[2:3], v[12:13]
	v_add_f64 v[30:31], v[30:31], v[6:7]
	v_fma_f64 v[2:3], v[4:5], v[10:11], v[2:3]
	;; [unrolled: 31-line block ×3, first 2 shown]
	v_add_f64 v[44:45], v[2:3], v[32:33]
	ds_read_b128 v[2:5], v25 offset:112
	ds_read_b128 v[10:13], v24 offset:3584
	;; [unrolled: 1-line block ×3, first 2 shown]
	s_waitcnt lgkmcnt(1)
	v_mul_f64 v[6:7], v[4:5], v[12:13]
	s_waitcnt lgkmcnt(0)
	v_mul_f64 v[30:31], v[4:5], v[28:29]
	v_mul_f64 v[8:9], v[2:3], v[12:13]
	v_fma_f64 v[6:7], v[2:3], v[10:11], -v[6:7]
	v_fma_f64 v[30:31], v[2:3], v[26:27], -v[30:31]
	v_mul_f64 v[2:3], v[2:3], v[28:29]
	v_fma_f64 v[8:9], v[4:5], v[10:11], v[8:9]
	v_add_f64 v[6:7], v[34:35], v[6:7]
	v_fma_f64 v[4:5], v[4:5], v[26:27], v[2:3]
	v_add_f64 v[2:3], v[38:39], v[30:31]
	ds_read_b128 v[30:33], v25 offset:2160
	v_add_f64 v[8:9], v[8:9], v[36:37]
	s_waitcnt lgkmcnt(0)
	s_barrier
	v_mul_f64 v[34:35], v[32:33], v[12:13]
	v_mul_f64 v[12:13], v[30:31], v[12:13]
	v_add_f64 v[4:5], v[4:5], v[40:41]
	v_fma_f64 v[34:35], v[30:31], v[10:11], -v[34:35]
	v_fma_f64 v[10:11], v[32:33], v[10:11], v[12:13]
	v_mul_f64 v[12:13], v[30:31], v[28:29]
	v_add_f64 v[14:15], v[14:15], v[34:35]
	v_add_f64 v[16:17], v[10:11], v[16:17]
	v_mul_f64 v[10:11], v[32:33], v[28:29]
	v_fma_f64 v[12:13], v[32:33], v[26:27], v[12:13]
	v_fma_f64 v[10:11], v[30:31], v[26:27], -v[10:11]
	v_add_f64 v[12:13], v[12:13], v[44:45]
	v_add_f64 v[10:11], v[42:43], v[10:11]
	s_cbranch_scc0 .LBB249_2
	s_branch .LBB249_4
.LBB249_3:
	v_mov_b32_e32 v6, 0
	v_mov_b32_e32 v8, 0
	;; [unrolled: 1-line block ×16, first 2 shown]
.LBB249_4:
	s_load_dwordx2 s[0:1], s[4:5], 0x48
	s_load_dword s9, s[4:5], 0x40
	v_add_u32_e32 v18, s7, v1
	v_add_u32_e32 v0, s6, v0
	v_cmp_gt_i32_e32 vcc, s10, v18
	s_waitcnt lgkmcnt(0)
	s_mul_i32 s1, s1, s8
	v_mad_i64_i32 v[19:20], s[12:13], v18, s9, 0
	s_mul_hi_u32 s4, s0, s8
	s_mul_i32 s0, s0, s8
	s_add_i32 s1, s4, s1
	s_lshl_b64 s[0:1], s[0:1], 4
	s_add_u32 s4, s2, s0
	v_lshlrev_b64 v[19:20], 4, v[19:20]
	s_addc_u32 s5, s3, s1
	v_mov_b32_e32 v1, s5
	v_add_co_u32_e64 v19, s[0:1], s4, v19
	v_addc_co_u32_e64 v20, s[0:1], v1, v20, s[0:1]
	v_cmp_le_i32_e64 s[0:1], v0, v18
	s_and_b64 s[0:1], vcc, s[0:1]
	s_and_saveexec_b64 s[2:3], s[0:1]
	s_cbranch_execz .LBB249_6
; %bb.5:
	v_ashrrev_i32_e32 v1, 31, v0
	v_lshlrev_b64 v[21:22], 4, v[0:1]
	v_add_co_u32_e64 v21, s[0:1], v19, v21
	v_addc_co_u32_e64 v22, s[0:1], v20, v22, s[0:1]
	global_store_dwordx4 v[21:22], v[6:9], off
.LBB249_6:
	s_or_b64 exec, exec, s[2:3]
	v_add_u32_e32 v6, 16, v0
	v_cmp_le_i32_e64 s[0:1], v6, v18
	s_and_b64 s[2:3], vcc, s[0:1]
	s_and_saveexec_b64 s[0:1], s[2:3]
	s_cbranch_execz .LBB249_8
; %bb.7:
	v_ashrrev_i32_e32 v7, 31, v6
	v_lshlrev_b64 v[7:8], 4, v[6:7]
	v_add_co_u32_e32 v7, vcc, v19, v7
	v_addc_co_u32_e32 v8, vcc, v20, v8, vcc
	global_store_dwordx4 v[7:8], v[2:5], off
.LBB249_8:
	s_or_b64 exec, exec, s[0:1]
	v_add_u32_e32 v4, 16, v18
	v_mad_i64_i32 v[1:2], s[0:1], v4, s9, 0
	v_mov_b32_e32 v5, s5
	v_cmp_gt_i32_e32 vcc, s10, v4
	v_lshlrev_b64 v[2:3], 4, v[1:2]
	v_add_co_u32_e64 v2, s[0:1], s4, v2
	v_addc_co_u32_e64 v3, s[0:1], v5, v3, s[0:1]
	v_cmp_le_i32_e64 s[0:1], v0, v4
	s_and_b64 s[0:1], vcc, s[0:1]
	s_and_saveexec_b64 s[2:3], s[0:1]
	s_cbranch_execz .LBB249_10
; %bb.9:
	v_ashrrev_i32_e32 v1, 31, v0
	v_lshlrev_b64 v[0:1], 4, v[0:1]
	v_add_co_u32_e64 v0, s[0:1], v2, v0
	v_addc_co_u32_e64 v1, s[0:1], v3, v1, s[0:1]
	global_store_dwordx4 v[0:1], v[14:17], off
.LBB249_10:
	s_or_b64 exec, exec, s[2:3]
	v_cmp_le_i32_e64 s[0:1], v6, v4
	s_and_b64 s[0:1], vcc, s[0:1]
	s_and_saveexec_b64 s[2:3], s[0:1]
	s_cbranch_execz .LBB249_12
; %bb.11:
	v_ashrrev_i32_e32 v7, 31, v6
	v_lshlrev_b64 v[0:1], 4, v[6:7]
	v_add_co_u32_e32 v0, vcc, v2, v0
	v_addc_co_u32_e32 v1, vcc, v3, v1, vcc
	global_store_dwordx4 v[0:1], v[10:13], off
.LBB249_12:
	s_endpgm
	.section	.rodata,"a",@progbits
	.p2align	6, 0x0
	.amdhsa_kernel _ZL37rocblas_syrkx_herkx_restricted_kernelIi19rocblas_complex_numIdELi16ELi32ELi8ELi1ELi0ELb0ELc67ELc85EKS1_S1_EviT_PT9_S3_lS5_S3_lPT10_S3_li
		.amdhsa_group_segment_fixed_size 8192
		.amdhsa_private_segment_fixed_size 0
		.amdhsa_kernarg_size 84
		.amdhsa_user_sgpr_count 6
		.amdhsa_user_sgpr_private_segment_buffer 1
		.amdhsa_user_sgpr_dispatch_ptr 0
		.amdhsa_user_sgpr_queue_ptr 0
		.amdhsa_user_sgpr_kernarg_segment_ptr 1
		.amdhsa_user_sgpr_dispatch_id 0
		.amdhsa_user_sgpr_flat_scratch_init 0
		.amdhsa_user_sgpr_private_segment_size 0
		.amdhsa_uses_dynamic_stack 0
		.amdhsa_system_sgpr_private_segment_wavefront_offset 0
		.amdhsa_system_sgpr_workgroup_id_x 1
		.amdhsa_system_sgpr_workgroup_id_y 1
		.amdhsa_system_sgpr_workgroup_id_z 1
		.amdhsa_system_sgpr_workgroup_info 0
		.amdhsa_system_vgpr_workitem_id 1
		.amdhsa_next_free_vgpr 52
		.amdhsa_next_free_sgpr 61
		.amdhsa_reserve_vcc 1
		.amdhsa_reserve_flat_scratch 0
		.amdhsa_float_round_mode_32 0
		.amdhsa_float_round_mode_16_64 0
		.amdhsa_float_denorm_mode_32 3
		.amdhsa_float_denorm_mode_16_64 3
		.amdhsa_dx10_clamp 1
		.amdhsa_ieee_mode 1
		.amdhsa_fp16_overflow 0
		.amdhsa_exception_fp_ieee_invalid_op 0
		.amdhsa_exception_fp_denorm_src 0
		.amdhsa_exception_fp_ieee_div_zero 0
		.amdhsa_exception_fp_ieee_overflow 0
		.amdhsa_exception_fp_ieee_underflow 0
		.amdhsa_exception_fp_ieee_inexact 0
		.amdhsa_exception_int_div_zero 0
	.end_amdhsa_kernel
	.section	.text._ZL37rocblas_syrkx_herkx_restricted_kernelIi19rocblas_complex_numIdELi16ELi32ELi8ELi1ELi0ELb0ELc67ELc85EKS1_S1_EviT_PT9_S3_lS5_S3_lPT10_S3_li,"axG",@progbits,_ZL37rocblas_syrkx_herkx_restricted_kernelIi19rocblas_complex_numIdELi16ELi32ELi8ELi1ELi0ELb0ELc67ELc85EKS1_S1_EviT_PT9_S3_lS5_S3_lPT10_S3_li,comdat
.Lfunc_end249:
	.size	_ZL37rocblas_syrkx_herkx_restricted_kernelIi19rocblas_complex_numIdELi16ELi32ELi8ELi1ELi0ELb0ELc67ELc85EKS1_S1_EviT_PT9_S3_lS5_S3_lPT10_S3_li, .Lfunc_end249-_ZL37rocblas_syrkx_herkx_restricted_kernelIi19rocblas_complex_numIdELi16ELi32ELi8ELi1ELi0ELb0ELc67ELc85EKS1_S1_EviT_PT9_S3_lS5_S3_lPT10_S3_li
                                        ; -- End function
	.set _ZL37rocblas_syrkx_herkx_restricted_kernelIi19rocblas_complex_numIdELi16ELi32ELi8ELi1ELi0ELb0ELc67ELc85EKS1_S1_EviT_PT9_S3_lS5_S3_lPT10_S3_li.num_vgpr, 52
	.set _ZL37rocblas_syrkx_herkx_restricted_kernelIi19rocblas_complex_numIdELi16ELi32ELi8ELi1ELi0ELb0ELc67ELc85EKS1_S1_EviT_PT9_S3_lS5_S3_lPT10_S3_li.num_agpr, 0
	.set _ZL37rocblas_syrkx_herkx_restricted_kernelIi19rocblas_complex_numIdELi16ELi32ELi8ELi1ELi0ELb0ELc67ELc85EKS1_S1_EviT_PT9_S3_lS5_S3_lPT10_S3_li.numbered_sgpr, 22
	.set _ZL37rocblas_syrkx_herkx_restricted_kernelIi19rocblas_complex_numIdELi16ELi32ELi8ELi1ELi0ELb0ELc67ELc85EKS1_S1_EviT_PT9_S3_lS5_S3_lPT10_S3_li.num_named_barrier, 0
	.set _ZL37rocblas_syrkx_herkx_restricted_kernelIi19rocblas_complex_numIdELi16ELi32ELi8ELi1ELi0ELb0ELc67ELc85EKS1_S1_EviT_PT9_S3_lS5_S3_lPT10_S3_li.private_seg_size, 0
	.set _ZL37rocblas_syrkx_herkx_restricted_kernelIi19rocblas_complex_numIdELi16ELi32ELi8ELi1ELi0ELb0ELc67ELc85EKS1_S1_EviT_PT9_S3_lS5_S3_lPT10_S3_li.uses_vcc, 1
	.set _ZL37rocblas_syrkx_herkx_restricted_kernelIi19rocblas_complex_numIdELi16ELi32ELi8ELi1ELi0ELb0ELc67ELc85EKS1_S1_EviT_PT9_S3_lS5_S3_lPT10_S3_li.uses_flat_scratch, 0
	.set _ZL37rocblas_syrkx_herkx_restricted_kernelIi19rocblas_complex_numIdELi16ELi32ELi8ELi1ELi0ELb0ELc67ELc85EKS1_S1_EviT_PT9_S3_lS5_S3_lPT10_S3_li.has_dyn_sized_stack, 0
	.set _ZL37rocblas_syrkx_herkx_restricted_kernelIi19rocblas_complex_numIdELi16ELi32ELi8ELi1ELi0ELb0ELc67ELc85EKS1_S1_EviT_PT9_S3_lS5_S3_lPT10_S3_li.has_recursion, 0
	.set _ZL37rocblas_syrkx_herkx_restricted_kernelIi19rocblas_complex_numIdELi16ELi32ELi8ELi1ELi0ELb0ELc67ELc85EKS1_S1_EviT_PT9_S3_lS5_S3_lPT10_S3_li.has_indirect_call, 0
	.section	.AMDGPU.csdata,"",@progbits
; Kernel info:
; codeLenInByte = 2772
; TotalNumSgprs: 26
; NumVgprs: 52
; ScratchSize: 0
; MemoryBound: 0
; FloatMode: 240
; IeeeMode: 1
; LDSByteSize: 8192 bytes/workgroup (compile time only)
; SGPRBlocks: 8
; VGPRBlocks: 12
; NumSGPRsForWavesPerEU: 65
; NumVGPRsForWavesPerEU: 52
; Occupancy: 4
; WaveLimiterHint : 0
; COMPUTE_PGM_RSRC2:SCRATCH_EN: 0
; COMPUTE_PGM_RSRC2:USER_SGPR: 6
; COMPUTE_PGM_RSRC2:TRAP_HANDLER: 0
; COMPUTE_PGM_RSRC2:TGID_X_EN: 1
; COMPUTE_PGM_RSRC2:TGID_Y_EN: 1
; COMPUTE_PGM_RSRC2:TGID_Z_EN: 1
; COMPUTE_PGM_RSRC2:TIDIG_COMP_CNT: 1
	.section	.text._ZL37rocblas_syrkx_herkx_restricted_kernelIi19rocblas_complex_numIdELi16ELi32ELi8ELi1ELi0ELb0ELc78ELc85EKS1_S1_EviT_PT9_S3_lS5_S3_lPT10_S3_li,"axG",@progbits,_ZL37rocblas_syrkx_herkx_restricted_kernelIi19rocblas_complex_numIdELi16ELi32ELi8ELi1ELi0ELb0ELc78ELc85EKS1_S1_EviT_PT9_S3_lS5_S3_lPT10_S3_li,comdat
	.globl	_ZL37rocblas_syrkx_herkx_restricted_kernelIi19rocblas_complex_numIdELi16ELi32ELi8ELi1ELi0ELb0ELc78ELc85EKS1_S1_EviT_PT9_S3_lS5_S3_lPT10_S3_li ; -- Begin function _ZL37rocblas_syrkx_herkx_restricted_kernelIi19rocblas_complex_numIdELi16ELi32ELi8ELi1ELi0ELb0ELc78ELc85EKS1_S1_EviT_PT9_S3_lS5_S3_lPT10_S3_li
	.p2align	8
	.type	_ZL37rocblas_syrkx_herkx_restricted_kernelIi19rocblas_complex_numIdELi16ELi32ELi8ELi1ELi0ELb0ELc78ELc85EKS1_S1_EviT_PT9_S3_lS5_S3_lPT10_S3_li,@function
_ZL37rocblas_syrkx_herkx_restricted_kernelIi19rocblas_complex_numIdELi16ELi32ELi8ELi1ELi0ELb0ELc78ELc85EKS1_S1_EviT_PT9_S3_lS5_S3_lPT10_S3_li: ; @_ZL37rocblas_syrkx_herkx_restricted_kernelIi19rocblas_complex_numIdELi16ELi32ELi8ELi1ELi0ELb0ELc78ELc85EKS1_S1_EviT_PT9_S3_lS5_S3_lPT10_S3_li
; %bb.0:
	s_load_dwordx2 s[10:11], s[4:5], 0x0
	s_load_dwordx4 s[0:3], s[4:5], 0x30
	s_lshl_b32 s9, s6, 5
	s_lshl_b32 s16, s7, 5
	s_mov_b32 s17, 0
	s_waitcnt lgkmcnt(0)
	s_cmp_lt_i32 s11, 1
	s_cbranch_scc1 .LBB250_3
; %bb.1:
	v_lshl_add_u32 v5, v1, 4, v0
	s_load_dword s6, s[4:5], 0x10
	s_load_dword s18, s[4:5], 0x28
	s_load_dwordx2 s[20:21], s[4:5], 0x8
	s_load_dwordx4 s[12:15], s[4:5], 0x18
	v_lshrrev_b32_e32 v6, 3, v5
	v_add_u32_e32 v2, s16, v6
	v_and_b32_e32 v4, 7, v0
	v_ashrrev_i32_e32 v3, 31, v2
	s_waitcnt lgkmcnt(0)
	v_mad_i64_i32 v[2:3], s[22:23], s18, v4, v[2:3]
	v_lshlrev_b32_e32 v4, 4, v4
	v_lshl_or_b32 v4, v6, 7, v4
	v_lshrrev_b32_e32 v7, 5, v5
	v_and_b32_e32 v5, 31, v5
	v_add_u32_e32 v23, 0x1000, v4
	v_mov_b32_e32 v4, 0x1000
	v_lshl_add_u32 v25, v1, 7, v4
	v_add_u32_e32 v4, s9, v5
	v_lshlrev_b32_e32 v8, 4, v5
	v_ashrrev_i32_e32 v5, 31, v4
	v_mad_i64_i32 v[4:5], s[22:23], s6, v7, v[4:5]
	s_mul_i32 s13, s13, s8
	s_mul_hi_u32 s24, s12, s8
	s_add_i32 s13, s24, s13
	s_mul_i32 s12, s12, s8
	s_ashr_i32 s7, s6, 31
	s_ashr_i32 s19, s18, 31
	s_lshl_b64 s[12:13], s[12:13], 4
	v_lshlrev_b64 v[4:5], 4, v[4:5]
	s_add_u32 s12, s20, s12
	s_addc_u32 s13, s21, s13
	v_add_co_u32_e32 v4, vcc, s12, v4
	s_mul_i32 s1, s1, s8
	s_mul_hi_u32 s12, s0, s8
	v_mov_b32_e32 v6, s13
	s_add_i32 s1, s12, s1
	s_mul_i32 s0, s0, s8
	v_addc_co_u32_e32 v5, vcc, v6, v5, vcc
	s_lshl_b64 s[6:7], s[6:7], 7
	s_lshl_b64 s[0:1], s[0:1], 4
	v_add_co_u32_e32 v18, vcc, 8, v4
	v_lshlrev_b64 v[2:3], 4, v[2:3]
	s_add_u32 s0, s14, s0
	v_addc_co_u32_e32 v19, vcc, 0, v5, vcc
	s_addc_u32 s1, s15, s1
	v_mov_b32_e32 v4, s1
	v_add_co_u32_e32 v2, vcc, s0, v2
	v_addc_co_u32_e32 v3, vcc, v4, v3, vcc
	v_add_co_u32_e32 v20, vcc, 8, v2
	v_lshl_or_b32 v22, v7, 9, v8
	v_addc_co_u32_e32 v21, vcc, 0, v3, vcc
	s_lshl_b64 s[0:1], s[18:19], 7
	v_mov_b32_e32 v8, 0
	v_mov_b32_e32 v6, 0
	;; [unrolled: 1-line block ×8, first 2 shown]
	v_lshlrev_b32_e32 v24, 4, v0
	v_mov_b32_e32 v9, 0
	v_mov_b32_e32 v26, s7
	;; [unrolled: 1-line block ×10, first 2 shown]
.LBB250_2:                              ; =>This Inner Loop Header: Depth=1
	global_load_dwordx4 v[28:31], v[18:19], off offset:-8
	v_add_co_u32_e32 v18, vcc, s6, v18
	v_addc_co_u32_e32 v19, vcc, v19, v26, vcc
	s_add_i32 s17, s17, 8
	s_cmp_ge_i32 s17, s11
	s_waitcnt vmcnt(0)
	ds_write_b128 v22, v[28:31]
	global_load_dwordx4 v[28:31], v[20:21], off offset:-8
	v_add_co_u32_e32 v20, vcc, s0, v20
	v_addc_co_u32_e32 v21, vcc, v21, v27, vcc
	s_waitcnt vmcnt(0)
	ds_write_b128 v23, v[28:31]
	s_waitcnt lgkmcnt(0)
	s_barrier
	ds_read_b128 v[28:31], v25
	ds_read_b128 v[32:35], v25 offset:16
	ds_read_b128 v[36:39], v25 offset:32
	;; [unrolled: 1-line block ×3, first 2 shown]
	ds_read_b128 v[44:47], v24
	s_waitcnt lgkmcnt(0)
	v_mul_f64 v[48:49], v[30:31], v[46:47]
	v_mul_f64 v[50:51], v[28:29], v[46:47]
	v_fma_f64 v[48:49], v[28:29], v[44:45], -v[48:49]
	v_fma_f64 v[50:51], v[30:31], v[44:45], v[50:51]
	v_add_f64 v[48:49], v[10:11], v[48:49]
	v_add_f64 v[50:51], v[50:51], v[12:13]
	ds_read_b128 v[10:13], v24 offset:256
	s_waitcnt lgkmcnt(0)
	v_mul_f64 v[52:53], v[30:31], v[12:13]
	v_fma_f64 v[52:53], v[28:29], v[10:11], -v[52:53]
	v_mul_f64 v[28:29], v[28:29], v[12:13]
	v_fma_f64 v[28:29], v[30:31], v[10:11], v[28:29]
	v_add_f64 v[30:31], v[2:3], v[52:53]
	v_add_f64 v[28:29], v[28:29], v[4:5]
	ds_read_b128 v[2:5], v25 offset:2048
	s_waitcnt lgkmcnt(0)
	v_mul_f64 v[52:53], v[4:5], v[46:47]
	v_mul_f64 v[46:47], v[2:3], v[46:47]
	v_fma_f64 v[52:53], v[2:3], v[44:45], -v[52:53]
	v_fma_f64 v[44:45], v[4:5], v[44:45], v[46:47]
	v_add_f64 v[14:15], v[14:15], v[52:53]
	v_add_f64 v[16:17], v[44:45], v[16:17]
	v_mul_f64 v[44:45], v[4:5], v[12:13]
	v_fma_f64 v[44:45], v[2:3], v[10:11], -v[44:45]
	v_mul_f64 v[2:3], v[2:3], v[12:13]
	v_add_f64 v[44:45], v[6:7], v[44:45]
	v_fma_f64 v[2:3], v[4:5], v[10:11], v[2:3]
	v_add_f64 v[46:47], v[2:3], v[8:9]
	ds_read_b128 v[2:5], v24 offset:512
	s_waitcnt lgkmcnt(0)
	v_mul_f64 v[6:7], v[34:35], v[4:5]
	v_mul_f64 v[8:9], v[32:33], v[4:5]
	v_fma_f64 v[6:7], v[32:33], v[2:3], -v[6:7]
	v_fma_f64 v[8:9], v[34:35], v[2:3], v[8:9]
	v_add_f64 v[48:49], v[48:49], v[6:7]
	v_add_f64 v[50:51], v[8:9], v[50:51]
	ds_read_b128 v[6:9], v24 offset:768
	s_waitcnt lgkmcnt(0)
	v_mul_f64 v[10:11], v[34:35], v[8:9]
	v_mul_f64 v[12:13], v[32:33], v[8:9]
	v_fma_f64 v[10:11], v[32:33], v[6:7], -v[10:11]
	v_fma_f64 v[12:13], v[34:35], v[6:7], v[12:13]
	v_add_f64 v[30:31], v[30:31], v[10:11]
	v_add_f64 v[28:29], v[12:13], v[28:29]
	ds_read_b128 v[10:13], v25 offset:2064
	s_waitcnt lgkmcnt(0)
	v_mul_f64 v[32:33], v[12:13], v[4:5]
	v_mul_f64 v[4:5], v[10:11], v[4:5]
	v_fma_f64 v[32:33], v[10:11], v[2:3], -v[32:33]
	v_fma_f64 v[2:3], v[12:13], v[2:3], v[4:5]
	v_mul_f64 v[4:5], v[10:11], v[8:9]
	v_add_f64 v[14:15], v[14:15], v[32:33]
	v_add_f64 v[16:17], v[2:3], v[16:17]
	v_mul_f64 v[2:3], v[12:13], v[8:9]
	v_fma_f64 v[4:5], v[12:13], v[6:7], v[4:5]
	v_fma_f64 v[2:3], v[10:11], v[6:7], -v[2:3]
	v_add_f64 v[34:35], v[4:5], v[46:47]
	v_add_f64 v[32:33], v[44:45], v[2:3]
	ds_read_b128 v[2:5], v24 offset:1024
	s_waitcnt lgkmcnt(0)
	v_mul_f64 v[6:7], v[38:39], v[4:5]
	v_mul_f64 v[8:9], v[36:37], v[4:5]
	v_fma_f64 v[6:7], v[36:37], v[2:3], -v[6:7]
	v_fma_f64 v[8:9], v[38:39], v[2:3], v[8:9]
	v_add_f64 v[44:45], v[48:49], v[6:7]
	v_add_f64 v[46:47], v[8:9], v[50:51]
	ds_read_b128 v[6:9], v24 offset:1280
	s_waitcnt lgkmcnt(0)
	v_mul_f64 v[10:11], v[38:39], v[8:9]
	v_mul_f64 v[12:13], v[36:37], v[8:9]
	v_fma_f64 v[10:11], v[36:37], v[6:7], -v[10:11]
	v_fma_f64 v[12:13], v[38:39], v[6:7], v[12:13]
	v_add_f64 v[30:31], v[30:31], v[10:11]
	v_add_f64 v[28:29], v[12:13], v[28:29]
	ds_read_b128 v[10:13], v25 offset:2080
	s_waitcnt lgkmcnt(0)
	v_mul_f64 v[36:37], v[12:13], v[4:5]
	v_mul_f64 v[4:5], v[10:11], v[4:5]
	v_fma_f64 v[36:37], v[10:11], v[2:3], -v[36:37]
	v_fma_f64 v[2:3], v[12:13], v[2:3], v[4:5]
	v_mul_f64 v[4:5], v[10:11], v[8:9]
	v_add_f64 v[14:15], v[14:15], v[36:37]
	v_add_f64 v[16:17], v[2:3], v[16:17]
	v_mul_f64 v[2:3], v[12:13], v[8:9]
	v_fma_f64 v[4:5], v[12:13], v[6:7], v[4:5]
	v_fma_f64 v[2:3], v[10:11], v[6:7], -v[2:3]
	v_add_f64 v[34:35], v[4:5], v[34:35]
	;; [unrolled: 30-line block ×3, first 2 shown]
	v_add_f64 v[32:33], v[32:33], v[2:3]
	ds_read_b128 v[2:5], v25 offset:64
	ds_read_b128 v[6:9], v24 offset:2048
	s_waitcnt lgkmcnt(0)
	v_mul_f64 v[10:11], v[4:5], v[8:9]
	v_mul_f64 v[12:13], v[2:3], v[8:9]
	v_fma_f64 v[10:11], v[2:3], v[6:7], -v[10:11]
	v_fma_f64 v[12:13], v[4:5], v[6:7], v[12:13]
	v_add_f64 v[36:37], v[36:37], v[10:11]
	v_add_f64 v[38:39], v[12:13], v[38:39]
	ds_read_b128 v[10:13], v24 offset:2304
	s_waitcnt lgkmcnt(0)
	v_mul_f64 v[40:41], v[4:5], v[12:13]
	v_fma_f64 v[40:41], v[2:3], v[10:11], -v[40:41]
	v_mul_f64 v[2:3], v[2:3], v[12:13]
	v_add_f64 v[30:31], v[30:31], v[40:41]
	v_fma_f64 v[2:3], v[4:5], v[10:11], v[2:3]
	v_add_f64 v[28:29], v[2:3], v[28:29]
	ds_read_b128 v[2:5], v25 offset:2112
	s_waitcnt lgkmcnt(0)
	v_mul_f64 v[40:41], v[4:5], v[8:9]
	v_mul_f64 v[8:9], v[2:3], v[8:9]
	v_fma_f64 v[40:41], v[2:3], v[6:7], -v[40:41]
	v_fma_f64 v[6:7], v[4:5], v[6:7], v[8:9]
	v_add_f64 v[14:15], v[14:15], v[40:41]
	v_add_f64 v[16:17], v[6:7], v[16:17]
	v_mul_f64 v[6:7], v[4:5], v[12:13]
	v_fma_f64 v[6:7], v[2:3], v[10:11], -v[6:7]
	v_mul_f64 v[2:3], v[2:3], v[12:13]
	v_add_f64 v[32:33], v[32:33], v[6:7]
	v_fma_f64 v[2:3], v[4:5], v[10:11], v[2:3]
	v_add_f64 v[34:35], v[2:3], v[34:35]
	ds_read_b128 v[2:5], v25 offset:80
	ds_read_b128 v[6:9], v24 offset:2560
	s_waitcnt lgkmcnt(0)
	v_mul_f64 v[10:11], v[4:5], v[8:9]
	v_mul_f64 v[12:13], v[2:3], v[8:9]
	v_fma_f64 v[10:11], v[2:3], v[6:7], -v[10:11]
	v_fma_f64 v[12:13], v[4:5], v[6:7], v[12:13]
	v_add_f64 v[36:37], v[36:37], v[10:11]
	v_add_f64 v[38:39], v[12:13], v[38:39]
	ds_read_b128 v[10:13], v24 offset:2816
	s_waitcnt lgkmcnt(0)
	v_mul_f64 v[40:41], v[4:5], v[12:13]
	v_fma_f64 v[40:41], v[2:3], v[10:11], -v[40:41]
	v_mul_f64 v[2:3], v[2:3], v[12:13]
	v_add_f64 v[30:31], v[30:31], v[40:41]
	v_fma_f64 v[2:3], v[4:5], v[10:11], v[2:3]
	v_add_f64 v[28:29], v[2:3], v[28:29]
	ds_read_b128 v[2:5], v25 offset:2128
	s_waitcnt lgkmcnt(0)
	v_mul_f64 v[40:41], v[4:5], v[8:9]
	v_mul_f64 v[8:9], v[2:3], v[8:9]
	v_fma_f64 v[40:41], v[2:3], v[6:7], -v[40:41]
	v_fma_f64 v[6:7], v[4:5], v[6:7], v[8:9]
	v_add_f64 v[14:15], v[14:15], v[40:41]
	v_add_f64 v[16:17], v[6:7], v[16:17]
	v_mul_f64 v[6:7], v[4:5], v[12:13]
	v_fma_f64 v[6:7], v[2:3], v[10:11], -v[6:7]
	v_mul_f64 v[2:3], v[2:3], v[12:13]
	v_add_f64 v[32:33], v[32:33], v[6:7]
	v_fma_f64 v[2:3], v[4:5], v[10:11], v[2:3]
	;; [unrolled: 31-line block ×3, first 2 shown]
	v_add_f64 v[46:47], v[2:3], v[34:35]
	ds_read_b128 v[2:5], v25 offset:112
	ds_read_b128 v[6:9], v24 offset:3584
	ds_read_b128 v[28:31], v24 offset:3840
	s_waitcnt lgkmcnt(1)
	v_mul_f64 v[10:11], v[4:5], v[8:9]
	s_waitcnt lgkmcnt(0)
	v_mul_f64 v[32:33], v[4:5], v[30:31]
	v_mul_f64 v[12:13], v[2:3], v[8:9]
	v_fma_f64 v[10:11], v[2:3], v[6:7], -v[10:11]
	v_fma_f64 v[32:33], v[2:3], v[28:29], -v[32:33]
	v_mul_f64 v[2:3], v[2:3], v[30:31]
	v_fma_f64 v[12:13], v[4:5], v[6:7], v[12:13]
	v_add_f64 v[10:11], v[36:37], v[10:11]
	v_fma_f64 v[4:5], v[4:5], v[28:29], v[2:3]
	v_add_f64 v[2:3], v[40:41], v[32:33]
	ds_read_b128 v[32:35], v25 offset:2160
	v_add_f64 v[12:13], v[12:13], v[38:39]
	s_waitcnt lgkmcnt(0)
	s_barrier
	v_mul_f64 v[36:37], v[34:35], v[8:9]
	v_mul_f64 v[8:9], v[32:33], v[8:9]
	v_add_f64 v[4:5], v[4:5], v[42:43]
	v_fma_f64 v[36:37], v[32:33], v[6:7], -v[36:37]
	v_fma_f64 v[6:7], v[34:35], v[6:7], v[8:9]
	v_mul_f64 v[8:9], v[32:33], v[30:31]
	v_add_f64 v[14:15], v[14:15], v[36:37]
	v_add_f64 v[16:17], v[6:7], v[16:17]
	v_mul_f64 v[6:7], v[34:35], v[30:31]
	v_fma_f64 v[8:9], v[34:35], v[28:29], v[8:9]
	v_fma_f64 v[6:7], v[32:33], v[28:29], -v[6:7]
	v_add_f64 v[8:9], v[8:9], v[46:47]
	v_add_f64 v[6:7], v[44:45], v[6:7]
	s_cbranch_scc0 .LBB250_2
	s_branch .LBB250_4
.LBB250_3:
	v_mov_b32_e32 v10, 0
	v_mov_b32_e32 v12, 0
	;; [unrolled: 1-line block ×16, first 2 shown]
.LBB250_4:
	s_load_dwordx2 s[0:1], s[4:5], 0x48
	s_load_dword s6, s[4:5], 0x40
	v_add_u32_e32 v18, s16, v1
	v_add_u32_e32 v0, s9, v0
	v_cmp_gt_i32_e32 vcc, s10, v18
	s_waitcnt lgkmcnt(0)
	s_mul_i32 s1, s1, s8
	v_mad_i64_i32 v[19:20], s[12:13], v18, s6, 0
	s_mul_hi_u32 s4, s0, s8
	s_mul_i32 s0, s0, s8
	s_add_i32 s1, s4, s1
	s_lshl_b64 s[0:1], s[0:1], 4
	s_add_u32 s4, s2, s0
	v_lshlrev_b64 v[19:20], 4, v[19:20]
	s_addc_u32 s5, s3, s1
	v_mov_b32_e32 v1, s5
	v_add_co_u32_e64 v19, s[0:1], s4, v19
	v_addc_co_u32_e64 v20, s[0:1], v1, v20, s[0:1]
	v_cmp_le_i32_e64 s[0:1], v0, v18
	s_and_b64 s[0:1], vcc, s[0:1]
	s_and_saveexec_b64 s[2:3], s[0:1]
	s_cbranch_execz .LBB250_6
; %bb.5:
	v_ashrrev_i32_e32 v1, 31, v0
	v_lshlrev_b64 v[21:22], 4, v[0:1]
	v_add_co_u32_e64 v21, s[0:1], v19, v21
	v_addc_co_u32_e64 v22, s[0:1], v20, v22, s[0:1]
	global_store_dwordx4 v[21:22], v[10:13], off
.LBB250_6:
	s_or_b64 exec, exec, s[2:3]
	v_add_u32_e32 v10, 16, v0
	v_cmp_le_i32_e64 s[0:1], v10, v18
	s_and_b64 s[2:3], vcc, s[0:1]
	s_and_saveexec_b64 s[0:1], s[2:3]
	s_cbranch_execz .LBB250_8
; %bb.7:
	v_ashrrev_i32_e32 v11, 31, v10
	v_lshlrev_b64 v[11:12], 4, v[10:11]
	v_add_co_u32_e32 v11, vcc, v19, v11
	v_addc_co_u32_e32 v12, vcc, v20, v12, vcc
	global_store_dwordx4 v[11:12], v[2:5], off
.LBB250_8:
	s_or_b64 exec, exec, s[0:1]
	v_add_u32_e32 v4, 16, v18
	v_mad_i64_i32 v[1:2], s[0:1], v4, s6, 0
	v_mov_b32_e32 v5, s5
	v_cmp_gt_i32_e32 vcc, s10, v4
	v_lshlrev_b64 v[2:3], 4, v[1:2]
	v_add_co_u32_e64 v2, s[0:1], s4, v2
	v_addc_co_u32_e64 v3, s[0:1], v5, v3, s[0:1]
	v_cmp_le_i32_e64 s[0:1], v0, v4
	s_and_b64 s[0:1], vcc, s[0:1]
	s_and_saveexec_b64 s[2:3], s[0:1]
	s_cbranch_execz .LBB250_10
; %bb.9:
	v_ashrrev_i32_e32 v1, 31, v0
	v_lshlrev_b64 v[0:1], 4, v[0:1]
	v_add_co_u32_e64 v0, s[0:1], v2, v0
	v_addc_co_u32_e64 v1, s[0:1], v3, v1, s[0:1]
	global_store_dwordx4 v[0:1], v[14:17], off
.LBB250_10:
	s_or_b64 exec, exec, s[2:3]
	v_cmp_le_i32_e64 s[0:1], v10, v4
	s_and_b64 s[0:1], vcc, s[0:1]
	s_and_saveexec_b64 s[2:3], s[0:1]
	s_cbranch_execz .LBB250_12
; %bb.11:
	v_ashrrev_i32_e32 v11, 31, v10
	v_lshlrev_b64 v[0:1], 4, v[10:11]
	v_add_co_u32_e32 v0, vcc, v2, v0
	v_addc_co_u32_e32 v1, vcc, v3, v1, vcc
	global_store_dwordx4 v[0:1], v[6:9], off
.LBB250_12:
	s_endpgm
	.section	.rodata,"a",@progbits
	.p2align	6, 0x0
	.amdhsa_kernel _ZL37rocblas_syrkx_herkx_restricted_kernelIi19rocblas_complex_numIdELi16ELi32ELi8ELi1ELi0ELb0ELc78ELc85EKS1_S1_EviT_PT9_S3_lS5_S3_lPT10_S3_li
		.amdhsa_group_segment_fixed_size 8192
		.amdhsa_private_segment_fixed_size 0
		.amdhsa_kernarg_size 84
		.amdhsa_user_sgpr_count 6
		.amdhsa_user_sgpr_private_segment_buffer 1
		.amdhsa_user_sgpr_dispatch_ptr 0
		.amdhsa_user_sgpr_queue_ptr 0
		.amdhsa_user_sgpr_kernarg_segment_ptr 1
		.amdhsa_user_sgpr_dispatch_id 0
		.amdhsa_user_sgpr_flat_scratch_init 0
		.amdhsa_user_sgpr_private_segment_size 0
		.amdhsa_uses_dynamic_stack 0
		.amdhsa_system_sgpr_private_segment_wavefront_offset 0
		.amdhsa_system_sgpr_workgroup_id_x 1
		.amdhsa_system_sgpr_workgroup_id_y 1
		.amdhsa_system_sgpr_workgroup_id_z 1
		.amdhsa_system_sgpr_workgroup_info 0
		.amdhsa_system_vgpr_workitem_id 1
		.amdhsa_next_free_vgpr 54
		.amdhsa_next_free_sgpr 61
		.amdhsa_reserve_vcc 1
		.amdhsa_reserve_flat_scratch 0
		.amdhsa_float_round_mode_32 0
		.amdhsa_float_round_mode_16_64 0
		.amdhsa_float_denorm_mode_32 3
		.amdhsa_float_denorm_mode_16_64 3
		.amdhsa_dx10_clamp 1
		.amdhsa_ieee_mode 1
		.amdhsa_fp16_overflow 0
		.amdhsa_exception_fp_ieee_invalid_op 0
		.amdhsa_exception_fp_denorm_src 0
		.amdhsa_exception_fp_ieee_div_zero 0
		.amdhsa_exception_fp_ieee_overflow 0
		.amdhsa_exception_fp_ieee_underflow 0
		.amdhsa_exception_fp_ieee_inexact 0
		.amdhsa_exception_int_div_zero 0
	.end_amdhsa_kernel
	.section	.text._ZL37rocblas_syrkx_herkx_restricted_kernelIi19rocblas_complex_numIdELi16ELi32ELi8ELi1ELi0ELb0ELc78ELc85EKS1_S1_EviT_PT9_S3_lS5_S3_lPT10_S3_li,"axG",@progbits,_ZL37rocblas_syrkx_herkx_restricted_kernelIi19rocblas_complex_numIdELi16ELi32ELi8ELi1ELi0ELb0ELc78ELc85EKS1_S1_EviT_PT9_S3_lS5_S3_lPT10_S3_li,comdat
.Lfunc_end250:
	.size	_ZL37rocblas_syrkx_herkx_restricted_kernelIi19rocblas_complex_numIdELi16ELi32ELi8ELi1ELi0ELb0ELc78ELc85EKS1_S1_EviT_PT9_S3_lS5_S3_lPT10_S3_li, .Lfunc_end250-_ZL37rocblas_syrkx_herkx_restricted_kernelIi19rocblas_complex_numIdELi16ELi32ELi8ELi1ELi0ELb0ELc78ELc85EKS1_S1_EviT_PT9_S3_lS5_S3_lPT10_S3_li
                                        ; -- End function
	.set _ZL37rocblas_syrkx_herkx_restricted_kernelIi19rocblas_complex_numIdELi16ELi32ELi8ELi1ELi0ELb0ELc78ELc85EKS1_S1_EviT_PT9_S3_lS5_S3_lPT10_S3_li.num_vgpr, 54
	.set _ZL37rocblas_syrkx_herkx_restricted_kernelIi19rocblas_complex_numIdELi16ELi32ELi8ELi1ELi0ELb0ELc78ELc85EKS1_S1_EviT_PT9_S3_lS5_S3_lPT10_S3_li.num_agpr, 0
	.set _ZL37rocblas_syrkx_herkx_restricted_kernelIi19rocblas_complex_numIdELi16ELi32ELi8ELi1ELi0ELb0ELc78ELc85EKS1_S1_EviT_PT9_S3_lS5_S3_lPT10_S3_li.numbered_sgpr, 25
	.set _ZL37rocblas_syrkx_herkx_restricted_kernelIi19rocblas_complex_numIdELi16ELi32ELi8ELi1ELi0ELb0ELc78ELc85EKS1_S1_EviT_PT9_S3_lS5_S3_lPT10_S3_li.num_named_barrier, 0
	.set _ZL37rocblas_syrkx_herkx_restricted_kernelIi19rocblas_complex_numIdELi16ELi32ELi8ELi1ELi0ELb0ELc78ELc85EKS1_S1_EviT_PT9_S3_lS5_S3_lPT10_S3_li.private_seg_size, 0
	.set _ZL37rocblas_syrkx_herkx_restricted_kernelIi19rocblas_complex_numIdELi16ELi32ELi8ELi1ELi0ELb0ELc78ELc85EKS1_S1_EviT_PT9_S3_lS5_S3_lPT10_S3_li.uses_vcc, 1
	.set _ZL37rocblas_syrkx_herkx_restricted_kernelIi19rocblas_complex_numIdELi16ELi32ELi8ELi1ELi0ELb0ELc78ELc85EKS1_S1_EviT_PT9_S3_lS5_S3_lPT10_S3_li.uses_flat_scratch, 0
	.set _ZL37rocblas_syrkx_herkx_restricted_kernelIi19rocblas_complex_numIdELi16ELi32ELi8ELi1ELi0ELb0ELc78ELc85EKS1_S1_EviT_PT9_S3_lS5_S3_lPT10_S3_li.has_dyn_sized_stack, 0
	.set _ZL37rocblas_syrkx_herkx_restricted_kernelIi19rocblas_complex_numIdELi16ELi32ELi8ELi1ELi0ELb0ELc78ELc85EKS1_S1_EviT_PT9_S3_lS5_S3_lPT10_S3_li.has_recursion, 0
	.set _ZL37rocblas_syrkx_herkx_restricted_kernelIi19rocblas_complex_numIdELi16ELi32ELi8ELi1ELi0ELb0ELc78ELc85EKS1_S1_EviT_PT9_S3_lS5_S3_lPT10_S3_li.has_indirect_call, 0
	.section	.AMDGPU.csdata,"",@progbits
; Kernel info:
; codeLenInByte = 2788
; TotalNumSgprs: 29
; NumVgprs: 54
; ScratchSize: 0
; MemoryBound: 0
; FloatMode: 240
; IeeeMode: 1
; LDSByteSize: 8192 bytes/workgroup (compile time only)
; SGPRBlocks: 8
; VGPRBlocks: 13
; NumSGPRsForWavesPerEU: 65
; NumVGPRsForWavesPerEU: 54
; Occupancy: 4
; WaveLimiterHint : 0
; COMPUTE_PGM_RSRC2:SCRATCH_EN: 0
; COMPUTE_PGM_RSRC2:USER_SGPR: 6
; COMPUTE_PGM_RSRC2:TRAP_HANDLER: 0
; COMPUTE_PGM_RSRC2:TGID_X_EN: 1
; COMPUTE_PGM_RSRC2:TGID_Y_EN: 1
; COMPUTE_PGM_RSRC2:TGID_Z_EN: 1
; COMPUTE_PGM_RSRC2:TIDIG_COMP_CNT: 1
	.section	.text._ZL37rocblas_syrkx_herkx_restricted_kernelIi19rocblas_complex_numIdELi16ELi32ELi8ELin1ELi0ELb0ELc84ELc76EKS1_S1_EviT_PT9_S3_lS5_S3_lPT10_S3_li,"axG",@progbits,_ZL37rocblas_syrkx_herkx_restricted_kernelIi19rocblas_complex_numIdELi16ELi32ELi8ELin1ELi0ELb0ELc84ELc76EKS1_S1_EviT_PT9_S3_lS5_S3_lPT10_S3_li,comdat
	.globl	_ZL37rocblas_syrkx_herkx_restricted_kernelIi19rocblas_complex_numIdELi16ELi32ELi8ELin1ELi0ELb0ELc84ELc76EKS1_S1_EviT_PT9_S3_lS5_S3_lPT10_S3_li ; -- Begin function _ZL37rocblas_syrkx_herkx_restricted_kernelIi19rocblas_complex_numIdELi16ELi32ELi8ELin1ELi0ELb0ELc84ELc76EKS1_S1_EviT_PT9_S3_lS5_S3_lPT10_S3_li
	.p2align	8
	.type	_ZL37rocblas_syrkx_herkx_restricted_kernelIi19rocblas_complex_numIdELi16ELi32ELi8ELin1ELi0ELb0ELc84ELc76EKS1_S1_EviT_PT9_S3_lS5_S3_lPT10_S3_li,@function
_ZL37rocblas_syrkx_herkx_restricted_kernelIi19rocblas_complex_numIdELi16ELi32ELi8ELin1ELi0ELb0ELc84ELc76EKS1_S1_EviT_PT9_S3_lS5_S3_lPT10_S3_li: ; @_ZL37rocblas_syrkx_herkx_restricted_kernelIi19rocblas_complex_numIdELi16ELi32ELi8ELin1ELi0ELb0ELc84ELc76EKS1_S1_EviT_PT9_S3_lS5_S3_lPT10_S3_li
; %bb.0:
	s_load_dwordx2 s[10:11], s[4:5], 0x0
	s_load_dwordx4 s[0:3], s[4:5], 0x30
	s_lshl_b32 s6, s6, 5
	s_lshl_b32 s7, s7, 5
	s_mov_b32 s9, 0
	s_waitcnt lgkmcnt(0)
	s_cmp_lt_i32 s11, 1
	s_cbranch_scc1 .LBB251_3
; %bb.1:
	s_load_dwordx2 s[16:17], s[4:5], 0x8
	s_load_dword s20, s[4:5], 0x10
	s_load_dwordx4 s[12:15], s[4:5], 0x18
	s_load_dword s18, s[4:5], 0x28
	v_lshl_add_u32 v6, v1, 4, v0
	v_lshrrev_b32_e32 v8, 3, v6
	v_add_u32_e32 v4, s7, v8
	v_and_b32_e32 v2, 7, v0
	v_mov_b32_e32 v3, 0
	s_waitcnt lgkmcnt(0)
	v_mad_i64_i32 v[4:5], s[18:19], s18, v4, v[2:3]
	v_lshlrev_b32_e32 v2, 4, v2
	v_lshl_or_b32 v2, v8, 7, v2
	v_and_b32_e32 v9, 31, v6
	v_add_u32_e32 v23, 0x1000, v2
	v_mov_b32_e32 v2, 0x1000
	v_lshrrev_b32_e32 v6, 5, v6
	v_mov_b32_e32 v7, v3
	v_lshlrev_b32_e32 v3, 4, v9
	v_lshl_add_u32 v25, v1, 7, v2
	v_add_u32_e32 v2, s6, v9
	v_lshl_or_b32 v22, v6, 9, v3
	v_mad_i64_i32 v[2:3], s[18:19], s20, v2, v[6:7]
	s_mul_i32 s13, s13, s8
	s_mul_hi_u32 s21, s12, s8
	s_add_i32 s13, s21, s13
	s_mul_i32 s12, s12, s8
	s_lshl_b64 s[12:13], s[12:13], 4
	v_lshlrev_b64 v[2:3], 4, v[2:3]
	s_add_u32 s12, s16, s12
	s_addc_u32 s13, s17, s13
	v_mov_b32_e32 v6, s13
	v_add_co_u32_e32 v2, vcc, s12, v2
	s_mul_i32 s1, s1, s8
	s_mul_hi_u32 s12, s0, s8
	v_addc_co_u32_e32 v3, vcc, v6, v3, vcc
	s_add_i32 s1, s12, s1
	s_mul_i32 s0, s0, s8
	v_add_co_u32_e32 v18, vcc, 8, v2
	s_lshl_b64 s[0:1], s[0:1], 4
	v_addc_co_u32_e32 v19, vcc, 0, v3, vcc
	v_lshlrev_b64 v[2:3], 4, v[4:5]
	s_add_u32 s0, s14, s0
	s_addc_u32 s1, s15, s1
	v_mov_b32_e32 v4, s1
	v_add_co_u32_e32 v20, vcc, s0, v2
	v_addc_co_u32_e32 v21, vcc, v4, v3, vcc
	v_mov_b32_e32 v8, 0
	v_mov_b32_e32 v6, 0
	;; [unrolled: 1-line block ×8, first 2 shown]
	v_add_co_u32_e32 v20, vcc, 8, v20
	v_lshlrev_b32_e32 v24, 4, v0
	v_mov_b32_e32 v9, 0
	v_mov_b32_e32 v7, 0
	;; [unrolled: 1-line block ×8, first 2 shown]
	v_addc_co_u32_e32 v21, vcc, 0, v21, vcc
.LBB251_2:                              ; =>This Inner Loop Header: Depth=1
	global_load_dwordx4 v[26:29], v[18:19], off offset:-8
	v_add_co_u32_e32 v18, vcc, 0x80, v18
	v_addc_co_u32_e32 v19, vcc, 0, v19, vcc
	s_add_i32 s9, s9, 8
	s_cmp_ge_i32 s9, s11
	s_waitcnt vmcnt(0)
	ds_write_b128 v22, v[26:29]
	global_load_dwordx4 v[26:29], v[20:21], off offset:-8
	v_add_co_u32_e32 v20, vcc, 0x80, v20
	v_addc_co_u32_e32 v21, vcc, 0, v21, vcc
	s_waitcnt vmcnt(0)
	ds_write_b128 v23, v[26:29]
	s_waitcnt lgkmcnt(0)
	s_barrier
	ds_read_b128 v[26:29], v25
	ds_read_b128 v[30:33], v25 offset:16
	ds_read_b128 v[34:37], v25 offset:32
	ds_read_b128 v[38:41], v25 offset:48
	ds_read_b128 v[42:45], v24
	s_waitcnt lgkmcnt(0)
	v_mul_f64 v[46:47], v[28:29], v[44:45]
	v_mul_f64 v[48:49], v[26:27], v[44:45]
	v_fma_f64 v[46:47], v[26:27], v[42:43], -v[46:47]
	v_fma_f64 v[48:49], v[28:29], v[42:43], v[48:49]
	v_add_f64 v[46:47], v[10:11], v[46:47]
	v_add_f64 v[48:49], v[48:49], v[12:13]
	ds_read_b128 v[10:13], v24 offset:256
	s_waitcnt lgkmcnt(0)
	v_mul_f64 v[50:51], v[28:29], v[12:13]
	v_fma_f64 v[50:51], v[26:27], v[10:11], -v[50:51]
	v_mul_f64 v[26:27], v[26:27], v[12:13]
	v_fma_f64 v[26:27], v[28:29], v[10:11], v[26:27]
	v_add_f64 v[28:29], v[2:3], v[50:51]
	v_add_f64 v[26:27], v[26:27], v[4:5]
	ds_read_b128 v[2:5], v25 offset:2048
	s_waitcnt lgkmcnt(0)
	v_mul_f64 v[50:51], v[4:5], v[44:45]
	v_mul_f64 v[44:45], v[2:3], v[44:45]
	v_fma_f64 v[50:51], v[2:3], v[42:43], -v[50:51]
	v_fma_f64 v[42:43], v[4:5], v[42:43], v[44:45]
	v_add_f64 v[14:15], v[14:15], v[50:51]
	v_add_f64 v[16:17], v[42:43], v[16:17]
	v_mul_f64 v[42:43], v[4:5], v[12:13]
	v_fma_f64 v[42:43], v[2:3], v[10:11], -v[42:43]
	v_mul_f64 v[2:3], v[2:3], v[12:13]
	v_add_f64 v[42:43], v[6:7], v[42:43]
	v_fma_f64 v[2:3], v[4:5], v[10:11], v[2:3]
	v_add_f64 v[44:45], v[2:3], v[8:9]
	ds_read_b128 v[2:5], v24 offset:512
	s_waitcnt lgkmcnt(0)
	v_mul_f64 v[6:7], v[32:33], v[4:5]
	v_mul_f64 v[8:9], v[30:31], v[4:5]
	v_fma_f64 v[6:7], v[30:31], v[2:3], -v[6:7]
	v_fma_f64 v[8:9], v[32:33], v[2:3], v[8:9]
	v_add_f64 v[46:47], v[46:47], v[6:7]
	v_add_f64 v[48:49], v[8:9], v[48:49]
	ds_read_b128 v[6:9], v24 offset:768
	s_waitcnt lgkmcnt(0)
	v_mul_f64 v[10:11], v[32:33], v[8:9]
	v_mul_f64 v[12:13], v[30:31], v[8:9]
	v_fma_f64 v[10:11], v[30:31], v[6:7], -v[10:11]
	v_fma_f64 v[12:13], v[32:33], v[6:7], v[12:13]
	v_add_f64 v[28:29], v[28:29], v[10:11]
	v_add_f64 v[26:27], v[12:13], v[26:27]
	ds_read_b128 v[10:13], v25 offset:2064
	s_waitcnt lgkmcnt(0)
	v_mul_f64 v[30:31], v[12:13], v[4:5]
	v_mul_f64 v[4:5], v[10:11], v[4:5]
	v_fma_f64 v[30:31], v[10:11], v[2:3], -v[30:31]
	v_fma_f64 v[2:3], v[12:13], v[2:3], v[4:5]
	v_mul_f64 v[4:5], v[10:11], v[8:9]
	v_add_f64 v[14:15], v[14:15], v[30:31]
	v_add_f64 v[16:17], v[2:3], v[16:17]
	v_mul_f64 v[2:3], v[12:13], v[8:9]
	v_fma_f64 v[4:5], v[12:13], v[6:7], v[4:5]
	v_fma_f64 v[2:3], v[10:11], v[6:7], -v[2:3]
	v_add_f64 v[32:33], v[4:5], v[44:45]
	v_add_f64 v[30:31], v[42:43], v[2:3]
	ds_read_b128 v[2:5], v24 offset:1024
	s_waitcnt lgkmcnt(0)
	v_mul_f64 v[6:7], v[36:37], v[4:5]
	v_mul_f64 v[8:9], v[34:35], v[4:5]
	v_fma_f64 v[6:7], v[34:35], v[2:3], -v[6:7]
	v_fma_f64 v[8:9], v[36:37], v[2:3], v[8:9]
	v_add_f64 v[42:43], v[46:47], v[6:7]
	v_add_f64 v[44:45], v[8:9], v[48:49]
	ds_read_b128 v[6:9], v24 offset:1280
	s_waitcnt lgkmcnt(0)
	v_mul_f64 v[10:11], v[36:37], v[8:9]
	v_mul_f64 v[12:13], v[34:35], v[8:9]
	v_fma_f64 v[10:11], v[34:35], v[6:7], -v[10:11]
	v_fma_f64 v[12:13], v[36:37], v[6:7], v[12:13]
	v_add_f64 v[28:29], v[28:29], v[10:11]
	v_add_f64 v[26:27], v[12:13], v[26:27]
	ds_read_b128 v[10:13], v25 offset:2080
	s_waitcnt lgkmcnt(0)
	v_mul_f64 v[34:35], v[12:13], v[4:5]
	v_mul_f64 v[4:5], v[10:11], v[4:5]
	v_fma_f64 v[34:35], v[10:11], v[2:3], -v[34:35]
	v_fma_f64 v[2:3], v[12:13], v[2:3], v[4:5]
	v_mul_f64 v[4:5], v[10:11], v[8:9]
	v_add_f64 v[14:15], v[14:15], v[34:35]
	v_add_f64 v[16:17], v[2:3], v[16:17]
	v_mul_f64 v[2:3], v[12:13], v[8:9]
	v_fma_f64 v[4:5], v[12:13], v[6:7], v[4:5]
	v_fma_f64 v[2:3], v[10:11], v[6:7], -v[2:3]
	v_add_f64 v[32:33], v[4:5], v[32:33]
	;; [unrolled: 30-line block ×3, first 2 shown]
	v_add_f64 v[30:31], v[30:31], v[2:3]
	ds_read_b128 v[2:5], v25 offset:64
	ds_read_b128 v[6:9], v24 offset:2048
	s_waitcnt lgkmcnt(0)
	v_mul_f64 v[10:11], v[4:5], v[8:9]
	v_mul_f64 v[12:13], v[2:3], v[8:9]
	v_fma_f64 v[10:11], v[2:3], v[6:7], -v[10:11]
	v_fma_f64 v[12:13], v[4:5], v[6:7], v[12:13]
	v_add_f64 v[34:35], v[34:35], v[10:11]
	v_add_f64 v[36:37], v[12:13], v[36:37]
	ds_read_b128 v[10:13], v24 offset:2304
	s_waitcnt lgkmcnt(0)
	v_mul_f64 v[38:39], v[4:5], v[12:13]
	v_fma_f64 v[38:39], v[2:3], v[10:11], -v[38:39]
	v_mul_f64 v[2:3], v[2:3], v[12:13]
	v_add_f64 v[28:29], v[28:29], v[38:39]
	v_fma_f64 v[2:3], v[4:5], v[10:11], v[2:3]
	v_add_f64 v[26:27], v[2:3], v[26:27]
	ds_read_b128 v[2:5], v25 offset:2112
	s_waitcnt lgkmcnt(0)
	v_mul_f64 v[38:39], v[4:5], v[8:9]
	v_mul_f64 v[8:9], v[2:3], v[8:9]
	v_fma_f64 v[38:39], v[2:3], v[6:7], -v[38:39]
	v_fma_f64 v[6:7], v[4:5], v[6:7], v[8:9]
	v_add_f64 v[14:15], v[14:15], v[38:39]
	v_add_f64 v[16:17], v[6:7], v[16:17]
	v_mul_f64 v[6:7], v[4:5], v[12:13]
	v_fma_f64 v[6:7], v[2:3], v[10:11], -v[6:7]
	v_mul_f64 v[2:3], v[2:3], v[12:13]
	v_add_f64 v[30:31], v[30:31], v[6:7]
	v_fma_f64 v[2:3], v[4:5], v[10:11], v[2:3]
	v_add_f64 v[32:33], v[2:3], v[32:33]
	ds_read_b128 v[2:5], v25 offset:80
	ds_read_b128 v[6:9], v24 offset:2560
	s_waitcnt lgkmcnt(0)
	v_mul_f64 v[10:11], v[4:5], v[8:9]
	v_mul_f64 v[12:13], v[2:3], v[8:9]
	v_fma_f64 v[10:11], v[2:3], v[6:7], -v[10:11]
	v_fma_f64 v[12:13], v[4:5], v[6:7], v[12:13]
	v_add_f64 v[34:35], v[34:35], v[10:11]
	v_add_f64 v[36:37], v[12:13], v[36:37]
	ds_read_b128 v[10:13], v24 offset:2816
	s_waitcnt lgkmcnt(0)
	v_mul_f64 v[38:39], v[4:5], v[12:13]
	v_fma_f64 v[38:39], v[2:3], v[10:11], -v[38:39]
	v_mul_f64 v[2:3], v[2:3], v[12:13]
	v_add_f64 v[28:29], v[28:29], v[38:39]
	v_fma_f64 v[2:3], v[4:5], v[10:11], v[2:3]
	v_add_f64 v[26:27], v[2:3], v[26:27]
	ds_read_b128 v[2:5], v25 offset:2128
	s_waitcnt lgkmcnt(0)
	v_mul_f64 v[38:39], v[4:5], v[8:9]
	v_mul_f64 v[8:9], v[2:3], v[8:9]
	v_fma_f64 v[38:39], v[2:3], v[6:7], -v[38:39]
	v_fma_f64 v[6:7], v[4:5], v[6:7], v[8:9]
	v_add_f64 v[14:15], v[14:15], v[38:39]
	v_add_f64 v[16:17], v[6:7], v[16:17]
	v_mul_f64 v[6:7], v[4:5], v[12:13]
	v_fma_f64 v[6:7], v[2:3], v[10:11], -v[6:7]
	v_mul_f64 v[2:3], v[2:3], v[12:13]
	v_add_f64 v[30:31], v[30:31], v[6:7]
	v_fma_f64 v[2:3], v[4:5], v[10:11], v[2:3]
	;; [unrolled: 31-line block ×3, first 2 shown]
	v_add_f64 v[44:45], v[2:3], v[32:33]
	ds_read_b128 v[2:5], v25 offset:112
	ds_read_b128 v[6:9], v24 offset:3584
	;; [unrolled: 1-line block ×3, first 2 shown]
	s_waitcnt lgkmcnt(1)
	v_mul_f64 v[10:11], v[4:5], v[8:9]
	s_waitcnt lgkmcnt(0)
	v_mul_f64 v[30:31], v[4:5], v[28:29]
	v_mul_f64 v[12:13], v[2:3], v[8:9]
	v_fma_f64 v[10:11], v[2:3], v[6:7], -v[10:11]
	v_fma_f64 v[30:31], v[2:3], v[26:27], -v[30:31]
	v_mul_f64 v[2:3], v[2:3], v[28:29]
	v_fma_f64 v[12:13], v[4:5], v[6:7], v[12:13]
	v_add_f64 v[10:11], v[34:35], v[10:11]
	v_fma_f64 v[4:5], v[4:5], v[26:27], v[2:3]
	v_add_f64 v[2:3], v[38:39], v[30:31]
	ds_read_b128 v[30:33], v25 offset:2160
	v_add_f64 v[12:13], v[12:13], v[36:37]
	s_waitcnt lgkmcnt(0)
	s_barrier
	v_mul_f64 v[34:35], v[32:33], v[8:9]
	v_mul_f64 v[8:9], v[30:31], v[8:9]
	v_add_f64 v[4:5], v[4:5], v[40:41]
	v_fma_f64 v[34:35], v[30:31], v[6:7], -v[34:35]
	v_fma_f64 v[6:7], v[32:33], v[6:7], v[8:9]
	v_mul_f64 v[8:9], v[30:31], v[28:29]
	v_add_f64 v[14:15], v[14:15], v[34:35]
	v_add_f64 v[16:17], v[6:7], v[16:17]
	v_mul_f64 v[6:7], v[32:33], v[28:29]
	v_fma_f64 v[8:9], v[32:33], v[26:27], v[8:9]
	v_fma_f64 v[6:7], v[30:31], v[26:27], -v[6:7]
	v_add_f64 v[8:9], v[8:9], v[44:45]
	v_add_f64 v[6:7], v[42:43], v[6:7]
	s_cbranch_scc0 .LBB251_2
	s_branch .LBB251_4
.LBB251_3:
	v_mov_b32_e32 v10, 0
	v_mov_b32_e32 v12, 0
	;; [unrolled: 1-line block ×16, first 2 shown]
.LBB251_4:
	s_load_dwordx2 s[0:1], s[4:5], 0x48
	s_load_dword s9, s[4:5], 0x40
	v_add_u32_e32 v18, s7, v1
	v_add_u32_e32 v0, s6, v0
	s_waitcnt lgkmcnt(0)
	s_mul_i32 s1, s1, s8
	s_mul_hi_u32 s4, s0, s8
	s_add_i32 s1, s4, s1
	v_mad_i64_i32 v[19:20], s[4:5], v18, s9, 0
	s_mul_i32 s0, s0, s8
	s_lshl_b64 s[0:1], s[0:1], 4
	s_add_u32 s7, s2, s0
	v_lshlrev_b64 v[19:20], 4, v[19:20]
	s_addc_u32 s8, s3, s1
	v_mov_b32_e32 v1, s8
	v_add_co_u32_e32 v19, vcc, s7, v19
	v_addc_co_u32_e32 v20, vcc, v1, v20, vcc
	v_cmp_le_i32_e64 s[0:1], v18, v0
	v_cmp_gt_i32_e32 vcc, s10, v0
	s_and_b64 s[0:1], s[0:1], vcc
	s_and_saveexec_b64 s[2:3], s[0:1]
	s_cbranch_execz .LBB251_6
; %bb.5:
	v_ashrrev_i32_e32 v1, 31, v0
	v_lshlrev_b64 v[21:22], 4, v[0:1]
	v_xor_b32_e32 v11, 0x80000000, v11
	v_add_co_u32_e64 v21, s[0:1], v19, v21
	v_xor_b32_e32 v13, 0x80000000, v13
	v_addc_co_u32_e64 v22, s[0:1], v20, v22, s[0:1]
	global_store_dwordx4 v[21:22], v[10:13], off
.LBB251_6:
	s_or_b64 exec, exec, s[2:3]
	v_add_u32_e32 v10, 16, v0
	v_cmp_le_i32_e64 s[2:3], v18, v10
	v_cmp_gt_i32_e64 s[0:1], s10, v10
	s_and_b64 s[2:3], s[2:3], s[0:1]
	s_and_saveexec_b64 s[4:5], s[2:3]
	s_cbranch_execz .LBB251_8
; %bb.7:
	v_ashrrev_i32_e32 v11, 31, v10
	v_lshlrev_b64 v[11:12], 4, v[10:11]
	v_xor_b32_e32 v3, 0x80000000, v3
	v_add_co_u32_e64 v11, s[2:3], v19, v11
	v_xor_b32_e32 v5, 0x80000000, v5
	v_addc_co_u32_e64 v12, s[2:3], v20, v12, s[2:3]
	global_store_dwordx4 v[11:12], v[2:5], off
.LBB251_8:
	s_or_b64 exec, exec, s[4:5]
	v_add_u32_e32 v4, 16, v18
	v_mad_i64_i32 v[1:2], s[2:3], v4, s9, 0
	v_mov_b32_e32 v5, s8
	v_lshlrev_b64 v[2:3], 4, v[1:2]
	v_add_co_u32_e64 v2, s[2:3], s7, v2
	v_addc_co_u32_e64 v3, s[2:3], v5, v3, s[2:3]
	v_cmp_le_i32_e64 s[2:3], v4, v0
	s_and_b64 s[4:5], s[2:3], vcc
	s_and_saveexec_b64 s[2:3], s[4:5]
	s_cbranch_execz .LBB251_10
; %bb.9:
	v_ashrrev_i32_e32 v1, 31, v0
	v_lshlrev_b64 v[0:1], 4, v[0:1]
	v_xor_b32_e32 v15, 0x80000000, v15
	v_add_co_u32_e32 v0, vcc, v2, v0
	v_xor_b32_e32 v17, 0x80000000, v17
	v_addc_co_u32_e32 v1, vcc, v3, v1, vcc
	global_store_dwordx4 v[0:1], v[14:17], off
.LBB251_10:
	s_or_b64 exec, exec, s[2:3]
	v_cmp_le_i32_e32 vcc, v4, v10
	s_and_b64 s[0:1], vcc, s[0:1]
	s_and_saveexec_b64 s[2:3], s[0:1]
	s_cbranch_execz .LBB251_12
; %bb.11:
	v_ashrrev_i32_e32 v11, 31, v10
	v_lshlrev_b64 v[0:1], 4, v[10:11]
	v_xor_b32_e32 v7, 0x80000000, v7
	v_add_co_u32_e32 v0, vcc, v2, v0
	v_xor_b32_e32 v9, 0x80000000, v9
	v_addc_co_u32_e32 v1, vcc, v3, v1, vcc
	global_store_dwordx4 v[0:1], v[6:9], off
.LBB251_12:
	s_endpgm
	.section	.rodata,"a",@progbits
	.p2align	6, 0x0
	.amdhsa_kernel _ZL37rocblas_syrkx_herkx_restricted_kernelIi19rocblas_complex_numIdELi16ELi32ELi8ELin1ELi0ELb0ELc84ELc76EKS1_S1_EviT_PT9_S3_lS5_S3_lPT10_S3_li
		.amdhsa_group_segment_fixed_size 8192
		.amdhsa_private_segment_fixed_size 0
		.amdhsa_kernarg_size 84
		.amdhsa_user_sgpr_count 6
		.amdhsa_user_sgpr_private_segment_buffer 1
		.amdhsa_user_sgpr_dispatch_ptr 0
		.amdhsa_user_sgpr_queue_ptr 0
		.amdhsa_user_sgpr_kernarg_segment_ptr 1
		.amdhsa_user_sgpr_dispatch_id 0
		.amdhsa_user_sgpr_flat_scratch_init 0
		.amdhsa_user_sgpr_private_segment_size 0
		.amdhsa_uses_dynamic_stack 0
		.amdhsa_system_sgpr_private_segment_wavefront_offset 0
		.amdhsa_system_sgpr_workgroup_id_x 1
		.amdhsa_system_sgpr_workgroup_id_y 1
		.amdhsa_system_sgpr_workgroup_id_z 1
		.amdhsa_system_sgpr_workgroup_info 0
		.amdhsa_system_vgpr_workitem_id 1
		.amdhsa_next_free_vgpr 52
		.amdhsa_next_free_sgpr 61
		.amdhsa_reserve_vcc 1
		.amdhsa_reserve_flat_scratch 0
		.amdhsa_float_round_mode_32 0
		.amdhsa_float_round_mode_16_64 0
		.amdhsa_float_denorm_mode_32 3
		.amdhsa_float_denorm_mode_16_64 3
		.amdhsa_dx10_clamp 1
		.amdhsa_ieee_mode 1
		.amdhsa_fp16_overflow 0
		.amdhsa_exception_fp_ieee_invalid_op 0
		.amdhsa_exception_fp_denorm_src 0
		.amdhsa_exception_fp_ieee_div_zero 0
		.amdhsa_exception_fp_ieee_overflow 0
		.amdhsa_exception_fp_ieee_underflow 0
		.amdhsa_exception_fp_ieee_inexact 0
		.amdhsa_exception_int_div_zero 0
	.end_amdhsa_kernel
	.section	.text._ZL37rocblas_syrkx_herkx_restricted_kernelIi19rocblas_complex_numIdELi16ELi32ELi8ELin1ELi0ELb0ELc84ELc76EKS1_S1_EviT_PT9_S3_lS5_S3_lPT10_S3_li,"axG",@progbits,_ZL37rocblas_syrkx_herkx_restricted_kernelIi19rocblas_complex_numIdELi16ELi32ELi8ELin1ELi0ELb0ELc84ELc76EKS1_S1_EviT_PT9_S3_lS5_S3_lPT10_S3_li,comdat
.Lfunc_end251:
	.size	_ZL37rocblas_syrkx_herkx_restricted_kernelIi19rocblas_complex_numIdELi16ELi32ELi8ELin1ELi0ELb0ELc84ELc76EKS1_S1_EviT_PT9_S3_lS5_S3_lPT10_S3_li, .Lfunc_end251-_ZL37rocblas_syrkx_herkx_restricted_kernelIi19rocblas_complex_numIdELi16ELi32ELi8ELin1ELi0ELb0ELc84ELc76EKS1_S1_EviT_PT9_S3_lS5_S3_lPT10_S3_li
                                        ; -- End function
	.set _ZL37rocblas_syrkx_herkx_restricted_kernelIi19rocblas_complex_numIdELi16ELi32ELi8ELin1ELi0ELb0ELc84ELc76EKS1_S1_EviT_PT9_S3_lS5_S3_lPT10_S3_li.num_vgpr, 52
	.set _ZL37rocblas_syrkx_herkx_restricted_kernelIi19rocblas_complex_numIdELi16ELi32ELi8ELin1ELi0ELb0ELc84ELc76EKS1_S1_EviT_PT9_S3_lS5_S3_lPT10_S3_li.num_agpr, 0
	.set _ZL37rocblas_syrkx_herkx_restricted_kernelIi19rocblas_complex_numIdELi16ELi32ELi8ELin1ELi0ELb0ELc84ELc76EKS1_S1_EviT_PT9_S3_lS5_S3_lPT10_S3_li.numbered_sgpr, 22
	.set _ZL37rocblas_syrkx_herkx_restricted_kernelIi19rocblas_complex_numIdELi16ELi32ELi8ELin1ELi0ELb0ELc84ELc76EKS1_S1_EviT_PT9_S3_lS5_S3_lPT10_S3_li.num_named_barrier, 0
	.set _ZL37rocblas_syrkx_herkx_restricted_kernelIi19rocblas_complex_numIdELi16ELi32ELi8ELin1ELi0ELb0ELc84ELc76EKS1_S1_EviT_PT9_S3_lS5_S3_lPT10_S3_li.private_seg_size, 0
	.set _ZL37rocblas_syrkx_herkx_restricted_kernelIi19rocblas_complex_numIdELi16ELi32ELi8ELin1ELi0ELb0ELc84ELc76EKS1_S1_EviT_PT9_S3_lS5_S3_lPT10_S3_li.uses_vcc, 1
	.set _ZL37rocblas_syrkx_herkx_restricted_kernelIi19rocblas_complex_numIdELi16ELi32ELi8ELin1ELi0ELb0ELc84ELc76EKS1_S1_EviT_PT9_S3_lS5_S3_lPT10_S3_li.uses_flat_scratch, 0
	.set _ZL37rocblas_syrkx_herkx_restricted_kernelIi19rocblas_complex_numIdELi16ELi32ELi8ELin1ELi0ELb0ELc84ELc76EKS1_S1_EviT_PT9_S3_lS5_S3_lPT10_S3_li.has_dyn_sized_stack, 0
	.set _ZL37rocblas_syrkx_herkx_restricted_kernelIi19rocblas_complex_numIdELi16ELi32ELi8ELin1ELi0ELb0ELc84ELc76EKS1_S1_EviT_PT9_S3_lS5_S3_lPT10_S3_li.has_recursion, 0
	.set _ZL37rocblas_syrkx_herkx_restricted_kernelIi19rocblas_complex_numIdELi16ELi32ELi8ELin1ELi0ELb0ELc84ELc76EKS1_S1_EviT_PT9_S3_lS5_S3_lPT10_S3_li.has_indirect_call, 0
	.section	.AMDGPU.csdata,"",@progbits
; Kernel info:
; codeLenInByte = 2828
; TotalNumSgprs: 26
; NumVgprs: 52
; ScratchSize: 0
; MemoryBound: 0
; FloatMode: 240
; IeeeMode: 1
; LDSByteSize: 8192 bytes/workgroup (compile time only)
; SGPRBlocks: 8
; VGPRBlocks: 12
; NumSGPRsForWavesPerEU: 65
; NumVGPRsForWavesPerEU: 52
; Occupancy: 4
; WaveLimiterHint : 0
; COMPUTE_PGM_RSRC2:SCRATCH_EN: 0
; COMPUTE_PGM_RSRC2:USER_SGPR: 6
; COMPUTE_PGM_RSRC2:TRAP_HANDLER: 0
; COMPUTE_PGM_RSRC2:TGID_X_EN: 1
; COMPUTE_PGM_RSRC2:TGID_Y_EN: 1
; COMPUTE_PGM_RSRC2:TGID_Z_EN: 1
; COMPUTE_PGM_RSRC2:TIDIG_COMP_CNT: 1
	.section	.text._ZL37rocblas_syrkx_herkx_restricted_kernelIi19rocblas_complex_numIdELi16ELi32ELi8ELin1ELi0ELb0ELc67ELc76EKS1_S1_EviT_PT9_S3_lS5_S3_lPT10_S3_li,"axG",@progbits,_ZL37rocblas_syrkx_herkx_restricted_kernelIi19rocblas_complex_numIdELi16ELi32ELi8ELin1ELi0ELb0ELc67ELc76EKS1_S1_EviT_PT9_S3_lS5_S3_lPT10_S3_li,comdat
	.globl	_ZL37rocblas_syrkx_herkx_restricted_kernelIi19rocblas_complex_numIdELi16ELi32ELi8ELin1ELi0ELb0ELc67ELc76EKS1_S1_EviT_PT9_S3_lS5_S3_lPT10_S3_li ; -- Begin function _ZL37rocblas_syrkx_herkx_restricted_kernelIi19rocblas_complex_numIdELi16ELi32ELi8ELin1ELi0ELb0ELc67ELc76EKS1_S1_EviT_PT9_S3_lS5_S3_lPT10_S3_li
	.p2align	8
	.type	_ZL37rocblas_syrkx_herkx_restricted_kernelIi19rocblas_complex_numIdELi16ELi32ELi8ELin1ELi0ELb0ELc67ELc76EKS1_S1_EviT_PT9_S3_lS5_S3_lPT10_S3_li,@function
_ZL37rocblas_syrkx_herkx_restricted_kernelIi19rocblas_complex_numIdELi16ELi32ELi8ELin1ELi0ELb0ELc67ELc76EKS1_S1_EviT_PT9_S3_lS5_S3_lPT10_S3_li: ; @_ZL37rocblas_syrkx_herkx_restricted_kernelIi19rocblas_complex_numIdELi16ELi32ELi8ELin1ELi0ELb0ELc67ELc76EKS1_S1_EviT_PT9_S3_lS5_S3_lPT10_S3_li
; %bb.0:
	s_load_dwordx2 s[10:11], s[4:5], 0x0
	s_load_dwordx4 s[0:3], s[4:5], 0x30
	s_lshl_b32 s6, s6, 5
	s_lshl_b32 s7, s7, 5
	s_mov_b32 s9, 0
	s_waitcnt lgkmcnt(0)
	s_cmp_lt_i32 s11, 1
	s_cbranch_scc1 .LBB252_3
; %bb.1:
	s_load_dwordx2 s[16:17], s[4:5], 0x8
	s_load_dword s20, s[4:5], 0x10
	s_load_dwordx4 s[12:15], s[4:5], 0x18
	s_load_dword s18, s[4:5], 0x28
	v_lshl_add_u32 v6, v1, 4, v0
	v_lshrrev_b32_e32 v8, 3, v6
	v_add_u32_e32 v4, s7, v8
	v_and_b32_e32 v2, 7, v0
	v_mov_b32_e32 v3, 0
	s_waitcnt lgkmcnt(0)
	v_mad_i64_i32 v[4:5], s[18:19], s18, v4, v[2:3]
	v_lshlrev_b32_e32 v2, 4, v2
	v_lshl_or_b32 v2, v8, 7, v2
	v_and_b32_e32 v9, 31, v6
	v_add_u32_e32 v23, 0x1000, v2
	v_mov_b32_e32 v2, 0x1000
	v_lshrrev_b32_e32 v6, 5, v6
	v_mov_b32_e32 v7, v3
	v_lshlrev_b32_e32 v3, 4, v9
	v_lshl_add_u32 v25, v1, 7, v2
	v_add_u32_e32 v2, s6, v9
	v_lshl_or_b32 v22, v6, 9, v3
	v_mad_i64_i32 v[2:3], s[18:19], s20, v2, v[6:7]
	s_mul_i32 s13, s13, s8
	s_mul_hi_u32 s21, s12, s8
	s_add_i32 s13, s21, s13
	s_mul_i32 s12, s12, s8
	s_lshl_b64 s[12:13], s[12:13], 4
	v_lshlrev_b64 v[2:3], 4, v[2:3]
	s_add_u32 s12, s16, s12
	s_addc_u32 s13, s17, s13
	v_mov_b32_e32 v6, s13
	v_add_co_u32_e32 v2, vcc, s12, v2
	s_mul_i32 s1, s1, s8
	s_mul_hi_u32 s12, s0, s8
	v_addc_co_u32_e32 v3, vcc, v6, v3, vcc
	s_add_i32 s1, s12, s1
	s_mul_i32 s0, s0, s8
	v_add_co_u32_e32 v18, vcc, 8, v2
	s_lshl_b64 s[0:1], s[0:1], 4
	v_addc_co_u32_e32 v19, vcc, 0, v3, vcc
	v_lshlrev_b64 v[2:3], 4, v[4:5]
	s_add_u32 s0, s14, s0
	s_addc_u32 s1, s15, s1
	v_mov_b32_e32 v4, s1
	v_add_co_u32_e32 v20, vcc, s0, v2
	v_addc_co_u32_e32 v21, vcc, v4, v3, vcc
	v_mov_b32_e32 v8, 0
	v_mov_b32_e32 v6, 0
	v_mov_b32_e32 v16, 0
	v_mov_b32_e32 v14, 0
	v_mov_b32_e32 v4, 0
	v_mov_b32_e32 v2, 0
	v_mov_b32_e32 v12, 0
	v_mov_b32_e32 v10, 0
	v_add_co_u32_e32 v20, vcc, 8, v20
	v_lshlrev_b32_e32 v24, 4, v0
	v_mov_b32_e32 v9, 0
	v_mov_b32_e32 v7, 0
	;; [unrolled: 1-line block ×8, first 2 shown]
	v_addc_co_u32_e32 v21, vcc, 0, v21, vcc
.LBB252_2:                              ; =>This Inner Loop Header: Depth=1
	global_load_dwordx4 v[26:29], v[18:19], off offset:-8
	v_add_co_u32_e32 v18, vcc, 0x80, v18
	v_addc_co_u32_e32 v19, vcc, 0, v19, vcc
	s_add_i32 s9, s9, 8
	s_cmp_ge_i32 s9, s11
	s_waitcnt vmcnt(0)
	ds_write_b128 v22, v[26:29]
	global_load_dwordx4 v[26:29], v[20:21], off offset:-8
	v_add_co_u32_e32 v20, vcc, 0x80, v20
	v_addc_co_u32_e32 v21, vcc, 0, v21, vcc
	s_waitcnt vmcnt(0)
	ds_write_b128 v23, v[26:29]
	s_waitcnt lgkmcnt(0)
	s_barrier
	ds_read_b128 v[26:29], v25
	ds_read_b128 v[30:33], v25 offset:16
	ds_read_b128 v[34:37], v25 offset:32
	;; [unrolled: 1-line block ×3, first 2 shown]
	ds_read_b128 v[42:45], v24
	s_waitcnt lgkmcnt(0)
	v_mul_f64 v[46:47], v[28:29], v[44:45]
	v_mul_f64 v[48:49], v[26:27], v[44:45]
	v_fma_f64 v[46:47], v[26:27], v[42:43], -v[46:47]
	v_fma_f64 v[48:49], v[28:29], v[42:43], v[48:49]
	v_add_f64 v[46:47], v[10:11], v[46:47]
	v_add_f64 v[48:49], v[48:49], v[12:13]
	ds_read_b128 v[10:13], v24 offset:256
	s_waitcnt lgkmcnt(0)
	v_mul_f64 v[50:51], v[28:29], v[12:13]
	v_fma_f64 v[50:51], v[26:27], v[10:11], -v[50:51]
	v_mul_f64 v[26:27], v[26:27], v[12:13]
	v_fma_f64 v[26:27], v[28:29], v[10:11], v[26:27]
	v_add_f64 v[28:29], v[2:3], v[50:51]
	v_add_f64 v[26:27], v[26:27], v[4:5]
	ds_read_b128 v[2:5], v25 offset:2048
	s_waitcnt lgkmcnt(0)
	v_mul_f64 v[50:51], v[4:5], v[44:45]
	v_mul_f64 v[44:45], v[2:3], v[44:45]
	v_fma_f64 v[50:51], v[2:3], v[42:43], -v[50:51]
	v_fma_f64 v[42:43], v[4:5], v[42:43], v[44:45]
	v_add_f64 v[14:15], v[14:15], v[50:51]
	v_add_f64 v[16:17], v[42:43], v[16:17]
	v_mul_f64 v[42:43], v[4:5], v[12:13]
	v_fma_f64 v[42:43], v[2:3], v[10:11], -v[42:43]
	v_mul_f64 v[2:3], v[2:3], v[12:13]
	v_add_f64 v[42:43], v[6:7], v[42:43]
	v_fma_f64 v[2:3], v[4:5], v[10:11], v[2:3]
	v_add_f64 v[44:45], v[2:3], v[8:9]
	ds_read_b128 v[2:5], v24 offset:512
	s_waitcnt lgkmcnt(0)
	v_mul_f64 v[6:7], v[32:33], v[4:5]
	v_mul_f64 v[8:9], v[30:31], v[4:5]
	v_fma_f64 v[6:7], v[30:31], v[2:3], -v[6:7]
	v_fma_f64 v[8:9], v[32:33], v[2:3], v[8:9]
	v_add_f64 v[46:47], v[46:47], v[6:7]
	v_add_f64 v[48:49], v[8:9], v[48:49]
	ds_read_b128 v[6:9], v24 offset:768
	s_waitcnt lgkmcnt(0)
	v_mul_f64 v[10:11], v[32:33], v[8:9]
	v_mul_f64 v[12:13], v[30:31], v[8:9]
	v_fma_f64 v[10:11], v[30:31], v[6:7], -v[10:11]
	v_fma_f64 v[12:13], v[32:33], v[6:7], v[12:13]
	v_add_f64 v[28:29], v[28:29], v[10:11]
	v_add_f64 v[26:27], v[12:13], v[26:27]
	ds_read_b128 v[10:13], v25 offset:2064
	s_waitcnt lgkmcnt(0)
	v_mul_f64 v[30:31], v[12:13], v[4:5]
	v_mul_f64 v[4:5], v[10:11], v[4:5]
	v_fma_f64 v[30:31], v[10:11], v[2:3], -v[30:31]
	v_fma_f64 v[2:3], v[12:13], v[2:3], v[4:5]
	v_mul_f64 v[4:5], v[10:11], v[8:9]
	v_add_f64 v[14:15], v[14:15], v[30:31]
	v_add_f64 v[16:17], v[2:3], v[16:17]
	v_mul_f64 v[2:3], v[12:13], v[8:9]
	v_fma_f64 v[4:5], v[12:13], v[6:7], v[4:5]
	v_fma_f64 v[2:3], v[10:11], v[6:7], -v[2:3]
	v_add_f64 v[32:33], v[4:5], v[44:45]
	v_add_f64 v[30:31], v[42:43], v[2:3]
	ds_read_b128 v[2:5], v24 offset:1024
	s_waitcnt lgkmcnt(0)
	v_mul_f64 v[6:7], v[36:37], v[4:5]
	v_mul_f64 v[8:9], v[34:35], v[4:5]
	v_fma_f64 v[6:7], v[34:35], v[2:3], -v[6:7]
	v_fma_f64 v[8:9], v[36:37], v[2:3], v[8:9]
	v_add_f64 v[42:43], v[46:47], v[6:7]
	v_add_f64 v[44:45], v[8:9], v[48:49]
	ds_read_b128 v[6:9], v24 offset:1280
	s_waitcnt lgkmcnt(0)
	v_mul_f64 v[10:11], v[36:37], v[8:9]
	v_mul_f64 v[12:13], v[34:35], v[8:9]
	v_fma_f64 v[10:11], v[34:35], v[6:7], -v[10:11]
	v_fma_f64 v[12:13], v[36:37], v[6:7], v[12:13]
	v_add_f64 v[28:29], v[28:29], v[10:11]
	v_add_f64 v[26:27], v[12:13], v[26:27]
	ds_read_b128 v[10:13], v25 offset:2080
	s_waitcnt lgkmcnt(0)
	v_mul_f64 v[34:35], v[12:13], v[4:5]
	v_mul_f64 v[4:5], v[10:11], v[4:5]
	v_fma_f64 v[34:35], v[10:11], v[2:3], -v[34:35]
	v_fma_f64 v[2:3], v[12:13], v[2:3], v[4:5]
	v_mul_f64 v[4:5], v[10:11], v[8:9]
	v_add_f64 v[14:15], v[14:15], v[34:35]
	v_add_f64 v[16:17], v[2:3], v[16:17]
	v_mul_f64 v[2:3], v[12:13], v[8:9]
	v_fma_f64 v[4:5], v[12:13], v[6:7], v[4:5]
	v_fma_f64 v[2:3], v[10:11], v[6:7], -v[2:3]
	v_add_f64 v[32:33], v[4:5], v[32:33]
	;; [unrolled: 30-line block ×3, first 2 shown]
	v_add_f64 v[30:31], v[30:31], v[2:3]
	ds_read_b128 v[2:5], v25 offset:64
	ds_read_b128 v[6:9], v24 offset:2048
	s_waitcnt lgkmcnt(0)
	v_mul_f64 v[10:11], v[4:5], v[8:9]
	v_mul_f64 v[12:13], v[2:3], v[8:9]
	v_fma_f64 v[10:11], v[2:3], v[6:7], -v[10:11]
	v_fma_f64 v[12:13], v[4:5], v[6:7], v[12:13]
	v_add_f64 v[34:35], v[34:35], v[10:11]
	v_add_f64 v[36:37], v[12:13], v[36:37]
	ds_read_b128 v[10:13], v24 offset:2304
	s_waitcnt lgkmcnt(0)
	v_mul_f64 v[38:39], v[4:5], v[12:13]
	v_fma_f64 v[38:39], v[2:3], v[10:11], -v[38:39]
	v_mul_f64 v[2:3], v[2:3], v[12:13]
	v_add_f64 v[28:29], v[28:29], v[38:39]
	v_fma_f64 v[2:3], v[4:5], v[10:11], v[2:3]
	v_add_f64 v[26:27], v[2:3], v[26:27]
	ds_read_b128 v[2:5], v25 offset:2112
	s_waitcnt lgkmcnt(0)
	v_mul_f64 v[38:39], v[4:5], v[8:9]
	v_mul_f64 v[8:9], v[2:3], v[8:9]
	v_fma_f64 v[38:39], v[2:3], v[6:7], -v[38:39]
	v_fma_f64 v[6:7], v[4:5], v[6:7], v[8:9]
	v_add_f64 v[14:15], v[14:15], v[38:39]
	v_add_f64 v[16:17], v[6:7], v[16:17]
	v_mul_f64 v[6:7], v[4:5], v[12:13]
	v_fma_f64 v[6:7], v[2:3], v[10:11], -v[6:7]
	v_mul_f64 v[2:3], v[2:3], v[12:13]
	v_add_f64 v[30:31], v[30:31], v[6:7]
	v_fma_f64 v[2:3], v[4:5], v[10:11], v[2:3]
	v_add_f64 v[32:33], v[2:3], v[32:33]
	ds_read_b128 v[2:5], v25 offset:80
	ds_read_b128 v[6:9], v24 offset:2560
	s_waitcnt lgkmcnt(0)
	v_mul_f64 v[10:11], v[4:5], v[8:9]
	v_mul_f64 v[12:13], v[2:3], v[8:9]
	v_fma_f64 v[10:11], v[2:3], v[6:7], -v[10:11]
	v_fma_f64 v[12:13], v[4:5], v[6:7], v[12:13]
	v_add_f64 v[34:35], v[34:35], v[10:11]
	v_add_f64 v[36:37], v[12:13], v[36:37]
	ds_read_b128 v[10:13], v24 offset:2816
	s_waitcnt lgkmcnt(0)
	v_mul_f64 v[38:39], v[4:5], v[12:13]
	v_fma_f64 v[38:39], v[2:3], v[10:11], -v[38:39]
	v_mul_f64 v[2:3], v[2:3], v[12:13]
	v_add_f64 v[28:29], v[28:29], v[38:39]
	v_fma_f64 v[2:3], v[4:5], v[10:11], v[2:3]
	v_add_f64 v[26:27], v[2:3], v[26:27]
	ds_read_b128 v[2:5], v25 offset:2128
	s_waitcnt lgkmcnt(0)
	v_mul_f64 v[38:39], v[4:5], v[8:9]
	v_mul_f64 v[8:9], v[2:3], v[8:9]
	v_fma_f64 v[38:39], v[2:3], v[6:7], -v[38:39]
	v_fma_f64 v[6:7], v[4:5], v[6:7], v[8:9]
	v_add_f64 v[14:15], v[14:15], v[38:39]
	v_add_f64 v[16:17], v[6:7], v[16:17]
	v_mul_f64 v[6:7], v[4:5], v[12:13]
	v_fma_f64 v[6:7], v[2:3], v[10:11], -v[6:7]
	v_mul_f64 v[2:3], v[2:3], v[12:13]
	v_add_f64 v[30:31], v[30:31], v[6:7]
	v_fma_f64 v[2:3], v[4:5], v[10:11], v[2:3]
	;; [unrolled: 31-line block ×3, first 2 shown]
	v_add_f64 v[44:45], v[2:3], v[32:33]
	ds_read_b128 v[2:5], v25 offset:112
	ds_read_b128 v[6:9], v24 offset:3584
	;; [unrolled: 1-line block ×3, first 2 shown]
	s_waitcnt lgkmcnt(1)
	v_mul_f64 v[10:11], v[4:5], v[8:9]
	s_waitcnt lgkmcnt(0)
	v_mul_f64 v[30:31], v[4:5], v[28:29]
	v_mul_f64 v[12:13], v[2:3], v[8:9]
	v_fma_f64 v[10:11], v[2:3], v[6:7], -v[10:11]
	v_fma_f64 v[30:31], v[2:3], v[26:27], -v[30:31]
	v_mul_f64 v[2:3], v[2:3], v[28:29]
	v_fma_f64 v[12:13], v[4:5], v[6:7], v[12:13]
	v_add_f64 v[10:11], v[34:35], v[10:11]
	v_fma_f64 v[4:5], v[4:5], v[26:27], v[2:3]
	v_add_f64 v[2:3], v[38:39], v[30:31]
	ds_read_b128 v[30:33], v25 offset:2160
	v_add_f64 v[12:13], v[12:13], v[36:37]
	s_waitcnt lgkmcnt(0)
	s_barrier
	v_mul_f64 v[34:35], v[32:33], v[8:9]
	v_mul_f64 v[8:9], v[30:31], v[8:9]
	v_add_f64 v[4:5], v[4:5], v[40:41]
	v_fma_f64 v[34:35], v[30:31], v[6:7], -v[34:35]
	v_fma_f64 v[6:7], v[32:33], v[6:7], v[8:9]
	v_mul_f64 v[8:9], v[30:31], v[28:29]
	v_add_f64 v[14:15], v[14:15], v[34:35]
	v_add_f64 v[16:17], v[6:7], v[16:17]
	v_mul_f64 v[6:7], v[32:33], v[28:29]
	v_fma_f64 v[8:9], v[32:33], v[26:27], v[8:9]
	v_fma_f64 v[6:7], v[30:31], v[26:27], -v[6:7]
	v_add_f64 v[8:9], v[8:9], v[44:45]
	v_add_f64 v[6:7], v[42:43], v[6:7]
	s_cbranch_scc0 .LBB252_2
	s_branch .LBB252_4
.LBB252_3:
	v_mov_b32_e32 v10, 0
	v_mov_b32_e32 v12, 0
	;; [unrolled: 1-line block ×16, first 2 shown]
.LBB252_4:
	s_load_dwordx2 s[0:1], s[4:5], 0x48
	s_load_dword s9, s[4:5], 0x40
	v_add_u32_e32 v18, s7, v1
	v_add_u32_e32 v0, s6, v0
	s_waitcnt lgkmcnt(0)
	s_mul_i32 s1, s1, s8
	s_mul_hi_u32 s4, s0, s8
	s_add_i32 s1, s4, s1
	v_mad_i64_i32 v[19:20], s[4:5], v18, s9, 0
	s_mul_i32 s0, s0, s8
	s_lshl_b64 s[0:1], s[0:1], 4
	s_add_u32 s7, s2, s0
	v_lshlrev_b64 v[19:20], 4, v[19:20]
	s_addc_u32 s8, s3, s1
	v_mov_b32_e32 v1, s8
	v_add_co_u32_e32 v19, vcc, s7, v19
	v_addc_co_u32_e32 v20, vcc, v1, v20, vcc
	v_cmp_le_i32_e64 s[0:1], v18, v0
	v_cmp_gt_i32_e32 vcc, s10, v0
	s_and_b64 s[0:1], s[0:1], vcc
	s_and_saveexec_b64 s[2:3], s[0:1]
	s_cbranch_execz .LBB252_6
; %bb.5:
	v_ashrrev_i32_e32 v1, 31, v0
	v_lshlrev_b64 v[21:22], 4, v[0:1]
	v_xor_b32_e32 v11, 0x80000000, v11
	v_add_co_u32_e64 v21, s[0:1], v19, v21
	v_xor_b32_e32 v13, 0x80000000, v13
	v_addc_co_u32_e64 v22, s[0:1], v20, v22, s[0:1]
	global_store_dwordx4 v[21:22], v[10:13], off
.LBB252_6:
	s_or_b64 exec, exec, s[2:3]
	v_add_u32_e32 v10, 16, v0
	v_cmp_le_i32_e64 s[2:3], v18, v10
	v_cmp_gt_i32_e64 s[0:1], s10, v10
	s_and_b64 s[2:3], s[2:3], s[0:1]
	s_and_saveexec_b64 s[4:5], s[2:3]
	s_cbranch_execz .LBB252_8
; %bb.7:
	v_ashrrev_i32_e32 v11, 31, v10
	v_lshlrev_b64 v[11:12], 4, v[10:11]
	v_xor_b32_e32 v3, 0x80000000, v3
	v_add_co_u32_e64 v11, s[2:3], v19, v11
	v_xor_b32_e32 v5, 0x80000000, v5
	v_addc_co_u32_e64 v12, s[2:3], v20, v12, s[2:3]
	global_store_dwordx4 v[11:12], v[2:5], off
.LBB252_8:
	s_or_b64 exec, exec, s[4:5]
	v_add_u32_e32 v4, 16, v18
	v_mad_i64_i32 v[1:2], s[2:3], v4, s9, 0
	v_mov_b32_e32 v5, s8
	v_lshlrev_b64 v[2:3], 4, v[1:2]
	v_add_co_u32_e64 v2, s[2:3], s7, v2
	v_addc_co_u32_e64 v3, s[2:3], v5, v3, s[2:3]
	v_cmp_le_i32_e64 s[2:3], v4, v0
	s_and_b64 s[4:5], s[2:3], vcc
	s_and_saveexec_b64 s[2:3], s[4:5]
	s_cbranch_execz .LBB252_10
; %bb.9:
	v_ashrrev_i32_e32 v1, 31, v0
	v_lshlrev_b64 v[0:1], 4, v[0:1]
	v_xor_b32_e32 v15, 0x80000000, v15
	v_add_co_u32_e32 v0, vcc, v2, v0
	v_xor_b32_e32 v17, 0x80000000, v17
	v_addc_co_u32_e32 v1, vcc, v3, v1, vcc
	global_store_dwordx4 v[0:1], v[14:17], off
.LBB252_10:
	s_or_b64 exec, exec, s[2:3]
	v_cmp_le_i32_e32 vcc, v4, v10
	s_and_b64 s[0:1], vcc, s[0:1]
	s_and_saveexec_b64 s[2:3], s[0:1]
	s_cbranch_execz .LBB252_12
; %bb.11:
	v_ashrrev_i32_e32 v11, 31, v10
	v_lshlrev_b64 v[0:1], 4, v[10:11]
	v_xor_b32_e32 v7, 0x80000000, v7
	v_add_co_u32_e32 v0, vcc, v2, v0
	v_xor_b32_e32 v9, 0x80000000, v9
	v_addc_co_u32_e32 v1, vcc, v3, v1, vcc
	global_store_dwordx4 v[0:1], v[6:9], off
.LBB252_12:
	s_endpgm
	.section	.rodata,"a",@progbits
	.p2align	6, 0x0
	.amdhsa_kernel _ZL37rocblas_syrkx_herkx_restricted_kernelIi19rocblas_complex_numIdELi16ELi32ELi8ELin1ELi0ELb0ELc67ELc76EKS1_S1_EviT_PT9_S3_lS5_S3_lPT10_S3_li
		.amdhsa_group_segment_fixed_size 8192
		.amdhsa_private_segment_fixed_size 0
		.amdhsa_kernarg_size 84
		.amdhsa_user_sgpr_count 6
		.amdhsa_user_sgpr_private_segment_buffer 1
		.amdhsa_user_sgpr_dispatch_ptr 0
		.amdhsa_user_sgpr_queue_ptr 0
		.amdhsa_user_sgpr_kernarg_segment_ptr 1
		.amdhsa_user_sgpr_dispatch_id 0
		.amdhsa_user_sgpr_flat_scratch_init 0
		.amdhsa_user_sgpr_private_segment_size 0
		.amdhsa_uses_dynamic_stack 0
		.amdhsa_system_sgpr_private_segment_wavefront_offset 0
		.amdhsa_system_sgpr_workgroup_id_x 1
		.amdhsa_system_sgpr_workgroup_id_y 1
		.amdhsa_system_sgpr_workgroup_id_z 1
		.amdhsa_system_sgpr_workgroup_info 0
		.amdhsa_system_vgpr_workitem_id 1
		.amdhsa_next_free_vgpr 52
		.amdhsa_next_free_sgpr 61
		.amdhsa_reserve_vcc 1
		.amdhsa_reserve_flat_scratch 0
		.amdhsa_float_round_mode_32 0
		.amdhsa_float_round_mode_16_64 0
		.amdhsa_float_denorm_mode_32 3
		.amdhsa_float_denorm_mode_16_64 3
		.amdhsa_dx10_clamp 1
		.amdhsa_ieee_mode 1
		.amdhsa_fp16_overflow 0
		.amdhsa_exception_fp_ieee_invalid_op 0
		.amdhsa_exception_fp_denorm_src 0
		.amdhsa_exception_fp_ieee_div_zero 0
		.amdhsa_exception_fp_ieee_overflow 0
		.amdhsa_exception_fp_ieee_underflow 0
		.amdhsa_exception_fp_ieee_inexact 0
		.amdhsa_exception_int_div_zero 0
	.end_amdhsa_kernel
	.section	.text._ZL37rocblas_syrkx_herkx_restricted_kernelIi19rocblas_complex_numIdELi16ELi32ELi8ELin1ELi0ELb0ELc67ELc76EKS1_S1_EviT_PT9_S3_lS5_S3_lPT10_S3_li,"axG",@progbits,_ZL37rocblas_syrkx_herkx_restricted_kernelIi19rocblas_complex_numIdELi16ELi32ELi8ELin1ELi0ELb0ELc67ELc76EKS1_S1_EviT_PT9_S3_lS5_S3_lPT10_S3_li,comdat
.Lfunc_end252:
	.size	_ZL37rocblas_syrkx_herkx_restricted_kernelIi19rocblas_complex_numIdELi16ELi32ELi8ELin1ELi0ELb0ELc67ELc76EKS1_S1_EviT_PT9_S3_lS5_S3_lPT10_S3_li, .Lfunc_end252-_ZL37rocblas_syrkx_herkx_restricted_kernelIi19rocblas_complex_numIdELi16ELi32ELi8ELin1ELi0ELb0ELc67ELc76EKS1_S1_EviT_PT9_S3_lS5_S3_lPT10_S3_li
                                        ; -- End function
	.set _ZL37rocblas_syrkx_herkx_restricted_kernelIi19rocblas_complex_numIdELi16ELi32ELi8ELin1ELi0ELb0ELc67ELc76EKS1_S1_EviT_PT9_S3_lS5_S3_lPT10_S3_li.num_vgpr, 52
	.set _ZL37rocblas_syrkx_herkx_restricted_kernelIi19rocblas_complex_numIdELi16ELi32ELi8ELin1ELi0ELb0ELc67ELc76EKS1_S1_EviT_PT9_S3_lS5_S3_lPT10_S3_li.num_agpr, 0
	.set _ZL37rocblas_syrkx_herkx_restricted_kernelIi19rocblas_complex_numIdELi16ELi32ELi8ELin1ELi0ELb0ELc67ELc76EKS1_S1_EviT_PT9_S3_lS5_S3_lPT10_S3_li.numbered_sgpr, 22
	.set _ZL37rocblas_syrkx_herkx_restricted_kernelIi19rocblas_complex_numIdELi16ELi32ELi8ELin1ELi0ELb0ELc67ELc76EKS1_S1_EviT_PT9_S3_lS5_S3_lPT10_S3_li.num_named_barrier, 0
	.set _ZL37rocblas_syrkx_herkx_restricted_kernelIi19rocblas_complex_numIdELi16ELi32ELi8ELin1ELi0ELb0ELc67ELc76EKS1_S1_EviT_PT9_S3_lS5_S3_lPT10_S3_li.private_seg_size, 0
	.set _ZL37rocblas_syrkx_herkx_restricted_kernelIi19rocblas_complex_numIdELi16ELi32ELi8ELin1ELi0ELb0ELc67ELc76EKS1_S1_EviT_PT9_S3_lS5_S3_lPT10_S3_li.uses_vcc, 1
	.set _ZL37rocblas_syrkx_herkx_restricted_kernelIi19rocblas_complex_numIdELi16ELi32ELi8ELin1ELi0ELb0ELc67ELc76EKS1_S1_EviT_PT9_S3_lS5_S3_lPT10_S3_li.uses_flat_scratch, 0
	.set _ZL37rocblas_syrkx_herkx_restricted_kernelIi19rocblas_complex_numIdELi16ELi32ELi8ELin1ELi0ELb0ELc67ELc76EKS1_S1_EviT_PT9_S3_lS5_S3_lPT10_S3_li.has_dyn_sized_stack, 0
	.set _ZL37rocblas_syrkx_herkx_restricted_kernelIi19rocblas_complex_numIdELi16ELi32ELi8ELin1ELi0ELb0ELc67ELc76EKS1_S1_EviT_PT9_S3_lS5_S3_lPT10_S3_li.has_recursion, 0
	.set _ZL37rocblas_syrkx_herkx_restricted_kernelIi19rocblas_complex_numIdELi16ELi32ELi8ELin1ELi0ELb0ELc67ELc76EKS1_S1_EviT_PT9_S3_lS5_S3_lPT10_S3_li.has_indirect_call, 0
	.section	.AMDGPU.csdata,"",@progbits
; Kernel info:
; codeLenInByte = 2828
; TotalNumSgprs: 26
; NumVgprs: 52
; ScratchSize: 0
; MemoryBound: 0
; FloatMode: 240
; IeeeMode: 1
; LDSByteSize: 8192 bytes/workgroup (compile time only)
; SGPRBlocks: 8
; VGPRBlocks: 12
; NumSGPRsForWavesPerEU: 65
; NumVGPRsForWavesPerEU: 52
; Occupancy: 4
; WaveLimiterHint : 0
; COMPUTE_PGM_RSRC2:SCRATCH_EN: 0
; COMPUTE_PGM_RSRC2:USER_SGPR: 6
; COMPUTE_PGM_RSRC2:TRAP_HANDLER: 0
; COMPUTE_PGM_RSRC2:TGID_X_EN: 1
; COMPUTE_PGM_RSRC2:TGID_Y_EN: 1
; COMPUTE_PGM_RSRC2:TGID_Z_EN: 1
; COMPUTE_PGM_RSRC2:TIDIG_COMP_CNT: 1
	.section	.text._ZL37rocblas_syrkx_herkx_restricted_kernelIi19rocblas_complex_numIdELi16ELi32ELi8ELin1ELi0ELb0ELc78ELc76EKS1_S1_EviT_PT9_S3_lS5_S3_lPT10_S3_li,"axG",@progbits,_ZL37rocblas_syrkx_herkx_restricted_kernelIi19rocblas_complex_numIdELi16ELi32ELi8ELin1ELi0ELb0ELc78ELc76EKS1_S1_EviT_PT9_S3_lS5_S3_lPT10_S3_li,comdat
	.globl	_ZL37rocblas_syrkx_herkx_restricted_kernelIi19rocblas_complex_numIdELi16ELi32ELi8ELin1ELi0ELb0ELc78ELc76EKS1_S1_EviT_PT9_S3_lS5_S3_lPT10_S3_li ; -- Begin function _ZL37rocblas_syrkx_herkx_restricted_kernelIi19rocblas_complex_numIdELi16ELi32ELi8ELin1ELi0ELb0ELc78ELc76EKS1_S1_EviT_PT9_S3_lS5_S3_lPT10_S3_li
	.p2align	8
	.type	_ZL37rocblas_syrkx_herkx_restricted_kernelIi19rocblas_complex_numIdELi16ELi32ELi8ELin1ELi0ELb0ELc78ELc76EKS1_S1_EviT_PT9_S3_lS5_S3_lPT10_S3_li,@function
_ZL37rocblas_syrkx_herkx_restricted_kernelIi19rocblas_complex_numIdELi16ELi32ELi8ELin1ELi0ELb0ELc78ELc76EKS1_S1_EviT_PT9_S3_lS5_S3_lPT10_S3_li: ; @_ZL37rocblas_syrkx_herkx_restricted_kernelIi19rocblas_complex_numIdELi16ELi32ELi8ELin1ELi0ELb0ELc78ELc76EKS1_S1_EviT_PT9_S3_lS5_S3_lPT10_S3_li
; %bb.0:
	s_load_dwordx2 s[10:11], s[4:5], 0x0
	s_load_dwordx4 s[0:3], s[4:5], 0x30
	s_lshl_b32 s9, s6, 5
	s_lshl_b32 s16, s7, 5
	s_mov_b32 s17, 0
	s_waitcnt lgkmcnt(0)
	s_cmp_lt_i32 s11, 1
	s_cbranch_scc1 .LBB253_3
; %bb.1:
	v_lshl_add_u32 v5, v1, 4, v0
	s_load_dword s6, s[4:5], 0x10
	s_load_dword s18, s[4:5], 0x28
	s_load_dwordx2 s[20:21], s[4:5], 0x8
	s_load_dwordx4 s[12:15], s[4:5], 0x18
	v_lshrrev_b32_e32 v6, 3, v5
	v_add_u32_e32 v2, s16, v6
	v_and_b32_e32 v4, 7, v0
	v_ashrrev_i32_e32 v3, 31, v2
	s_waitcnt lgkmcnt(0)
	v_mad_i64_i32 v[2:3], s[22:23], s18, v4, v[2:3]
	v_lshlrev_b32_e32 v4, 4, v4
	v_lshl_or_b32 v4, v6, 7, v4
	v_lshrrev_b32_e32 v7, 5, v5
	v_and_b32_e32 v5, 31, v5
	v_add_u32_e32 v23, 0x1000, v4
	v_mov_b32_e32 v4, 0x1000
	v_lshl_add_u32 v25, v1, 7, v4
	v_add_u32_e32 v4, s9, v5
	v_lshlrev_b32_e32 v8, 4, v5
	v_ashrrev_i32_e32 v5, 31, v4
	v_mad_i64_i32 v[4:5], s[22:23], s6, v7, v[4:5]
	s_mul_i32 s13, s13, s8
	s_mul_hi_u32 s24, s12, s8
	s_add_i32 s13, s24, s13
	s_mul_i32 s12, s12, s8
	s_ashr_i32 s7, s6, 31
	s_ashr_i32 s19, s18, 31
	s_lshl_b64 s[12:13], s[12:13], 4
	v_lshlrev_b64 v[4:5], 4, v[4:5]
	s_add_u32 s12, s20, s12
	s_addc_u32 s13, s21, s13
	v_add_co_u32_e32 v4, vcc, s12, v4
	s_mul_i32 s1, s1, s8
	s_mul_hi_u32 s12, s0, s8
	v_mov_b32_e32 v6, s13
	s_add_i32 s1, s12, s1
	s_mul_i32 s0, s0, s8
	v_addc_co_u32_e32 v5, vcc, v6, v5, vcc
	s_lshl_b64 s[6:7], s[6:7], 7
	s_lshl_b64 s[0:1], s[0:1], 4
	v_add_co_u32_e32 v18, vcc, 8, v4
	v_lshlrev_b64 v[2:3], 4, v[2:3]
	s_add_u32 s0, s14, s0
	v_addc_co_u32_e32 v19, vcc, 0, v5, vcc
	s_addc_u32 s1, s15, s1
	v_mov_b32_e32 v4, s1
	v_add_co_u32_e32 v2, vcc, s0, v2
	v_addc_co_u32_e32 v3, vcc, v4, v3, vcc
	v_add_co_u32_e32 v20, vcc, 8, v2
	v_lshl_or_b32 v22, v7, 9, v8
	v_addc_co_u32_e32 v21, vcc, 0, v3, vcc
	s_lshl_b64 s[0:1], s[18:19], 7
	v_mov_b32_e32 v8, 0
	v_mov_b32_e32 v6, 0
	v_mov_b32_e32 v16, 0
	v_mov_b32_e32 v14, 0
	v_mov_b32_e32 v4, 0
	v_mov_b32_e32 v2, 0
	v_mov_b32_e32 v12, 0
	v_mov_b32_e32 v10, 0
	v_lshlrev_b32_e32 v24, 4, v0
	v_mov_b32_e32 v9, 0
	v_mov_b32_e32 v26, s7
	;; [unrolled: 1-line block ×10, first 2 shown]
.LBB253_2:                              ; =>This Inner Loop Header: Depth=1
	global_load_dwordx4 v[28:31], v[18:19], off offset:-8
	v_add_co_u32_e32 v18, vcc, s6, v18
	v_addc_co_u32_e32 v19, vcc, v19, v26, vcc
	s_add_i32 s17, s17, 8
	s_cmp_ge_i32 s17, s11
	s_waitcnt vmcnt(0)
	ds_write_b128 v22, v[28:31]
	global_load_dwordx4 v[28:31], v[20:21], off offset:-8
	v_add_co_u32_e32 v20, vcc, s0, v20
	v_addc_co_u32_e32 v21, vcc, v21, v27, vcc
	s_waitcnt vmcnt(0)
	ds_write_b128 v23, v[28:31]
	s_waitcnt lgkmcnt(0)
	s_barrier
	ds_read_b128 v[28:31], v25
	ds_read_b128 v[32:35], v25 offset:16
	ds_read_b128 v[36:39], v25 offset:32
	;; [unrolled: 1-line block ×3, first 2 shown]
	ds_read_b128 v[44:47], v24
	s_waitcnt lgkmcnt(0)
	v_mul_f64 v[48:49], v[30:31], v[46:47]
	v_mul_f64 v[50:51], v[28:29], v[46:47]
	v_fma_f64 v[48:49], v[28:29], v[44:45], -v[48:49]
	v_fma_f64 v[50:51], v[30:31], v[44:45], v[50:51]
	v_add_f64 v[48:49], v[10:11], v[48:49]
	v_add_f64 v[50:51], v[50:51], v[12:13]
	ds_read_b128 v[10:13], v24 offset:256
	s_waitcnt lgkmcnt(0)
	v_mul_f64 v[52:53], v[30:31], v[12:13]
	v_fma_f64 v[52:53], v[28:29], v[10:11], -v[52:53]
	v_mul_f64 v[28:29], v[28:29], v[12:13]
	v_fma_f64 v[28:29], v[30:31], v[10:11], v[28:29]
	v_add_f64 v[30:31], v[2:3], v[52:53]
	v_add_f64 v[28:29], v[28:29], v[4:5]
	ds_read_b128 v[2:5], v25 offset:2048
	s_waitcnt lgkmcnt(0)
	v_mul_f64 v[52:53], v[4:5], v[46:47]
	v_mul_f64 v[46:47], v[2:3], v[46:47]
	v_fma_f64 v[52:53], v[2:3], v[44:45], -v[52:53]
	v_fma_f64 v[44:45], v[4:5], v[44:45], v[46:47]
	v_add_f64 v[14:15], v[14:15], v[52:53]
	v_add_f64 v[16:17], v[44:45], v[16:17]
	v_mul_f64 v[44:45], v[4:5], v[12:13]
	v_fma_f64 v[44:45], v[2:3], v[10:11], -v[44:45]
	v_mul_f64 v[2:3], v[2:3], v[12:13]
	v_add_f64 v[44:45], v[6:7], v[44:45]
	v_fma_f64 v[2:3], v[4:5], v[10:11], v[2:3]
	v_add_f64 v[46:47], v[2:3], v[8:9]
	ds_read_b128 v[2:5], v24 offset:512
	s_waitcnt lgkmcnt(0)
	v_mul_f64 v[6:7], v[34:35], v[4:5]
	v_mul_f64 v[8:9], v[32:33], v[4:5]
	v_fma_f64 v[6:7], v[32:33], v[2:3], -v[6:7]
	v_fma_f64 v[8:9], v[34:35], v[2:3], v[8:9]
	v_add_f64 v[48:49], v[48:49], v[6:7]
	v_add_f64 v[50:51], v[8:9], v[50:51]
	ds_read_b128 v[6:9], v24 offset:768
	s_waitcnt lgkmcnt(0)
	v_mul_f64 v[10:11], v[34:35], v[8:9]
	v_mul_f64 v[12:13], v[32:33], v[8:9]
	v_fma_f64 v[10:11], v[32:33], v[6:7], -v[10:11]
	v_fma_f64 v[12:13], v[34:35], v[6:7], v[12:13]
	v_add_f64 v[30:31], v[30:31], v[10:11]
	v_add_f64 v[28:29], v[12:13], v[28:29]
	ds_read_b128 v[10:13], v25 offset:2064
	s_waitcnt lgkmcnt(0)
	v_mul_f64 v[32:33], v[12:13], v[4:5]
	v_mul_f64 v[4:5], v[10:11], v[4:5]
	v_fma_f64 v[32:33], v[10:11], v[2:3], -v[32:33]
	v_fma_f64 v[2:3], v[12:13], v[2:3], v[4:5]
	v_mul_f64 v[4:5], v[10:11], v[8:9]
	v_add_f64 v[14:15], v[14:15], v[32:33]
	v_add_f64 v[16:17], v[2:3], v[16:17]
	v_mul_f64 v[2:3], v[12:13], v[8:9]
	v_fma_f64 v[4:5], v[12:13], v[6:7], v[4:5]
	v_fma_f64 v[2:3], v[10:11], v[6:7], -v[2:3]
	v_add_f64 v[34:35], v[4:5], v[46:47]
	v_add_f64 v[32:33], v[44:45], v[2:3]
	ds_read_b128 v[2:5], v24 offset:1024
	s_waitcnt lgkmcnt(0)
	v_mul_f64 v[6:7], v[38:39], v[4:5]
	v_mul_f64 v[8:9], v[36:37], v[4:5]
	v_fma_f64 v[6:7], v[36:37], v[2:3], -v[6:7]
	v_fma_f64 v[8:9], v[38:39], v[2:3], v[8:9]
	v_add_f64 v[44:45], v[48:49], v[6:7]
	v_add_f64 v[46:47], v[8:9], v[50:51]
	ds_read_b128 v[6:9], v24 offset:1280
	s_waitcnt lgkmcnt(0)
	v_mul_f64 v[10:11], v[38:39], v[8:9]
	v_mul_f64 v[12:13], v[36:37], v[8:9]
	v_fma_f64 v[10:11], v[36:37], v[6:7], -v[10:11]
	v_fma_f64 v[12:13], v[38:39], v[6:7], v[12:13]
	v_add_f64 v[30:31], v[30:31], v[10:11]
	v_add_f64 v[28:29], v[12:13], v[28:29]
	ds_read_b128 v[10:13], v25 offset:2080
	s_waitcnt lgkmcnt(0)
	v_mul_f64 v[36:37], v[12:13], v[4:5]
	v_mul_f64 v[4:5], v[10:11], v[4:5]
	v_fma_f64 v[36:37], v[10:11], v[2:3], -v[36:37]
	v_fma_f64 v[2:3], v[12:13], v[2:3], v[4:5]
	v_mul_f64 v[4:5], v[10:11], v[8:9]
	v_add_f64 v[14:15], v[14:15], v[36:37]
	v_add_f64 v[16:17], v[2:3], v[16:17]
	v_mul_f64 v[2:3], v[12:13], v[8:9]
	v_fma_f64 v[4:5], v[12:13], v[6:7], v[4:5]
	v_fma_f64 v[2:3], v[10:11], v[6:7], -v[2:3]
	v_add_f64 v[34:35], v[4:5], v[34:35]
	;; [unrolled: 30-line block ×3, first 2 shown]
	v_add_f64 v[32:33], v[32:33], v[2:3]
	ds_read_b128 v[2:5], v25 offset:64
	ds_read_b128 v[6:9], v24 offset:2048
	s_waitcnt lgkmcnt(0)
	v_mul_f64 v[10:11], v[4:5], v[8:9]
	v_mul_f64 v[12:13], v[2:3], v[8:9]
	v_fma_f64 v[10:11], v[2:3], v[6:7], -v[10:11]
	v_fma_f64 v[12:13], v[4:5], v[6:7], v[12:13]
	v_add_f64 v[36:37], v[36:37], v[10:11]
	v_add_f64 v[38:39], v[12:13], v[38:39]
	ds_read_b128 v[10:13], v24 offset:2304
	s_waitcnt lgkmcnt(0)
	v_mul_f64 v[40:41], v[4:5], v[12:13]
	v_fma_f64 v[40:41], v[2:3], v[10:11], -v[40:41]
	v_mul_f64 v[2:3], v[2:3], v[12:13]
	v_add_f64 v[30:31], v[30:31], v[40:41]
	v_fma_f64 v[2:3], v[4:5], v[10:11], v[2:3]
	v_add_f64 v[28:29], v[2:3], v[28:29]
	ds_read_b128 v[2:5], v25 offset:2112
	s_waitcnt lgkmcnt(0)
	v_mul_f64 v[40:41], v[4:5], v[8:9]
	v_mul_f64 v[8:9], v[2:3], v[8:9]
	v_fma_f64 v[40:41], v[2:3], v[6:7], -v[40:41]
	v_fma_f64 v[6:7], v[4:5], v[6:7], v[8:9]
	v_add_f64 v[14:15], v[14:15], v[40:41]
	v_add_f64 v[16:17], v[6:7], v[16:17]
	v_mul_f64 v[6:7], v[4:5], v[12:13]
	v_fma_f64 v[6:7], v[2:3], v[10:11], -v[6:7]
	v_mul_f64 v[2:3], v[2:3], v[12:13]
	v_add_f64 v[32:33], v[32:33], v[6:7]
	v_fma_f64 v[2:3], v[4:5], v[10:11], v[2:3]
	v_add_f64 v[34:35], v[2:3], v[34:35]
	ds_read_b128 v[2:5], v25 offset:80
	ds_read_b128 v[6:9], v24 offset:2560
	s_waitcnt lgkmcnt(0)
	v_mul_f64 v[10:11], v[4:5], v[8:9]
	v_mul_f64 v[12:13], v[2:3], v[8:9]
	v_fma_f64 v[10:11], v[2:3], v[6:7], -v[10:11]
	v_fma_f64 v[12:13], v[4:5], v[6:7], v[12:13]
	v_add_f64 v[36:37], v[36:37], v[10:11]
	v_add_f64 v[38:39], v[12:13], v[38:39]
	ds_read_b128 v[10:13], v24 offset:2816
	s_waitcnt lgkmcnt(0)
	v_mul_f64 v[40:41], v[4:5], v[12:13]
	v_fma_f64 v[40:41], v[2:3], v[10:11], -v[40:41]
	v_mul_f64 v[2:3], v[2:3], v[12:13]
	v_add_f64 v[30:31], v[30:31], v[40:41]
	v_fma_f64 v[2:3], v[4:5], v[10:11], v[2:3]
	v_add_f64 v[28:29], v[2:3], v[28:29]
	ds_read_b128 v[2:5], v25 offset:2128
	s_waitcnt lgkmcnt(0)
	v_mul_f64 v[40:41], v[4:5], v[8:9]
	v_mul_f64 v[8:9], v[2:3], v[8:9]
	v_fma_f64 v[40:41], v[2:3], v[6:7], -v[40:41]
	v_fma_f64 v[6:7], v[4:5], v[6:7], v[8:9]
	v_add_f64 v[14:15], v[14:15], v[40:41]
	v_add_f64 v[16:17], v[6:7], v[16:17]
	v_mul_f64 v[6:7], v[4:5], v[12:13]
	v_fma_f64 v[6:7], v[2:3], v[10:11], -v[6:7]
	v_mul_f64 v[2:3], v[2:3], v[12:13]
	v_add_f64 v[32:33], v[32:33], v[6:7]
	v_fma_f64 v[2:3], v[4:5], v[10:11], v[2:3]
	;; [unrolled: 31-line block ×3, first 2 shown]
	v_add_f64 v[46:47], v[2:3], v[34:35]
	ds_read_b128 v[2:5], v25 offset:112
	ds_read_b128 v[6:9], v24 offset:3584
	;; [unrolled: 1-line block ×3, first 2 shown]
	s_waitcnt lgkmcnt(1)
	v_mul_f64 v[10:11], v[4:5], v[8:9]
	s_waitcnt lgkmcnt(0)
	v_mul_f64 v[32:33], v[4:5], v[30:31]
	v_mul_f64 v[12:13], v[2:3], v[8:9]
	v_fma_f64 v[10:11], v[2:3], v[6:7], -v[10:11]
	v_fma_f64 v[32:33], v[2:3], v[28:29], -v[32:33]
	v_mul_f64 v[2:3], v[2:3], v[30:31]
	v_fma_f64 v[12:13], v[4:5], v[6:7], v[12:13]
	v_add_f64 v[10:11], v[36:37], v[10:11]
	v_fma_f64 v[4:5], v[4:5], v[28:29], v[2:3]
	v_add_f64 v[2:3], v[40:41], v[32:33]
	ds_read_b128 v[32:35], v25 offset:2160
	v_add_f64 v[12:13], v[12:13], v[38:39]
	s_waitcnt lgkmcnt(0)
	s_barrier
	v_mul_f64 v[36:37], v[34:35], v[8:9]
	v_mul_f64 v[8:9], v[32:33], v[8:9]
	v_add_f64 v[4:5], v[4:5], v[42:43]
	v_fma_f64 v[36:37], v[32:33], v[6:7], -v[36:37]
	v_fma_f64 v[6:7], v[34:35], v[6:7], v[8:9]
	v_mul_f64 v[8:9], v[32:33], v[30:31]
	v_add_f64 v[14:15], v[14:15], v[36:37]
	v_add_f64 v[16:17], v[6:7], v[16:17]
	v_mul_f64 v[6:7], v[34:35], v[30:31]
	v_fma_f64 v[8:9], v[34:35], v[28:29], v[8:9]
	v_fma_f64 v[6:7], v[32:33], v[28:29], -v[6:7]
	v_add_f64 v[8:9], v[8:9], v[46:47]
	v_add_f64 v[6:7], v[44:45], v[6:7]
	s_cbranch_scc0 .LBB253_2
	s_branch .LBB253_4
.LBB253_3:
	v_mov_b32_e32 v10, 0
	v_mov_b32_e32 v12, 0
	;; [unrolled: 1-line block ×16, first 2 shown]
.LBB253_4:
	s_load_dwordx2 s[0:1], s[4:5], 0x48
	s_load_dword s6, s[4:5], 0x40
	v_add_u32_e32 v18, s16, v1
	v_add_u32_e32 v0, s9, v0
	s_waitcnt lgkmcnt(0)
	s_mul_i32 s1, s1, s8
	s_mul_hi_u32 s4, s0, s8
	s_add_i32 s1, s4, s1
	v_mad_i64_i32 v[19:20], s[4:5], v18, s6, 0
	s_mul_i32 s0, s0, s8
	s_lshl_b64 s[0:1], s[0:1], 4
	s_add_u32 s7, s2, s0
	v_lshlrev_b64 v[19:20], 4, v[19:20]
	s_addc_u32 s8, s3, s1
	v_mov_b32_e32 v1, s8
	v_add_co_u32_e32 v19, vcc, s7, v19
	v_addc_co_u32_e32 v20, vcc, v1, v20, vcc
	v_cmp_le_i32_e64 s[0:1], v18, v0
	v_cmp_gt_i32_e32 vcc, s10, v0
	s_and_b64 s[0:1], s[0:1], vcc
	s_and_saveexec_b64 s[2:3], s[0:1]
	s_cbranch_execz .LBB253_6
; %bb.5:
	v_ashrrev_i32_e32 v1, 31, v0
	v_lshlrev_b64 v[21:22], 4, v[0:1]
	v_xor_b32_e32 v11, 0x80000000, v11
	v_add_co_u32_e64 v21, s[0:1], v19, v21
	v_xor_b32_e32 v13, 0x80000000, v13
	v_addc_co_u32_e64 v22, s[0:1], v20, v22, s[0:1]
	global_store_dwordx4 v[21:22], v[10:13], off
.LBB253_6:
	s_or_b64 exec, exec, s[2:3]
	v_add_u32_e32 v10, 16, v0
	v_cmp_le_i32_e64 s[2:3], v18, v10
	v_cmp_gt_i32_e64 s[0:1], s10, v10
	s_and_b64 s[2:3], s[2:3], s[0:1]
	s_and_saveexec_b64 s[4:5], s[2:3]
	s_cbranch_execz .LBB253_8
; %bb.7:
	v_ashrrev_i32_e32 v11, 31, v10
	v_lshlrev_b64 v[11:12], 4, v[10:11]
	v_xor_b32_e32 v3, 0x80000000, v3
	v_add_co_u32_e64 v11, s[2:3], v19, v11
	v_xor_b32_e32 v5, 0x80000000, v5
	v_addc_co_u32_e64 v12, s[2:3], v20, v12, s[2:3]
	global_store_dwordx4 v[11:12], v[2:5], off
.LBB253_8:
	s_or_b64 exec, exec, s[4:5]
	v_add_u32_e32 v4, 16, v18
	v_mad_i64_i32 v[1:2], s[2:3], v4, s6, 0
	v_mov_b32_e32 v5, s8
	v_lshlrev_b64 v[2:3], 4, v[1:2]
	v_add_co_u32_e64 v2, s[2:3], s7, v2
	v_addc_co_u32_e64 v3, s[2:3], v5, v3, s[2:3]
	v_cmp_le_i32_e64 s[2:3], v4, v0
	s_and_b64 s[4:5], s[2:3], vcc
	s_and_saveexec_b64 s[2:3], s[4:5]
	s_cbranch_execz .LBB253_10
; %bb.9:
	v_ashrrev_i32_e32 v1, 31, v0
	v_lshlrev_b64 v[0:1], 4, v[0:1]
	v_xor_b32_e32 v15, 0x80000000, v15
	v_add_co_u32_e32 v0, vcc, v2, v0
	v_xor_b32_e32 v17, 0x80000000, v17
	v_addc_co_u32_e32 v1, vcc, v3, v1, vcc
	global_store_dwordx4 v[0:1], v[14:17], off
.LBB253_10:
	s_or_b64 exec, exec, s[2:3]
	v_cmp_le_i32_e32 vcc, v4, v10
	s_and_b64 s[0:1], vcc, s[0:1]
	s_and_saveexec_b64 s[2:3], s[0:1]
	s_cbranch_execz .LBB253_12
; %bb.11:
	v_ashrrev_i32_e32 v11, 31, v10
	v_lshlrev_b64 v[0:1], 4, v[10:11]
	v_xor_b32_e32 v7, 0x80000000, v7
	v_add_co_u32_e32 v0, vcc, v2, v0
	v_xor_b32_e32 v9, 0x80000000, v9
	v_addc_co_u32_e32 v1, vcc, v3, v1, vcc
	global_store_dwordx4 v[0:1], v[6:9], off
.LBB253_12:
	s_endpgm
	.section	.rodata,"a",@progbits
	.p2align	6, 0x0
	.amdhsa_kernel _ZL37rocblas_syrkx_herkx_restricted_kernelIi19rocblas_complex_numIdELi16ELi32ELi8ELin1ELi0ELb0ELc78ELc76EKS1_S1_EviT_PT9_S3_lS5_S3_lPT10_S3_li
		.amdhsa_group_segment_fixed_size 8192
		.amdhsa_private_segment_fixed_size 0
		.amdhsa_kernarg_size 84
		.amdhsa_user_sgpr_count 6
		.amdhsa_user_sgpr_private_segment_buffer 1
		.amdhsa_user_sgpr_dispatch_ptr 0
		.amdhsa_user_sgpr_queue_ptr 0
		.amdhsa_user_sgpr_kernarg_segment_ptr 1
		.amdhsa_user_sgpr_dispatch_id 0
		.amdhsa_user_sgpr_flat_scratch_init 0
		.amdhsa_user_sgpr_private_segment_size 0
		.amdhsa_uses_dynamic_stack 0
		.amdhsa_system_sgpr_private_segment_wavefront_offset 0
		.amdhsa_system_sgpr_workgroup_id_x 1
		.amdhsa_system_sgpr_workgroup_id_y 1
		.amdhsa_system_sgpr_workgroup_id_z 1
		.amdhsa_system_sgpr_workgroup_info 0
		.amdhsa_system_vgpr_workitem_id 1
		.amdhsa_next_free_vgpr 54
		.amdhsa_next_free_sgpr 61
		.amdhsa_reserve_vcc 1
		.amdhsa_reserve_flat_scratch 0
		.amdhsa_float_round_mode_32 0
		.amdhsa_float_round_mode_16_64 0
		.amdhsa_float_denorm_mode_32 3
		.amdhsa_float_denorm_mode_16_64 3
		.amdhsa_dx10_clamp 1
		.amdhsa_ieee_mode 1
		.amdhsa_fp16_overflow 0
		.amdhsa_exception_fp_ieee_invalid_op 0
		.amdhsa_exception_fp_denorm_src 0
		.amdhsa_exception_fp_ieee_div_zero 0
		.amdhsa_exception_fp_ieee_overflow 0
		.amdhsa_exception_fp_ieee_underflow 0
		.amdhsa_exception_fp_ieee_inexact 0
		.amdhsa_exception_int_div_zero 0
	.end_amdhsa_kernel
	.section	.text._ZL37rocblas_syrkx_herkx_restricted_kernelIi19rocblas_complex_numIdELi16ELi32ELi8ELin1ELi0ELb0ELc78ELc76EKS1_S1_EviT_PT9_S3_lS5_S3_lPT10_S3_li,"axG",@progbits,_ZL37rocblas_syrkx_herkx_restricted_kernelIi19rocblas_complex_numIdELi16ELi32ELi8ELin1ELi0ELb0ELc78ELc76EKS1_S1_EviT_PT9_S3_lS5_S3_lPT10_S3_li,comdat
.Lfunc_end253:
	.size	_ZL37rocblas_syrkx_herkx_restricted_kernelIi19rocblas_complex_numIdELi16ELi32ELi8ELin1ELi0ELb0ELc78ELc76EKS1_S1_EviT_PT9_S3_lS5_S3_lPT10_S3_li, .Lfunc_end253-_ZL37rocblas_syrkx_herkx_restricted_kernelIi19rocblas_complex_numIdELi16ELi32ELi8ELin1ELi0ELb0ELc78ELc76EKS1_S1_EviT_PT9_S3_lS5_S3_lPT10_S3_li
                                        ; -- End function
	.set _ZL37rocblas_syrkx_herkx_restricted_kernelIi19rocblas_complex_numIdELi16ELi32ELi8ELin1ELi0ELb0ELc78ELc76EKS1_S1_EviT_PT9_S3_lS5_S3_lPT10_S3_li.num_vgpr, 54
	.set _ZL37rocblas_syrkx_herkx_restricted_kernelIi19rocblas_complex_numIdELi16ELi32ELi8ELin1ELi0ELb0ELc78ELc76EKS1_S1_EviT_PT9_S3_lS5_S3_lPT10_S3_li.num_agpr, 0
	.set _ZL37rocblas_syrkx_herkx_restricted_kernelIi19rocblas_complex_numIdELi16ELi32ELi8ELin1ELi0ELb0ELc78ELc76EKS1_S1_EviT_PT9_S3_lS5_S3_lPT10_S3_li.numbered_sgpr, 25
	.set _ZL37rocblas_syrkx_herkx_restricted_kernelIi19rocblas_complex_numIdELi16ELi32ELi8ELin1ELi0ELb0ELc78ELc76EKS1_S1_EviT_PT9_S3_lS5_S3_lPT10_S3_li.num_named_barrier, 0
	.set _ZL37rocblas_syrkx_herkx_restricted_kernelIi19rocblas_complex_numIdELi16ELi32ELi8ELin1ELi0ELb0ELc78ELc76EKS1_S1_EviT_PT9_S3_lS5_S3_lPT10_S3_li.private_seg_size, 0
	.set _ZL37rocblas_syrkx_herkx_restricted_kernelIi19rocblas_complex_numIdELi16ELi32ELi8ELin1ELi0ELb0ELc78ELc76EKS1_S1_EviT_PT9_S3_lS5_S3_lPT10_S3_li.uses_vcc, 1
	.set _ZL37rocblas_syrkx_herkx_restricted_kernelIi19rocblas_complex_numIdELi16ELi32ELi8ELin1ELi0ELb0ELc78ELc76EKS1_S1_EviT_PT9_S3_lS5_S3_lPT10_S3_li.uses_flat_scratch, 0
	.set _ZL37rocblas_syrkx_herkx_restricted_kernelIi19rocblas_complex_numIdELi16ELi32ELi8ELin1ELi0ELb0ELc78ELc76EKS1_S1_EviT_PT9_S3_lS5_S3_lPT10_S3_li.has_dyn_sized_stack, 0
	.set _ZL37rocblas_syrkx_herkx_restricted_kernelIi19rocblas_complex_numIdELi16ELi32ELi8ELin1ELi0ELb0ELc78ELc76EKS1_S1_EviT_PT9_S3_lS5_S3_lPT10_S3_li.has_recursion, 0
	.set _ZL37rocblas_syrkx_herkx_restricted_kernelIi19rocblas_complex_numIdELi16ELi32ELi8ELin1ELi0ELb0ELc78ELc76EKS1_S1_EviT_PT9_S3_lS5_S3_lPT10_S3_li.has_indirect_call, 0
	.section	.AMDGPU.csdata,"",@progbits
; Kernel info:
; codeLenInByte = 2844
; TotalNumSgprs: 29
; NumVgprs: 54
; ScratchSize: 0
; MemoryBound: 0
; FloatMode: 240
; IeeeMode: 1
; LDSByteSize: 8192 bytes/workgroup (compile time only)
; SGPRBlocks: 8
; VGPRBlocks: 13
; NumSGPRsForWavesPerEU: 65
; NumVGPRsForWavesPerEU: 54
; Occupancy: 4
; WaveLimiterHint : 0
; COMPUTE_PGM_RSRC2:SCRATCH_EN: 0
; COMPUTE_PGM_RSRC2:USER_SGPR: 6
; COMPUTE_PGM_RSRC2:TRAP_HANDLER: 0
; COMPUTE_PGM_RSRC2:TGID_X_EN: 1
; COMPUTE_PGM_RSRC2:TGID_Y_EN: 1
; COMPUTE_PGM_RSRC2:TGID_Z_EN: 1
; COMPUTE_PGM_RSRC2:TIDIG_COMP_CNT: 1
	.section	.text._ZL37rocblas_syrkx_herkx_restricted_kernelIi19rocblas_complex_numIdELi16ELi32ELi8ELin1ELi0ELb0ELc84ELc85EKS1_S1_EviT_PT9_S3_lS5_S3_lPT10_S3_li,"axG",@progbits,_ZL37rocblas_syrkx_herkx_restricted_kernelIi19rocblas_complex_numIdELi16ELi32ELi8ELin1ELi0ELb0ELc84ELc85EKS1_S1_EviT_PT9_S3_lS5_S3_lPT10_S3_li,comdat
	.globl	_ZL37rocblas_syrkx_herkx_restricted_kernelIi19rocblas_complex_numIdELi16ELi32ELi8ELin1ELi0ELb0ELc84ELc85EKS1_S1_EviT_PT9_S3_lS5_S3_lPT10_S3_li ; -- Begin function _ZL37rocblas_syrkx_herkx_restricted_kernelIi19rocblas_complex_numIdELi16ELi32ELi8ELin1ELi0ELb0ELc84ELc85EKS1_S1_EviT_PT9_S3_lS5_S3_lPT10_S3_li
	.p2align	8
	.type	_ZL37rocblas_syrkx_herkx_restricted_kernelIi19rocblas_complex_numIdELi16ELi32ELi8ELin1ELi0ELb0ELc84ELc85EKS1_S1_EviT_PT9_S3_lS5_S3_lPT10_S3_li,@function
_ZL37rocblas_syrkx_herkx_restricted_kernelIi19rocblas_complex_numIdELi16ELi32ELi8ELin1ELi0ELb0ELc84ELc85EKS1_S1_EviT_PT9_S3_lS5_S3_lPT10_S3_li: ; @_ZL37rocblas_syrkx_herkx_restricted_kernelIi19rocblas_complex_numIdELi16ELi32ELi8ELin1ELi0ELb0ELc84ELc85EKS1_S1_EviT_PT9_S3_lS5_S3_lPT10_S3_li
; %bb.0:
	s_load_dwordx2 s[10:11], s[4:5], 0x0
	s_load_dwordx4 s[0:3], s[4:5], 0x30
	s_lshl_b32 s6, s6, 5
	s_lshl_b32 s7, s7, 5
	s_mov_b32 s9, 0
	s_waitcnt lgkmcnt(0)
	s_cmp_lt_i32 s11, 1
	s_cbranch_scc1 .LBB254_3
; %bb.1:
	s_load_dwordx2 s[16:17], s[4:5], 0x8
	s_load_dword s20, s[4:5], 0x10
	s_load_dwordx4 s[12:15], s[4:5], 0x18
	s_load_dword s18, s[4:5], 0x28
	v_lshl_add_u32 v6, v1, 4, v0
	v_lshrrev_b32_e32 v8, 3, v6
	v_add_u32_e32 v4, s7, v8
	v_and_b32_e32 v2, 7, v0
	v_mov_b32_e32 v3, 0
	s_waitcnt lgkmcnt(0)
	v_mad_i64_i32 v[4:5], s[18:19], s18, v4, v[2:3]
	v_lshlrev_b32_e32 v2, 4, v2
	v_lshl_or_b32 v2, v8, 7, v2
	v_and_b32_e32 v9, 31, v6
	v_add_u32_e32 v23, 0x1000, v2
	v_mov_b32_e32 v2, 0x1000
	v_lshrrev_b32_e32 v6, 5, v6
	v_mov_b32_e32 v7, v3
	v_lshlrev_b32_e32 v3, 4, v9
	v_lshl_add_u32 v25, v1, 7, v2
	v_add_u32_e32 v2, s6, v9
	v_lshl_or_b32 v22, v6, 9, v3
	v_mad_i64_i32 v[2:3], s[18:19], s20, v2, v[6:7]
	s_mul_i32 s13, s13, s8
	s_mul_hi_u32 s21, s12, s8
	s_add_i32 s13, s21, s13
	s_mul_i32 s12, s12, s8
	s_lshl_b64 s[12:13], s[12:13], 4
	v_lshlrev_b64 v[2:3], 4, v[2:3]
	s_add_u32 s12, s16, s12
	s_addc_u32 s13, s17, s13
	v_mov_b32_e32 v6, s13
	v_add_co_u32_e32 v2, vcc, s12, v2
	s_mul_i32 s1, s1, s8
	s_mul_hi_u32 s12, s0, s8
	v_addc_co_u32_e32 v3, vcc, v6, v3, vcc
	s_add_i32 s1, s12, s1
	s_mul_i32 s0, s0, s8
	v_add_co_u32_e32 v18, vcc, 8, v2
	s_lshl_b64 s[0:1], s[0:1], 4
	v_addc_co_u32_e32 v19, vcc, 0, v3, vcc
	v_lshlrev_b64 v[2:3], 4, v[4:5]
	s_add_u32 s0, s14, s0
	s_addc_u32 s1, s15, s1
	v_mov_b32_e32 v4, s1
	v_add_co_u32_e32 v20, vcc, s0, v2
	v_addc_co_u32_e32 v21, vcc, v4, v3, vcc
	v_mov_b32_e32 v8, 0
	v_mov_b32_e32 v6, 0
	;; [unrolled: 1-line block ×8, first 2 shown]
	v_add_co_u32_e32 v20, vcc, 8, v20
	v_lshlrev_b32_e32 v24, 4, v0
	v_mov_b32_e32 v9, 0
	v_mov_b32_e32 v7, 0
	;; [unrolled: 1-line block ×8, first 2 shown]
	v_addc_co_u32_e32 v21, vcc, 0, v21, vcc
.LBB254_2:                              ; =>This Inner Loop Header: Depth=1
	global_load_dwordx4 v[26:29], v[18:19], off offset:-8
	v_add_co_u32_e32 v18, vcc, 0x80, v18
	v_addc_co_u32_e32 v19, vcc, 0, v19, vcc
	s_add_i32 s9, s9, 8
	s_cmp_ge_i32 s9, s11
	s_waitcnt vmcnt(0)
	ds_write_b128 v22, v[26:29]
	global_load_dwordx4 v[26:29], v[20:21], off offset:-8
	v_add_co_u32_e32 v20, vcc, 0x80, v20
	v_addc_co_u32_e32 v21, vcc, 0, v21, vcc
	s_waitcnt vmcnt(0)
	ds_write_b128 v23, v[26:29]
	s_waitcnt lgkmcnt(0)
	s_barrier
	ds_read_b128 v[26:29], v25
	ds_read_b128 v[30:33], v25 offset:16
	ds_read_b128 v[34:37], v25 offset:32
	;; [unrolled: 1-line block ×3, first 2 shown]
	ds_read_b128 v[42:45], v24
	s_waitcnt lgkmcnt(0)
	v_mul_f64 v[46:47], v[28:29], v[44:45]
	v_mul_f64 v[48:49], v[26:27], v[44:45]
	v_fma_f64 v[46:47], v[26:27], v[42:43], -v[46:47]
	v_fma_f64 v[48:49], v[28:29], v[42:43], v[48:49]
	v_add_f64 v[46:47], v[10:11], v[46:47]
	v_add_f64 v[48:49], v[48:49], v[12:13]
	ds_read_b128 v[10:13], v24 offset:256
	s_waitcnt lgkmcnt(0)
	v_mul_f64 v[50:51], v[28:29], v[12:13]
	v_fma_f64 v[50:51], v[26:27], v[10:11], -v[50:51]
	v_mul_f64 v[26:27], v[26:27], v[12:13]
	v_fma_f64 v[26:27], v[28:29], v[10:11], v[26:27]
	v_add_f64 v[28:29], v[2:3], v[50:51]
	v_add_f64 v[26:27], v[26:27], v[4:5]
	ds_read_b128 v[2:5], v25 offset:2048
	s_waitcnt lgkmcnt(0)
	v_mul_f64 v[50:51], v[4:5], v[44:45]
	v_mul_f64 v[44:45], v[2:3], v[44:45]
	v_fma_f64 v[50:51], v[2:3], v[42:43], -v[50:51]
	v_fma_f64 v[42:43], v[4:5], v[42:43], v[44:45]
	v_add_f64 v[14:15], v[14:15], v[50:51]
	v_add_f64 v[16:17], v[42:43], v[16:17]
	v_mul_f64 v[42:43], v[4:5], v[12:13]
	v_fma_f64 v[42:43], v[2:3], v[10:11], -v[42:43]
	v_mul_f64 v[2:3], v[2:3], v[12:13]
	v_add_f64 v[42:43], v[6:7], v[42:43]
	v_fma_f64 v[2:3], v[4:5], v[10:11], v[2:3]
	v_add_f64 v[44:45], v[2:3], v[8:9]
	ds_read_b128 v[2:5], v24 offset:512
	s_waitcnt lgkmcnt(0)
	v_mul_f64 v[6:7], v[32:33], v[4:5]
	v_mul_f64 v[8:9], v[30:31], v[4:5]
	v_fma_f64 v[6:7], v[30:31], v[2:3], -v[6:7]
	v_fma_f64 v[8:9], v[32:33], v[2:3], v[8:9]
	v_add_f64 v[46:47], v[46:47], v[6:7]
	v_add_f64 v[48:49], v[8:9], v[48:49]
	ds_read_b128 v[6:9], v24 offset:768
	s_waitcnt lgkmcnt(0)
	v_mul_f64 v[10:11], v[32:33], v[8:9]
	v_mul_f64 v[12:13], v[30:31], v[8:9]
	v_fma_f64 v[10:11], v[30:31], v[6:7], -v[10:11]
	v_fma_f64 v[12:13], v[32:33], v[6:7], v[12:13]
	v_add_f64 v[28:29], v[28:29], v[10:11]
	v_add_f64 v[26:27], v[12:13], v[26:27]
	ds_read_b128 v[10:13], v25 offset:2064
	s_waitcnt lgkmcnt(0)
	v_mul_f64 v[30:31], v[12:13], v[4:5]
	v_mul_f64 v[4:5], v[10:11], v[4:5]
	v_fma_f64 v[30:31], v[10:11], v[2:3], -v[30:31]
	v_fma_f64 v[2:3], v[12:13], v[2:3], v[4:5]
	v_mul_f64 v[4:5], v[10:11], v[8:9]
	v_add_f64 v[14:15], v[14:15], v[30:31]
	v_add_f64 v[16:17], v[2:3], v[16:17]
	v_mul_f64 v[2:3], v[12:13], v[8:9]
	v_fma_f64 v[4:5], v[12:13], v[6:7], v[4:5]
	v_fma_f64 v[2:3], v[10:11], v[6:7], -v[2:3]
	v_add_f64 v[32:33], v[4:5], v[44:45]
	v_add_f64 v[30:31], v[42:43], v[2:3]
	ds_read_b128 v[2:5], v24 offset:1024
	s_waitcnt lgkmcnt(0)
	v_mul_f64 v[6:7], v[36:37], v[4:5]
	v_mul_f64 v[8:9], v[34:35], v[4:5]
	v_fma_f64 v[6:7], v[34:35], v[2:3], -v[6:7]
	v_fma_f64 v[8:9], v[36:37], v[2:3], v[8:9]
	v_add_f64 v[42:43], v[46:47], v[6:7]
	v_add_f64 v[44:45], v[8:9], v[48:49]
	ds_read_b128 v[6:9], v24 offset:1280
	s_waitcnt lgkmcnt(0)
	v_mul_f64 v[10:11], v[36:37], v[8:9]
	v_mul_f64 v[12:13], v[34:35], v[8:9]
	v_fma_f64 v[10:11], v[34:35], v[6:7], -v[10:11]
	v_fma_f64 v[12:13], v[36:37], v[6:7], v[12:13]
	v_add_f64 v[28:29], v[28:29], v[10:11]
	v_add_f64 v[26:27], v[12:13], v[26:27]
	ds_read_b128 v[10:13], v25 offset:2080
	s_waitcnt lgkmcnt(0)
	v_mul_f64 v[34:35], v[12:13], v[4:5]
	v_mul_f64 v[4:5], v[10:11], v[4:5]
	v_fma_f64 v[34:35], v[10:11], v[2:3], -v[34:35]
	v_fma_f64 v[2:3], v[12:13], v[2:3], v[4:5]
	v_mul_f64 v[4:5], v[10:11], v[8:9]
	v_add_f64 v[14:15], v[14:15], v[34:35]
	v_add_f64 v[16:17], v[2:3], v[16:17]
	v_mul_f64 v[2:3], v[12:13], v[8:9]
	v_fma_f64 v[4:5], v[12:13], v[6:7], v[4:5]
	v_fma_f64 v[2:3], v[10:11], v[6:7], -v[2:3]
	v_add_f64 v[32:33], v[4:5], v[32:33]
	;; [unrolled: 30-line block ×3, first 2 shown]
	v_add_f64 v[30:31], v[30:31], v[2:3]
	ds_read_b128 v[2:5], v25 offset:64
	ds_read_b128 v[6:9], v24 offset:2048
	s_waitcnt lgkmcnt(0)
	v_mul_f64 v[10:11], v[4:5], v[8:9]
	v_mul_f64 v[12:13], v[2:3], v[8:9]
	v_fma_f64 v[10:11], v[2:3], v[6:7], -v[10:11]
	v_fma_f64 v[12:13], v[4:5], v[6:7], v[12:13]
	v_add_f64 v[34:35], v[34:35], v[10:11]
	v_add_f64 v[36:37], v[12:13], v[36:37]
	ds_read_b128 v[10:13], v24 offset:2304
	s_waitcnt lgkmcnt(0)
	v_mul_f64 v[38:39], v[4:5], v[12:13]
	v_fma_f64 v[38:39], v[2:3], v[10:11], -v[38:39]
	v_mul_f64 v[2:3], v[2:3], v[12:13]
	v_add_f64 v[28:29], v[28:29], v[38:39]
	v_fma_f64 v[2:3], v[4:5], v[10:11], v[2:3]
	v_add_f64 v[26:27], v[2:3], v[26:27]
	ds_read_b128 v[2:5], v25 offset:2112
	s_waitcnt lgkmcnt(0)
	v_mul_f64 v[38:39], v[4:5], v[8:9]
	v_mul_f64 v[8:9], v[2:3], v[8:9]
	v_fma_f64 v[38:39], v[2:3], v[6:7], -v[38:39]
	v_fma_f64 v[6:7], v[4:5], v[6:7], v[8:9]
	v_add_f64 v[14:15], v[14:15], v[38:39]
	v_add_f64 v[16:17], v[6:7], v[16:17]
	v_mul_f64 v[6:7], v[4:5], v[12:13]
	v_fma_f64 v[6:7], v[2:3], v[10:11], -v[6:7]
	v_mul_f64 v[2:3], v[2:3], v[12:13]
	v_add_f64 v[30:31], v[30:31], v[6:7]
	v_fma_f64 v[2:3], v[4:5], v[10:11], v[2:3]
	v_add_f64 v[32:33], v[2:3], v[32:33]
	ds_read_b128 v[2:5], v25 offset:80
	ds_read_b128 v[6:9], v24 offset:2560
	s_waitcnt lgkmcnt(0)
	v_mul_f64 v[10:11], v[4:5], v[8:9]
	v_mul_f64 v[12:13], v[2:3], v[8:9]
	v_fma_f64 v[10:11], v[2:3], v[6:7], -v[10:11]
	v_fma_f64 v[12:13], v[4:5], v[6:7], v[12:13]
	v_add_f64 v[34:35], v[34:35], v[10:11]
	v_add_f64 v[36:37], v[12:13], v[36:37]
	ds_read_b128 v[10:13], v24 offset:2816
	s_waitcnt lgkmcnt(0)
	v_mul_f64 v[38:39], v[4:5], v[12:13]
	v_fma_f64 v[38:39], v[2:3], v[10:11], -v[38:39]
	v_mul_f64 v[2:3], v[2:3], v[12:13]
	v_add_f64 v[28:29], v[28:29], v[38:39]
	v_fma_f64 v[2:3], v[4:5], v[10:11], v[2:3]
	v_add_f64 v[26:27], v[2:3], v[26:27]
	ds_read_b128 v[2:5], v25 offset:2128
	s_waitcnt lgkmcnt(0)
	v_mul_f64 v[38:39], v[4:5], v[8:9]
	v_mul_f64 v[8:9], v[2:3], v[8:9]
	v_fma_f64 v[38:39], v[2:3], v[6:7], -v[38:39]
	v_fma_f64 v[6:7], v[4:5], v[6:7], v[8:9]
	v_add_f64 v[14:15], v[14:15], v[38:39]
	v_add_f64 v[16:17], v[6:7], v[16:17]
	v_mul_f64 v[6:7], v[4:5], v[12:13]
	v_fma_f64 v[6:7], v[2:3], v[10:11], -v[6:7]
	v_mul_f64 v[2:3], v[2:3], v[12:13]
	v_add_f64 v[30:31], v[30:31], v[6:7]
	v_fma_f64 v[2:3], v[4:5], v[10:11], v[2:3]
	;; [unrolled: 31-line block ×3, first 2 shown]
	v_add_f64 v[44:45], v[2:3], v[32:33]
	ds_read_b128 v[2:5], v25 offset:112
	ds_read_b128 v[6:9], v24 offset:3584
	;; [unrolled: 1-line block ×3, first 2 shown]
	s_waitcnt lgkmcnt(1)
	v_mul_f64 v[10:11], v[4:5], v[8:9]
	s_waitcnt lgkmcnt(0)
	v_mul_f64 v[30:31], v[4:5], v[28:29]
	v_mul_f64 v[12:13], v[2:3], v[8:9]
	v_fma_f64 v[10:11], v[2:3], v[6:7], -v[10:11]
	v_fma_f64 v[30:31], v[2:3], v[26:27], -v[30:31]
	v_mul_f64 v[2:3], v[2:3], v[28:29]
	v_fma_f64 v[12:13], v[4:5], v[6:7], v[12:13]
	v_add_f64 v[10:11], v[34:35], v[10:11]
	v_fma_f64 v[4:5], v[4:5], v[26:27], v[2:3]
	v_add_f64 v[2:3], v[38:39], v[30:31]
	ds_read_b128 v[30:33], v25 offset:2160
	v_add_f64 v[12:13], v[12:13], v[36:37]
	s_waitcnt lgkmcnt(0)
	s_barrier
	v_mul_f64 v[34:35], v[32:33], v[8:9]
	v_mul_f64 v[8:9], v[30:31], v[8:9]
	v_add_f64 v[4:5], v[4:5], v[40:41]
	v_fma_f64 v[34:35], v[30:31], v[6:7], -v[34:35]
	v_fma_f64 v[6:7], v[32:33], v[6:7], v[8:9]
	v_mul_f64 v[8:9], v[30:31], v[28:29]
	v_add_f64 v[14:15], v[14:15], v[34:35]
	v_add_f64 v[16:17], v[6:7], v[16:17]
	v_mul_f64 v[6:7], v[32:33], v[28:29]
	v_fma_f64 v[8:9], v[32:33], v[26:27], v[8:9]
	v_fma_f64 v[6:7], v[30:31], v[26:27], -v[6:7]
	v_add_f64 v[8:9], v[8:9], v[44:45]
	v_add_f64 v[6:7], v[42:43], v[6:7]
	s_cbranch_scc0 .LBB254_2
	s_branch .LBB254_4
.LBB254_3:
	v_mov_b32_e32 v10, 0
	v_mov_b32_e32 v12, 0
	;; [unrolled: 1-line block ×16, first 2 shown]
.LBB254_4:
	s_load_dwordx2 s[0:1], s[4:5], 0x48
	s_load_dword s9, s[4:5], 0x40
	v_add_u32_e32 v18, s7, v1
	v_add_u32_e32 v0, s6, v0
	v_cmp_gt_i32_e32 vcc, s10, v18
	s_waitcnt lgkmcnt(0)
	s_mul_i32 s1, s1, s8
	v_mad_i64_i32 v[19:20], s[12:13], v18, s9, 0
	s_mul_hi_u32 s4, s0, s8
	s_mul_i32 s0, s0, s8
	s_add_i32 s1, s4, s1
	s_lshl_b64 s[0:1], s[0:1], 4
	s_add_u32 s4, s2, s0
	v_lshlrev_b64 v[19:20], 4, v[19:20]
	s_addc_u32 s5, s3, s1
	v_mov_b32_e32 v1, s5
	v_add_co_u32_e64 v19, s[0:1], s4, v19
	v_addc_co_u32_e64 v20, s[0:1], v1, v20, s[0:1]
	v_cmp_le_i32_e64 s[0:1], v0, v18
	s_and_b64 s[0:1], vcc, s[0:1]
	s_and_saveexec_b64 s[2:3], s[0:1]
	s_cbranch_execz .LBB254_6
; %bb.5:
	v_ashrrev_i32_e32 v1, 31, v0
	v_lshlrev_b64 v[21:22], 4, v[0:1]
	v_xor_b32_e32 v11, 0x80000000, v11
	v_add_co_u32_e64 v21, s[0:1], v19, v21
	v_xor_b32_e32 v13, 0x80000000, v13
	v_addc_co_u32_e64 v22, s[0:1], v20, v22, s[0:1]
	global_store_dwordx4 v[21:22], v[10:13], off
.LBB254_6:
	s_or_b64 exec, exec, s[2:3]
	v_add_u32_e32 v10, 16, v0
	v_cmp_le_i32_e64 s[0:1], v10, v18
	s_and_b64 s[2:3], vcc, s[0:1]
	s_and_saveexec_b64 s[0:1], s[2:3]
	s_cbranch_execz .LBB254_8
; %bb.7:
	v_ashrrev_i32_e32 v11, 31, v10
	v_lshlrev_b64 v[11:12], 4, v[10:11]
	v_xor_b32_e32 v3, 0x80000000, v3
	v_add_co_u32_e32 v11, vcc, v19, v11
	v_xor_b32_e32 v5, 0x80000000, v5
	v_addc_co_u32_e32 v12, vcc, v20, v12, vcc
	global_store_dwordx4 v[11:12], v[2:5], off
.LBB254_8:
	s_or_b64 exec, exec, s[0:1]
	v_add_u32_e32 v4, 16, v18
	v_mad_i64_i32 v[1:2], s[0:1], v4, s9, 0
	v_mov_b32_e32 v5, s5
	v_cmp_gt_i32_e32 vcc, s10, v4
	v_lshlrev_b64 v[2:3], 4, v[1:2]
	v_add_co_u32_e64 v2, s[0:1], s4, v2
	v_addc_co_u32_e64 v3, s[0:1], v5, v3, s[0:1]
	v_cmp_le_i32_e64 s[0:1], v0, v4
	s_and_b64 s[0:1], vcc, s[0:1]
	s_and_saveexec_b64 s[2:3], s[0:1]
	s_cbranch_execz .LBB254_10
; %bb.9:
	v_ashrrev_i32_e32 v1, 31, v0
	v_lshlrev_b64 v[0:1], 4, v[0:1]
	v_xor_b32_e32 v15, 0x80000000, v15
	v_add_co_u32_e64 v0, s[0:1], v2, v0
	v_xor_b32_e32 v17, 0x80000000, v17
	v_addc_co_u32_e64 v1, s[0:1], v3, v1, s[0:1]
	global_store_dwordx4 v[0:1], v[14:17], off
.LBB254_10:
	s_or_b64 exec, exec, s[2:3]
	v_cmp_le_i32_e64 s[0:1], v10, v4
	s_and_b64 s[0:1], vcc, s[0:1]
	s_and_saveexec_b64 s[2:3], s[0:1]
	s_cbranch_execz .LBB254_12
; %bb.11:
	v_ashrrev_i32_e32 v11, 31, v10
	v_lshlrev_b64 v[0:1], 4, v[10:11]
	v_xor_b32_e32 v7, 0x80000000, v7
	v_add_co_u32_e32 v0, vcc, v2, v0
	v_xor_b32_e32 v9, 0x80000000, v9
	v_addc_co_u32_e32 v1, vcc, v3, v1, vcc
	global_store_dwordx4 v[0:1], v[6:9], off
.LBB254_12:
	s_endpgm
	.section	.rodata,"a",@progbits
	.p2align	6, 0x0
	.amdhsa_kernel _ZL37rocblas_syrkx_herkx_restricted_kernelIi19rocblas_complex_numIdELi16ELi32ELi8ELin1ELi0ELb0ELc84ELc85EKS1_S1_EviT_PT9_S3_lS5_S3_lPT10_S3_li
		.amdhsa_group_segment_fixed_size 8192
		.amdhsa_private_segment_fixed_size 0
		.amdhsa_kernarg_size 84
		.amdhsa_user_sgpr_count 6
		.amdhsa_user_sgpr_private_segment_buffer 1
		.amdhsa_user_sgpr_dispatch_ptr 0
		.amdhsa_user_sgpr_queue_ptr 0
		.amdhsa_user_sgpr_kernarg_segment_ptr 1
		.amdhsa_user_sgpr_dispatch_id 0
		.amdhsa_user_sgpr_flat_scratch_init 0
		.amdhsa_user_sgpr_private_segment_size 0
		.amdhsa_uses_dynamic_stack 0
		.amdhsa_system_sgpr_private_segment_wavefront_offset 0
		.amdhsa_system_sgpr_workgroup_id_x 1
		.amdhsa_system_sgpr_workgroup_id_y 1
		.amdhsa_system_sgpr_workgroup_id_z 1
		.amdhsa_system_sgpr_workgroup_info 0
		.amdhsa_system_vgpr_workitem_id 1
		.amdhsa_next_free_vgpr 52
		.amdhsa_next_free_sgpr 61
		.amdhsa_reserve_vcc 1
		.amdhsa_reserve_flat_scratch 0
		.amdhsa_float_round_mode_32 0
		.amdhsa_float_round_mode_16_64 0
		.amdhsa_float_denorm_mode_32 3
		.amdhsa_float_denorm_mode_16_64 3
		.amdhsa_dx10_clamp 1
		.amdhsa_ieee_mode 1
		.amdhsa_fp16_overflow 0
		.amdhsa_exception_fp_ieee_invalid_op 0
		.amdhsa_exception_fp_denorm_src 0
		.amdhsa_exception_fp_ieee_div_zero 0
		.amdhsa_exception_fp_ieee_overflow 0
		.amdhsa_exception_fp_ieee_underflow 0
		.amdhsa_exception_fp_ieee_inexact 0
		.amdhsa_exception_int_div_zero 0
	.end_amdhsa_kernel
	.section	.text._ZL37rocblas_syrkx_herkx_restricted_kernelIi19rocblas_complex_numIdELi16ELi32ELi8ELin1ELi0ELb0ELc84ELc85EKS1_S1_EviT_PT9_S3_lS5_S3_lPT10_S3_li,"axG",@progbits,_ZL37rocblas_syrkx_herkx_restricted_kernelIi19rocblas_complex_numIdELi16ELi32ELi8ELin1ELi0ELb0ELc84ELc85EKS1_S1_EviT_PT9_S3_lS5_S3_lPT10_S3_li,comdat
.Lfunc_end254:
	.size	_ZL37rocblas_syrkx_herkx_restricted_kernelIi19rocblas_complex_numIdELi16ELi32ELi8ELin1ELi0ELb0ELc84ELc85EKS1_S1_EviT_PT9_S3_lS5_S3_lPT10_S3_li, .Lfunc_end254-_ZL37rocblas_syrkx_herkx_restricted_kernelIi19rocblas_complex_numIdELi16ELi32ELi8ELin1ELi0ELb0ELc84ELc85EKS1_S1_EviT_PT9_S3_lS5_S3_lPT10_S3_li
                                        ; -- End function
	.set _ZL37rocblas_syrkx_herkx_restricted_kernelIi19rocblas_complex_numIdELi16ELi32ELi8ELin1ELi0ELb0ELc84ELc85EKS1_S1_EviT_PT9_S3_lS5_S3_lPT10_S3_li.num_vgpr, 52
	.set _ZL37rocblas_syrkx_herkx_restricted_kernelIi19rocblas_complex_numIdELi16ELi32ELi8ELin1ELi0ELb0ELc84ELc85EKS1_S1_EviT_PT9_S3_lS5_S3_lPT10_S3_li.num_agpr, 0
	.set _ZL37rocblas_syrkx_herkx_restricted_kernelIi19rocblas_complex_numIdELi16ELi32ELi8ELin1ELi0ELb0ELc84ELc85EKS1_S1_EviT_PT9_S3_lS5_S3_lPT10_S3_li.numbered_sgpr, 22
	.set _ZL37rocblas_syrkx_herkx_restricted_kernelIi19rocblas_complex_numIdELi16ELi32ELi8ELin1ELi0ELb0ELc84ELc85EKS1_S1_EviT_PT9_S3_lS5_S3_lPT10_S3_li.num_named_barrier, 0
	.set _ZL37rocblas_syrkx_herkx_restricted_kernelIi19rocblas_complex_numIdELi16ELi32ELi8ELin1ELi0ELb0ELc84ELc85EKS1_S1_EviT_PT9_S3_lS5_S3_lPT10_S3_li.private_seg_size, 0
	.set _ZL37rocblas_syrkx_herkx_restricted_kernelIi19rocblas_complex_numIdELi16ELi32ELi8ELin1ELi0ELb0ELc84ELc85EKS1_S1_EviT_PT9_S3_lS5_S3_lPT10_S3_li.uses_vcc, 1
	.set _ZL37rocblas_syrkx_herkx_restricted_kernelIi19rocblas_complex_numIdELi16ELi32ELi8ELin1ELi0ELb0ELc84ELc85EKS1_S1_EviT_PT9_S3_lS5_S3_lPT10_S3_li.uses_flat_scratch, 0
	.set _ZL37rocblas_syrkx_herkx_restricted_kernelIi19rocblas_complex_numIdELi16ELi32ELi8ELin1ELi0ELb0ELc84ELc85EKS1_S1_EviT_PT9_S3_lS5_S3_lPT10_S3_li.has_dyn_sized_stack, 0
	.set _ZL37rocblas_syrkx_herkx_restricted_kernelIi19rocblas_complex_numIdELi16ELi32ELi8ELin1ELi0ELb0ELc84ELc85EKS1_S1_EviT_PT9_S3_lS5_S3_lPT10_S3_li.has_recursion, 0
	.set _ZL37rocblas_syrkx_herkx_restricted_kernelIi19rocblas_complex_numIdELi16ELi32ELi8ELin1ELi0ELb0ELc84ELc85EKS1_S1_EviT_PT9_S3_lS5_S3_lPT10_S3_li.has_indirect_call, 0
	.section	.AMDGPU.csdata,"",@progbits
; Kernel info:
; codeLenInByte = 2836
; TotalNumSgprs: 26
; NumVgprs: 52
; ScratchSize: 0
; MemoryBound: 0
; FloatMode: 240
; IeeeMode: 1
; LDSByteSize: 8192 bytes/workgroup (compile time only)
; SGPRBlocks: 8
; VGPRBlocks: 12
; NumSGPRsForWavesPerEU: 65
; NumVGPRsForWavesPerEU: 52
; Occupancy: 4
; WaveLimiterHint : 0
; COMPUTE_PGM_RSRC2:SCRATCH_EN: 0
; COMPUTE_PGM_RSRC2:USER_SGPR: 6
; COMPUTE_PGM_RSRC2:TRAP_HANDLER: 0
; COMPUTE_PGM_RSRC2:TGID_X_EN: 1
; COMPUTE_PGM_RSRC2:TGID_Y_EN: 1
; COMPUTE_PGM_RSRC2:TGID_Z_EN: 1
; COMPUTE_PGM_RSRC2:TIDIG_COMP_CNT: 1
	.section	.text._ZL37rocblas_syrkx_herkx_restricted_kernelIi19rocblas_complex_numIdELi16ELi32ELi8ELin1ELi0ELb0ELc67ELc85EKS1_S1_EviT_PT9_S3_lS5_S3_lPT10_S3_li,"axG",@progbits,_ZL37rocblas_syrkx_herkx_restricted_kernelIi19rocblas_complex_numIdELi16ELi32ELi8ELin1ELi0ELb0ELc67ELc85EKS1_S1_EviT_PT9_S3_lS5_S3_lPT10_S3_li,comdat
	.globl	_ZL37rocblas_syrkx_herkx_restricted_kernelIi19rocblas_complex_numIdELi16ELi32ELi8ELin1ELi0ELb0ELc67ELc85EKS1_S1_EviT_PT9_S3_lS5_S3_lPT10_S3_li ; -- Begin function _ZL37rocblas_syrkx_herkx_restricted_kernelIi19rocblas_complex_numIdELi16ELi32ELi8ELin1ELi0ELb0ELc67ELc85EKS1_S1_EviT_PT9_S3_lS5_S3_lPT10_S3_li
	.p2align	8
	.type	_ZL37rocblas_syrkx_herkx_restricted_kernelIi19rocblas_complex_numIdELi16ELi32ELi8ELin1ELi0ELb0ELc67ELc85EKS1_S1_EviT_PT9_S3_lS5_S3_lPT10_S3_li,@function
_ZL37rocblas_syrkx_herkx_restricted_kernelIi19rocblas_complex_numIdELi16ELi32ELi8ELin1ELi0ELb0ELc67ELc85EKS1_S1_EviT_PT9_S3_lS5_S3_lPT10_S3_li: ; @_ZL37rocblas_syrkx_herkx_restricted_kernelIi19rocblas_complex_numIdELi16ELi32ELi8ELin1ELi0ELb0ELc67ELc85EKS1_S1_EviT_PT9_S3_lS5_S3_lPT10_S3_li
; %bb.0:
	s_load_dwordx2 s[10:11], s[4:5], 0x0
	s_load_dwordx4 s[0:3], s[4:5], 0x30
	s_lshl_b32 s6, s6, 5
	s_lshl_b32 s7, s7, 5
	s_mov_b32 s9, 0
	s_waitcnt lgkmcnt(0)
	s_cmp_lt_i32 s11, 1
	s_cbranch_scc1 .LBB255_3
; %bb.1:
	s_load_dwordx2 s[16:17], s[4:5], 0x8
	s_load_dword s20, s[4:5], 0x10
	s_load_dwordx4 s[12:15], s[4:5], 0x18
	s_load_dword s18, s[4:5], 0x28
	v_lshl_add_u32 v6, v1, 4, v0
	v_lshrrev_b32_e32 v8, 3, v6
	v_add_u32_e32 v4, s7, v8
	v_and_b32_e32 v2, 7, v0
	v_mov_b32_e32 v3, 0
	s_waitcnt lgkmcnt(0)
	v_mad_i64_i32 v[4:5], s[18:19], s18, v4, v[2:3]
	v_lshlrev_b32_e32 v2, 4, v2
	v_lshl_or_b32 v2, v8, 7, v2
	v_and_b32_e32 v9, 31, v6
	v_add_u32_e32 v23, 0x1000, v2
	v_mov_b32_e32 v2, 0x1000
	v_lshrrev_b32_e32 v6, 5, v6
	v_mov_b32_e32 v7, v3
	v_lshlrev_b32_e32 v3, 4, v9
	v_lshl_add_u32 v25, v1, 7, v2
	v_add_u32_e32 v2, s6, v9
	v_lshl_or_b32 v22, v6, 9, v3
	v_mad_i64_i32 v[2:3], s[18:19], s20, v2, v[6:7]
	s_mul_i32 s13, s13, s8
	s_mul_hi_u32 s21, s12, s8
	s_add_i32 s13, s21, s13
	s_mul_i32 s12, s12, s8
	s_lshl_b64 s[12:13], s[12:13], 4
	v_lshlrev_b64 v[2:3], 4, v[2:3]
	s_add_u32 s12, s16, s12
	s_addc_u32 s13, s17, s13
	v_mov_b32_e32 v6, s13
	v_add_co_u32_e32 v2, vcc, s12, v2
	s_mul_i32 s1, s1, s8
	s_mul_hi_u32 s12, s0, s8
	v_addc_co_u32_e32 v3, vcc, v6, v3, vcc
	s_add_i32 s1, s12, s1
	s_mul_i32 s0, s0, s8
	v_add_co_u32_e32 v18, vcc, 8, v2
	s_lshl_b64 s[0:1], s[0:1], 4
	v_addc_co_u32_e32 v19, vcc, 0, v3, vcc
	v_lshlrev_b64 v[2:3], 4, v[4:5]
	s_add_u32 s0, s14, s0
	s_addc_u32 s1, s15, s1
	v_mov_b32_e32 v4, s1
	v_add_co_u32_e32 v20, vcc, s0, v2
	v_addc_co_u32_e32 v21, vcc, v4, v3, vcc
	v_mov_b32_e32 v8, 0
	v_mov_b32_e32 v6, 0
	;; [unrolled: 1-line block ×8, first 2 shown]
	v_add_co_u32_e32 v20, vcc, 8, v20
	v_lshlrev_b32_e32 v24, 4, v0
	v_mov_b32_e32 v9, 0
	v_mov_b32_e32 v7, 0
	;; [unrolled: 1-line block ×8, first 2 shown]
	v_addc_co_u32_e32 v21, vcc, 0, v21, vcc
.LBB255_2:                              ; =>This Inner Loop Header: Depth=1
	global_load_dwordx4 v[26:29], v[18:19], off offset:-8
	v_add_co_u32_e32 v18, vcc, 0x80, v18
	v_addc_co_u32_e32 v19, vcc, 0, v19, vcc
	s_add_i32 s9, s9, 8
	s_cmp_ge_i32 s9, s11
	s_waitcnt vmcnt(0)
	ds_write_b128 v22, v[26:29]
	global_load_dwordx4 v[26:29], v[20:21], off offset:-8
	v_add_co_u32_e32 v20, vcc, 0x80, v20
	v_addc_co_u32_e32 v21, vcc, 0, v21, vcc
	s_waitcnt vmcnt(0)
	ds_write_b128 v23, v[26:29]
	s_waitcnt lgkmcnt(0)
	s_barrier
	ds_read_b128 v[26:29], v25
	ds_read_b128 v[30:33], v25 offset:16
	ds_read_b128 v[34:37], v25 offset:32
	;; [unrolled: 1-line block ×3, first 2 shown]
	ds_read_b128 v[42:45], v24
	s_waitcnt lgkmcnt(0)
	v_mul_f64 v[46:47], v[28:29], v[44:45]
	v_mul_f64 v[48:49], v[26:27], v[44:45]
	v_fma_f64 v[46:47], v[26:27], v[42:43], -v[46:47]
	v_fma_f64 v[48:49], v[28:29], v[42:43], v[48:49]
	v_add_f64 v[46:47], v[10:11], v[46:47]
	v_add_f64 v[48:49], v[48:49], v[12:13]
	ds_read_b128 v[10:13], v24 offset:256
	s_waitcnt lgkmcnt(0)
	v_mul_f64 v[50:51], v[28:29], v[12:13]
	v_fma_f64 v[50:51], v[26:27], v[10:11], -v[50:51]
	v_mul_f64 v[26:27], v[26:27], v[12:13]
	v_fma_f64 v[26:27], v[28:29], v[10:11], v[26:27]
	v_add_f64 v[28:29], v[2:3], v[50:51]
	v_add_f64 v[26:27], v[26:27], v[4:5]
	ds_read_b128 v[2:5], v25 offset:2048
	s_waitcnt lgkmcnt(0)
	v_mul_f64 v[50:51], v[4:5], v[44:45]
	v_mul_f64 v[44:45], v[2:3], v[44:45]
	v_fma_f64 v[50:51], v[2:3], v[42:43], -v[50:51]
	v_fma_f64 v[42:43], v[4:5], v[42:43], v[44:45]
	v_add_f64 v[14:15], v[14:15], v[50:51]
	v_add_f64 v[16:17], v[42:43], v[16:17]
	v_mul_f64 v[42:43], v[4:5], v[12:13]
	v_fma_f64 v[42:43], v[2:3], v[10:11], -v[42:43]
	v_mul_f64 v[2:3], v[2:3], v[12:13]
	v_add_f64 v[42:43], v[6:7], v[42:43]
	v_fma_f64 v[2:3], v[4:5], v[10:11], v[2:3]
	v_add_f64 v[44:45], v[2:3], v[8:9]
	ds_read_b128 v[2:5], v24 offset:512
	s_waitcnt lgkmcnt(0)
	v_mul_f64 v[6:7], v[32:33], v[4:5]
	v_mul_f64 v[8:9], v[30:31], v[4:5]
	v_fma_f64 v[6:7], v[30:31], v[2:3], -v[6:7]
	v_fma_f64 v[8:9], v[32:33], v[2:3], v[8:9]
	v_add_f64 v[46:47], v[46:47], v[6:7]
	v_add_f64 v[48:49], v[8:9], v[48:49]
	ds_read_b128 v[6:9], v24 offset:768
	s_waitcnt lgkmcnt(0)
	v_mul_f64 v[10:11], v[32:33], v[8:9]
	v_mul_f64 v[12:13], v[30:31], v[8:9]
	v_fma_f64 v[10:11], v[30:31], v[6:7], -v[10:11]
	v_fma_f64 v[12:13], v[32:33], v[6:7], v[12:13]
	v_add_f64 v[28:29], v[28:29], v[10:11]
	v_add_f64 v[26:27], v[12:13], v[26:27]
	ds_read_b128 v[10:13], v25 offset:2064
	s_waitcnt lgkmcnt(0)
	v_mul_f64 v[30:31], v[12:13], v[4:5]
	v_mul_f64 v[4:5], v[10:11], v[4:5]
	v_fma_f64 v[30:31], v[10:11], v[2:3], -v[30:31]
	v_fma_f64 v[2:3], v[12:13], v[2:3], v[4:5]
	v_mul_f64 v[4:5], v[10:11], v[8:9]
	v_add_f64 v[14:15], v[14:15], v[30:31]
	v_add_f64 v[16:17], v[2:3], v[16:17]
	v_mul_f64 v[2:3], v[12:13], v[8:9]
	v_fma_f64 v[4:5], v[12:13], v[6:7], v[4:5]
	v_fma_f64 v[2:3], v[10:11], v[6:7], -v[2:3]
	v_add_f64 v[32:33], v[4:5], v[44:45]
	v_add_f64 v[30:31], v[42:43], v[2:3]
	ds_read_b128 v[2:5], v24 offset:1024
	s_waitcnt lgkmcnt(0)
	v_mul_f64 v[6:7], v[36:37], v[4:5]
	v_mul_f64 v[8:9], v[34:35], v[4:5]
	v_fma_f64 v[6:7], v[34:35], v[2:3], -v[6:7]
	v_fma_f64 v[8:9], v[36:37], v[2:3], v[8:9]
	v_add_f64 v[42:43], v[46:47], v[6:7]
	v_add_f64 v[44:45], v[8:9], v[48:49]
	ds_read_b128 v[6:9], v24 offset:1280
	s_waitcnt lgkmcnt(0)
	v_mul_f64 v[10:11], v[36:37], v[8:9]
	v_mul_f64 v[12:13], v[34:35], v[8:9]
	v_fma_f64 v[10:11], v[34:35], v[6:7], -v[10:11]
	v_fma_f64 v[12:13], v[36:37], v[6:7], v[12:13]
	v_add_f64 v[28:29], v[28:29], v[10:11]
	v_add_f64 v[26:27], v[12:13], v[26:27]
	ds_read_b128 v[10:13], v25 offset:2080
	s_waitcnt lgkmcnt(0)
	v_mul_f64 v[34:35], v[12:13], v[4:5]
	v_mul_f64 v[4:5], v[10:11], v[4:5]
	v_fma_f64 v[34:35], v[10:11], v[2:3], -v[34:35]
	v_fma_f64 v[2:3], v[12:13], v[2:3], v[4:5]
	v_mul_f64 v[4:5], v[10:11], v[8:9]
	v_add_f64 v[14:15], v[14:15], v[34:35]
	v_add_f64 v[16:17], v[2:3], v[16:17]
	v_mul_f64 v[2:3], v[12:13], v[8:9]
	v_fma_f64 v[4:5], v[12:13], v[6:7], v[4:5]
	v_fma_f64 v[2:3], v[10:11], v[6:7], -v[2:3]
	v_add_f64 v[32:33], v[4:5], v[32:33]
	;; [unrolled: 30-line block ×3, first 2 shown]
	v_add_f64 v[30:31], v[30:31], v[2:3]
	ds_read_b128 v[2:5], v25 offset:64
	ds_read_b128 v[6:9], v24 offset:2048
	s_waitcnt lgkmcnt(0)
	v_mul_f64 v[10:11], v[4:5], v[8:9]
	v_mul_f64 v[12:13], v[2:3], v[8:9]
	v_fma_f64 v[10:11], v[2:3], v[6:7], -v[10:11]
	v_fma_f64 v[12:13], v[4:5], v[6:7], v[12:13]
	v_add_f64 v[34:35], v[34:35], v[10:11]
	v_add_f64 v[36:37], v[12:13], v[36:37]
	ds_read_b128 v[10:13], v24 offset:2304
	s_waitcnt lgkmcnt(0)
	v_mul_f64 v[38:39], v[4:5], v[12:13]
	v_fma_f64 v[38:39], v[2:3], v[10:11], -v[38:39]
	v_mul_f64 v[2:3], v[2:3], v[12:13]
	v_add_f64 v[28:29], v[28:29], v[38:39]
	v_fma_f64 v[2:3], v[4:5], v[10:11], v[2:3]
	v_add_f64 v[26:27], v[2:3], v[26:27]
	ds_read_b128 v[2:5], v25 offset:2112
	s_waitcnt lgkmcnt(0)
	v_mul_f64 v[38:39], v[4:5], v[8:9]
	v_mul_f64 v[8:9], v[2:3], v[8:9]
	v_fma_f64 v[38:39], v[2:3], v[6:7], -v[38:39]
	v_fma_f64 v[6:7], v[4:5], v[6:7], v[8:9]
	v_add_f64 v[14:15], v[14:15], v[38:39]
	v_add_f64 v[16:17], v[6:7], v[16:17]
	v_mul_f64 v[6:7], v[4:5], v[12:13]
	v_fma_f64 v[6:7], v[2:3], v[10:11], -v[6:7]
	v_mul_f64 v[2:3], v[2:3], v[12:13]
	v_add_f64 v[30:31], v[30:31], v[6:7]
	v_fma_f64 v[2:3], v[4:5], v[10:11], v[2:3]
	v_add_f64 v[32:33], v[2:3], v[32:33]
	ds_read_b128 v[2:5], v25 offset:80
	ds_read_b128 v[6:9], v24 offset:2560
	s_waitcnt lgkmcnt(0)
	v_mul_f64 v[10:11], v[4:5], v[8:9]
	v_mul_f64 v[12:13], v[2:3], v[8:9]
	v_fma_f64 v[10:11], v[2:3], v[6:7], -v[10:11]
	v_fma_f64 v[12:13], v[4:5], v[6:7], v[12:13]
	v_add_f64 v[34:35], v[34:35], v[10:11]
	v_add_f64 v[36:37], v[12:13], v[36:37]
	ds_read_b128 v[10:13], v24 offset:2816
	s_waitcnt lgkmcnt(0)
	v_mul_f64 v[38:39], v[4:5], v[12:13]
	v_fma_f64 v[38:39], v[2:3], v[10:11], -v[38:39]
	v_mul_f64 v[2:3], v[2:3], v[12:13]
	v_add_f64 v[28:29], v[28:29], v[38:39]
	v_fma_f64 v[2:3], v[4:5], v[10:11], v[2:3]
	v_add_f64 v[26:27], v[2:3], v[26:27]
	ds_read_b128 v[2:5], v25 offset:2128
	s_waitcnt lgkmcnt(0)
	v_mul_f64 v[38:39], v[4:5], v[8:9]
	v_mul_f64 v[8:9], v[2:3], v[8:9]
	v_fma_f64 v[38:39], v[2:3], v[6:7], -v[38:39]
	v_fma_f64 v[6:7], v[4:5], v[6:7], v[8:9]
	v_add_f64 v[14:15], v[14:15], v[38:39]
	v_add_f64 v[16:17], v[6:7], v[16:17]
	v_mul_f64 v[6:7], v[4:5], v[12:13]
	v_fma_f64 v[6:7], v[2:3], v[10:11], -v[6:7]
	v_mul_f64 v[2:3], v[2:3], v[12:13]
	v_add_f64 v[30:31], v[30:31], v[6:7]
	v_fma_f64 v[2:3], v[4:5], v[10:11], v[2:3]
	v_add_f64 v[32:33], v[2:3], v[32:33]
	ds_read_b128 v[2:5], v25 offset:96
	ds_read_b128 v[6:9], v24 offset:3072
	s_waitcnt lgkmcnt(0)
	v_mul_f64 v[10:11], v[4:5], v[8:9]
	v_mul_f64 v[12:13], v[2:3], v[8:9]
	v_fma_f64 v[10:11], v[2:3], v[6:7], -v[10:11]
	v_fma_f64 v[12:13], v[4:5], v[6:7], v[12:13]
	v_add_f64 v[34:35], v[34:35], v[10:11]
	v_add_f64 v[36:37], v[12:13], v[36:37]
	ds_read_b128 v[10:13], v24 offset:3328
	s_waitcnt lgkmcnt(0)
	v_mul_f64 v[38:39], v[4:5], v[12:13]
	v_fma_f64 v[38:39], v[2:3], v[10:11], -v[38:39]
	v_mul_f64 v[2:3], v[2:3], v[12:13]
	v_add_f64 v[38:39], v[28:29], v[38:39]
	v_fma_f64 v[2:3], v[4:5], v[10:11], v[2:3]
	v_add_f64 v[40:41], v[2:3], v[26:27]
	ds_read_b128 v[2:5], v25 offset:2144
	s_waitcnt lgkmcnt(0)
	v_mul_f64 v[26:27], v[4:5], v[8:9]
	v_mul_f64 v[8:9], v[2:3], v[8:9]
	v_fma_f64 v[26:27], v[2:3], v[6:7], -v[26:27]
	v_fma_f64 v[6:7], v[4:5], v[6:7], v[8:9]
	v_add_f64 v[14:15], v[14:15], v[26:27]
	v_add_f64 v[16:17], v[6:7], v[16:17]
	v_mul_f64 v[6:7], v[4:5], v[12:13]
	v_fma_f64 v[6:7], v[2:3], v[10:11], -v[6:7]
	v_mul_f64 v[2:3], v[2:3], v[12:13]
	v_add_f64 v[42:43], v[30:31], v[6:7]
	v_fma_f64 v[2:3], v[4:5], v[10:11], v[2:3]
	v_add_f64 v[44:45], v[2:3], v[32:33]
	ds_read_b128 v[2:5], v25 offset:112
	ds_read_b128 v[6:9], v24 offset:3584
	;; [unrolled: 1-line block ×3, first 2 shown]
	s_waitcnt lgkmcnt(1)
	v_mul_f64 v[10:11], v[4:5], v[8:9]
	s_waitcnt lgkmcnt(0)
	v_mul_f64 v[30:31], v[4:5], v[28:29]
	v_mul_f64 v[12:13], v[2:3], v[8:9]
	v_fma_f64 v[10:11], v[2:3], v[6:7], -v[10:11]
	v_fma_f64 v[30:31], v[2:3], v[26:27], -v[30:31]
	v_mul_f64 v[2:3], v[2:3], v[28:29]
	v_fma_f64 v[12:13], v[4:5], v[6:7], v[12:13]
	v_add_f64 v[10:11], v[34:35], v[10:11]
	v_fma_f64 v[4:5], v[4:5], v[26:27], v[2:3]
	v_add_f64 v[2:3], v[38:39], v[30:31]
	ds_read_b128 v[30:33], v25 offset:2160
	v_add_f64 v[12:13], v[12:13], v[36:37]
	s_waitcnt lgkmcnt(0)
	s_barrier
	v_mul_f64 v[34:35], v[32:33], v[8:9]
	v_mul_f64 v[8:9], v[30:31], v[8:9]
	v_add_f64 v[4:5], v[4:5], v[40:41]
	v_fma_f64 v[34:35], v[30:31], v[6:7], -v[34:35]
	v_fma_f64 v[6:7], v[32:33], v[6:7], v[8:9]
	v_mul_f64 v[8:9], v[30:31], v[28:29]
	v_add_f64 v[14:15], v[14:15], v[34:35]
	v_add_f64 v[16:17], v[6:7], v[16:17]
	v_mul_f64 v[6:7], v[32:33], v[28:29]
	v_fma_f64 v[8:9], v[32:33], v[26:27], v[8:9]
	v_fma_f64 v[6:7], v[30:31], v[26:27], -v[6:7]
	v_add_f64 v[8:9], v[8:9], v[44:45]
	v_add_f64 v[6:7], v[42:43], v[6:7]
	s_cbranch_scc0 .LBB255_2
	s_branch .LBB255_4
.LBB255_3:
	v_mov_b32_e32 v10, 0
	v_mov_b32_e32 v12, 0
	;; [unrolled: 1-line block ×16, first 2 shown]
.LBB255_4:
	s_load_dwordx2 s[0:1], s[4:5], 0x48
	s_load_dword s9, s[4:5], 0x40
	v_add_u32_e32 v18, s7, v1
	v_add_u32_e32 v0, s6, v0
	v_cmp_gt_i32_e32 vcc, s10, v18
	s_waitcnt lgkmcnt(0)
	s_mul_i32 s1, s1, s8
	v_mad_i64_i32 v[19:20], s[12:13], v18, s9, 0
	s_mul_hi_u32 s4, s0, s8
	s_mul_i32 s0, s0, s8
	s_add_i32 s1, s4, s1
	s_lshl_b64 s[0:1], s[0:1], 4
	s_add_u32 s4, s2, s0
	v_lshlrev_b64 v[19:20], 4, v[19:20]
	s_addc_u32 s5, s3, s1
	v_mov_b32_e32 v1, s5
	v_add_co_u32_e64 v19, s[0:1], s4, v19
	v_addc_co_u32_e64 v20, s[0:1], v1, v20, s[0:1]
	v_cmp_le_i32_e64 s[0:1], v0, v18
	s_and_b64 s[0:1], vcc, s[0:1]
	s_and_saveexec_b64 s[2:3], s[0:1]
	s_cbranch_execz .LBB255_6
; %bb.5:
	v_ashrrev_i32_e32 v1, 31, v0
	v_lshlrev_b64 v[21:22], 4, v[0:1]
	v_xor_b32_e32 v11, 0x80000000, v11
	v_add_co_u32_e64 v21, s[0:1], v19, v21
	v_xor_b32_e32 v13, 0x80000000, v13
	v_addc_co_u32_e64 v22, s[0:1], v20, v22, s[0:1]
	global_store_dwordx4 v[21:22], v[10:13], off
.LBB255_6:
	s_or_b64 exec, exec, s[2:3]
	v_add_u32_e32 v10, 16, v0
	v_cmp_le_i32_e64 s[0:1], v10, v18
	s_and_b64 s[2:3], vcc, s[0:1]
	s_and_saveexec_b64 s[0:1], s[2:3]
	s_cbranch_execz .LBB255_8
; %bb.7:
	v_ashrrev_i32_e32 v11, 31, v10
	v_lshlrev_b64 v[11:12], 4, v[10:11]
	v_xor_b32_e32 v3, 0x80000000, v3
	v_add_co_u32_e32 v11, vcc, v19, v11
	v_xor_b32_e32 v5, 0x80000000, v5
	v_addc_co_u32_e32 v12, vcc, v20, v12, vcc
	global_store_dwordx4 v[11:12], v[2:5], off
.LBB255_8:
	s_or_b64 exec, exec, s[0:1]
	v_add_u32_e32 v4, 16, v18
	v_mad_i64_i32 v[1:2], s[0:1], v4, s9, 0
	v_mov_b32_e32 v5, s5
	v_cmp_gt_i32_e32 vcc, s10, v4
	v_lshlrev_b64 v[2:3], 4, v[1:2]
	v_add_co_u32_e64 v2, s[0:1], s4, v2
	v_addc_co_u32_e64 v3, s[0:1], v5, v3, s[0:1]
	v_cmp_le_i32_e64 s[0:1], v0, v4
	s_and_b64 s[0:1], vcc, s[0:1]
	s_and_saveexec_b64 s[2:3], s[0:1]
	s_cbranch_execz .LBB255_10
; %bb.9:
	v_ashrrev_i32_e32 v1, 31, v0
	v_lshlrev_b64 v[0:1], 4, v[0:1]
	v_xor_b32_e32 v15, 0x80000000, v15
	v_add_co_u32_e64 v0, s[0:1], v2, v0
	v_xor_b32_e32 v17, 0x80000000, v17
	v_addc_co_u32_e64 v1, s[0:1], v3, v1, s[0:1]
	global_store_dwordx4 v[0:1], v[14:17], off
.LBB255_10:
	s_or_b64 exec, exec, s[2:3]
	v_cmp_le_i32_e64 s[0:1], v10, v4
	s_and_b64 s[0:1], vcc, s[0:1]
	s_and_saveexec_b64 s[2:3], s[0:1]
	s_cbranch_execz .LBB255_12
; %bb.11:
	v_ashrrev_i32_e32 v11, 31, v10
	v_lshlrev_b64 v[0:1], 4, v[10:11]
	v_xor_b32_e32 v7, 0x80000000, v7
	v_add_co_u32_e32 v0, vcc, v2, v0
	v_xor_b32_e32 v9, 0x80000000, v9
	v_addc_co_u32_e32 v1, vcc, v3, v1, vcc
	global_store_dwordx4 v[0:1], v[6:9], off
.LBB255_12:
	s_endpgm
	.section	.rodata,"a",@progbits
	.p2align	6, 0x0
	.amdhsa_kernel _ZL37rocblas_syrkx_herkx_restricted_kernelIi19rocblas_complex_numIdELi16ELi32ELi8ELin1ELi0ELb0ELc67ELc85EKS1_S1_EviT_PT9_S3_lS5_S3_lPT10_S3_li
		.amdhsa_group_segment_fixed_size 8192
		.amdhsa_private_segment_fixed_size 0
		.amdhsa_kernarg_size 84
		.amdhsa_user_sgpr_count 6
		.amdhsa_user_sgpr_private_segment_buffer 1
		.amdhsa_user_sgpr_dispatch_ptr 0
		.amdhsa_user_sgpr_queue_ptr 0
		.amdhsa_user_sgpr_kernarg_segment_ptr 1
		.amdhsa_user_sgpr_dispatch_id 0
		.amdhsa_user_sgpr_flat_scratch_init 0
		.amdhsa_user_sgpr_private_segment_size 0
		.amdhsa_uses_dynamic_stack 0
		.amdhsa_system_sgpr_private_segment_wavefront_offset 0
		.amdhsa_system_sgpr_workgroup_id_x 1
		.amdhsa_system_sgpr_workgroup_id_y 1
		.amdhsa_system_sgpr_workgroup_id_z 1
		.amdhsa_system_sgpr_workgroup_info 0
		.amdhsa_system_vgpr_workitem_id 1
		.amdhsa_next_free_vgpr 52
		.amdhsa_next_free_sgpr 61
		.amdhsa_reserve_vcc 1
		.amdhsa_reserve_flat_scratch 0
		.amdhsa_float_round_mode_32 0
		.amdhsa_float_round_mode_16_64 0
		.amdhsa_float_denorm_mode_32 3
		.amdhsa_float_denorm_mode_16_64 3
		.amdhsa_dx10_clamp 1
		.amdhsa_ieee_mode 1
		.amdhsa_fp16_overflow 0
		.amdhsa_exception_fp_ieee_invalid_op 0
		.amdhsa_exception_fp_denorm_src 0
		.amdhsa_exception_fp_ieee_div_zero 0
		.amdhsa_exception_fp_ieee_overflow 0
		.amdhsa_exception_fp_ieee_underflow 0
		.amdhsa_exception_fp_ieee_inexact 0
		.amdhsa_exception_int_div_zero 0
	.end_amdhsa_kernel
	.section	.text._ZL37rocblas_syrkx_herkx_restricted_kernelIi19rocblas_complex_numIdELi16ELi32ELi8ELin1ELi0ELb0ELc67ELc85EKS1_S1_EviT_PT9_S3_lS5_S3_lPT10_S3_li,"axG",@progbits,_ZL37rocblas_syrkx_herkx_restricted_kernelIi19rocblas_complex_numIdELi16ELi32ELi8ELin1ELi0ELb0ELc67ELc85EKS1_S1_EviT_PT9_S3_lS5_S3_lPT10_S3_li,comdat
.Lfunc_end255:
	.size	_ZL37rocblas_syrkx_herkx_restricted_kernelIi19rocblas_complex_numIdELi16ELi32ELi8ELin1ELi0ELb0ELc67ELc85EKS1_S1_EviT_PT9_S3_lS5_S3_lPT10_S3_li, .Lfunc_end255-_ZL37rocblas_syrkx_herkx_restricted_kernelIi19rocblas_complex_numIdELi16ELi32ELi8ELin1ELi0ELb0ELc67ELc85EKS1_S1_EviT_PT9_S3_lS5_S3_lPT10_S3_li
                                        ; -- End function
	.set _ZL37rocblas_syrkx_herkx_restricted_kernelIi19rocblas_complex_numIdELi16ELi32ELi8ELin1ELi0ELb0ELc67ELc85EKS1_S1_EviT_PT9_S3_lS5_S3_lPT10_S3_li.num_vgpr, 52
	.set _ZL37rocblas_syrkx_herkx_restricted_kernelIi19rocblas_complex_numIdELi16ELi32ELi8ELin1ELi0ELb0ELc67ELc85EKS1_S1_EviT_PT9_S3_lS5_S3_lPT10_S3_li.num_agpr, 0
	.set _ZL37rocblas_syrkx_herkx_restricted_kernelIi19rocblas_complex_numIdELi16ELi32ELi8ELin1ELi0ELb0ELc67ELc85EKS1_S1_EviT_PT9_S3_lS5_S3_lPT10_S3_li.numbered_sgpr, 22
	.set _ZL37rocblas_syrkx_herkx_restricted_kernelIi19rocblas_complex_numIdELi16ELi32ELi8ELin1ELi0ELb0ELc67ELc85EKS1_S1_EviT_PT9_S3_lS5_S3_lPT10_S3_li.num_named_barrier, 0
	.set _ZL37rocblas_syrkx_herkx_restricted_kernelIi19rocblas_complex_numIdELi16ELi32ELi8ELin1ELi0ELb0ELc67ELc85EKS1_S1_EviT_PT9_S3_lS5_S3_lPT10_S3_li.private_seg_size, 0
	.set _ZL37rocblas_syrkx_herkx_restricted_kernelIi19rocblas_complex_numIdELi16ELi32ELi8ELin1ELi0ELb0ELc67ELc85EKS1_S1_EviT_PT9_S3_lS5_S3_lPT10_S3_li.uses_vcc, 1
	.set _ZL37rocblas_syrkx_herkx_restricted_kernelIi19rocblas_complex_numIdELi16ELi32ELi8ELin1ELi0ELb0ELc67ELc85EKS1_S1_EviT_PT9_S3_lS5_S3_lPT10_S3_li.uses_flat_scratch, 0
	.set _ZL37rocblas_syrkx_herkx_restricted_kernelIi19rocblas_complex_numIdELi16ELi32ELi8ELin1ELi0ELb0ELc67ELc85EKS1_S1_EviT_PT9_S3_lS5_S3_lPT10_S3_li.has_dyn_sized_stack, 0
	.set _ZL37rocblas_syrkx_herkx_restricted_kernelIi19rocblas_complex_numIdELi16ELi32ELi8ELin1ELi0ELb0ELc67ELc85EKS1_S1_EviT_PT9_S3_lS5_S3_lPT10_S3_li.has_recursion, 0
	.set _ZL37rocblas_syrkx_herkx_restricted_kernelIi19rocblas_complex_numIdELi16ELi32ELi8ELin1ELi0ELb0ELc67ELc85EKS1_S1_EviT_PT9_S3_lS5_S3_lPT10_S3_li.has_indirect_call, 0
	.section	.AMDGPU.csdata,"",@progbits
; Kernel info:
; codeLenInByte = 2836
; TotalNumSgprs: 26
; NumVgprs: 52
; ScratchSize: 0
; MemoryBound: 0
; FloatMode: 240
; IeeeMode: 1
; LDSByteSize: 8192 bytes/workgroup (compile time only)
; SGPRBlocks: 8
; VGPRBlocks: 12
; NumSGPRsForWavesPerEU: 65
; NumVGPRsForWavesPerEU: 52
; Occupancy: 4
; WaveLimiterHint : 0
; COMPUTE_PGM_RSRC2:SCRATCH_EN: 0
; COMPUTE_PGM_RSRC2:USER_SGPR: 6
; COMPUTE_PGM_RSRC2:TRAP_HANDLER: 0
; COMPUTE_PGM_RSRC2:TGID_X_EN: 1
; COMPUTE_PGM_RSRC2:TGID_Y_EN: 1
; COMPUTE_PGM_RSRC2:TGID_Z_EN: 1
; COMPUTE_PGM_RSRC2:TIDIG_COMP_CNT: 1
	.section	.text._ZL37rocblas_syrkx_herkx_restricted_kernelIi19rocblas_complex_numIdELi16ELi32ELi8ELin1ELi0ELb0ELc78ELc85EKS1_S1_EviT_PT9_S3_lS5_S3_lPT10_S3_li,"axG",@progbits,_ZL37rocblas_syrkx_herkx_restricted_kernelIi19rocblas_complex_numIdELi16ELi32ELi8ELin1ELi0ELb0ELc78ELc85EKS1_S1_EviT_PT9_S3_lS5_S3_lPT10_S3_li,comdat
	.globl	_ZL37rocblas_syrkx_herkx_restricted_kernelIi19rocblas_complex_numIdELi16ELi32ELi8ELin1ELi0ELb0ELc78ELc85EKS1_S1_EviT_PT9_S3_lS5_S3_lPT10_S3_li ; -- Begin function _ZL37rocblas_syrkx_herkx_restricted_kernelIi19rocblas_complex_numIdELi16ELi32ELi8ELin1ELi0ELb0ELc78ELc85EKS1_S1_EviT_PT9_S3_lS5_S3_lPT10_S3_li
	.p2align	8
	.type	_ZL37rocblas_syrkx_herkx_restricted_kernelIi19rocblas_complex_numIdELi16ELi32ELi8ELin1ELi0ELb0ELc78ELc85EKS1_S1_EviT_PT9_S3_lS5_S3_lPT10_S3_li,@function
_ZL37rocblas_syrkx_herkx_restricted_kernelIi19rocblas_complex_numIdELi16ELi32ELi8ELin1ELi0ELb0ELc78ELc85EKS1_S1_EviT_PT9_S3_lS5_S3_lPT10_S3_li: ; @_ZL37rocblas_syrkx_herkx_restricted_kernelIi19rocblas_complex_numIdELi16ELi32ELi8ELin1ELi0ELb0ELc78ELc85EKS1_S1_EviT_PT9_S3_lS5_S3_lPT10_S3_li
; %bb.0:
	s_load_dwordx2 s[10:11], s[4:5], 0x0
	s_load_dwordx4 s[0:3], s[4:5], 0x30
	s_lshl_b32 s9, s6, 5
	s_lshl_b32 s16, s7, 5
	s_mov_b32 s17, 0
	s_waitcnt lgkmcnt(0)
	s_cmp_lt_i32 s11, 1
	s_cbranch_scc1 .LBB256_3
; %bb.1:
	v_lshl_add_u32 v5, v1, 4, v0
	s_load_dword s6, s[4:5], 0x10
	s_load_dword s18, s[4:5], 0x28
	s_load_dwordx2 s[20:21], s[4:5], 0x8
	s_load_dwordx4 s[12:15], s[4:5], 0x18
	v_lshrrev_b32_e32 v6, 3, v5
	v_add_u32_e32 v2, s16, v6
	v_and_b32_e32 v4, 7, v0
	v_ashrrev_i32_e32 v3, 31, v2
	s_waitcnt lgkmcnt(0)
	v_mad_i64_i32 v[2:3], s[22:23], s18, v4, v[2:3]
	v_lshlrev_b32_e32 v4, 4, v4
	v_lshl_or_b32 v4, v6, 7, v4
	v_lshrrev_b32_e32 v7, 5, v5
	v_and_b32_e32 v5, 31, v5
	v_add_u32_e32 v23, 0x1000, v4
	v_mov_b32_e32 v4, 0x1000
	v_lshl_add_u32 v25, v1, 7, v4
	v_add_u32_e32 v4, s9, v5
	v_lshlrev_b32_e32 v8, 4, v5
	v_ashrrev_i32_e32 v5, 31, v4
	v_mad_i64_i32 v[4:5], s[22:23], s6, v7, v[4:5]
	s_mul_i32 s13, s13, s8
	s_mul_hi_u32 s24, s12, s8
	s_add_i32 s13, s24, s13
	s_mul_i32 s12, s12, s8
	s_ashr_i32 s7, s6, 31
	s_ashr_i32 s19, s18, 31
	s_lshl_b64 s[12:13], s[12:13], 4
	v_lshlrev_b64 v[4:5], 4, v[4:5]
	s_add_u32 s12, s20, s12
	s_addc_u32 s13, s21, s13
	v_add_co_u32_e32 v4, vcc, s12, v4
	s_mul_i32 s1, s1, s8
	s_mul_hi_u32 s12, s0, s8
	v_mov_b32_e32 v6, s13
	s_add_i32 s1, s12, s1
	s_mul_i32 s0, s0, s8
	v_addc_co_u32_e32 v5, vcc, v6, v5, vcc
	s_lshl_b64 s[6:7], s[6:7], 7
	s_lshl_b64 s[0:1], s[0:1], 4
	v_add_co_u32_e32 v18, vcc, 8, v4
	v_lshlrev_b64 v[2:3], 4, v[2:3]
	s_add_u32 s0, s14, s0
	v_addc_co_u32_e32 v19, vcc, 0, v5, vcc
	s_addc_u32 s1, s15, s1
	v_mov_b32_e32 v4, s1
	v_add_co_u32_e32 v2, vcc, s0, v2
	v_addc_co_u32_e32 v3, vcc, v4, v3, vcc
	v_add_co_u32_e32 v20, vcc, 8, v2
	v_lshl_or_b32 v22, v7, 9, v8
	v_addc_co_u32_e32 v21, vcc, 0, v3, vcc
	s_lshl_b64 s[0:1], s[18:19], 7
	v_mov_b32_e32 v8, 0
	v_mov_b32_e32 v6, 0
	;; [unrolled: 1-line block ×8, first 2 shown]
	v_lshlrev_b32_e32 v24, 4, v0
	v_mov_b32_e32 v9, 0
	v_mov_b32_e32 v26, s7
	;; [unrolled: 1-line block ×10, first 2 shown]
.LBB256_2:                              ; =>This Inner Loop Header: Depth=1
	global_load_dwordx4 v[28:31], v[18:19], off offset:-8
	v_add_co_u32_e32 v18, vcc, s6, v18
	v_addc_co_u32_e32 v19, vcc, v19, v26, vcc
	s_add_i32 s17, s17, 8
	s_cmp_ge_i32 s17, s11
	s_waitcnt vmcnt(0)
	ds_write_b128 v22, v[28:31]
	global_load_dwordx4 v[28:31], v[20:21], off offset:-8
	v_add_co_u32_e32 v20, vcc, s0, v20
	v_addc_co_u32_e32 v21, vcc, v21, v27, vcc
	s_waitcnt vmcnt(0)
	ds_write_b128 v23, v[28:31]
	s_waitcnt lgkmcnt(0)
	s_barrier
	ds_read_b128 v[28:31], v25
	ds_read_b128 v[32:35], v25 offset:16
	ds_read_b128 v[36:39], v25 offset:32
	;; [unrolled: 1-line block ×3, first 2 shown]
	ds_read_b128 v[44:47], v24
	s_waitcnt lgkmcnt(0)
	v_mul_f64 v[48:49], v[30:31], v[46:47]
	v_mul_f64 v[50:51], v[28:29], v[46:47]
	v_fma_f64 v[48:49], v[28:29], v[44:45], -v[48:49]
	v_fma_f64 v[50:51], v[30:31], v[44:45], v[50:51]
	v_add_f64 v[48:49], v[14:15], v[48:49]
	v_add_f64 v[50:51], v[50:51], v[16:17]
	ds_read_b128 v[14:17], v24 offset:256
	s_waitcnt lgkmcnt(0)
	v_mul_f64 v[52:53], v[30:31], v[16:17]
	v_fma_f64 v[52:53], v[28:29], v[14:15], -v[52:53]
	v_mul_f64 v[28:29], v[28:29], v[16:17]
	v_fma_f64 v[28:29], v[30:31], v[14:15], v[28:29]
	v_add_f64 v[30:31], v[2:3], v[52:53]
	v_add_f64 v[28:29], v[28:29], v[4:5]
	ds_read_b128 v[2:5], v25 offset:2048
	s_waitcnt lgkmcnt(0)
	v_mul_f64 v[52:53], v[4:5], v[46:47]
	v_mul_f64 v[46:47], v[2:3], v[46:47]
	v_fma_f64 v[52:53], v[2:3], v[44:45], -v[52:53]
	v_fma_f64 v[44:45], v[4:5], v[44:45], v[46:47]
	v_add_f64 v[46:47], v[10:11], v[52:53]
	v_mul_f64 v[10:11], v[4:5], v[16:17]
	v_add_f64 v[44:45], v[44:45], v[12:13]
	v_fma_f64 v[10:11], v[2:3], v[14:15], -v[10:11]
	v_mul_f64 v[2:3], v[2:3], v[16:17]
	v_fma_f64 v[2:3], v[4:5], v[14:15], v[2:3]
	v_add_f64 v[14:15], v[6:7], v[10:11]
	v_add_f64 v[16:17], v[2:3], v[8:9]
	ds_read_b128 v[2:5], v24 offset:512
	s_waitcnt lgkmcnt(0)
	v_mul_f64 v[6:7], v[34:35], v[4:5]
	v_mul_f64 v[8:9], v[32:33], v[4:5]
	v_fma_f64 v[6:7], v[32:33], v[2:3], -v[6:7]
	v_fma_f64 v[8:9], v[34:35], v[2:3], v[8:9]
	v_add_f64 v[48:49], v[48:49], v[6:7]
	v_add_f64 v[50:51], v[8:9], v[50:51]
	ds_read_b128 v[6:9], v24 offset:768
	s_waitcnt lgkmcnt(0)
	v_mul_f64 v[10:11], v[34:35], v[8:9]
	v_mul_f64 v[12:13], v[32:33], v[8:9]
	v_fma_f64 v[10:11], v[32:33], v[6:7], -v[10:11]
	;; [unrolled: 8-line block ×3, first 2 shown]
	v_fma_f64 v[2:3], v[12:13], v[2:3], v[4:5]
	v_mul_f64 v[4:5], v[10:11], v[8:9]
	v_add_f64 v[32:33], v[46:47], v[32:33]
	v_add_f64 v[34:35], v[2:3], v[44:45]
	v_mul_f64 v[2:3], v[12:13], v[8:9]
	v_fma_f64 v[4:5], v[12:13], v[6:7], v[4:5]
	v_fma_f64 v[2:3], v[10:11], v[6:7], -v[2:3]
	v_add_f64 v[16:17], v[4:5], v[16:17]
	v_add_f64 v[14:15], v[14:15], v[2:3]
	ds_read_b128 v[2:5], v24 offset:1024
	s_waitcnt lgkmcnt(0)
	v_mul_f64 v[6:7], v[38:39], v[4:5]
	v_mul_f64 v[8:9], v[36:37], v[4:5]
	v_fma_f64 v[6:7], v[36:37], v[2:3], -v[6:7]
	v_fma_f64 v[8:9], v[38:39], v[2:3], v[8:9]
	v_add_f64 v[44:45], v[48:49], v[6:7]
	v_add_f64 v[46:47], v[8:9], v[50:51]
	ds_read_b128 v[6:9], v24 offset:1280
	s_waitcnt lgkmcnt(0)
	v_mul_f64 v[10:11], v[38:39], v[8:9]
	v_mul_f64 v[12:13], v[36:37], v[8:9]
	v_fma_f64 v[10:11], v[36:37], v[6:7], -v[10:11]
	v_fma_f64 v[12:13], v[38:39], v[6:7], v[12:13]
	;; [unrolled: 8-line block ×3, first 2 shown]
	v_mul_f64 v[4:5], v[10:11], v[8:9]
	v_add_f64 v[32:33], v[32:33], v[36:37]
	v_add_f64 v[34:35], v[2:3], v[34:35]
	v_mul_f64 v[2:3], v[12:13], v[8:9]
	v_fma_f64 v[4:5], v[12:13], v[6:7], v[4:5]
	v_fma_f64 v[2:3], v[10:11], v[6:7], -v[2:3]
	v_add_f64 v[16:17], v[4:5], v[16:17]
	v_add_f64 v[14:15], v[14:15], v[2:3]
	ds_read_b128 v[2:5], v24 offset:1536
	s_waitcnt lgkmcnt(0)
	v_mul_f64 v[6:7], v[42:43], v[4:5]
	v_mul_f64 v[8:9], v[40:41], v[4:5]
	v_fma_f64 v[6:7], v[40:41], v[2:3], -v[6:7]
	v_fma_f64 v[8:9], v[42:43], v[2:3], v[8:9]
	v_add_f64 v[36:37], v[44:45], v[6:7]
	v_add_f64 v[38:39], v[8:9], v[46:47]
	ds_read_b128 v[6:9], v24 offset:1792
	s_waitcnt lgkmcnt(0)
	v_mul_f64 v[10:11], v[42:43], v[8:9]
	v_mul_f64 v[12:13], v[40:41], v[8:9]
	v_fma_f64 v[10:11], v[40:41], v[6:7], -v[10:11]
	v_fma_f64 v[12:13], v[42:43], v[6:7], v[12:13]
	;; [unrolled: 8-line block ×3, first 2 shown]
	v_mul_f64 v[4:5], v[10:11], v[8:9]
	v_add_f64 v[32:33], v[32:33], v[40:41]
	v_add_f64 v[34:35], v[2:3], v[34:35]
	v_mul_f64 v[2:3], v[12:13], v[8:9]
	v_fma_f64 v[4:5], v[12:13], v[6:7], v[4:5]
	v_fma_f64 v[2:3], v[10:11], v[6:7], -v[2:3]
	v_add_f64 v[16:17], v[4:5], v[16:17]
	v_add_f64 v[14:15], v[14:15], v[2:3]
	ds_read_b128 v[2:5], v25 offset:64
	ds_read_b128 v[6:9], v24 offset:2048
	s_waitcnt lgkmcnt(0)
	v_mul_f64 v[10:11], v[4:5], v[8:9]
	v_mul_f64 v[12:13], v[2:3], v[8:9]
	v_fma_f64 v[10:11], v[2:3], v[6:7], -v[10:11]
	v_fma_f64 v[12:13], v[4:5], v[6:7], v[12:13]
	v_add_f64 v[36:37], v[36:37], v[10:11]
	v_add_f64 v[38:39], v[12:13], v[38:39]
	ds_read_b128 v[10:13], v24 offset:2304
	s_waitcnt lgkmcnt(0)
	v_mul_f64 v[40:41], v[4:5], v[12:13]
	v_fma_f64 v[40:41], v[2:3], v[10:11], -v[40:41]
	v_mul_f64 v[2:3], v[2:3], v[12:13]
	v_add_f64 v[30:31], v[30:31], v[40:41]
	v_fma_f64 v[2:3], v[4:5], v[10:11], v[2:3]
	v_add_f64 v[28:29], v[2:3], v[28:29]
	ds_read_b128 v[2:5], v25 offset:2112
	s_waitcnt lgkmcnt(0)
	v_mul_f64 v[40:41], v[4:5], v[8:9]
	v_mul_f64 v[8:9], v[2:3], v[8:9]
	v_fma_f64 v[40:41], v[2:3], v[6:7], -v[40:41]
	v_fma_f64 v[6:7], v[4:5], v[6:7], v[8:9]
	v_add_f64 v[32:33], v[32:33], v[40:41]
	v_add_f64 v[34:35], v[6:7], v[34:35]
	v_mul_f64 v[6:7], v[4:5], v[12:13]
	v_fma_f64 v[6:7], v[2:3], v[10:11], -v[6:7]
	v_mul_f64 v[2:3], v[2:3], v[12:13]
	v_add_f64 v[14:15], v[14:15], v[6:7]
	v_fma_f64 v[2:3], v[4:5], v[10:11], v[2:3]
	v_add_f64 v[16:17], v[2:3], v[16:17]
	ds_read_b128 v[2:5], v25 offset:80
	ds_read_b128 v[6:9], v24 offset:2560
	s_waitcnt lgkmcnt(0)
	v_mul_f64 v[10:11], v[4:5], v[8:9]
	v_mul_f64 v[12:13], v[2:3], v[8:9]
	v_fma_f64 v[10:11], v[2:3], v[6:7], -v[10:11]
	v_fma_f64 v[12:13], v[4:5], v[6:7], v[12:13]
	v_add_f64 v[36:37], v[36:37], v[10:11]
	v_add_f64 v[38:39], v[12:13], v[38:39]
	ds_read_b128 v[10:13], v24 offset:2816
	s_waitcnt lgkmcnt(0)
	v_mul_f64 v[40:41], v[4:5], v[12:13]
	v_fma_f64 v[40:41], v[2:3], v[10:11], -v[40:41]
	v_mul_f64 v[2:3], v[2:3], v[12:13]
	v_add_f64 v[30:31], v[30:31], v[40:41]
	v_fma_f64 v[2:3], v[4:5], v[10:11], v[2:3]
	v_add_f64 v[28:29], v[2:3], v[28:29]
	ds_read_b128 v[2:5], v25 offset:2128
	s_waitcnt lgkmcnt(0)
	v_mul_f64 v[40:41], v[4:5], v[8:9]
	v_mul_f64 v[8:9], v[2:3], v[8:9]
	v_fma_f64 v[40:41], v[2:3], v[6:7], -v[40:41]
	v_fma_f64 v[6:7], v[4:5], v[6:7], v[8:9]
	v_add_f64 v[32:33], v[32:33], v[40:41]
	v_add_f64 v[34:35], v[6:7], v[34:35]
	v_mul_f64 v[6:7], v[4:5], v[12:13]
	v_fma_f64 v[6:7], v[2:3], v[10:11], -v[6:7]
	v_mul_f64 v[2:3], v[2:3], v[12:13]
	v_add_f64 v[14:15], v[14:15], v[6:7]
	v_fma_f64 v[2:3], v[4:5], v[10:11], v[2:3]
	v_add_f64 v[16:17], v[2:3], v[16:17]
	ds_read_b128 v[2:5], v25 offset:96
	ds_read_b128 v[6:9], v24 offset:3072
	s_waitcnt lgkmcnt(0)
	v_mul_f64 v[10:11], v[4:5], v[8:9]
	v_mul_f64 v[12:13], v[2:3], v[8:9]
	v_fma_f64 v[10:11], v[2:3], v[6:7], -v[10:11]
	v_fma_f64 v[12:13], v[4:5], v[6:7], v[12:13]
	v_add_f64 v[36:37], v[36:37], v[10:11]
	v_add_f64 v[38:39], v[12:13], v[38:39]
	ds_read_b128 v[10:13], v24 offset:3328
	s_waitcnt lgkmcnt(0)
	v_mul_f64 v[40:41], v[4:5], v[12:13]
	v_fma_f64 v[40:41], v[2:3], v[10:11], -v[40:41]
	v_mul_f64 v[2:3], v[2:3], v[12:13]
	v_add_f64 v[40:41], v[30:31], v[40:41]
	v_fma_f64 v[2:3], v[4:5], v[10:11], v[2:3]
	v_add_f64 v[42:43], v[2:3], v[28:29]
	ds_read_b128 v[2:5], v25 offset:2144
	s_waitcnt lgkmcnt(0)
	v_mul_f64 v[28:29], v[4:5], v[8:9]
	v_mul_f64 v[8:9], v[2:3], v[8:9]
	v_fma_f64 v[28:29], v[2:3], v[6:7], -v[28:29]
	v_fma_f64 v[6:7], v[4:5], v[6:7], v[8:9]
	v_add_f64 v[44:45], v[32:33], v[28:29]
	v_add_f64 v[46:47], v[6:7], v[34:35]
	v_mul_f64 v[6:7], v[4:5], v[12:13]
	v_fma_f64 v[6:7], v[2:3], v[10:11], -v[6:7]
	v_mul_f64 v[2:3], v[2:3], v[12:13]
	v_add_f64 v[48:49], v[14:15], v[6:7]
	v_fma_f64 v[2:3], v[4:5], v[10:11], v[2:3]
	v_add_f64 v[50:51], v[2:3], v[16:17]
	ds_read_b128 v[2:5], v25 offset:112
	ds_read_b128 v[6:9], v24 offset:3584
	;; [unrolled: 1-line block ×4, first 2 shown]
	s_waitcnt lgkmcnt(0)
	s_barrier
	v_mul_f64 v[10:11], v[4:5], v[8:9]
	v_mul_f64 v[12:13], v[2:3], v[8:9]
	v_fma_f64 v[10:11], v[2:3], v[6:7], -v[10:11]
	v_fma_f64 v[12:13], v[4:5], v[6:7], v[12:13]
	v_add_f64 v[14:15], v[36:37], v[10:11]
	v_mul_f64 v[10:11], v[4:5], v[30:31]
	v_add_f64 v[16:17], v[12:13], v[38:39]
	v_fma_f64 v[10:11], v[2:3], v[28:29], -v[10:11]
	v_mul_f64 v[2:3], v[2:3], v[30:31]
	v_fma_f64 v[4:5], v[4:5], v[28:29], v[2:3]
	v_add_f64 v[2:3], v[40:41], v[10:11]
	v_mul_f64 v[10:11], v[34:35], v[8:9]
	v_mul_f64 v[8:9], v[32:33], v[8:9]
	v_add_f64 v[4:5], v[4:5], v[42:43]
	v_fma_f64 v[10:11], v[32:33], v[6:7], -v[10:11]
	v_fma_f64 v[6:7], v[34:35], v[6:7], v[8:9]
	v_mul_f64 v[8:9], v[32:33], v[30:31]
	v_add_f64 v[10:11], v[44:45], v[10:11]
	v_add_f64 v[12:13], v[6:7], v[46:47]
	v_mul_f64 v[6:7], v[34:35], v[30:31]
	v_fma_f64 v[8:9], v[34:35], v[28:29], v[8:9]
	v_fma_f64 v[6:7], v[32:33], v[28:29], -v[6:7]
	v_add_f64 v[8:9], v[8:9], v[50:51]
	v_add_f64 v[6:7], v[48:49], v[6:7]
	s_cbranch_scc0 .LBB256_2
	s_branch .LBB256_4
.LBB256_3:
	v_mov_b32_e32 v14, 0
	v_mov_b32_e32 v16, 0
	;; [unrolled: 1-line block ×16, first 2 shown]
.LBB256_4:
	s_load_dwordx2 s[0:1], s[4:5], 0x48
	s_load_dword s6, s[4:5], 0x40
	v_add_u32_e32 v18, s16, v1
	v_add_u32_e32 v0, s9, v0
	v_cmp_gt_i32_e32 vcc, s10, v18
	s_waitcnt lgkmcnt(0)
	s_mul_i32 s1, s1, s8
	v_mad_i64_i32 v[19:20], s[12:13], v18, s6, 0
	s_mul_hi_u32 s4, s0, s8
	s_mul_i32 s0, s0, s8
	s_add_i32 s1, s4, s1
	s_lshl_b64 s[0:1], s[0:1], 4
	s_add_u32 s4, s2, s0
	v_lshlrev_b64 v[19:20], 4, v[19:20]
	s_addc_u32 s5, s3, s1
	v_mov_b32_e32 v1, s5
	v_add_co_u32_e64 v19, s[0:1], s4, v19
	v_addc_co_u32_e64 v20, s[0:1], v1, v20, s[0:1]
	v_cmp_le_i32_e64 s[0:1], v0, v18
	s_and_b64 s[0:1], vcc, s[0:1]
	s_and_saveexec_b64 s[2:3], s[0:1]
	s_cbranch_execz .LBB256_6
; %bb.5:
	v_ashrrev_i32_e32 v1, 31, v0
	v_lshlrev_b64 v[21:22], 4, v[0:1]
	v_xor_b32_e32 v15, 0x80000000, v15
	v_add_co_u32_e64 v21, s[0:1], v19, v21
	v_xor_b32_e32 v17, 0x80000000, v17
	v_addc_co_u32_e64 v22, s[0:1], v20, v22, s[0:1]
	global_store_dwordx4 v[21:22], v[14:17], off
.LBB256_6:
	s_or_b64 exec, exec, s[2:3]
	v_add_u32_e32 v14, 16, v0
	v_cmp_le_i32_e64 s[0:1], v14, v18
	s_and_b64 s[2:3], vcc, s[0:1]
	s_and_saveexec_b64 s[0:1], s[2:3]
	s_cbranch_execz .LBB256_8
; %bb.7:
	v_ashrrev_i32_e32 v15, 31, v14
	v_lshlrev_b64 v[15:16], 4, v[14:15]
	v_xor_b32_e32 v3, 0x80000000, v3
	v_add_co_u32_e32 v15, vcc, v19, v15
	v_xor_b32_e32 v5, 0x80000000, v5
	v_addc_co_u32_e32 v16, vcc, v20, v16, vcc
	global_store_dwordx4 v[15:16], v[2:5], off
.LBB256_8:
	s_or_b64 exec, exec, s[0:1]
	v_add_u32_e32 v4, 16, v18
	v_mad_i64_i32 v[1:2], s[0:1], v4, s6, 0
	v_mov_b32_e32 v5, s5
	v_cmp_gt_i32_e32 vcc, s10, v4
	v_lshlrev_b64 v[2:3], 4, v[1:2]
	v_add_co_u32_e64 v2, s[0:1], s4, v2
	v_addc_co_u32_e64 v3, s[0:1], v5, v3, s[0:1]
	v_cmp_le_i32_e64 s[0:1], v0, v4
	s_and_b64 s[0:1], vcc, s[0:1]
	s_and_saveexec_b64 s[2:3], s[0:1]
	s_cbranch_execz .LBB256_10
; %bb.9:
	v_ashrrev_i32_e32 v1, 31, v0
	v_lshlrev_b64 v[0:1], 4, v[0:1]
	v_xor_b32_e32 v11, 0x80000000, v11
	v_add_co_u32_e64 v0, s[0:1], v2, v0
	v_xor_b32_e32 v13, 0x80000000, v13
	v_addc_co_u32_e64 v1, s[0:1], v3, v1, s[0:1]
	global_store_dwordx4 v[0:1], v[10:13], off
.LBB256_10:
	s_or_b64 exec, exec, s[2:3]
	v_cmp_le_i32_e64 s[0:1], v14, v4
	s_and_b64 s[0:1], vcc, s[0:1]
	s_and_saveexec_b64 s[2:3], s[0:1]
	s_cbranch_execz .LBB256_12
; %bb.11:
	v_ashrrev_i32_e32 v15, 31, v14
	v_lshlrev_b64 v[0:1], 4, v[14:15]
	v_xor_b32_e32 v7, 0x80000000, v7
	v_add_co_u32_e32 v0, vcc, v2, v0
	v_xor_b32_e32 v9, 0x80000000, v9
	v_addc_co_u32_e32 v1, vcc, v3, v1, vcc
	global_store_dwordx4 v[0:1], v[6:9], off
.LBB256_12:
	s_endpgm
	.section	.rodata,"a",@progbits
	.p2align	6, 0x0
	.amdhsa_kernel _ZL37rocblas_syrkx_herkx_restricted_kernelIi19rocblas_complex_numIdELi16ELi32ELi8ELin1ELi0ELb0ELc78ELc85EKS1_S1_EviT_PT9_S3_lS5_S3_lPT10_S3_li
		.amdhsa_group_segment_fixed_size 8192
		.amdhsa_private_segment_fixed_size 0
		.amdhsa_kernarg_size 84
		.amdhsa_user_sgpr_count 6
		.amdhsa_user_sgpr_private_segment_buffer 1
		.amdhsa_user_sgpr_dispatch_ptr 0
		.amdhsa_user_sgpr_queue_ptr 0
		.amdhsa_user_sgpr_kernarg_segment_ptr 1
		.amdhsa_user_sgpr_dispatch_id 0
		.amdhsa_user_sgpr_flat_scratch_init 0
		.amdhsa_user_sgpr_private_segment_size 0
		.amdhsa_uses_dynamic_stack 0
		.amdhsa_system_sgpr_private_segment_wavefront_offset 0
		.amdhsa_system_sgpr_workgroup_id_x 1
		.amdhsa_system_sgpr_workgroup_id_y 1
		.amdhsa_system_sgpr_workgroup_id_z 1
		.amdhsa_system_sgpr_workgroup_info 0
		.amdhsa_system_vgpr_workitem_id 1
		.amdhsa_next_free_vgpr 54
		.amdhsa_next_free_sgpr 61
		.amdhsa_reserve_vcc 1
		.amdhsa_reserve_flat_scratch 0
		.amdhsa_float_round_mode_32 0
		.amdhsa_float_round_mode_16_64 0
		.amdhsa_float_denorm_mode_32 3
		.amdhsa_float_denorm_mode_16_64 3
		.amdhsa_dx10_clamp 1
		.amdhsa_ieee_mode 1
		.amdhsa_fp16_overflow 0
		.amdhsa_exception_fp_ieee_invalid_op 0
		.amdhsa_exception_fp_denorm_src 0
		.amdhsa_exception_fp_ieee_div_zero 0
		.amdhsa_exception_fp_ieee_overflow 0
		.amdhsa_exception_fp_ieee_underflow 0
		.amdhsa_exception_fp_ieee_inexact 0
		.amdhsa_exception_int_div_zero 0
	.end_amdhsa_kernel
	.section	.text._ZL37rocblas_syrkx_herkx_restricted_kernelIi19rocblas_complex_numIdELi16ELi32ELi8ELin1ELi0ELb0ELc78ELc85EKS1_S1_EviT_PT9_S3_lS5_S3_lPT10_S3_li,"axG",@progbits,_ZL37rocblas_syrkx_herkx_restricted_kernelIi19rocblas_complex_numIdELi16ELi32ELi8ELin1ELi0ELb0ELc78ELc85EKS1_S1_EviT_PT9_S3_lS5_S3_lPT10_S3_li,comdat
.Lfunc_end256:
	.size	_ZL37rocblas_syrkx_herkx_restricted_kernelIi19rocblas_complex_numIdELi16ELi32ELi8ELin1ELi0ELb0ELc78ELc85EKS1_S1_EviT_PT9_S3_lS5_S3_lPT10_S3_li, .Lfunc_end256-_ZL37rocblas_syrkx_herkx_restricted_kernelIi19rocblas_complex_numIdELi16ELi32ELi8ELin1ELi0ELb0ELc78ELc85EKS1_S1_EviT_PT9_S3_lS5_S3_lPT10_S3_li
                                        ; -- End function
	.set _ZL37rocblas_syrkx_herkx_restricted_kernelIi19rocblas_complex_numIdELi16ELi32ELi8ELin1ELi0ELb0ELc78ELc85EKS1_S1_EviT_PT9_S3_lS5_S3_lPT10_S3_li.num_vgpr, 54
	.set _ZL37rocblas_syrkx_herkx_restricted_kernelIi19rocblas_complex_numIdELi16ELi32ELi8ELin1ELi0ELb0ELc78ELc85EKS1_S1_EviT_PT9_S3_lS5_S3_lPT10_S3_li.num_agpr, 0
	.set _ZL37rocblas_syrkx_herkx_restricted_kernelIi19rocblas_complex_numIdELi16ELi32ELi8ELin1ELi0ELb0ELc78ELc85EKS1_S1_EviT_PT9_S3_lS5_S3_lPT10_S3_li.numbered_sgpr, 25
	.set _ZL37rocblas_syrkx_herkx_restricted_kernelIi19rocblas_complex_numIdELi16ELi32ELi8ELin1ELi0ELb0ELc78ELc85EKS1_S1_EviT_PT9_S3_lS5_S3_lPT10_S3_li.num_named_barrier, 0
	.set _ZL37rocblas_syrkx_herkx_restricted_kernelIi19rocblas_complex_numIdELi16ELi32ELi8ELin1ELi0ELb0ELc78ELc85EKS1_S1_EviT_PT9_S3_lS5_S3_lPT10_S3_li.private_seg_size, 0
	.set _ZL37rocblas_syrkx_herkx_restricted_kernelIi19rocblas_complex_numIdELi16ELi32ELi8ELin1ELi0ELb0ELc78ELc85EKS1_S1_EviT_PT9_S3_lS5_S3_lPT10_S3_li.uses_vcc, 1
	.set _ZL37rocblas_syrkx_herkx_restricted_kernelIi19rocblas_complex_numIdELi16ELi32ELi8ELin1ELi0ELb0ELc78ELc85EKS1_S1_EviT_PT9_S3_lS5_S3_lPT10_S3_li.uses_flat_scratch, 0
	.set _ZL37rocblas_syrkx_herkx_restricted_kernelIi19rocblas_complex_numIdELi16ELi32ELi8ELin1ELi0ELb0ELc78ELc85EKS1_S1_EviT_PT9_S3_lS5_S3_lPT10_S3_li.has_dyn_sized_stack, 0
	.set _ZL37rocblas_syrkx_herkx_restricted_kernelIi19rocblas_complex_numIdELi16ELi32ELi8ELin1ELi0ELb0ELc78ELc85EKS1_S1_EviT_PT9_S3_lS5_S3_lPT10_S3_li.has_recursion, 0
	.set _ZL37rocblas_syrkx_herkx_restricted_kernelIi19rocblas_complex_numIdELi16ELi32ELi8ELin1ELi0ELb0ELc78ELc85EKS1_S1_EviT_PT9_S3_lS5_S3_lPT10_S3_li.has_indirect_call, 0
	.section	.AMDGPU.csdata,"",@progbits
; Kernel info:
; codeLenInByte = 2844
; TotalNumSgprs: 29
; NumVgprs: 54
; ScratchSize: 0
; MemoryBound: 0
; FloatMode: 240
; IeeeMode: 1
; LDSByteSize: 8192 bytes/workgroup (compile time only)
; SGPRBlocks: 8
; VGPRBlocks: 13
; NumSGPRsForWavesPerEU: 65
; NumVGPRsForWavesPerEU: 54
; Occupancy: 4
; WaveLimiterHint : 0
; COMPUTE_PGM_RSRC2:SCRATCH_EN: 0
; COMPUTE_PGM_RSRC2:USER_SGPR: 6
; COMPUTE_PGM_RSRC2:TRAP_HANDLER: 0
; COMPUTE_PGM_RSRC2:TGID_X_EN: 1
; COMPUTE_PGM_RSRC2:TGID_Y_EN: 1
; COMPUTE_PGM_RSRC2:TGID_Z_EN: 1
; COMPUTE_PGM_RSRC2:TIDIG_COMP_CNT: 1
	.section	.text._ZL37rocblas_syrkx_herkx_restricted_kernelIi19rocblas_complex_numIdELi16ELi32ELi8ELb1ELb0ELc84ELc76EKS1_S1_EviT_T0_PT8_S3_lS6_S3_lS4_PT9_S3_li,"axG",@progbits,_ZL37rocblas_syrkx_herkx_restricted_kernelIi19rocblas_complex_numIdELi16ELi32ELi8ELb1ELb0ELc84ELc76EKS1_S1_EviT_T0_PT8_S3_lS6_S3_lS4_PT9_S3_li,comdat
	.globl	_ZL37rocblas_syrkx_herkx_restricted_kernelIi19rocblas_complex_numIdELi16ELi32ELi8ELb1ELb0ELc84ELc76EKS1_S1_EviT_T0_PT8_S3_lS6_S3_lS4_PT9_S3_li ; -- Begin function _ZL37rocblas_syrkx_herkx_restricted_kernelIi19rocblas_complex_numIdELi16ELi32ELi8ELb1ELb0ELc84ELc76EKS1_S1_EviT_T0_PT8_S3_lS6_S3_lS4_PT9_S3_li
	.p2align	8
	.type	_ZL37rocblas_syrkx_herkx_restricted_kernelIi19rocblas_complex_numIdELi16ELi32ELi8ELb1ELb0ELc84ELc76EKS1_S1_EviT_T0_PT8_S3_lS6_S3_lS4_PT9_S3_li,@function
_ZL37rocblas_syrkx_herkx_restricted_kernelIi19rocblas_complex_numIdELi16ELi32ELi8ELb1ELb0ELc84ELc76EKS1_S1_EviT_T0_PT8_S3_lS6_S3_lS4_PT9_S3_li: ; @_ZL37rocblas_syrkx_herkx_restricted_kernelIi19rocblas_complex_numIdELi16ELi32ELi8ELb1ELb0ELc84ELc76EKS1_S1_EviT_T0_PT8_S3_lS6_S3_lS4_PT9_S3_li
; %bb.0:
	s_load_dwordx2 s[10:11], s[4:5], 0x0
	s_load_dwordx4 s[12:15], s[4:5], 0x8
	s_load_dwordx2 s[16:17], s[4:5], 0x18
	s_lshl_b32 s6, s6, 5
	s_lshl_b32 s7, s7, 5
	s_waitcnt lgkmcnt(0)
	s_cmp_lt_i32 s11, 1
	s_mov_b32 s9, 0
	s_cbranch_scc1 .LBB257_3
; %bb.1:
	s_load_dword s22, s[4:5], 0x20
	s_load_dwordx4 s[0:3], s[4:5], 0x28
	s_load_dword s20, s[4:5], 0x38
	s_load_dwordx2 s[18:19], s[4:5], 0x40
	v_lshl_add_u32 v3, v1, 4, v0
	v_lshrrev_b32_e32 v8, 3, v3
	v_lshrrev_b32_e32 v2, 5, v3
	v_and_b32_e32 v4, 7, v0
	v_and_b32_e32 v9, 31, v3
	v_add_u32_e32 v3, s7, v8
	v_mov_b32_e32 v5, 0
	s_waitcnt lgkmcnt(0)
	v_mad_i64_i32 v[6:7], s[20:21], s20, v3, v[4:5]
	v_lshlrev_b32_e32 v4, 4, v4
	v_lshl_or_b32 v4, v8, 7, v4
	v_add_u32_e32 v23, 0x1000, v4
	v_mov_b32_e32 v4, 0x1000
	v_mov_b32_e32 v3, v5
	v_lshlrev_b32_e32 v5, 4, v9
	v_lshl_add_u32 v25, v1, 7, v4
	v_add_u32_e32 v4, s6, v9
	v_lshl_or_b32 v22, v2, 9, v5
	v_mad_i64_i32 v[2:3], s[20:21], s22, v4, v[2:3]
	s_mul_i32 s1, s1, s8
	s_mul_hi_u32 s23, s0, s8
	s_add_i32 s1, s23, s1
	s_mul_i32 s0, s0, s8
	s_lshl_b64 s[0:1], s[0:1], 4
	v_lshlrev_b64 v[2:3], 4, v[2:3]
	s_add_u32 s0, s16, s0
	s_addc_u32 s1, s17, s1
	v_mov_b32_e32 v4, s1
	v_add_co_u32_e32 v2, vcc, s0, v2
	s_mul_i32 s0, s19, s8
	s_mul_hi_u32 s1, s18, s8
	s_add_i32 s1, s1, s0
	s_mul_i32 s0, s18, s8
	v_addc_co_u32_e32 v3, vcc, v4, v3, vcc
	s_lshl_b64 s[0:1], s[0:1], 4
	v_add_co_u32_e32 v2, vcc, 8, v2
	v_lshlrev_b64 v[4:5], 4, v[6:7]
	s_add_u32 s0, s2, s0
	v_addc_co_u32_e32 v3, vcc, 0, v3, vcc
	s_addc_u32 s1, s3, s1
	v_mov_b32_e32 v6, s1
	v_add_co_u32_e32 v4, vcc, s0, v4
	v_addc_co_u32_e32 v5, vcc, v6, v5, vcc
	v_mov_b32_e32 v10, 0
	v_mov_b32_e32 v12, 0
	v_mov_b32_e32 v20, 0
	v_mov_b32_e32 v18, 0
	v_mov_b32_e32 v8, 0
	v_mov_b32_e32 v6, 0
	v_mov_b32_e32 v16, 0
	v_mov_b32_e32 v14, 0
	v_add_co_u32_e32 v4, vcc, 8, v4
	v_lshlrev_b32_e32 v24, 4, v0
	v_mov_b32_e32 v11, 0
	v_mov_b32_e32 v13, 0
	;; [unrolled: 1-line block ×8, first 2 shown]
	v_addc_co_u32_e32 v5, vcc, 0, v5, vcc
.LBB257_2:                              ; =>This Inner Loop Header: Depth=1
	global_load_dwordx4 v[26:29], v[2:3], off offset:-8
	v_add_co_u32_e32 v2, vcc, 0x80, v2
	v_addc_co_u32_e32 v3, vcc, 0, v3, vcc
	s_add_i32 s9, s9, 8
	s_cmp_ge_i32 s9, s11
	s_waitcnt vmcnt(0)
	ds_write_b128 v22, v[26:29]
	global_load_dwordx4 v[26:29], v[4:5], off offset:-8
	v_add_co_u32_e32 v4, vcc, 0x80, v4
	v_addc_co_u32_e32 v5, vcc, 0, v5, vcc
	s_waitcnt vmcnt(0)
	ds_write_b128 v23, v[26:29]
	s_waitcnt lgkmcnt(0)
	s_barrier
	ds_read_b128 v[26:29], v25
	ds_read_b128 v[30:33], v25 offset:16
	ds_read_b128 v[34:37], v25 offset:32
	;; [unrolled: 1-line block ×3, first 2 shown]
	ds_read_b128 v[42:45], v24
	s_waitcnt lgkmcnt(0)
	v_mul_f64 v[46:47], v[28:29], v[44:45]
	v_mul_f64 v[48:49], v[26:27], v[44:45]
	v_fma_f64 v[46:47], v[26:27], v[42:43], -v[46:47]
	v_fma_f64 v[48:49], v[28:29], v[42:43], v[48:49]
	v_add_f64 v[46:47], v[14:15], v[46:47]
	v_add_f64 v[48:49], v[48:49], v[16:17]
	ds_read_b128 v[14:17], v24 offset:256
	s_waitcnt lgkmcnt(0)
	v_mul_f64 v[50:51], v[28:29], v[16:17]
	v_fma_f64 v[50:51], v[26:27], v[14:15], -v[50:51]
	v_mul_f64 v[26:27], v[26:27], v[16:17]
	v_fma_f64 v[26:27], v[28:29], v[14:15], v[26:27]
	v_add_f64 v[28:29], v[6:7], v[50:51]
	v_add_f64 v[26:27], v[26:27], v[8:9]
	ds_read_b128 v[6:9], v25 offset:2048
	s_waitcnt lgkmcnt(0)
	v_mul_f64 v[50:51], v[8:9], v[44:45]
	v_mul_f64 v[44:45], v[6:7], v[44:45]
	v_fma_f64 v[50:51], v[6:7], v[42:43], -v[50:51]
	v_fma_f64 v[42:43], v[8:9], v[42:43], v[44:45]
	v_add_f64 v[18:19], v[18:19], v[50:51]
	v_add_f64 v[20:21], v[42:43], v[20:21]
	v_mul_f64 v[42:43], v[8:9], v[16:17]
	v_fma_f64 v[42:43], v[6:7], v[14:15], -v[42:43]
	v_mul_f64 v[6:7], v[6:7], v[16:17]
	v_add_f64 v[42:43], v[12:13], v[42:43]
	v_fma_f64 v[6:7], v[8:9], v[14:15], v[6:7]
	v_add_f64 v[44:45], v[6:7], v[10:11]
	ds_read_b128 v[6:9], v24 offset:512
	s_waitcnt lgkmcnt(0)
	v_mul_f64 v[10:11], v[32:33], v[8:9]
	v_mul_f64 v[12:13], v[30:31], v[8:9]
	v_fma_f64 v[10:11], v[30:31], v[6:7], -v[10:11]
	v_fma_f64 v[12:13], v[32:33], v[6:7], v[12:13]
	v_add_f64 v[46:47], v[46:47], v[10:11]
	v_add_f64 v[48:49], v[12:13], v[48:49]
	ds_read_b128 v[10:13], v24 offset:768
	s_waitcnt lgkmcnt(0)
	v_mul_f64 v[14:15], v[32:33], v[12:13]
	v_mul_f64 v[16:17], v[30:31], v[12:13]
	v_fma_f64 v[14:15], v[30:31], v[10:11], -v[14:15]
	v_fma_f64 v[16:17], v[32:33], v[10:11], v[16:17]
	v_add_f64 v[28:29], v[28:29], v[14:15]
	v_add_f64 v[26:27], v[16:17], v[26:27]
	ds_read_b128 v[14:17], v25 offset:2064
	s_waitcnt lgkmcnt(0)
	v_mul_f64 v[30:31], v[16:17], v[8:9]
	v_mul_f64 v[8:9], v[14:15], v[8:9]
	v_fma_f64 v[30:31], v[14:15], v[6:7], -v[30:31]
	v_fma_f64 v[6:7], v[16:17], v[6:7], v[8:9]
	v_mul_f64 v[8:9], v[14:15], v[12:13]
	v_add_f64 v[18:19], v[18:19], v[30:31]
	v_add_f64 v[20:21], v[6:7], v[20:21]
	v_mul_f64 v[6:7], v[16:17], v[12:13]
	v_fma_f64 v[8:9], v[16:17], v[10:11], v[8:9]
	v_fma_f64 v[6:7], v[14:15], v[10:11], -v[6:7]
	v_add_f64 v[32:33], v[8:9], v[44:45]
	v_add_f64 v[30:31], v[42:43], v[6:7]
	ds_read_b128 v[6:9], v24 offset:1024
	s_waitcnt lgkmcnt(0)
	v_mul_f64 v[10:11], v[36:37], v[8:9]
	v_mul_f64 v[12:13], v[34:35], v[8:9]
	v_fma_f64 v[10:11], v[34:35], v[6:7], -v[10:11]
	v_fma_f64 v[12:13], v[36:37], v[6:7], v[12:13]
	v_add_f64 v[42:43], v[46:47], v[10:11]
	v_add_f64 v[44:45], v[12:13], v[48:49]
	ds_read_b128 v[10:13], v24 offset:1280
	s_waitcnt lgkmcnt(0)
	v_mul_f64 v[14:15], v[36:37], v[12:13]
	v_mul_f64 v[16:17], v[34:35], v[12:13]
	v_fma_f64 v[14:15], v[34:35], v[10:11], -v[14:15]
	v_fma_f64 v[16:17], v[36:37], v[10:11], v[16:17]
	v_add_f64 v[28:29], v[28:29], v[14:15]
	v_add_f64 v[26:27], v[16:17], v[26:27]
	ds_read_b128 v[14:17], v25 offset:2080
	s_waitcnt lgkmcnt(0)
	v_mul_f64 v[34:35], v[16:17], v[8:9]
	v_mul_f64 v[8:9], v[14:15], v[8:9]
	v_fma_f64 v[34:35], v[14:15], v[6:7], -v[34:35]
	v_fma_f64 v[6:7], v[16:17], v[6:7], v[8:9]
	v_mul_f64 v[8:9], v[14:15], v[12:13]
	v_add_f64 v[18:19], v[18:19], v[34:35]
	v_add_f64 v[20:21], v[6:7], v[20:21]
	v_mul_f64 v[6:7], v[16:17], v[12:13]
	v_fma_f64 v[8:9], v[16:17], v[10:11], v[8:9]
	v_fma_f64 v[6:7], v[14:15], v[10:11], -v[6:7]
	v_add_f64 v[32:33], v[8:9], v[32:33]
	;; [unrolled: 30-line block ×3, first 2 shown]
	v_add_f64 v[30:31], v[30:31], v[6:7]
	ds_read_b128 v[6:9], v25 offset:64
	ds_read_b128 v[10:13], v24 offset:2048
	s_waitcnt lgkmcnt(0)
	v_mul_f64 v[14:15], v[8:9], v[12:13]
	v_mul_f64 v[16:17], v[6:7], v[12:13]
	v_fma_f64 v[14:15], v[6:7], v[10:11], -v[14:15]
	v_fma_f64 v[16:17], v[8:9], v[10:11], v[16:17]
	v_add_f64 v[34:35], v[34:35], v[14:15]
	v_add_f64 v[36:37], v[16:17], v[36:37]
	ds_read_b128 v[14:17], v24 offset:2304
	s_waitcnt lgkmcnt(0)
	v_mul_f64 v[38:39], v[8:9], v[16:17]
	v_fma_f64 v[38:39], v[6:7], v[14:15], -v[38:39]
	v_mul_f64 v[6:7], v[6:7], v[16:17]
	v_add_f64 v[28:29], v[28:29], v[38:39]
	v_fma_f64 v[6:7], v[8:9], v[14:15], v[6:7]
	v_add_f64 v[26:27], v[6:7], v[26:27]
	ds_read_b128 v[6:9], v25 offset:2112
	s_waitcnt lgkmcnt(0)
	v_mul_f64 v[38:39], v[8:9], v[12:13]
	v_mul_f64 v[12:13], v[6:7], v[12:13]
	v_fma_f64 v[38:39], v[6:7], v[10:11], -v[38:39]
	v_fma_f64 v[10:11], v[8:9], v[10:11], v[12:13]
	v_add_f64 v[18:19], v[18:19], v[38:39]
	v_add_f64 v[20:21], v[10:11], v[20:21]
	v_mul_f64 v[10:11], v[8:9], v[16:17]
	v_fma_f64 v[10:11], v[6:7], v[14:15], -v[10:11]
	v_mul_f64 v[6:7], v[6:7], v[16:17]
	v_add_f64 v[30:31], v[30:31], v[10:11]
	v_fma_f64 v[6:7], v[8:9], v[14:15], v[6:7]
	v_add_f64 v[32:33], v[6:7], v[32:33]
	ds_read_b128 v[6:9], v25 offset:80
	ds_read_b128 v[10:13], v24 offset:2560
	s_waitcnt lgkmcnt(0)
	v_mul_f64 v[14:15], v[8:9], v[12:13]
	v_mul_f64 v[16:17], v[6:7], v[12:13]
	v_fma_f64 v[14:15], v[6:7], v[10:11], -v[14:15]
	v_fma_f64 v[16:17], v[8:9], v[10:11], v[16:17]
	v_add_f64 v[34:35], v[34:35], v[14:15]
	v_add_f64 v[36:37], v[16:17], v[36:37]
	ds_read_b128 v[14:17], v24 offset:2816
	s_waitcnt lgkmcnt(0)
	v_mul_f64 v[38:39], v[8:9], v[16:17]
	v_fma_f64 v[38:39], v[6:7], v[14:15], -v[38:39]
	v_mul_f64 v[6:7], v[6:7], v[16:17]
	v_add_f64 v[28:29], v[28:29], v[38:39]
	v_fma_f64 v[6:7], v[8:9], v[14:15], v[6:7]
	v_add_f64 v[26:27], v[6:7], v[26:27]
	ds_read_b128 v[6:9], v25 offset:2128
	s_waitcnt lgkmcnt(0)
	v_mul_f64 v[38:39], v[8:9], v[12:13]
	v_mul_f64 v[12:13], v[6:7], v[12:13]
	v_fma_f64 v[38:39], v[6:7], v[10:11], -v[38:39]
	v_fma_f64 v[10:11], v[8:9], v[10:11], v[12:13]
	v_add_f64 v[18:19], v[18:19], v[38:39]
	v_add_f64 v[20:21], v[10:11], v[20:21]
	v_mul_f64 v[10:11], v[8:9], v[16:17]
	v_fma_f64 v[10:11], v[6:7], v[14:15], -v[10:11]
	v_mul_f64 v[6:7], v[6:7], v[16:17]
	v_add_f64 v[30:31], v[30:31], v[10:11]
	v_fma_f64 v[6:7], v[8:9], v[14:15], v[6:7]
	;; [unrolled: 31-line block ×3, first 2 shown]
	v_add_f64 v[44:45], v[6:7], v[32:33]
	ds_read_b128 v[6:9], v25 offset:112
	ds_read_b128 v[10:13], v24 offset:3584
	;; [unrolled: 1-line block ×3, first 2 shown]
	s_waitcnt lgkmcnt(1)
	v_mul_f64 v[14:15], v[8:9], v[12:13]
	s_waitcnt lgkmcnt(0)
	v_mul_f64 v[30:31], v[8:9], v[28:29]
	v_mul_f64 v[16:17], v[6:7], v[12:13]
	v_fma_f64 v[14:15], v[6:7], v[10:11], -v[14:15]
	v_fma_f64 v[30:31], v[6:7], v[26:27], -v[30:31]
	v_mul_f64 v[6:7], v[6:7], v[28:29]
	v_fma_f64 v[16:17], v[8:9], v[10:11], v[16:17]
	v_add_f64 v[14:15], v[34:35], v[14:15]
	v_fma_f64 v[8:9], v[8:9], v[26:27], v[6:7]
	v_add_f64 v[6:7], v[38:39], v[30:31]
	ds_read_b128 v[30:33], v25 offset:2160
	v_add_f64 v[16:17], v[16:17], v[36:37]
	s_waitcnt lgkmcnt(0)
	s_barrier
	v_mul_f64 v[34:35], v[32:33], v[12:13]
	v_mul_f64 v[12:13], v[30:31], v[12:13]
	v_add_f64 v[8:9], v[8:9], v[40:41]
	v_fma_f64 v[34:35], v[30:31], v[10:11], -v[34:35]
	v_fma_f64 v[10:11], v[32:33], v[10:11], v[12:13]
	v_mul_f64 v[12:13], v[30:31], v[28:29]
	v_add_f64 v[18:19], v[18:19], v[34:35]
	v_add_f64 v[20:21], v[10:11], v[20:21]
	v_mul_f64 v[10:11], v[32:33], v[28:29]
	v_fma_f64 v[10:11], v[30:31], v[26:27], -v[10:11]
	v_fma_f64 v[26:27], v[32:33], v[26:27], v[12:13]
	v_add_f64 v[12:13], v[42:43], v[10:11]
	v_add_f64 v[10:11], v[26:27], v[44:45]
	s_cbranch_scc0 .LBB257_2
	s_branch .LBB257_4
.LBB257_3:
	v_mov_b32_e32 v14, 0
	v_mov_b32_e32 v16, 0
	;; [unrolled: 1-line block ×16, first 2 shown]
.LBB257_4:
	s_load_dwordx2 s[0:1], s[4:5], 0x68
	s_load_dwordx2 s[2:3], s[4:5], 0x58
	s_load_dword s9, s[4:5], 0x60
	v_add_u32_e32 v4, s7, v1
	v_add_u32_e32 v0, s6, v0
	s_waitcnt lgkmcnt(0)
	s_mul_i32 s1, s1, s8
	s_mul_hi_u32 s4, s0, s8
	s_add_i32 s1, s4, s1
	v_mad_i64_i32 v[1:2], s[4:5], v4, s9, 0
	s_mul_i32 s0, s0, s8
	s_lshl_b64 s[0:1], s[0:1], 4
	s_add_u32 s7, s2, s0
	v_lshlrev_b64 v[1:2], 4, v[1:2]
	s_addc_u32 s8, s3, s1
	v_mov_b32_e32 v3, s8
	v_add_co_u32_e32 v5, vcc, s7, v1
	v_addc_co_u32_e32 v22, vcc, v3, v2, vcc
	v_cmp_le_i32_e64 s[0:1], v4, v0
	v_cmp_gt_i32_e32 vcc, s10, v0
	s_and_b64 s[0:1], s[0:1], vcc
	s_and_saveexec_b64 s[2:3], s[0:1]
	s_cbranch_execz .LBB257_6
; %bb.5:
	v_mul_f64 v[1:2], s[14:15], v[16:17]
	v_mul_f64 v[16:17], s[12:13], v[16:17]
	v_fma_f64 v[23:24], s[12:13], v[14:15], -v[1:2]
	v_fma_f64 v[25:26], s[14:15], v[14:15], v[16:17]
	v_ashrrev_i32_e32 v1, 31, v0
	v_lshlrev_b64 v[1:2], 4, v[0:1]
	v_add_co_u32_e64 v1, s[0:1], v5, v1
	v_addc_co_u32_e64 v2, s[0:1], v22, v2, s[0:1]
	global_store_dwordx4 v[1:2], v[23:26], off
.LBB257_6:
	s_or_b64 exec, exec, s[2:3]
	v_add_u32_e32 v2, 16, v0
	v_cmp_le_i32_e64 s[2:3], v4, v2
	v_cmp_gt_i32_e64 s[0:1], s10, v2
	s_and_b64 s[2:3], s[2:3], s[0:1]
	s_and_saveexec_b64 s[4:5], s[2:3]
	s_cbranch_execz .LBB257_8
; %bb.7:
	v_mul_f64 v[14:15], s[14:15], v[8:9]
	v_mul_f64 v[8:9], s[12:13], v[8:9]
	v_ashrrev_i32_e32 v3, 31, v2
	v_fma_f64 v[14:15], s[12:13], v[6:7], -v[14:15]
	v_fma_f64 v[16:17], s[14:15], v[6:7], v[8:9]
	v_lshlrev_b64 v[6:7], 4, v[2:3]
	v_add_co_u32_e64 v5, s[2:3], v5, v6
	v_addc_co_u32_e64 v6, s[2:3], v22, v7, s[2:3]
	global_store_dwordx4 v[5:6], v[14:17], off
.LBB257_8:
	s_or_b64 exec, exec, s[4:5]
	v_add_u32_e32 v3, 16, v4
	v_mad_i64_i32 v[4:5], s[2:3], v3, s9, 0
	v_mov_b32_e32 v1, s8
	v_lshlrev_b64 v[4:5], 4, v[4:5]
	v_add_co_u32_e64 v4, s[2:3], s7, v4
	v_addc_co_u32_e64 v5, s[2:3], v1, v5, s[2:3]
	v_cmp_le_i32_e64 s[2:3], v3, v0
	s_and_b64 s[4:5], s[2:3], vcc
	s_and_saveexec_b64 s[2:3], s[4:5]
	s_cbranch_execz .LBB257_10
; %bb.9:
	v_mul_f64 v[6:7], s[14:15], v[20:21]
	v_mul_f64 v[8:9], s[12:13], v[20:21]
	v_ashrrev_i32_e32 v1, 31, v0
	v_lshlrev_b64 v[0:1], 4, v[0:1]
	v_add_co_u32_e32 v0, vcc, v4, v0
	v_addc_co_u32_e32 v1, vcc, v5, v1, vcc
	v_fma_f64 v[6:7], s[12:13], v[18:19], -v[6:7]
	v_fma_f64 v[8:9], s[14:15], v[18:19], v[8:9]
	global_store_dwordx4 v[0:1], v[6:9], off
.LBB257_10:
	s_or_b64 exec, exec, s[2:3]
	v_cmp_le_i32_e32 vcc, v3, v2
	s_and_b64 s[0:1], vcc, s[0:1]
	s_and_saveexec_b64 s[2:3], s[0:1]
	s_cbranch_execz .LBB257_12
; %bb.11:
	v_mul_f64 v[0:1], s[14:15], v[10:11]
	v_mul_f64 v[8:9], s[12:13], v[10:11]
	v_ashrrev_i32_e32 v3, 31, v2
	v_fma_f64 v[6:7], s[12:13], v[12:13], -v[0:1]
	v_fma_f64 v[8:9], s[14:15], v[12:13], v[8:9]
	v_lshlrev_b64 v[0:1], 4, v[2:3]
	v_add_co_u32_e32 v0, vcc, v4, v0
	v_addc_co_u32_e32 v1, vcc, v5, v1, vcc
	global_store_dwordx4 v[0:1], v[6:9], off
.LBB257_12:
	s_endpgm
	.section	.rodata,"a",@progbits
	.p2align	6, 0x0
	.amdhsa_kernel _ZL37rocblas_syrkx_herkx_restricted_kernelIi19rocblas_complex_numIdELi16ELi32ELi8ELb1ELb0ELc84ELc76EKS1_S1_EviT_T0_PT8_S3_lS6_S3_lS4_PT9_S3_li
		.amdhsa_group_segment_fixed_size 8192
		.amdhsa_private_segment_fixed_size 0
		.amdhsa_kernarg_size 116
		.amdhsa_user_sgpr_count 6
		.amdhsa_user_sgpr_private_segment_buffer 1
		.amdhsa_user_sgpr_dispatch_ptr 0
		.amdhsa_user_sgpr_queue_ptr 0
		.amdhsa_user_sgpr_kernarg_segment_ptr 1
		.amdhsa_user_sgpr_dispatch_id 0
		.amdhsa_user_sgpr_flat_scratch_init 0
		.amdhsa_user_sgpr_private_segment_size 0
		.amdhsa_uses_dynamic_stack 0
		.amdhsa_system_sgpr_private_segment_wavefront_offset 0
		.amdhsa_system_sgpr_workgroup_id_x 1
		.amdhsa_system_sgpr_workgroup_id_y 1
		.amdhsa_system_sgpr_workgroup_id_z 1
		.amdhsa_system_sgpr_workgroup_info 0
		.amdhsa_system_vgpr_workitem_id 1
		.amdhsa_next_free_vgpr 52
		.amdhsa_next_free_sgpr 61
		.amdhsa_reserve_vcc 1
		.amdhsa_reserve_flat_scratch 0
		.amdhsa_float_round_mode_32 0
		.amdhsa_float_round_mode_16_64 0
		.amdhsa_float_denorm_mode_32 3
		.amdhsa_float_denorm_mode_16_64 3
		.amdhsa_dx10_clamp 1
		.amdhsa_ieee_mode 1
		.amdhsa_fp16_overflow 0
		.amdhsa_exception_fp_ieee_invalid_op 0
		.amdhsa_exception_fp_denorm_src 0
		.amdhsa_exception_fp_ieee_div_zero 0
		.amdhsa_exception_fp_ieee_overflow 0
		.amdhsa_exception_fp_ieee_underflow 0
		.amdhsa_exception_fp_ieee_inexact 0
		.amdhsa_exception_int_div_zero 0
	.end_amdhsa_kernel
	.section	.text._ZL37rocblas_syrkx_herkx_restricted_kernelIi19rocblas_complex_numIdELi16ELi32ELi8ELb1ELb0ELc84ELc76EKS1_S1_EviT_T0_PT8_S3_lS6_S3_lS4_PT9_S3_li,"axG",@progbits,_ZL37rocblas_syrkx_herkx_restricted_kernelIi19rocblas_complex_numIdELi16ELi32ELi8ELb1ELb0ELc84ELc76EKS1_S1_EviT_T0_PT8_S3_lS6_S3_lS4_PT9_S3_li,comdat
.Lfunc_end257:
	.size	_ZL37rocblas_syrkx_herkx_restricted_kernelIi19rocblas_complex_numIdELi16ELi32ELi8ELb1ELb0ELc84ELc76EKS1_S1_EviT_T0_PT8_S3_lS6_S3_lS4_PT9_S3_li, .Lfunc_end257-_ZL37rocblas_syrkx_herkx_restricted_kernelIi19rocblas_complex_numIdELi16ELi32ELi8ELb1ELb0ELc84ELc76EKS1_S1_EviT_T0_PT8_S3_lS6_S3_lS4_PT9_S3_li
                                        ; -- End function
	.set _ZL37rocblas_syrkx_herkx_restricted_kernelIi19rocblas_complex_numIdELi16ELi32ELi8ELb1ELb0ELc84ELc76EKS1_S1_EviT_T0_PT8_S3_lS6_S3_lS4_PT9_S3_li.num_vgpr, 52
	.set _ZL37rocblas_syrkx_herkx_restricted_kernelIi19rocblas_complex_numIdELi16ELi32ELi8ELb1ELb0ELc84ELc76EKS1_S1_EviT_T0_PT8_S3_lS6_S3_lS4_PT9_S3_li.num_agpr, 0
	.set _ZL37rocblas_syrkx_herkx_restricted_kernelIi19rocblas_complex_numIdELi16ELi32ELi8ELb1ELb0ELc84ELc76EKS1_S1_EviT_T0_PT8_S3_lS6_S3_lS4_PT9_S3_li.numbered_sgpr, 24
	.set _ZL37rocblas_syrkx_herkx_restricted_kernelIi19rocblas_complex_numIdELi16ELi32ELi8ELb1ELb0ELc84ELc76EKS1_S1_EviT_T0_PT8_S3_lS6_S3_lS4_PT9_S3_li.num_named_barrier, 0
	.set _ZL37rocblas_syrkx_herkx_restricted_kernelIi19rocblas_complex_numIdELi16ELi32ELi8ELb1ELb0ELc84ELc76EKS1_S1_EviT_T0_PT8_S3_lS6_S3_lS4_PT9_S3_li.private_seg_size, 0
	.set _ZL37rocblas_syrkx_herkx_restricted_kernelIi19rocblas_complex_numIdELi16ELi32ELi8ELb1ELb0ELc84ELc76EKS1_S1_EviT_T0_PT8_S3_lS6_S3_lS4_PT9_S3_li.uses_vcc, 1
	.set _ZL37rocblas_syrkx_herkx_restricted_kernelIi19rocblas_complex_numIdELi16ELi32ELi8ELb1ELb0ELc84ELc76EKS1_S1_EviT_T0_PT8_S3_lS6_S3_lS4_PT9_S3_li.uses_flat_scratch, 0
	.set _ZL37rocblas_syrkx_herkx_restricted_kernelIi19rocblas_complex_numIdELi16ELi32ELi8ELb1ELb0ELc84ELc76EKS1_S1_EviT_T0_PT8_S3_lS6_S3_lS4_PT9_S3_li.has_dyn_sized_stack, 0
	.set _ZL37rocblas_syrkx_herkx_restricted_kernelIi19rocblas_complex_numIdELi16ELi32ELi8ELb1ELb0ELc84ELc76EKS1_S1_EviT_T0_PT8_S3_lS6_S3_lS4_PT9_S3_li.has_recursion, 0
	.set _ZL37rocblas_syrkx_herkx_restricted_kernelIi19rocblas_complex_numIdELi16ELi32ELi8ELb1ELb0ELc84ELc76EKS1_S1_EviT_T0_PT8_S3_lS6_S3_lS4_PT9_S3_li.has_indirect_call, 0
	.section	.AMDGPU.csdata,"",@progbits
; Kernel info:
; codeLenInByte = 2908
; TotalNumSgprs: 28
; NumVgprs: 52
; ScratchSize: 0
; MemoryBound: 0
; FloatMode: 240
; IeeeMode: 1
; LDSByteSize: 8192 bytes/workgroup (compile time only)
; SGPRBlocks: 8
; VGPRBlocks: 12
; NumSGPRsForWavesPerEU: 65
; NumVGPRsForWavesPerEU: 52
; Occupancy: 4
; WaveLimiterHint : 0
; COMPUTE_PGM_RSRC2:SCRATCH_EN: 0
; COMPUTE_PGM_RSRC2:USER_SGPR: 6
; COMPUTE_PGM_RSRC2:TRAP_HANDLER: 0
; COMPUTE_PGM_RSRC2:TGID_X_EN: 1
; COMPUTE_PGM_RSRC2:TGID_Y_EN: 1
; COMPUTE_PGM_RSRC2:TGID_Z_EN: 1
; COMPUTE_PGM_RSRC2:TIDIG_COMP_CNT: 1
	.section	.text._ZL37rocblas_syrkx_herkx_restricted_kernelIi19rocblas_complex_numIdELi16ELi32ELi8ELb1ELb0ELc67ELc76EKS1_S1_EviT_T0_PT8_S3_lS6_S3_lS4_PT9_S3_li,"axG",@progbits,_ZL37rocblas_syrkx_herkx_restricted_kernelIi19rocblas_complex_numIdELi16ELi32ELi8ELb1ELb0ELc67ELc76EKS1_S1_EviT_T0_PT8_S3_lS6_S3_lS4_PT9_S3_li,comdat
	.globl	_ZL37rocblas_syrkx_herkx_restricted_kernelIi19rocblas_complex_numIdELi16ELi32ELi8ELb1ELb0ELc67ELc76EKS1_S1_EviT_T0_PT8_S3_lS6_S3_lS4_PT9_S3_li ; -- Begin function _ZL37rocblas_syrkx_herkx_restricted_kernelIi19rocblas_complex_numIdELi16ELi32ELi8ELb1ELb0ELc67ELc76EKS1_S1_EviT_T0_PT8_S3_lS6_S3_lS4_PT9_S3_li
	.p2align	8
	.type	_ZL37rocblas_syrkx_herkx_restricted_kernelIi19rocblas_complex_numIdELi16ELi32ELi8ELb1ELb0ELc67ELc76EKS1_S1_EviT_T0_PT8_S3_lS6_S3_lS4_PT9_S3_li,@function
_ZL37rocblas_syrkx_herkx_restricted_kernelIi19rocblas_complex_numIdELi16ELi32ELi8ELb1ELb0ELc67ELc76EKS1_S1_EviT_T0_PT8_S3_lS6_S3_lS4_PT9_S3_li: ; @_ZL37rocblas_syrkx_herkx_restricted_kernelIi19rocblas_complex_numIdELi16ELi32ELi8ELb1ELb0ELc67ELc76EKS1_S1_EviT_T0_PT8_S3_lS6_S3_lS4_PT9_S3_li
; %bb.0:
	s_load_dwordx2 s[10:11], s[4:5], 0x0
	s_load_dwordx4 s[12:15], s[4:5], 0x8
	s_load_dwordx2 s[16:17], s[4:5], 0x18
	s_lshl_b32 s6, s6, 5
	s_lshl_b32 s7, s7, 5
	s_waitcnt lgkmcnt(0)
	s_cmp_lt_i32 s11, 1
	s_mov_b32 s9, 0
	s_cbranch_scc1 .LBB258_3
; %bb.1:
	s_load_dword s22, s[4:5], 0x20
	s_load_dwordx4 s[0:3], s[4:5], 0x28
	s_load_dword s20, s[4:5], 0x38
	s_load_dwordx2 s[18:19], s[4:5], 0x40
	v_lshl_add_u32 v3, v1, 4, v0
	v_lshrrev_b32_e32 v8, 3, v3
	v_lshrrev_b32_e32 v2, 5, v3
	v_and_b32_e32 v4, 7, v0
	v_and_b32_e32 v9, 31, v3
	v_add_u32_e32 v3, s7, v8
	v_mov_b32_e32 v5, 0
	s_waitcnt lgkmcnt(0)
	v_mad_i64_i32 v[6:7], s[20:21], s20, v3, v[4:5]
	v_lshlrev_b32_e32 v4, 4, v4
	v_lshl_or_b32 v4, v8, 7, v4
	v_add_u32_e32 v23, 0x1000, v4
	v_mov_b32_e32 v4, 0x1000
	v_mov_b32_e32 v3, v5
	v_lshlrev_b32_e32 v5, 4, v9
	v_lshl_add_u32 v25, v1, 7, v4
	v_add_u32_e32 v4, s6, v9
	v_lshl_or_b32 v22, v2, 9, v5
	v_mad_i64_i32 v[2:3], s[20:21], s22, v4, v[2:3]
	s_mul_i32 s1, s1, s8
	s_mul_hi_u32 s23, s0, s8
	s_add_i32 s1, s23, s1
	s_mul_i32 s0, s0, s8
	s_lshl_b64 s[0:1], s[0:1], 4
	v_lshlrev_b64 v[2:3], 4, v[2:3]
	s_add_u32 s0, s16, s0
	s_addc_u32 s1, s17, s1
	v_mov_b32_e32 v4, s1
	v_add_co_u32_e32 v2, vcc, s0, v2
	s_mul_i32 s0, s19, s8
	s_mul_hi_u32 s1, s18, s8
	s_add_i32 s1, s1, s0
	s_mul_i32 s0, s18, s8
	v_addc_co_u32_e32 v3, vcc, v4, v3, vcc
	s_lshl_b64 s[0:1], s[0:1], 4
	v_add_co_u32_e32 v2, vcc, 8, v2
	v_lshlrev_b64 v[4:5], 4, v[6:7]
	s_add_u32 s0, s2, s0
	v_addc_co_u32_e32 v3, vcc, 0, v3, vcc
	s_addc_u32 s1, s3, s1
	v_mov_b32_e32 v6, s1
	v_add_co_u32_e32 v4, vcc, s0, v4
	v_addc_co_u32_e32 v5, vcc, v6, v5, vcc
	v_mov_b32_e32 v10, 0
	v_mov_b32_e32 v12, 0
	;; [unrolled: 1-line block ×8, first 2 shown]
	v_add_co_u32_e32 v4, vcc, 8, v4
	v_lshlrev_b32_e32 v24, 4, v0
	v_mov_b32_e32 v11, 0
	v_mov_b32_e32 v13, 0
	;; [unrolled: 1-line block ×8, first 2 shown]
	v_addc_co_u32_e32 v5, vcc, 0, v5, vcc
.LBB258_2:                              ; =>This Inner Loop Header: Depth=1
	global_load_dwordx4 v[26:29], v[2:3], off offset:-8
	v_add_co_u32_e32 v2, vcc, 0x80, v2
	v_addc_co_u32_e32 v3, vcc, 0, v3, vcc
	s_add_i32 s9, s9, 8
	s_cmp_ge_i32 s9, s11
	s_waitcnt vmcnt(0)
	ds_write_b128 v22, v[26:29]
	global_load_dwordx4 v[26:29], v[4:5], off offset:-8
	v_add_co_u32_e32 v4, vcc, 0x80, v4
	v_addc_co_u32_e32 v5, vcc, 0, v5, vcc
	s_waitcnt vmcnt(0)
	ds_write_b128 v23, v[26:29]
	s_waitcnt lgkmcnt(0)
	s_barrier
	ds_read_b128 v[26:29], v25
	ds_read_b128 v[30:33], v25 offset:16
	ds_read_b128 v[34:37], v25 offset:32
	;; [unrolled: 1-line block ×3, first 2 shown]
	ds_read_b128 v[42:45], v24
	s_waitcnt lgkmcnt(0)
	v_mul_f64 v[46:47], v[28:29], v[44:45]
	v_mul_f64 v[48:49], v[26:27], v[44:45]
	v_fma_f64 v[46:47], v[26:27], v[42:43], -v[46:47]
	v_fma_f64 v[48:49], v[28:29], v[42:43], v[48:49]
	v_add_f64 v[46:47], v[14:15], v[46:47]
	v_add_f64 v[48:49], v[48:49], v[16:17]
	ds_read_b128 v[14:17], v24 offset:256
	s_waitcnt lgkmcnt(0)
	v_mul_f64 v[50:51], v[28:29], v[16:17]
	v_fma_f64 v[50:51], v[26:27], v[14:15], -v[50:51]
	v_mul_f64 v[26:27], v[26:27], v[16:17]
	v_fma_f64 v[26:27], v[28:29], v[14:15], v[26:27]
	v_add_f64 v[28:29], v[6:7], v[50:51]
	v_add_f64 v[26:27], v[26:27], v[8:9]
	ds_read_b128 v[6:9], v25 offset:2048
	s_waitcnt lgkmcnt(0)
	v_mul_f64 v[50:51], v[8:9], v[44:45]
	v_mul_f64 v[44:45], v[6:7], v[44:45]
	v_fma_f64 v[50:51], v[6:7], v[42:43], -v[50:51]
	v_fma_f64 v[42:43], v[8:9], v[42:43], v[44:45]
	v_add_f64 v[18:19], v[18:19], v[50:51]
	v_add_f64 v[20:21], v[42:43], v[20:21]
	v_mul_f64 v[42:43], v[8:9], v[16:17]
	v_fma_f64 v[42:43], v[6:7], v[14:15], -v[42:43]
	v_mul_f64 v[6:7], v[6:7], v[16:17]
	v_add_f64 v[42:43], v[12:13], v[42:43]
	v_fma_f64 v[6:7], v[8:9], v[14:15], v[6:7]
	v_add_f64 v[44:45], v[6:7], v[10:11]
	ds_read_b128 v[6:9], v24 offset:512
	s_waitcnt lgkmcnt(0)
	v_mul_f64 v[10:11], v[32:33], v[8:9]
	v_mul_f64 v[12:13], v[30:31], v[8:9]
	v_fma_f64 v[10:11], v[30:31], v[6:7], -v[10:11]
	v_fma_f64 v[12:13], v[32:33], v[6:7], v[12:13]
	v_add_f64 v[46:47], v[46:47], v[10:11]
	v_add_f64 v[48:49], v[12:13], v[48:49]
	ds_read_b128 v[10:13], v24 offset:768
	s_waitcnt lgkmcnt(0)
	v_mul_f64 v[14:15], v[32:33], v[12:13]
	v_mul_f64 v[16:17], v[30:31], v[12:13]
	v_fma_f64 v[14:15], v[30:31], v[10:11], -v[14:15]
	v_fma_f64 v[16:17], v[32:33], v[10:11], v[16:17]
	v_add_f64 v[28:29], v[28:29], v[14:15]
	v_add_f64 v[26:27], v[16:17], v[26:27]
	ds_read_b128 v[14:17], v25 offset:2064
	s_waitcnt lgkmcnt(0)
	v_mul_f64 v[30:31], v[16:17], v[8:9]
	v_mul_f64 v[8:9], v[14:15], v[8:9]
	v_fma_f64 v[30:31], v[14:15], v[6:7], -v[30:31]
	v_fma_f64 v[6:7], v[16:17], v[6:7], v[8:9]
	v_mul_f64 v[8:9], v[14:15], v[12:13]
	v_add_f64 v[18:19], v[18:19], v[30:31]
	v_add_f64 v[20:21], v[6:7], v[20:21]
	v_mul_f64 v[6:7], v[16:17], v[12:13]
	v_fma_f64 v[8:9], v[16:17], v[10:11], v[8:9]
	v_fma_f64 v[6:7], v[14:15], v[10:11], -v[6:7]
	v_add_f64 v[32:33], v[8:9], v[44:45]
	v_add_f64 v[30:31], v[42:43], v[6:7]
	ds_read_b128 v[6:9], v24 offset:1024
	s_waitcnt lgkmcnt(0)
	v_mul_f64 v[10:11], v[36:37], v[8:9]
	v_mul_f64 v[12:13], v[34:35], v[8:9]
	v_fma_f64 v[10:11], v[34:35], v[6:7], -v[10:11]
	v_fma_f64 v[12:13], v[36:37], v[6:7], v[12:13]
	v_add_f64 v[42:43], v[46:47], v[10:11]
	v_add_f64 v[44:45], v[12:13], v[48:49]
	ds_read_b128 v[10:13], v24 offset:1280
	s_waitcnt lgkmcnt(0)
	v_mul_f64 v[14:15], v[36:37], v[12:13]
	v_mul_f64 v[16:17], v[34:35], v[12:13]
	v_fma_f64 v[14:15], v[34:35], v[10:11], -v[14:15]
	v_fma_f64 v[16:17], v[36:37], v[10:11], v[16:17]
	v_add_f64 v[28:29], v[28:29], v[14:15]
	v_add_f64 v[26:27], v[16:17], v[26:27]
	ds_read_b128 v[14:17], v25 offset:2080
	s_waitcnt lgkmcnt(0)
	v_mul_f64 v[34:35], v[16:17], v[8:9]
	v_mul_f64 v[8:9], v[14:15], v[8:9]
	v_fma_f64 v[34:35], v[14:15], v[6:7], -v[34:35]
	v_fma_f64 v[6:7], v[16:17], v[6:7], v[8:9]
	v_mul_f64 v[8:9], v[14:15], v[12:13]
	v_add_f64 v[18:19], v[18:19], v[34:35]
	v_add_f64 v[20:21], v[6:7], v[20:21]
	v_mul_f64 v[6:7], v[16:17], v[12:13]
	v_fma_f64 v[8:9], v[16:17], v[10:11], v[8:9]
	v_fma_f64 v[6:7], v[14:15], v[10:11], -v[6:7]
	v_add_f64 v[32:33], v[8:9], v[32:33]
	;; [unrolled: 30-line block ×3, first 2 shown]
	v_add_f64 v[30:31], v[30:31], v[6:7]
	ds_read_b128 v[6:9], v25 offset:64
	ds_read_b128 v[10:13], v24 offset:2048
	s_waitcnt lgkmcnt(0)
	v_mul_f64 v[14:15], v[8:9], v[12:13]
	v_mul_f64 v[16:17], v[6:7], v[12:13]
	v_fma_f64 v[14:15], v[6:7], v[10:11], -v[14:15]
	v_fma_f64 v[16:17], v[8:9], v[10:11], v[16:17]
	v_add_f64 v[34:35], v[34:35], v[14:15]
	v_add_f64 v[36:37], v[16:17], v[36:37]
	ds_read_b128 v[14:17], v24 offset:2304
	s_waitcnt lgkmcnt(0)
	v_mul_f64 v[38:39], v[8:9], v[16:17]
	v_fma_f64 v[38:39], v[6:7], v[14:15], -v[38:39]
	v_mul_f64 v[6:7], v[6:7], v[16:17]
	v_add_f64 v[28:29], v[28:29], v[38:39]
	v_fma_f64 v[6:7], v[8:9], v[14:15], v[6:7]
	v_add_f64 v[26:27], v[6:7], v[26:27]
	ds_read_b128 v[6:9], v25 offset:2112
	s_waitcnt lgkmcnt(0)
	v_mul_f64 v[38:39], v[8:9], v[12:13]
	v_mul_f64 v[12:13], v[6:7], v[12:13]
	v_fma_f64 v[38:39], v[6:7], v[10:11], -v[38:39]
	v_fma_f64 v[10:11], v[8:9], v[10:11], v[12:13]
	v_add_f64 v[18:19], v[18:19], v[38:39]
	v_add_f64 v[20:21], v[10:11], v[20:21]
	v_mul_f64 v[10:11], v[8:9], v[16:17]
	v_fma_f64 v[10:11], v[6:7], v[14:15], -v[10:11]
	v_mul_f64 v[6:7], v[6:7], v[16:17]
	v_add_f64 v[30:31], v[30:31], v[10:11]
	v_fma_f64 v[6:7], v[8:9], v[14:15], v[6:7]
	v_add_f64 v[32:33], v[6:7], v[32:33]
	ds_read_b128 v[6:9], v25 offset:80
	ds_read_b128 v[10:13], v24 offset:2560
	s_waitcnt lgkmcnt(0)
	v_mul_f64 v[14:15], v[8:9], v[12:13]
	v_mul_f64 v[16:17], v[6:7], v[12:13]
	v_fma_f64 v[14:15], v[6:7], v[10:11], -v[14:15]
	v_fma_f64 v[16:17], v[8:9], v[10:11], v[16:17]
	v_add_f64 v[34:35], v[34:35], v[14:15]
	v_add_f64 v[36:37], v[16:17], v[36:37]
	ds_read_b128 v[14:17], v24 offset:2816
	s_waitcnt lgkmcnt(0)
	v_mul_f64 v[38:39], v[8:9], v[16:17]
	v_fma_f64 v[38:39], v[6:7], v[14:15], -v[38:39]
	v_mul_f64 v[6:7], v[6:7], v[16:17]
	v_add_f64 v[28:29], v[28:29], v[38:39]
	v_fma_f64 v[6:7], v[8:9], v[14:15], v[6:7]
	v_add_f64 v[26:27], v[6:7], v[26:27]
	ds_read_b128 v[6:9], v25 offset:2128
	s_waitcnt lgkmcnt(0)
	v_mul_f64 v[38:39], v[8:9], v[12:13]
	v_mul_f64 v[12:13], v[6:7], v[12:13]
	v_fma_f64 v[38:39], v[6:7], v[10:11], -v[38:39]
	v_fma_f64 v[10:11], v[8:9], v[10:11], v[12:13]
	v_add_f64 v[18:19], v[18:19], v[38:39]
	v_add_f64 v[20:21], v[10:11], v[20:21]
	v_mul_f64 v[10:11], v[8:9], v[16:17]
	v_fma_f64 v[10:11], v[6:7], v[14:15], -v[10:11]
	v_mul_f64 v[6:7], v[6:7], v[16:17]
	v_add_f64 v[30:31], v[30:31], v[10:11]
	v_fma_f64 v[6:7], v[8:9], v[14:15], v[6:7]
	v_add_f64 v[32:33], v[6:7], v[32:33]
	ds_read_b128 v[6:9], v25 offset:96
	ds_read_b128 v[10:13], v24 offset:3072
	s_waitcnt lgkmcnt(0)
	v_mul_f64 v[14:15], v[8:9], v[12:13]
	v_mul_f64 v[16:17], v[6:7], v[12:13]
	v_fma_f64 v[14:15], v[6:7], v[10:11], -v[14:15]
	v_fma_f64 v[16:17], v[8:9], v[10:11], v[16:17]
	v_add_f64 v[34:35], v[34:35], v[14:15]
	v_add_f64 v[36:37], v[16:17], v[36:37]
	ds_read_b128 v[14:17], v24 offset:3328
	s_waitcnt lgkmcnt(0)
	v_mul_f64 v[38:39], v[8:9], v[16:17]
	v_fma_f64 v[38:39], v[6:7], v[14:15], -v[38:39]
	v_mul_f64 v[6:7], v[6:7], v[16:17]
	v_add_f64 v[38:39], v[28:29], v[38:39]
	v_fma_f64 v[6:7], v[8:9], v[14:15], v[6:7]
	v_add_f64 v[40:41], v[6:7], v[26:27]
	ds_read_b128 v[6:9], v25 offset:2144
	s_waitcnt lgkmcnt(0)
	v_mul_f64 v[26:27], v[8:9], v[12:13]
	v_mul_f64 v[12:13], v[6:7], v[12:13]
	v_fma_f64 v[26:27], v[6:7], v[10:11], -v[26:27]
	v_fma_f64 v[10:11], v[8:9], v[10:11], v[12:13]
	v_add_f64 v[18:19], v[18:19], v[26:27]
	v_add_f64 v[20:21], v[10:11], v[20:21]
	v_mul_f64 v[10:11], v[8:9], v[16:17]
	v_fma_f64 v[10:11], v[6:7], v[14:15], -v[10:11]
	v_mul_f64 v[6:7], v[6:7], v[16:17]
	v_add_f64 v[42:43], v[30:31], v[10:11]
	v_fma_f64 v[6:7], v[8:9], v[14:15], v[6:7]
	v_add_f64 v[44:45], v[6:7], v[32:33]
	ds_read_b128 v[6:9], v25 offset:112
	ds_read_b128 v[10:13], v24 offset:3584
	;; [unrolled: 1-line block ×3, first 2 shown]
	s_waitcnt lgkmcnt(1)
	v_mul_f64 v[14:15], v[8:9], v[12:13]
	s_waitcnt lgkmcnt(0)
	v_mul_f64 v[30:31], v[8:9], v[28:29]
	v_mul_f64 v[16:17], v[6:7], v[12:13]
	v_fma_f64 v[14:15], v[6:7], v[10:11], -v[14:15]
	v_fma_f64 v[30:31], v[6:7], v[26:27], -v[30:31]
	v_mul_f64 v[6:7], v[6:7], v[28:29]
	v_fma_f64 v[16:17], v[8:9], v[10:11], v[16:17]
	v_add_f64 v[14:15], v[34:35], v[14:15]
	v_fma_f64 v[8:9], v[8:9], v[26:27], v[6:7]
	v_add_f64 v[6:7], v[38:39], v[30:31]
	ds_read_b128 v[30:33], v25 offset:2160
	v_add_f64 v[16:17], v[16:17], v[36:37]
	s_waitcnt lgkmcnt(0)
	s_barrier
	v_mul_f64 v[34:35], v[32:33], v[12:13]
	v_mul_f64 v[12:13], v[30:31], v[12:13]
	v_add_f64 v[8:9], v[8:9], v[40:41]
	v_fma_f64 v[34:35], v[30:31], v[10:11], -v[34:35]
	v_fma_f64 v[10:11], v[32:33], v[10:11], v[12:13]
	v_mul_f64 v[12:13], v[30:31], v[28:29]
	v_add_f64 v[18:19], v[18:19], v[34:35]
	v_add_f64 v[20:21], v[10:11], v[20:21]
	v_mul_f64 v[10:11], v[32:33], v[28:29]
	v_fma_f64 v[10:11], v[30:31], v[26:27], -v[10:11]
	v_fma_f64 v[26:27], v[32:33], v[26:27], v[12:13]
	v_add_f64 v[12:13], v[42:43], v[10:11]
	v_add_f64 v[10:11], v[26:27], v[44:45]
	s_cbranch_scc0 .LBB258_2
	s_branch .LBB258_4
.LBB258_3:
	v_mov_b32_e32 v14, 0
	v_mov_b32_e32 v16, 0
	;; [unrolled: 1-line block ×16, first 2 shown]
.LBB258_4:
	s_load_dwordx2 s[0:1], s[4:5], 0x68
	s_load_dwordx2 s[2:3], s[4:5], 0x58
	s_load_dword s9, s[4:5], 0x60
	v_add_u32_e32 v4, s7, v1
	v_add_u32_e32 v0, s6, v0
	s_waitcnt lgkmcnt(0)
	s_mul_i32 s1, s1, s8
	s_mul_hi_u32 s4, s0, s8
	s_add_i32 s1, s4, s1
	v_mad_i64_i32 v[1:2], s[4:5], v4, s9, 0
	s_mul_i32 s0, s0, s8
	s_lshl_b64 s[0:1], s[0:1], 4
	s_add_u32 s7, s2, s0
	v_lshlrev_b64 v[1:2], 4, v[1:2]
	s_addc_u32 s8, s3, s1
	v_mov_b32_e32 v3, s8
	v_add_co_u32_e32 v5, vcc, s7, v1
	v_addc_co_u32_e32 v22, vcc, v3, v2, vcc
	v_cmp_le_i32_e64 s[0:1], v4, v0
	v_cmp_gt_i32_e32 vcc, s10, v0
	s_and_b64 s[0:1], s[0:1], vcc
	s_and_saveexec_b64 s[2:3], s[0:1]
	s_cbranch_execz .LBB258_6
; %bb.5:
	v_mul_f64 v[1:2], s[14:15], v[16:17]
	v_mul_f64 v[16:17], s[12:13], v[16:17]
	v_fma_f64 v[23:24], s[12:13], v[14:15], -v[1:2]
	v_fma_f64 v[25:26], s[14:15], v[14:15], v[16:17]
	v_ashrrev_i32_e32 v1, 31, v0
	v_lshlrev_b64 v[1:2], 4, v[0:1]
	v_add_co_u32_e64 v1, s[0:1], v5, v1
	v_addc_co_u32_e64 v2, s[0:1], v22, v2, s[0:1]
	global_store_dwordx4 v[1:2], v[23:26], off
.LBB258_6:
	s_or_b64 exec, exec, s[2:3]
	v_add_u32_e32 v2, 16, v0
	v_cmp_le_i32_e64 s[2:3], v4, v2
	v_cmp_gt_i32_e64 s[0:1], s10, v2
	s_and_b64 s[2:3], s[2:3], s[0:1]
	s_and_saveexec_b64 s[4:5], s[2:3]
	s_cbranch_execz .LBB258_8
; %bb.7:
	v_mul_f64 v[14:15], s[14:15], v[8:9]
	v_mul_f64 v[8:9], s[12:13], v[8:9]
	v_ashrrev_i32_e32 v3, 31, v2
	v_fma_f64 v[14:15], s[12:13], v[6:7], -v[14:15]
	v_fma_f64 v[16:17], s[14:15], v[6:7], v[8:9]
	v_lshlrev_b64 v[6:7], 4, v[2:3]
	v_add_co_u32_e64 v5, s[2:3], v5, v6
	v_addc_co_u32_e64 v6, s[2:3], v22, v7, s[2:3]
	global_store_dwordx4 v[5:6], v[14:17], off
.LBB258_8:
	s_or_b64 exec, exec, s[4:5]
	v_add_u32_e32 v3, 16, v4
	v_mad_i64_i32 v[4:5], s[2:3], v3, s9, 0
	v_mov_b32_e32 v1, s8
	v_lshlrev_b64 v[4:5], 4, v[4:5]
	v_add_co_u32_e64 v4, s[2:3], s7, v4
	v_addc_co_u32_e64 v5, s[2:3], v1, v5, s[2:3]
	v_cmp_le_i32_e64 s[2:3], v3, v0
	s_and_b64 s[4:5], s[2:3], vcc
	s_and_saveexec_b64 s[2:3], s[4:5]
	s_cbranch_execz .LBB258_10
; %bb.9:
	v_mul_f64 v[6:7], s[14:15], v[20:21]
	v_mul_f64 v[8:9], s[12:13], v[20:21]
	v_ashrrev_i32_e32 v1, 31, v0
	v_lshlrev_b64 v[0:1], 4, v[0:1]
	v_add_co_u32_e32 v0, vcc, v4, v0
	v_addc_co_u32_e32 v1, vcc, v5, v1, vcc
	v_fma_f64 v[6:7], s[12:13], v[18:19], -v[6:7]
	v_fma_f64 v[8:9], s[14:15], v[18:19], v[8:9]
	global_store_dwordx4 v[0:1], v[6:9], off
.LBB258_10:
	s_or_b64 exec, exec, s[2:3]
	v_cmp_le_i32_e32 vcc, v3, v2
	s_and_b64 s[0:1], vcc, s[0:1]
	s_and_saveexec_b64 s[2:3], s[0:1]
	s_cbranch_execz .LBB258_12
; %bb.11:
	v_mul_f64 v[0:1], s[14:15], v[10:11]
	v_mul_f64 v[8:9], s[12:13], v[10:11]
	v_ashrrev_i32_e32 v3, 31, v2
	v_fma_f64 v[6:7], s[12:13], v[12:13], -v[0:1]
	v_fma_f64 v[8:9], s[14:15], v[12:13], v[8:9]
	v_lshlrev_b64 v[0:1], 4, v[2:3]
	v_add_co_u32_e32 v0, vcc, v4, v0
	v_addc_co_u32_e32 v1, vcc, v5, v1, vcc
	global_store_dwordx4 v[0:1], v[6:9], off
.LBB258_12:
	s_endpgm
	.section	.rodata,"a",@progbits
	.p2align	6, 0x0
	.amdhsa_kernel _ZL37rocblas_syrkx_herkx_restricted_kernelIi19rocblas_complex_numIdELi16ELi32ELi8ELb1ELb0ELc67ELc76EKS1_S1_EviT_T0_PT8_S3_lS6_S3_lS4_PT9_S3_li
		.amdhsa_group_segment_fixed_size 8192
		.amdhsa_private_segment_fixed_size 0
		.amdhsa_kernarg_size 116
		.amdhsa_user_sgpr_count 6
		.amdhsa_user_sgpr_private_segment_buffer 1
		.amdhsa_user_sgpr_dispatch_ptr 0
		.amdhsa_user_sgpr_queue_ptr 0
		.amdhsa_user_sgpr_kernarg_segment_ptr 1
		.amdhsa_user_sgpr_dispatch_id 0
		.amdhsa_user_sgpr_flat_scratch_init 0
		.amdhsa_user_sgpr_private_segment_size 0
		.amdhsa_uses_dynamic_stack 0
		.amdhsa_system_sgpr_private_segment_wavefront_offset 0
		.amdhsa_system_sgpr_workgroup_id_x 1
		.amdhsa_system_sgpr_workgroup_id_y 1
		.amdhsa_system_sgpr_workgroup_id_z 1
		.amdhsa_system_sgpr_workgroup_info 0
		.amdhsa_system_vgpr_workitem_id 1
		.amdhsa_next_free_vgpr 52
		.amdhsa_next_free_sgpr 61
		.amdhsa_reserve_vcc 1
		.amdhsa_reserve_flat_scratch 0
		.amdhsa_float_round_mode_32 0
		.amdhsa_float_round_mode_16_64 0
		.amdhsa_float_denorm_mode_32 3
		.amdhsa_float_denorm_mode_16_64 3
		.amdhsa_dx10_clamp 1
		.amdhsa_ieee_mode 1
		.amdhsa_fp16_overflow 0
		.amdhsa_exception_fp_ieee_invalid_op 0
		.amdhsa_exception_fp_denorm_src 0
		.amdhsa_exception_fp_ieee_div_zero 0
		.amdhsa_exception_fp_ieee_overflow 0
		.amdhsa_exception_fp_ieee_underflow 0
		.amdhsa_exception_fp_ieee_inexact 0
		.amdhsa_exception_int_div_zero 0
	.end_amdhsa_kernel
	.section	.text._ZL37rocblas_syrkx_herkx_restricted_kernelIi19rocblas_complex_numIdELi16ELi32ELi8ELb1ELb0ELc67ELc76EKS1_S1_EviT_T0_PT8_S3_lS6_S3_lS4_PT9_S3_li,"axG",@progbits,_ZL37rocblas_syrkx_herkx_restricted_kernelIi19rocblas_complex_numIdELi16ELi32ELi8ELb1ELb0ELc67ELc76EKS1_S1_EviT_T0_PT8_S3_lS6_S3_lS4_PT9_S3_li,comdat
.Lfunc_end258:
	.size	_ZL37rocblas_syrkx_herkx_restricted_kernelIi19rocblas_complex_numIdELi16ELi32ELi8ELb1ELb0ELc67ELc76EKS1_S1_EviT_T0_PT8_S3_lS6_S3_lS4_PT9_S3_li, .Lfunc_end258-_ZL37rocblas_syrkx_herkx_restricted_kernelIi19rocblas_complex_numIdELi16ELi32ELi8ELb1ELb0ELc67ELc76EKS1_S1_EviT_T0_PT8_S3_lS6_S3_lS4_PT9_S3_li
                                        ; -- End function
	.set _ZL37rocblas_syrkx_herkx_restricted_kernelIi19rocblas_complex_numIdELi16ELi32ELi8ELb1ELb0ELc67ELc76EKS1_S1_EviT_T0_PT8_S3_lS6_S3_lS4_PT9_S3_li.num_vgpr, 52
	.set _ZL37rocblas_syrkx_herkx_restricted_kernelIi19rocblas_complex_numIdELi16ELi32ELi8ELb1ELb0ELc67ELc76EKS1_S1_EviT_T0_PT8_S3_lS6_S3_lS4_PT9_S3_li.num_agpr, 0
	.set _ZL37rocblas_syrkx_herkx_restricted_kernelIi19rocblas_complex_numIdELi16ELi32ELi8ELb1ELb0ELc67ELc76EKS1_S1_EviT_T0_PT8_S3_lS6_S3_lS4_PT9_S3_li.numbered_sgpr, 24
	.set _ZL37rocblas_syrkx_herkx_restricted_kernelIi19rocblas_complex_numIdELi16ELi32ELi8ELb1ELb0ELc67ELc76EKS1_S1_EviT_T0_PT8_S3_lS6_S3_lS4_PT9_S3_li.num_named_barrier, 0
	.set _ZL37rocblas_syrkx_herkx_restricted_kernelIi19rocblas_complex_numIdELi16ELi32ELi8ELb1ELb0ELc67ELc76EKS1_S1_EviT_T0_PT8_S3_lS6_S3_lS4_PT9_S3_li.private_seg_size, 0
	.set _ZL37rocblas_syrkx_herkx_restricted_kernelIi19rocblas_complex_numIdELi16ELi32ELi8ELb1ELb0ELc67ELc76EKS1_S1_EviT_T0_PT8_S3_lS6_S3_lS4_PT9_S3_li.uses_vcc, 1
	.set _ZL37rocblas_syrkx_herkx_restricted_kernelIi19rocblas_complex_numIdELi16ELi32ELi8ELb1ELb0ELc67ELc76EKS1_S1_EviT_T0_PT8_S3_lS6_S3_lS4_PT9_S3_li.uses_flat_scratch, 0
	.set _ZL37rocblas_syrkx_herkx_restricted_kernelIi19rocblas_complex_numIdELi16ELi32ELi8ELb1ELb0ELc67ELc76EKS1_S1_EviT_T0_PT8_S3_lS6_S3_lS4_PT9_S3_li.has_dyn_sized_stack, 0
	.set _ZL37rocblas_syrkx_herkx_restricted_kernelIi19rocblas_complex_numIdELi16ELi32ELi8ELb1ELb0ELc67ELc76EKS1_S1_EviT_T0_PT8_S3_lS6_S3_lS4_PT9_S3_li.has_recursion, 0
	.set _ZL37rocblas_syrkx_herkx_restricted_kernelIi19rocblas_complex_numIdELi16ELi32ELi8ELb1ELb0ELc67ELc76EKS1_S1_EviT_T0_PT8_S3_lS6_S3_lS4_PT9_S3_li.has_indirect_call, 0
	.section	.AMDGPU.csdata,"",@progbits
; Kernel info:
; codeLenInByte = 2908
; TotalNumSgprs: 28
; NumVgprs: 52
; ScratchSize: 0
; MemoryBound: 0
; FloatMode: 240
; IeeeMode: 1
; LDSByteSize: 8192 bytes/workgroup (compile time only)
; SGPRBlocks: 8
; VGPRBlocks: 12
; NumSGPRsForWavesPerEU: 65
; NumVGPRsForWavesPerEU: 52
; Occupancy: 4
; WaveLimiterHint : 0
; COMPUTE_PGM_RSRC2:SCRATCH_EN: 0
; COMPUTE_PGM_RSRC2:USER_SGPR: 6
; COMPUTE_PGM_RSRC2:TRAP_HANDLER: 0
; COMPUTE_PGM_RSRC2:TGID_X_EN: 1
; COMPUTE_PGM_RSRC2:TGID_Y_EN: 1
; COMPUTE_PGM_RSRC2:TGID_Z_EN: 1
; COMPUTE_PGM_RSRC2:TIDIG_COMP_CNT: 1
	.section	.text._ZL37rocblas_syrkx_herkx_restricted_kernelIi19rocblas_complex_numIdELi16ELi32ELi8ELb1ELb0ELc78ELc76EKS1_S1_EviT_T0_PT8_S3_lS6_S3_lS4_PT9_S3_li,"axG",@progbits,_ZL37rocblas_syrkx_herkx_restricted_kernelIi19rocblas_complex_numIdELi16ELi32ELi8ELb1ELb0ELc78ELc76EKS1_S1_EviT_T0_PT8_S3_lS6_S3_lS4_PT9_S3_li,comdat
	.globl	_ZL37rocblas_syrkx_herkx_restricted_kernelIi19rocblas_complex_numIdELi16ELi32ELi8ELb1ELb0ELc78ELc76EKS1_S1_EviT_T0_PT8_S3_lS6_S3_lS4_PT9_S3_li ; -- Begin function _ZL37rocblas_syrkx_herkx_restricted_kernelIi19rocblas_complex_numIdELi16ELi32ELi8ELb1ELb0ELc78ELc76EKS1_S1_EviT_T0_PT8_S3_lS6_S3_lS4_PT9_S3_li
	.p2align	8
	.type	_ZL37rocblas_syrkx_herkx_restricted_kernelIi19rocblas_complex_numIdELi16ELi32ELi8ELb1ELb0ELc78ELc76EKS1_S1_EviT_T0_PT8_S3_lS6_S3_lS4_PT9_S3_li,@function
_ZL37rocblas_syrkx_herkx_restricted_kernelIi19rocblas_complex_numIdELi16ELi32ELi8ELb1ELb0ELc78ELc76EKS1_S1_EviT_T0_PT8_S3_lS6_S3_lS4_PT9_S3_li: ; @_ZL37rocblas_syrkx_herkx_restricted_kernelIi19rocblas_complex_numIdELi16ELi32ELi8ELb1ELb0ELc78ELc76EKS1_S1_EviT_T0_PT8_S3_lS6_S3_lS4_PT9_S3_li
; %bb.0:
	s_load_dwordx2 s[10:11], s[4:5], 0x0
	s_load_dwordx4 s[12:15], s[4:5], 0x8
	s_load_dwordx2 s[16:17], s[4:5], 0x18
	s_lshl_b32 s6, s6, 5
	s_lshl_b32 s7, s7, 5
	s_waitcnt lgkmcnt(0)
	s_cmp_lt_i32 s11, 1
	s_mov_b32 s9, 0
	s_cbranch_scc1 .LBB259_3
; %bb.1:
	v_lshl_add_u32 v2, v1, 4, v0
	s_load_dword s18, s[4:5], 0x20
	s_load_dword s20, s[4:5], 0x38
	s_load_dwordx2 s[22:23], s[4:5], 0x40
	s_load_dwordx4 s[0:3], s[4:5], 0x28
	v_lshrrev_b32_e32 v6, 3, v2
	v_lshrrev_b32_e32 v7, 5, v2
	v_and_b32_e32 v9, 31, v2
	v_add_u32_e32 v2, s7, v6
	v_and_b32_e32 v8, 7, v0
	v_ashrrev_i32_e32 v3, 31, v2
	s_waitcnt lgkmcnt(0)
	v_mad_i64_i32 v[4:5], s[24:25], s20, v8, v[2:3]
	v_lshlrev_b32_e32 v2, 4, v9
	v_lshl_or_b32 v22, v7, 9, v2
	v_lshlrev_b32_e32 v2, 4, v8
	v_lshl_or_b32 v2, v6, 7, v2
	v_add_u32_e32 v23, 0x1000, v2
	v_mov_b32_e32 v2, 0x1000
	v_lshl_add_u32 v25, v1, 7, v2
	v_add_u32_e32 v2, s6, v9
	v_ashrrev_i32_e32 v3, 31, v2
	v_mad_i64_i32 v[2:3], s[24:25], s18, v7, v[2:3]
	s_mul_i32 s1, s1, s8
	s_mul_hi_u32 s26, s0, s8
	s_add_i32 s1, s26, s1
	s_mul_i32 s0, s0, s8
	s_ashr_i32 s19, s18, 31
	s_ashr_i32 s21, s20, 31
	s_lshl_b64 s[0:1], s[0:1], 4
	v_lshlrev_b64 v[2:3], 4, v[2:3]
	s_add_u32 s0, s16, s0
	s_addc_u32 s1, s17, s1
	s_mul_i32 s16, s23, s8
	s_mul_hi_u32 s17, s22, s8
	v_mov_b32_e32 v6, s1
	v_add_co_u32_e32 v2, vcc, s0, v2
	s_add_i32 s17, s17, s16
	s_mul_i32 s16, s22, s8
	v_addc_co_u32_e32 v3, vcc, v6, v3, vcc
	s_lshl_b64 s[0:1], s[18:19], 7
	s_lshl_b64 s[16:17], s[16:17], 4
	v_add_co_u32_e32 v2, vcc, 8, v2
	v_lshlrev_b64 v[4:5], 4, v[4:5]
	s_add_u32 s2, s2, s16
	v_addc_co_u32_e32 v3, vcc, 0, v3, vcc
	s_addc_u32 s3, s3, s17
	v_mov_b32_e32 v6, s3
	v_add_co_u32_e32 v4, vcc, s2, v4
	v_addc_co_u32_e32 v5, vcc, v6, v5, vcc
	v_add_co_u32_e32 v4, vcc, 8, v4
	s_lshl_b64 s[2:3], s[20:21], 7
	v_mov_b32_e32 v10, 0
	v_mov_b32_e32 v12, 0
	;; [unrolled: 1-line block ×8, first 2 shown]
	v_lshlrev_b32_e32 v24, 4, v0
	v_addc_co_u32_e32 v5, vcc, 0, v5, vcc
	v_mov_b32_e32 v11, 0
	v_mov_b32_e32 v26, s1
	;; [unrolled: 1-line block ×10, first 2 shown]
.LBB259_2:                              ; =>This Inner Loop Header: Depth=1
	global_load_dwordx4 v[28:31], v[2:3], off offset:-8
	v_add_co_u32_e32 v2, vcc, s0, v2
	v_addc_co_u32_e32 v3, vcc, v3, v26, vcc
	s_add_i32 s9, s9, 8
	s_cmp_ge_i32 s9, s11
	s_waitcnt vmcnt(0)
	ds_write_b128 v22, v[28:31]
	global_load_dwordx4 v[28:31], v[4:5], off offset:-8
	v_add_co_u32_e32 v4, vcc, s2, v4
	v_addc_co_u32_e32 v5, vcc, v5, v27, vcc
	s_waitcnt vmcnt(0)
	ds_write_b128 v23, v[28:31]
	s_waitcnt lgkmcnt(0)
	s_barrier
	ds_read_b128 v[28:31], v25
	ds_read_b128 v[32:35], v25 offset:16
	ds_read_b128 v[36:39], v25 offset:32
	;; [unrolled: 1-line block ×3, first 2 shown]
	ds_read_b128 v[44:47], v24
	s_waitcnt lgkmcnt(0)
	v_mul_f64 v[48:49], v[30:31], v[46:47]
	v_mul_f64 v[50:51], v[28:29], v[46:47]
	v_fma_f64 v[48:49], v[28:29], v[44:45], -v[48:49]
	v_fma_f64 v[50:51], v[30:31], v[44:45], v[50:51]
	v_add_f64 v[48:49], v[18:19], v[48:49]
	v_add_f64 v[50:51], v[50:51], v[20:21]
	ds_read_b128 v[18:21], v24 offset:256
	s_waitcnt lgkmcnt(0)
	v_mul_f64 v[52:53], v[30:31], v[20:21]
	v_fma_f64 v[52:53], v[28:29], v[18:19], -v[52:53]
	v_mul_f64 v[28:29], v[28:29], v[20:21]
	v_fma_f64 v[28:29], v[30:31], v[18:19], v[28:29]
	v_add_f64 v[30:31], v[6:7], v[52:53]
	v_add_f64 v[28:29], v[28:29], v[8:9]
	ds_read_b128 v[6:9], v25 offset:2048
	s_waitcnt lgkmcnt(0)
	v_mul_f64 v[52:53], v[8:9], v[46:47]
	v_mul_f64 v[46:47], v[6:7], v[46:47]
	v_fma_f64 v[52:53], v[6:7], v[44:45], -v[52:53]
	v_fma_f64 v[44:45], v[8:9], v[44:45], v[46:47]
	v_add_f64 v[46:47], v[14:15], v[52:53]
	v_mul_f64 v[14:15], v[8:9], v[20:21]
	v_add_f64 v[44:45], v[44:45], v[16:17]
	v_fma_f64 v[14:15], v[6:7], v[18:19], -v[14:15]
	v_mul_f64 v[6:7], v[6:7], v[20:21]
	v_fma_f64 v[6:7], v[8:9], v[18:19], v[6:7]
	v_add_f64 v[18:19], v[12:13], v[14:15]
	v_add_f64 v[20:21], v[6:7], v[10:11]
	ds_read_b128 v[6:9], v24 offset:512
	s_waitcnt lgkmcnt(0)
	v_mul_f64 v[10:11], v[34:35], v[8:9]
	v_mul_f64 v[12:13], v[32:33], v[8:9]
	v_fma_f64 v[10:11], v[32:33], v[6:7], -v[10:11]
	v_fma_f64 v[12:13], v[34:35], v[6:7], v[12:13]
	v_add_f64 v[48:49], v[48:49], v[10:11]
	v_add_f64 v[50:51], v[12:13], v[50:51]
	ds_read_b128 v[10:13], v24 offset:768
	s_waitcnt lgkmcnt(0)
	v_mul_f64 v[14:15], v[34:35], v[12:13]
	v_mul_f64 v[16:17], v[32:33], v[12:13]
	v_fma_f64 v[14:15], v[32:33], v[10:11], -v[14:15]
	;; [unrolled: 8-line block ×3, first 2 shown]
	v_fma_f64 v[6:7], v[16:17], v[6:7], v[8:9]
	v_mul_f64 v[8:9], v[14:15], v[12:13]
	v_add_f64 v[32:33], v[46:47], v[32:33]
	v_add_f64 v[34:35], v[6:7], v[44:45]
	v_mul_f64 v[6:7], v[16:17], v[12:13]
	v_fma_f64 v[8:9], v[16:17], v[10:11], v[8:9]
	v_fma_f64 v[6:7], v[14:15], v[10:11], -v[6:7]
	v_add_f64 v[20:21], v[8:9], v[20:21]
	v_add_f64 v[18:19], v[18:19], v[6:7]
	ds_read_b128 v[6:9], v24 offset:1024
	s_waitcnt lgkmcnt(0)
	v_mul_f64 v[10:11], v[38:39], v[8:9]
	v_mul_f64 v[12:13], v[36:37], v[8:9]
	v_fma_f64 v[10:11], v[36:37], v[6:7], -v[10:11]
	v_fma_f64 v[12:13], v[38:39], v[6:7], v[12:13]
	v_add_f64 v[44:45], v[48:49], v[10:11]
	v_add_f64 v[46:47], v[12:13], v[50:51]
	ds_read_b128 v[10:13], v24 offset:1280
	s_waitcnt lgkmcnt(0)
	v_mul_f64 v[14:15], v[38:39], v[12:13]
	v_mul_f64 v[16:17], v[36:37], v[12:13]
	v_fma_f64 v[14:15], v[36:37], v[10:11], -v[14:15]
	v_fma_f64 v[16:17], v[38:39], v[10:11], v[16:17]
	;; [unrolled: 8-line block ×3, first 2 shown]
	v_mul_f64 v[8:9], v[14:15], v[12:13]
	v_add_f64 v[32:33], v[32:33], v[36:37]
	v_add_f64 v[34:35], v[6:7], v[34:35]
	v_mul_f64 v[6:7], v[16:17], v[12:13]
	v_fma_f64 v[8:9], v[16:17], v[10:11], v[8:9]
	v_fma_f64 v[6:7], v[14:15], v[10:11], -v[6:7]
	v_add_f64 v[20:21], v[8:9], v[20:21]
	v_add_f64 v[18:19], v[18:19], v[6:7]
	ds_read_b128 v[6:9], v24 offset:1536
	s_waitcnt lgkmcnt(0)
	v_mul_f64 v[10:11], v[42:43], v[8:9]
	v_mul_f64 v[12:13], v[40:41], v[8:9]
	v_fma_f64 v[10:11], v[40:41], v[6:7], -v[10:11]
	v_fma_f64 v[12:13], v[42:43], v[6:7], v[12:13]
	v_add_f64 v[36:37], v[44:45], v[10:11]
	v_add_f64 v[38:39], v[12:13], v[46:47]
	ds_read_b128 v[10:13], v24 offset:1792
	s_waitcnt lgkmcnt(0)
	v_mul_f64 v[14:15], v[42:43], v[12:13]
	v_mul_f64 v[16:17], v[40:41], v[12:13]
	v_fma_f64 v[14:15], v[40:41], v[10:11], -v[14:15]
	v_fma_f64 v[16:17], v[42:43], v[10:11], v[16:17]
	;; [unrolled: 8-line block ×3, first 2 shown]
	v_mul_f64 v[8:9], v[14:15], v[12:13]
	v_add_f64 v[32:33], v[32:33], v[40:41]
	v_add_f64 v[34:35], v[6:7], v[34:35]
	v_mul_f64 v[6:7], v[16:17], v[12:13]
	v_fma_f64 v[8:9], v[16:17], v[10:11], v[8:9]
	v_fma_f64 v[6:7], v[14:15], v[10:11], -v[6:7]
	v_add_f64 v[20:21], v[8:9], v[20:21]
	v_add_f64 v[18:19], v[18:19], v[6:7]
	ds_read_b128 v[6:9], v25 offset:64
	ds_read_b128 v[10:13], v24 offset:2048
	s_waitcnt lgkmcnt(0)
	v_mul_f64 v[14:15], v[8:9], v[12:13]
	v_mul_f64 v[16:17], v[6:7], v[12:13]
	v_fma_f64 v[14:15], v[6:7], v[10:11], -v[14:15]
	v_fma_f64 v[16:17], v[8:9], v[10:11], v[16:17]
	v_add_f64 v[36:37], v[36:37], v[14:15]
	v_add_f64 v[38:39], v[16:17], v[38:39]
	ds_read_b128 v[14:17], v24 offset:2304
	s_waitcnt lgkmcnt(0)
	v_mul_f64 v[40:41], v[8:9], v[16:17]
	v_fma_f64 v[40:41], v[6:7], v[14:15], -v[40:41]
	v_mul_f64 v[6:7], v[6:7], v[16:17]
	v_add_f64 v[30:31], v[30:31], v[40:41]
	v_fma_f64 v[6:7], v[8:9], v[14:15], v[6:7]
	v_add_f64 v[28:29], v[6:7], v[28:29]
	ds_read_b128 v[6:9], v25 offset:2112
	s_waitcnt lgkmcnt(0)
	v_mul_f64 v[40:41], v[8:9], v[12:13]
	v_mul_f64 v[12:13], v[6:7], v[12:13]
	v_fma_f64 v[40:41], v[6:7], v[10:11], -v[40:41]
	v_fma_f64 v[10:11], v[8:9], v[10:11], v[12:13]
	v_add_f64 v[32:33], v[32:33], v[40:41]
	v_add_f64 v[34:35], v[10:11], v[34:35]
	v_mul_f64 v[10:11], v[8:9], v[16:17]
	v_fma_f64 v[10:11], v[6:7], v[14:15], -v[10:11]
	v_mul_f64 v[6:7], v[6:7], v[16:17]
	v_add_f64 v[18:19], v[18:19], v[10:11]
	v_fma_f64 v[6:7], v[8:9], v[14:15], v[6:7]
	v_add_f64 v[20:21], v[6:7], v[20:21]
	ds_read_b128 v[6:9], v25 offset:80
	ds_read_b128 v[10:13], v24 offset:2560
	s_waitcnt lgkmcnt(0)
	v_mul_f64 v[14:15], v[8:9], v[12:13]
	v_mul_f64 v[16:17], v[6:7], v[12:13]
	v_fma_f64 v[14:15], v[6:7], v[10:11], -v[14:15]
	v_fma_f64 v[16:17], v[8:9], v[10:11], v[16:17]
	v_add_f64 v[36:37], v[36:37], v[14:15]
	v_add_f64 v[38:39], v[16:17], v[38:39]
	ds_read_b128 v[14:17], v24 offset:2816
	s_waitcnt lgkmcnt(0)
	v_mul_f64 v[40:41], v[8:9], v[16:17]
	v_fma_f64 v[40:41], v[6:7], v[14:15], -v[40:41]
	v_mul_f64 v[6:7], v[6:7], v[16:17]
	v_add_f64 v[30:31], v[30:31], v[40:41]
	v_fma_f64 v[6:7], v[8:9], v[14:15], v[6:7]
	v_add_f64 v[28:29], v[6:7], v[28:29]
	ds_read_b128 v[6:9], v25 offset:2128
	s_waitcnt lgkmcnt(0)
	v_mul_f64 v[40:41], v[8:9], v[12:13]
	v_mul_f64 v[12:13], v[6:7], v[12:13]
	v_fma_f64 v[40:41], v[6:7], v[10:11], -v[40:41]
	v_fma_f64 v[10:11], v[8:9], v[10:11], v[12:13]
	v_add_f64 v[32:33], v[32:33], v[40:41]
	v_add_f64 v[34:35], v[10:11], v[34:35]
	v_mul_f64 v[10:11], v[8:9], v[16:17]
	v_fma_f64 v[10:11], v[6:7], v[14:15], -v[10:11]
	v_mul_f64 v[6:7], v[6:7], v[16:17]
	v_add_f64 v[18:19], v[18:19], v[10:11]
	v_fma_f64 v[6:7], v[8:9], v[14:15], v[6:7]
	v_add_f64 v[20:21], v[6:7], v[20:21]
	ds_read_b128 v[6:9], v25 offset:96
	ds_read_b128 v[10:13], v24 offset:3072
	s_waitcnt lgkmcnt(0)
	v_mul_f64 v[14:15], v[8:9], v[12:13]
	v_mul_f64 v[16:17], v[6:7], v[12:13]
	v_fma_f64 v[14:15], v[6:7], v[10:11], -v[14:15]
	v_fma_f64 v[16:17], v[8:9], v[10:11], v[16:17]
	v_add_f64 v[36:37], v[36:37], v[14:15]
	v_add_f64 v[38:39], v[16:17], v[38:39]
	ds_read_b128 v[14:17], v24 offset:3328
	s_waitcnt lgkmcnt(0)
	v_mul_f64 v[40:41], v[8:9], v[16:17]
	v_fma_f64 v[40:41], v[6:7], v[14:15], -v[40:41]
	v_mul_f64 v[6:7], v[6:7], v[16:17]
	v_add_f64 v[40:41], v[30:31], v[40:41]
	v_fma_f64 v[6:7], v[8:9], v[14:15], v[6:7]
	v_add_f64 v[42:43], v[6:7], v[28:29]
	ds_read_b128 v[6:9], v25 offset:2144
	s_waitcnt lgkmcnt(0)
	v_mul_f64 v[28:29], v[8:9], v[12:13]
	v_mul_f64 v[12:13], v[6:7], v[12:13]
	v_fma_f64 v[28:29], v[6:7], v[10:11], -v[28:29]
	v_fma_f64 v[10:11], v[8:9], v[10:11], v[12:13]
	v_add_f64 v[44:45], v[32:33], v[28:29]
	v_add_f64 v[46:47], v[10:11], v[34:35]
	v_mul_f64 v[10:11], v[8:9], v[16:17]
	v_fma_f64 v[10:11], v[6:7], v[14:15], -v[10:11]
	v_mul_f64 v[6:7], v[6:7], v[16:17]
	v_add_f64 v[48:49], v[18:19], v[10:11]
	v_fma_f64 v[6:7], v[8:9], v[14:15], v[6:7]
	v_add_f64 v[50:51], v[6:7], v[20:21]
	ds_read_b128 v[6:9], v25 offset:112
	ds_read_b128 v[10:13], v24 offset:3584
	;; [unrolled: 1-line block ×4, first 2 shown]
	s_waitcnt lgkmcnt(0)
	s_barrier
	v_mul_f64 v[14:15], v[8:9], v[12:13]
	v_mul_f64 v[16:17], v[6:7], v[12:13]
	v_fma_f64 v[14:15], v[6:7], v[10:11], -v[14:15]
	v_fma_f64 v[16:17], v[8:9], v[10:11], v[16:17]
	v_add_f64 v[18:19], v[36:37], v[14:15]
	v_mul_f64 v[14:15], v[8:9], v[30:31]
	v_add_f64 v[20:21], v[16:17], v[38:39]
	v_fma_f64 v[14:15], v[6:7], v[28:29], -v[14:15]
	v_mul_f64 v[6:7], v[6:7], v[30:31]
	v_fma_f64 v[8:9], v[8:9], v[28:29], v[6:7]
	v_add_f64 v[6:7], v[40:41], v[14:15]
	v_mul_f64 v[14:15], v[34:35], v[12:13]
	v_mul_f64 v[12:13], v[32:33], v[12:13]
	v_add_f64 v[8:9], v[8:9], v[42:43]
	v_fma_f64 v[14:15], v[32:33], v[10:11], -v[14:15]
	v_fma_f64 v[10:11], v[34:35], v[10:11], v[12:13]
	v_mul_f64 v[12:13], v[32:33], v[30:31]
	v_add_f64 v[14:15], v[44:45], v[14:15]
	v_add_f64 v[16:17], v[10:11], v[46:47]
	v_mul_f64 v[10:11], v[34:35], v[30:31]
	v_fma_f64 v[10:11], v[32:33], v[28:29], -v[10:11]
	v_fma_f64 v[28:29], v[34:35], v[28:29], v[12:13]
	v_add_f64 v[12:13], v[48:49], v[10:11]
	v_add_f64 v[10:11], v[28:29], v[50:51]
	s_cbranch_scc0 .LBB259_2
	s_branch .LBB259_4
.LBB259_3:
	v_mov_b32_e32 v18, 0
	v_mov_b32_e32 v20, 0
	;; [unrolled: 1-line block ×16, first 2 shown]
.LBB259_4:
	s_load_dwordx2 s[0:1], s[4:5], 0x68
	s_load_dwordx2 s[2:3], s[4:5], 0x58
	s_load_dword s9, s[4:5], 0x60
	v_add_u32_e32 v4, s7, v1
	v_add_u32_e32 v0, s6, v0
	s_waitcnt lgkmcnt(0)
	s_mul_i32 s1, s1, s8
	s_mul_hi_u32 s4, s0, s8
	s_add_i32 s1, s4, s1
	v_mad_i64_i32 v[1:2], s[4:5], v4, s9, 0
	s_mul_i32 s0, s0, s8
	s_lshl_b64 s[0:1], s[0:1], 4
	s_add_u32 s7, s2, s0
	v_lshlrev_b64 v[1:2], 4, v[1:2]
	s_addc_u32 s8, s3, s1
	v_mov_b32_e32 v3, s8
	v_add_co_u32_e32 v5, vcc, s7, v1
	v_addc_co_u32_e32 v22, vcc, v3, v2, vcc
	v_cmp_le_i32_e64 s[0:1], v4, v0
	v_cmp_gt_i32_e32 vcc, s10, v0
	s_and_b64 s[0:1], s[0:1], vcc
	s_and_saveexec_b64 s[2:3], s[0:1]
	s_cbranch_execz .LBB259_6
; %bb.5:
	v_mul_f64 v[1:2], s[14:15], v[20:21]
	v_mul_f64 v[20:21], s[12:13], v[20:21]
	v_fma_f64 v[23:24], s[12:13], v[18:19], -v[1:2]
	v_fma_f64 v[25:26], s[14:15], v[18:19], v[20:21]
	v_ashrrev_i32_e32 v1, 31, v0
	v_lshlrev_b64 v[1:2], 4, v[0:1]
	v_add_co_u32_e64 v1, s[0:1], v5, v1
	v_addc_co_u32_e64 v2, s[0:1], v22, v2, s[0:1]
	global_store_dwordx4 v[1:2], v[23:26], off
.LBB259_6:
	s_or_b64 exec, exec, s[2:3]
	v_add_u32_e32 v2, 16, v0
	v_cmp_le_i32_e64 s[2:3], v4, v2
	v_cmp_gt_i32_e64 s[0:1], s10, v2
	s_and_b64 s[2:3], s[2:3], s[0:1]
	s_and_saveexec_b64 s[4:5], s[2:3]
	s_cbranch_execz .LBB259_8
; %bb.7:
	v_mul_f64 v[18:19], s[14:15], v[8:9]
	v_mul_f64 v[8:9], s[12:13], v[8:9]
	v_ashrrev_i32_e32 v3, 31, v2
	v_fma_f64 v[18:19], s[12:13], v[6:7], -v[18:19]
	v_fma_f64 v[20:21], s[14:15], v[6:7], v[8:9]
	v_lshlrev_b64 v[6:7], 4, v[2:3]
	v_add_co_u32_e64 v5, s[2:3], v5, v6
	v_addc_co_u32_e64 v6, s[2:3], v22, v7, s[2:3]
	global_store_dwordx4 v[5:6], v[18:21], off
.LBB259_8:
	s_or_b64 exec, exec, s[4:5]
	v_add_u32_e32 v3, 16, v4
	v_mad_i64_i32 v[4:5], s[2:3], v3, s9, 0
	v_mov_b32_e32 v1, s8
	v_lshlrev_b64 v[4:5], 4, v[4:5]
	v_add_co_u32_e64 v4, s[2:3], s7, v4
	v_addc_co_u32_e64 v5, s[2:3], v1, v5, s[2:3]
	v_cmp_le_i32_e64 s[2:3], v3, v0
	s_and_b64 s[4:5], s[2:3], vcc
	s_and_saveexec_b64 s[2:3], s[4:5]
	s_cbranch_execz .LBB259_10
; %bb.9:
	v_mul_f64 v[6:7], s[14:15], v[16:17]
	v_mul_f64 v[8:9], s[12:13], v[16:17]
	v_ashrrev_i32_e32 v1, 31, v0
	v_lshlrev_b64 v[0:1], 4, v[0:1]
	v_add_co_u32_e32 v0, vcc, v4, v0
	v_addc_co_u32_e32 v1, vcc, v5, v1, vcc
	v_fma_f64 v[6:7], s[12:13], v[14:15], -v[6:7]
	v_fma_f64 v[8:9], s[14:15], v[14:15], v[8:9]
	global_store_dwordx4 v[0:1], v[6:9], off
.LBB259_10:
	s_or_b64 exec, exec, s[2:3]
	v_cmp_le_i32_e32 vcc, v3, v2
	s_and_b64 s[0:1], vcc, s[0:1]
	s_and_saveexec_b64 s[2:3], s[0:1]
	s_cbranch_execz .LBB259_12
; %bb.11:
	v_mul_f64 v[0:1], s[14:15], v[10:11]
	v_mul_f64 v[8:9], s[12:13], v[10:11]
	v_ashrrev_i32_e32 v3, 31, v2
	v_fma_f64 v[6:7], s[12:13], v[12:13], -v[0:1]
	v_fma_f64 v[8:9], s[14:15], v[12:13], v[8:9]
	v_lshlrev_b64 v[0:1], 4, v[2:3]
	v_add_co_u32_e32 v0, vcc, v4, v0
	v_addc_co_u32_e32 v1, vcc, v5, v1, vcc
	global_store_dwordx4 v[0:1], v[6:9], off
.LBB259_12:
	s_endpgm
	.section	.rodata,"a",@progbits
	.p2align	6, 0x0
	.amdhsa_kernel _ZL37rocblas_syrkx_herkx_restricted_kernelIi19rocblas_complex_numIdELi16ELi32ELi8ELb1ELb0ELc78ELc76EKS1_S1_EviT_T0_PT8_S3_lS6_S3_lS4_PT9_S3_li
		.amdhsa_group_segment_fixed_size 8192
		.amdhsa_private_segment_fixed_size 0
		.amdhsa_kernarg_size 116
		.amdhsa_user_sgpr_count 6
		.amdhsa_user_sgpr_private_segment_buffer 1
		.amdhsa_user_sgpr_dispatch_ptr 0
		.amdhsa_user_sgpr_queue_ptr 0
		.amdhsa_user_sgpr_kernarg_segment_ptr 1
		.amdhsa_user_sgpr_dispatch_id 0
		.amdhsa_user_sgpr_flat_scratch_init 0
		.amdhsa_user_sgpr_private_segment_size 0
		.amdhsa_uses_dynamic_stack 0
		.amdhsa_system_sgpr_private_segment_wavefront_offset 0
		.amdhsa_system_sgpr_workgroup_id_x 1
		.amdhsa_system_sgpr_workgroup_id_y 1
		.amdhsa_system_sgpr_workgroup_id_z 1
		.amdhsa_system_sgpr_workgroup_info 0
		.amdhsa_system_vgpr_workitem_id 1
		.amdhsa_next_free_vgpr 54
		.amdhsa_next_free_sgpr 61
		.amdhsa_reserve_vcc 1
		.amdhsa_reserve_flat_scratch 0
		.amdhsa_float_round_mode_32 0
		.amdhsa_float_round_mode_16_64 0
		.amdhsa_float_denorm_mode_32 3
		.amdhsa_float_denorm_mode_16_64 3
		.amdhsa_dx10_clamp 1
		.amdhsa_ieee_mode 1
		.amdhsa_fp16_overflow 0
		.amdhsa_exception_fp_ieee_invalid_op 0
		.amdhsa_exception_fp_denorm_src 0
		.amdhsa_exception_fp_ieee_div_zero 0
		.amdhsa_exception_fp_ieee_overflow 0
		.amdhsa_exception_fp_ieee_underflow 0
		.amdhsa_exception_fp_ieee_inexact 0
		.amdhsa_exception_int_div_zero 0
	.end_amdhsa_kernel
	.section	.text._ZL37rocblas_syrkx_herkx_restricted_kernelIi19rocblas_complex_numIdELi16ELi32ELi8ELb1ELb0ELc78ELc76EKS1_S1_EviT_T0_PT8_S3_lS6_S3_lS4_PT9_S3_li,"axG",@progbits,_ZL37rocblas_syrkx_herkx_restricted_kernelIi19rocblas_complex_numIdELi16ELi32ELi8ELb1ELb0ELc78ELc76EKS1_S1_EviT_T0_PT8_S3_lS6_S3_lS4_PT9_S3_li,comdat
.Lfunc_end259:
	.size	_ZL37rocblas_syrkx_herkx_restricted_kernelIi19rocblas_complex_numIdELi16ELi32ELi8ELb1ELb0ELc78ELc76EKS1_S1_EviT_T0_PT8_S3_lS6_S3_lS4_PT9_S3_li, .Lfunc_end259-_ZL37rocblas_syrkx_herkx_restricted_kernelIi19rocblas_complex_numIdELi16ELi32ELi8ELb1ELb0ELc78ELc76EKS1_S1_EviT_T0_PT8_S3_lS6_S3_lS4_PT9_S3_li
                                        ; -- End function
	.set _ZL37rocblas_syrkx_herkx_restricted_kernelIi19rocblas_complex_numIdELi16ELi32ELi8ELb1ELb0ELc78ELc76EKS1_S1_EviT_T0_PT8_S3_lS6_S3_lS4_PT9_S3_li.num_vgpr, 54
	.set _ZL37rocblas_syrkx_herkx_restricted_kernelIi19rocblas_complex_numIdELi16ELi32ELi8ELb1ELb0ELc78ELc76EKS1_S1_EviT_T0_PT8_S3_lS6_S3_lS4_PT9_S3_li.num_agpr, 0
	.set _ZL37rocblas_syrkx_herkx_restricted_kernelIi19rocblas_complex_numIdELi16ELi32ELi8ELb1ELb0ELc78ELc76EKS1_S1_EviT_T0_PT8_S3_lS6_S3_lS4_PT9_S3_li.numbered_sgpr, 27
	.set _ZL37rocblas_syrkx_herkx_restricted_kernelIi19rocblas_complex_numIdELi16ELi32ELi8ELb1ELb0ELc78ELc76EKS1_S1_EviT_T0_PT8_S3_lS6_S3_lS4_PT9_S3_li.num_named_barrier, 0
	.set _ZL37rocblas_syrkx_herkx_restricted_kernelIi19rocblas_complex_numIdELi16ELi32ELi8ELb1ELb0ELc78ELc76EKS1_S1_EviT_T0_PT8_S3_lS6_S3_lS4_PT9_S3_li.private_seg_size, 0
	.set _ZL37rocblas_syrkx_herkx_restricted_kernelIi19rocblas_complex_numIdELi16ELi32ELi8ELb1ELb0ELc78ELc76EKS1_S1_EviT_T0_PT8_S3_lS6_S3_lS4_PT9_S3_li.uses_vcc, 1
	.set _ZL37rocblas_syrkx_herkx_restricted_kernelIi19rocblas_complex_numIdELi16ELi32ELi8ELb1ELb0ELc78ELc76EKS1_S1_EviT_T0_PT8_S3_lS6_S3_lS4_PT9_S3_li.uses_flat_scratch, 0
	.set _ZL37rocblas_syrkx_herkx_restricted_kernelIi19rocblas_complex_numIdELi16ELi32ELi8ELb1ELb0ELc78ELc76EKS1_S1_EviT_T0_PT8_S3_lS6_S3_lS4_PT9_S3_li.has_dyn_sized_stack, 0
	.set _ZL37rocblas_syrkx_herkx_restricted_kernelIi19rocblas_complex_numIdELi16ELi32ELi8ELb1ELb0ELc78ELc76EKS1_S1_EviT_T0_PT8_S3_lS6_S3_lS4_PT9_S3_li.has_recursion, 0
	.set _ZL37rocblas_syrkx_herkx_restricted_kernelIi19rocblas_complex_numIdELi16ELi32ELi8ELb1ELb0ELc78ELc76EKS1_S1_EviT_T0_PT8_S3_lS6_S3_lS4_PT9_S3_li.has_indirect_call, 0
	.section	.AMDGPU.csdata,"",@progbits
; Kernel info:
; codeLenInByte = 2916
; TotalNumSgprs: 31
; NumVgprs: 54
; ScratchSize: 0
; MemoryBound: 0
; FloatMode: 240
; IeeeMode: 1
; LDSByteSize: 8192 bytes/workgroup (compile time only)
; SGPRBlocks: 8
; VGPRBlocks: 13
; NumSGPRsForWavesPerEU: 65
; NumVGPRsForWavesPerEU: 54
; Occupancy: 4
; WaveLimiterHint : 0
; COMPUTE_PGM_RSRC2:SCRATCH_EN: 0
; COMPUTE_PGM_RSRC2:USER_SGPR: 6
; COMPUTE_PGM_RSRC2:TRAP_HANDLER: 0
; COMPUTE_PGM_RSRC2:TGID_X_EN: 1
; COMPUTE_PGM_RSRC2:TGID_Y_EN: 1
; COMPUTE_PGM_RSRC2:TGID_Z_EN: 1
; COMPUTE_PGM_RSRC2:TIDIG_COMP_CNT: 1
	.section	.text._ZL37rocblas_syrkx_herkx_restricted_kernelIi19rocblas_complex_numIdELi16ELi32ELi8ELb1ELb0ELc84ELc85EKS1_S1_EviT_T0_PT8_S3_lS6_S3_lS4_PT9_S3_li,"axG",@progbits,_ZL37rocblas_syrkx_herkx_restricted_kernelIi19rocblas_complex_numIdELi16ELi32ELi8ELb1ELb0ELc84ELc85EKS1_S1_EviT_T0_PT8_S3_lS6_S3_lS4_PT9_S3_li,comdat
	.globl	_ZL37rocblas_syrkx_herkx_restricted_kernelIi19rocblas_complex_numIdELi16ELi32ELi8ELb1ELb0ELc84ELc85EKS1_S1_EviT_T0_PT8_S3_lS6_S3_lS4_PT9_S3_li ; -- Begin function _ZL37rocblas_syrkx_herkx_restricted_kernelIi19rocblas_complex_numIdELi16ELi32ELi8ELb1ELb0ELc84ELc85EKS1_S1_EviT_T0_PT8_S3_lS6_S3_lS4_PT9_S3_li
	.p2align	8
	.type	_ZL37rocblas_syrkx_herkx_restricted_kernelIi19rocblas_complex_numIdELi16ELi32ELi8ELb1ELb0ELc84ELc85EKS1_S1_EviT_T0_PT8_S3_lS6_S3_lS4_PT9_S3_li,@function
_ZL37rocblas_syrkx_herkx_restricted_kernelIi19rocblas_complex_numIdELi16ELi32ELi8ELb1ELb0ELc84ELc85EKS1_S1_EviT_T0_PT8_S3_lS6_S3_lS4_PT9_S3_li: ; @_ZL37rocblas_syrkx_herkx_restricted_kernelIi19rocblas_complex_numIdELi16ELi32ELi8ELb1ELb0ELc84ELc85EKS1_S1_EviT_T0_PT8_S3_lS6_S3_lS4_PT9_S3_li
; %bb.0:
	s_load_dwordx2 s[10:11], s[4:5], 0x0
	s_load_dwordx4 s[12:15], s[4:5], 0x8
	s_load_dwordx2 s[16:17], s[4:5], 0x18
	s_lshl_b32 s6, s6, 5
	s_lshl_b32 s7, s7, 5
	s_waitcnt lgkmcnt(0)
	s_cmp_lt_i32 s11, 1
	s_mov_b32 s9, 0
	s_cbranch_scc1 .LBB260_3
; %bb.1:
	s_load_dword s22, s[4:5], 0x20
	s_load_dwordx4 s[0:3], s[4:5], 0x28
	s_load_dword s20, s[4:5], 0x38
	s_load_dwordx2 s[18:19], s[4:5], 0x40
	v_lshl_add_u32 v3, v1, 4, v0
	v_lshrrev_b32_e32 v8, 3, v3
	v_lshrrev_b32_e32 v2, 5, v3
	v_and_b32_e32 v4, 7, v0
	v_and_b32_e32 v9, 31, v3
	v_add_u32_e32 v3, s7, v8
	v_mov_b32_e32 v5, 0
	s_waitcnt lgkmcnt(0)
	v_mad_i64_i32 v[6:7], s[20:21], s20, v3, v[4:5]
	v_lshlrev_b32_e32 v4, 4, v4
	v_lshl_or_b32 v4, v8, 7, v4
	v_add_u32_e32 v23, 0x1000, v4
	v_mov_b32_e32 v4, 0x1000
	v_mov_b32_e32 v3, v5
	v_lshlrev_b32_e32 v5, 4, v9
	v_lshl_add_u32 v25, v1, 7, v4
	v_add_u32_e32 v4, s6, v9
	v_lshl_or_b32 v22, v2, 9, v5
	v_mad_i64_i32 v[2:3], s[20:21], s22, v4, v[2:3]
	s_mul_i32 s1, s1, s8
	s_mul_hi_u32 s23, s0, s8
	s_add_i32 s1, s23, s1
	s_mul_i32 s0, s0, s8
	s_lshl_b64 s[0:1], s[0:1], 4
	v_lshlrev_b64 v[2:3], 4, v[2:3]
	s_add_u32 s0, s16, s0
	s_addc_u32 s1, s17, s1
	v_mov_b32_e32 v4, s1
	v_add_co_u32_e32 v2, vcc, s0, v2
	s_mul_i32 s0, s19, s8
	s_mul_hi_u32 s1, s18, s8
	s_add_i32 s1, s1, s0
	s_mul_i32 s0, s18, s8
	v_addc_co_u32_e32 v3, vcc, v4, v3, vcc
	s_lshl_b64 s[0:1], s[0:1], 4
	v_add_co_u32_e32 v2, vcc, 8, v2
	v_lshlrev_b64 v[4:5], 4, v[6:7]
	s_add_u32 s0, s2, s0
	v_addc_co_u32_e32 v3, vcc, 0, v3, vcc
	s_addc_u32 s1, s3, s1
	v_mov_b32_e32 v6, s1
	v_add_co_u32_e32 v4, vcc, s0, v4
	v_addc_co_u32_e32 v5, vcc, v6, v5, vcc
	v_mov_b32_e32 v10, 0
	v_mov_b32_e32 v12, 0
	;; [unrolled: 1-line block ×8, first 2 shown]
	v_add_co_u32_e32 v4, vcc, 8, v4
	v_lshlrev_b32_e32 v24, 4, v0
	v_mov_b32_e32 v11, 0
	v_mov_b32_e32 v13, 0
	;; [unrolled: 1-line block ×8, first 2 shown]
	v_addc_co_u32_e32 v5, vcc, 0, v5, vcc
.LBB260_2:                              ; =>This Inner Loop Header: Depth=1
	global_load_dwordx4 v[26:29], v[2:3], off offset:-8
	v_add_co_u32_e32 v2, vcc, 0x80, v2
	v_addc_co_u32_e32 v3, vcc, 0, v3, vcc
	s_add_i32 s9, s9, 8
	s_cmp_ge_i32 s9, s11
	s_waitcnt vmcnt(0)
	ds_write_b128 v22, v[26:29]
	global_load_dwordx4 v[26:29], v[4:5], off offset:-8
	v_add_co_u32_e32 v4, vcc, 0x80, v4
	v_addc_co_u32_e32 v5, vcc, 0, v5, vcc
	s_waitcnt vmcnt(0)
	ds_write_b128 v23, v[26:29]
	s_waitcnt lgkmcnt(0)
	s_barrier
	ds_read_b128 v[26:29], v25
	ds_read_b128 v[30:33], v25 offset:16
	ds_read_b128 v[34:37], v25 offset:32
	;; [unrolled: 1-line block ×3, first 2 shown]
	ds_read_b128 v[42:45], v24
	s_waitcnt lgkmcnt(0)
	v_mul_f64 v[46:47], v[28:29], v[44:45]
	v_mul_f64 v[48:49], v[26:27], v[44:45]
	v_fma_f64 v[46:47], v[26:27], v[42:43], -v[46:47]
	v_fma_f64 v[48:49], v[28:29], v[42:43], v[48:49]
	v_add_f64 v[46:47], v[14:15], v[46:47]
	v_add_f64 v[48:49], v[48:49], v[16:17]
	ds_read_b128 v[14:17], v24 offset:256
	s_waitcnt lgkmcnt(0)
	v_mul_f64 v[50:51], v[28:29], v[16:17]
	v_fma_f64 v[50:51], v[26:27], v[14:15], -v[50:51]
	v_mul_f64 v[26:27], v[26:27], v[16:17]
	v_fma_f64 v[26:27], v[28:29], v[14:15], v[26:27]
	v_add_f64 v[28:29], v[6:7], v[50:51]
	v_add_f64 v[26:27], v[26:27], v[8:9]
	ds_read_b128 v[6:9], v25 offset:2048
	s_waitcnt lgkmcnt(0)
	v_mul_f64 v[50:51], v[8:9], v[44:45]
	v_mul_f64 v[44:45], v[6:7], v[44:45]
	v_fma_f64 v[50:51], v[6:7], v[42:43], -v[50:51]
	v_fma_f64 v[42:43], v[8:9], v[42:43], v[44:45]
	v_add_f64 v[18:19], v[18:19], v[50:51]
	v_add_f64 v[20:21], v[42:43], v[20:21]
	v_mul_f64 v[42:43], v[8:9], v[16:17]
	v_fma_f64 v[42:43], v[6:7], v[14:15], -v[42:43]
	v_mul_f64 v[6:7], v[6:7], v[16:17]
	v_add_f64 v[42:43], v[12:13], v[42:43]
	v_fma_f64 v[6:7], v[8:9], v[14:15], v[6:7]
	v_add_f64 v[44:45], v[6:7], v[10:11]
	ds_read_b128 v[6:9], v24 offset:512
	s_waitcnt lgkmcnt(0)
	v_mul_f64 v[10:11], v[32:33], v[8:9]
	v_mul_f64 v[12:13], v[30:31], v[8:9]
	v_fma_f64 v[10:11], v[30:31], v[6:7], -v[10:11]
	v_fma_f64 v[12:13], v[32:33], v[6:7], v[12:13]
	v_add_f64 v[46:47], v[46:47], v[10:11]
	v_add_f64 v[48:49], v[12:13], v[48:49]
	ds_read_b128 v[10:13], v24 offset:768
	s_waitcnt lgkmcnt(0)
	v_mul_f64 v[14:15], v[32:33], v[12:13]
	v_mul_f64 v[16:17], v[30:31], v[12:13]
	v_fma_f64 v[14:15], v[30:31], v[10:11], -v[14:15]
	v_fma_f64 v[16:17], v[32:33], v[10:11], v[16:17]
	v_add_f64 v[28:29], v[28:29], v[14:15]
	v_add_f64 v[26:27], v[16:17], v[26:27]
	ds_read_b128 v[14:17], v25 offset:2064
	s_waitcnt lgkmcnt(0)
	v_mul_f64 v[30:31], v[16:17], v[8:9]
	v_mul_f64 v[8:9], v[14:15], v[8:9]
	v_fma_f64 v[30:31], v[14:15], v[6:7], -v[30:31]
	v_fma_f64 v[6:7], v[16:17], v[6:7], v[8:9]
	v_mul_f64 v[8:9], v[14:15], v[12:13]
	v_add_f64 v[18:19], v[18:19], v[30:31]
	v_add_f64 v[20:21], v[6:7], v[20:21]
	v_mul_f64 v[6:7], v[16:17], v[12:13]
	v_fma_f64 v[8:9], v[16:17], v[10:11], v[8:9]
	v_fma_f64 v[6:7], v[14:15], v[10:11], -v[6:7]
	v_add_f64 v[32:33], v[8:9], v[44:45]
	v_add_f64 v[30:31], v[42:43], v[6:7]
	ds_read_b128 v[6:9], v24 offset:1024
	s_waitcnt lgkmcnt(0)
	v_mul_f64 v[10:11], v[36:37], v[8:9]
	v_mul_f64 v[12:13], v[34:35], v[8:9]
	v_fma_f64 v[10:11], v[34:35], v[6:7], -v[10:11]
	v_fma_f64 v[12:13], v[36:37], v[6:7], v[12:13]
	v_add_f64 v[42:43], v[46:47], v[10:11]
	v_add_f64 v[44:45], v[12:13], v[48:49]
	ds_read_b128 v[10:13], v24 offset:1280
	s_waitcnt lgkmcnt(0)
	v_mul_f64 v[14:15], v[36:37], v[12:13]
	v_mul_f64 v[16:17], v[34:35], v[12:13]
	v_fma_f64 v[14:15], v[34:35], v[10:11], -v[14:15]
	v_fma_f64 v[16:17], v[36:37], v[10:11], v[16:17]
	v_add_f64 v[28:29], v[28:29], v[14:15]
	v_add_f64 v[26:27], v[16:17], v[26:27]
	ds_read_b128 v[14:17], v25 offset:2080
	s_waitcnt lgkmcnt(0)
	v_mul_f64 v[34:35], v[16:17], v[8:9]
	v_mul_f64 v[8:9], v[14:15], v[8:9]
	v_fma_f64 v[34:35], v[14:15], v[6:7], -v[34:35]
	v_fma_f64 v[6:7], v[16:17], v[6:7], v[8:9]
	v_mul_f64 v[8:9], v[14:15], v[12:13]
	v_add_f64 v[18:19], v[18:19], v[34:35]
	v_add_f64 v[20:21], v[6:7], v[20:21]
	v_mul_f64 v[6:7], v[16:17], v[12:13]
	v_fma_f64 v[8:9], v[16:17], v[10:11], v[8:9]
	v_fma_f64 v[6:7], v[14:15], v[10:11], -v[6:7]
	v_add_f64 v[32:33], v[8:9], v[32:33]
	;; [unrolled: 30-line block ×3, first 2 shown]
	v_add_f64 v[30:31], v[30:31], v[6:7]
	ds_read_b128 v[6:9], v25 offset:64
	ds_read_b128 v[10:13], v24 offset:2048
	s_waitcnt lgkmcnt(0)
	v_mul_f64 v[14:15], v[8:9], v[12:13]
	v_mul_f64 v[16:17], v[6:7], v[12:13]
	v_fma_f64 v[14:15], v[6:7], v[10:11], -v[14:15]
	v_fma_f64 v[16:17], v[8:9], v[10:11], v[16:17]
	v_add_f64 v[34:35], v[34:35], v[14:15]
	v_add_f64 v[36:37], v[16:17], v[36:37]
	ds_read_b128 v[14:17], v24 offset:2304
	s_waitcnt lgkmcnt(0)
	v_mul_f64 v[38:39], v[8:9], v[16:17]
	v_fma_f64 v[38:39], v[6:7], v[14:15], -v[38:39]
	v_mul_f64 v[6:7], v[6:7], v[16:17]
	v_add_f64 v[28:29], v[28:29], v[38:39]
	v_fma_f64 v[6:7], v[8:9], v[14:15], v[6:7]
	v_add_f64 v[26:27], v[6:7], v[26:27]
	ds_read_b128 v[6:9], v25 offset:2112
	s_waitcnt lgkmcnt(0)
	v_mul_f64 v[38:39], v[8:9], v[12:13]
	v_mul_f64 v[12:13], v[6:7], v[12:13]
	v_fma_f64 v[38:39], v[6:7], v[10:11], -v[38:39]
	v_fma_f64 v[10:11], v[8:9], v[10:11], v[12:13]
	v_add_f64 v[18:19], v[18:19], v[38:39]
	v_add_f64 v[20:21], v[10:11], v[20:21]
	v_mul_f64 v[10:11], v[8:9], v[16:17]
	v_fma_f64 v[10:11], v[6:7], v[14:15], -v[10:11]
	v_mul_f64 v[6:7], v[6:7], v[16:17]
	v_add_f64 v[30:31], v[30:31], v[10:11]
	v_fma_f64 v[6:7], v[8:9], v[14:15], v[6:7]
	v_add_f64 v[32:33], v[6:7], v[32:33]
	ds_read_b128 v[6:9], v25 offset:80
	ds_read_b128 v[10:13], v24 offset:2560
	s_waitcnt lgkmcnt(0)
	v_mul_f64 v[14:15], v[8:9], v[12:13]
	v_mul_f64 v[16:17], v[6:7], v[12:13]
	v_fma_f64 v[14:15], v[6:7], v[10:11], -v[14:15]
	v_fma_f64 v[16:17], v[8:9], v[10:11], v[16:17]
	v_add_f64 v[34:35], v[34:35], v[14:15]
	v_add_f64 v[36:37], v[16:17], v[36:37]
	ds_read_b128 v[14:17], v24 offset:2816
	s_waitcnt lgkmcnt(0)
	v_mul_f64 v[38:39], v[8:9], v[16:17]
	v_fma_f64 v[38:39], v[6:7], v[14:15], -v[38:39]
	v_mul_f64 v[6:7], v[6:7], v[16:17]
	v_add_f64 v[28:29], v[28:29], v[38:39]
	v_fma_f64 v[6:7], v[8:9], v[14:15], v[6:7]
	v_add_f64 v[26:27], v[6:7], v[26:27]
	ds_read_b128 v[6:9], v25 offset:2128
	s_waitcnt lgkmcnt(0)
	v_mul_f64 v[38:39], v[8:9], v[12:13]
	v_mul_f64 v[12:13], v[6:7], v[12:13]
	v_fma_f64 v[38:39], v[6:7], v[10:11], -v[38:39]
	v_fma_f64 v[10:11], v[8:9], v[10:11], v[12:13]
	v_add_f64 v[18:19], v[18:19], v[38:39]
	v_add_f64 v[20:21], v[10:11], v[20:21]
	v_mul_f64 v[10:11], v[8:9], v[16:17]
	v_fma_f64 v[10:11], v[6:7], v[14:15], -v[10:11]
	v_mul_f64 v[6:7], v[6:7], v[16:17]
	v_add_f64 v[30:31], v[30:31], v[10:11]
	v_fma_f64 v[6:7], v[8:9], v[14:15], v[6:7]
	;; [unrolled: 31-line block ×3, first 2 shown]
	v_add_f64 v[44:45], v[6:7], v[32:33]
	ds_read_b128 v[6:9], v25 offset:112
	ds_read_b128 v[10:13], v24 offset:3584
	;; [unrolled: 1-line block ×3, first 2 shown]
	s_waitcnt lgkmcnt(1)
	v_mul_f64 v[14:15], v[8:9], v[12:13]
	s_waitcnt lgkmcnt(0)
	v_mul_f64 v[30:31], v[8:9], v[28:29]
	v_mul_f64 v[16:17], v[6:7], v[12:13]
	v_fma_f64 v[14:15], v[6:7], v[10:11], -v[14:15]
	v_fma_f64 v[30:31], v[6:7], v[26:27], -v[30:31]
	v_mul_f64 v[6:7], v[6:7], v[28:29]
	v_fma_f64 v[16:17], v[8:9], v[10:11], v[16:17]
	v_add_f64 v[14:15], v[34:35], v[14:15]
	v_fma_f64 v[8:9], v[8:9], v[26:27], v[6:7]
	v_add_f64 v[6:7], v[38:39], v[30:31]
	ds_read_b128 v[30:33], v25 offset:2160
	v_add_f64 v[16:17], v[16:17], v[36:37]
	s_waitcnt lgkmcnt(0)
	s_barrier
	v_mul_f64 v[34:35], v[32:33], v[12:13]
	v_mul_f64 v[12:13], v[30:31], v[12:13]
	v_add_f64 v[8:9], v[8:9], v[40:41]
	v_fma_f64 v[34:35], v[30:31], v[10:11], -v[34:35]
	v_fma_f64 v[10:11], v[32:33], v[10:11], v[12:13]
	v_mul_f64 v[12:13], v[30:31], v[28:29]
	v_add_f64 v[18:19], v[18:19], v[34:35]
	v_add_f64 v[20:21], v[10:11], v[20:21]
	v_mul_f64 v[10:11], v[32:33], v[28:29]
	v_fma_f64 v[10:11], v[30:31], v[26:27], -v[10:11]
	v_fma_f64 v[26:27], v[32:33], v[26:27], v[12:13]
	v_add_f64 v[12:13], v[42:43], v[10:11]
	v_add_f64 v[10:11], v[26:27], v[44:45]
	s_cbranch_scc0 .LBB260_2
	s_branch .LBB260_4
.LBB260_3:
	v_mov_b32_e32 v14, 0
	v_mov_b32_e32 v16, 0
	;; [unrolled: 1-line block ×16, first 2 shown]
.LBB260_4:
	s_load_dwordx2 s[0:1], s[4:5], 0x68
	s_load_dwordx2 s[2:3], s[4:5], 0x58
	s_load_dword s9, s[4:5], 0x60
	v_add_u32_e32 v4, s7, v1
	v_add_u32_e32 v0, s6, v0
	s_waitcnt lgkmcnt(0)
	s_mul_i32 s1, s1, s8
	s_mul_hi_u32 s4, s0, s8
	v_mad_i64_i32 v[1:2], s[16:17], v4, s9, 0
	s_mul_i32 s0, s0, s8
	s_add_i32 s1, s4, s1
	s_lshl_b64 s[0:1], s[0:1], 4
	s_add_u32 s4, s2, s0
	v_lshlrev_b64 v[1:2], 4, v[1:2]
	s_addc_u32 s5, s3, s1
	v_mov_b32_e32 v3, s5
	v_add_co_u32_e64 v5, s[0:1], s4, v1
	v_addc_co_u32_e64 v22, s[0:1], v3, v2, s[0:1]
	v_cmp_gt_i32_e32 vcc, s10, v4
	v_cmp_le_i32_e64 s[0:1], v0, v4
	s_and_b64 s[0:1], vcc, s[0:1]
	s_and_saveexec_b64 s[2:3], s[0:1]
	s_cbranch_execz .LBB260_6
; %bb.5:
	v_mul_f64 v[1:2], s[14:15], v[16:17]
	v_mul_f64 v[16:17], s[12:13], v[16:17]
	v_fma_f64 v[23:24], s[12:13], v[14:15], -v[1:2]
	v_fma_f64 v[25:26], s[14:15], v[14:15], v[16:17]
	v_ashrrev_i32_e32 v1, 31, v0
	v_lshlrev_b64 v[1:2], 4, v[0:1]
	v_add_co_u32_e64 v1, s[0:1], v5, v1
	v_addc_co_u32_e64 v2, s[0:1], v22, v2, s[0:1]
	global_store_dwordx4 v[1:2], v[23:26], off
.LBB260_6:
	s_or_b64 exec, exec, s[2:3]
	v_add_u32_e32 v2, 16, v0
	v_cmp_le_i32_e64 s[0:1], v2, v4
	s_and_b64 s[2:3], vcc, s[0:1]
	s_and_saveexec_b64 s[0:1], s[2:3]
	s_cbranch_execz .LBB260_8
; %bb.7:
	v_mul_f64 v[14:15], s[14:15], v[8:9]
	v_mul_f64 v[8:9], s[12:13], v[8:9]
	v_ashrrev_i32_e32 v3, 31, v2
	v_fma_f64 v[14:15], s[12:13], v[6:7], -v[14:15]
	v_fma_f64 v[16:17], s[14:15], v[6:7], v[8:9]
	v_lshlrev_b64 v[6:7], 4, v[2:3]
	v_add_co_u32_e32 v5, vcc, v5, v6
	v_addc_co_u32_e32 v6, vcc, v22, v7, vcc
	global_store_dwordx4 v[5:6], v[14:17], off
.LBB260_8:
	s_or_b64 exec, exec, s[0:1]
	v_add_u32_e32 v3, 16, v4
	v_mad_i64_i32 v[4:5], s[0:1], v3, s9, 0
	v_mov_b32_e32 v1, s5
	v_cmp_gt_i32_e32 vcc, s10, v3
	v_lshlrev_b64 v[4:5], 4, v[4:5]
	v_add_co_u32_e64 v4, s[0:1], s4, v4
	v_addc_co_u32_e64 v5, s[0:1], v1, v5, s[0:1]
	v_cmp_le_i32_e64 s[0:1], v0, v3
	s_and_b64 s[0:1], vcc, s[0:1]
	s_and_saveexec_b64 s[2:3], s[0:1]
	s_cbranch_execz .LBB260_10
; %bb.9:
	v_mul_f64 v[6:7], s[14:15], v[20:21]
	v_mul_f64 v[8:9], s[12:13], v[20:21]
	v_ashrrev_i32_e32 v1, 31, v0
	v_lshlrev_b64 v[0:1], 4, v[0:1]
	v_add_co_u32_e64 v0, s[0:1], v4, v0
	v_addc_co_u32_e64 v1, s[0:1], v5, v1, s[0:1]
	v_fma_f64 v[6:7], s[12:13], v[18:19], -v[6:7]
	v_fma_f64 v[8:9], s[14:15], v[18:19], v[8:9]
	global_store_dwordx4 v[0:1], v[6:9], off
.LBB260_10:
	s_or_b64 exec, exec, s[2:3]
	v_cmp_le_i32_e64 s[0:1], v2, v3
	s_and_b64 s[0:1], vcc, s[0:1]
	s_and_saveexec_b64 s[2:3], s[0:1]
	s_cbranch_execz .LBB260_12
; %bb.11:
	v_mul_f64 v[0:1], s[14:15], v[10:11]
	v_mul_f64 v[8:9], s[12:13], v[10:11]
	v_ashrrev_i32_e32 v3, 31, v2
	v_fma_f64 v[6:7], s[12:13], v[12:13], -v[0:1]
	v_fma_f64 v[8:9], s[14:15], v[12:13], v[8:9]
	v_lshlrev_b64 v[0:1], 4, v[2:3]
	v_add_co_u32_e32 v0, vcc, v4, v0
	v_addc_co_u32_e32 v1, vcc, v5, v1, vcc
	global_store_dwordx4 v[0:1], v[6:9], off
.LBB260_12:
	s_endpgm
	.section	.rodata,"a",@progbits
	.p2align	6, 0x0
	.amdhsa_kernel _ZL37rocblas_syrkx_herkx_restricted_kernelIi19rocblas_complex_numIdELi16ELi32ELi8ELb1ELb0ELc84ELc85EKS1_S1_EviT_T0_PT8_S3_lS6_S3_lS4_PT9_S3_li
		.amdhsa_group_segment_fixed_size 8192
		.amdhsa_private_segment_fixed_size 0
		.amdhsa_kernarg_size 116
		.amdhsa_user_sgpr_count 6
		.amdhsa_user_sgpr_private_segment_buffer 1
		.amdhsa_user_sgpr_dispatch_ptr 0
		.amdhsa_user_sgpr_queue_ptr 0
		.amdhsa_user_sgpr_kernarg_segment_ptr 1
		.amdhsa_user_sgpr_dispatch_id 0
		.amdhsa_user_sgpr_flat_scratch_init 0
		.amdhsa_user_sgpr_private_segment_size 0
		.amdhsa_uses_dynamic_stack 0
		.amdhsa_system_sgpr_private_segment_wavefront_offset 0
		.amdhsa_system_sgpr_workgroup_id_x 1
		.amdhsa_system_sgpr_workgroup_id_y 1
		.amdhsa_system_sgpr_workgroup_id_z 1
		.amdhsa_system_sgpr_workgroup_info 0
		.amdhsa_system_vgpr_workitem_id 1
		.amdhsa_next_free_vgpr 52
		.amdhsa_next_free_sgpr 61
		.amdhsa_reserve_vcc 1
		.amdhsa_reserve_flat_scratch 0
		.amdhsa_float_round_mode_32 0
		.amdhsa_float_round_mode_16_64 0
		.amdhsa_float_denorm_mode_32 3
		.amdhsa_float_denorm_mode_16_64 3
		.amdhsa_dx10_clamp 1
		.amdhsa_ieee_mode 1
		.amdhsa_fp16_overflow 0
		.amdhsa_exception_fp_ieee_invalid_op 0
		.amdhsa_exception_fp_denorm_src 0
		.amdhsa_exception_fp_ieee_div_zero 0
		.amdhsa_exception_fp_ieee_overflow 0
		.amdhsa_exception_fp_ieee_underflow 0
		.amdhsa_exception_fp_ieee_inexact 0
		.amdhsa_exception_int_div_zero 0
	.end_amdhsa_kernel
	.section	.text._ZL37rocblas_syrkx_herkx_restricted_kernelIi19rocblas_complex_numIdELi16ELi32ELi8ELb1ELb0ELc84ELc85EKS1_S1_EviT_T0_PT8_S3_lS6_S3_lS4_PT9_S3_li,"axG",@progbits,_ZL37rocblas_syrkx_herkx_restricted_kernelIi19rocblas_complex_numIdELi16ELi32ELi8ELb1ELb0ELc84ELc85EKS1_S1_EviT_T0_PT8_S3_lS6_S3_lS4_PT9_S3_li,comdat
.Lfunc_end260:
	.size	_ZL37rocblas_syrkx_herkx_restricted_kernelIi19rocblas_complex_numIdELi16ELi32ELi8ELb1ELb0ELc84ELc85EKS1_S1_EviT_T0_PT8_S3_lS6_S3_lS4_PT9_S3_li, .Lfunc_end260-_ZL37rocblas_syrkx_herkx_restricted_kernelIi19rocblas_complex_numIdELi16ELi32ELi8ELb1ELb0ELc84ELc85EKS1_S1_EviT_T0_PT8_S3_lS6_S3_lS4_PT9_S3_li
                                        ; -- End function
	.set _ZL37rocblas_syrkx_herkx_restricted_kernelIi19rocblas_complex_numIdELi16ELi32ELi8ELb1ELb0ELc84ELc85EKS1_S1_EviT_T0_PT8_S3_lS6_S3_lS4_PT9_S3_li.num_vgpr, 52
	.set _ZL37rocblas_syrkx_herkx_restricted_kernelIi19rocblas_complex_numIdELi16ELi32ELi8ELb1ELb0ELc84ELc85EKS1_S1_EviT_T0_PT8_S3_lS6_S3_lS4_PT9_S3_li.num_agpr, 0
	.set _ZL37rocblas_syrkx_herkx_restricted_kernelIi19rocblas_complex_numIdELi16ELi32ELi8ELb1ELb0ELc84ELc85EKS1_S1_EviT_T0_PT8_S3_lS6_S3_lS4_PT9_S3_li.numbered_sgpr, 24
	.set _ZL37rocblas_syrkx_herkx_restricted_kernelIi19rocblas_complex_numIdELi16ELi32ELi8ELb1ELb0ELc84ELc85EKS1_S1_EviT_T0_PT8_S3_lS6_S3_lS4_PT9_S3_li.num_named_barrier, 0
	.set _ZL37rocblas_syrkx_herkx_restricted_kernelIi19rocblas_complex_numIdELi16ELi32ELi8ELb1ELb0ELc84ELc85EKS1_S1_EviT_T0_PT8_S3_lS6_S3_lS4_PT9_S3_li.private_seg_size, 0
	.set _ZL37rocblas_syrkx_herkx_restricted_kernelIi19rocblas_complex_numIdELi16ELi32ELi8ELb1ELb0ELc84ELc85EKS1_S1_EviT_T0_PT8_S3_lS6_S3_lS4_PT9_S3_li.uses_vcc, 1
	.set _ZL37rocblas_syrkx_herkx_restricted_kernelIi19rocblas_complex_numIdELi16ELi32ELi8ELb1ELb0ELc84ELc85EKS1_S1_EviT_T0_PT8_S3_lS6_S3_lS4_PT9_S3_li.uses_flat_scratch, 0
	.set _ZL37rocblas_syrkx_herkx_restricted_kernelIi19rocblas_complex_numIdELi16ELi32ELi8ELb1ELb0ELc84ELc85EKS1_S1_EviT_T0_PT8_S3_lS6_S3_lS4_PT9_S3_li.has_dyn_sized_stack, 0
	.set _ZL37rocblas_syrkx_herkx_restricted_kernelIi19rocblas_complex_numIdELi16ELi32ELi8ELb1ELb0ELc84ELc85EKS1_S1_EviT_T0_PT8_S3_lS6_S3_lS4_PT9_S3_li.has_recursion, 0
	.set _ZL37rocblas_syrkx_herkx_restricted_kernelIi19rocblas_complex_numIdELi16ELi32ELi8ELb1ELb0ELc84ELc85EKS1_S1_EviT_T0_PT8_S3_lS6_S3_lS4_PT9_S3_li.has_indirect_call, 0
	.section	.AMDGPU.csdata,"",@progbits
; Kernel info:
; codeLenInByte = 2916
; TotalNumSgprs: 28
; NumVgprs: 52
; ScratchSize: 0
; MemoryBound: 0
; FloatMode: 240
; IeeeMode: 1
; LDSByteSize: 8192 bytes/workgroup (compile time only)
; SGPRBlocks: 8
; VGPRBlocks: 12
; NumSGPRsForWavesPerEU: 65
; NumVGPRsForWavesPerEU: 52
; Occupancy: 4
; WaveLimiterHint : 0
; COMPUTE_PGM_RSRC2:SCRATCH_EN: 0
; COMPUTE_PGM_RSRC2:USER_SGPR: 6
; COMPUTE_PGM_RSRC2:TRAP_HANDLER: 0
; COMPUTE_PGM_RSRC2:TGID_X_EN: 1
; COMPUTE_PGM_RSRC2:TGID_Y_EN: 1
; COMPUTE_PGM_RSRC2:TGID_Z_EN: 1
; COMPUTE_PGM_RSRC2:TIDIG_COMP_CNT: 1
	.section	.text._ZL37rocblas_syrkx_herkx_restricted_kernelIi19rocblas_complex_numIdELi16ELi32ELi8ELb1ELb0ELc67ELc85EKS1_S1_EviT_T0_PT8_S3_lS6_S3_lS4_PT9_S3_li,"axG",@progbits,_ZL37rocblas_syrkx_herkx_restricted_kernelIi19rocblas_complex_numIdELi16ELi32ELi8ELb1ELb0ELc67ELc85EKS1_S1_EviT_T0_PT8_S3_lS6_S3_lS4_PT9_S3_li,comdat
	.globl	_ZL37rocblas_syrkx_herkx_restricted_kernelIi19rocblas_complex_numIdELi16ELi32ELi8ELb1ELb0ELc67ELc85EKS1_S1_EviT_T0_PT8_S3_lS6_S3_lS4_PT9_S3_li ; -- Begin function _ZL37rocblas_syrkx_herkx_restricted_kernelIi19rocblas_complex_numIdELi16ELi32ELi8ELb1ELb0ELc67ELc85EKS1_S1_EviT_T0_PT8_S3_lS6_S3_lS4_PT9_S3_li
	.p2align	8
	.type	_ZL37rocblas_syrkx_herkx_restricted_kernelIi19rocblas_complex_numIdELi16ELi32ELi8ELb1ELb0ELc67ELc85EKS1_S1_EviT_T0_PT8_S3_lS6_S3_lS4_PT9_S3_li,@function
_ZL37rocblas_syrkx_herkx_restricted_kernelIi19rocblas_complex_numIdELi16ELi32ELi8ELb1ELb0ELc67ELc85EKS1_S1_EviT_T0_PT8_S3_lS6_S3_lS4_PT9_S3_li: ; @_ZL37rocblas_syrkx_herkx_restricted_kernelIi19rocblas_complex_numIdELi16ELi32ELi8ELb1ELb0ELc67ELc85EKS1_S1_EviT_T0_PT8_S3_lS6_S3_lS4_PT9_S3_li
; %bb.0:
	s_load_dwordx2 s[10:11], s[4:5], 0x0
	s_load_dwordx4 s[12:15], s[4:5], 0x8
	s_load_dwordx2 s[16:17], s[4:5], 0x18
	s_lshl_b32 s6, s6, 5
	s_lshl_b32 s7, s7, 5
	s_waitcnt lgkmcnt(0)
	s_cmp_lt_i32 s11, 1
	s_mov_b32 s9, 0
	s_cbranch_scc1 .LBB261_3
; %bb.1:
	s_load_dword s22, s[4:5], 0x20
	s_load_dwordx4 s[0:3], s[4:5], 0x28
	s_load_dword s20, s[4:5], 0x38
	s_load_dwordx2 s[18:19], s[4:5], 0x40
	v_lshl_add_u32 v3, v1, 4, v0
	v_lshrrev_b32_e32 v8, 3, v3
	v_lshrrev_b32_e32 v2, 5, v3
	v_and_b32_e32 v4, 7, v0
	v_and_b32_e32 v9, 31, v3
	v_add_u32_e32 v3, s7, v8
	v_mov_b32_e32 v5, 0
	s_waitcnt lgkmcnt(0)
	v_mad_i64_i32 v[6:7], s[20:21], s20, v3, v[4:5]
	v_lshlrev_b32_e32 v4, 4, v4
	v_lshl_or_b32 v4, v8, 7, v4
	v_add_u32_e32 v23, 0x1000, v4
	v_mov_b32_e32 v4, 0x1000
	v_mov_b32_e32 v3, v5
	v_lshlrev_b32_e32 v5, 4, v9
	v_lshl_add_u32 v25, v1, 7, v4
	v_add_u32_e32 v4, s6, v9
	v_lshl_or_b32 v22, v2, 9, v5
	v_mad_i64_i32 v[2:3], s[20:21], s22, v4, v[2:3]
	s_mul_i32 s1, s1, s8
	s_mul_hi_u32 s23, s0, s8
	s_add_i32 s1, s23, s1
	s_mul_i32 s0, s0, s8
	s_lshl_b64 s[0:1], s[0:1], 4
	v_lshlrev_b64 v[2:3], 4, v[2:3]
	s_add_u32 s0, s16, s0
	s_addc_u32 s1, s17, s1
	v_mov_b32_e32 v4, s1
	v_add_co_u32_e32 v2, vcc, s0, v2
	s_mul_i32 s0, s19, s8
	s_mul_hi_u32 s1, s18, s8
	s_add_i32 s1, s1, s0
	s_mul_i32 s0, s18, s8
	v_addc_co_u32_e32 v3, vcc, v4, v3, vcc
	s_lshl_b64 s[0:1], s[0:1], 4
	v_add_co_u32_e32 v2, vcc, 8, v2
	v_lshlrev_b64 v[4:5], 4, v[6:7]
	s_add_u32 s0, s2, s0
	v_addc_co_u32_e32 v3, vcc, 0, v3, vcc
	s_addc_u32 s1, s3, s1
	v_mov_b32_e32 v6, s1
	v_add_co_u32_e32 v4, vcc, s0, v4
	v_addc_co_u32_e32 v5, vcc, v6, v5, vcc
	v_mov_b32_e32 v10, 0
	v_mov_b32_e32 v12, 0
	;; [unrolled: 1-line block ×8, first 2 shown]
	v_add_co_u32_e32 v4, vcc, 8, v4
	v_lshlrev_b32_e32 v24, 4, v0
	v_mov_b32_e32 v11, 0
	v_mov_b32_e32 v13, 0
	;; [unrolled: 1-line block ×8, first 2 shown]
	v_addc_co_u32_e32 v5, vcc, 0, v5, vcc
.LBB261_2:                              ; =>This Inner Loop Header: Depth=1
	global_load_dwordx4 v[26:29], v[2:3], off offset:-8
	v_add_co_u32_e32 v2, vcc, 0x80, v2
	v_addc_co_u32_e32 v3, vcc, 0, v3, vcc
	s_add_i32 s9, s9, 8
	s_cmp_ge_i32 s9, s11
	s_waitcnt vmcnt(0)
	ds_write_b128 v22, v[26:29]
	global_load_dwordx4 v[26:29], v[4:5], off offset:-8
	v_add_co_u32_e32 v4, vcc, 0x80, v4
	v_addc_co_u32_e32 v5, vcc, 0, v5, vcc
	s_waitcnt vmcnt(0)
	ds_write_b128 v23, v[26:29]
	s_waitcnt lgkmcnt(0)
	s_barrier
	ds_read_b128 v[26:29], v25
	ds_read_b128 v[30:33], v25 offset:16
	ds_read_b128 v[34:37], v25 offset:32
	;; [unrolled: 1-line block ×3, first 2 shown]
	ds_read_b128 v[42:45], v24
	s_waitcnt lgkmcnt(0)
	v_mul_f64 v[46:47], v[28:29], v[44:45]
	v_mul_f64 v[48:49], v[26:27], v[44:45]
	v_fma_f64 v[46:47], v[26:27], v[42:43], -v[46:47]
	v_fma_f64 v[48:49], v[28:29], v[42:43], v[48:49]
	v_add_f64 v[46:47], v[14:15], v[46:47]
	v_add_f64 v[48:49], v[48:49], v[16:17]
	ds_read_b128 v[14:17], v24 offset:256
	s_waitcnt lgkmcnt(0)
	v_mul_f64 v[50:51], v[28:29], v[16:17]
	v_fma_f64 v[50:51], v[26:27], v[14:15], -v[50:51]
	v_mul_f64 v[26:27], v[26:27], v[16:17]
	v_fma_f64 v[26:27], v[28:29], v[14:15], v[26:27]
	v_add_f64 v[28:29], v[6:7], v[50:51]
	v_add_f64 v[26:27], v[26:27], v[8:9]
	ds_read_b128 v[6:9], v25 offset:2048
	s_waitcnt lgkmcnt(0)
	v_mul_f64 v[50:51], v[8:9], v[44:45]
	v_mul_f64 v[44:45], v[6:7], v[44:45]
	v_fma_f64 v[50:51], v[6:7], v[42:43], -v[50:51]
	v_fma_f64 v[42:43], v[8:9], v[42:43], v[44:45]
	v_add_f64 v[18:19], v[18:19], v[50:51]
	v_add_f64 v[20:21], v[42:43], v[20:21]
	v_mul_f64 v[42:43], v[8:9], v[16:17]
	v_fma_f64 v[42:43], v[6:7], v[14:15], -v[42:43]
	v_mul_f64 v[6:7], v[6:7], v[16:17]
	v_add_f64 v[42:43], v[12:13], v[42:43]
	v_fma_f64 v[6:7], v[8:9], v[14:15], v[6:7]
	v_add_f64 v[44:45], v[6:7], v[10:11]
	ds_read_b128 v[6:9], v24 offset:512
	s_waitcnt lgkmcnt(0)
	v_mul_f64 v[10:11], v[32:33], v[8:9]
	v_mul_f64 v[12:13], v[30:31], v[8:9]
	v_fma_f64 v[10:11], v[30:31], v[6:7], -v[10:11]
	v_fma_f64 v[12:13], v[32:33], v[6:7], v[12:13]
	v_add_f64 v[46:47], v[46:47], v[10:11]
	v_add_f64 v[48:49], v[12:13], v[48:49]
	ds_read_b128 v[10:13], v24 offset:768
	s_waitcnt lgkmcnt(0)
	v_mul_f64 v[14:15], v[32:33], v[12:13]
	v_mul_f64 v[16:17], v[30:31], v[12:13]
	v_fma_f64 v[14:15], v[30:31], v[10:11], -v[14:15]
	v_fma_f64 v[16:17], v[32:33], v[10:11], v[16:17]
	v_add_f64 v[28:29], v[28:29], v[14:15]
	v_add_f64 v[26:27], v[16:17], v[26:27]
	ds_read_b128 v[14:17], v25 offset:2064
	s_waitcnt lgkmcnt(0)
	v_mul_f64 v[30:31], v[16:17], v[8:9]
	v_mul_f64 v[8:9], v[14:15], v[8:9]
	v_fma_f64 v[30:31], v[14:15], v[6:7], -v[30:31]
	v_fma_f64 v[6:7], v[16:17], v[6:7], v[8:9]
	v_mul_f64 v[8:9], v[14:15], v[12:13]
	v_add_f64 v[18:19], v[18:19], v[30:31]
	v_add_f64 v[20:21], v[6:7], v[20:21]
	v_mul_f64 v[6:7], v[16:17], v[12:13]
	v_fma_f64 v[8:9], v[16:17], v[10:11], v[8:9]
	v_fma_f64 v[6:7], v[14:15], v[10:11], -v[6:7]
	v_add_f64 v[32:33], v[8:9], v[44:45]
	v_add_f64 v[30:31], v[42:43], v[6:7]
	ds_read_b128 v[6:9], v24 offset:1024
	s_waitcnt lgkmcnt(0)
	v_mul_f64 v[10:11], v[36:37], v[8:9]
	v_mul_f64 v[12:13], v[34:35], v[8:9]
	v_fma_f64 v[10:11], v[34:35], v[6:7], -v[10:11]
	v_fma_f64 v[12:13], v[36:37], v[6:7], v[12:13]
	v_add_f64 v[42:43], v[46:47], v[10:11]
	v_add_f64 v[44:45], v[12:13], v[48:49]
	ds_read_b128 v[10:13], v24 offset:1280
	s_waitcnt lgkmcnt(0)
	v_mul_f64 v[14:15], v[36:37], v[12:13]
	v_mul_f64 v[16:17], v[34:35], v[12:13]
	v_fma_f64 v[14:15], v[34:35], v[10:11], -v[14:15]
	v_fma_f64 v[16:17], v[36:37], v[10:11], v[16:17]
	v_add_f64 v[28:29], v[28:29], v[14:15]
	v_add_f64 v[26:27], v[16:17], v[26:27]
	ds_read_b128 v[14:17], v25 offset:2080
	s_waitcnt lgkmcnt(0)
	v_mul_f64 v[34:35], v[16:17], v[8:9]
	v_mul_f64 v[8:9], v[14:15], v[8:9]
	v_fma_f64 v[34:35], v[14:15], v[6:7], -v[34:35]
	v_fma_f64 v[6:7], v[16:17], v[6:7], v[8:9]
	v_mul_f64 v[8:9], v[14:15], v[12:13]
	v_add_f64 v[18:19], v[18:19], v[34:35]
	v_add_f64 v[20:21], v[6:7], v[20:21]
	v_mul_f64 v[6:7], v[16:17], v[12:13]
	v_fma_f64 v[8:9], v[16:17], v[10:11], v[8:9]
	v_fma_f64 v[6:7], v[14:15], v[10:11], -v[6:7]
	v_add_f64 v[32:33], v[8:9], v[32:33]
	;; [unrolled: 30-line block ×3, first 2 shown]
	v_add_f64 v[30:31], v[30:31], v[6:7]
	ds_read_b128 v[6:9], v25 offset:64
	ds_read_b128 v[10:13], v24 offset:2048
	s_waitcnt lgkmcnt(0)
	v_mul_f64 v[14:15], v[8:9], v[12:13]
	v_mul_f64 v[16:17], v[6:7], v[12:13]
	v_fma_f64 v[14:15], v[6:7], v[10:11], -v[14:15]
	v_fma_f64 v[16:17], v[8:9], v[10:11], v[16:17]
	v_add_f64 v[34:35], v[34:35], v[14:15]
	v_add_f64 v[36:37], v[16:17], v[36:37]
	ds_read_b128 v[14:17], v24 offset:2304
	s_waitcnt lgkmcnt(0)
	v_mul_f64 v[38:39], v[8:9], v[16:17]
	v_fma_f64 v[38:39], v[6:7], v[14:15], -v[38:39]
	v_mul_f64 v[6:7], v[6:7], v[16:17]
	v_add_f64 v[28:29], v[28:29], v[38:39]
	v_fma_f64 v[6:7], v[8:9], v[14:15], v[6:7]
	v_add_f64 v[26:27], v[6:7], v[26:27]
	ds_read_b128 v[6:9], v25 offset:2112
	s_waitcnt lgkmcnt(0)
	v_mul_f64 v[38:39], v[8:9], v[12:13]
	v_mul_f64 v[12:13], v[6:7], v[12:13]
	v_fma_f64 v[38:39], v[6:7], v[10:11], -v[38:39]
	v_fma_f64 v[10:11], v[8:9], v[10:11], v[12:13]
	v_add_f64 v[18:19], v[18:19], v[38:39]
	v_add_f64 v[20:21], v[10:11], v[20:21]
	v_mul_f64 v[10:11], v[8:9], v[16:17]
	v_fma_f64 v[10:11], v[6:7], v[14:15], -v[10:11]
	v_mul_f64 v[6:7], v[6:7], v[16:17]
	v_add_f64 v[30:31], v[30:31], v[10:11]
	v_fma_f64 v[6:7], v[8:9], v[14:15], v[6:7]
	v_add_f64 v[32:33], v[6:7], v[32:33]
	ds_read_b128 v[6:9], v25 offset:80
	ds_read_b128 v[10:13], v24 offset:2560
	s_waitcnt lgkmcnt(0)
	v_mul_f64 v[14:15], v[8:9], v[12:13]
	v_mul_f64 v[16:17], v[6:7], v[12:13]
	v_fma_f64 v[14:15], v[6:7], v[10:11], -v[14:15]
	v_fma_f64 v[16:17], v[8:9], v[10:11], v[16:17]
	v_add_f64 v[34:35], v[34:35], v[14:15]
	v_add_f64 v[36:37], v[16:17], v[36:37]
	ds_read_b128 v[14:17], v24 offset:2816
	s_waitcnt lgkmcnt(0)
	v_mul_f64 v[38:39], v[8:9], v[16:17]
	v_fma_f64 v[38:39], v[6:7], v[14:15], -v[38:39]
	v_mul_f64 v[6:7], v[6:7], v[16:17]
	v_add_f64 v[28:29], v[28:29], v[38:39]
	v_fma_f64 v[6:7], v[8:9], v[14:15], v[6:7]
	v_add_f64 v[26:27], v[6:7], v[26:27]
	ds_read_b128 v[6:9], v25 offset:2128
	s_waitcnt lgkmcnt(0)
	v_mul_f64 v[38:39], v[8:9], v[12:13]
	v_mul_f64 v[12:13], v[6:7], v[12:13]
	v_fma_f64 v[38:39], v[6:7], v[10:11], -v[38:39]
	v_fma_f64 v[10:11], v[8:9], v[10:11], v[12:13]
	v_add_f64 v[18:19], v[18:19], v[38:39]
	v_add_f64 v[20:21], v[10:11], v[20:21]
	v_mul_f64 v[10:11], v[8:9], v[16:17]
	v_fma_f64 v[10:11], v[6:7], v[14:15], -v[10:11]
	v_mul_f64 v[6:7], v[6:7], v[16:17]
	v_add_f64 v[30:31], v[30:31], v[10:11]
	v_fma_f64 v[6:7], v[8:9], v[14:15], v[6:7]
	;; [unrolled: 31-line block ×3, first 2 shown]
	v_add_f64 v[44:45], v[6:7], v[32:33]
	ds_read_b128 v[6:9], v25 offset:112
	ds_read_b128 v[10:13], v24 offset:3584
	;; [unrolled: 1-line block ×3, first 2 shown]
	s_waitcnt lgkmcnt(1)
	v_mul_f64 v[14:15], v[8:9], v[12:13]
	s_waitcnt lgkmcnt(0)
	v_mul_f64 v[30:31], v[8:9], v[28:29]
	v_mul_f64 v[16:17], v[6:7], v[12:13]
	v_fma_f64 v[14:15], v[6:7], v[10:11], -v[14:15]
	v_fma_f64 v[30:31], v[6:7], v[26:27], -v[30:31]
	v_mul_f64 v[6:7], v[6:7], v[28:29]
	v_fma_f64 v[16:17], v[8:9], v[10:11], v[16:17]
	v_add_f64 v[14:15], v[34:35], v[14:15]
	v_fma_f64 v[8:9], v[8:9], v[26:27], v[6:7]
	v_add_f64 v[6:7], v[38:39], v[30:31]
	ds_read_b128 v[30:33], v25 offset:2160
	v_add_f64 v[16:17], v[16:17], v[36:37]
	s_waitcnt lgkmcnt(0)
	s_barrier
	v_mul_f64 v[34:35], v[32:33], v[12:13]
	v_mul_f64 v[12:13], v[30:31], v[12:13]
	v_add_f64 v[8:9], v[8:9], v[40:41]
	v_fma_f64 v[34:35], v[30:31], v[10:11], -v[34:35]
	v_fma_f64 v[10:11], v[32:33], v[10:11], v[12:13]
	v_mul_f64 v[12:13], v[30:31], v[28:29]
	v_add_f64 v[18:19], v[18:19], v[34:35]
	v_add_f64 v[20:21], v[10:11], v[20:21]
	v_mul_f64 v[10:11], v[32:33], v[28:29]
	v_fma_f64 v[10:11], v[30:31], v[26:27], -v[10:11]
	v_fma_f64 v[26:27], v[32:33], v[26:27], v[12:13]
	v_add_f64 v[12:13], v[42:43], v[10:11]
	v_add_f64 v[10:11], v[26:27], v[44:45]
	s_cbranch_scc0 .LBB261_2
	s_branch .LBB261_4
.LBB261_3:
	v_mov_b32_e32 v14, 0
	v_mov_b32_e32 v16, 0
	;; [unrolled: 1-line block ×16, first 2 shown]
.LBB261_4:
	s_load_dwordx2 s[0:1], s[4:5], 0x68
	s_load_dwordx2 s[2:3], s[4:5], 0x58
	s_load_dword s9, s[4:5], 0x60
	v_add_u32_e32 v4, s7, v1
	v_add_u32_e32 v0, s6, v0
	s_waitcnt lgkmcnt(0)
	s_mul_i32 s1, s1, s8
	s_mul_hi_u32 s4, s0, s8
	v_mad_i64_i32 v[1:2], s[16:17], v4, s9, 0
	s_mul_i32 s0, s0, s8
	s_add_i32 s1, s4, s1
	s_lshl_b64 s[0:1], s[0:1], 4
	s_add_u32 s4, s2, s0
	v_lshlrev_b64 v[1:2], 4, v[1:2]
	s_addc_u32 s5, s3, s1
	v_mov_b32_e32 v3, s5
	v_add_co_u32_e64 v5, s[0:1], s4, v1
	v_addc_co_u32_e64 v22, s[0:1], v3, v2, s[0:1]
	v_cmp_gt_i32_e32 vcc, s10, v4
	v_cmp_le_i32_e64 s[0:1], v0, v4
	s_and_b64 s[0:1], vcc, s[0:1]
	s_and_saveexec_b64 s[2:3], s[0:1]
	s_cbranch_execz .LBB261_6
; %bb.5:
	v_mul_f64 v[1:2], s[14:15], v[16:17]
	v_mul_f64 v[16:17], s[12:13], v[16:17]
	v_fma_f64 v[23:24], s[12:13], v[14:15], -v[1:2]
	v_fma_f64 v[25:26], s[14:15], v[14:15], v[16:17]
	v_ashrrev_i32_e32 v1, 31, v0
	v_lshlrev_b64 v[1:2], 4, v[0:1]
	v_add_co_u32_e64 v1, s[0:1], v5, v1
	v_addc_co_u32_e64 v2, s[0:1], v22, v2, s[0:1]
	global_store_dwordx4 v[1:2], v[23:26], off
.LBB261_6:
	s_or_b64 exec, exec, s[2:3]
	v_add_u32_e32 v2, 16, v0
	v_cmp_le_i32_e64 s[0:1], v2, v4
	s_and_b64 s[2:3], vcc, s[0:1]
	s_and_saveexec_b64 s[0:1], s[2:3]
	s_cbranch_execz .LBB261_8
; %bb.7:
	v_mul_f64 v[14:15], s[14:15], v[8:9]
	v_mul_f64 v[8:9], s[12:13], v[8:9]
	v_ashrrev_i32_e32 v3, 31, v2
	v_fma_f64 v[14:15], s[12:13], v[6:7], -v[14:15]
	v_fma_f64 v[16:17], s[14:15], v[6:7], v[8:9]
	v_lshlrev_b64 v[6:7], 4, v[2:3]
	v_add_co_u32_e32 v5, vcc, v5, v6
	v_addc_co_u32_e32 v6, vcc, v22, v7, vcc
	global_store_dwordx4 v[5:6], v[14:17], off
.LBB261_8:
	s_or_b64 exec, exec, s[0:1]
	v_add_u32_e32 v3, 16, v4
	v_mad_i64_i32 v[4:5], s[0:1], v3, s9, 0
	v_mov_b32_e32 v1, s5
	v_cmp_gt_i32_e32 vcc, s10, v3
	v_lshlrev_b64 v[4:5], 4, v[4:5]
	v_add_co_u32_e64 v4, s[0:1], s4, v4
	v_addc_co_u32_e64 v5, s[0:1], v1, v5, s[0:1]
	v_cmp_le_i32_e64 s[0:1], v0, v3
	s_and_b64 s[0:1], vcc, s[0:1]
	s_and_saveexec_b64 s[2:3], s[0:1]
	s_cbranch_execz .LBB261_10
; %bb.9:
	v_mul_f64 v[6:7], s[14:15], v[20:21]
	v_mul_f64 v[8:9], s[12:13], v[20:21]
	v_ashrrev_i32_e32 v1, 31, v0
	v_lshlrev_b64 v[0:1], 4, v[0:1]
	v_add_co_u32_e64 v0, s[0:1], v4, v0
	v_addc_co_u32_e64 v1, s[0:1], v5, v1, s[0:1]
	v_fma_f64 v[6:7], s[12:13], v[18:19], -v[6:7]
	v_fma_f64 v[8:9], s[14:15], v[18:19], v[8:9]
	global_store_dwordx4 v[0:1], v[6:9], off
.LBB261_10:
	s_or_b64 exec, exec, s[2:3]
	v_cmp_le_i32_e64 s[0:1], v2, v3
	s_and_b64 s[0:1], vcc, s[0:1]
	s_and_saveexec_b64 s[2:3], s[0:1]
	s_cbranch_execz .LBB261_12
; %bb.11:
	v_mul_f64 v[0:1], s[14:15], v[10:11]
	v_mul_f64 v[8:9], s[12:13], v[10:11]
	v_ashrrev_i32_e32 v3, 31, v2
	v_fma_f64 v[6:7], s[12:13], v[12:13], -v[0:1]
	v_fma_f64 v[8:9], s[14:15], v[12:13], v[8:9]
	v_lshlrev_b64 v[0:1], 4, v[2:3]
	v_add_co_u32_e32 v0, vcc, v4, v0
	v_addc_co_u32_e32 v1, vcc, v5, v1, vcc
	global_store_dwordx4 v[0:1], v[6:9], off
.LBB261_12:
	s_endpgm
	.section	.rodata,"a",@progbits
	.p2align	6, 0x0
	.amdhsa_kernel _ZL37rocblas_syrkx_herkx_restricted_kernelIi19rocblas_complex_numIdELi16ELi32ELi8ELb1ELb0ELc67ELc85EKS1_S1_EviT_T0_PT8_S3_lS6_S3_lS4_PT9_S3_li
		.amdhsa_group_segment_fixed_size 8192
		.amdhsa_private_segment_fixed_size 0
		.amdhsa_kernarg_size 116
		.amdhsa_user_sgpr_count 6
		.amdhsa_user_sgpr_private_segment_buffer 1
		.amdhsa_user_sgpr_dispatch_ptr 0
		.amdhsa_user_sgpr_queue_ptr 0
		.amdhsa_user_sgpr_kernarg_segment_ptr 1
		.amdhsa_user_sgpr_dispatch_id 0
		.amdhsa_user_sgpr_flat_scratch_init 0
		.amdhsa_user_sgpr_private_segment_size 0
		.amdhsa_uses_dynamic_stack 0
		.amdhsa_system_sgpr_private_segment_wavefront_offset 0
		.amdhsa_system_sgpr_workgroup_id_x 1
		.amdhsa_system_sgpr_workgroup_id_y 1
		.amdhsa_system_sgpr_workgroup_id_z 1
		.amdhsa_system_sgpr_workgroup_info 0
		.amdhsa_system_vgpr_workitem_id 1
		.amdhsa_next_free_vgpr 52
		.amdhsa_next_free_sgpr 61
		.amdhsa_reserve_vcc 1
		.amdhsa_reserve_flat_scratch 0
		.amdhsa_float_round_mode_32 0
		.amdhsa_float_round_mode_16_64 0
		.amdhsa_float_denorm_mode_32 3
		.amdhsa_float_denorm_mode_16_64 3
		.amdhsa_dx10_clamp 1
		.amdhsa_ieee_mode 1
		.amdhsa_fp16_overflow 0
		.amdhsa_exception_fp_ieee_invalid_op 0
		.amdhsa_exception_fp_denorm_src 0
		.amdhsa_exception_fp_ieee_div_zero 0
		.amdhsa_exception_fp_ieee_overflow 0
		.amdhsa_exception_fp_ieee_underflow 0
		.amdhsa_exception_fp_ieee_inexact 0
		.amdhsa_exception_int_div_zero 0
	.end_amdhsa_kernel
	.section	.text._ZL37rocblas_syrkx_herkx_restricted_kernelIi19rocblas_complex_numIdELi16ELi32ELi8ELb1ELb0ELc67ELc85EKS1_S1_EviT_T0_PT8_S3_lS6_S3_lS4_PT9_S3_li,"axG",@progbits,_ZL37rocblas_syrkx_herkx_restricted_kernelIi19rocblas_complex_numIdELi16ELi32ELi8ELb1ELb0ELc67ELc85EKS1_S1_EviT_T0_PT8_S3_lS6_S3_lS4_PT9_S3_li,comdat
.Lfunc_end261:
	.size	_ZL37rocblas_syrkx_herkx_restricted_kernelIi19rocblas_complex_numIdELi16ELi32ELi8ELb1ELb0ELc67ELc85EKS1_S1_EviT_T0_PT8_S3_lS6_S3_lS4_PT9_S3_li, .Lfunc_end261-_ZL37rocblas_syrkx_herkx_restricted_kernelIi19rocblas_complex_numIdELi16ELi32ELi8ELb1ELb0ELc67ELc85EKS1_S1_EviT_T0_PT8_S3_lS6_S3_lS4_PT9_S3_li
                                        ; -- End function
	.set _ZL37rocblas_syrkx_herkx_restricted_kernelIi19rocblas_complex_numIdELi16ELi32ELi8ELb1ELb0ELc67ELc85EKS1_S1_EviT_T0_PT8_S3_lS6_S3_lS4_PT9_S3_li.num_vgpr, 52
	.set _ZL37rocblas_syrkx_herkx_restricted_kernelIi19rocblas_complex_numIdELi16ELi32ELi8ELb1ELb0ELc67ELc85EKS1_S1_EviT_T0_PT8_S3_lS6_S3_lS4_PT9_S3_li.num_agpr, 0
	.set _ZL37rocblas_syrkx_herkx_restricted_kernelIi19rocblas_complex_numIdELi16ELi32ELi8ELb1ELb0ELc67ELc85EKS1_S1_EviT_T0_PT8_S3_lS6_S3_lS4_PT9_S3_li.numbered_sgpr, 24
	.set _ZL37rocblas_syrkx_herkx_restricted_kernelIi19rocblas_complex_numIdELi16ELi32ELi8ELb1ELb0ELc67ELc85EKS1_S1_EviT_T0_PT8_S3_lS6_S3_lS4_PT9_S3_li.num_named_barrier, 0
	.set _ZL37rocblas_syrkx_herkx_restricted_kernelIi19rocblas_complex_numIdELi16ELi32ELi8ELb1ELb0ELc67ELc85EKS1_S1_EviT_T0_PT8_S3_lS6_S3_lS4_PT9_S3_li.private_seg_size, 0
	.set _ZL37rocblas_syrkx_herkx_restricted_kernelIi19rocblas_complex_numIdELi16ELi32ELi8ELb1ELb0ELc67ELc85EKS1_S1_EviT_T0_PT8_S3_lS6_S3_lS4_PT9_S3_li.uses_vcc, 1
	.set _ZL37rocblas_syrkx_herkx_restricted_kernelIi19rocblas_complex_numIdELi16ELi32ELi8ELb1ELb0ELc67ELc85EKS1_S1_EviT_T0_PT8_S3_lS6_S3_lS4_PT9_S3_li.uses_flat_scratch, 0
	.set _ZL37rocblas_syrkx_herkx_restricted_kernelIi19rocblas_complex_numIdELi16ELi32ELi8ELb1ELb0ELc67ELc85EKS1_S1_EviT_T0_PT8_S3_lS6_S3_lS4_PT9_S3_li.has_dyn_sized_stack, 0
	.set _ZL37rocblas_syrkx_herkx_restricted_kernelIi19rocblas_complex_numIdELi16ELi32ELi8ELb1ELb0ELc67ELc85EKS1_S1_EviT_T0_PT8_S3_lS6_S3_lS4_PT9_S3_li.has_recursion, 0
	.set _ZL37rocblas_syrkx_herkx_restricted_kernelIi19rocblas_complex_numIdELi16ELi32ELi8ELb1ELb0ELc67ELc85EKS1_S1_EviT_T0_PT8_S3_lS6_S3_lS4_PT9_S3_li.has_indirect_call, 0
	.section	.AMDGPU.csdata,"",@progbits
; Kernel info:
; codeLenInByte = 2916
; TotalNumSgprs: 28
; NumVgprs: 52
; ScratchSize: 0
; MemoryBound: 0
; FloatMode: 240
; IeeeMode: 1
; LDSByteSize: 8192 bytes/workgroup (compile time only)
; SGPRBlocks: 8
; VGPRBlocks: 12
; NumSGPRsForWavesPerEU: 65
; NumVGPRsForWavesPerEU: 52
; Occupancy: 4
; WaveLimiterHint : 0
; COMPUTE_PGM_RSRC2:SCRATCH_EN: 0
; COMPUTE_PGM_RSRC2:USER_SGPR: 6
; COMPUTE_PGM_RSRC2:TRAP_HANDLER: 0
; COMPUTE_PGM_RSRC2:TGID_X_EN: 1
; COMPUTE_PGM_RSRC2:TGID_Y_EN: 1
; COMPUTE_PGM_RSRC2:TGID_Z_EN: 1
; COMPUTE_PGM_RSRC2:TIDIG_COMP_CNT: 1
	.section	.text._ZL37rocblas_syrkx_herkx_restricted_kernelIi19rocblas_complex_numIdELi16ELi32ELi8ELb1ELb0ELc78ELc85EKS1_S1_EviT_T0_PT8_S3_lS6_S3_lS4_PT9_S3_li,"axG",@progbits,_ZL37rocblas_syrkx_herkx_restricted_kernelIi19rocblas_complex_numIdELi16ELi32ELi8ELb1ELb0ELc78ELc85EKS1_S1_EviT_T0_PT8_S3_lS6_S3_lS4_PT9_S3_li,comdat
	.globl	_ZL37rocblas_syrkx_herkx_restricted_kernelIi19rocblas_complex_numIdELi16ELi32ELi8ELb1ELb0ELc78ELc85EKS1_S1_EviT_T0_PT8_S3_lS6_S3_lS4_PT9_S3_li ; -- Begin function _ZL37rocblas_syrkx_herkx_restricted_kernelIi19rocblas_complex_numIdELi16ELi32ELi8ELb1ELb0ELc78ELc85EKS1_S1_EviT_T0_PT8_S3_lS6_S3_lS4_PT9_S3_li
	.p2align	8
	.type	_ZL37rocblas_syrkx_herkx_restricted_kernelIi19rocblas_complex_numIdELi16ELi32ELi8ELb1ELb0ELc78ELc85EKS1_S1_EviT_T0_PT8_S3_lS6_S3_lS4_PT9_S3_li,@function
_ZL37rocblas_syrkx_herkx_restricted_kernelIi19rocblas_complex_numIdELi16ELi32ELi8ELb1ELb0ELc78ELc85EKS1_S1_EviT_T0_PT8_S3_lS6_S3_lS4_PT9_S3_li: ; @_ZL37rocblas_syrkx_herkx_restricted_kernelIi19rocblas_complex_numIdELi16ELi32ELi8ELb1ELb0ELc78ELc85EKS1_S1_EviT_T0_PT8_S3_lS6_S3_lS4_PT9_S3_li
; %bb.0:
	s_load_dwordx2 s[10:11], s[4:5], 0x0
	s_load_dwordx4 s[12:15], s[4:5], 0x8
	s_load_dwordx2 s[16:17], s[4:5], 0x18
	s_lshl_b32 s6, s6, 5
	s_lshl_b32 s7, s7, 5
	s_waitcnt lgkmcnt(0)
	s_cmp_lt_i32 s11, 1
	s_mov_b32 s9, 0
	s_cbranch_scc1 .LBB262_3
; %bb.1:
	v_lshl_add_u32 v2, v1, 4, v0
	s_load_dword s18, s[4:5], 0x20
	s_load_dword s20, s[4:5], 0x38
	s_load_dwordx2 s[22:23], s[4:5], 0x40
	s_load_dwordx4 s[0:3], s[4:5], 0x28
	v_lshrrev_b32_e32 v6, 3, v2
	v_lshrrev_b32_e32 v7, 5, v2
	v_and_b32_e32 v9, 31, v2
	v_add_u32_e32 v2, s7, v6
	v_and_b32_e32 v8, 7, v0
	v_ashrrev_i32_e32 v3, 31, v2
	s_waitcnt lgkmcnt(0)
	v_mad_i64_i32 v[4:5], s[24:25], s20, v8, v[2:3]
	v_lshlrev_b32_e32 v2, 4, v9
	v_lshl_or_b32 v22, v7, 9, v2
	v_lshlrev_b32_e32 v2, 4, v8
	v_lshl_or_b32 v2, v6, 7, v2
	v_add_u32_e32 v23, 0x1000, v2
	v_mov_b32_e32 v2, 0x1000
	v_lshl_add_u32 v25, v1, 7, v2
	v_add_u32_e32 v2, s6, v9
	v_ashrrev_i32_e32 v3, 31, v2
	v_mad_i64_i32 v[2:3], s[24:25], s18, v7, v[2:3]
	s_mul_i32 s1, s1, s8
	s_mul_hi_u32 s26, s0, s8
	s_add_i32 s1, s26, s1
	s_mul_i32 s0, s0, s8
	s_ashr_i32 s19, s18, 31
	s_ashr_i32 s21, s20, 31
	s_lshl_b64 s[0:1], s[0:1], 4
	v_lshlrev_b64 v[2:3], 4, v[2:3]
	s_add_u32 s0, s16, s0
	s_addc_u32 s1, s17, s1
	s_mul_i32 s16, s23, s8
	s_mul_hi_u32 s17, s22, s8
	v_mov_b32_e32 v6, s1
	v_add_co_u32_e32 v2, vcc, s0, v2
	s_add_i32 s17, s17, s16
	s_mul_i32 s16, s22, s8
	v_addc_co_u32_e32 v3, vcc, v6, v3, vcc
	s_lshl_b64 s[0:1], s[18:19], 7
	s_lshl_b64 s[16:17], s[16:17], 4
	v_add_co_u32_e32 v2, vcc, 8, v2
	v_lshlrev_b64 v[4:5], 4, v[4:5]
	s_add_u32 s2, s2, s16
	v_addc_co_u32_e32 v3, vcc, 0, v3, vcc
	s_addc_u32 s3, s3, s17
	v_mov_b32_e32 v6, s3
	v_add_co_u32_e32 v4, vcc, s2, v4
	v_addc_co_u32_e32 v5, vcc, v6, v5, vcc
	v_add_co_u32_e32 v4, vcc, 8, v4
	s_lshl_b64 s[2:3], s[20:21], 7
	v_mov_b32_e32 v10, 0
	v_mov_b32_e32 v12, 0
	;; [unrolled: 1-line block ×8, first 2 shown]
	v_lshlrev_b32_e32 v24, 4, v0
	v_addc_co_u32_e32 v5, vcc, 0, v5, vcc
	v_mov_b32_e32 v11, 0
	v_mov_b32_e32 v26, s1
	;; [unrolled: 1-line block ×10, first 2 shown]
.LBB262_2:                              ; =>This Inner Loop Header: Depth=1
	global_load_dwordx4 v[28:31], v[2:3], off offset:-8
	v_add_co_u32_e32 v2, vcc, s0, v2
	v_addc_co_u32_e32 v3, vcc, v3, v26, vcc
	s_add_i32 s9, s9, 8
	s_cmp_ge_i32 s9, s11
	s_waitcnt vmcnt(0)
	ds_write_b128 v22, v[28:31]
	global_load_dwordx4 v[28:31], v[4:5], off offset:-8
	v_add_co_u32_e32 v4, vcc, s2, v4
	v_addc_co_u32_e32 v5, vcc, v5, v27, vcc
	s_waitcnt vmcnt(0)
	ds_write_b128 v23, v[28:31]
	s_waitcnt lgkmcnt(0)
	s_barrier
	ds_read_b128 v[28:31], v25
	ds_read_b128 v[32:35], v25 offset:16
	ds_read_b128 v[36:39], v25 offset:32
	;; [unrolled: 1-line block ×3, first 2 shown]
	ds_read_b128 v[44:47], v24
	s_waitcnt lgkmcnt(0)
	v_mul_f64 v[48:49], v[30:31], v[46:47]
	v_mul_f64 v[50:51], v[28:29], v[46:47]
	v_fma_f64 v[48:49], v[28:29], v[44:45], -v[48:49]
	v_fma_f64 v[50:51], v[30:31], v[44:45], v[50:51]
	v_add_f64 v[48:49], v[18:19], v[48:49]
	v_add_f64 v[50:51], v[50:51], v[20:21]
	ds_read_b128 v[18:21], v24 offset:256
	s_waitcnt lgkmcnt(0)
	v_mul_f64 v[52:53], v[30:31], v[20:21]
	v_fma_f64 v[52:53], v[28:29], v[18:19], -v[52:53]
	v_mul_f64 v[28:29], v[28:29], v[20:21]
	v_fma_f64 v[28:29], v[30:31], v[18:19], v[28:29]
	v_add_f64 v[30:31], v[6:7], v[52:53]
	v_add_f64 v[28:29], v[28:29], v[8:9]
	ds_read_b128 v[6:9], v25 offset:2048
	s_waitcnt lgkmcnt(0)
	v_mul_f64 v[52:53], v[8:9], v[46:47]
	v_mul_f64 v[46:47], v[6:7], v[46:47]
	v_fma_f64 v[52:53], v[6:7], v[44:45], -v[52:53]
	v_fma_f64 v[44:45], v[8:9], v[44:45], v[46:47]
	v_add_f64 v[46:47], v[14:15], v[52:53]
	v_mul_f64 v[14:15], v[8:9], v[20:21]
	v_add_f64 v[44:45], v[44:45], v[16:17]
	v_fma_f64 v[14:15], v[6:7], v[18:19], -v[14:15]
	v_mul_f64 v[6:7], v[6:7], v[20:21]
	v_fma_f64 v[6:7], v[8:9], v[18:19], v[6:7]
	v_add_f64 v[18:19], v[12:13], v[14:15]
	v_add_f64 v[20:21], v[6:7], v[10:11]
	ds_read_b128 v[6:9], v24 offset:512
	s_waitcnt lgkmcnt(0)
	v_mul_f64 v[10:11], v[34:35], v[8:9]
	v_mul_f64 v[12:13], v[32:33], v[8:9]
	v_fma_f64 v[10:11], v[32:33], v[6:7], -v[10:11]
	v_fma_f64 v[12:13], v[34:35], v[6:7], v[12:13]
	v_add_f64 v[48:49], v[48:49], v[10:11]
	v_add_f64 v[50:51], v[12:13], v[50:51]
	ds_read_b128 v[10:13], v24 offset:768
	s_waitcnt lgkmcnt(0)
	v_mul_f64 v[14:15], v[34:35], v[12:13]
	v_mul_f64 v[16:17], v[32:33], v[12:13]
	v_fma_f64 v[14:15], v[32:33], v[10:11], -v[14:15]
	;; [unrolled: 8-line block ×3, first 2 shown]
	v_fma_f64 v[6:7], v[16:17], v[6:7], v[8:9]
	v_mul_f64 v[8:9], v[14:15], v[12:13]
	v_add_f64 v[32:33], v[46:47], v[32:33]
	v_add_f64 v[34:35], v[6:7], v[44:45]
	v_mul_f64 v[6:7], v[16:17], v[12:13]
	v_fma_f64 v[8:9], v[16:17], v[10:11], v[8:9]
	v_fma_f64 v[6:7], v[14:15], v[10:11], -v[6:7]
	v_add_f64 v[20:21], v[8:9], v[20:21]
	v_add_f64 v[18:19], v[18:19], v[6:7]
	ds_read_b128 v[6:9], v24 offset:1024
	s_waitcnt lgkmcnt(0)
	v_mul_f64 v[10:11], v[38:39], v[8:9]
	v_mul_f64 v[12:13], v[36:37], v[8:9]
	v_fma_f64 v[10:11], v[36:37], v[6:7], -v[10:11]
	v_fma_f64 v[12:13], v[38:39], v[6:7], v[12:13]
	v_add_f64 v[44:45], v[48:49], v[10:11]
	v_add_f64 v[46:47], v[12:13], v[50:51]
	ds_read_b128 v[10:13], v24 offset:1280
	s_waitcnt lgkmcnt(0)
	v_mul_f64 v[14:15], v[38:39], v[12:13]
	v_mul_f64 v[16:17], v[36:37], v[12:13]
	v_fma_f64 v[14:15], v[36:37], v[10:11], -v[14:15]
	v_fma_f64 v[16:17], v[38:39], v[10:11], v[16:17]
	;; [unrolled: 8-line block ×3, first 2 shown]
	v_mul_f64 v[8:9], v[14:15], v[12:13]
	v_add_f64 v[32:33], v[32:33], v[36:37]
	v_add_f64 v[34:35], v[6:7], v[34:35]
	v_mul_f64 v[6:7], v[16:17], v[12:13]
	v_fma_f64 v[8:9], v[16:17], v[10:11], v[8:9]
	v_fma_f64 v[6:7], v[14:15], v[10:11], -v[6:7]
	v_add_f64 v[20:21], v[8:9], v[20:21]
	v_add_f64 v[18:19], v[18:19], v[6:7]
	ds_read_b128 v[6:9], v24 offset:1536
	s_waitcnt lgkmcnt(0)
	v_mul_f64 v[10:11], v[42:43], v[8:9]
	v_mul_f64 v[12:13], v[40:41], v[8:9]
	v_fma_f64 v[10:11], v[40:41], v[6:7], -v[10:11]
	v_fma_f64 v[12:13], v[42:43], v[6:7], v[12:13]
	v_add_f64 v[36:37], v[44:45], v[10:11]
	v_add_f64 v[38:39], v[12:13], v[46:47]
	ds_read_b128 v[10:13], v24 offset:1792
	s_waitcnt lgkmcnt(0)
	v_mul_f64 v[14:15], v[42:43], v[12:13]
	v_mul_f64 v[16:17], v[40:41], v[12:13]
	v_fma_f64 v[14:15], v[40:41], v[10:11], -v[14:15]
	v_fma_f64 v[16:17], v[42:43], v[10:11], v[16:17]
	v_add_f64 v[30:31], v[30:31], v[14:15]
	v_add_f64 v[28:29], v[16:17], v[28:29]
	ds_read_b128 v[14:17], v25 offset:2096
	s_waitcnt lgkmcnt(0)
	v_mul_f64 v[40:41], v[16:17], v[8:9]
	v_mul_f64 v[8:9], v[14:15], v[8:9]
	v_fma_f64 v[40:41], v[14:15], v[6:7], -v[40:41]
	v_fma_f64 v[6:7], v[16:17], v[6:7], v[8:9]
	v_mul_f64 v[8:9], v[14:15], v[12:13]
	v_add_f64 v[32:33], v[32:33], v[40:41]
	v_add_f64 v[34:35], v[6:7], v[34:35]
	v_mul_f64 v[6:7], v[16:17], v[12:13]
	v_fma_f64 v[8:9], v[16:17], v[10:11], v[8:9]
	v_fma_f64 v[6:7], v[14:15], v[10:11], -v[6:7]
	v_add_f64 v[20:21], v[8:9], v[20:21]
	v_add_f64 v[18:19], v[18:19], v[6:7]
	ds_read_b128 v[6:9], v25 offset:64
	ds_read_b128 v[10:13], v24 offset:2048
	s_waitcnt lgkmcnt(0)
	v_mul_f64 v[14:15], v[8:9], v[12:13]
	v_mul_f64 v[16:17], v[6:7], v[12:13]
	v_fma_f64 v[14:15], v[6:7], v[10:11], -v[14:15]
	v_fma_f64 v[16:17], v[8:9], v[10:11], v[16:17]
	v_add_f64 v[36:37], v[36:37], v[14:15]
	v_add_f64 v[38:39], v[16:17], v[38:39]
	ds_read_b128 v[14:17], v24 offset:2304
	s_waitcnt lgkmcnt(0)
	v_mul_f64 v[40:41], v[8:9], v[16:17]
	v_fma_f64 v[40:41], v[6:7], v[14:15], -v[40:41]
	v_mul_f64 v[6:7], v[6:7], v[16:17]
	v_add_f64 v[30:31], v[30:31], v[40:41]
	v_fma_f64 v[6:7], v[8:9], v[14:15], v[6:7]
	v_add_f64 v[28:29], v[6:7], v[28:29]
	ds_read_b128 v[6:9], v25 offset:2112
	s_waitcnt lgkmcnt(0)
	v_mul_f64 v[40:41], v[8:9], v[12:13]
	v_mul_f64 v[12:13], v[6:7], v[12:13]
	v_fma_f64 v[40:41], v[6:7], v[10:11], -v[40:41]
	v_fma_f64 v[10:11], v[8:9], v[10:11], v[12:13]
	v_add_f64 v[32:33], v[32:33], v[40:41]
	v_add_f64 v[34:35], v[10:11], v[34:35]
	v_mul_f64 v[10:11], v[8:9], v[16:17]
	v_fma_f64 v[10:11], v[6:7], v[14:15], -v[10:11]
	v_mul_f64 v[6:7], v[6:7], v[16:17]
	v_add_f64 v[18:19], v[18:19], v[10:11]
	v_fma_f64 v[6:7], v[8:9], v[14:15], v[6:7]
	v_add_f64 v[20:21], v[6:7], v[20:21]
	ds_read_b128 v[6:9], v25 offset:80
	ds_read_b128 v[10:13], v24 offset:2560
	s_waitcnt lgkmcnt(0)
	v_mul_f64 v[14:15], v[8:9], v[12:13]
	v_mul_f64 v[16:17], v[6:7], v[12:13]
	v_fma_f64 v[14:15], v[6:7], v[10:11], -v[14:15]
	v_fma_f64 v[16:17], v[8:9], v[10:11], v[16:17]
	v_add_f64 v[36:37], v[36:37], v[14:15]
	v_add_f64 v[38:39], v[16:17], v[38:39]
	ds_read_b128 v[14:17], v24 offset:2816
	s_waitcnt lgkmcnt(0)
	v_mul_f64 v[40:41], v[8:9], v[16:17]
	v_fma_f64 v[40:41], v[6:7], v[14:15], -v[40:41]
	v_mul_f64 v[6:7], v[6:7], v[16:17]
	v_add_f64 v[30:31], v[30:31], v[40:41]
	v_fma_f64 v[6:7], v[8:9], v[14:15], v[6:7]
	v_add_f64 v[28:29], v[6:7], v[28:29]
	ds_read_b128 v[6:9], v25 offset:2128
	s_waitcnt lgkmcnt(0)
	v_mul_f64 v[40:41], v[8:9], v[12:13]
	v_mul_f64 v[12:13], v[6:7], v[12:13]
	v_fma_f64 v[40:41], v[6:7], v[10:11], -v[40:41]
	v_fma_f64 v[10:11], v[8:9], v[10:11], v[12:13]
	v_add_f64 v[32:33], v[32:33], v[40:41]
	v_add_f64 v[34:35], v[10:11], v[34:35]
	v_mul_f64 v[10:11], v[8:9], v[16:17]
	v_fma_f64 v[10:11], v[6:7], v[14:15], -v[10:11]
	v_mul_f64 v[6:7], v[6:7], v[16:17]
	v_add_f64 v[18:19], v[18:19], v[10:11]
	v_fma_f64 v[6:7], v[8:9], v[14:15], v[6:7]
	;; [unrolled: 31-line block ×3, first 2 shown]
	v_add_f64 v[50:51], v[6:7], v[20:21]
	ds_read_b128 v[6:9], v25 offset:112
	ds_read_b128 v[10:13], v24 offset:3584
	;; [unrolled: 1-line block ×4, first 2 shown]
	s_waitcnt lgkmcnt(0)
	s_barrier
	v_mul_f64 v[14:15], v[8:9], v[12:13]
	v_mul_f64 v[16:17], v[6:7], v[12:13]
	v_fma_f64 v[14:15], v[6:7], v[10:11], -v[14:15]
	v_fma_f64 v[16:17], v[8:9], v[10:11], v[16:17]
	v_add_f64 v[18:19], v[36:37], v[14:15]
	v_mul_f64 v[14:15], v[8:9], v[30:31]
	v_add_f64 v[20:21], v[16:17], v[38:39]
	v_fma_f64 v[14:15], v[6:7], v[28:29], -v[14:15]
	v_mul_f64 v[6:7], v[6:7], v[30:31]
	v_fma_f64 v[8:9], v[8:9], v[28:29], v[6:7]
	v_add_f64 v[6:7], v[40:41], v[14:15]
	v_mul_f64 v[14:15], v[34:35], v[12:13]
	v_mul_f64 v[12:13], v[32:33], v[12:13]
	v_add_f64 v[8:9], v[8:9], v[42:43]
	v_fma_f64 v[14:15], v[32:33], v[10:11], -v[14:15]
	v_fma_f64 v[10:11], v[34:35], v[10:11], v[12:13]
	v_mul_f64 v[12:13], v[32:33], v[30:31]
	v_add_f64 v[14:15], v[44:45], v[14:15]
	v_add_f64 v[16:17], v[10:11], v[46:47]
	v_mul_f64 v[10:11], v[34:35], v[30:31]
	v_fma_f64 v[10:11], v[32:33], v[28:29], -v[10:11]
	v_fma_f64 v[28:29], v[34:35], v[28:29], v[12:13]
	v_add_f64 v[12:13], v[48:49], v[10:11]
	v_add_f64 v[10:11], v[28:29], v[50:51]
	s_cbranch_scc0 .LBB262_2
	s_branch .LBB262_4
.LBB262_3:
	v_mov_b32_e32 v18, 0
	v_mov_b32_e32 v20, 0
	;; [unrolled: 1-line block ×16, first 2 shown]
.LBB262_4:
	s_load_dwordx2 s[0:1], s[4:5], 0x68
	s_load_dwordx2 s[2:3], s[4:5], 0x58
	s_load_dword s9, s[4:5], 0x60
	v_add_u32_e32 v4, s7, v1
	v_add_u32_e32 v0, s6, v0
	s_waitcnt lgkmcnt(0)
	s_mul_i32 s1, s1, s8
	s_mul_hi_u32 s4, s0, s8
	v_mad_i64_i32 v[1:2], s[16:17], v4, s9, 0
	s_mul_i32 s0, s0, s8
	s_add_i32 s1, s4, s1
	s_lshl_b64 s[0:1], s[0:1], 4
	s_add_u32 s4, s2, s0
	v_lshlrev_b64 v[1:2], 4, v[1:2]
	s_addc_u32 s5, s3, s1
	v_mov_b32_e32 v3, s5
	v_add_co_u32_e64 v5, s[0:1], s4, v1
	v_addc_co_u32_e64 v22, s[0:1], v3, v2, s[0:1]
	v_cmp_gt_i32_e32 vcc, s10, v4
	v_cmp_le_i32_e64 s[0:1], v0, v4
	s_and_b64 s[0:1], vcc, s[0:1]
	s_and_saveexec_b64 s[2:3], s[0:1]
	s_cbranch_execz .LBB262_6
; %bb.5:
	v_mul_f64 v[1:2], s[14:15], v[20:21]
	v_mul_f64 v[20:21], s[12:13], v[20:21]
	v_fma_f64 v[23:24], s[12:13], v[18:19], -v[1:2]
	v_fma_f64 v[25:26], s[14:15], v[18:19], v[20:21]
	v_ashrrev_i32_e32 v1, 31, v0
	v_lshlrev_b64 v[1:2], 4, v[0:1]
	v_add_co_u32_e64 v1, s[0:1], v5, v1
	v_addc_co_u32_e64 v2, s[0:1], v22, v2, s[0:1]
	global_store_dwordx4 v[1:2], v[23:26], off
.LBB262_6:
	s_or_b64 exec, exec, s[2:3]
	v_add_u32_e32 v2, 16, v0
	v_cmp_le_i32_e64 s[0:1], v2, v4
	s_and_b64 s[2:3], vcc, s[0:1]
	s_and_saveexec_b64 s[0:1], s[2:3]
	s_cbranch_execz .LBB262_8
; %bb.7:
	v_mul_f64 v[18:19], s[14:15], v[8:9]
	v_mul_f64 v[8:9], s[12:13], v[8:9]
	v_ashrrev_i32_e32 v3, 31, v2
	v_fma_f64 v[18:19], s[12:13], v[6:7], -v[18:19]
	v_fma_f64 v[20:21], s[14:15], v[6:7], v[8:9]
	v_lshlrev_b64 v[6:7], 4, v[2:3]
	v_add_co_u32_e32 v5, vcc, v5, v6
	v_addc_co_u32_e32 v6, vcc, v22, v7, vcc
	global_store_dwordx4 v[5:6], v[18:21], off
.LBB262_8:
	s_or_b64 exec, exec, s[0:1]
	v_add_u32_e32 v3, 16, v4
	v_mad_i64_i32 v[4:5], s[0:1], v3, s9, 0
	v_mov_b32_e32 v1, s5
	v_cmp_gt_i32_e32 vcc, s10, v3
	v_lshlrev_b64 v[4:5], 4, v[4:5]
	v_add_co_u32_e64 v4, s[0:1], s4, v4
	v_addc_co_u32_e64 v5, s[0:1], v1, v5, s[0:1]
	v_cmp_le_i32_e64 s[0:1], v0, v3
	s_and_b64 s[0:1], vcc, s[0:1]
	s_and_saveexec_b64 s[2:3], s[0:1]
	s_cbranch_execz .LBB262_10
; %bb.9:
	v_mul_f64 v[6:7], s[14:15], v[16:17]
	v_mul_f64 v[8:9], s[12:13], v[16:17]
	v_ashrrev_i32_e32 v1, 31, v0
	v_lshlrev_b64 v[0:1], 4, v[0:1]
	v_add_co_u32_e64 v0, s[0:1], v4, v0
	v_addc_co_u32_e64 v1, s[0:1], v5, v1, s[0:1]
	v_fma_f64 v[6:7], s[12:13], v[14:15], -v[6:7]
	v_fma_f64 v[8:9], s[14:15], v[14:15], v[8:9]
	global_store_dwordx4 v[0:1], v[6:9], off
.LBB262_10:
	s_or_b64 exec, exec, s[2:3]
	v_cmp_le_i32_e64 s[0:1], v2, v3
	s_and_b64 s[0:1], vcc, s[0:1]
	s_and_saveexec_b64 s[2:3], s[0:1]
	s_cbranch_execz .LBB262_12
; %bb.11:
	v_mul_f64 v[0:1], s[14:15], v[10:11]
	v_mul_f64 v[8:9], s[12:13], v[10:11]
	v_ashrrev_i32_e32 v3, 31, v2
	v_fma_f64 v[6:7], s[12:13], v[12:13], -v[0:1]
	v_fma_f64 v[8:9], s[14:15], v[12:13], v[8:9]
	v_lshlrev_b64 v[0:1], 4, v[2:3]
	v_add_co_u32_e32 v0, vcc, v4, v0
	v_addc_co_u32_e32 v1, vcc, v5, v1, vcc
	global_store_dwordx4 v[0:1], v[6:9], off
.LBB262_12:
	s_endpgm
	.section	.rodata,"a",@progbits
	.p2align	6, 0x0
	.amdhsa_kernel _ZL37rocblas_syrkx_herkx_restricted_kernelIi19rocblas_complex_numIdELi16ELi32ELi8ELb1ELb0ELc78ELc85EKS1_S1_EviT_T0_PT8_S3_lS6_S3_lS4_PT9_S3_li
		.amdhsa_group_segment_fixed_size 8192
		.amdhsa_private_segment_fixed_size 0
		.amdhsa_kernarg_size 116
		.amdhsa_user_sgpr_count 6
		.amdhsa_user_sgpr_private_segment_buffer 1
		.amdhsa_user_sgpr_dispatch_ptr 0
		.amdhsa_user_sgpr_queue_ptr 0
		.amdhsa_user_sgpr_kernarg_segment_ptr 1
		.amdhsa_user_sgpr_dispatch_id 0
		.amdhsa_user_sgpr_flat_scratch_init 0
		.amdhsa_user_sgpr_private_segment_size 0
		.amdhsa_uses_dynamic_stack 0
		.amdhsa_system_sgpr_private_segment_wavefront_offset 0
		.amdhsa_system_sgpr_workgroup_id_x 1
		.amdhsa_system_sgpr_workgroup_id_y 1
		.amdhsa_system_sgpr_workgroup_id_z 1
		.amdhsa_system_sgpr_workgroup_info 0
		.amdhsa_system_vgpr_workitem_id 1
		.amdhsa_next_free_vgpr 54
		.amdhsa_next_free_sgpr 61
		.amdhsa_reserve_vcc 1
		.amdhsa_reserve_flat_scratch 0
		.amdhsa_float_round_mode_32 0
		.amdhsa_float_round_mode_16_64 0
		.amdhsa_float_denorm_mode_32 3
		.amdhsa_float_denorm_mode_16_64 3
		.amdhsa_dx10_clamp 1
		.amdhsa_ieee_mode 1
		.amdhsa_fp16_overflow 0
		.amdhsa_exception_fp_ieee_invalid_op 0
		.amdhsa_exception_fp_denorm_src 0
		.amdhsa_exception_fp_ieee_div_zero 0
		.amdhsa_exception_fp_ieee_overflow 0
		.amdhsa_exception_fp_ieee_underflow 0
		.amdhsa_exception_fp_ieee_inexact 0
		.amdhsa_exception_int_div_zero 0
	.end_amdhsa_kernel
	.section	.text._ZL37rocblas_syrkx_herkx_restricted_kernelIi19rocblas_complex_numIdELi16ELi32ELi8ELb1ELb0ELc78ELc85EKS1_S1_EviT_T0_PT8_S3_lS6_S3_lS4_PT9_S3_li,"axG",@progbits,_ZL37rocblas_syrkx_herkx_restricted_kernelIi19rocblas_complex_numIdELi16ELi32ELi8ELb1ELb0ELc78ELc85EKS1_S1_EviT_T0_PT8_S3_lS6_S3_lS4_PT9_S3_li,comdat
.Lfunc_end262:
	.size	_ZL37rocblas_syrkx_herkx_restricted_kernelIi19rocblas_complex_numIdELi16ELi32ELi8ELb1ELb0ELc78ELc85EKS1_S1_EviT_T0_PT8_S3_lS6_S3_lS4_PT9_S3_li, .Lfunc_end262-_ZL37rocblas_syrkx_herkx_restricted_kernelIi19rocblas_complex_numIdELi16ELi32ELi8ELb1ELb0ELc78ELc85EKS1_S1_EviT_T0_PT8_S3_lS6_S3_lS4_PT9_S3_li
                                        ; -- End function
	.set _ZL37rocblas_syrkx_herkx_restricted_kernelIi19rocblas_complex_numIdELi16ELi32ELi8ELb1ELb0ELc78ELc85EKS1_S1_EviT_T0_PT8_S3_lS6_S3_lS4_PT9_S3_li.num_vgpr, 54
	.set _ZL37rocblas_syrkx_herkx_restricted_kernelIi19rocblas_complex_numIdELi16ELi32ELi8ELb1ELb0ELc78ELc85EKS1_S1_EviT_T0_PT8_S3_lS6_S3_lS4_PT9_S3_li.num_agpr, 0
	.set _ZL37rocblas_syrkx_herkx_restricted_kernelIi19rocblas_complex_numIdELi16ELi32ELi8ELb1ELb0ELc78ELc85EKS1_S1_EviT_T0_PT8_S3_lS6_S3_lS4_PT9_S3_li.numbered_sgpr, 27
	.set _ZL37rocblas_syrkx_herkx_restricted_kernelIi19rocblas_complex_numIdELi16ELi32ELi8ELb1ELb0ELc78ELc85EKS1_S1_EviT_T0_PT8_S3_lS6_S3_lS4_PT9_S3_li.num_named_barrier, 0
	.set _ZL37rocblas_syrkx_herkx_restricted_kernelIi19rocblas_complex_numIdELi16ELi32ELi8ELb1ELb0ELc78ELc85EKS1_S1_EviT_T0_PT8_S3_lS6_S3_lS4_PT9_S3_li.private_seg_size, 0
	.set _ZL37rocblas_syrkx_herkx_restricted_kernelIi19rocblas_complex_numIdELi16ELi32ELi8ELb1ELb0ELc78ELc85EKS1_S1_EviT_T0_PT8_S3_lS6_S3_lS4_PT9_S3_li.uses_vcc, 1
	.set _ZL37rocblas_syrkx_herkx_restricted_kernelIi19rocblas_complex_numIdELi16ELi32ELi8ELb1ELb0ELc78ELc85EKS1_S1_EviT_T0_PT8_S3_lS6_S3_lS4_PT9_S3_li.uses_flat_scratch, 0
	.set _ZL37rocblas_syrkx_herkx_restricted_kernelIi19rocblas_complex_numIdELi16ELi32ELi8ELb1ELb0ELc78ELc85EKS1_S1_EviT_T0_PT8_S3_lS6_S3_lS4_PT9_S3_li.has_dyn_sized_stack, 0
	.set _ZL37rocblas_syrkx_herkx_restricted_kernelIi19rocblas_complex_numIdELi16ELi32ELi8ELb1ELb0ELc78ELc85EKS1_S1_EviT_T0_PT8_S3_lS6_S3_lS4_PT9_S3_li.has_recursion, 0
	.set _ZL37rocblas_syrkx_herkx_restricted_kernelIi19rocblas_complex_numIdELi16ELi32ELi8ELb1ELb0ELc78ELc85EKS1_S1_EviT_T0_PT8_S3_lS6_S3_lS4_PT9_S3_li.has_indirect_call, 0
	.section	.AMDGPU.csdata,"",@progbits
; Kernel info:
; codeLenInByte = 2924
; TotalNumSgprs: 31
; NumVgprs: 54
; ScratchSize: 0
; MemoryBound: 0
; FloatMode: 240
; IeeeMode: 1
; LDSByteSize: 8192 bytes/workgroup (compile time only)
; SGPRBlocks: 8
; VGPRBlocks: 13
; NumSGPRsForWavesPerEU: 65
; NumVGPRsForWavesPerEU: 54
; Occupancy: 4
; WaveLimiterHint : 0
; COMPUTE_PGM_RSRC2:SCRATCH_EN: 0
; COMPUTE_PGM_RSRC2:USER_SGPR: 6
; COMPUTE_PGM_RSRC2:TRAP_HANDLER: 0
; COMPUTE_PGM_RSRC2:TGID_X_EN: 1
; COMPUTE_PGM_RSRC2:TGID_Y_EN: 1
; COMPUTE_PGM_RSRC2:TGID_Z_EN: 1
; COMPUTE_PGM_RSRC2:TIDIG_COMP_CNT: 1
	.section	.text._ZL37rocblas_syrkx_herkx_restricted_kernelIi19rocblas_complex_numIdELi16ELi32ELi8ELb0ELb0ELc84ELc76EKS1_S1_EviT_T0_PT8_S3_lS6_S3_lS4_PT9_S3_li,"axG",@progbits,_ZL37rocblas_syrkx_herkx_restricted_kernelIi19rocblas_complex_numIdELi16ELi32ELi8ELb0ELb0ELc84ELc76EKS1_S1_EviT_T0_PT8_S3_lS6_S3_lS4_PT9_S3_li,comdat
	.globl	_ZL37rocblas_syrkx_herkx_restricted_kernelIi19rocblas_complex_numIdELi16ELi32ELi8ELb0ELb0ELc84ELc76EKS1_S1_EviT_T0_PT8_S3_lS6_S3_lS4_PT9_S3_li ; -- Begin function _ZL37rocblas_syrkx_herkx_restricted_kernelIi19rocblas_complex_numIdELi16ELi32ELi8ELb0ELb0ELc84ELc76EKS1_S1_EviT_T0_PT8_S3_lS6_S3_lS4_PT9_S3_li
	.p2align	8
	.type	_ZL37rocblas_syrkx_herkx_restricted_kernelIi19rocblas_complex_numIdELi16ELi32ELi8ELb0ELb0ELc84ELc76EKS1_S1_EviT_T0_PT8_S3_lS6_S3_lS4_PT9_S3_li,@function
_ZL37rocblas_syrkx_herkx_restricted_kernelIi19rocblas_complex_numIdELi16ELi32ELi8ELb0ELb0ELc84ELc76EKS1_S1_EviT_T0_PT8_S3_lS6_S3_lS4_PT9_S3_li: ; @_ZL37rocblas_syrkx_herkx_restricted_kernelIi19rocblas_complex_numIdELi16ELi32ELi8ELb0ELb0ELc84ELc76EKS1_S1_EviT_T0_PT8_S3_lS6_S3_lS4_PT9_S3_li
; %bb.0:
	s_load_dwordx2 s[10:11], s[4:5], 0x0
	s_load_dwordx4 s[20:23], s[4:5], 0x8
	s_load_dwordx2 s[24:25], s[4:5], 0x18
	s_load_dwordx8 s[12:19], s[4:5], 0x40
	s_lshl_b32 s6, s6, 5
	s_lshl_b32 s7, s7, 5
	s_waitcnt lgkmcnt(0)
	s_cmp_lt_i32 s11, 1
	s_mov_b32 s9, 0
	s_cbranch_scc1 .LBB263_3
; %bb.1:
	s_load_dword s28, s[4:5], 0x20
	s_load_dwordx4 s[0:3], s[4:5], 0x28
	s_load_dword s26, s[4:5], 0x38
	v_lshl_add_u32 v3, v1, 4, v0
	v_lshrrev_b32_e32 v8, 3, v3
	v_lshrrev_b32_e32 v2, 5, v3
	v_and_b32_e32 v4, 7, v0
	v_and_b32_e32 v9, 31, v3
	v_add_u32_e32 v3, s7, v8
	v_mov_b32_e32 v5, 0
	s_waitcnt lgkmcnt(0)
	v_mad_i64_i32 v[6:7], s[26:27], s26, v3, v[4:5]
	v_lshlrev_b32_e32 v4, 4, v4
	v_lshl_or_b32 v4, v8, 7, v4
	v_add_u32_e32 v23, 0x1000, v4
	v_mov_b32_e32 v4, 0x1000
	v_mov_b32_e32 v3, v5
	v_lshlrev_b32_e32 v5, 4, v9
	v_lshl_add_u32 v25, v1, 7, v4
	v_add_u32_e32 v4, s6, v9
	v_lshl_or_b32 v22, v2, 9, v5
	v_mad_i64_i32 v[2:3], s[26:27], s28, v4, v[2:3]
	s_mul_i32 s1, s1, s8
	s_mul_hi_u32 s29, s0, s8
	s_add_i32 s1, s29, s1
	s_mul_i32 s0, s0, s8
	s_lshl_b64 s[0:1], s[0:1], 4
	v_lshlrev_b64 v[2:3], 4, v[2:3]
	s_add_u32 s0, s24, s0
	s_addc_u32 s1, s25, s1
	v_mov_b32_e32 v4, s1
	v_add_co_u32_e32 v2, vcc, s0, v2
	s_mul_i32 s0, s13, s8
	s_mul_hi_u32 s1, s12, s8
	s_add_i32 s1, s1, s0
	s_mul_i32 s0, s12, s8
	v_addc_co_u32_e32 v3, vcc, v4, v3, vcc
	s_lshl_b64 s[0:1], s[0:1], 4
	v_add_co_u32_e32 v2, vcc, 8, v2
	v_lshlrev_b64 v[4:5], 4, v[6:7]
	s_add_u32 s0, s2, s0
	v_addc_co_u32_e32 v3, vcc, 0, v3, vcc
	s_addc_u32 s1, s3, s1
	v_mov_b32_e32 v6, s1
	v_add_co_u32_e32 v4, vcc, s0, v4
	v_addc_co_u32_e32 v5, vcc, v6, v5, vcc
	v_mov_b32_e32 v12, 0
	v_mov_b32_e32 v10, 0
	;; [unrolled: 1-line block ×8, first 2 shown]
	v_add_co_u32_e32 v4, vcc, 8, v4
	v_lshlrev_b32_e32 v24, 4, v0
	v_mov_b32_e32 v13, 0
	v_mov_b32_e32 v11, 0
	v_mov_b32_e32 v17, 0
	v_mov_b32_e32 v15, 0
	v_mov_b32_e32 v9, 0
	v_mov_b32_e32 v7, 0
	v_mov_b32_e32 v21, 0
	v_mov_b32_e32 v19, 0
	v_addc_co_u32_e32 v5, vcc, 0, v5, vcc
.LBB263_2:                              ; =>This Inner Loop Header: Depth=1
	global_load_dwordx4 v[26:29], v[2:3], off offset:-8
	v_add_co_u32_e32 v2, vcc, 0x80, v2
	v_addc_co_u32_e32 v3, vcc, 0, v3, vcc
	s_add_i32 s9, s9, 8
	s_cmp_ge_i32 s9, s11
	s_waitcnt vmcnt(0)
	ds_write_b128 v22, v[26:29]
	global_load_dwordx4 v[26:29], v[4:5], off offset:-8
	v_add_co_u32_e32 v4, vcc, 0x80, v4
	v_addc_co_u32_e32 v5, vcc, 0, v5, vcc
	s_waitcnt vmcnt(0)
	ds_write_b128 v23, v[26:29]
	s_waitcnt lgkmcnt(0)
	s_barrier
	ds_read_b128 v[26:29], v25
	ds_read_b128 v[30:33], v25 offset:16
	ds_read_b128 v[34:37], v25 offset:32
	;; [unrolled: 1-line block ×3, first 2 shown]
	ds_read_b128 v[42:45], v24
	s_waitcnt lgkmcnt(0)
	v_mul_f64 v[46:47], v[28:29], v[44:45]
	v_mul_f64 v[48:49], v[26:27], v[44:45]
	v_fma_f64 v[46:47], v[26:27], v[42:43], -v[46:47]
	v_fma_f64 v[48:49], v[28:29], v[42:43], v[48:49]
	v_add_f64 v[46:47], v[18:19], v[46:47]
	v_add_f64 v[48:49], v[48:49], v[20:21]
	ds_read_b128 v[18:21], v24 offset:256
	s_waitcnt lgkmcnt(0)
	v_mul_f64 v[50:51], v[28:29], v[20:21]
	v_fma_f64 v[50:51], v[26:27], v[18:19], -v[50:51]
	v_mul_f64 v[26:27], v[26:27], v[20:21]
	v_fma_f64 v[26:27], v[28:29], v[18:19], v[26:27]
	v_add_f64 v[28:29], v[6:7], v[50:51]
	v_add_f64 v[26:27], v[26:27], v[8:9]
	ds_read_b128 v[6:9], v25 offset:2048
	s_waitcnt lgkmcnt(0)
	v_mul_f64 v[50:51], v[8:9], v[44:45]
	v_mul_f64 v[44:45], v[6:7], v[44:45]
	v_fma_f64 v[50:51], v[6:7], v[42:43], -v[50:51]
	v_fma_f64 v[42:43], v[8:9], v[42:43], v[44:45]
	v_add_f64 v[44:45], v[14:15], v[50:51]
	v_mul_f64 v[14:15], v[8:9], v[20:21]
	v_add_f64 v[42:43], v[42:43], v[16:17]
	v_fma_f64 v[14:15], v[6:7], v[18:19], -v[14:15]
	v_mul_f64 v[6:7], v[6:7], v[20:21]
	v_fma_f64 v[6:7], v[8:9], v[18:19], v[6:7]
	v_add_f64 v[18:19], v[10:11], v[14:15]
	v_add_f64 v[20:21], v[6:7], v[12:13]
	ds_read_b128 v[6:9], v24 offset:512
	s_waitcnt lgkmcnt(0)
	v_mul_f64 v[10:11], v[32:33], v[8:9]
	v_mul_f64 v[12:13], v[30:31], v[8:9]
	v_fma_f64 v[10:11], v[30:31], v[6:7], -v[10:11]
	v_fma_f64 v[12:13], v[32:33], v[6:7], v[12:13]
	v_add_f64 v[46:47], v[46:47], v[10:11]
	v_add_f64 v[48:49], v[12:13], v[48:49]
	ds_read_b128 v[10:13], v24 offset:768
	s_waitcnt lgkmcnt(0)
	v_mul_f64 v[14:15], v[32:33], v[12:13]
	v_mul_f64 v[16:17], v[30:31], v[12:13]
	v_fma_f64 v[14:15], v[30:31], v[10:11], -v[14:15]
	v_fma_f64 v[16:17], v[32:33], v[10:11], v[16:17]
	v_add_f64 v[28:29], v[28:29], v[14:15]
	v_add_f64 v[26:27], v[16:17], v[26:27]
	ds_read_b128 v[14:17], v25 offset:2064
	s_waitcnt lgkmcnt(0)
	v_mul_f64 v[30:31], v[16:17], v[8:9]
	v_mul_f64 v[8:9], v[14:15], v[8:9]
	v_fma_f64 v[30:31], v[14:15], v[6:7], -v[30:31]
	v_fma_f64 v[6:7], v[16:17], v[6:7], v[8:9]
	v_mul_f64 v[8:9], v[14:15], v[12:13]
	v_add_f64 v[30:31], v[44:45], v[30:31]
	v_add_f64 v[32:33], v[6:7], v[42:43]
	v_mul_f64 v[6:7], v[16:17], v[12:13]
	v_fma_f64 v[8:9], v[16:17], v[10:11], v[8:9]
	v_fma_f64 v[6:7], v[14:15], v[10:11], -v[6:7]
	v_add_f64 v[20:21], v[8:9], v[20:21]
	v_add_f64 v[18:19], v[18:19], v[6:7]
	ds_read_b128 v[6:9], v24 offset:1024
	s_waitcnt lgkmcnt(0)
	v_mul_f64 v[10:11], v[36:37], v[8:9]
	v_mul_f64 v[12:13], v[34:35], v[8:9]
	v_fma_f64 v[10:11], v[34:35], v[6:7], -v[10:11]
	v_fma_f64 v[12:13], v[36:37], v[6:7], v[12:13]
	v_add_f64 v[42:43], v[46:47], v[10:11]
	v_add_f64 v[44:45], v[12:13], v[48:49]
	ds_read_b128 v[10:13], v24 offset:1280
	s_waitcnt lgkmcnt(0)
	v_mul_f64 v[14:15], v[36:37], v[12:13]
	v_mul_f64 v[16:17], v[34:35], v[12:13]
	v_fma_f64 v[14:15], v[34:35], v[10:11], -v[14:15]
	v_fma_f64 v[16:17], v[36:37], v[10:11], v[16:17]
	;; [unrolled: 8-line block ×3, first 2 shown]
	v_mul_f64 v[8:9], v[14:15], v[12:13]
	v_add_f64 v[30:31], v[30:31], v[34:35]
	v_add_f64 v[32:33], v[6:7], v[32:33]
	v_mul_f64 v[6:7], v[16:17], v[12:13]
	v_fma_f64 v[8:9], v[16:17], v[10:11], v[8:9]
	v_fma_f64 v[6:7], v[14:15], v[10:11], -v[6:7]
	v_add_f64 v[20:21], v[8:9], v[20:21]
	v_add_f64 v[18:19], v[18:19], v[6:7]
	ds_read_b128 v[6:9], v24 offset:1536
	s_waitcnt lgkmcnt(0)
	v_mul_f64 v[10:11], v[40:41], v[8:9]
	v_mul_f64 v[12:13], v[38:39], v[8:9]
	v_fma_f64 v[10:11], v[38:39], v[6:7], -v[10:11]
	v_fma_f64 v[12:13], v[40:41], v[6:7], v[12:13]
	v_add_f64 v[34:35], v[42:43], v[10:11]
	v_add_f64 v[36:37], v[12:13], v[44:45]
	ds_read_b128 v[10:13], v24 offset:1792
	s_waitcnt lgkmcnt(0)
	v_mul_f64 v[14:15], v[40:41], v[12:13]
	v_mul_f64 v[16:17], v[38:39], v[12:13]
	v_fma_f64 v[14:15], v[38:39], v[10:11], -v[14:15]
	v_fma_f64 v[16:17], v[40:41], v[10:11], v[16:17]
	;; [unrolled: 8-line block ×3, first 2 shown]
	v_mul_f64 v[8:9], v[14:15], v[12:13]
	v_add_f64 v[30:31], v[30:31], v[38:39]
	v_add_f64 v[32:33], v[6:7], v[32:33]
	v_mul_f64 v[6:7], v[16:17], v[12:13]
	v_fma_f64 v[8:9], v[16:17], v[10:11], v[8:9]
	v_fma_f64 v[6:7], v[14:15], v[10:11], -v[6:7]
	v_add_f64 v[20:21], v[8:9], v[20:21]
	v_add_f64 v[18:19], v[18:19], v[6:7]
	ds_read_b128 v[6:9], v25 offset:64
	ds_read_b128 v[10:13], v24 offset:2048
	s_waitcnt lgkmcnt(0)
	v_mul_f64 v[14:15], v[8:9], v[12:13]
	v_mul_f64 v[16:17], v[6:7], v[12:13]
	v_fma_f64 v[14:15], v[6:7], v[10:11], -v[14:15]
	v_fma_f64 v[16:17], v[8:9], v[10:11], v[16:17]
	v_add_f64 v[34:35], v[34:35], v[14:15]
	v_add_f64 v[36:37], v[16:17], v[36:37]
	ds_read_b128 v[14:17], v24 offset:2304
	s_waitcnt lgkmcnt(0)
	v_mul_f64 v[38:39], v[8:9], v[16:17]
	v_fma_f64 v[38:39], v[6:7], v[14:15], -v[38:39]
	v_mul_f64 v[6:7], v[6:7], v[16:17]
	v_add_f64 v[28:29], v[28:29], v[38:39]
	v_fma_f64 v[6:7], v[8:9], v[14:15], v[6:7]
	v_add_f64 v[26:27], v[6:7], v[26:27]
	ds_read_b128 v[6:9], v25 offset:2112
	s_waitcnt lgkmcnt(0)
	v_mul_f64 v[38:39], v[8:9], v[12:13]
	v_mul_f64 v[12:13], v[6:7], v[12:13]
	v_fma_f64 v[38:39], v[6:7], v[10:11], -v[38:39]
	v_fma_f64 v[10:11], v[8:9], v[10:11], v[12:13]
	v_add_f64 v[30:31], v[30:31], v[38:39]
	v_add_f64 v[32:33], v[10:11], v[32:33]
	v_mul_f64 v[10:11], v[8:9], v[16:17]
	v_fma_f64 v[10:11], v[6:7], v[14:15], -v[10:11]
	v_mul_f64 v[6:7], v[6:7], v[16:17]
	v_add_f64 v[18:19], v[18:19], v[10:11]
	v_fma_f64 v[6:7], v[8:9], v[14:15], v[6:7]
	v_add_f64 v[20:21], v[6:7], v[20:21]
	ds_read_b128 v[6:9], v25 offset:80
	ds_read_b128 v[10:13], v24 offset:2560
	s_waitcnt lgkmcnt(0)
	v_mul_f64 v[14:15], v[8:9], v[12:13]
	v_mul_f64 v[16:17], v[6:7], v[12:13]
	v_fma_f64 v[14:15], v[6:7], v[10:11], -v[14:15]
	v_fma_f64 v[16:17], v[8:9], v[10:11], v[16:17]
	v_add_f64 v[34:35], v[34:35], v[14:15]
	v_add_f64 v[36:37], v[16:17], v[36:37]
	ds_read_b128 v[14:17], v24 offset:2816
	s_waitcnt lgkmcnt(0)
	v_mul_f64 v[38:39], v[8:9], v[16:17]
	v_fma_f64 v[38:39], v[6:7], v[14:15], -v[38:39]
	v_mul_f64 v[6:7], v[6:7], v[16:17]
	v_add_f64 v[28:29], v[28:29], v[38:39]
	v_fma_f64 v[6:7], v[8:9], v[14:15], v[6:7]
	v_add_f64 v[26:27], v[6:7], v[26:27]
	ds_read_b128 v[6:9], v25 offset:2128
	s_waitcnt lgkmcnt(0)
	v_mul_f64 v[38:39], v[8:9], v[12:13]
	v_mul_f64 v[12:13], v[6:7], v[12:13]
	v_fma_f64 v[38:39], v[6:7], v[10:11], -v[38:39]
	v_fma_f64 v[10:11], v[8:9], v[10:11], v[12:13]
	v_add_f64 v[30:31], v[30:31], v[38:39]
	v_add_f64 v[32:33], v[10:11], v[32:33]
	v_mul_f64 v[10:11], v[8:9], v[16:17]
	v_fma_f64 v[10:11], v[6:7], v[14:15], -v[10:11]
	v_mul_f64 v[6:7], v[6:7], v[16:17]
	v_add_f64 v[18:19], v[18:19], v[10:11]
	v_fma_f64 v[6:7], v[8:9], v[14:15], v[6:7]
	;; [unrolled: 31-line block ×3, first 2 shown]
	v_add_f64 v[48:49], v[6:7], v[20:21]
	ds_read_b128 v[6:9], v25 offset:112
	ds_read_b128 v[10:13], v24 offset:3584
	;; [unrolled: 1-line block ×4, first 2 shown]
	s_waitcnt lgkmcnt(0)
	s_barrier
	v_mul_f64 v[14:15], v[8:9], v[12:13]
	v_mul_f64 v[16:17], v[6:7], v[12:13]
	v_fma_f64 v[14:15], v[6:7], v[10:11], -v[14:15]
	v_fma_f64 v[16:17], v[8:9], v[10:11], v[16:17]
	v_add_f64 v[18:19], v[34:35], v[14:15]
	v_mul_f64 v[14:15], v[8:9], v[28:29]
	v_add_f64 v[20:21], v[16:17], v[36:37]
	v_fma_f64 v[14:15], v[6:7], v[26:27], -v[14:15]
	v_mul_f64 v[6:7], v[6:7], v[28:29]
	v_fma_f64 v[8:9], v[8:9], v[26:27], v[6:7]
	v_add_f64 v[6:7], v[38:39], v[14:15]
	v_mul_f64 v[14:15], v[32:33], v[12:13]
	v_mul_f64 v[12:13], v[30:31], v[12:13]
	v_add_f64 v[8:9], v[8:9], v[40:41]
	v_fma_f64 v[14:15], v[30:31], v[10:11], -v[14:15]
	v_fma_f64 v[10:11], v[32:33], v[10:11], v[12:13]
	v_mul_f64 v[12:13], v[30:31], v[28:29]
	v_add_f64 v[14:15], v[42:43], v[14:15]
	v_add_f64 v[16:17], v[10:11], v[44:45]
	v_mul_f64 v[10:11], v[32:33], v[28:29]
	v_fma_f64 v[12:13], v[32:33], v[26:27], v[12:13]
	v_fma_f64 v[10:11], v[30:31], v[26:27], -v[10:11]
	v_add_f64 v[12:13], v[12:13], v[48:49]
	v_add_f64 v[10:11], v[46:47], v[10:11]
	s_cbranch_scc0 .LBB263_2
	s_branch .LBB263_4
.LBB263_3:
	v_mov_b32_e32 v18, 0
	v_mov_b32_e32 v20, 0
	;; [unrolled: 1-line block ×16, first 2 shown]
.LBB263_4:
	s_load_dwordx2 s[0:1], s[4:5], 0x68
	s_load_dword s9, s[4:5], 0x60
	v_add_u32_e32 v4, s7, v1
	v_add_u32_e32 v0, s6, v0
	s_waitcnt lgkmcnt(0)
	s_mul_i32 s1, s1, s8
	s_mul_hi_u32 s2, s0, s8
	s_add_i32 s1, s2, s1
	v_mad_i64_i32 v[1:2], s[2:3], v4, s9, 0
	s_mul_i32 s0, s0, s8
	s_lshl_b64 s[0:1], s[0:1], 4
	s_add_u32 s7, s18, s0
	v_lshlrev_b64 v[1:2], 4, v[1:2]
	s_addc_u32 s8, s19, s1
	v_mov_b32_e32 v3, s8
	v_add_co_u32_e32 v5, vcc, s7, v1
	v_addc_co_u32_e32 v22, vcc, v3, v2, vcc
	v_cmp_le_i32_e64 s[0:1], v4, v0
	v_cmp_gt_i32_e32 vcc, s10, v0
	s_and_b64 s[0:1], s[0:1], vcc
	s_and_saveexec_b64 s[2:3], s[0:1]
	s_cbranch_execz .LBB263_6
; %bb.5:
	v_ashrrev_i32_e32 v1, 31, v0
	v_lshlrev_b64 v[1:2], 4, v[0:1]
	v_mul_f64 v[27:28], s[22:23], v[20:21]
	v_add_co_u32_e64 v1, s[0:1], v5, v1
	v_addc_co_u32_e64 v2, s[0:1], v22, v2, s[0:1]
	global_load_dwordx4 v[23:26], v[1:2], off
	v_mul_f64 v[20:21], s[20:21], v[20:21]
	v_fma_f64 v[27:28], s[20:21], v[18:19], -v[27:28]
	v_fma_f64 v[20:21], s[22:23], v[18:19], v[20:21]
	s_waitcnt vmcnt(0)
	v_mul_f64 v[29:30], s[16:17], v[25:26]
	v_mul_f64 v[25:26], s[14:15], v[25:26]
	v_fma_f64 v[18:19], s[14:15], v[23:24], -v[29:30]
	v_fma_f64 v[23:24], s[16:17], v[23:24], v[25:26]
	v_add_f64 v[18:19], v[27:28], v[18:19]
	v_add_f64 v[20:21], v[20:21], v[23:24]
	global_store_dwordx4 v[1:2], v[18:21], off
.LBB263_6:
	s_or_b64 exec, exec, s[2:3]
	v_add_u32_e32 v2, 16, v0
	v_cmp_le_i32_e64 s[2:3], v4, v2
	v_cmp_gt_i32_e64 s[0:1], s10, v2
	s_and_b64 s[2:3], s[2:3], s[0:1]
	s_and_saveexec_b64 s[4:5], s[2:3]
	s_cbranch_execz .LBB263_8
; %bb.7:
	v_ashrrev_i32_e32 v3, 31, v2
	v_lshlrev_b64 v[18:19], 4, v[2:3]
	v_mul_f64 v[25:26], s[22:23], v[8:9]
	v_add_co_u32_e64 v23, s[2:3], v5, v18
	v_addc_co_u32_e64 v24, s[2:3], v22, v19, s[2:3]
	global_load_dwordx4 v[18:21], v[23:24], off
	v_mul_f64 v[8:9], s[20:21], v[8:9]
	v_fma_f64 v[25:26], s[20:21], v[6:7], -v[25:26]
	v_fma_f64 v[7:8], s[22:23], v[6:7], v[8:9]
	s_waitcnt vmcnt(0)
	v_mul_f64 v[27:28], s[16:17], v[20:21]
	v_mul_f64 v[20:21], s[14:15], v[20:21]
	v_fma_f64 v[5:6], s[14:15], v[18:19], -v[27:28]
	v_fma_f64 v[18:19], s[16:17], v[18:19], v[20:21]
	v_add_f64 v[5:6], v[25:26], v[5:6]
	v_add_f64 v[7:8], v[7:8], v[18:19]
	global_store_dwordx4 v[23:24], v[5:8], off
.LBB263_8:
	s_or_b64 exec, exec, s[4:5]
	v_add_u32_e32 v3, 16, v4
	v_mad_i64_i32 v[4:5], s[2:3], v3, s9, 0
	v_mov_b32_e32 v1, s8
	v_lshlrev_b64 v[4:5], 4, v[4:5]
	v_add_co_u32_e64 v4, s[2:3], s7, v4
	v_addc_co_u32_e64 v5, s[2:3], v1, v5, s[2:3]
	v_cmp_le_i32_e64 s[2:3], v3, v0
	s_and_b64 s[4:5], s[2:3], vcc
	s_and_saveexec_b64 s[2:3], s[4:5]
	s_cbranch_execz .LBB263_10
; %bb.9:
	v_ashrrev_i32_e32 v1, 31, v0
	v_lshlrev_b64 v[0:1], 4, v[0:1]
	v_mul_f64 v[18:19], s[22:23], v[16:17]
	v_add_co_u32_e32 v0, vcc, v4, v0
	v_addc_co_u32_e32 v1, vcc, v5, v1, vcc
	global_load_dwordx4 v[6:9], v[0:1], off
	v_mul_f64 v[16:17], s[20:21], v[16:17]
	v_fma_f64 v[18:19], s[20:21], v[14:15], -v[18:19]
	v_fma_f64 v[14:15], s[22:23], v[14:15], v[16:17]
	s_waitcnt vmcnt(0)
	v_mul_f64 v[20:21], s[16:17], v[8:9]
	v_mul_f64 v[8:9], s[14:15], v[8:9]
	v_fma_f64 v[16:17], s[14:15], v[6:7], -v[20:21]
	v_fma_f64 v[8:9], s[16:17], v[6:7], v[8:9]
	v_add_f64 v[6:7], v[18:19], v[16:17]
	v_add_f64 v[8:9], v[14:15], v[8:9]
	global_store_dwordx4 v[0:1], v[6:9], off
.LBB263_10:
	s_or_b64 exec, exec, s[2:3]
	v_cmp_le_i32_e32 vcc, v3, v2
	s_and_b64 s[0:1], vcc, s[0:1]
	s_and_saveexec_b64 s[2:3], s[0:1]
	s_cbranch_execz .LBB263_12
; %bb.11:
	v_ashrrev_i32_e32 v3, 31, v2
	v_lshlrev_b64 v[0:1], 4, v[2:3]
	v_mul_f64 v[6:7], s[22:23], v[12:13]
	v_add_co_u32_e32 v4, vcc, v4, v0
	v_addc_co_u32_e32 v5, vcc, v5, v1, vcc
	global_load_dwordx4 v[0:3], v[4:5], off
	v_mul_f64 v[8:9], s[20:21], v[12:13]
	v_fma_f64 v[6:7], s[20:21], v[10:11], -v[6:7]
	v_fma_f64 v[8:9], s[22:23], v[10:11], v[8:9]
	s_waitcnt vmcnt(0)
	v_mul_f64 v[12:13], s[16:17], v[2:3]
	v_mul_f64 v[2:3], s[14:15], v[2:3]
	v_fma_f64 v[10:11], s[14:15], v[0:1], -v[12:13]
	v_fma_f64 v[2:3], s[16:17], v[0:1], v[2:3]
	v_add_f64 v[0:1], v[6:7], v[10:11]
	v_add_f64 v[2:3], v[8:9], v[2:3]
	global_store_dwordx4 v[4:5], v[0:3], off
.LBB263_12:
	s_endpgm
	.section	.rodata,"a",@progbits
	.p2align	6, 0x0
	.amdhsa_kernel _ZL37rocblas_syrkx_herkx_restricted_kernelIi19rocblas_complex_numIdELi16ELi32ELi8ELb0ELb0ELc84ELc76EKS1_S1_EviT_T0_PT8_S3_lS6_S3_lS4_PT9_S3_li
		.amdhsa_group_segment_fixed_size 8192
		.amdhsa_private_segment_fixed_size 0
		.amdhsa_kernarg_size 116
		.amdhsa_user_sgpr_count 6
		.amdhsa_user_sgpr_private_segment_buffer 1
		.amdhsa_user_sgpr_dispatch_ptr 0
		.amdhsa_user_sgpr_queue_ptr 0
		.amdhsa_user_sgpr_kernarg_segment_ptr 1
		.amdhsa_user_sgpr_dispatch_id 0
		.amdhsa_user_sgpr_flat_scratch_init 0
		.amdhsa_user_sgpr_private_segment_size 0
		.amdhsa_uses_dynamic_stack 0
		.amdhsa_system_sgpr_private_segment_wavefront_offset 0
		.amdhsa_system_sgpr_workgroup_id_x 1
		.amdhsa_system_sgpr_workgroup_id_y 1
		.amdhsa_system_sgpr_workgroup_id_z 1
		.amdhsa_system_sgpr_workgroup_info 0
		.amdhsa_system_vgpr_workitem_id 1
		.amdhsa_next_free_vgpr 52
		.amdhsa_next_free_sgpr 61
		.amdhsa_reserve_vcc 1
		.amdhsa_reserve_flat_scratch 0
		.amdhsa_float_round_mode_32 0
		.amdhsa_float_round_mode_16_64 0
		.amdhsa_float_denorm_mode_32 3
		.amdhsa_float_denorm_mode_16_64 3
		.amdhsa_dx10_clamp 1
		.amdhsa_ieee_mode 1
		.amdhsa_fp16_overflow 0
		.amdhsa_exception_fp_ieee_invalid_op 0
		.amdhsa_exception_fp_denorm_src 0
		.amdhsa_exception_fp_ieee_div_zero 0
		.amdhsa_exception_fp_ieee_overflow 0
		.amdhsa_exception_fp_ieee_underflow 0
		.amdhsa_exception_fp_ieee_inexact 0
		.amdhsa_exception_int_div_zero 0
	.end_amdhsa_kernel
	.section	.text._ZL37rocblas_syrkx_herkx_restricted_kernelIi19rocblas_complex_numIdELi16ELi32ELi8ELb0ELb0ELc84ELc76EKS1_S1_EviT_T0_PT8_S3_lS6_S3_lS4_PT9_S3_li,"axG",@progbits,_ZL37rocblas_syrkx_herkx_restricted_kernelIi19rocblas_complex_numIdELi16ELi32ELi8ELb0ELb0ELc84ELc76EKS1_S1_EviT_T0_PT8_S3_lS6_S3_lS4_PT9_S3_li,comdat
.Lfunc_end263:
	.size	_ZL37rocblas_syrkx_herkx_restricted_kernelIi19rocblas_complex_numIdELi16ELi32ELi8ELb0ELb0ELc84ELc76EKS1_S1_EviT_T0_PT8_S3_lS6_S3_lS4_PT9_S3_li, .Lfunc_end263-_ZL37rocblas_syrkx_herkx_restricted_kernelIi19rocblas_complex_numIdELi16ELi32ELi8ELb0ELb0ELc84ELc76EKS1_S1_EviT_T0_PT8_S3_lS6_S3_lS4_PT9_S3_li
                                        ; -- End function
	.set _ZL37rocblas_syrkx_herkx_restricted_kernelIi19rocblas_complex_numIdELi16ELi32ELi8ELb0ELb0ELc84ELc76EKS1_S1_EviT_T0_PT8_S3_lS6_S3_lS4_PT9_S3_li.num_vgpr, 52
	.set _ZL37rocblas_syrkx_herkx_restricted_kernelIi19rocblas_complex_numIdELi16ELi32ELi8ELb0ELb0ELc84ELc76EKS1_S1_EviT_T0_PT8_S3_lS6_S3_lS4_PT9_S3_li.num_agpr, 0
	.set _ZL37rocblas_syrkx_herkx_restricted_kernelIi19rocblas_complex_numIdELi16ELi32ELi8ELb0ELb0ELc84ELc76EKS1_S1_EviT_T0_PT8_S3_lS6_S3_lS4_PT9_S3_li.numbered_sgpr, 30
	.set _ZL37rocblas_syrkx_herkx_restricted_kernelIi19rocblas_complex_numIdELi16ELi32ELi8ELb0ELb0ELc84ELc76EKS1_S1_EviT_T0_PT8_S3_lS6_S3_lS4_PT9_S3_li.num_named_barrier, 0
	.set _ZL37rocblas_syrkx_herkx_restricted_kernelIi19rocblas_complex_numIdELi16ELi32ELi8ELb0ELb0ELc84ELc76EKS1_S1_EviT_T0_PT8_S3_lS6_S3_lS4_PT9_S3_li.private_seg_size, 0
	.set _ZL37rocblas_syrkx_herkx_restricted_kernelIi19rocblas_complex_numIdELi16ELi32ELi8ELb0ELb0ELc84ELc76EKS1_S1_EviT_T0_PT8_S3_lS6_S3_lS4_PT9_S3_li.uses_vcc, 1
	.set _ZL37rocblas_syrkx_herkx_restricted_kernelIi19rocblas_complex_numIdELi16ELi32ELi8ELb0ELb0ELc84ELc76EKS1_S1_EviT_T0_PT8_S3_lS6_S3_lS4_PT9_S3_li.uses_flat_scratch, 0
	.set _ZL37rocblas_syrkx_herkx_restricted_kernelIi19rocblas_complex_numIdELi16ELi32ELi8ELb0ELb0ELc84ELc76EKS1_S1_EviT_T0_PT8_S3_lS6_S3_lS4_PT9_S3_li.has_dyn_sized_stack, 0
	.set _ZL37rocblas_syrkx_herkx_restricted_kernelIi19rocblas_complex_numIdELi16ELi32ELi8ELb0ELb0ELc84ELc76EKS1_S1_EviT_T0_PT8_S3_lS6_S3_lS4_PT9_S3_li.has_recursion, 0
	.set _ZL37rocblas_syrkx_herkx_restricted_kernelIi19rocblas_complex_numIdELi16ELi32ELi8ELb0ELb0ELc84ELc76EKS1_S1_EviT_T0_PT8_S3_lS6_S3_lS4_PT9_S3_li.has_indirect_call, 0
	.section	.AMDGPU.csdata,"",@progbits
; Kernel info:
; codeLenInByte = 3132
; TotalNumSgprs: 34
; NumVgprs: 52
; ScratchSize: 0
; MemoryBound: 0
; FloatMode: 240
; IeeeMode: 1
; LDSByteSize: 8192 bytes/workgroup (compile time only)
; SGPRBlocks: 8
; VGPRBlocks: 12
; NumSGPRsForWavesPerEU: 65
; NumVGPRsForWavesPerEU: 52
; Occupancy: 4
; WaveLimiterHint : 0
; COMPUTE_PGM_RSRC2:SCRATCH_EN: 0
; COMPUTE_PGM_RSRC2:USER_SGPR: 6
; COMPUTE_PGM_RSRC2:TRAP_HANDLER: 0
; COMPUTE_PGM_RSRC2:TGID_X_EN: 1
; COMPUTE_PGM_RSRC2:TGID_Y_EN: 1
; COMPUTE_PGM_RSRC2:TGID_Z_EN: 1
; COMPUTE_PGM_RSRC2:TIDIG_COMP_CNT: 1
	.section	.text._ZL37rocblas_syrkx_herkx_restricted_kernelIi19rocblas_complex_numIdELi16ELi32ELi8ELb0ELb0ELc67ELc76EKS1_S1_EviT_T0_PT8_S3_lS6_S3_lS4_PT9_S3_li,"axG",@progbits,_ZL37rocblas_syrkx_herkx_restricted_kernelIi19rocblas_complex_numIdELi16ELi32ELi8ELb0ELb0ELc67ELc76EKS1_S1_EviT_T0_PT8_S3_lS6_S3_lS4_PT9_S3_li,comdat
	.globl	_ZL37rocblas_syrkx_herkx_restricted_kernelIi19rocblas_complex_numIdELi16ELi32ELi8ELb0ELb0ELc67ELc76EKS1_S1_EviT_T0_PT8_S3_lS6_S3_lS4_PT9_S3_li ; -- Begin function _ZL37rocblas_syrkx_herkx_restricted_kernelIi19rocblas_complex_numIdELi16ELi32ELi8ELb0ELb0ELc67ELc76EKS1_S1_EviT_T0_PT8_S3_lS6_S3_lS4_PT9_S3_li
	.p2align	8
	.type	_ZL37rocblas_syrkx_herkx_restricted_kernelIi19rocblas_complex_numIdELi16ELi32ELi8ELb0ELb0ELc67ELc76EKS1_S1_EviT_T0_PT8_S3_lS6_S3_lS4_PT9_S3_li,@function
_ZL37rocblas_syrkx_herkx_restricted_kernelIi19rocblas_complex_numIdELi16ELi32ELi8ELb0ELb0ELc67ELc76EKS1_S1_EviT_T0_PT8_S3_lS6_S3_lS4_PT9_S3_li: ; @_ZL37rocblas_syrkx_herkx_restricted_kernelIi19rocblas_complex_numIdELi16ELi32ELi8ELb0ELb0ELc67ELc76EKS1_S1_EviT_T0_PT8_S3_lS6_S3_lS4_PT9_S3_li
; %bb.0:
	s_load_dwordx2 s[10:11], s[4:5], 0x0
	s_load_dwordx4 s[20:23], s[4:5], 0x8
	s_load_dwordx2 s[24:25], s[4:5], 0x18
	s_load_dwordx8 s[12:19], s[4:5], 0x40
	s_lshl_b32 s6, s6, 5
	s_lshl_b32 s7, s7, 5
	s_waitcnt lgkmcnt(0)
	s_cmp_lt_i32 s11, 1
	s_mov_b32 s9, 0
	s_cbranch_scc1 .LBB264_3
; %bb.1:
	s_load_dword s28, s[4:5], 0x20
	s_load_dwordx4 s[0:3], s[4:5], 0x28
	s_load_dword s26, s[4:5], 0x38
	v_lshl_add_u32 v3, v1, 4, v0
	v_lshrrev_b32_e32 v8, 3, v3
	v_lshrrev_b32_e32 v2, 5, v3
	v_and_b32_e32 v4, 7, v0
	v_and_b32_e32 v9, 31, v3
	v_add_u32_e32 v3, s7, v8
	v_mov_b32_e32 v5, 0
	s_waitcnt lgkmcnt(0)
	v_mad_i64_i32 v[6:7], s[26:27], s26, v3, v[4:5]
	v_lshlrev_b32_e32 v4, 4, v4
	v_lshl_or_b32 v4, v8, 7, v4
	v_add_u32_e32 v23, 0x1000, v4
	v_mov_b32_e32 v4, 0x1000
	v_mov_b32_e32 v3, v5
	v_lshlrev_b32_e32 v5, 4, v9
	v_lshl_add_u32 v25, v1, 7, v4
	v_add_u32_e32 v4, s6, v9
	v_lshl_or_b32 v22, v2, 9, v5
	v_mad_i64_i32 v[2:3], s[26:27], s28, v4, v[2:3]
	s_mul_i32 s1, s1, s8
	s_mul_hi_u32 s29, s0, s8
	s_add_i32 s1, s29, s1
	s_mul_i32 s0, s0, s8
	s_lshl_b64 s[0:1], s[0:1], 4
	v_lshlrev_b64 v[2:3], 4, v[2:3]
	s_add_u32 s0, s24, s0
	s_addc_u32 s1, s25, s1
	v_mov_b32_e32 v4, s1
	v_add_co_u32_e32 v2, vcc, s0, v2
	s_mul_i32 s0, s13, s8
	s_mul_hi_u32 s1, s12, s8
	s_add_i32 s1, s1, s0
	s_mul_i32 s0, s12, s8
	v_addc_co_u32_e32 v3, vcc, v4, v3, vcc
	s_lshl_b64 s[0:1], s[0:1], 4
	v_add_co_u32_e32 v2, vcc, 8, v2
	v_lshlrev_b64 v[4:5], 4, v[6:7]
	s_add_u32 s0, s2, s0
	v_addc_co_u32_e32 v3, vcc, 0, v3, vcc
	s_addc_u32 s1, s3, s1
	v_mov_b32_e32 v6, s1
	v_add_co_u32_e32 v4, vcc, s0, v4
	v_addc_co_u32_e32 v5, vcc, v6, v5, vcc
	v_mov_b32_e32 v12, 0
	v_mov_b32_e32 v10, 0
	v_mov_b32_e32 v16, 0
	v_mov_b32_e32 v14, 0
	v_mov_b32_e32 v8, 0
	v_mov_b32_e32 v6, 0
	v_mov_b32_e32 v20, 0
	v_mov_b32_e32 v18, 0
	v_add_co_u32_e32 v4, vcc, 8, v4
	v_lshlrev_b32_e32 v24, 4, v0
	v_mov_b32_e32 v13, 0
	v_mov_b32_e32 v11, 0
	;; [unrolled: 1-line block ×8, first 2 shown]
	v_addc_co_u32_e32 v5, vcc, 0, v5, vcc
.LBB264_2:                              ; =>This Inner Loop Header: Depth=1
	global_load_dwordx4 v[26:29], v[2:3], off offset:-8
	v_add_co_u32_e32 v2, vcc, 0x80, v2
	v_addc_co_u32_e32 v3, vcc, 0, v3, vcc
	s_add_i32 s9, s9, 8
	s_cmp_ge_i32 s9, s11
	s_waitcnt vmcnt(0)
	ds_write_b128 v22, v[26:29]
	global_load_dwordx4 v[26:29], v[4:5], off offset:-8
	v_add_co_u32_e32 v4, vcc, 0x80, v4
	v_addc_co_u32_e32 v5, vcc, 0, v5, vcc
	s_waitcnt vmcnt(0)
	ds_write_b128 v23, v[26:29]
	s_waitcnt lgkmcnt(0)
	s_barrier
	ds_read_b128 v[26:29], v25
	ds_read_b128 v[30:33], v25 offset:16
	ds_read_b128 v[34:37], v25 offset:32
	;; [unrolled: 1-line block ×3, first 2 shown]
	ds_read_b128 v[42:45], v24
	s_waitcnt lgkmcnt(0)
	v_mul_f64 v[46:47], v[28:29], v[44:45]
	v_mul_f64 v[48:49], v[26:27], v[44:45]
	v_fma_f64 v[46:47], v[26:27], v[42:43], -v[46:47]
	v_fma_f64 v[48:49], v[28:29], v[42:43], v[48:49]
	v_add_f64 v[46:47], v[18:19], v[46:47]
	v_add_f64 v[48:49], v[48:49], v[20:21]
	ds_read_b128 v[18:21], v24 offset:256
	s_waitcnt lgkmcnt(0)
	v_mul_f64 v[50:51], v[28:29], v[20:21]
	v_fma_f64 v[50:51], v[26:27], v[18:19], -v[50:51]
	v_mul_f64 v[26:27], v[26:27], v[20:21]
	v_fma_f64 v[26:27], v[28:29], v[18:19], v[26:27]
	v_add_f64 v[28:29], v[6:7], v[50:51]
	v_add_f64 v[26:27], v[26:27], v[8:9]
	ds_read_b128 v[6:9], v25 offset:2048
	s_waitcnt lgkmcnt(0)
	v_mul_f64 v[50:51], v[8:9], v[44:45]
	v_mul_f64 v[44:45], v[6:7], v[44:45]
	v_fma_f64 v[50:51], v[6:7], v[42:43], -v[50:51]
	v_fma_f64 v[42:43], v[8:9], v[42:43], v[44:45]
	v_add_f64 v[44:45], v[14:15], v[50:51]
	v_mul_f64 v[14:15], v[8:9], v[20:21]
	v_add_f64 v[42:43], v[42:43], v[16:17]
	v_fma_f64 v[14:15], v[6:7], v[18:19], -v[14:15]
	v_mul_f64 v[6:7], v[6:7], v[20:21]
	v_fma_f64 v[6:7], v[8:9], v[18:19], v[6:7]
	v_add_f64 v[18:19], v[10:11], v[14:15]
	v_add_f64 v[20:21], v[6:7], v[12:13]
	ds_read_b128 v[6:9], v24 offset:512
	s_waitcnt lgkmcnt(0)
	v_mul_f64 v[10:11], v[32:33], v[8:9]
	v_mul_f64 v[12:13], v[30:31], v[8:9]
	v_fma_f64 v[10:11], v[30:31], v[6:7], -v[10:11]
	v_fma_f64 v[12:13], v[32:33], v[6:7], v[12:13]
	v_add_f64 v[46:47], v[46:47], v[10:11]
	v_add_f64 v[48:49], v[12:13], v[48:49]
	ds_read_b128 v[10:13], v24 offset:768
	s_waitcnt lgkmcnt(0)
	v_mul_f64 v[14:15], v[32:33], v[12:13]
	v_mul_f64 v[16:17], v[30:31], v[12:13]
	v_fma_f64 v[14:15], v[30:31], v[10:11], -v[14:15]
	;; [unrolled: 8-line block ×3, first 2 shown]
	v_fma_f64 v[6:7], v[16:17], v[6:7], v[8:9]
	v_mul_f64 v[8:9], v[14:15], v[12:13]
	v_add_f64 v[30:31], v[44:45], v[30:31]
	v_add_f64 v[32:33], v[6:7], v[42:43]
	v_mul_f64 v[6:7], v[16:17], v[12:13]
	v_fma_f64 v[8:9], v[16:17], v[10:11], v[8:9]
	v_fma_f64 v[6:7], v[14:15], v[10:11], -v[6:7]
	v_add_f64 v[20:21], v[8:9], v[20:21]
	v_add_f64 v[18:19], v[18:19], v[6:7]
	ds_read_b128 v[6:9], v24 offset:1024
	s_waitcnt lgkmcnt(0)
	v_mul_f64 v[10:11], v[36:37], v[8:9]
	v_mul_f64 v[12:13], v[34:35], v[8:9]
	v_fma_f64 v[10:11], v[34:35], v[6:7], -v[10:11]
	v_fma_f64 v[12:13], v[36:37], v[6:7], v[12:13]
	v_add_f64 v[42:43], v[46:47], v[10:11]
	v_add_f64 v[44:45], v[12:13], v[48:49]
	ds_read_b128 v[10:13], v24 offset:1280
	s_waitcnt lgkmcnt(0)
	v_mul_f64 v[14:15], v[36:37], v[12:13]
	v_mul_f64 v[16:17], v[34:35], v[12:13]
	v_fma_f64 v[14:15], v[34:35], v[10:11], -v[14:15]
	v_fma_f64 v[16:17], v[36:37], v[10:11], v[16:17]
	;; [unrolled: 8-line block ×3, first 2 shown]
	v_mul_f64 v[8:9], v[14:15], v[12:13]
	v_add_f64 v[30:31], v[30:31], v[34:35]
	v_add_f64 v[32:33], v[6:7], v[32:33]
	v_mul_f64 v[6:7], v[16:17], v[12:13]
	v_fma_f64 v[8:9], v[16:17], v[10:11], v[8:9]
	v_fma_f64 v[6:7], v[14:15], v[10:11], -v[6:7]
	v_add_f64 v[20:21], v[8:9], v[20:21]
	v_add_f64 v[18:19], v[18:19], v[6:7]
	ds_read_b128 v[6:9], v24 offset:1536
	s_waitcnt lgkmcnt(0)
	v_mul_f64 v[10:11], v[40:41], v[8:9]
	v_mul_f64 v[12:13], v[38:39], v[8:9]
	v_fma_f64 v[10:11], v[38:39], v[6:7], -v[10:11]
	v_fma_f64 v[12:13], v[40:41], v[6:7], v[12:13]
	v_add_f64 v[34:35], v[42:43], v[10:11]
	v_add_f64 v[36:37], v[12:13], v[44:45]
	ds_read_b128 v[10:13], v24 offset:1792
	s_waitcnt lgkmcnt(0)
	v_mul_f64 v[14:15], v[40:41], v[12:13]
	v_mul_f64 v[16:17], v[38:39], v[12:13]
	v_fma_f64 v[14:15], v[38:39], v[10:11], -v[14:15]
	v_fma_f64 v[16:17], v[40:41], v[10:11], v[16:17]
	;; [unrolled: 8-line block ×3, first 2 shown]
	v_mul_f64 v[8:9], v[14:15], v[12:13]
	v_add_f64 v[30:31], v[30:31], v[38:39]
	v_add_f64 v[32:33], v[6:7], v[32:33]
	v_mul_f64 v[6:7], v[16:17], v[12:13]
	v_fma_f64 v[8:9], v[16:17], v[10:11], v[8:9]
	v_fma_f64 v[6:7], v[14:15], v[10:11], -v[6:7]
	v_add_f64 v[20:21], v[8:9], v[20:21]
	v_add_f64 v[18:19], v[18:19], v[6:7]
	ds_read_b128 v[6:9], v25 offset:64
	ds_read_b128 v[10:13], v24 offset:2048
	s_waitcnt lgkmcnt(0)
	v_mul_f64 v[14:15], v[8:9], v[12:13]
	v_mul_f64 v[16:17], v[6:7], v[12:13]
	v_fma_f64 v[14:15], v[6:7], v[10:11], -v[14:15]
	v_fma_f64 v[16:17], v[8:9], v[10:11], v[16:17]
	v_add_f64 v[34:35], v[34:35], v[14:15]
	v_add_f64 v[36:37], v[16:17], v[36:37]
	ds_read_b128 v[14:17], v24 offset:2304
	s_waitcnt lgkmcnt(0)
	v_mul_f64 v[38:39], v[8:9], v[16:17]
	v_fma_f64 v[38:39], v[6:7], v[14:15], -v[38:39]
	v_mul_f64 v[6:7], v[6:7], v[16:17]
	v_add_f64 v[28:29], v[28:29], v[38:39]
	v_fma_f64 v[6:7], v[8:9], v[14:15], v[6:7]
	v_add_f64 v[26:27], v[6:7], v[26:27]
	ds_read_b128 v[6:9], v25 offset:2112
	s_waitcnt lgkmcnt(0)
	v_mul_f64 v[38:39], v[8:9], v[12:13]
	v_mul_f64 v[12:13], v[6:7], v[12:13]
	v_fma_f64 v[38:39], v[6:7], v[10:11], -v[38:39]
	v_fma_f64 v[10:11], v[8:9], v[10:11], v[12:13]
	v_add_f64 v[30:31], v[30:31], v[38:39]
	v_add_f64 v[32:33], v[10:11], v[32:33]
	v_mul_f64 v[10:11], v[8:9], v[16:17]
	v_fma_f64 v[10:11], v[6:7], v[14:15], -v[10:11]
	v_mul_f64 v[6:7], v[6:7], v[16:17]
	v_add_f64 v[18:19], v[18:19], v[10:11]
	v_fma_f64 v[6:7], v[8:9], v[14:15], v[6:7]
	v_add_f64 v[20:21], v[6:7], v[20:21]
	ds_read_b128 v[6:9], v25 offset:80
	ds_read_b128 v[10:13], v24 offset:2560
	s_waitcnt lgkmcnt(0)
	v_mul_f64 v[14:15], v[8:9], v[12:13]
	v_mul_f64 v[16:17], v[6:7], v[12:13]
	v_fma_f64 v[14:15], v[6:7], v[10:11], -v[14:15]
	v_fma_f64 v[16:17], v[8:9], v[10:11], v[16:17]
	v_add_f64 v[34:35], v[34:35], v[14:15]
	v_add_f64 v[36:37], v[16:17], v[36:37]
	ds_read_b128 v[14:17], v24 offset:2816
	s_waitcnt lgkmcnt(0)
	v_mul_f64 v[38:39], v[8:9], v[16:17]
	v_fma_f64 v[38:39], v[6:7], v[14:15], -v[38:39]
	v_mul_f64 v[6:7], v[6:7], v[16:17]
	v_add_f64 v[28:29], v[28:29], v[38:39]
	v_fma_f64 v[6:7], v[8:9], v[14:15], v[6:7]
	v_add_f64 v[26:27], v[6:7], v[26:27]
	ds_read_b128 v[6:9], v25 offset:2128
	s_waitcnt lgkmcnt(0)
	v_mul_f64 v[38:39], v[8:9], v[12:13]
	v_mul_f64 v[12:13], v[6:7], v[12:13]
	v_fma_f64 v[38:39], v[6:7], v[10:11], -v[38:39]
	v_fma_f64 v[10:11], v[8:9], v[10:11], v[12:13]
	v_add_f64 v[30:31], v[30:31], v[38:39]
	v_add_f64 v[32:33], v[10:11], v[32:33]
	v_mul_f64 v[10:11], v[8:9], v[16:17]
	v_fma_f64 v[10:11], v[6:7], v[14:15], -v[10:11]
	v_mul_f64 v[6:7], v[6:7], v[16:17]
	v_add_f64 v[18:19], v[18:19], v[10:11]
	v_fma_f64 v[6:7], v[8:9], v[14:15], v[6:7]
	;; [unrolled: 31-line block ×3, first 2 shown]
	v_add_f64 v[48:49], v[6:7], v[20:21]
	ds_read_b128 v[6:9], v25 offset:112
	ds_read_b128 v[10:13], v24 offset:3584
	;; [unrolled: 1-line block ×4, first 2 shown]
	s_waitcnt lgkmcnt(0)
	s_barrier
	v_mul_f64 v[14:15], v[8:9], v[12:13]
	v_mul_f64 v[16:17], v[6:7], v[12:13]
	v_fma_f64 v[14:15], v[6:7], v[10:11], -v[14:15]
	v_fma_f64 v[16:17], v[8:9], v[10:11], v[16:17]
	v_add_f64 v[18:19], v[34:35], v[14:15]
	v_mul_f64 v[14:15], v[8:9], v[28:29]
	v_add_f64 v[20:21], v[16:17], v[36:37]
	v_fma_f64 v[14:15], v[6:7], v[26:27], -v[14:15]
	v_mul_f64 v[6:7], v[6:7], v[28:29]
	v_fma_f64 v[8:9], v[8:9], v[26:27], v[6:7]
	v_add_f64 v[6:7], v[38:39], v[14:15]
	v_mul_f64 v[14:15], v[32:33], v[12:13]
	v_mul_f64 v[12:13], v[30:31], v[12:13]
	v_add_f64 v[8:9], v[8:9], v[40:41]
	v_fma_f64 v[14:15], v[30:31], v[10:11], -v[14:15]
	v_fma_f64 v[10:11], v[32:33], v[10:11], v[12:13]
	v_mul_f64 v[12:13], v[30:31], v[28:29]
	v_add_f64 v[14:15], v[42:43], v[14:15]
	v_add_f64 v[16:17], v[10:11], v[44:45]
	v_mul_f64 v[10:11], v[32:33], v[28:29]
	v_fma_f64 v[12:13], v[32:33], v[26:27], v[12:13]
	v_fma_f64 v[10:11], v[30:31], v[26:27], -v[10:11]
	v_add_f64 v[12:13], v[12:13], v[48:49]
	v_add_f64 v[10:11], v[46:47], v[10:11]
	s_cbranch_scc0 .LBB264_2
	s_branch .LBB264_4
.LBB264_3:
	v_mov_b32_e32 v18, 0
	v_mov_b32_e32 v20, 0
	;; [unrolled: 1-line block ×16, first 2 shown]
.LBB264_4:
	s_load_dwordx2 s[0:1], s[4:5], 0x68
	s_load_dword s9, s[4:5], 0x60
	v_add_u32_e32 v4, s7, v1
	v_add_u32_e32 v0, s6, v0
	s_waitcnt lgkmcnt(0)
	s_mul_i32 s1, s1, s8
	s_mul_hi_u32 s2, s0, s8
	s_add_i32 s1, s2, s1
	v_mad_i64_i32 v[1:2], s[2:3], v4, s9, 0
	s_mul_i32 s0, s0, s8
	s_lshl_b64 s[0:1], s[0:1], 4
	s_add_u32 s7, s18, s0
	v_lshlrev_b64 v[1:2], 4, v[1:2]
	s_addc_u32 s8, s19, s1
	v_mov_b32_e32 v3, s8
	v_add_co_u32_e32 v5, vcc, s7, v1
	v_addc_co_u32_e32 v22, vcc, v3, v2, vcc
	v_cmp_le_i32_e64 s[0:1], v4, v0
	v_cmp_gt_i32_e32 vcc, s10, v0
	s_and_b64 s[0:1], s[0:1], vcc
	s_and_saveexec_b64 s[2:3], s[0:1]
	s_cbranch_execz .LBB264_6
; %bb.5:
	v_ashrrev_i32_e32 v1, 31, v0
	v_lshlrev_b64 v[1:2], 4, v[0:1]
	v_mul_f64 v[27:28], s[22:23], v[20:21]
	v_add_co_u32_e64 v1, s[0:1], v5, v1
	v_addc_co_u32_e64 v2, s[0:1], v22, v2, s[0:1]
	global_load_dwordx4 v[23:26], v[1:2], off
	v_mul_f64 v[20:21], s[20:21], v[20:21]
	v_fma_f64 v[27:28], s[20:21], v[18:19], -v[27:28]
	v_fma_f64 v[20:21], s[22:23], v[18:19], v[20:21]
	s_waitcnt vmcnt(0)
	v_mul_f64 v[29:30], s[16:17], v[25:26]
	v_mul_f64 v[25:26], s[14:15], v[25:26]
	v_fma_f64 v[18:19], s[14:15], v[23:24], -v[29:30]
	v_fma_f64 v[23:24], s[16:17], v[23:24], v[25:26]
	v_add_f64 v[18:19], v[27:28], v[18:19]
	v_add_f64 v[20:21], v[20:21], v[23:24]
	global_store_dwordx4 v[1:2], v[18:21], off
.LBB264_6:
	s_or_b64 exec, exec, s[2:3]
	v_add_u32_e32 v2, 16, v0
	v_cmp_le_i32_e64 s[2:3], v4, v2
	v_cmp_gt_i32_e64 s[0:1], s10, v2
	s_and_b64 s[2:3], s[2:3], s[0:1]
	s_and_saveexec_b64 s[4:5], s[2:3]
	s_cbranch_execz .LBB264_8
; %bb.7:
	v_ashrrev_i32_e32 v3, 31, v2
	v_lshlrev_b64 v[18:19], 4, v[2:3]
	v_mul_f64 v[25:26], s[22:23], v[8:9]
	v_add_co_u32_e64 v23, s[2:3], v5, v18
	v_addc_co_u32_e64 v24, s[2:3], v22, v19, s[2:3]
	global_load_dwordx4 v[18:21], v[23:24], off
	v_mul_f64 v[8:9], s[20:21], v[8:9]
	v_fma_f64 v[25:26], s[20:21], v[6:7], -v[25:26]
	v_fma_f64 v[7:8], s[22:23], v[6:7], v[8:9]
	s_waitcnt vmcnt(0)
	v_mul_f64 v[27:28], s[16:17], v[20:21]
	v_mul_f64 v[20:21], s[14:15], v[20:21]
	v_fma_f64 v[5:6], s[14:15], v[18:19], -v[27:28]
	v_fma_f64 v[18:19], s[16:17], v[18:19], v[20:21]
	v_add_f64 v[5:6], v[25:26], v[5:6]
	v_add_f64 v[7:8], v[7:8], v[18:19]
	global_store_dwordx4 v[23:24], v[5:8], off
.LBB264_8:
	s_or_b64 exec, exec, s[4:5]
	v_add_u32_e32 v3, 16, v4
	v_mad_i64_i32 v[4:5], s[2:3], v3, s9, 0
	v_mov_b32_e32 v1, s8
	v_lshlrev_b64 v[4:5], 4, v[4:5]
	v_add_co_u32_e64 v4, s[2:3], s7, v4
	v_addc_co_u32_e64 v5, s[2:3], v1, v5, s[2:3]
	v_cmp_le_i32_e64 s[2:3], v3, v0
	s_and_b64 s[4:5], s[2:3], vcc
	s_and_saveexec_b64 s[2:3], s[4:5]
	s_cbranch_execz .LBB264_10
; %bb.9:
	v_ashrrev_i32_e32 v1, 31, v0
	v_lshlrev_b64 v[0:1], 4, v[0:1]
	v_mul_f64 v[18:19], s[22:23], v[16:17]
	v_add_co_u32_e32 v0, vcc, v4, v0
	v_addc_co_u32_e32 v1, vcc, v5, v1, vcc
	global_load_dwordx4 v[6:9], v[0:1], off
	v_mul_f64 v[16:17], s[20:21], v[16:17]
	v_fma_f64 v[18:19], s[20:21], v[14:15], -v[18:19]
	v_fma_f64 v[14:15], s[22:23], v[14:15], v[16:17]
	s_waitcnt vmcnt(0)
	v_mul_f64 v[20:21], s[16:17], v[8:9]
	v_mul_f64 v[8:9], s[14:15], v[8:9]
	v_fma_f64 v[16:17], s[14:15], v[6:7], -v[20:21]
	v_fma_f64 v[8:9], s[16:17], v[6:7], v[8:9]
	v_add_f64 v[6:7], v[18:19], v[16:17]
	v_add_f64 v[8:9], v[14:15], v[8:9]
	global_store_dwordx4 v[0:1], v[6:9], off
.LBB264_10:
	s_or_b64 exec, exec, s[2:3]
	v_cmp_le_i32_e32 vcc, v3, v2
	s_and_b64 s[0:1], vcc, s[0:1]
	s_and_saveexec_b64 s[2:3], s[0:1]
	s_cbranch_execz .LBB264_12
; %bb.11:
	v_ashrrev_i32_e32 v3, 31, v2
	v_lshlrev_b64 v[0:1], 4, v[2:3]
	v_mul_f64 v[6:7], s[22:23], v[12:13]
	v_add_co_u32_e32 v4, vcc, v4, v0
	v_addc_co_u32_e32 v5, vcc, v5, v1, vcc
	global_load_dwordx4 v[0:3], v[4:5], off
	v_mul_f64 v[8:9], s[20:21], v[12:13]
	v_fma_f64 v[6:7], s[20:21], v[10:11], -v[6:7]
	v_fma_f64 v[8:9], s[22:23], v[10:11], v[8:9]
	s_waitcnt vmcnt(0)
	v_mul_f64 v[12:13], s[16:17], v[2:3]
	v_mul_f64 v[2:3], s[14:15], v[2:3]
	v_fma_f64 v[10:11], s[14:15], v[0:1], -v[12:13]
	v_fma_f64 v[2:3], s[16:17], v[0:1], v[2:3]
	v_add_f64 v[0:1], v[6:7], v[10:11]
	v_add_f64 v[2:3], v[8:9], v[2:3]
	global_store_dwordx4 v[4:5], v[0:3], off
.LBB264_12:
	s_endpgm
	.section	.rodata,"a",@progbits
	.p2align	6, 0x0
	.amdhsa_kernel _ZL37rocblas_syrkx_herkx_restricted_kernelIi19rocblas_complex_numIdELi16ELi32ELi8ELb0ELb0ELc67ELc76EKS1_S1_EviT_T0_PT8_S3_lS6_S3_lS4_PT9_S3_li
		.amdhsa_group_segment_fixed_size 8192
		.amdhsa_private_segment_fixed_size 0
		.amdhsa_kernarg_size 116
		.amdhsa_user_sgpr_count 6
		.amdhsa_user_sgpr_private_segment_buffer 1
		.amdhsa_user_sgpr_dispatch_ptr 0
		.amdhsa_user_sgpr_queue_ptr 0
		.amdhsa_user_sgpr_kernarg_segment_ptr 1
		.amdhsa_user_sgpr_dispatch_id 0
		.amdhsa_user_sgpr_flat_scratch_init 0
		.amdhsa_user_sgpr_private_segment_size 0
		.amdhsa_uses_dynamic_stack 0
		.amdhsa_system_sgpr_private_segment_wavefront_offset 0
		.amdhsa_system_sgpr_workgroup_id_x 1
		.amdhsa_system_sgpr_workgroup_id_y 1
		.amdhsa_system_sgpr_workgroup_id_z 1
		.amdhsa_system_sgpr_workgroup_info 0
		.amdhsa_system_vgpr_workitem_id 1
		.amdhsa_next_free_vgpr 52
		.amdhsa_next_free_sgpr 61
		.amdhsa_reserve_vcc 1
		.amdhsa_reserve_flat_scratch 0
		.amdhsa_float_round_mode_32 0
		.amdhsa_float_round_mode_16_64 0
		.amdhsa_float_denorm_mode_32 3
		.amdhsa_float_denorm_mode_16_64 3
		.amdhsa_dx10_clamp 1
		.amdhsa_ieee_mode 1
		.amdhsa_fp16_overflow 0
		.amdhsa_exception_fp_ieee_invalid_op 0
		.amdhsa_exception_fp_denorm_src 0
		.amdhsa_exception_fp_ieee_div_zero 0
		.amdhsa_exception_fp_ieee_overflow 0
		.amdhsa_exception_fp_ieee_underflow 0
		.amdhsa_exception_fp_ieee_inexact 0
		.amdhsa_exception_int_div_zero 0
	.end_amdhsa_kernel
	.section	.text._ZL37rocblas_syrkx_herkx_restricted_kernelIi19rocblas_complex_numIdELi16ELi32ELi8ELb0ELb0ELc67ELc76EKS1_S1_EviT_T0_PT8_S3_lS6_S3_lS4_PT9_S3_li,"axG",@progbits,_ZL37rocblas_syrkx_herkx_restricted_kernelIi19rocblas_complex_numIdELi16ELi32ELi8ELb0ELb0ELc67ELc76EKS1_S1_EviT_T0_PT8_S3_lS6_S3_lS4_PT9_S3_li,comdat
.Lfunc_end264:
	.size	_ZL37rocblas_syrkx_herkx_restricted_kernelIi19rocblas_complex_numIdELi16ELi32ELi8ELb0ELb0ELc67ELc76EKS1_S1_EviT_T0_PT8_S3_lS6_S3_lS4_PT9_S3_li, .Lfunc_end264-_ZL37rocblas_syrkx_herkx_restricted_kernelIi19rocblas_complex_numIdELi16ELi32ELi8ELb0ELb0ELc67ELc76EKS1_S1_EviT_T0_PT8_S3_lS6_S3_lS4_PT9_S3_li
                                        ; -- End function
	.set _ZL37rocblas_syrkx_herkx_restricted_kernelIi19rocblas_complex_numIdELi16ELi32ELi8ELb0ELb0ELc67ELc76EKS1_S1_EviT_T0_PT8_S3_lS6_S3_lS4_PT9_S3_li.num_vgpr, 52
	.set _ZL37rocblas_syrkx_herkx_restricted_kernelIi19rocblas_complex_numIdELi16ELi32ELi8ELb0ELb0ELc67ELc76EKS1_S1_EviT_T0_PT8_S3_lS6_S3_lS4_PT9_S3_li.num_agpr, 0
	.set _ZL37rocblas_syrkx_herkx_restricted_kernelIi19rocblas_complex_numIdELi16ELi32ELi8ELb0ELb0ELc67ELc76EKS1_S1_EviT_T0_PT8_S3_lS6_S3_lS4_PT9_S3_li.numbered_sgpr, 30
	.set _ZL37rocblas_syrkx_herkx_restricted_kernelIi19rocblas_complex_numIdELi16ELi32ELi8ELb0ELb0ELc67ELc76EKS1_S1_EviT_T0_PT8_S3_lS6_S3_lS4_PT9_S3_li.num_named_barrier, 0
	.set _ZL37rocblas_syrkx_herkx_restricted_kernelIi19rocblas_complex_numIdELi16ELi32ELi8ELb0ELb0ELc67ELc76EKS1_S1_EviT_T0_PT8_S3_lS6_S3_lS4_PT9_S3_li.private_seg_size, 0
	.set _ZL37rocblas_syrkx_herkx_restricted_kernelIi19rocblas_complex_numIdELi16ELi32ELi8ELb0ELb0ELc67ELc76EKS1_S1_EviT_T0_PT8_S3_lS6_S3_lS4_PT9_S3_li.uses_vcc, 1
	.set _ZL37rocblas_syrkx_herkx_restricted_kernelIi19rocblas_complex_numIdELi16ELi32ELi8ELb0ELb0ELc67ELc76EKS1_S1_EviT_T0_PT8_S3_lS6_S3_lS4_PT9_S3_li.uses_flat_scratch, 0
	.set _ZL37rocblas_syrkx_herkx_restricted_kernelIi19rocblas_complex_numIdELi16ELi32ELi8ELb0ELb0ELc67ELc76EKS1_S1_EviT_T0_PT8_S3_lS6_S3_lS4_PT9_S3_li.has_dyn_sized_stack, 0
	.set _ZL37rocblas_syrkx_herkx_restricted_kernelIi19rocblas_complex_numIdELi16ELi32ELi8ELb0ELb0ELc67ELc76EKS1_S1_EviT_T0_PT8_S3_lS6_S3_lS4_PT9_S3_li.has_recursion, 0
	.set _ZL37rocblas_syrkx_herkx_restricted_kernelIi19rocblas_complex_numIdELi16ELi32ELi8ELb0ELb0ELc67ELc76EKS1_S1_EviT_T0_PT8_S3_lS6_S3_lS4_PT9_S3_li.has_indirect_call, 0
	.section	.AMDGPU.csdata,"",@progbits
; Kernel info:
; codeLenInByte = 3132
; TotalNumSgprs: 34
; NumVgprs: 52
; ScratchSize: 0
; MemoryBound: 0
; FloatMode: 240
; IeeeMode: 1
; LDSByteSize: 8192 bytes/workgroup (compile time only)
; SGPRBlocks: 8
; VGPRBlocks: 12
; NumSGPRsForWavesPerEU: 65
; NumVGPRsForWavesPerEU: 52
; Occupancy: 4
; WaveLimiterHint : 0
; COMPUTE_PGM_RSRC2:SCRATCH_EN: 0
; COMPUTE_PGM_RSRC2:USER_SGPR: 6
; COMPUTE_PGM_RSRC2:TRAP_HANDLER: 0
; COMPUTE_PGM_RSRC2:TGID_X_EN: 1
; COMPUTE_PGM_RSRC2:TGID_Y_EN: 1
; COMPUTE_PGM_RSRC2:TGID_Z_EN: 1
; COMPUTE_PGM_RSRC2:TIDIG_COMP_CNT: 1
	.section	.text._ZL37rocblas_syrkx_herkx_restricted_kernelIi19rocblas_complex_numIdELi16ELi32ELi8ELb0ELb0ELc78ELc76EKS1_S1_EviT_T0_PT8_S3_lS6_S3_lS4_PT9_S3_li,"axG",@progbits,_ZL37rocblas_syrkx_herkx_restricted_kernelIi19rocblas_complex_numIdELi16ELi32ELi8ELb0ELb0ELc78ELc76EKS1_S1_EviT_T0_PT8_S3_lS6_S3_lS4_PT9_S3_li,comdat
	.globl	_ZL37rocblas_syrkx_herkx_restricted_kernelIi19rocblas_complex_numIdELi16ELi32ELi8ELb0ELb0ELc78ELc76EKS1_S1_EviT_T0_PT8_S3_lS6_S3_lS4_PT9_S3_li ; -- Begin function _ZL37rocblas_syrkx_herkx_restricted_kernelIi19rocblas_complex_numIdELi16ELi32ELi8ELb0ELb0ELc78ELc76EKS1_S1_EviT_T0_PT8_S3_lS6_S3_lS4_PT9_S3_li
	.p2align	8
	.type	_ZL37rocblas_syrkx_herkx_restricted_kernelIi19rocblas_complex_numIdELi16ELi32ELi8ELb0ELb0ELc78ELc76EKS1_S1_EviT_T0_PT8_S3_lS6_S3_lS4_PT9_S3_li,@function
_ZL37rocblas_syrkx_herkx_restricted_kernelIi19rocblas_complex_numIdELi16ELi32ELi8ELb0ELb0ELc78ELc76EKS1_S1_EviT_T0_PT8_S3_lS6_S3_lS4_PT9_S3_li: ; @_ZL37rocblas_syrkx_herkx_restricted_kernelIi19rocblas_complex_numIdELi16ELi32ELi8ELb0ELb0ELc78ELc76EKS1_S1_EviT_T0_PT8_S3_lS6_S3_lS4_PT9_S3_li
; %bb.0:
	s_load_dwordx2 s[10:11], s[4:5], 0x0
	s_load_dwordx4 s[20:23], s[4:5], 0x8
	s_load_dwordx2 s[24:25], s[4:5], 0x18
	s_load_dwordx8 s[12:19], s[4:5], 0x40
	s_lshl_b32 s6, s6, 5
	s_lshl_b32 s7, s7, 5
	s_waitcnt lgkmcnt(0)
	s_cmp_lt_i32 s11, 1
	s_mov_b32 s9, 0
	s_cbranch_scc1 .LBB265_3
; %bb.1:
	s_load_dword s26, s[4:5], 0x20
	s_load_dword s28, s[4:5], 0x38
	s_load_dwordx4 s[0:3], s[4:5], 0x28
	v_lshl_add_u32 v2, v1, 4, v0
	v_lshrrev_b32_e32 v6, 3, v2
	v_lshrrev_b32_e32 v7, 5, v2
	v_and_b32_e32 v9, 31, v2
	v_add_u32_e32 v2, s7, v6
	v_and_b32_e32 v8, 7, v0
	v_ashrrev_i32_e32 v3, 31, v2
	s_waitcnt lgkmcnt(0)
	v_mad_i64_i32 v[4:5], s[30:31], s28, v8, v[2:3]
	v_lshlrev_b32_e32 v2, 4, v9
	v_lshl_or_b32 v22, v7, 9, v2
	v_lshlrev_b32_e32 v2, 4, v8
	v_lshl_or_b32 v2, v6, 7, v2
	v_add_u32_e32 v23, 0x1000, v2
	v_mov_b32_e32 v2, 0x1000
	v_lshl_add_u32 v25, v1, 7, v2
	v_add_u32_e32 v2, s6, v9
	v_ashrrev_i32_e32 v3, 31, v2
	v_mad_i64_i32 v[2:3], s[30:31], s26, v7, v[2:3]
	s_mul_i32 s1, s1, s8
	s_mul_hi_u32 s33, s0, s8
	s_add_i32 s1, s33, s1
	s_mul_i32 s0, s0, s8
	s_ashr_i32 s27, s26, 31
	s_ashr_i32 s29, s28, 31
	s_lshl_b64 s[0:1], s[0:1], 4
	v_lshlrev_b64 v[2:3], 4, v[2:3]
	s_add_u32 s0, s24, s0
	s_addc_u32 s1, s25, s1
	s_mul_i32 s13, s13, s8
	s_mul_hi_u32 s24, s12, s8
	v_mov_b32_e32 v6, s1
	v_add_co_u32_e32 v2, vcc, s0, v2
	s_add_i32 s13, s24, s13
	s_mul_i32 s12, s12, s8
	v_addc_co_u32_e32 v3, vcc, v6, v3, vcc
	s_lshl_b64 s[0:1], s[26:27], 7
	s_lshl_b64 s[12:13], s[12:13], 4
	v_add_co_u32_e32 v2, vcc, 8, v2
	v_lshlrev_b64 v[4:5], 4, v[4:5]
	s_add_u32 s2, s2, s12
	v_addc_co_u32_e32 v3, vcc, 0, v3, vcc
	s_addc_u32 s3, s3, s13
	v_mov_b32_e32 v6, s3
	v_add_co_u32_e32 v4, vcc, s2, v4
	v_addc_co_u32_e32 v5, vcc, v6, v5, vcc
	v_add_co_u32_e32 v4, vcc, 8, v4
	s_lshl_b64 s[2:3], s[28:29], 7
	v_mov_b32_e32 v8, 0
	v_mov_b32_e32 v6, 0
	v_mov_b32_e32 v16, 0
	v_mov_b32_e32 v14, 0
	v_mov_b32_e32 v12, 0
	v_mov_b32_e32 v10, 0
	v_mov_b32_e32 v20, 0
	v_mov_b32_e32 v18, 0
	v_lshlrev_b32_e32 v24, 4, v0
	v_addc_co_u32_e32 v5, vcc, 0, v5, vcc
	v_mov_b32_e32 v9, 0
	v_mov_b32_e32 v26, s1
	v_mov_b32_e32 v7, 0
	v_mov_b32_e32 v17, 0
	v_mov_b32_e32 v15, 0
	v_mov_b32_e32 v13, 0
	v_mov_b32_e32 v11, 0
	v_mov_b32_e32 v21, 0
	v_mov_b32_e32 v19, 0
	v_mov_b32_e32 v27, s3
.LBB265_2:                              ; =>This Inner Loop Header: Depth=1
	global_load_dwordx4 v[28:31], v[2:3], off offset:-8
	v_add_co_u32_e32 v2, vcc, s0, v2
	v_addc_co_u32_e32 v3, vcc, v3, v26, vcc
	s_add_i32 s9, s9, 8
	s_cmp_ge_i32 s9, s11
	s_waitcnt vmcnt(0)
	ds_write_b128 v22, v[28:31]
	global_load_dwordx4 v[28:31], v[4:5], off offset:-8
	v_add_co_u32_e32 v4, vcc, s2, v4
	v_addc_co_u32_e32 v5, vcc, v5, v27, vcc
	s_waitcnt vmcnt(0)
	ds_write_b128 v23, v[28:31]
	s_waitcnt lgkmcnt(0)
	s_barrier
	ds_read_b128 v[28:31], v25
	ds_read_b128 v[32:35], v25 offset:16
	ds_read_b128 v[36:39], v25 offset:32
	;; [unrolled: 1-line block ×3, first 2 shown]
	ds_read_b128 v[44:47], v24
	s_waitcnt lgkmcnt(0)
	v_mul_f64 v[48:49], v[30:31], v[46:47]
	v_mul_f64 v[50:51], v[28:29], v[46:47]
	v_fma_f64 v[48:49], v[28:29], v[44:45], -v[48:49]
	v_fma_f64 v[50:51], v[30:31], v[44:45], v[50:51]
	v_add_f64 v[48:49], v[18:19], v[48:49]
	v_add_f64 v[50:51], v[50:51], v[20:21]
	ds_read_b128 v[18:21], v24 offset:256
	s_waitcnt lgkmcnt(0)
	v_mul_f64 v[52:53], v[30:31], v[20:21]
	v_fma_f64 v[52:53], v[28:29], v[18:19], -v[52:53]
	v_mul_f64 v[28:29], v[28:29], v[20:21]
	v_fma_f64 v[28:29], v[30:31], v[18:19], v[28:29]
	v_add_f64 v[30:31], v[10:11], v[52:53]
	v_add_f64 v[28:29], v[28:29], v[12:13]
	ds_read_b128 v[10:13], v25 offset:2048
	s_waitcnt lgkmcnt(0)
	v_mul_f64 v[52:53], v[12:13], v[46:47]
	v_mul_f64 v[46:47], v[10:11], v[46:47]
	v_fma_f64 v[52:53], v[10:11], v[44:45], -v[52:53]
	v_fma_f64 v[44:45], v[12:13], v[44:45], v[46:47]
	v_add_f64 v[46:47], v[14:15], v[52:53]
	v_mul_f64 v[14:15], v[12:13], v[20:21]
	v_add_f64 v[44:45], v[44:45], v[16:17]
	v_fma_f64 v[14:15], v[10:11], v[18:19], -v[14:15]
	v_mul_f64 v[10:11], v[10:11], v[20:21]
	v_fma_f64 v[10:11], v[12:13], v[18:19], v[10:11]
	v_add_f64 v[18:19], v[6:7], v[14:15]
	v_add_f64 v[20:21], v[10:11], v[8:9]
	ds_read_b128 v[6:9], v24 offset:512
	s_waitcnt lgkmcnt(0)
	v_mul_f64 v[10:11], v[34:35], v[8:9]
	v_mul_f64 v[12:13], v[32:33], v[8:9]
	v_fma_f64 v[10:11], v[32:33], v[6:7], -v[10:11]
	v_fma_f64 v[12:13], v[34:35], v[6:7], v[12:13]
	v_add_f64 v[48:49], v[48:49], v[10:11]
	v_add_f64 v[50:51], v[12:13], v[50:51]
	ds_read_b128 v[10:13], v24 offset:768
	s_waitcnt lgkmcnt(0)
	v_mul_f64 v[14:15], v[34:35], v[12:13]
	v_mul_f64 v[16:17], v[32:33], v[12:13]
	v_fma_f64 v[14:15], v[32:33], v[10:11], -v[14:15]
	;; [unrolled: 8-line block ×3, first 2 shown]
	v_fma_f64 v[6:7], v[16:17], v[6:7], v[8:9]
	v_mul_f64 v[8:9], v[14:15], v[12:13]
	v_add_f64 v[32:33], v[46:47], v[32:33]
	v_add_f64 v[34:35], v[6:7], v[44:45]
	v_mul_f64 v[6:7], v[16:17], v[12:13]
	v_fma_f64 v[8:9], v[16:17], v[10:11], v[8:9]
	v_fma_f64 v[6:7], v[14:15], v[10:11], -v[6:7]
	v_add_f64 v[20:21], v[8:9], v[20:21]
	v_add_f64 v[18:19], v[18:19], v[6:7]
	ds_read_b128 v[6:9], v24 offset:1024
	s_waitcnt lgkmcnt(0)
	v_mul_f64 v[10:11], v[38:39], v[8:9]
	v_mul_f64 v[12:13], v[36:37], v[8:9]
	v_fma_f64 v[10:11], v[36:37], v[6:7], -v[10:11]
	v_fma_f64 v[12:13], v[38:39], v[6:7], v[12:13]
	v_add_f64 v[44:45], v[48:49], v[10:11]
	v_add_f64 v[46:47], v[12:13], v[50:51]
	ds_read_b128 v[10:13], v24 offset:1280
	s_waitcnt lgkmcnt(0)
	v_mul_f64 v[14:15], v[38:39], v[12:13]
	v_mul_f64 v[16:17], v[36:37], v[12:13]
	v_fma_f64 v[14:15], v[36:37], v[10:11], -v[14:15]
	v_fma_f64 v[16:17], v[38:39], v[10:11], v[16:17]
	;; [unrolled: 8-line block ×3, first 2 shown]
	v_mul_f64 v[8:9], v[14:15], v[12:13]
	v_add_f64 v[32:33], v[32:33], v[36:37]
	v_add_f64 v[34:35], v[6:7], v[34:35]
	v_mul_f64 v[6:7], v[16:17], v[12:13]
	v_fma_f64 v[8:9], v[16:17], v[10:11], v[8:9]
	v_fma_f64 v[6:7], v[14:15], v[10:11], -v[6:7]
	v_add_f64 v[20:21], v[8:9], v[20:21]
	v_add_f64 v[18:19], v[18:19], v[6:7]
	ds_read_b128 v[6:9], v24 offset:1536
	s_waitcnt lgkmcnt(0)
	v_mul_f64 v[10:11], v[42:43], v[8:9]
	v_mul_f64 v[12:13], v[40:41], v[8:9]
	v_fma_f64 v[10:11], v[40:41], v[6:7], -v[10:11]
	v_fma_f64 v[12:13], v[42:43], v[6:7], v[12:13]
	v_add_f64 v[36:37], v[44:45], v[10:11]
	v_add_f64 v[38:39], v[12:13], v[46:47]
	ds_read_b128 v[10:13], v24 offset:1792
	s_waitcnt lgkmcnt(0)
	v_mul_f64 v[14:15], v[42:43], v[12:13]
	v_mul_f64 v[16:17], v[40:41], v[12:13]
	v_fma_f64 v[14:15], v[40:41], v[10:11], -v[14:15]
	v_fma_f64 v[16:17], v[42:43], v[10:11], v[16:17]
	;; [unrolled: 8-line block ×3, first 2 shown]
	v_mul_f64 v[8:9], v[14:15], v[12:13]
	v_add_f64 v[32:33], v[32:33], v[40:41]
	v_add_f64 v[34:35], v[6:7], v[34:35]
	v_mul_f64 v[6:7], v[16:17], v[12:13]
	v_fma_f64 v[8:9], v[16:17], v[10:11], v[8:9]
	v_fma_f64 v[6:7], v[14:15], v[10:11], -v[6:7]
	v_add_f64 v[20:21], v[8:9], v[20:21]
	v_add_f64 v[18:19], v[18:19], v[6:7]
	ds_read_b128 v[6:9], v25 offset:64
	ds_read_b128 v[10:13], v24 offset:2048
	s_waitcnt lgkmcnt(0)
	v_mul_f64 v[14:15], v[8:9], v[12:13]
	v_mul_f64 v[16:17], v[6:7], v[12:13]
	v_fma_f64 v[14:15], v[6:7], v[10:11], -v[14:15]
	v_fma_f64 v[16:17], v[8:9], v[10:11], v[16:17]
	v_add_f64 v[36:37], v[36:37], v[14:15]
	v_add_f64 v[38:39], v[16:17], v[38:39]
	ds_read_b128 v[14:17], v24 offset:2304
	s_waitcnt lgkmcnt(0)
	v_mul_f64 v[40:41], v[8:9], v[16:17]
	v_fma_f64 v[40:41], v[6:7], v[14:15], -v[40:41]
	v_mul_f64 v[6:7], v[6:7], v[16:17]
	v_add_f64 v[30:31], v[30:31], v[40:41]
	v_fma_f64 v[6:7], v[8:9], v[14:15], v[6:7]
	v_add_f64 v[28:29], v[6:7], v[28:29]
	ds_read_b128 v[6:9], v25 offset:2112
	s_waitcnt lgkmcnt(0)
	v_mul_f64 v[40:41], v[8:9], v[12:13]
	v_mul_f64 v[12:13], v[6:7], v[12:13]
	v_fma_f64 v[40:41], v[6:7], v[10:11], -v[40:41]
	v_fma_f64 v[10:11], v[8:9], v[10:11], v[12:13]
	v_add_f64 v[32:33], v[32:33], v[40:41]
	v_add_f64 v[34:35], v[10:11], v[34:35]
	v_mul_f64 v[10:11], v[8:9], v[16:17]
	v_fma_f64 v[10:11], v[6:7], v[14:15], -v[10:11]
	v_mul_f64 v[6:7], v[6:7], v[16:17]
	v_add_f64 v[18:19], v[18:19], v[10:11]
	v_fma_f64 v[6:7], v[8:9], v[14:15], v[6:7]
	v_add_f64 v[20:21], v[6:7], v[20:21]
	ds_read_b128 v[6:9], v25 offset:80
	ds_read_b128 v[10:13], v24 offset:2560
	s_waitcnt lgkmcnt(0)
	v_mul_f64 v[14:15], v[8:9], v[12:13]
	v_mul_f64 v[16:17], v[6:7], v[12:13]
	v_fma_f64 v[14:15], v[6:7], v[10:11], -v[14:15]
	v_fma_f64 v[16:17], v[8:9], v[10:11], v[16:17]
	v_add_f64 v[36:37], v[36:37], v[14:15]
	v_add_f64 v[38:39], v[16:17], v[38:39]
	ds_read_b128 v[14:17], v24 offset:2816
	s_waitcnt lgkmcnt(0)
	v_mul_f64 v[40:41], v[8:9], v[16:17]
	v_fma_f64 v[40:41], v[6:7], v[14:15], -v[40:41]
	v_mul_f64 v[6:7], v[6:7], v[16:17]
	v_add_f64 v[30:31], v[30:31], v[40:41]
	v_fma_f64 v[6:7], v[8:9], v[14:15], v[6:7]
	v_add_f64 v[28:29], v[6:7], v[28:29]
	ds_read_b128 v[6:9], v25 offset:2128
	s_waitcnt lgkmcnt(0)
	v_mul_f64 v[40:41], v[8:9], v[12:13]
	v_mul_f64 v[12:13], v[6:7], v[12:13]
	v_fma_f64 v[40:41], v[6:7], v[10:11], -v[40:41]
	v_fma_f64 v[10:11], v[8:9], v[10:11], v[12:13]
	v_add_f64 v[32:33], v[32:33], v[40:41]
	v_add_f64 v[34:35], v[10:11], v[34:35]
	v_mul_f64 v[10:11], v[8:9], v[16:17]
	v_fma_f64 v[10:11], v[6:7], v[14:15], -v[10:11]
	v_mul_f64 v[6:7], v[6:7], v[16:17]
	v_add_f64 v[18:19], v[18:19], v[10:11]
	v_fma_f64 v[6:7], v[8:9], v[14:15], v[6:7]
	v_add_f64 v[20:21], v[6:7], v[20:21]
	ds_read_b128 v[6:9], v25 offset:96
	ds_read_b128 v[10:13], v24 offset:3072
	s_waitcnt lgkmcnt(0)
	v_mul_f64 v[14:15], v[8:9], v[12:13]
	v_mul_f64 v[16:17], v[6:7], v[12:13]
	v_fma_f64 v[14:15], v[6:7], v[10:11], -v[14:15]
	v_fma_f64 v[16:17], v[8:9], v[10:11], v[16:17]
	v_add_f64 v[36:37], v[36:37], v[14:15]
	v_add_f64 v[38:39], v[16:17], v[38:39]
	ds_read_b128 v[14:17], v24 offset:3328
	s_waitcnt lgkmcnt(0)
	v_mul_f64 v[40:41], v[8:9], v[16:17]
	v_fma_f64 v[40:41], v[6:7], v[14:15], -v[40:41]
	v_mul_f64 v[6:7], v[6:7], v[16:17]
	v_add_f64 v[40:41], v[30:31], v[40:41]
	v_fma_f64 v[6:7], v[8:9], v[14:15], v[6:7]
	v_add_f64 v[42:43], v[6:7], v[28:29]
	ds_read_b128 v[6:9], v25 offset:2144
	s_waitcnt lgkmcnt(0)
	v_mul_f64 v[28:29], v[8:9], v[12:13]
	v_mul_f64 v[12:13], v[6:7], v[12:13]
	v_fma_f64 v[28:29], v[6:7], v[10:11], -v[28:29]
	v_fma_f64 v[10:11], v[8:9], v[10:11], v[12:13]
	v_add_f64 v[32:33], v[32:33], v[28:29]
	v_add_f64 v[34:35], v[10:11], v[34:35]
	v_mul_f64 v[10:11], v[8:9], v[16:17]
	v_fma_f64 v[10:11], v[6:7], v[14:15], -v[10:11]
	v_mul_f64 v[6:7], v[6:7], v[16:17]
	v_add_f64 v[44:45], v[18:19], v[10:11]
	v_fma_f64 v[6:7], v[8:9], v[14:15], v[6:7]
	v_add_f64 v[46:47], v[6:7], v[20:21]
	ds_read_b128 v[6:9], v25 offset:112
	ds_read_b128 v[14:17], v24 offset:3584
	;; [unrolled: 1-line block ×3, first 2 shown]
	s_waitcnt lgkmcnt(1)
	v_mul_f64 v[10:11], v[8:9], v[16:17]
	v_mul_f64 v[12:13], v[6:7], v[16:17]
	v_fma_f64 v[10:11], v[6:7], v[14:15], -v[10:11]
	v_fma_f64 v[12:13], v[8:9], v[14:15], v[12:13]
	v_add_f64 v[18:19], v[36:37], v[10:11]
	s_waitcnt lgkmcnt(0)
	v_mul_f64 v[10:11], v[8:9], v[30:31]
	v_add_f64 v[20:21], v[12:13], v[38:39]
	v_fma_f64 v[10:11], v[6:7], v[28:29], -v[10:11]
	v_mul_f64 v[6:7], v[6:7], v[30:31]
	v_add_f64 v[10:11], v[40:41], v[10:11]
	v_fma_f64 v[6:7], v[8:9], v[28:29], v[6:7]
	v_add_f64 v[12:13], v[6:7], v[42:43]
	ds_read_b128 v[6:9], v25 offset:2160
	s_waitcnt lgkmcnt(0)
	s_barrier
	v_mul_f64 v[36:37], v[8:9], v[16:17]
	v_mul_f64 v[16:17], v[6:7], v[16:17]
	v_fma_f64 v[36:37], v[6:7], v[14:15], -v[36:37]
	v_fma_f64 v[16:17], v[8:9], v[14:15], v[16:17]
	v_add_f64 v[14:15], v[32:33], v[36:37]
	v_mul_f64 v[32:33], v[8:9], v[30:31]
	v_add_f64 v[16:17], v[16:17], v[34:35]
	v_fma_f64 v[32:33], v[6:7], v[28:29], -v[32:33]
	v_mul_f64 v[6:7], v[6:7], v[30:31]
	v_fma_f64 v[8:9], v[8:9], v[28:29], v[6:7]
	v_add_f64 v[6:7], v[44:45], v[32:33]
	v_add_f64 v[8:9], v[8:9], v[46:47]
	s_cbranch_scc0 .LBB265_2
	s_branch .LBB265_4
.LBB265_3:
	v_mov_b32_e32 v18, 0
	v_mov_b32_e32 v20, 0
	;; [unrolled: 1-line block ×16, first 2 shown]
.LBB265_4:
	s_load_dwordx2 s[0:1], s[4:5], 0x68
	s_load_dword s9, s[4:5], 0x60
	v_add_u32_e32 v4, s7, v1
	v_add_u32_e32 v0, s6, v0
	s_waitcnt lgkmcnt(0)
	s_mul_i32 s1, s1, s8
	s_mul_hi_u32 s2, s0, s8
	s_add_i32 s1, s2, s1
	v_mad_i64_i32 v[1:2], s[2:3], v4, s9, 0
	s_mul_i32 s0, s0, s8
	s_lshl_b64 s[0:1], s[0:1], 4
	s_add_u32 s7, s18, s0
	v_lshlrev_b64 v[1:2], 4, v[1:2]
	s_addc_u32 s8, s19, s1
	v_mov_b32_e32 v3, s8
	v_add_co_u32_e32 v5, vcc, s7, v1
	v_addc_co_u32_e32 v22, vcc, v3, v2, vcc
	v_cmp_le_i32_e64 s[0:1], v4, v0
	v_cmp_gt_i32_e32 vcc, s10, v0
	s_and_b64 s[0:1], s[0:1], vcc
	s_and_saveexec_b64 s[2:3], s[0:1]
	s_cbranch_execz .LBB265_6
; %bb.5:
	v_ashrrev_i32_e32 v1, 31, v0
	v_lshlrev_b64 v[1:2], 4, v[0:1]
	v_mul_f64 v[27:28], s[22:23], v[20:21]
	v_add_co_u32_e64 v1, s[0:1], v5, v1
	v_addc_co_u32_e64 v2, s[0:1], v22, v2, s[0:1]
	global_load_dwordx4 v[23:26], v[1:2], off
	v_mul_f64 v[20:21], s[20:21], v[20:21]
	v_fma_f64 v[27:28], s[20:21], v[18:19], -v[27:28]
	v_fma_f64 v[20:21], s[22:23], v[18:19], v[20:21]
	s_waitcnt vmcnt(0)
	v_mul_f64 v[29:30], s[16:17], v[25:26]
	v_mul_f64 v[25:26], s[14:15], v[25:26]
	v_fma_f64 v[18:19], s[14:15], v[23:24], -v[29:30]
	v_fma_f64 v[23:24], s[16:17], v[23:24], v[25:26]
	v_add_f64 v[18:19], v[27:28], v[18:19]
	v_add_f64 v[20:21], v[20:21], v[23:24]
	global_store_dwordx4 v[1:2], v[18:21], off
.LBB265_6:
	s_or_b64 exec, exec, s[2:3]
	v_add_u32_e32 v2, 16, v0
	v_cmp_le_i32_e64 s[2:3], v4, v2
	v_cmp_gt_i32_e64 s[0:1], s10, v2
	s_and_b64 s[2:3], s[2:3], s[0:1]
	s_and_saveexec_b64 s[4:5], s[2:3]
	s_cbranch_execz .LBB265_8
; %bb.7:
	v_ashrrev_i32_e32 v3, 31, v2
	v_lshlrev_b64 v[18:19], 4, v[2:3]
	v_mul_f64 v[25:26], s[22:23], v[12:13]
	v_add_co_u32_e64 v23, s[2:3], v5, v18
	v_addc_co_u32_e64 v24, s[2:3], v22, v19, s[2:3]
	global_load_dwordx4 v[18:21], v[23:24], off
	v_mul_f64 v[12:13], s[20:21], v[12:13]
	v_fma_f64 v[25:26], s[20:21], v[10:11], -v[25:26]
	v_fma_f64 v[12:13], s[22:23], v[10:11], v[12:13]
	s_waitcnt vmcnt(0)
	v_mul_f64 v[27:28], s[16:17], v[20:21]
	v_mul_f64 v[20:21], s[14:15], v[20:21]
	v_fma_f64 v[10:11], s[14:15], v[18:19], -v[27:28]
	v_fma_f64 v[18:19], s[16:17], v[18:19], v[20:21]
	v_add_f64 v[10:11], v[25:26], v[10:11]
	v_add_f64 v[12:13], v[12:13], v[18:19]
	global_store_dwordx4 v[23:24], v[10:13], off
.LBB265_8:
	s_or_b64 exec, exec, s[4:5]
	v_add_u32_e32 v3, 16, v4
	v_mad_i64_i32 v[4:5], s[2:3], v3, s9, 0
	v_mov_b32_e32 v1, s8
	v_lshlrev_b64 v[4:5], 4, v[4:5]
	v_add_co_u32_e64 v4, s[2:3], s7, v4
	v_addc_co_u32_e64 v5, s[2:3], v1, v5, s[2:3]
	v_cmp_le_i32_e64 s[2:3], v3, v0
	s_and_b64 s[4:5], s[2:3], vcc
	s_and_saveexec_b64 s[2:3], s[4:5]
	s_cbranch_execz .LBB265_10
; %bb.9:
	v_ashrrev_i32_e32 v1, 31, v0
	v_lshlrev_b64 v[0:1], 4, v[0:1]
	v_mul_f64 v[18:19], s[22:23], v[16:17]
	v_add_co_u32_e32 v0, vcc, v4, v0
	v_addc_co_u32_e32 v1, vcc, v5, v1, vcc
	global_load_dwordx4 v[10:13], v[0:1], off
	v_mul_f64 v[16:17], s[20:21], v[16:17]
	v_fma_f64 v[18:19], s[20:21], v[14:15], -v[18:19]
	v_fma_f64 v[14:15], s[22:23], v[14:15], v[16:17]
	s_waitcnt vmcnt(0)
	v_mul_f64 v[20:21], s[16:17], v[12:13]
	v_mul_f64 v[12:13], s[14:15], v[12:13]
	v_fma_f64 v[16:17], s[14:15], v[10:11], -v[20:21]
	v_fma_f64 v[12:13], s[16:17], v[10:11], v[12:13]
	v_add_f64 v[10:11], v[18:19], v[16:17]
	v_add_f64 v[12:13], v[14:15], v[12:13]
	global_store_dwordx4 v[0:1], v[10:13], off
.LBB265_10:
	s_or_b64 exec, exec, s[2:3]
	v_cmp_le_i32_e32 vcc, v3, v2
	s_and_b64 s[0:1], vcc, s[0:1]
	s_and_saveexec_b64 s[2:3], s[0:1]
	s_cbranch_execz .LBB265_12
; %bb.11:
	v_ashrrev_i32_e32 v3, 31, v2
	v_lshlrev_b64 v[0:1], 4, v[2:3]
	v_mul_f64 v[10:11], s[22:23], v[8:9]
	v_add_co_u32_e32 v4, vcc, v4, v0
	v_addc_co_u32_e32 v5, vcc, v5, v1, vcc
	global_load_dwordx4 v[0:3], v[4:5], off
	v_mul_f64 v[8:9], s[20:21], v[8:9]
	v_fma_f64 v[10:11], s[20:21], v[6:7], -v[10:11]
	v_fma_f64 v[6:7], s[22:23], v[6:7], v[8:9]
	s_waitcnt vmcnt(0)
	v_mul_f64 v[12:13], s[16:17], v[2:3]
	v_mul_f64 v[2:3], s[14:15], v[2:3]
	v_fma_f64 v[8:9], s[14:15], v[0:1], -v[12:13]
	v_fma_f64 v[2:3], s[16:17], v[0:1], v[2:3]
	v_add_f64 v[0:1], v[10:11], v[8:9]
	v_add_f64 v[2:3], v[6:7], v[2:3]
	global_store_dwordx4 v[4:5], v[0:3], off
.LBB265_12:
	s_endpgm
	.section	.rodata,"a",@progbits
	.p2align	6, 0x0
	.amdhsa_kernel _ZL37rocblas_syrkx_herkx_restricted_kernelIi19rocblas_complex_numIdELi16ELi32ELi8ELb0ELb0ELc78ELc76EKS1_S1_EviT_T0_PT8_S3_lS6_S3_lS4_PT9_S3_li
		.amdhsa_group_segment_fixed_size 8192
		.amdhsa_private_segment_fixed_size 0
		.amdhsa_kernarg_size 116
		.amdhsa_user_sgpr_count 6
		.amdhsa_user_sgpr_private_segment_buffer 1
		.amdhsa_user_sgpr_dispatch_ptr 0
		.amdhsa_user_sgpr_queue_ptr 0
		.amdhsa_user_sgpr_kernarg_segment_ptr 1
		.amdhsa_user_sgpr_dispatch_id 0
		.amdhsa_user_sgpr_flat_scratch_init 0
		.amdhsa_user_sgpr_private_segment_size 0
		.amdhsa_uses_dynamic_stack 0
		.amdhsa_system_sgpr_private_segment_wavefront_offset 0
		.amdhsa_system_sgpr_workgroup_id_x 1
		.amdhsa_system_sgpr_workgroup_id_y 1
		.amdhsa_system_sgpr_workgroup_id_z 1
		.amdhsa_system_sgpr_workgroup_info 0
		.amdhsa_system_vgpr_workitem_id 1
		.amdhsa_next_free_vgpr 54
		.amdhsa_next_free_sgpr 61
		.amdhsa_reserve_vcc 1
		.amdhsa_reserve_flat_scratch 0
		.amdhsa_float_round_mode_32 0
		.amdhsa_float_round_mode_16_64 0
		.amdhsa_float_denorm_mode_32 3
		.amdhsa_float_denorm_mode_16_64 3
		.amdhsa_dx10_clamp 1
		.amdhsa_ieee_mode 1
		.amdhsa_fp16_overflow 0
		.amdhsa_exception_fp_ieee_invalid_op 0
		.amdhsa_exception_fp_denorm_src 0
		.amdhsa_exception_fp_ieee_div_zero 0
		.amdhsa_exception_fp_ieee_overflow 0
		.amdhsa_exception_fp_ieee_underflow 0
		.amdhsa_exception_fp_ieee_inexact 0
		.amdhsa_exception_int_div_zero 0
	.end_amdhsa_kernel
	.section	.text._ZL37rocblas_syrkx_herkx_restricted_kernelIi19rocblas_complex_numIdELi16ELi32ELi8ELb0ELb0ELc78ELc76EKS1_S1_EviT_T0_PT8_S3_lS6_S3_lS4_PT9_S3_li,"axG",@progbits,_ZL37rocblas_syrkx_herkx_restricted_kernelIi19rocblas_complex_numIdELi16ELi32ELi8ELb0ELb0ELc78ELc76EKS1_S1_EviT_T0_PT8_S3_lS6_S3_lS4_PT9_S3_li,comdat
.Lfunc_end265:
	.size	_ZL37rocblas_syrkx_herkx_restricted_kernelIi19rocblas_complex_numIdELi16ELi32ELi8ELb0ELb0ELc78ELc76EKS1_S1_EviT_T0_PT8_S3_lS6_S3_lS4_PT9_S3_li, .Lfunc_end265-_ZL37rocblas_syrkx_herkx_restricted_kernelIi19rocblas_complex_numIdELi16ELi32ELi8ELb0ELb0ELc78ELc76EKS1_S1_EviT_T0_PT8_S3_lS6_S3_lS4_PT9_S3_li
                                        ; -- End function
	.set _ZL37rocblas_syrkx_herkx_restricted_kernelIi19rocblas_complex_numIdELi16ELi32ELi8ELb0ELb0ELc78ELc76EKS1_S1_EviT_T0_PT8_S3_lS6_S3_lS4_PT9_S3_li.num_vgpr, 54
	.set _ZL37rocblas_syrkx_herkx_restricted_kernelIi19rocblas_complex_numIdELi16ELi32ELi8ELb0ELb0ELc78ELc76EKS1_S1_EviT_T0_PT8_S3_lS6_S3_lS4_PT9_S3_li.num_agpr, 0
	.set _ZL37rocblas_syrkx_herkx_restricted_kernelIi19rocblas_complex_numIdELi16ELi32ELi8ELb0ELb0ELc78ELc76EKS1_S1_EviT_T0_PT8_S3_lS6_S3_lS4_PT9_S3_li.numbered_sgpr, 34
	.set _ZL37rocblas_syrkx_herkx_restricted_kernelIi19rocblas_complex_numIdELi16ELi32ELi8ELb0ELb0ELc78ELc76EKS1_S1_EviT_T0_PT8_S3_lS6_S3_lS4_PT9_S3_li.num_named_barrier, 0
	.set _ZL37rocblas_syrkx_herkx_restricted_kernelIi19rocblas_complex_numIdELi16ELi32ELi8ELb0ELb0ELc78ELc76EKS1_S1_EviT_T0_PT8_S3_lS6_S3_lS4_PT9_S3_li.private_seg_size, 0
	.set _ZL37rocblas_syrkx_herkx_restricted_kernelIi19rocblas_complex_numIdELi16ELi32ELi8ELb0ELb0ELc78ELc76EKS1_S1_EviT_T0_PT8_S3_lS6_S3_lS4_PT9_S3_li.uses_vcc, 1
	.set _ZL37rocblas_syrkx_herkx_restricted_kernelIi19rocblas_complex_numIdELi16ELi32ELi8ELb0ELb0ELc78ELc76EKS1_S1_EviT_T0_PT8_S3_lS6_S3_lS4_PT9_S3_li.uses_flat_scratch, 0
	.set _ZL37rocblas_syrkx_herkx_restricted_kernelIi19rocblas_complex_numIdELi16ELi32ELi8ELb0ELb0ELc78ELc76EKS1_S1_EviT_T0_PT8_S3_lS6_S3_lS4_PT9_S3_li.has_dyn_sized_stack, 0
	.set _ZL37rocblas_syrkx_herkx_restricted_kernelIi19rocblas_complex_numIdELi16ELi32ELi8ELb0ELb0ELc78ELc76EKS1_S1_EviT_T0_PT8_S3_lS6_S3_lS4_PT9_S3_li.has_recursion, 0
	.set _ZL37rocblas_syrkx_herkx_restricted_kernelIi19rocblas_complex_numIdELi16ELi32ELi8ELb0ELb0ELc78ELc76EKS1_S1_EviT_T0_PT8_S3_lS6_S3_lS4_PT9_S3_li.has_indirect_call, 0
	.section	.AMDGPU.csdata,"",@progbits
; Kernel info:
; codeLenInByte = 3156
; TotalNumSgprs: 38
; NumVgprs: 54
; ScratchSize: 0
; MemoryBound: 0
; FloatMode: 240
; IeeeMode: 1
; LDSByteSize: 8192 bytes/workgroup (compile time only)
; SGPRBlocks: 8
; VGPRBlocks: 13
; NumSGPRsForWavesPerEU: 65
; NumVGPRsForWavesPerEU: 54
; Occupancy: 4
; WaveLimiterHint : 0
; COMPUTE_PGM_RSRC2:SCRATCH_EN: 0
; COMPUTE_PGM_RSRC2:USER_SGPR: 6
; COMPUTE_PGM_RSRC2:TRAP_HANDLER: 0
; COMPUTE_PGM_RSRC2:TGID_X_EN: 1
; COMPUTE_PGM_RSRC2:TGID_Y_EN: 1
; COMPUTE_PGM_RSRC2:TGID_Z_EN: 1
; COMPUTE_PGM_RSRC2:TIDIG_COMP_CNT: 1
	.section	.text._ZL37rocblas_syrkx_herkx_restricted_kernelIi19rocblas_complex_numIdELi16ELi32ELi8ELb0ELb0ELc84ELc85EKS1_S1_EviT_T0_PT8_S3_lS6_S3_lS4_PT9_S3_li,"axG",@progbits,_ZL37rocblas_syrkx_herkx_restricted_kernelIi19rocblas_complex_numIdELi16ELi32ELi8ELb0ELb0ELc84ELc85EKS1_S1_EviT_T0_PT8_S3_lS6_S3_lS4_PT9_S3_li,comdat
	.globl	_ZL37rocblas_syrkx_herkx_restricted_kernelIi19rocblas_complex_numIdELi16ELi32ELi8ELb0ELb0ELc84ELc85EKS1_S1_EviT_T0_PT8_S3_lS6_S3_lS4_PT9_S3_li ; -- Begin function _ZL37rocblas_syrkx_herkx_restricted_kernelIi19rocblas_complex_numIdELi16ELi32ELi8ELb0ELb0ELc84ELc85EKS1_S1_EviT_T0_PT8_S3_lS6_S3_lS4_PT9_S3_li
	.p2align	8
	.type	_ZL37rocblas_syrkx_herkx_restricted_kernelIi19rocblas_complex_numIdELi16ELi32ELi8ELb0ELb0ELc84ELc85EKS1_S1_EviT_T0_PT8_S3_lS6_S3_lS4_PT9_S3_li,@function
_ZL37rocblas_syrkx_herkx_restricted_kernelIi19rocblas_complex_numIdELi16ELi32ELi8ELb0ELb0ELc84ELc85EKS1_S1_EviT_T0_PT8_S3_lS6_S3_lS4_PT9_S3_li: ; @_ZL37rocblas_syrkx_herkx_restricted_kernelIi19rocblas_complex_numIdELi16ELi32ELi8ELb0ELb0ELc84ELc85EKS1_S1_EviT_T0_PT8_S3_lS6_S3_lS4_PT9_S3_li
; %bb.0:
	s_load_dwordx2 s[10:11], s[4:5], 0x0
	s_load_dwordx4 s[20:23], s[4:5], 0x8
	s_load_dwordx2 s[24:25], s[4:5], 0x18
	s_load_dwordx8 s[12:19], s[4:5], 0x40
	s_lshl_b32 s6, s6, 5
	s_lshl_b32 s7, s7, 5
	s_waitcnt lgkmcnt(0)
	s_cmp_lt_i32 s11, 1
	s_mov_b32 s9, 0
	s_cbranch_scc1 .LBB266_3
; %bb.1:
	s_load_dword s28, s[4:5], 0x20
	s_load_dwordx4 s[0:3], s[4:5], 0x28
	s_load_dword s26, s[4:5], 0x38
	v_lshl_add_u32 v3, v1, 4, v0
	v_lshrrev_b32_e32 v8, 3, v3
	v_lshrrev_b32_e32 v2, 5, v3
	v_and_b32_e32 v4, 7, v0
	v_and_b32_e32 v9, 31, v3
	v_add_u32_e32 v3, s7, v8
	v_mov_b32_e32 v5, 0
	s_waitcnt lgkmcnt(0)
	v_mad_i64_i32 v[6:7], s[26:27], s26, v3, v[4:5]
	v_lshlrev_b32_e32 v4, 4, v4
	v_lshl_or_b32 v4, v8, 7, v4
	v_add_u32_e32 v23, 0x1000, v4
	v_mov_b32_e32 v4, 0x1000
	v_mov_b32_e32 v3, v5
	v_lshlrev_b32_e32 v5, 4, v9
	v_lshl_add_u32 v25, v1, 7, v4
	v_add_u32_e32 v4, s6, v9
	v_lshl_or_b32 v22, v2, 9, v5
	v_mad_i64_i32 v[2:3], s[26:27], s28, v4, v[2:3]
	s_mul_i32 s1, s1, s8
	s_mul_hi_u32 s29, s0, s8
	s_add_i32 s1, s29, s1
	s_mul_i32 s0, s0, s8
	s_lshl_b64 s[0:1], s[0:1], 4
	v_lshlrev_b64 v[2:3], 4, v[2:3]
	s_add_u32 s0, s24, s0
	s_addc_u32 s1, s25, s1
	v_mov_b32_e32 v4, s1
	v_add_co_u32_e32 v2, vcc, s0, v2
	s_mul_i32 s0, s13, s8
	s_mul_hi_u32 s1, s12, s8
	s_add_i32 s1, s1, s0
	s_mul_i32 s0, s12, s8
	v_addc_co_u32_e32 v3, vcc, v4, v3, vcc
	s_lshl_b64 s[0:1], s[0:1], 4
	v_add_co_u32_e32 v2, vcc, 8, v2
	v_lshlrev_b64 v[4:5], 4, v[6:7]
	s_add_u32 s0, s2, s0
	v_addc_co_u32_e32 v3, vcc, 0, v3, vcc
	s_addc_u32 s1, s3, s1
	v_mov_b32_e32 v6, s1
	v_add_co_u32_e32 v4, vcc, s0, v4
	v_addc_co_u32_e32 v5, vcc, v6, v5, vcc
	v_mov_b32_e32 v12, 0
	v_mov_b32_e32 v10, 0
	;; [unrolled: 1-line block ×8, first 2 shown]
	v_add_co_u32_e32 v4, vcc, 8, v4
	v_lshlrev_b32_e32 v24, 4, v0
	v_mov_b32_e32 v13, 0
	v_mov_b32_e32 v11, 0
	;; [unrolled: 1-line block ×8, first 2 shown]
	v_addc_co_u32_e32 v5, vcc, 0, v5, vcc
.LBB266_2:                              ; =>This Inner Loop Header: Depth=1
	global_load_dwordx4 v[26:29], v[2:3], off offset:-8
	v_add_co_u32_e32 v2, vcc, 0x80, v2
	v_addc_co_u32_e32 v3, vcc, 0, v3, vcc
	s_add_i32 s9, s9, 8
	s_cmp_ge_i32 s9, s11
	s_waitcnt vmcnt(0)
	ds_write_b128 v22, v[26:29]
	global_load_dwordx4 v[26:29], v[4:5], off offset:-8
	v_add_co_u32_e32 v4, vcc, 0x80, v4
	v_addc_co_u32_e32 v5, vcc, 0, v5, vcc
	s_waitcnt vmcnt(0)
	ds_write_b128 v23, v[26:29]
	s_waitcnt lgkmcnt(0)
	s_barrier
	ds_read_b128 v[26:29], v25
	ds_read_b128 v[30:33], v25 offset:16
	ds_read_b128 v[34:37], v25 offset:32
	;; [unrolled: 1-line block ×3, first 2 shown]
	ds_read_b128 v[42:45], v24
	s_waitcnt lgkmcnt(0)
	v_mul_f64 v[46:47], v[28:29], v[44:45]
	v_mul_f64 v[48:49], v[26:27], v[44:45]
	v_fma_f64 v[46:47], v[26:27], v[42:43], -v[46:47]
	v_fma_f64 v[48:49], v[28:29], v[42:43], v[48:49]
	v_add_f64 v[46:47], v[18:19], v[46:47]
	v_add_f64 v[48:49], v[48:49], v[20:21]
	ds_read_b128 v[18:21], v24 offset:256
	s_waitcnt lgkmcnt(0)
	v_mul_f64 v[50:51], v[28:29], v[20:21]
	v_fma_f64 v[50:51], v[26:27], v[18:19], -v[50:51]
	v_mul_f64 v[26:27], v[26:27], v[20:21]
	v_fma_f64 v[26:27], v[28:29], v[18:19], v[26:27]
	v_add_f64 v[28:29], v[6:7], v[50:51]
	v_add_f64 v[26:27], v[26:27], v[8:9]
	ds_read_b128 v[6:9], v25 offset:2048
	s_waitcnt lgkmcnt(0)
	v_mul_f64 v[50:51], v[8:9], v[44:45]
	v_mul_f64 v[44:45], v[6:7], v[44:45]
	v_fma_f64 v[50:51], v[6:7], v[42:43], -v[50:51]
	v_fma_f64 v[42:43], v[8:9], v[42:43], v[44:45]
	v_add_f64 v[44:45], v[14:15], v[50:51]
	v_mul_f64 v[14:15], v[8:9], v[20:21]
	v_add_f64 v[42:43], v[42:43], v[16:17]
	v_fma_f64 v[14:15], v[6:7], v[18:19], -v[14:15]
	v_mul_f64 v[6:7], v[6:7], v[20:21]
	v_fma_f64 v[6:7], v[8:9], v[18:19], v[6:7]
	v_add_f64 v[18:19], v[10:11], v[14:15]
	v_add_f64 v[20:21], v[6:7], v[12:13]
	ds_read_b128 v[6:9], v24 offset:512
	s_waitcnt lgkmcnt(0)
	v_mul_f64 v[10:11], v[32:33], v[8:9]
	v_mul_f64 v[12:13], v[30:31], v[8:9]
	v_fma_f64 v[10:11], v[30:31], v[6:7], -v[10:11]
	v_fma_f64 v[12:13], v[32:33], v[6:7], v[12:13]
	v_add_f64 v[46:47], v[46:47], v[10:11]
	v_add_f64 v[48:49], v[12:13], v[48:49]
	ds_read_b128 v[10:13], v24 offset:768
	s_waitcnt lgkmcnt(0)
	v_mul_f64 v[14:15], v[32:33], v[12:13]
	v_mul_f64 v[16:17], v[30:31], v[12:13]
	v_fma_f64 v[14:15], v[30:31], v[10:11], -v[14:15]
	;; [unrolled: 8-line block ×3, first 2 shown]
	v_fma_f64 v[6:7], v[16:17], v[6:7], v[8:9]
	v_mul_f64 v[8:9], v[14:15], v[12:13]
	v_add_f64 v[30:31], v[44:45], v[30:31]
	v_add_f64 v[32:33], v[6:7], v[42:43]
	v_mul_f64 v[6:7], v[16:17], v[12:13]
	v_fma_f64 v[8:9], v[16:17], v[10:11], v[8:9]
	v_fma_f64 v[6:7], v[14:15], v[10:11], -v[6:7]
	v_add_f64 v[20:21], v[8:9], v[20:21]
	v_add_f64 v[18:19], v[18:19], v[6:7]
	ds_read_b128 v[6:9], v24 offset:1024
	s_waitcnt lgkmcnt(0)
	v_mul_f64 v[10:11], v[36:37], v[8:9]
	v_mul_f64 v[12:13], v[34:35], v[8:9]
	v_fma_f64 v[10:11], v[34:35], v[6:7], -v[10:11]
	v_fma_f64 v[12:13], v[36:37], v[6:7], v[12:13]
	v_add_f64 v[42:43], v[46:47], v[10:11]
	v_add_f64 v[44:45], v[12:13], v[48:49]
	ds_read_b128 v[10:13], v24 offset:1280
	s_waitcnt lgkmcnt(0)
	v_mul_f64 v[14:15], v[36:37], v[12:13]
	v_mul_f64 v[16:17], v[34:35], v[12:13]
	v_fma_f64 v[14:15], v[34:35], v[10:11], -v[14:15]
	v_fma_f64 v[16:17], v[36:37], v[10:11], v[16:17]
	;; [unrolled: 8-line block ×3, first 2 shown]
	v_mul_f64 v[8:9], v[14:15], v[12:13]
	v_add_f64 v[30:31], v[30:31], v[34:35]
	v_add_f64 v[32:33], v[6:7], v[32:33]
	v_mul_f64 v[6:7], v[16:17], v[12:13]
	v_fma_f64 v[8:9], v[16:17], v[10:11], v[8:9]
	v_fma_f64 v[6:7], v[14:15], v[10:11], -v[6:7]
	v_add_f64 v[20:21], v[8:9], v[20:21]
	v_add_f64 v[18:19], v[18:19], v[6:7]
	ds_read_b128 v[6:9], v24 offset:1536
	s_waitcnt lgkmcnt(0)
	v_mul_f64 v[10:11], v[40:41], v[8:9]
	v_mul_f64 v[12:13], v[38:39], v[8:9]
	v_fma_f64 v[10:11], v[38:39], v[6:7], -v[10:11]
	v_fma_f64 v[12:13], v[40:41], v[6:7], v[12:13]
	v_add_f64 v[34:35], v[42:43], v[10:11]
	v_add_f64 v[36:37], v[12:13], v[44:45]
	ds_read_b128 v[10:13], v24 offset:1792
	s_waitcnt lgkmcnt(0)
	v_mul_f64 v[14:15], v[40:41], v[12:13]
	v_mul_f64 v[16:17], v[38:39], v[12:13]
	v_fma_f64 v[14:15], v[38:39], v[10:11], -v[14:15]
	v_fma_f64 v[16:17], v[40:41], v[10:11], v[16:17]
	;; [unrolled: 8-line block ×3, first 2 shown]
	v_mul_f64 v[8:9], v[14:15], v[12:13]
	v_add_f64 v[30:31], v[30:31], v[38:39]
	v_add_f64 v[32:33], v[6:7], v[32:33]
	v_mul_f64 v[6:7], v[16:17], v[12:13]
	v_fma_f64 v[8:9], v[16:17], v[10:11], v[8:9]
	v_fma_f64 v[6:7], v[14:15], v[10:11], -v[6:7]
	v_add_f64 v[20:21], v[8:9], v[20:21]
	v_add_f64 v[18:19], v[18:19], v[6:7]
	ds_read_b128 v[6:9], v25 offset:64
	ds_read_b128 v[10:13], v24 offset:2048
	s_waitcnt lgkmcnt(0)
	v_mul_f64 v[14:15], v[8:9], v[12:13]
	v_mul_f64 v[16:17], v[6:7], v[12:13]
	v_fma_f64 v[14:15], v[6:7], v[10:11], -v[14:15]
	v_fma_f64 v[16:17], v[8:9], v[10:11], v[16:17]
	v_add_f64 v[34:35], v[34:35], v[14:15]
	v_add_f64 v[36:37], v[16:17], v[36:37]
	ds_read_b128 v[14:17], v24 offset:2304
	s_waitcnt lgkmcnt(0)
	v_mul_f64 v[38:39], v[8:9], v[16:17]
	v_fma_f64 v[38:39], v[6:7], v[14:15], -v[38:39]
	v_mul_f64 v[6:7], v[6:7], v[16:17]
	v_add_f64 v[28:29], v[28:29], v[38:39]
	v_fma_f64 v[6:7], v[8:9], v[14:15], v[6:7]
	v_add_f64 v[26:27], v[6:7], v[26:27]
	ds_read_b128 v[6:9], v25 offset:2112
	s_waitcnt lgkmcnt(0)
	v_mul_f64 v[38:39], v[8:9], v[12:13]
	v_mul_f64 v[12:13], v[6:7], v[12:13]
	v_fma_f64 v[38:39], v[6:7], v[10:11], -v[38:39]
	v_fma_f64 v[10:11], v[8:9], v[10:11], v[12:13]
	v_add_f64 v[30:31], v[30:31], v[38:39]
	v_add_f64 v[32:33], v[10:11], v[32:33]
	v_mul_f64 v[10:11], v[8:9], v[16:17]
	v_fma_f64 v[10:11], v[6:7], v[14:15], -v[10:11]
	v_mul_f64 v[6:7], v[6:7], v[16:17]
	v_add_f64 v[18:19], v[18:19], v[10:11]
	v_fma_f64 v[6:7], v[8:9], v[14:15], v[6:7]
	v_add_f64 v[20:21], v[6:7], v[20:21]
	ds_read_b128 v[6:9], v25 offset:80
	ds_read_b128 v[10:13], v24 offset:2560
	s_waitcnt lgkmcnt(0)
	v_mul_f64 v[14:15], v[8:9], v[12:13]
	v_mul_f64 v[16:17], v[6:7], v[12:13]
	v_fma_f64 v[14:15], v[6:7], v[10:11], -v[14:15]
	v_fma_f64 v[16:17], v[8:9], v[10:11], v[16:17]
	v_add_f64 v[34:35], v[34:35], v[14:15]
	v_add_f64 v[36:37], v[16:17], v[36:37]
	ds_read_b128 v[14:17], v24 offset:2816
	s_waitcnt lgkmcnt(0)
	v_mul_f64 v[38:39], v[8:9], v[16:17]
	v_fma_f64 v[38:39], v[6:7], v[14:15], -v[38:39]
	v_mul_f64 v[6:7], v[6:7], v[16:17]
	v_add_f64 v[28:29], v[28:29], v[38:39]
	v_fma_f64 v[6:7], v[8:9], v[14:15], v[6:7]
	v_add_f64 v[26:27], v[6:7], v[26:27]
	ds_read_b128 v[6:9], v25 offset:2128
	s_waitcnt lgkmcnt(0)
	v_mul_f64 v[38:39], v[8:9], v[12:13]
	v_mul_f64 v[12:13], v[6:7], v[12:13]
	v_fma_f64 v[38:39], v[6:7], v[10:11], -v[38:39]
	v_fma_f64 v[10:11], v[8:9], v[10:11], v[12:13]
	v_add_f64 v[30:31], v[30:31], v[38:39]
	v_add_f64 v[32:33], v[10:11], v[32:33]
	v_mul_f64 v[10:11], v[8:9], v[16:17]
	v_fma_f64 v[10:11], v[6:7], v[14:15], -v[10:11]
	v_mul_f64 v[6:7], v[6:7], v[16:17]
	v_add_f64 v[18:19], v[18:19], v[10:11]
	v_fma_f64 v[6:7], v[8:9], v[14:15], v[6:7]
	;; [unrolled: 31-line block ×3, first 2 shown]
	v_add_f64 v[48:49], v[6:7], v[20:21]
	ds_read_b128 v[6:9], v25 offset:112
	ds_read_b128 v[10:13], v24 offset:3584
	;; [unrolled: 1-line block ×4, first 2 shown]
	s_waitcnt lgkmcnt(0)
	s_barrier
	v_mul_f64 v[14:15], v[8:9], v[12:13]
	v_mul_f64 v[16:17], v[6:7], v[12:13]
	v_fma_f64 v[14:15], v[6:7], v[10:11], -v[14:15]
	v_fma_f64 v[16:17], v[8:9], v[10:11], v[16:17]
	v_add_f64 v[18:19], v[34:35], v[14:15]
	v_mul_f64 v[14:15], v[8:9], v[28:29]
	v_add_f64 v[20:21], v[16:17], v[36:37]
	v_fma_f64 v[14:15], v[6:7], v[26:27], -v[14:15]
	v_mul_f64 v[6:7], v[6:7], v[28:29]
	v_fma_f64 v[8:9], v[8:9], v[26:27], v[6:7]
	v_add_f64 v[6:7], v[38:39], v[14:15]
	v_mul_f64 v[14:15], v[32:33], v[12:13]
	v_mul_f64 v[12:13], v[30:31], v[12:13]
	v_add_f64 v[8:9], v[8:9], v[40:41]
	v_fma_f64 v[14:15], v[30:31], v[10:11], -v[14:15]
	v_fma_f64 v[10:11], v[32:33], v[10:11], v[12:13]
	v_mul_f64 v[12:13], v[30:31], v[28:29]
	v_add_f64 v[14:15], v[42:43], v[14:15]
	v_add_f64 v[16:17], v[10:11], v[44:45]
	v_mul_f64 v[10:11], v[32:33], v[28:29]
	v_fma_f64 v[12:13], v[32:33], v[26:27], v[12:13]
	v_fma_f64 v[10:11], v[30:31], v[26:27], -v[10:11]
	v_add_f64 v[12:13], v[12:13], v[48:49]
	v_add_f64 v[10:11], v[46:47], v[10:11]
	s_cbranch_scc0 .LBB266_2
	s_branch .LBB266_4
.LBB266_3:
	v_mov_b32_e32 v18, 0
	v_mov_b32_e32 v20, 0
	;; [unrolled: 1-line block ×16, first 2 shown]
.LBB266_4:
	s_load_dwordx2 s[0:1], s[4:5], 0x68
	s_load_dword s9, s[4:5], 0x60
	v_add_u32_e32 v4, s7, v1
	v_add_u32_e32 v0, s6, v0
	v_cmp_gt_i32_e32 vcc, s10, v4
	s_waitcnt lgkmcnt(0)
	s_mul_i32 s1, s1, s8
	s_mul_hi_u32 s2, s0, s8
	s_add_i32 s1, s2, s1
	v_mad_i64_i32 v[1:2], s[2:3], v4, s9, 0
	s_mul_i32 s0, s0, s8
	s_lshl_b64 s[0:1], s[0:1], 4
	s_add_u32 s4, s18, s0
	v_lshlrev_b64 v[1:2], 4, v[1:2]
	s_addc_u32 s5, s19, s1
	v_mov_b32_e32 v3, s5
	v_add_co_u32_e64 v5, s[0:1], s4, v1
	v_addc_co_u32_e64 v22, s[0:1], v3, v2, s[0:1]
	v_cmp_le_i32_e64 s[0:1], v0, v4
	s_and_b64 s[0:1], vcc, s[0:1]
	s_and_saveexec_b64 s[2:3], s[0:1]
	s_cbranch_execz .LBB266_6
; %bb.5:
	v_ashrrev_i32_e32 v1, 31, v0
	v_lshlrev_b64 v[1:2], 4, v[0:1]
	v_mul_f64 v[27:28], s[22:23], v[20:21]
	v_add_co_u32_e64 v1, s[0:1], v5, v1
	v_addc_co_u32_e64 v2, s[0:1], v22, v2, s[0:1]
	global_load_dwordx4 v[23:26], v[1:2], off
	v_mul_f64 v[20:21], s[20:21], v[20:21]
	v_fma_f64 v[27:28], s[20:21], v[18:19], -v[27:28]
	v_fma_f64 v[20:21], s[22:23], v[18:19], v[20:21]
	s_waitcnt vmcnt(0)
	v_mul_f64 v[29:30], s[16:17], v[25:26]
	v_mul_f64 v[25:26], s[14:15], v[25:26]
	v_fma_f64 v[18:19], s[14:15], v[23:24], -v[29:30]
	v_fma_f64 v[23:24], s[16:17], v[23:24], v[25:26]
	v_add_f64 v[18:19], v[27:28], v[18:19]
	v_add_f64 v[20:21], v[20:21], v[23:24]
	global_store_dwordx4 v[1:2], v[18:21], off
.LBB266_6:
	s_or_b64 exec, exec, s[2:3]
	v_add_u32_e32 v2, 16, v0
	v_cmp_le_i32_e64 s[0:1], v2, v4
	s_and_b64 s[2:3], vcc, s[0:1]
	s_and_saveexec_b64 s[0:1], s[2:3]
	s_cbranch_execz .LBB266_8
; %bb.7:
	v_ashrrev_i32_e32 v3, 31, v2
	v_lshlrev_b64 v[18:19], 4, v[2:3]
	v_mul_f64 v[25:26], s[22:23], v[8:9]
	v_add_co_u32_e32 v23, vcc, v5, v18
	v_addc_co_u32_e32 v24, vcc, v22, v19, vcc
	global_load_dwordx4 v[18:21], v[23:24], off
	v_mul_f64 v[8:9], s[20:21], v[8:9]
	v_fma_f64 v[25:26], s[20:21], v[6:7], -v[25:26]
	v_fma_f64 v[7:8], s[22:23], v[6:7], v[8:9]
	s_waitcnt vmcnt(0)
	v_mul_f64 v[27:28], s[16:17], v[20:21]
	v_mul_f64 v[20:21], s[14:15], v[20:21]
	v_fma_f64 v[5:6], s[14:15], v[18:19], -v[27:28]
	v_fma_f64 v[18:19], s[16:17], v[18:19], v[20:21]
	v_add_f64 v[5:6], v[25:26], v[5:6]
	v_add_f64 v[7:8], v[7:8], v[18:19]
	global_store_dwordx4 v[23:24], v[5:8], off
.LBB266_8:
	s_or_b64 exec, exec, s[0:1]
	v_add_u32_e32 v3, 16, v4
	v_mad_i64_i32 v[4:5], s[0:1], v3, s9, 0
	v_mov_b32_e32 v1, s5
	v_cmp_gt_i32_e32 vcc, s10, v3
	v_lshlrev_b64 v[4:5], 4, v[4:5]
	v_add_co_u32_e64 v4, s[0:1], s4, v4
	v_addc_co_u32_e64 v5, s[0:1], v1, v5, s[0:1]
	v_cmp_le_i32_e64 s[0:1], v0, v3
	s_and_b64 s[0:1], vcc, s[0:1]
	s_and_saveexec_b64 s[2:3], s[0:1]
	s_cbranch_execz .LBB266_10
; %bb.9:
	v_ashrrev_i32_e32 v1, 31, v0
	v_lshlrev_b64 v[0:1], 4, v[0:1]
	v_mul_f64 v[18:19], s[22:23], v[16:17]
	v_add_co_u32_e64 v0, s[0:1], v4, v0
	v_addc_co_u32_e64 v1, s[0:1], v5, v1, s[0:1]
	global_load_dwordx4 v[6:9], v[0:1], off
	v_mul_f64 v[16:17], s[20:21], v[16:17]
	v_fma_f64 v[18:19], s[20:21], v[14:15], -v[18:19]
	v_fma_f64 v[14:15], s[22:23], v[14:15], v[16:17]
	s_waitcnt vmcnt(0)
	v_mul_f64 v[20:21], s[16:17], v[8:9]
	v_mul_f64 v[8:9], s[14:15], v[8:9]
	v_fma_f64 v[16:17], s[14:15], v[6:7], -v[20:21]
	v_fma_f64 v[8:9], s[16:17], v[6:7], v[8:9]
	v_add_f64 v[6:7], v[18:19], v[16:17]
	v_add_f64 v[8:9], v[14:15], v[8:9]
	global_store_dwordx4 v[0:1], v[6:9], off
.LBB266_10:
	s_or_b64 exec, exec, s[2:3]
	v_cmp_le_i32_e64 s[0:1], v2, v3
	s_and_b64 s[0:1], vcc, s[0:1]
	s_and_saveexec_b64 s[2:3], s[0:1]
	s_cbranch_execz .LBB266_12
; %bb.11:
	v_ashrrev_i32_e32 v3, 31, v2
	v_lshlrev_b64 v[0:1], 4, v[2:3]
	v_mul_f64 v[6:7], s[22:23], v[12:13]
	v_add_co_u32_e32 v4, vcc, v4, v0
	v_addc_co_u32_e32 v5, vcc, v5, v1, vcc
	global_load_dwordx4 v[0:3], v[4:5], off
	v_mul_f64 v[8:9], s[20:21], v[12:13]
	v_fma_f64 v[6:7], s[20:21], v[10:11], -v[6:7]
	v_fma_f64 v[8:9], s[22:23], v[10:11], v[8:9]
	s_waitcnt vmcnt(0)
	v_mul_f64 v[12:13], s[16:17], v[2:3]
	v_mul_f64 v[2:3], s[14:15], v[2:3]
	v_fma_f64 v[10:11], s[14:15], v[0:1], -v[12:13]
	v_fma_f64 v[2:3], s[16:17], v[0:1], v[2:3]
	v_add_f64 v[0:1], v[6:7], v[10:11]
	v_add_f64 v[2:3], v[8:9], v[2:3]
	global_store_dwordx4 v[4:5], v[0:3], off
.LBB266_12:
	s_endpgm
	.section	.rodata,"a",@progbits
	.p2align	6, 0x0
	.amdhsa_kernel _ZL37rocblas_syrkx_herkx_restricted_kernelIi19rocblas_complex_numIdELi16ELi32ELi8ELb0ELb0ELc84ELc85EKS1_S1_EviT_T0_PT8_S3_lS6_S3_lS4_PT9_S3_li
		.amdhsa_group_segment_fixed_size 8192
		.amdhsa_private_segment_fixed_size 0
		.amdhsa_kernarg_size 116
		.amdhsa_user_sgpr_count 6
		.amdhsa_user_sgpr_private_segment_buffer 1
		.amdhsa_user_sgpr_dispatch_ptr 0
		.amdhsa_user_sgpr_queue_ptr 0
		.amdhsa_user_sgpr_kernarg_segment_ptr 1
		.amdhsa_user_sgpr_dispatch_id 0
		.amdhsa_user_sgpr_flat_scratch_init 0
		.amdhsa_user_sgpr_private_segment_size 0
		.amdhsa_uses_dynamic_stack 0
		.amdhsa_system_sgpr_private_segment_wavefront_offset 0
		.amdhsa_system_sgpr_workgroup_id_x 1
		.amdhsa_system_sgpr_workgroup_id_y 1
		.amdhsa_system_sgpr_workgroup_id_z 1
		.amdhsa_system_sgpr_workgroup_info 0
		.amdhsa_system_vgpr_workitem_id 1
		.amdhsa_next_free_vgpr 52
		.amdhsa_next_free_sgpr 61
		.amdhsa_reserve_vcc 1
		.amdhsa_reserve_flat_scratch 0
		.amdhsa_float_round_mode_32 0
		.amdhsa_float_round_mode_16_64 0
		.amdhsa_float_denorm_mode_32 3
		.amdhsa_float_denorm_mode_16_64 3
		.amdhsa_dx10_clamp 1
		.amdhsa_ieee_mode 1
		.amdhsa_fp16_overflow 0
		.amdhsa_exception_fp_ieee_invalid_op 0
		.amdhsa_exception_fp_denorm_src 0
		.amdhsa_exception_fp_ieee_div_zero 0
		.amdhsa_exception_fp_ieee_overflow 0
		.amdhsa_exception_fp_ieee_underflow 0
		.amdhsa_exception_fp_ieee_inexact 0
		.amdhsa_exception_int_div_zero 0
	.end_amdhsa_kernel
	.section	.text._ZL37rocblas_syrkx_herkx_restricted_kernelIi19rocblas_complex_numIdELi16ELi32ELi8ELb0ELb0ELc84ELc85EKS1_S1_EviT_T0_PT8_S3_lS6_S3_lS4_PT9_S3_li,"axG",@progbits,_ZL37rocblas_syrkx_herkx_restricted_kernelIi19rocblas_complex_numIdELi16ELi32ELi8ELb0ELb0ELc84ELc85EKS1_S1_EviT_T0_PT8_S3_lS6_S3_lS4_PT9_S3_li,comdat
.Lfunc_end266:
	.size	_ZL37rocblas_syrkx_herkx_restricted_kernelIi19rocblas_complex_numIdELi16ELi32ELi8ELb0ELb0ELc84ELc85EKS1_S1_EviT_T0_PT8_S3_lS6_S3_lS4_PT9_S3_li, .Lfunc_end266-_ZL37rocblas_syrkx_herkx_restricted_kernelIi19rocblas_complex_numIdELi16ELi32ELi8ELb0ELb0ELc84ELc85EKS1_S1_EviT_T0_PT8_S3_lS6_S3_lS4_PT9_S3_li
                                        ; -- End function
	.set _ZL37rocblas_syrkx_herkx_restricted_kernelIi19rocblas_complex_numIdELi16ELi32ELi8ELb0ELb0ELc84ELc85EKS1_S1_EviT_T0_PT8_S3_lS6_S3_lS4_PT9_S3_li.num_vgpr, 52
	.set _ZL37rocblas_syrkx_herkx_restricted_kernelIi19rocblas_complex_numIdELi16ELi32ELi8ELb0ELb0ELc84ELc85EKS1_S1_EviT_T0_PT8_S3_lS6_S3_lS4_PT9_S3_li.num_agpr, 0
	.set _ZL37rocblas_syrkx_herkx_restricted_kernelIi19rocblas_complex_numIdELi16ELi32ELi8ELb0ELb0ELc84ELc85EKS1_S1_EviT_T0_PT8_S3_lS6_S3_lS4_PT9_S3_li.numbered_sgpr, 30
	.set _ZL37rocblas_syrkx_herkx_restricted_kernelIi19rocblas_complex_numIdELi16ELi32ELi8ELb0ELb0ELc84ELc85EKS1_S1_EviT_T0_PT8_S3_lS6_S3_lS4_PT9_S3_li.num_named_barrier, 0
	.set _ZL37rocblas_syrkx_herkx_restricted_kernelIi19rocblas_complex_numIdELi16ELi32ELi8ELb0ELb0ELc84ELc85EKS1_S1_EviT_T0_PT8_S3_lS6_S3_lS4_PT9_S3_li.private_seg_size, 0
	.set _ZL37rocblas_syrkx_herkx_restricted_kernelIi19rocblas_complex_numIdELi16ELi32ELi8ELb0ELb0ELc84ELc85EKS1_S1_EviT_T0_PT8_S3_lS6_S3_lS4_PT9_S3_li.uses_vcc, 1
	.set _ZL37rocblas_syrkx_herkx_restricted_kernelIi19rocblas_complex_numIdELi16ELi32ELi8ELb0ELb0ELc84ELc85EKS1_S1_EviT_T0_PT8_S3_lS6_S3_lS4_PT9_S3_li.uses_flat_scratch, 0
	.set _ZL37rocblas_syrkx_herkx_restricted_kernelIi19rocblas_complex_numIdELi16ELi32ELi8ELb0ELb0ELc84ELc85EKS1_S1_EviT_T0_PT8_S3_lS6_S3_lS4_PT9_S3_li.has_dyn_sized_stack, 0
	.set _ZL37rocblas_syrkx_herkx_restricted_kernelIi19rocblas_complex_numIdELi16ELi32ELi8ELb0ELb0ELc84ELc85EKS1_S1_EviT_T0_PT8_S3_lS6_S3_lS4_PT9_S3_li.has_recursion, 0
	.set _ZL37rocblas_syrkx_herkx_restricted_kernelIi19rocblas_complex_numIdELi16ELi32ELi8ELb0ELb0ELc84ELc85EKS1_S1_EviT_T0_PT8_S3_lS6_S3_lS4_PT9_S3_li.has_indirect_call, 0
	.section	.AMDGPU.csdata,"",@progbits
; Kernel info:
; codeLenInByte = 3140
; TotalNumSgprs: 34
; NumVgprs: 52
; ScratchSize: 0
; MemoryBound: 0
; FloatMode: 240
; IeeeMode: 1
; LDSByteSize: 8192 bytes/workgroup (compile time only)
; SGPRBlocks: 8
; VGPRBlocks: 12
; NumSGPRsForWavesPerEU: 65
; NumVGPRsForWavesPerEU: 52
; Occupancy: 4
; WaveLimiterHint : 0
; COMPUTE_PGM_RSRC2:SCRATCH_EN: 0
; COMPUTE_PGM_RSRC2:USER_SGPR: 6
; COMPUTE_PGM_RSRC2:TRAP_HANDLER: 0
; COMPUTE_PGM_RSRC2:TGID_X_EN: 1
; COMPUTE_PGM_RSRC2:TGID_Y_EN: 1
; COMPUTE_PGM_RSRC2:TGID_Z_EN: 1
; COMPUTE_PGM_RSRC2:TIDIG_COMP_CNT: 1
	.section	.text._ZL37rocblas_syrkx_herkx_restricted_kernelIi19rocblas_complex_numIdELi16ELi32ELi8ELb0ELb0ELc67ELc85EKS1_S1_EviT_T0_PT8_S3_lS6_S3_lS4_PT9_S3_li,"axG",@progbits,_ZL37rocblas_syrkx_herkx_restricted_kernelIi19rocblas_complex_numIdELi16ELi32ELi8ELb0ELb0ELc67ELc85EKS1_S1_EviT_T0_PT8_S3_lS6_S3_lS4_PT9_S3_li,comdat
	.globl	_ZL37rocblas_syrkx_herkx_restricted_kernelIi19rocblas_complex_numIdELi16ELi32ELi8ELb0ELb0ELc67ELc85EKS1_S1_EviT_T0_PT8_S3_lS6_S3_lS4_PT9_S3_li ; -- Begin function _ZL37rocblas_syrkx_herkx_restricted_kernelIi19rocblas_complex_numIdELi16ELi32ELi8ELb0ELb0ELc67ELc85EKS1_S1_EviT_T0_PT8_S3_lS6_S3_lS4_PT9_S3_li
	.p2align	8
	.type	_ZL37rocblas_syrkx_herkx_restricted_kernelIi19rocblas_complex_numIdELi16ELi32ELi8ELb0ELb0ELc67ELc85EKS1_S1_EviT_T0_PT8_S3_lS6_S3_lS4_PT9_S3_li,@function
_ZL37rocblas_syrkx_herkx_restricted_kernelIi19rocblas_complex_numIdELi16ELi32ELi8ELb0ELb0ELc67ELc85EKS1_S1_EviT_T0_PT8_S3_lS6_S3_lS4_PT9_S3_li: ; @_ZL37rocblas_syrkx_herkx_restricted_kernelIi19rocblas_complex_numIdELi16ELi32ELi8ELb0ELb0ELc67ELc85EKS1_S1_EviT_T0_PT8_S3_lS6_S3_lS4_PT9_S3_li
; %bb.0:
	s_load_dwordx2 s[10:11], s[4:5], 0x0
	s_load_dwordx4 s[20:23], s[4:5], 0x8
	s_load_dwordx2 s[24:25], s[4:5], 0x18
	s_load_dwordx8 s[12:19], s[4:5], 0x40
	s_lshl_b32 s6, s6, 5
	s_lshl_b32 s7, s7, 5
	s_waitcnt lgkmcnt(0)
	s_cmp_lt_i32 s11, 1
	s_mov_b32 s9, 0
	s_cbranch_scc1 .LBB267_3
; %bb.1:
	s_load_dword s28, s[4:5], 0x20
	s_load_dwordx4 s[0:3], s[4:5], 0x28
	s_load_dword s26, s[4:5], 0x38
	v_lshl_add_u32 v3, v1, 4, v0
	v_lshrrev_b32_e32 v8, 3, v3
	v_lshrrev_b32_e32 v2, 5, v3
	v_and_b32_e32 v4, 7, v0
	v_and_b32_e32 v9, 31, v3
	v_add_u32_e32 v3, s7, v8
	v_mov_b32_e32 v5, 0
	s_waitcnt lgkmcnt(0)
	v_mad_i64_i32 v[6:7], s[26:27], s26, v3, v[4:5]
	v_lshlrev_b32_e32 v4, 4, v4
	v_lshl_or_b32 v4, v8, 7, v4
	v_add_u32_e32 v23, 0x1000, v4
	v_mov_b32_e32 v4, 0x1000
	v_mov_b32_e32 v3, v5
	v_lshlrev_b32_e32 v5, 4, v9
	v_lshl_add_u32 v25, v1, 7, v4
	v_add_u32_e32 v4, s6, v9
	v_lshl_or_b32 v22, v2, 9, v5
	v_mad_i64_i32 v[2:3], s[26:27], s28, v4, v[2:3]
	s_mul_i32 s1, s1, s8
	s_mul_hi_u32 s29, s0, s8
	s_add_i32 s1, s29, s1
	s_mul_i32 s0, s0, s8
	s_lshl_b64 s[0:1], s[0:1], 4
	v_lshlrev_b64 v[2:3], 4, v[2:3]
	s_add_u32 s0, s24, s0
	s_addc_u32 s1, s25, s1
	v_mov_b32_e32 v4, s1
	v_add_co_u32_e32 v2, vcc, s0, v2
	s_mul_i32 s0, s13, s8
	s_mul_hi_u32 s1, s12, s8
	s_add_i32 s1, s1, s0
	s_mul_i32 s0, s12, s8
	v_addc_co_u32_e32 v3, vcc, v4, v3, vcc
	s_lshl_b64 s[0:1], s[0:1], 4
	v_add_co_u32_e32 v2, vcc, 8, v2
	v_lshlrev_b64 v[4:5], 4, v[6:7]
	s_add_u32 s0, s2, s0
	v_addc_co_u32_e32 v3, vcc, 0, v3, vcc
	s_addc_u32 s1, s3, s1
	v_mov_b32_e32 v6, s1
	v_add_co_u32_e32 v4, vcc, s0, v4
	v_addc_co_u32_e32 v5, vcc, v6, v5, vcc
	v_mov_b32_e32 v12, 0
	v_mov_b32_e32 v10, 0
	;; [unrolled: 1-line block ×8, first 2 shown]
	v_add_co_u32_e32 v4, vcc, 8, v4
	v_lshlrev_b32_e32 v24, 4, v0
	v_mov_b32_e32 v13, 0
	v_mov_b32_e32 v11, 0
	;; [unrolled: 1-line block ×8, first 2 shown]
	v_addc_co_u32_e32 v5, vcc, 0, v5, vcc
.LBB267_2:                              ; =>This Inner Loop Header: Depth=1
	global_load_dwordx4 v[26:29], v[2:3], off offset:-8
	v_add_co_u32_e32 v2, vcc, 0x80, v2
	v_addc_co_u32_e32 v3, vcc, 0, v3, vcc
	s_add_i32 s9, s9, 8
	s_cmp_ge_i32 s9, s11
	s_waitcnt vmcnt(0)
	ds_write_b128 v22, v[26:29]
	global_load_dwordx4 v[26:29], v[4:5], off offset:-8
	v_add_co_u32_e32 v4, vcc, 0x80, v4
	v_addc_co_u32_e32 v5, vcc, 0, v5, vcc
	s_waitcnt vmcnt(0)
	ds_write_b128 v23, v[26:29]
	s_waitcnt lgkmcnt(0)
	s_barrier
	ds_read_b128 v[26:29], v25
	ds_read_b128 v[30:33], v25 offset:16
	ds_read_b128 v[34:37], v25 offset:32
	ds_read_b128 v[38:41], v25 offset:48
	ds_read_b128 v[42:45], v24
	s_waitcnt lgkmcnt(0)
	v_mul_f64 v[46:47], v[28:29], v[44:45]
	v_mul_f64 v[48:49], v[26:27], v[44:45]
	v_fma_f64 v[46:47], v[26:27], v[42:43], -v[46:47]
	v_fma_f64 v[48:49], v[28:29], v[42:43], v[48:49]
	v_add_f64 v[46:47], v[18:19], v[46:47]
	v_add_f64 v[48:49], v[48:49], v[20:21]
	ds_read_b128 v[18:21], v24 offset:256
	s_waitcnt lgkmcnt(0)
	v_mul_f64 v[50:51], v[28:29], v[20:21]
	v_fma_f64 v[50:51], v[26:27], v[18:19], -v[50:51]
	v_mul_f64 v[26:27], v[26:27], v[20:21]
	v_fma_f64 v[26:27], v[28:29], v[18:19], v[26:27]
	v_add_f64 v[28:29], v[6:7], v[50:51]
	v_add_f64 v[26:27], v[26:27], v[8:9]
	ds_read_b128 v[6:9], v25 offset:2048
	s_waitcnt lgkmcnt(0)
	v_mul_f64 v[50:51], v[8:9], v[44:45]
	v_mul_f64 v[44:45], v[6:7], v[44:45]
	v_fma_f64 v[50:51], v[6:7], v[42:43], -v[50:51]
	v_fma_f64 v[42:43], v[8:9], v[42:43], v[44:45]
	v_add_f64 v[44:45], v[14:15], v[50:51]
	v_mul_f64 v[14:15], v[8:9], v[20:21]
	v_add_f64 v[42:43], v[42:43], v[16:17]
	v_fma_f64 v[14:15], v[6:7], v[18:19], -v[14:15]
	v_mul_f64 v[6:7], v[6:7], v[20:21]
	v_fma_f64 v[6:7], v[8:9], v[18:19], v[6:7]
	v_add_f64 v[18:19], v[10:11], v[14:15]
	v_add_f64 v[20:21], v[6:7], v[12:13]
	ds_read_b128 v[6:9], v24 offset:512
	s_waitcnt lgkmcnt(0)
	v_mul_f64 v[10:11], v[32:33], v[8:9]
	v_mul_f64 v[12:13], v[30:31], v[8:9]
	v_fma_f64 v[10:11], v[30:31], v[6:7], -v[10:11]
	v_fma_f64 v[12:13], v[32:33], v[6:7], v[12:13]
	v_add_f64 v[46:47], v[46:47], v[10:11]
	v_add_f64 v[48:49], v[12:13], v[48:49]
	ds_read_b128 v[10:13], v24 offset:768
	s_waitcnt lgkmcnt(0)
	v_mul_f64 v[14:15], v[32:33], v[12:13]
	v_mul_f64 v[16:17], v[30:31], v[12:13]
	v_fma_f64 v[14:15], v[30:31], v[10:11], -v[14:15]
	;; [unrolled: 8-line block ×3, first 2 shown]
	v_fma_f64 v[6:7], v[16:17], v[6:7], v[8:9]
	v_mul_f64 v[8:9], v[14:15], v[12:13]
	v_add_f64 v[30:31], v[44:45], v[30:31]
	v_add_f64 v[32:33], v[6:7], v[42:43]
	v_mul_f64 v[6:7], v[16:17], v[12:13]
	v_fma_f64 v[8:9], v[16:17], v[10:11], v[8:9]
	v_fma_f64 v[6:7], v[14:15], v[10:11], -v[6:7]
	v_add_f64 v[20:21], v[8:9], v[20:21]
	v_add_f64 v[18:19], v[18:19], v[6:7]
	ds_read_b128 v[6:9], v24 offset:1024
	s_waitcnt lgkmcnt(0)
	v_mul_f64 v[10:11], v[36:37], v[8:9]
	v_mul_f64 v[12:13], v[34:35], v[8:9]
	v_fma_f64 v[10:11], v[34:35], v[6:7], -v[10:11]
	v_fma_f64 v[12:13], v[36:37], v[6:7], v[12:13]
	v_add_f64 v[42:43], v[46:47], v[10:11]
	v_add_f64 v[44:45], v[12:13], v[48:49]
	ds_read_b128 v[10:13], v24 offset:1280
	s_waitcnt lgkmcnt(0)
	v_mul_f64 v[14:15], v[36:37], v[12:13]
	v_mul_f64 v[16:17], v[34:35], v[12:13]
	v_fma_f64 v[14:15], v[34:35], v[10:11], -v[14:15]
	v_fma_f64 v[16:17], v[36:37], v[10:11], v[16:17]
	;; [unrolled: 8-line block ×3, first 2 shown]
	v_mul_f64 v[8:9], v[14:15], v[12:13]
	v_add_f64 v[30:31], v[30:31], v[34:35]
	v_add_f64 v[32:33], v[6:7], v[32:33]
	v_mul_f64 v[6:7], v[16:17], v[12:13]
	v_fma_f64 v[8:9], v[16:17], v[10:11], v[8:9]
	v_fma_f64 v[6:7], v[14:15], v[10:11], -v[6:7]
	v_add_f64 v[20:21], v[8:9], v[20:21]
	v_add_f64 v[18:19], v[18:19], v[6:7]
	ds_read_b128 v[6:9], v24 offset:1536
	s_waitcnt lgkmcnt(0)
	v_mul_f64 v[10:11], v[40:41], v[8:9]
	v_mul_f64 v[12:13], v[38:39], v[8:9]
	v_fma_f64 v[10:11], v[38:39], v[6:7], -v[10:11]
	v_fma_f64 v[12:13], v[40:41], v[6:7], v[12:13]
	v_add_f64 v[34:35], v[42:43], v[10:11]
	v_add_f64 v[36:37], v[12:13], v[44:45]
	ds_read_b128 v[10:13], v24 offset:1792
	s_waitcnt lgkmcnt(0)
	v_mul_f64 v[14:15], v[40:41], v[12:13]
	v_mul_f64 v[16:17], v[38:39], v[12:13]
	v_fma_f64 v[14:15], v[38:39], v[10:11], -v[14:15]
	v_fma_f64 v[16:17], v[40:41], v[10:11], v[16:17]
	;; [unrolled: 8-line block ×3, first 2 shown]
	v_mul_f64 v[8:9], v[14:15], v[12:13]
	v_add_f64 v[30:31], v[30:31], v[38:39]
	v_add_f64 v[32:33], v[6:7], v[32:33]
	v_mul_f64 v[6:7], v[16:17], v[12:13]
	v_fma_f64 v[8:9], v[16:17], v[10:11], v[8:9]
	v_fma_f64 v[6:7], v[14:15], v[10:11], -v[6:7]
	v_add_f64 v[20:21], v[8:9], v[20:21]
	v_add_f64 v[18:19], v[18:19], v[6:7]
	ds_read_b128 v[6:9], v25 offset:64
	ds_read_b128 v[10:13], v24 offset:2048
	s_waitcnt lgkmcnt(0)
	v_mul_f64 v[14:15], v[8:9], v[12:13]
	v_mul_f64 v[16:17], v[6:7], v[12:13]
	v_fma_f64 v[14:15], v[6:7], v[10:11], -v[14:15]
	v_fma_f64 v[16:17], v[8:9], v[10:11], v[16:17]
	v_add_f64 v[34:35], v[34:35], v[14:15]
	v_add_f64 v[36:37], v[16:17], v[36:37]
	ds_read_b128 v[14:17], v24 offset:2304
	s_waitcnt lgkmcnt(0)
	v_mul_f64 v[38:39], v[8:9], v[16:17]
	v_fma_f64 v[38:39], v[6:7], v[14:15], -v[38:39]
	v_mul_f64 v[6:7], v[6:7], v[16:17]
	v_add_f64 v[28:29], v[28:29], v[38:39]
	v_fma_f64 v[6:7], v[8:9], v[14:15], v[6:7]
	v_add_f64 v[26:27], v[6:7], v[26:27]
	ds_read_b128 v[6:9], v25 offset:2112
	s_waitcnt lgkmcnt(0)
	v_mul_f64 v[38:39], v[8:9], v[12:13]
	v_mul_f64 v[12:13], v[6:7], v[12:13]
	v_fma_f64 v[38:39], v[6:7], v[10:11], -v[38:39]
	v_fma_f64 v[10:11], v[8:9], v[10:11], v[12:13]
	v_add_f64 v[30:31], v[30:31], v[38:39]
	v_add_f64 v[32:33], v[10:11], v[32:33]
	v_mul_f64 v[10:11], v[8:9], v[16:17]
	v_fma_f64 v[10:11], v[6:7], v[14:15], -v[10:11]
	v_mul_f64 v[6:7], v[6:7], v[16:17]
	v_add_f64 v[18:19], v[18:19], v[10:11]
	v_fma_f64 v[6:7], v[8:9], v[14:15], v[6:7]
	v_add_f64 v[20:21], v[6:7], v[20:21]
	ds_read_b128 v[6:9], v25 offset:80
	ds_read_b128 v[10:13], v24 offset:2560
	s_waitcnt lgkmcnt(0)
	v_mul_f64 v[14:15], v[8:9], v[12:13]
	v_mul_f64 v[16:17], v[6:7], v[12:13]
	v_fma_f64 v[14:15], v[6:7], v[10:11], -v[14:15]
	v_fma_f64 v[16:17], v[8:9], v[10:11], v[16:17]
	v_add_f64 v[34:35], v[34:35], v[14:15]
	v_add_f64 v[36:37], v[16:17], v[36:37]
	ds_read_b128 v[14:17], v24 offset:2816
	s_waitcnt lgkmcnt(0)
	v_mul_f64 v[38:39], v[8:9], v[16:17]
	v_fma_f64 v[38:39], v[6:7], v[14:15], -v[38:39]
	v_mul_f64 v[6:7], v[6:7], v[16:17]
	v_add_f64 v[28:29], v[28:29], v[38:39]
	v_fma_f64 v[6:7], v[8:9], v[14:15], v[6:7]
	v_add_f64 v[26:27], v[6:7], v[26:27]
	ds_read_b128 v[6:9], v25 offset:2128
	s_waitcnt lgkmcnt(0)
	v_mul_f64 v[38:39], v[8:9], v[12:13]
	v_mul_f64 v[12:13], v[6:7], v[12:13]
	v_fma_f64 v[38:39], v[6:7], v[10:11], -v[38:39]
	v_fma_f64 v[10:11], v[8:9], v[10:11], v[12:13]
	v_add_f64 v[30:31], v[30:31], v[38:39]
	v_add_f64 v[32:33], v[10:11], v[32:33]
	v_mul_f64 v[10:11], v[8:9], v[16:17]
	v_fma_f64 v[10:11], v[6:7], v[14:15], -v[10:11]
	v_mul_f64 v[6:7], v[6:7], v[16:17]
	v_add_f64 v[18:19], v[18:19], v[10:11]
	v_fma_f64 v[6:7], v[8:9], v[14:15], v[6:7]
	;; [unrolled: 31-line block ×3, first 2 shown]
	v_add_f64 v[48:49], v[6:7], v[20:21]
	ds_read_b128 v[6:9], v25 offset:112
	ds_read_b128 v[10:13], v24 offset:3584
	;; [unrolled: 1-line block ×4, first 2 shown]
	s_waitcnt lgkmcnt(0)
	s_barrier
	v_mul_f64 v[14:15], v[8:9], v[12:13]
	v_mul_f64 v[16:17], v[6:7], v[12:13]
	v_fma_f64 v[14:15], v[6:7], v[10:11], -v[14:15]
	v_fma_f64 v[16:17], v[8:9], v[10:11], v[16:17]
	v_add_f64 v[18:19], v[34:35], v[14:15]
	v_mul_f64 v[14:15], v[8:9], v[28:29]
	v_add_f64 v[20:21], v[16:17], v[36:37]
	v_fma_f64 v[14:15], v[6:7], v[26:27], -v[14:15]
	v_mul_f64 v[6:7], v[6:7], v[28:29]
	v_fma_f64 v[8:9], v[8:9], v[26:27], v[6:7]
	v_add_f64 v[6:7], v[38:39], v[14:15]
	v_mul_f64 v[14:15], v[32:33], v[12:13]
	v_mul_f64 v[12:13], v[30:31], v[12:13]
	v_add_f64 v[8:9], v[8:9], v[40:41]
	v_fma_f64 v[14:15], v[30:31], v[10:11], -v[14:15]
	v_fma_f64 v[10:11], v[32:33], v[10:11], v[12:13]
	v_mul_f64 v[12:13], v[30:31], v[28:29]
	v_add_f64 v[14:15], v[42:43], v[14:15]
	v_add_f64 v[16:17], v[10:11], v[44:45]
	v_mul_f64 v[10:11], v[32:33], v[28:29]
	v_fma_f64 v[12:13], v[32:33], v[26:27], v[12:13]
	v_fma_f64 v[10:11], v[30:31], v[26:27], -v[10:11]
	v_add_f64 v[12:13], v[12:13], v[48:49]
	v_add_f64 v[10:11], v[46:47], v[10:11]
	s_cbranch_scc0 .LBB267_2
	s_branch .LBB267_4
.LBB267_3:
	v_mov_b32_e32 v18, 0
	v_mov_b32_e32 v20, 0
	;; [unrolled: 1-line block ×16, first 2 shown]
.LBB267_4:
	s_load_dwordx2 s[0:1], s[4:5], 0x68
	s_load_dword s9, s[4:5], 0x60
	v_add_u32_e32 v4, s7, v1
	v_add_u32_e32 v0, s6, v0
	v_cmp_gt_i32_e32 vcc, s10, v4
	s_waitcnt lgkmcnt(0)
	s_mul_i32 s1, s1, s8
	s_mul_hi_u32 s2, s0, s8
	s_add_i32 s1, s2, s1
	v_mad_i64_i32 v[1:2], s[2:3], v4, s9, 0
	s_mul_i32 s0, s0, s8
	s_lshl_b64 s[0:1], s[0:1], 4
	s_add_u32 s4, s18, s0
	v_lshlrev_b64 v[1:2], 4, v[1:2]
	s_addc_u32 s5, s19, s1
	v_mov_b32_e32 v3, s5
	v_add_co_u32_e64 v5, s[0:1], s4, v1
	v_addc_co_u32_e64 v22, s[0:1], v3, v2, s[0:1]
	v_cmp_le_i32_e64 s[0:1], v0, v4
	s_and_b64 s[0:1], vcc, s[0:1]
	s_and_saveexec_b64 s[2:3], s[0:1]
	s_cbranch_execz .LBB267_6
; %bb.5:
	v_ashrrev_i32_e32 v1, 31, v0
	v_lshlrev_b64 v[1:2], 4, v[0:1]
	v_mul_f64 v[27:28], s[22:23], v[20:21]
	v_add_co_u32_e64 v1, s[0:1], v5, v1
	v_addc_co_u32_e64 v2, s[0:1], v22, v2, s[0:1]
	global_load_dwordx4 v[23:26], v[1:2], off
	v_mul_f64 v[20:21], s[20:21], v[20:21]
	v_fma_f64 v[27:28], s[20:21], v[18:19], -v[27:28]
	v_fma_f64 v[20:21], s[22:23], v[18:19], v[20:21]
	s_waitcnt vmcnt(0)
	v_mul_f64 v[29:30], s[16:17], v[25:26]
	v_mul_f64 v[25:26], s[14:15], v[25:26]
	v_fma_f64 v[18:19], s[14:15], v[23:24], -v[29:30]
	v_fma_f64 v[23:24], s[16:17], v[23:24], v[25:26]
	v_add_f64 v[18:19], v[27:28], v[18:19]
	v_add_f64 v[20:21], v[20:21], v[23:24]
	global_store_dwordx4 v[1:2], v[18:21], off
.LBB267_6:
	s_or_b64 exec, exec, s[2:3]
	v_add_u32_e32 v2, 16, v0
	v_cmp_le_i32_e64 s[0:1], v2, v4
	s_and_b64 s[2:3], vcc, s[0:1]
	s_and_saveexec_b64 s[0:1], s[2:3]
	s_cbranch_execz .LBB267_8
; %bb.7:
	v_ashrrev_i32_e32 v3, 31, v2
	v_lshlrev_b64 v[18:19], 4, v[2:3]
	v_mul_f64 v[25:26], s[22:23], v[8:9]
	v_add_co_u32_e32 v23, vcc, v5, v18
	v_addc_co_u32_e32 v24, vcc, v22, v19, vcc
	global_load_dwordx4 v[18:21], v[23:24], off
	v_mul_f64 v[8:9], s[20:21], v[8:9]
	v_fma_f64 v[25:26], s[20:21], v[6:7], -v[25:26]
	v_fma_f64 v[7:8], s[22:23], v[6:7], v[8:9]
	s_waitcnt vmcnt(0)
	v_mul_f64 v[27:28], s[16:17], v[20:21]
	v_mul_f64 v[20:21], s[14:15], v[20:21]
	v_fma_f64 v[5:6], s[14:15], v[18:19], -v[27:28]
	v_fma_f64 v[18:19], s[16:17], v[18:19], v[20:21]
	v_add_f64 v[5:6], v[25:26], v[5:6]
	v_add_f64 v[7:8], v[7:8], v[18:19]
	global_store_dwordx4 v[23:24], v[5:8], off
.LBB267_8:
	s_or_b64 exec, exec, s[0:1]
	v_add_u32_e32 v3, 16, v4
	v_mad_i64_i32 v[4:5], s[0:1], v3, s9, 0
	v_mov_b32_e32 v1, s5
	v_cmp_gt_i32_e32 vcc, s10, v3
	v_lshlrev_b64 v[4:5], 4, v[4:5]
	v_add_co_u32_e64 v4, s[0:1], s4, v4
	v_addc_co_u32_e64 v5, s[0:1], v1, v5, s[0:1]
	v_cmp_le_i32_e64 s[0:1], v0, v3
	s_and_b64 s[0:1], vcc, s[0:1]
	s_and_saveexec_b64 s[2:3], s[0:1]
	s_cbranch_execz .LBB267_10
; %bb.9:
	v_ashrrev_i32_e32 v1, 31, v0
	v_lshlrev_b64 v[0:1], 4, v[0:1]
	v_mul_f64 v[18:19], s[22:23], v[16:17]
	v_add_co_u32_e64 v0, s[0:1], v4, v0
	v_addc_co_u32_e64 v1, s[0:1], v5, v1, s[0:1]
	global_load_dwordx4 v[6:9], v[0:1], off
	v_mul_f64 v[16:17], s[20:21], v[16:17]
	v_fma_f64 v[18:19], s[20:21], v[14:15], -v[18:19]
	v_fma_f64 v[14:15], s[22:23], v[14:15], v[16:17]
	s_waitcnt vmcnt(0)
	v_mul_f64 v[20:21], s[16:17], v[8:9]
	v_mul_f64 v[8:9], s[14:15], v[8:9]
	v_fma_f64 v[16:17], s[14:15], v[6:7], -v[20:21]
	v_fma_f64 v[8:9], s[16:17], v[6:7], v[8:9]
	v_add_f64 v[6:7], v[18:19], v[16:17]
	v_add_f64 v[8:9], v[14:15], v[8:9]
	global_store_dwordx4 v[0:1], v[6:9], off
.LBB267_10:
	s_or_b64 exec, exec, s[2:3]
	v_cmp_le_i32_e64 s[0:1], v2, v3
	s_and_b64 s[0:1], vcc, s[0:1]
	s_and_saveexec_b64 s[2:3], s[0:1]
	s_cbranch_execz .LBB267_12
; %bb.11:
	v_ashrrev_i32_e32 v3, 31, v2
	v_lshlrev_b64 v[0:1], 4, v[2:3]
	v_mul_f64 v[6:7], s[22:23], v[12:13]
	v_add_co_u32_e32 v4, vcc, v4, v0
	v_addc_co_u32_e32 v5, vcc, v5, v1, vcc
	global_load_dwordx4 v[0:3], v[4:5], off
	v_mul_f64 v[8:9], s[20:21], v[12:13]
	v_fma_f64 v[6:7], s[20:21], v[10:11], -v[6:7]
	v_fma_f64 v[8:9], s[22:23], v[10:11], v[8:9]
	s_waitcnt vmcnt(0)
	v_mul_f64 v[12:13], s[16:17], v[2:3]
	v_mul_f64 v[2:3], s[14:15], v[2:3]
	v_fma_f64 v[10:11], s[14:15], v[0:1], -v[12:13]
	v_fma_f64 v[2:3], s[16:17], v[0:1], v[2:3]
	v_add_f64 v[0:1], v[6:7], v[10:11]
	v_add_f64 v[2:3], v[8:9], v[2:3]
	global_store_dwordx4 v[4:5], v[0:3], off
.LBB267_12:
	s_endpgm
	.section	.rodata,"a",@progbits
	.p2align	6, 0x0
	.amdhsa_kernel _ZL37rocblas_syrkx_herkx_restricted_kernelIi19rocblas_complex_numIdELi16ELi32ELi8ELb0ELb0ELc67ELc85EKS1_S1_EviT_T0_PT8_S3_lS6_S3_lS4_PT9_S3_li
		.amdhsa_group_segment_fixed_size 8192
		.amdhsa_private_segment_fixed_size 0
		.amdhsa_kernarg_size 116
		.amdhsa_user_sgpr_count 6
		.amdhsa_user_sgpr_private_segment_buffer 1
		.amdhsa_user_sgpr_dispatch_ptr 0
		.amdhsa_user_sgpr_queue_ptr 0
		.amdhsa_user_sgpr_kernarg_segment_ptr 1
		.amdhsa_user_sgpr_dispatch_id 0
		.amdhsa_user_sgpr_flat_scratch_init 0
		.amdhsa_user_sgpr_private_segment_size 0
		.amdhsa_uses_dynamic_stack 0
		.amdhsa_system_sgpr_private_segment_wavefront_offset 0
		.amdhsa_system_sgpr_workgroup_id_x 1
		.amdhsa_system_sgpr_workgroup_id_y 1
		.amdhsa_system_sgpr_workgroup_id_z 1
		.amdhsa_system_sgpr_workgroup_info 0
		.amdhsa_system_vgpr_workitem_id 1
		.amdhsa_next_free_vgpr 52
		.amdhsa_next_free_sgpr 61
		.amdhsa_reserve_vcc 1
		.amdhsa_reserve_flat_scratch 0
		.amdhsa_float_round_mode_32 0
		.amdhsa_float_round_mode_16_64 0
		.amdhsa_float_denorm_mode_32 3
		.amdhsa_float_denorm_mode_16_64 3
		.amdhsa_dx10_clamp 1
		.amdhsa_ieee_mode 1
		.amdhsa_fp16_overflow 0
		.amdhsa_exception_fp_ieee_invalid_op 0
		.amdhsa_exception_fp_denorm_src 0
		.amdhsa_exception_fp_ieee_div_zero 0
		.amdhsa_exception_fp_ieee_overflow 0
		.amdhsa_exception_fp_ieee_underflow 0
		.amdhsa_exception_fp_ieee_inexact 0
		.amdhsa_exception_int_div_zero 0
	.end_amdhsa_kernel
	.section	.text._ZL37rocblas_syrkx_herkx_restricted_kernelIi19rocblas_complex_numIdELi16ELi32ELi8ELb0ELb0ELc67ELc85EKS1_S1_EviT_T0_PT8_S3_lS6_S3_lS4_PT9_S3_li,"axG",@progbits,_ZL37rocblas_syrkx_herkx_restricted_kernelIi19rocblas_complex_numIdELi16ELi32ELi8ELb0ELb0ELc67ELc85EKS1_S1_EviT_T0_PT8_S3_lS6_S3_lS4_PT9_S3_li,comdat
.Lfunc_end267:
	.size	_ZL37rocblas_syrkx_herkx_restricted_kernelIi19rocblas_complex_numIdELi16ELi32ELi8ELb0ELb0ELc67ELc85EKS1_S1_EviT_T0_PT8_S3_lS6_S3_lS4_PT9_S3_li, .Lfunc_end267-_ZL37rocblas_syrkx_herkx_restricted_kernelIi19rocblas_complex_numIdELi16ELi32ELi8ELb0ELb0ELc67ELc85EKS1_S1_EviT_T0_PT8_S3_lS6_S3_lS4_PT9_S3_li
                                        ; -- End function
	.set _ZL37rocblas_syrkx_herkx_restricted_kernelIi19rocblas_complex_numIdELi16ELi32ELi8ELb0ELb0ELc67ELc85EKS1_S1_EviT_T0_PT8_S3_lS6_S3_lS4_PT9_S3_li.num_vgpr, 52
	.set _ZL37rocblas_syrkx_herkx_restricted_kernelIi19rocblas_complex_numIdELi16ELi32ELi8ELb0ELb0ELc67ELc85EKS1_S1_EviT_T0_PT8_S3_lS6_S3_lS4_PT9_S3_li.num_agpr, 0
	.set _ZL37rocblas_syrkx_herkx_restricted_kernelIi19rocblas_complex_numIdELi16ELi32ELi8ELb0ELb0ELc67ELc85EKS1_S1_EviT_T0_PT8_S3_lS6_S3_lS4_PT9_S3_li.numbered_sgpr, 30
	.set _ZL37rocblas_syrkx_herkx_restricted_kernelIi19rocblas_complex_numIdELi16ELi32ELi8ELb0ELb0ELc67ELc85EKS1_S1_EviT_T0_PT8_S3_lS6_S3_lS4_PT9_S3_li.num_named_barrier, 0
	.set _ZL37rocblas_syrkx_herkx_restricted_kernelIi19rocblas_complex_numIdELi16ELi32ELi8ELb0ELb0ELc67ELc85EKS1_S1_EviT_T0_PT8_S3_lS6_S3_lS4_PT9_S3_li.private_seg_size, 0
	.set _ZL37rocblas_syrkx_herkx_restricted_kernelIi19rocblas_complex_numIdELi16ELi32ELi8ELb0ELb0ELc67ELc85EKS1_S1_EviT_T0_PT8_S3_lS6_S3_lS4_PT9_S3_li.uses_vcc, 1
	.set _ZL37rocblas_syrkx_herkx_restricted_kernelIi19rocblas_complex_numIdELi16ELi32ELi8ELb0ELb0ELc67ELc85EKS1_S1_EviT_T0_PT8_S3_lS6_S3_lS4_PT9_S3_li.uses_flat_scratch, 0
	.set _ZL37rocblas_syrkx_herkx_restricted_kernelIi19rocblas_complex_numIdELi16ELi32ELi8ELb0ELb0ELc67ELc85EKS1_S1_EviT_T0_PT8_S3_lS6_S3_lS4_PT9_S3_li.has_dyn_sized_stack, 0
	.set _ZL37rocblas_syrkx_herkx_restricted_kernelIi19rocblas_complex_numIdELi16ELi32ELi8ELb0ELb0ELc67ELc85EKS1_S1_EviT_T0_PT8_S3_lS6_S3_lS4_PT9_S3_li.has_recursion, 0
	.set _ZL37rocblas_syrkx_herkx_restricted_kernelIi19rocblas_complex_numIdELi16ELi32ELi8ELb0ELb0ELc67ELc85EKS1_S1_EviT_T0_PT8_S3_lS6_S3_lS4_PT9_S3_li.has_indirect_call, 0
	.section	.AMDGPU.csdata,"",@progbits
; Kernel info:
; codeLenInByte = 3140
; TotalNumSgprs: 34
; NumVgprs: 52
; ScratchSize: 0
; MemoryBound: 0
; FloatMode: 240
; IeeeMode: 1
; LDSByteSize: 8192 bytes/workgroup (compile time only)
; SGPRBlocks: 8
; VGPRBlocks: 12
; NumSGPRsForWavesPerEU: 65
; NumVGPRsForWavesPerEU: 52
; Occupancy: 4
; WaveLimiterHint : 0
; COMPUTE_PGM_RSRC2:SCRATCH_EN: 0
; COMPUTE_PGM_RSRC2:USER_SGPR: 6
; COMPUTE_PGM_RSRC2:TRAP_HANDLER: 0
; COMPUTE_PGM_RSRC2:TGID_X_EN: 1
; COMPUTE_PGM_RSRC2:TGID_Y_EN: 1
; COMPUTE_PGM_RSRC2:TGID_Z_EN: 1
; COMPUTE_PGM_RSRC2:TIDIG_COMP_CNT: 1
	.section	.text._ZL37rocblas_syrkx_herkx_restricted_kernelIi19rocblas_complex_numIdELi16ELi32ELi8ELb0ELb0ELc78ELc85EKS1_S1_EviT_T0_PT8_S3_lS6_S3_lS4_PT9_S3_li,"axG",@progbits,_ZL37rocblas_syrkx_herkx_restricted_kernelIi19rocblas_complex_numIdELi16ELi32ELi8ELb0ELb0ELc78ELc85EKS1_S1_EviT_T0_PT8_S3_lS6_S3_lS4_PT9_S3_li,comdat
	.globl	_ZL37rocblas_syrkx_herkx_restricted_kernelIi19rocblas_complex_numIdELi16ELi32ELi8ELb0ELb0ELc78ELc85EKS1_S1_EviT_T0_PT8_S3_lS6_S3_lS4_PT9_S3_li ; -- Begin function _ZL37rocblas_syrkx_herkx_restricted_kernelIi19rocblas_complex_numIdELi16ELi32ELi8ELb0ELb0ELc78ELc85EKS1_S1_EviT_T0_PT8_S3_lS6_S3_lS4_PT9_S3_li
	.p2align	8
	.type	_ZL37rocblas_syrkx_herkx_restricted_kernelIi19rocblas_complex_numIdELi16ELi32ELi8ELb0ELb0ELc78ELc85EKS1_S1_EviT_T0_PT8_S3_lS6_S3_lS4_PT9_S3_li,@function
_ZL37rocblas_syrkx_herkx_restricted_kernelIi19rocblas_complex_numIdELi16ELi32ELi8ELb0ELb0ELc78ELc85EKS1_S1_EviT_T0_PT8_S3_lS6_S3_lS4_PT9_S3_li: ; @_ZL37rocblas_syrkx_herkx_restricted_kernelIi19rocblas_complex_numIdELi16ELi32ELi8ELb0ELb0ELc78ELc85EKS1_S1_EviT_T0_PT8_S3_lS6_S3_lS4_PT9_S3_li
; %bb.0:
	s_load_dwordx2 s[10:11], s[4:5], 0x0
	s_load_dwordx4 s[20:23], s[4:5], 0x8
	s_load_dwordx2 s[24:25], s[4:5], 0x18
	s_load_dwordx8 s[12:19], s[4:5], 0x40
	s_lshl_b32 s6, s6, 5
	s_lshl_b32 s7, s7, 5
	s_waitcnt lgkmcnt(0)
	s_cmp_lt_i32 s11, 1
	s_mov_b32 s9, 0
	s_cbranch_scc1 .LBB268_3
; %bb.1:
	s_load_dword s26, s[4:5], 0x20
	s_load_dword s28, s[4:5], 0x38
	s_load_dwordx4 s[0:3], s[4:5], 0x28
	v_lshl_add_u32 v2, v1, 4, v0
	v_lshrrev_b32_e32 v6, 3, v2
	v_lshrrev_b32_e32 v7, 5, v2
	v_and_b32_e32 v9, 31, v2
	v_add_u32_e32 v2, s7, v6
	v_and_b32_e32 v8, 7, v0
	v_ashrrev_i32_e32 v3, 31, v2
	s_waitcnt lgkmcnt(0)
	v_mad_i64_i32 v[4:5], s[30:31], s28, v8, v[2:3]
	v_lshlrev_b32_e32 v2, 4, v9
	v_lshl_or_b32 v22, v7, 9, v2
	v_lshlrev_b32_e32 v2, 4, v8
	v_lshl_or_b32 v2, v6, 7, v2
	v_add_u32_e32 v23, 0x1000, v2
	v_mov_b32_e32 v2, 0x1000
	v_lshl_add_u32 v25, v1, 7, v2
	v_add_u32_e32 v2, s6, v9
	v_ashrrev_i32_e32 v3, 31, v2
	v_mad_i64_i32 v[2:3], s[30:31], s26, v7, v[2:3]
	s_mul_i32 s1, s1, s8
	s_mul_hi_u32 s33, s0, s8
	s_add_i32 s1, s33, s1
	s_mul_i32 s0, s0, s8
	s_ashr_i32 s27, s26, 31
	s_ashr_i32 s29, s28, 31
	s_lshl_b64 s[0:1], s[0:1], 4
	v_lshlrev_b64 v[2:3], 4, v[2:3]
	s_add_u32 s0, s24, s0
	s_addc_u32 s1, s25, s1
	s_mul_i32 s13, s13, s8
	s_mul_hi_u32 s24, s12, s8
	v_mov_b32_e32 v6, s1
	v_add_co_u32_e32 v2, vcc, s0, v2
	s_add_i32 s13, s24, s13
	s_mul_i32 s12, s12, s8
	v_addc_co_u32_e32 v3, vcc, v6, v3, vcc
	s_lshl_b64 s[0:1], s[26:27], 7
	s_lshl_b64 s[12:13], s[12:13], 4
	v_add_co_u32_e32 v2, vcc, 8, v2
	v_lshlrev_b64 v[4:5], 4, v[4:5]
	s_add_u32 s2, s2, s12
	v_addc_co_u32_e32 v3, vcc, 0, v3, vcc
	s_addc_u32 s3, s3, s13
	v_mov_b32_e32 v6, s3
	v_add_co_u32_e32 v4, vcc, s2, v4
	v_addc_co_u32_e32 v5, vcc, v6, v5, vcc
	v_add_co_u32_e32 v4, vcc, 8, v4
	s_lshl_b64 s[2:3], s[28:29], 7
	v_mov_b32_e32 v8, 0
	v_mov_b32_e32 v6, 0
	;; [unrolled: 1-line block ×8, first 2 shown]
	v_lshlrev_b32_e32 v24, 4, v0
	v_addc_co_u32_e32 v5, vcc, 0, v5, vcc
	v_mov_b32_e32 v9, 0
	v_mov_b32_e32 v26, s1
	;; [unrolled: 1-line block ×10, first 2 shown]
.LBB268_2:                              ; =>This Inner Loop Header: Depth=1
	global_load_dwordx4 v[28:31], v[2:3], off offset:-8
	v_add_co_u32_e32 v2, vcc, s0, v2
	v_addc_co_u32_e32 v3, vcc, v3, v26, vcc
	s_add_i32 s9, s9, 8
	s_cmp_ge_i32 s9, s11
	s_waitcnt vmcnt(0)
	ds_write_b128 v22, v[28:31]
	global_load_dwordx4 v[28:31], v[4:5], off offset:-8
	v_add_co_u32_e32 v4, vcc, s2, v4
	v_addc_co_u32_e32 v5, vcc, v5, v27, vcc
	s_waitcnt vmcnt(0)
	ds_write_b128 v23, v[28:31]
	s_waitcnt lgkmcnt(0)
	s_barrier
	ds_read_b128 v[28:31], v25
	ds_read_b128 v[32:35], v25 offset:16
	ds_read_b128 v[36:39], v25 offset:32
	;; [unrolled: 1-line block ×3, first 2 shown]
	ds_read_b128 v[44:47], v24
	s_waitcnt lgkmcnt(0)
	v_mul_f64 v[48:49], v[30:31], v[46:47]
	v_mul_f64 v[50:51], v[28:29], v[46:47]
	v_fma_f64 v[48:49], v[28:29], v[44:45], -v[48:49]
	v_fma_f64 v[50:51], v[30:31], v[44:45], v[50:51]
	v_add_f64 v[48:49], v[18:19], v[48:49]
	v_add_f64 v[50:51], v[50:51], v[20:21]
	ds_read_b128 v[18:21], v24 offset:256
	s_waitcnt lgkmcnt(0)
	v_mul_f64 v[52:53], v[30:31], v[20:21]
	v_fma_f64 v[52:53], v[28:29], v[18:19], -v[52:53]
	v_mul_f64 v[28:29], v[28:29], v[20:21]
	v_fma_f64 v[28:29], v[30:31], v[18:19], v[28:29]
	v_add_f64 v[30:31], v[10:11], v[52:53]
	v_add_f64 v[28:29], v[28:29], v[12:13]
	ds_read_b128 v[10:13], v25 offset:2048
	s_waitcnt lgkmcnt(0)
	v_mul_f64 v[52:53], v[12:13], v[46:47]
	v_mul_f64 v[46:47], v[10:11], v[46:47]
	v_fma_f64 v[52:53], v[10:11], v[44:45], -v[52:53]
	v_fma_f64 v[44:45], v[12:13], v[44:45], v[46:47]
	v_add_f64 v[46:47], v[14:15], v[52:53]
	v_mul_f64 v[14:15], v[12:13], v[20:21]
	v_add_f64 v[44:45], v[44:45], v[16:17]
	v_fma_f64 v[14:15], v[10:11], v[18:19], -v[14:15]
	v_mul_f64 v[10:11], v[10:11], v[20:21]
	v_fma_f64 v[10:11], v[12:13], v[18:19], v[10:11]
	v_add_f64 v[18:19], v[6:7], v[14:15]
	v_add_f64 v[20:21], v[10:11], v[8:9]
	ds_read_b128 v[6:9], v24 offset:512
	s_waitcnt lgkmcnt(0)
	v_mul_f64 v[10:11], v[34:35], v[8:9]
	v_mul_f64 v[12:13], v[32:33], v[8:9]
	v_fma_f64 v[10:11], v[32:33], v[6:7], -v[10:11]
	v_fma_f64 v[12:13], v[34:35], v[6:7], v[12:13]
	v_add_f64 v[48:49], v[48:49], v[10:11]
	v_add_f64 v[50:51], v[12:13], v[50:51]
	ds_read_b128 v[10:13], v24 offset:768
	s_waitcnt lgkmcnt(0)
	v_mul_f64 v[14:15], v[34:35], v[12:13]
	v_mul_f64 v[16:17], v[32:33], v[12:13]
	v_fma_f64 v[14:15], v[32:33], v[10:11], -v[14:15]
	;; [unrolled: 8-line block ×3, first 2 shown]
	v_fma_f64 v[6:7], v[16:17], v[6:7], v[8:9]
	v_mul_f64 v[8:9], v[14:15], v[12:13]
	v_add_f64 v[32:33], v[46:47], v[32:33]
	v_add_f64 v[34:35], v[6:7], v[44:45]
	v_mul_f64 v[6:7], v[16:17], v[12:13]
	v_fma_f64 v[8:9], v[16:17], v[10:11], v[8:9]
	v_fma_f64 v[6:7], v[14:15], v[10:11], -v[6:7]
	v_add_f64 v[20:21], v[8:9], v[20:21]
	v_add_f64 v[18:19], v[18:19], v[6:7]
	ds_read_b128 v[6:9], v24 offset:1024
	s_waitcnt lgkmcnt(0)
	v_mul_f64 v[10:11], v[38:39], v[8:9]
	v_mul_f64 v[12:13], v[36:37], v[8:9]
	v_fma_f64 v[10:11], v[36:37], v[6:7], -v[10:11]
	v_fma_f64 v[12:13], v[38:39], v[6:7], v[12:13]
	v_add_f64 v[44:45], v[48:49], v[10:11]
	v_add_f64 v[46:47], v[12:13], v[50:51]
	ds_read_b128 v[10:13], v24 offset:1280
	s_waitcnt lgkmcnt(0)
	v_mul_f64 v[14:15], v[38:39], v[12:13]
	v_mul_f64 v[16:17], v[36:37], v[12:13]
	v_fma_f64 v[14:15], v[36:37], v[10:11], -v[14:15]
	v_fma_f64 v[16:17], v[38:39], v[10:11], v[16:17]
	;; [unrolled: 8-line block ×3, first 2 shown]
	v_mul_f64 v[8:9], v[14:15], v[12:13]
	v_add_f64 v[32:33], v[32:33], v[36:37]
	v_add_f64 v[34:35], v[6:7], v[34:35]
	v_mul_f64 v[6:7], v[16:17], v[12:13]
	v_fma_f64 v[8:9], v[16:17], v[10:11], v[8:9]
	v_fma_f64 v[6:7], v[14:15], v[10:11], -v[6:7]
	v_add_f64 v[20:21], v[8:9], v[20:21]
	v_add_f64 v[18:19], v[18:19], v[6:7]
	ds_read_b128 v[6:9], v24 offset:1536
	s_waitcnt lgkmcnt(0)
	v_mul_f64 v[10:11], v[42:43], v[8:9]
	v_mul_f64 v[12:13], v[40:41], v[8:9]
	v_fma_f64 v[10:11], v[40:41], v[6:7], -v[10:11]
	v_fma_f64 v[12:13], v[42:43], v[6:7], v[12:13]
	v_add_f64 v[36:37], v[44:45], v[10:11]
	v_add_f64 v[38:39], v[12:13], v[46:47]
	ds_read_b128 v[10:13], v24 offset:1792
	s_waitcnt lgkmcnt(0)
	v_mul_f64 v[14:15], v[42:43], v[12:13]
	v_mul_f64 v[16:17], v[40:41], v[12:13]
	v_fma_f64 v[14:15], v[40:41], v[10:11], -v[14:15]
	v_fma_f64 v[16:17], v[42:43], v[10:11], v[16:17]
	;; [unrolled: 8-line block ×3, first 2 shown]
	v_mul_f64 v[8:9], v[14:15], v[12:13]
	v_add_f64 v[32:33], v[32:33], v[40:41]
	v_add_f64 v[34:35], v[6:7], v[34:35]
	v_mul_f64 v[6:7], v[16:17], v[12:13]
	v_fma_f64 v[8:9], v[16:17], v[10:11], v[8:9]
	v_fma_f64 v[6:7], v[14:15], v[10:11], -v[6:7]
	v_add_f64 v[20:21], v[8:9], v[20:21]
	v_add_f64 v[18:19], v[18:19], v[6:7]
	ds_read_b128 v[6:9], v25 offset:64
	ds_read_b128 v[10:13], v24 offset:2048
	s_waitcnt lgkmcnt(0)
	v_mul_f64 v[14:15], v[8:9], v[12:13]
	v_mul_f64 v[16:17], v[6:7], v[12:13]
	v_fma_f64 v[14:15], v[6:7], v[10:11], -v[14:15]
	v_fma_f64 v[16:17], v[8:9], v[10:11], v[16:17]
	v_add_f64 v[36:37], v[36:37], v[14:15]
	v_add_f64 v[38:39], v[16:17], v[38:39]
	ds_read_b128 v[14:17], v24 offset:2304
	s_waitcnt lgkmcnt(0)
	v_mul_f64 v[40:41], v[8:9], v[16:17]
	v_fma_f64 v[40:41], v[6:7], v[14:15], -v[40:41]
	v_mul_f64 v[6:7], v[6:7], v[16:17]
	v_add_f64 v[30:31], v[30:31], v[40:41]
	v_fma_f64 v[6:7], v[8:9], v[14:15], v[6:7]
	v_add_f64 v[28:29], v[6:7], v[28:29]
	ds_read_b128 v[6:9], v25 offset:2112
	s_waitcnt lgkmcnt(0)
	v_mul_f64 v[40:41], v[8:9], v[12:13]
	v_mul_f64 v[12:13], v[6:7], v[12:13]
	v_fma_f64 v[40:41], v[6:7], v[10:11], -v[40:41]
	v_fma_f64 v[10:11], v[8:9], v[10:11], v[12:13]
	v_add_f64 v[32:33], v[32:33], v[40:41]
	v_add_f64 v[34:35], v[10:11], v[34:35]
	v_mul_f64 v[10:11], v[8:9], v[16:17]
	v_fma_f64 v[10:11], v[6:7], v[14:15], -v[10:11]
	v_mul_f64 v[6:7], v[6:7], v[16:17]
	v_add_f64 v[18:19], v[18:19], v[10:11]
	v_fma_f64 v[6:7], v[8:9], v[14:15], v[6:7]
	v_add_f64 v[20:21], v[6:7], v[20:21]
	ds_read_b128 v[6:9], v25 offset:80
	ds_read_b128 v[10:13], v24 offset:2560
	s_waitcnt lgkmcnt(0)
	v_mul_f64 v[14:15], v[8:9], v[12:13]
	v_mul_f64 v[16:17], v[6:7], v[12:13]
	v_fma_f64 v[14:15], v[6:7], v[10:11], -v[14:15]
	v_fma_f64 v[16:17], v[8:9], v[10:11], v[16:17]
	v_add_f64 v[36:37], v[36:37], v[14:15]
	v_add_f64 v[38:39], v[16:17], v[38:39]
	ds_read_b128 v[14:17], v24 offset:2816
	s_waitcnt lgkmcnt(0)
	v_mul_f64 v[40:41], v[8:9], v[16:17]
	v_fma_f64 v[40:41], v[6:7], v[14:15], -v[40:41]
	v_mul_f64 v[6:7], v[6:7], v[16:17]
	v_add_f64 v[30:31], v[30:31], v[40:41]
	v_fma_f64 v[6:7], v[8:9], v[14:15], v[6:7]
	v_add_f64 v[28:29], v[6:7], v[28:29]
	ds_read_b128 v[6:9], v25 offset:2128
	s_waitcnt lgkmcnt(0)
	v_mul_f64 v[40:41], v[8:9], v[12:13]
	v_mul_f64 v[12:13], v[6:7], v[12:13]
	v_fma_f64 v[40:41], v[6:7], v[10:11], -v[40:41]
	v_fma_f64 v[10:11], v[8:9], v[10:11], v[12:13]
	v_add_f64 v[32:33], v[32:33], v[40:41]
	v_add_f64 v[34:35], v[10:11], v[34:35]
	v_mul_f64 v[10:11], v[8:9], v[16:17]
	v_fma_f64 v[10:11], v[6:7], v[14:15], -v[10:11]
	v_mul_f64 v[6:7], v[6:7], v[16:17]
	v_add_f64 v[18:19], v[18:19], v[10:11]
	v_fma_f64 v[6:7], v[8:9], v[14:15], v[6:7]
	;; [unrolled: 31-line block ×3, first 2 shown]
	v_add_f64 v[46:47], v[6:7], v[20:21]
	ds_read_b128 v[6:9], v25 offset:112
	ds_read_b128 v[14:17], v24 offset:3584
	;; [unrolled: 1-line block ×3, first 2 shown]
	s_waitcnt lgkmcnt(1)
	v_mul_f64 v[10:11], v[8:9], v[16:17]
	v_mul_f64 v[12:13], v[6:7], v[16:17]
	v_fma_f64 v[10:11], v[6:7], v[14:15], -v[10:11]
	v_fma_f64 v[12:13], v[8:9], v[14:15], v[12:13]
	v_add_f64 v[18:19], v[36:37], v[10:11]
	s_waitcnt lgkmcnt(0)
	v_mul_f64 v[10:11], v[8:9], v[30:31]
	v_add_f64 v[20:21], v[12:13], v[38:39]
	v_fma_f64 v[10:11], v[6:7], v[28:29], -v[10:11]
	v_mul_f64 v[6:7], v[6:7], v[30:31]
	v_add_f64 v[10:11], v[40:41], v[10:11]
	v_fma_f64 v[6:7], v[8:9], v[28:29], v[6:7]
	v_add_f64 v[12:13], v[6:7], v[42:43]
	ds_read_b128 v[6:9], v25 offset:2160
	s_waitcnt lgkmcnt(0)
	s_barrier
	v_mul_f64 v[36:37], v[8:9], v[16:17]
	v_mul_f64 v[16:17], v[6:7], v[16:17]
	v_fma_f64 v[36:37], v[6:7], v[14:15], -v[36:37]
	v_fma_f64 v[16:17], v[8:9], v[14:15], v[16:17]
	v_add_f64 v[14:15], v[32:33], v[36:37]
	v_mul_f64 v[32:33], v[8:9], v[30:31]
	v_add_f64 v[16:17], v[16:17], v[34:35]
	v_fma_f64 v[32:33], v[6:7], v[28:29], -v[32:33]
	v_mul_f64 v[6:7], v[6:7], v[30:31]
	v_fma_f64 v[8:9], v[8:9], v[28:29], v[6:7]
	v_add_f64 v[6:7], v[44:45], v[32:33]
	v_add_f64 v[8:9], v[8:9], v[46:47]
	s_cbranch_scc0 .LBB268_2
	s_branch .LBB268_4
.LBB268_3:
	v_mov_b32_e32 v18, 0
	v_mov_b32_e32 v20, 0
	;; [unrolled: 1-line block ×16, first 2 shown]
.LBB268_4:
	s_load_dwordx2 s[0:1], s[4:5], 0x68
	s_load_dword s9, s[4:5], 0x60
	v_add_u32_e32 v4, s7, v1
	v_add_u32_e32 v0, s6, v0
	v_cmp_gt_i32_e32 vcc, s10, v4
	s_waitcnt lgkmcnt(0)
	s_mul_i32 s1, s1, s8
	s_mul_hi_u32 s2, s0, s8
	s_add_i32 s1, s2, s1
	v_mad_i64_i32 v[1:2], s[2:3], v4, s9, 0
	s_mul_i32 s0, s0, s8
	s_lshl_b64 s[0:1], s[0:1], 4
	s_add_u32 s4, s18, s0
	v_lshlrev_b64 v[1:2], 4, v[1:2]
	s_addc_u32 s5, s19, s1
	v_mov_b32_e32 v3, s5
	v_add_co_u32_e64 v5, s[0:1], s4, v1
	v_addc_co_u32_e64 v22, s[0:1], v3, v2, s[0:1]
	v_cmp_le_i32_e64 s[0:1], v0, v4
	s_and_b64 s[0:1], vcc, s[0:1]
	s_and_saveexec_b64 s[2:3], s[0:1]
	s_cbranch_execz .LBB268_6
; %bb.5:
	v_ashrrev_i32_e32 v1, 31, v0
	v_lshlrev_b64 v[1:2], 4, v[0:1]
	v_mul_f64 v[27:28], s[22:23], v[20:21]
	v_add_co_u32_e64 v1, s[0:1], v5, v1
	v_addc_co_u32_e64 v2, s[0:1], v22, v2, s[0:1]
	global_load_dwordx4 v[23:26], v[1:2], off
	v_mul_f64 v[20:21], s[20:21], v[20:21]
	v_fma_f64 v[27:28], s[20:21], v[18:19], -v[27:28]
	v_fma_f64 v[20:21], s[22:23], v[18:19], v[20:21]
	s_waitcnt vmcnt(0)
	v_mul_f64 v[29:30], s[16:17], v[25:26]
	v_mul_f64 v[25:26], s[14:15], v[25:26]
	v_fma_f64 v[18:19], s[14:15], v[23:24], -v[29:30]
	v_fma_f64 v[23:24], s[16:17], v[23:24], v[25:26]
	v_add_f64 v[18:19], v[27:28], v[18:19]
	v_add_f64 v[20:21], v[20:21], v[23:24]
	global_store_dwordx4 v[1:2], v[18:21], off
.LBB268_6:
	s_or_b64 exec, exec, s[2:3]
	v_add_u32_e32 v2, 16, v0
	v_cmp_le_i32_e64 s[0:1], v2, v4
	s_and_b64 s[2:3], vcc, s[0:1]
	s_and_saveexec_b64 s[0:1], s[2:3]
	s_cbranch_execz .LBB268_8
; %bb.7:
	v_ashrrev_i32_e32 v3, 31, v2
	v_lshlrev_b64 v[18:19], 4, v[2:3]
	v_mul_f64 v[25:26], s[22:23], v[12:13]
	v_add_co_u32_e32 v23, vcc, v5, v18
	v_addc_co_u32_e32 v24, vcc, v22, v19, vcc
	global_load_dwordx4 v[18:21], v[23:24], off
	v_mul_f64 v[12:13], s[20:21], v[12:13]
	v_fma_f64 v[25:26], s[20:21], v[10:11], -v[25:26]
	v_fma_f64 v[12:13], s[22:23], v[10:11], v[12:13]
	s_waitcnt vmcnt(0)
	v_mul_f64 v[27:28], s[16:17], v[20:21]
	v_mul_f64 v[20:21], s[14:15], v[20:21]
	v_fma_f64 v[10:11], s[14:15], v[18:19], -v[27:28]
	v_fma_f64 v[18:19], s[16:17], v[18:19], v[20:21]
	v_add_f64 v[10:11], v[25:26], v[10:11]
	v_add_f64 v[12:13], v[12:13], v[18:19]
	global_store_dwordx4 v[23:24], v[10:13], off
.LBB268_8:
	s_or_b64 exec, exec, s[0:1]
	v_add_u32_e32 v3, 16, v4
	v_mad_i64_i32 v[4:5], s[0:1], v3, s9, 0
	v_mov_b32_e32 v1, s5
	v_cmp_gt_i32_e32 vcc, s10, v3
	v_lshlrev_b64 v[4:5], 4, v[4:5]
	v_add_co_u32_e64 v4, s[0:1], s4, v4
	v_addc_co_u32_e64 v5, s[0:1], v1, v5, s[0:1]
	v_cmp_le_i32_e64 s[0:1], v0, v3
	s_and_b64 s[0:1], vcc, s[0:1]
	s_and_saveexec_b64 s[2:3], s[0:1]
	s_cbranch_execz .LBB268_10
; %bb.9:
	v_ashrrev_i32_e32 v1, 31, v0
	v_lshlrev_b64 v[0:1], 4, v[0:1]
	v_mul_f64 v[18:19], s[22:23], v[16:17]
	v_add_co_u32_e64 v0, s[0:1], v4, v0
	v_addc_co_u32_e64 v1, s[0:1], v5, v1, s[0:1]
	global_load_dwordx4 v[10:13], v[0:1], off
	v_mul_f64 v[16:17], s[20:21], v[16:17]
	v_fma_f64 v[18:19], s[20:21], v[14:15], -v[18:19]
	v_fma_f64 v[14:15], s[22:23], v[14:15], v[16:17]
	s_waitcnt vmcnt(0)
	v_mul_f64 v[20:21], s[16:17], v[12:13]
	v_mul_f64 v[12:13], s[14:15], v[12:13]
	v_fma_f64 v[16:17], s[14:15], v[10:11], -v[20:21]
	v_fma_f64 v[12:13], s[16:17], v[10:11], v[12:13]
	v_add_f64 v[10:11], v[18:19], v[16:17]
	v_add_f64 v[12:13], v[14:15], v[12:13]
	global_store_dwordx4 v[0:1], v[10:13], off
.LBB268_10:
	s_or_b64 exec, exec, s[2:3]
	v_cmp_le_i32_e64 s[0:1], v2, v3
	s_and_b64 s[0:1], vcc, s[0:1]
	s_and_saveexec_b64 s[2:3], s[0:1]
	s_cbranch_execz .LBB268_12
; %bb.11:
	v_ashrrev_i32_e32 v3, 31, v2
	v_lshlrev_b64 v[0:1], 4, v[2:3]
	v_mul_f64 v[10:11], s[22:23], v[8:9]
	v_add_co_u32_e32 v4, vcc, v4, v0
	v_addc_co_u32_e32 v5, vcc, v5, v1, vcc
	global_load_dwordx4 v[0:3], v[4:5], off
	v_mul_f64 v[8:9], s[20:21], v[8:9]
	v_fma_f64 v[10:11], s[20:21], v[6:7], -v[10:11]
	v_fma_f64 v[6:7], s[22:23], v[6:7], v[8:9]
	s_waitcnt vmcnt(0)
	v_mul_f64 v[12:13], s[16:17], v[2:3]
	v_mul_f64 v[2:3], s[14:15], v[2:3]
	v_fma_f64 v[8:9], s[14:15], v[0:1], -v[12:13]
	v_fma_f64 v[2:3], s[16:17], v[0:1], v[2:3]
	v_add_f64 v[0:1], v[10:11], v[8:9]
	v_add_f64 v[2:3], v[6:7], v[2:3]
	global_store_dwordx4 v[4:5], v[0:3], off
.LBB268_12:
	s_endpgm
	.section	.rodata,"a",@progbits
	.p2align	6, 0x0
	.amdhsa_kernel _ZL37rocblas_syrkx_herkx_restricted_kernelIi19rocblas_complex_numIdELi16ELi32ELi8ELb0ELb0ELc78ELc85EKS1_S1_EviT_T0_PT8_S3_lS6_S3_lS4_PT9_S3_li
		.amdhsa_group_segment_fixed_size 8192
		.amdhsa_private_segment_fixed_size 0
		.amdhsa_kernarg_size 116
		.amdhsa_user_sgpr_count 6
		.amdhsa_user_sgpr_private_segment_buffer 1
		.amdhsa_user_sgpr_dispatch_ptr 0
		.amdhsa_user_sgpr_queue_ptr 0
		.amdhsa_user_sgpr_kernarg_segment_ptr 1
		.amdhsa_user_sgpr_dispatch_id 0
		.amdhsa_user_sgpr_flat_scratch_init 0
		.amdhsa_user_sgpr_private_segment_size 0
		.amdhsa_uses_dynamic_stack 0
		.amdhsa_system_sgpr_private_segment_wavefront_offset 0
		.amdhsa_system_sgpr_workgroup_id_x 1
		.amdhsa_system_sgpr_workgroup_id_y 1
		.amdhsa_system_sgpr_workgroup_id_z 1
		.amdhsa_system_sgpr_workgroup_info 0
		.amdhsa_system_vgpr_workitem_id 1
		.amdhsa_next_free_vgpr 54
		.amdhsa_next_free_sgpr 61
		.amdhsa_reserve_vcc 1
		.amdhsa_reserve_flat_scratch 0
		.amdhsa_float_round_mode_32 0
		.amdhsa_float_round_mode_16_64 0
		.amdhsa_float_denorm_mode_32 3
		.amdhsa_float_denorm_mode_16_64 3
		.amdhsa_dx10_clamp 1
		.amdhsa_ieee_mode 1
		.amdhsa_fp16_overflow 0
		.amdhsa_exception_fp_ieee_invalid_op 0
		.amdhsa_exception_fp_denorm_src 0
		.amdhsa_exception_fp_ieee_div_zero 0
		.amdhsa_exception_fp_ieee_overflow 0
		.amdhsa_exception_fp_ieee_underflow 0
		.amdhsa_exception_fp_ieee_inexact 0
		.amdhsa_exception_int_div_zero 0
	.end_amdhsa_kernel
	.section	.text._ZL37rocblas_syrkx_herkx_restricted_kernelIi19rocblas_complex_numIdELi16ELi32ELi8ELb0ELb0ELc78ELc85EKS1_S1_EviT_T0_PT8_S3_lS6_S3_lS4_PT9_S3_li,"axG",@progbits,_ZL37rocblas_syrkx_herkx_restricted_kernelIi19rocblas_complex_numIdELi16ELi32ELi8ELb0ELb0ELc78ELc85EKS1_S1_EviT_T0_PT8_S3_lS6_S3_lS4_PT9_S3_li,comdat
.Lfunc_end268:
	.size	_ZL37rocblas_syrkx_herkx_restricted_kernelIi19rocblas_complex_numIdELi16ELi32ELi8ELb0ELb0ELc78ELc85EKS1_S1_EviT_T0_PT8_S3_lS6_S3_lS4_PT9_S3_li, .Lfunc_end268-_ZL37rocblas_syrkx_herkx_restricted_kernelIi19rocblas_complex_numIdELi16ELi32ELi8ELb0ELb0ELc78ELc85EKS1_S1_EviT_T0_PT8_S3_lS6_S3_lS4_PT9_S3_li
                                        ; -- End function
	.set _ZL37rocblas_syrkx_herkx_restricted_kernelIi19rocblas_complex_numIdELi16ELi32ELi8ELb0ELb0ELc78ELc85EKS1_S1_EviT_T0_PT8_S3_lS6_S3_lS4_PT9_S3_li.num_vgpr, 54
	.set _ZL37rocblas_syrkx_herkx_restricted_kernelIi19rocblas_complex_numIdELi16ELi32ELi8ELb0ELb0ELc78ELc85EKS1_S1_EviT_T0_PT8_S3_lS6_S3_lS4_PT9_S3_li.num_agpr, 0
	.set _ZL37rocblas_syrkx_herkx_restricted_kernelIi19rocblas_complex_numIdELi16ELi32ELi8ELb0ELb0ELc78ELc85EKS1_S1_EviT_T0_PT8_S3_lS6_S3_lS4_PT9_S3_li.numbered_sgpr, 34
	.set _ZL37rocblas_syrkx_herkx_restricted_kernelIi19rocblas_complex_numIdELi16ELi32ELi8ELb0ELb0ELc78ELc85EKS1_S1_EviT_T0_PT8_S3_lS6_S3_lS4_PT9_S3_li.num_named_barrier, 0
	.set _ZL37rocblas_syrkx_herkx_restricted_kernelIi19rocblas_complex_numIdELi16ELi32ELi8ELb0ELb0ELc78ELc85EKS1_S1_EviT_T0_PT8_S3_lS6_S3_lS4_PT9_S3_li.private_seg_size, 0
	.set _ZL37rocblas_syrkx_herkx_restricted_kernelIi19rocblas_complex_numIdELi16ELi32ELi8ELb0ELb0ELc78ELc85EKS1_S1_EviT_T0_PT8_S3_lS6_S3_lS4_PT9_S3_li.uses_vcc, 1
	.set _ZL37rocblas_syrkx_herkx_restricted_kernelIi19rocblas_complex_numIdELi16ELi32ELi8ELb0ELb0ELc78ELc85EKS1_S1_EviT_T0_PT8_S3_lS6_S3_lS4_PT9_S3_li.uses_flat_scratch, 0
	.set _ZL37rocblas_syrkx_herkx_restricted_kernelIi19rocblas_complex_numIdELi16ELi32ELi8ELb0ELb0ELc78ELc85EKS1_S1_EviT_T0_PT8_S3_lS6_S3_lS4_PT9_S3_li.has_dyn_sized_stack, 0
	.set _ZL37rocblas_syrkx_herkx_restricted_kernelIi19rocblas_complex_numIdELi16ELi32ELi8ELb0ELb0ELc78ELc85EKS1_S1_EviT_T0_PT8_S3_lS6_S3_lS4_PT9_S3_li.has_recursion, 0
	.set _ZL37rocblas_syrkx_herkx_restricted_kernelIi19rocblas_complex_numIdELi16ELi32ELi8ELb0ELb0ELc78ELc85EKS1_S1_EviT_T0_PT8_S3_lS6_S3_lS4_PT9_S3_li.has_indirect_call, 0
	.section	.AMDGPU.csdata,"",@progbits
; Kernel info:
; codeLenInByte = 3164
; TotalNumSgprs: 38
; NumVgprs: 54
; ScratchSize: 0
; MemoryBound: 0
; FloatMode: 240
; IeeeMode: 1
; LDSByteSize: 8192 bytes/workgroup (compile time only)
; SGPRBlocks: 8
; VGPRBlocks: 13
; NumSGPRsForWavesPerEU: 65
; NumVGPRsForWavesPerEU: 54
; Occupancy: 4
; WaveLimiterHint : 0
; COMPUTE_PGM_RSRC2:SCRATCH_EN: 0
; COMPUTE_PGM_RSRC2:USER_SGPR: 6
; COMPUTE_PGM_RSRC2:TRAP_HANDLER: 0
; COMPUTE_PGM_RSRC2:TGID_X_EN: 1
; COMPUTE_PGM_RSRC2:TGID_Y_EN: 1
; COMPUTE_PGM_RSRC2:TGID_Z_EN: 1
; COMPUTE_PGM_RSRC2:TIDIG_COMP_CNT: 1
	.section	.text._ZL41rocblas_syrkx_herkx_small_restrict_kernelIi19rocblas_complex_numIdELi16ELb1ELb0ELc84ELc76EKS1_S1_EviT_T0_PT6_S3_lS6_S3_lS4_PT7_S3_li,"axG",@progbits,_ZL41rocblas_syrkx_herkx_small_restrict_kernelIi19rocblas_complex_numIdELi16ELb1ELb0ELc84ELc76EKS1_S1_EviT_T0_PT6_S3_lS6_S3_lS4_PT7_S3_li,comdat
	.globl	_ZL41rocblas_syrkx_herkx_small_restrict_kernelIi19rocblas_complex_numIdELi16ELb1ELb0ELc84ELc76EKS1_S1_EviT_T0_PT6_S3_lS6_S3_lS4_PT7_S3_li ; -- Begin function _ZL41rocblas_syrkx_herkx_small_restrict_kernelIi19rocblas_complex_numIdELi16ELb1ELb0ELc84ELc76EKS1_S1_EviT_T0_PT6_S3_lS6_S3_lS4_PT7_S3_li
	.p2align	8
	.type	_ZL41rocblas_syrkx_herkx_small_restrict_kernelIi19rocblas_complex_numIdELi16ELb1ELb0ELc84ELc76EKS1_S1_EviT_T0_PT6_S3_lS6_S3_lS4_PT7_S3_li,@function
_ZL41rocblas_syrkx_herkx_small_restrict_kernelIi19rocblas_complex_numIdELi16ELb1ELb0ELc84ELc76EKS1_S1_EviT_T0_PT6_S3_lS6_S3_lS4_PT7_S3_li: ; @_ZL41rocblas_syrkx_herkx_small_restrict_kernelIi19rocblas_complex_numIdELi16ELb1ELb0ELc84ELc76EKS1_S1_EviT_T0_PT6_S3_lS6_S3_lS4_PT7_S3_li
; %bb.0:
	s_load_dword s9, s[4:5], 0x4
	s_load_dwordx4 s[0:3], s[4:5], 0x8
	s_load_dwordx2 s[10:11], s[4:5], 0x18
	s_mov_b32 s12, 0
	v_lshl_add_u32 v2, s6, 4, v0
	s_waitcnt lgkmcnt(0)
	s_cmp_lt_i32 s9, 1
	v_lshl_add_u32 v9, s7, 4, v1
	s_cbranch_scc1 .LBB269_6
; %bb.1:
	s_load_dword s13, s[4:5], 0x20
	s_load_dwordx4 s[16:19], s[4:5], 0x28
	s_load_dword s14, s[4:5], 0x38
	s_load_dwordx2 s[6:7], s[4:5], 0x40
	v_lshlrev_b32_e32 v5, 8, v1
	v_lshlrev_b32_e32 v10, 4, v0
	v_add_u32_e32 v11, v10, v5
	s_waitcnt lgkmcnt(0)
	v_mad_i64_i32 v[3:4], s[14:15], s14, v9, 0
	s_mul_i32 s7, s7, s8
	s_mul_hi_u32 s14, s6, s8
	v_lshlrev_b64 v[3:4], 4, v[3:4]
	s_add_i32 s7, s14, s7
	s_mul_i32 s6, s6, s8
	s_lshl_b64 s[6:7], s[6:7], 4
	v_add_u32_e32 v12, 0x1000, v5
	v_mov_b32_e32 v0, s7
	v_add_co_u32_e32 v3, vcc, s6, v3
	v_mad_i64_i32 v[5:6], s[6:7], s13, v2, 0
	v_addc_co_u32_e32 v0, vcc, v4, v0, vcc
	v_add_co_u32_e32 v3, vcc, v3, v10
	v_addc_co_u32_e32 v0, vcc, 0, v0, vcc
	s_mul_i32 s6, s17, s8
	s_mul_hi_u32 s7, s16, s8
	v_mov_b32_e32 v4, s19
	v_add_co_u32_e32 v3, vcc, s18, v3
	v_lshlrev_b64 v[5:6], 4, v[5:6]
	s_add_i32 s7, s7, s6
	s_mul_i32 s6, s16, s8
	v_addc_co_u32_e32 v4, vcc, v4, v0, vcc
	s_lshl_b64 s[6:7], s[6:7], 4
	v_mov_b32_e32 v0, s7
	v_add_co_u32_e32 v5, vcc, s6, v5
	v_addc_co_u32_e32 v0, vcc, v6, v0, vcc
	v_lshlrev_b32_e32 v1, 4, v1
	v_add_co_u32_e32 v1, vcc, v5, v1
	v_addc_co_u32_e32 v14, vcc, 0, v0, vcc
	v_mov_b32_e32 v15, s11
	v_mov_b32_e32 v7, 0
	v_mov_b32_e32 v5, 0
	v_add_co_u32_e32 v0, vcc, s10, v1
	v_add_u32_e32 v13, v12, v10
	v_mov_b32_e32 v8, 0
	v_mov_b32_e32 v6, 0
	v_addc_co_u32_e32 v1, vcc, v15, v14, vcc
.LBB269_2:                              ; =>This Inner Loop Header: Depth=1
	global_load_dwordx4 v[14:17], v[0:1], off
	s_add_i32 s12, s12, 16
	s_cmp_lt_i32 s12, s9
	s_waitcnt vmcnt(0)
	ds_write2_b64 v11, v[14:15], v[16:17] offset1:1
	global_load_dwordx4 v[14:17], v[3:4], off
	v_add_co_u32_e32 v3, vcc, 0x100, v3
	v_addc_co_u32_e32 v4, vcc, 0, v4, vcc
	v_add_co_u32_e32 v0, vcc, 0x100, v0
	v_addc_co_u32_e32 v1, vcc, 0, v1, vcc
	s_waitcnt vmcnt(0)
	ds_write2_b64 v13, v[14:15], v[16:17] offset1:1
	s_waitcnt lgkmcnt(0)
	s_barrier
	ds_read_b128 v[14:17], v12
	ds_read_b128 v[18:21], v12 offset:16
	ds_read_b128 v[22:25], v12 offset:32
	;; [unrolled: 1-line block ×3, first 2 shown]
	ds_read_b128 v[30:33], v10
	s_waitcnt lgkmcnt(0)
	v_mul_f64 v[34:35], v[16:17], v[32:33]
	v_fma_f64 v[34:35], v[14:15], v[30:31], -v[34:35]
	v_mul_f64 v[14:15], v[14:15], v[32:33]
	v_fma_f64 v[14:15], v[16:17], v[30:31], v[14:15]
	v_add_f64 v[16:17], v[5:6], v[34:35]
	v_add_f64 v[14:15], v[7:8], v[14:15]
	ds_read_b128 v[5:8], v10 offset:256
	s_waitcnt lgkmcnt(0)
	v_mul_f64 v[30:31], v[20:21], v[7:8]
	v_mul_f64 v[7:8], v[18:19], v[7:8]
	v_fma_f64 v[30:31], v[18:19], v[5:6], -v[30:31]
	v_fma_f64 v[5:6], v[20:21], v[5:6], v[7:8]
	v_add_f64 v[16:17], v[16:17], v[30:31]
	v_add_f64 v[14:15], v[14:15], v[5:6]
	ds_read_b128 v[5:8], v10 offset:512
	s_waitcnt lgkmcnt(0)
	v_mul_f64 v[18:19], v[24:25], v[7:8]
	v_mul_f64 v[7:8], v[22:23], v[7:8]
	v_fma_f64 v[18:19], v[22:23], v[5:6], -v[18:19]
	;; [unrolled: 8-line block ×3, first 2 shown]
	v_fma_f64 v[5:6], v[28:29], v[5:6], v[7:8]
	v_add_f64 v[18:19], v[16:17], v[18:19]
	v_add_f64 v[20:21], v[14:15], v[5:6]
	ds_read_b128 v[5:8], v12 offset:64
	ds_read_b128 v[14:17], v10 offset:1024
	s_waitcnt lgkmcnt(0)
	v_mul_f64 v[22:23], v[7:8], v[16:17]
	v_fma_f64 v[22:23], v[5:6], v[14:15], -v[22:23]
	v_mul_f64 v[5:6], v[5:6], v[16:17]
	v_add_f64 v[18:19], v[18:19], v[22:23]
	v_fma_f64 v[5:6], v[7:8], v[14:15], v[5:6]
	v_add_f64 v[20:21], v[20:21], v[5:6]
	ds_read_b128 v[5:8], v12 offset:80
	ds_read_b128 v[14:17], v10 offset:1280
	s_waitcnt lgkmcnt(0)
	v_mul_f64 v[22:23], v[7:8], v[16:17]
	v_fma_f64 v[22:23], v[5:6], v[14:15], -v[22:23]
	v_mul_f64 v[5:6], v[5:6], v[16:17]
	v_add_f64 v[18:19], v[18:19], v[22:23]
	v_fma_f64 v[5:6], v[7:8], v[14:15], v[5:6]
	v_add_f64 v[20:21], v[20:21], v[5:6]
	ds_read_b128 v[5:8], v12 offset:96
	ds_read_b128 v[14:17], v10 offset:1536
	s_waitcnt lgkmcnt(0)
	v_mul_f64 v[22:23], v[7:8], v[16:17]
	v_fma_f64 v[22:23], v[5:6], v[14:15], -v[22:23]
	v_mul_f64 v[5:6], v[5:6], v[16:17]
	v_add_f64 v[18:19], v[18:19], v[22:23]
	v_fma_f64 v[5:6], v[7:8], v[14:15], v[5:6]
	v_add_f64 v[20:21], v[20:21], v[5:6]
	ds_read_b128 v[5:8], v12 offset:112
	ds_read_b128 v[14:17], v10 offset:1792
	s_waitcnt lgkmcnt(0)
	v_mul_f64 v[22:23], v[7:8], v[16:17]
	v_fma_f64 v[22:23], v[5:6], v[14:15], -v[22:23]
	v_mul_f64 v[5:6], v[5:6], v[16:17]
	v_add_f64 v[18:19], v[18:19], v[22:23]
	v_fma_f64 v[5:6], v[7:8], v[14:15], v[5:6]
	v_add_f64 v[20:21], v[20:21], v[5:6]
	ds_read_b128 v[5:8], v12 offset:128
	ds_read_b128 v[14:17], v10 offset:2048
	s_waitcnt lgkmcnt(0)
	v_mul_f64 v[22:23], v[7:8], v[16:17]
	v_fma_f64 v[22:23], v[5:6], v[14:15], -v[22:23]
	v_mul_f64 v[5:6], v[5:6], v[16:17]
	v_add_f64 v[18:19], v[18:19], v[22:23]
	v_fma_f64 v[5:6], v[7:8], v[14:15], v[5:6]
	v_add_f64 v[20:21], v[20:21], v[5:6]
	ds_read_b128 v[5:8], v12 offset:144
	ds_read_b128 v[14:17], v10 offset:2304
	s_waitcnt lgkmcnt(0)
	v_mul_f64 v[22:23], v[7:8], v[16:17]
	v_fma_f64 v[22:23], v[5:6], v[14:15], -v[22:23]
	v_mul_f64 v[5:6], v[5:6], v[16:17]
	v_add_f64 v[18:19], v[18:19], v[22:23]
	v_fma_f64 v[5:6], v[7:8], v[14:15], v[5:6]
	v_add_f64 v[20:21], v[20:21], v[5:6]
	ds_read_b128 v[5:8], v12 offset:160
	ds_read_b128 v[14:17], v10 offset:2560
	s_waitcnt lgkmcnt(0)
	v_mul_f64 v[22:23], v[7:8], v[16:17]
	v_fma_f64 v[22:23], v[5:6], v[14:15], -v[22:23]
	v_mul_f64 v[5:6], v[5:6], v[16:17]
	v_add_f64 v[18:19], v[18:19], v[22:23]
	v_fma_f64 v[5:6], v[7:8], v[14:15], v[5:6]
	v_add_f64 v[20:21], v[20:21], v[5:6]
	ds_read_b128 v[5:8], v12 offset:176
	ds_read_b128 v[14:17], v10 offset:2816
	s_waitcnt lgkmcnt(0)
	v_mul_f64 v[22:23], v[7:8], v[16:17]
	v_fma_f64 v[22:23], v[5:6], v[14:15], -v[22:23]
	v_mul_f64 v[5:6], v[5:6], v[16:17]
	v_add_f64 v[18:19], v[18:19], v[22:23]
	v_fma_f64 v[5:6], v[7:8], v[14:15], v[5:6]
	v_add_f64 v[20:21], v[20:21], v[5:6]
	ds_read_b128 v[5:8], v12 offset:192
	ds_read_b128 v[14:17], v10 offset:3072
	s_waitcnt lgkmcnt(0)
	v_mul_f64 v[22:23], v[7:8], v[16:17]
	v_fma_f64 v[22:23], v[5:6], v[14:15], -v[22:23]
	v_mul_f64 v[5:6], v[5:6], v[16:17]
	v_add_f64 v[18:19], v[18:19], v[22:23]
	v_fma_f64 v[5:6], v[7:8], v[14:15], v[5:6]
	v_add_f64 v[20:21], v[20:21], v[5:6]
	ds_read_b128 v[5:8], v12 offset:208
	ds_read_b128 v[14:17], v10 offset:3328
	s_waitcnt lgkmcnt(0)
	v_mul_f64 v[22:23], v[7:8], v[16:17]
	v_fma_f64 v[22:23], v[5:6], v[14:15], -v[22:23]
	v_mul_f64 v[5:6], v[5:6], v[16:17]
	v_add_f64 v[18:19], v[18:19], v[22:23]
	v_fma_f64 v[5:6], v[7:8], v[14:15], v[5:6]
	v_add_f64 v[20:21], v[20:21], v[5:6]
	ds_read_b128 v[5:8], v12 offset:224
	ds_read_b128 v[14:17], v10 offset:3584
	s_waitcnt lgkmcnt(0)
	v_mul_f64 v[22:23], v[7:8], v[16:17]
	v_fma_f64 v[22:23], v[5:6], v[14:15], -v[22:23]
	v_mul_f64 v[5:6], v[5:6], v[16:17]
	v_add_f64 v[18:19], v[18:19], v[22:23]
	v_fma_f64 v[5:6], v[7:8], v[14:15], v[5:6]
	v_add_f64 v[20:21], v[20:21], v[5:6]
	ds_read_b128 v[5:8], v12 offset:240
	ds_read_b128 v[14:17], v10 offset:3840
	s_waitcnt lgkmcnt(0)
	s_barrier
	v_mul_f64 v[22:23], v[7:8], v[16:17]
	v_fma_f64 v[22:23], v[5:6], v[14:15], -v[22:23]
	v_mul_f64 v[5:6], v[5:6], v[16:17]
	v_fma_f64 v[7:8], v[7:8], v[14:15], v[5:6]
	v_add_f64 v[5:6], v[18:19], v[22:23]
	v_add_f64 v[7:8], v[20:21], v[7:8]
	s_cbranch_scc1 .LBB269_2
; %bb.3:
	v_cmp_le_i32_e32 vcc, v9, v2
	s_and_saveexec_b64 s[6:7], vcc
	s_cbranch_execz .LBB269_5
.LBB269_4:
	s_load_dwordx2 s[6:7], s[4:5], 0x68
	s_load_dwordx2 s[10:11], s[4:5], 0x58
	s_load_dword s9, s[4:5], 0x60
	v_mul_f64 v[0:1], s[2:3], v[7:8]
	v_mul_f64 v[3:4], s[0:1], v[7:8]
	s_waitcnt lgkmcnt(0)
	s_mul_i32 s4, s7, s8
	s_mul_hi_u32 s5, s6, s8
	s_add_i32 s5, s5, s4
	s_mul_i32 s4, s6, s8
	s_lshl_b64 s[4:5], s[4:5], 4
	s_add_u32 s6, s10, s4
	s_addc_u32 s7, s11, s5
	v_mad_i64_i32 v[11:12], s[4:5], s9, v9, 0
	v_fma_f64 v[7:8], s[0:1], v[5:6], -v[0:1]
	v_fma_f64 v[9:10], s[2:3], v[5:6], v[3:4]
	v_lshlrev_b64 v[0:1], 4, v[11:12]
	v_ashrrev_i32_e32 v3, 31, v2
	v_mov_b32_e32 v4, s7
	v_add_co_u32_e32 v5, vcc, s6, v0
	v_addc_co_u32_e32 v4, vcc, v4, v1, vcc
	v_lshlrev_b64 v[0:1], 4, v[2:3]
	v_add_co_u32_e32 v0, vcc, v5, v0
	v_addc_co_u32_e32 v1, vcc, v4, v1, vcc
	global_store_dwordx4 v[0:1], v[7:10], off
.LBB269_5:
	s_endpgm
.LBB269_6:
	v_mov_b32_e32 v7, 0
	v_mov_b32_e32 v5, 0
	v_mov_b32_e32 v8, 0
	v_mov_b32_e32 v6, 0
	v_cmp_le_i32_e32 vcc, v9, v2
	s_and_saveexec_b64 s[6:7], vcc
	s_cbranch_execnz .LBB269_4
	s_branch .LBB269_5
	.section	.rodata,"a",@progbits
	.p2align	6, 0x0
	.amdhsa_kernel _ZL41rocblas_syrkx_herkx_small_restrict_kernelIi19rocblas_complex_numIdELi16ELb1ELb0ELc84ELc76EKS1_S1_EviT_T0_PT6_S3_lS6_S3_lS4_PT7_S3_li
		.amdhsa_group_segment_fixed_size 8192
		.amdhsa_private_segment_fixed_size 0
		.amdhsa_kernarg_size 116
		.amdhsa_user_sgpr_count 6
		.amdhsa_user_sgpr_private_segment_buffer 1
		.amdhsa_user_sgpr_dispatch_ptr 0
		.amdhsa_user_sgpr_queue_ptr 0
		.amdhsa_user_sgpr_kernarg_segment_ptr 1
		.amdhsa_user_sgpr_dispatch_id 0
		.amdhsa_user_sgpr_flat_scratch_init 0
		.amdhsa_user_sgpr_private_segment_size 0
		.amdhsa_uses_dynamic_stack 0
		.amdhsa_system_sgpr_private_segment_wavefront_offset 0
		.amdhsa_system_sgpr_workgroup_id_x 1
		.amdhsa_system_sgpr_workgroup_id_y 1
		.amdhsa_system_sgpr_workgroup_id_z 1
		.amdhsa_system_sgpr_workgroup_info 0
		.amdhsa_system_vgpr_workitem_id 1
		.amdhsa_next_free_vgpr 36
		.amdhsa_next_free_sgpr 61
		.amdhsa_reserve_vcc 1
		.amdhsa_reserve_flat_scratch 0
		.amdhsa_float_round_mode_32 0
		.amdhsa_float_round_mode_16_64 0
		.amdhsa_float_denorm_mode_32 3
		.amdhsa_float_denorm_mode_16_64 3
		.amdhsa_dx10_clamp 1
		.amdhsa_ieee_mode 1
		.amdhsa_fp16_overflow 0
		.amdhsa_exception_fp_ieee_invalid_op 0
		.amdhsa_exception_fp_denorm_src 0
		.amdhsa_exception_fp_ieee_div_zero 0
		.amdhsa_exception_fp_ieee_overflow 0
		.amdhsa_exception_fp_ieee_underflow 0
		.amdhsa_exception_fp_ieee_inexact 0
		.amdhsa_exception_int_div_zero 0
	.end_amdhsa_kernel
	.section	.text._ZL41rocblas_syrkx_herkx_small_restrict_kernelIi19rocblas_complex_numIdELi16ELb1ELb0ELc84ELc76EKS1_S1_EviT_T0_PT6_S3_lS6_S3_lS4_PT7_S3_li,"axG",@progbits,_ZL41rocblas_syrkx_herkx_small_restrict_kernelIi19rocblas_complex_numIdELi16ELb1ELb0ELc84ELc76EKS1_S1_EviT_T0_PT6_S3_lS6_S3_lS4_PT7_S3_li,comdat
.Lfunc_end269:
	.size	_ZL41rocblas_syrkx_herkx_small_restrict_kernelIi19rocblas_complex_numIdELi16ELb1ELb0ELc84ELc76EKS1_S1_EviT_T0_PT6_S3_lS6_S3_lS4_PT7_S3_li, .Lfunc_end269-_ZL41rocblas_syrkx_herkx_small_restrict_kernelIi19rocblas_complex_numIdELi16ELb1ELb0ELc84ELc76EKS1_S1_EviT_T0_PT6_S3_lS6_S3_lS4_PT7_S3_li
                                        ; -- End function
	.set _ZL41rocblas_syrkx_herkx_small_restrict_kernelIi19rocblas_complex_numIdELi16ELb1ELb0ELc84ELc76EKS1_S1_EviT_T0_PT6_S3_lS6_S3_lS4_PT7_S3_li.num_vgpr, 36
	.set _ZL41rocblas_syrkx_herkx_small_restrict_kernelIi19rocblas_complex_numIdELi16ELb1ELb0ELc84ELc76EKS1_S1_EviT_T0_PT6_S3_lS6_S3_lS4_PT7_S3_li.num_agpr, 0
	.set _ZL41rocblas_syrkx_herkx_small_restrict_kernelIi19rocblas_complex_numIdELi16ELb1ELb0ELc84ELc76EKS1_S1_EviT_T0_PT6_S3_lS6_S3_lS4_PT7_S3_li.numbered_sgpr, 20
	.set _ZL41rocblas_syrkx_herkx_small_restrict_kernelIi19rocblas_complex_numIdELi16ELb1ELb0ELc84ELc76EKS1_S1_EviT_T0_PT6_S3_lS6_S3_lS4_PT7_S3_li.num_named_barrier, 0
	.set _ZL41rocblas_syrkx_herkx_small_restrict_kernelIi19rocblas_complex_numIdELi16ELb1ELb0ELc84ELc76EKS1_S1_EviT_T0_PT6_S3_lS6_S3_lS4_PT7_S3_li.private_seg_size, 0
	.set _ZL41rocblas_syrkx_herkx_small_restrict_kernelIi19rocblas_complex_numIdELi16ELb1ELb0ELc84ELc76EKS1_S1_EviT_T0_PT6_S3_lS6_S3_lS4_PT7_S3_li.uses_vcc, 1
	.set _ZL41rocblas_syrkx_herkx_small_restrict_kernelIi19rocblas_complex_numIdELi16ELb1ELb0ELc84ELc76EKS1_S1_EviT_T0_PT6_S3_lS6_S3_lS4_PT7_S3_li.uses_flat_scratch, 0
	.set _ZL41rocblas_syrkx_herkx_small_restrict_kernelIi19rocblas_complex_numIdELi16ELb1ELb0ELc84ELc76EKS1_S1_EviT_T0_PT6_S3_lS6_S3_lS4_PT7_S3_li.has_dyn_sized_stack, 0
	.set _ZL41rocblas_syrkx_herkx_small_restrict_kernelIi19rocblas_complex_numIdELi16ELb1ELb0ELc84ELc76EKS1_S1_EviT_T0_PT6_S3_lS6_S3_lS4_PT7_S3_li.has_recursion, 0
	.set _ZL41rocblas_syrkx_herkx_small_restrict_kernelIi19rocblas_complex_numIdELi16ELb1ELb0ELc84ELc76EKS1_S1_EviT_T0_PT6_S3_lS6_S3_lS4_PT7_S3_li.has_indirect_call, 0
	.section	.AMDGPU.csdata,"",@progbits
; Kernel info:
; codeLenInByte = 1640
; TotalNumSgprs: 24
; NumVgprs: 36
; ScratchSize: 0
; MemoryBound: 0
; FloatMode: 240
; IeeeMode: 1
; LDSByteSize: 8192 bytes/workgroup (compile time only)
; SGPRBlocks: 8
; VGPRBlocks: 8
; NumSGPRsForWavesPerEU: 65
; NumVGPRsForWavesPerEU: 36
; Occupancy: 7
; WaveLimiterHint : 0
; COMPUTE_PGM_RSRC2:SCRATCH_EN: 0
; COMPUTE_PGM_RSRC2:USER_SGPR: 6
; COMPUTE_PGM_RSRC2:TRAP_HANDLER: 0
; COMPUTE_PGM_RSRC2:TGID_X_EN: 1
; COMPUTE_PGM_RSRC2:TGID_Y_EN: 1
; COMPUTE_PGM_RSRC2:TGID_Z_EN: 1
; COMPUTE_PGM_RSRC2:TIDIG_COMP_CNT: 1
	.section	.text._ZL41rocblas_syrkx_herkx_small_restrict_kernelIi19rocblas_complex_numIdELi16ELb1ELb0ELc67ELc76EKS1_S1_EviT_T0_PT6_S3_lS6_S3_lS4_PT7_S3_li,"axG",@progbits,_ZL41rocblas_syrkx_herkx_small_restrict_kernelIi19rocblas_complex_numIdELi16ELb1ELb0ELc67ELc76EKS1_S1_EviT_T0_PT6_S3_lS6_S3_lS4_PT7_S3_li,comdat
	.globl	_ZL41rocblas_syrkx_herkx_small_restrict_kernelIi19rocblas_complex_numIdELi16ELb1ELb0ELc67ELc76EKS1_S1_EviT_T0_PT6_S3_lS6_S3_lS4_PT7_S3_li ; -- Begin function _ZL41rocblas_syrkx_herkx_small_restrict_kernelIi19rocblas_complex_numIdELi16ELb1ELb0ELc67ELc76EKS1_S1_EviT_T0_PT6_S3_lS6_S3_lS4_PT7_S3_li
	.p2align	8
	.type	_ZL41rocblas_syrkx_herkx_small_restrict_kernelIi19rocblas_complex_numIdELi16ELb1ELb0ELc67ELc76EKS1_S1_EviT_T0_PT6_S3_lS6_S3_lS4_PT7_S3_li,@function
_ZL41rocblas_syrkx_herkx_small_restrict_kernelIi19rocblas_complex_numIdELi16ELb1ELb0ELc67ELc76EKS1_S1_EviT_T0_PT6_S3_lS6_S3_lS4_PT7_S3_li: ; @_ZL41rocblas_syrkx_herkx_small_restrict_kernelIi19rocblas_complex_numIdELi16ELb1ELb0ELc67ELc76EKS1_S1_EviT_T0_PT6_S3_lS6_S3_lS4_PT7_S3_li
; %bb.0:
	s_load_dword s9, s[4:5], 0x4
	s_load_dwordx4 s[0:3], s[4:5], 0x8
	s_load_dwordx2 s[10:11], s[4:5], 0x18
	s_mov_b32 s12, 0
	v_lshl_add_u32 v2, s6, 4, v0
	s_waitcnt lgkmcnt(0)
	s_cmp_lt_i32 s9, 1
	v_lshl_add_u32 v9, s7, 4, v1
	s_cbranch_scc1 .LBB270_6
; %bb.1:
	s_load_dword s13, s[4:5], 0x20
	s_load_dwordx4 s[16:19], s[4:5], 0x28
	s_load_dword s14, s[4:5], 0x38
	s_load_dwordx2 s[6:7], s[4:5], 0x40
	v_lshlrev_b32_e32 v5, 8, v1
	v_lshlrev_b32_e32 v10, 4, v0
	v_add_u32_e32 v11, v10, v5
	s_waitcnt lgkmcnt(0)
	v_mad_i64_i32 v[3:4], s[14:15], s14, v9, 0
	s_mul_i32 s7, s7, s8
	s_mul_hi_u32 s14, s6, s8
	v_lshlrev_b64 v[3:4], 4, v[3:4]
	s_add_i32 s7, s14, s7
	s_mul_i32 s6, s6, s8
	s_lshl_b64 s[6:7], s[6:7], 4
	v_add_u32_e32 v12, 0x1000, v5
	v_mov_b32_e32 v0, s7
	v_add_co_u32_e32 v3, vcc, s6, v3
	v_mad_i64_i32 v[5:6], s[6:7], s13, v2, 0
	v_addc_co_u32_e32 v0, vcc, v4, v0, vcc
	v_add_co_u32_e32 v3, vcc, v3, v10
	v_addc_co_u32_e32 v0, vcc, 0, v0, vcc
	s_mul_i32 s6, s17, s8
	s_mul_hi_u32 s7, s16, s8
	v_mov_b32_e32 v4, s19
	v_add_co_u32_e32 v3, vcc, s18, v3
	v_lshlrev_b64 v[5:6], 4, v[5:6]
	s_add_i32 s7, s7, s6
	s_mul_i32 s6, s16, s8
	v_addc_co_u32_e32 v4, vcc, v4, v0, vcc
	s_lshl_b64 s[6:7], s[6:7], 4
	v_mov_b32_e32 v0, s7
	v_add_co_u32_e32 v5, vcc, s6, v5
	v_addc_co_u32_e32 v0, vcc, v6, v0, vcc
	v_lshlrev_b32_e32 v1, 4, v1
	v_add_co_u32_e32 v1, vcc, v5, v1
	v_addc_co_u32_e32 v0, vcc, 0, v0, vcc
	v_mov_b32_e32 v5, s11
	v_add_co_u32_e32 v1, vcc, s10, v1
	v_addc_co_u32_e32 v14, vcc, v5, v0, vcc
	v_mov_b32_e32 v7, 0
	v_mov_b32_e32 v5, 0
	v_add_co_u32_e32 v0, vcc, 8, v1
	v_add_u32_e32 v13, v12, v10
	v_mov_b32_e32 v8, 0
	v_mov_b32_e32 v6, 0
	v_addc_co_u32_e32 v1, vcc, 0, v14, vcc
.LBB270_2:                              ; =>This Inner Loop Header: Depth=1
	global_load_dwordx4 v[14:17], v[0:1], off offset:-8
	s_add_i32 s12, s12, 16
	s_cmp_lt_i32 s12, s9
	s_waitcnt vmcnt(0)
	ds_write_b128 v11, v[14:17]
	global_load_dwordx4 v[14:17], v[3:4], off
	v_add_co_u32_e32 v3, vcc, 0x100, v3
	v_addc_co_u32_e32 v4, vcc, 0, v4, vcc
	v_add_co_u32_e32 v0, vcc, 0x100, v0
	v_addc_co_u32_e32 v1, vcc, 0, v1, vcc
	s_waitcnt vmcnt(0)
	ds_write2_b64 v13, v[14:15], v[16:17] offset1:1
	s_waitcnt lgkmcnt(0)
	s_barrier
	ds_read_b128 v[14:17], v12
	ds_read_b128 v[18:21], v12 offset:16
	ds_read_b128 v[22:25], v12 offset:32
	;; [unrolled: 1-line block ×3, first 2 shown]
	ds_read_b128 v[30:33], v10
	s_waitcnt lgkmcnt(0)
	v_mul_f64 v[34:35], v[16:17], v[32:33]
	v_fma_f64 v[34:35], v[14:15], v[30:31], -v[34:35]
	v_mul_f64 v[14:15], v[14:15], v[32:33]
	v_fma_f64 v[14:15], v[16:17], v[30:31], v[14:15]
	v_add_f64 v[16:17], v[5:6], v[34:35]
	v_add_f64 v[14:15], v[7:8], v[14:15]
	ds_read_b128 v[5:8], v10 offset:256
	s_waitcnt lgkmcnt(0)
	v_mul_f64 v[30:31], v[20:21], v[7:8]
	v_mul_f64 v[7:8], v[18:19], v[7:8]
	v_fma_f64 v[30:31], v[18:19], v[5:6], -v[30:31]
	v_fma_f64 v[5:6], v[20:21], v[5:6], v[7:8]
	v_add_f64 v[16:17], v[16:17], v[30:31]
	v_add_f64 v[14:15], v[14:15], v[5:6]
	ds_read_b128 v[5:8], v10 offset:512
	s_waitcnt lgkmcnt(0)
	v_mul_f64 v[18:19], v[24:25], v[7:8]
	v_mul_f64 v[7:8], v[22:23], v[7:8]
	v_fma_f64 v[18:19], v[22:23], v[5:6], -v[18:19]
	;; [unrolled: 8-line block ×3, first 2 shown]
	v_fma_f64 v[5:6], v[28:29], v[5:6], v[7:8]
	v_add_f64 v[18:19], v[16:17], v[18:19]
	v_add_f64 v[20:21], v[14:15], v[5:6]
	ds_read_b128 v[5:8], v12 offset:64
	ds_read_b128 v[14:17], v10 offset:1024
	s_waitcnt lgkmcnt(0)
	v_mul_f64 v[22:23], v[7:8], v[16:17]
	v_fma_f64 v[22:23], v[5:6], v[14:15], -v[22:23]
	v_mul_f64 v[5:6], v[5:6], v[16:17]
	v_add_f64 v[18:19], v[18:19], v[22:23]
	v_fma_f64 v[5:6], v[7:8], v[14:15], v[5:6]
	v_add_f64 v[20:21], v[20:21], v[5:6]
	ds_read_b128 v[5:8], v12 offset:80
	ds_read_b128 v[14:17], v10 offset:1280
	s_waitcnt lgkmcnt(0)
	v_mul_f64 v[22:23], v[7:8], v[16:17]
	v_fma_f64 v[22:23], v[5:6], v[14:15], -v[22:23]
	v_mul_f64 v[5:6], v[5:6], v[16:17]
	v_add_f64 v[18:19], v[18:19], v[22:23]
	v_fma_f64 v[5:6], v[7:8], v[14:15], v[5:6]
	;; [unrolled: 9-line block ×11, first 2 shown]
	v_add_f64 v[20:21], v[20:21], v[5:6]
	ds_read_b128 v[5:8], v12 offset:240
	ds_read_b128 v[14:17], v10 offset:3840
	s_waitcnt lgkmcnt(0)
	s_barrier
	v_mul_f64 v[22:23], v[7:8], v[16:17]
	v_fma_f64 v[22:23], v[5:6], v[14:15], -v[22:23]
	v_mul_f64 v[5:6], v[5:6], v[16:17]
	v_fma_f64 v[7:8], v[7:8], v[14:15], v[5:6]
	v_add_f64 v[5:6], v[18:19], v[22:23]
	v_add_f64 v[7:8], v[20:21], v[7:8]
	s_cbranch_scc1 .LBB270_2
; %bb.3:
	v_cmp_le_i32_e32 vcc, v9, v2
	s_and_saveexec_b64 s[6:7], vcc
	s_cbranch_execz .LBB270_5
.LBB270_4:
	s_load_dwordx2 s[6:7], s[4:5], 0x68
	s_load_dwordx2 s[10:11], s[4:5], 0x58
	s_load_dword s9, s[4:5], 0x60
	v_mul_f64 v[0:1], s[2:3], v[7:8]
	v_mul_f64 v[3:4], s[0:1], v[7:8]
	s_waitcnt lgkmcnt(0)
	s_mul_i32 s4, s7, s8
	s_mul_hi_u32 s5, s6, s8
	s_add_i32 s5, s5, s4
	s_mul_i32 s4, s6, s8
	s_lshl_b64 s[4:5], s[4:5], 4
	s_add_u32 s6, s10, s4
	s_addc_u32 s7, s11, s5
	v_mad_i64_i32 v[11:12], s[4:5], s9, v9, 0
	v_fma_f64 v[7:8], s[0:1], v[5:6], -v[0:1]
	v_fma_f64 v[9:10], s[2:3], v[5:6], v[3:4]
	v_lshlrev_b64 v[0:1], 4, v[11:12]
	v_ashrrev_i32_e32 v3, 31, v2
	v_mov_b32_e32 v4, s7
	v_add_co_u32_e32 v5, vcc, s6, v0
	v_addc_co_u32_e32 v4, vcc, v4, v1, vcc
	v_lshlrev_b64 v[0:1], 4, v[2:3]
	v_add_co_u32_e32 v0, vcc, v5, v0
	v_addc_co_u32_e32 v1, vcc, v4, v1, vcc
	global_store_dwordx4 v[0:1], v[7:10], off
.LBB270_5:
	s_endpgm
.LBB270_6:
	v_mov_b32_e32 v7, 0
	v_mov_b32_e32 v5, 0
	;; [unrolled: 1-line block ×4, first 2 shown]
	v_cmp_le_i32_e32 vcc, v9, v2
	s_and_saveexec_b64 s[6:7], vcc
	s_cbranch_execnz .LBB270_4
	s_branch .LBB270_5
	.section	.rodata,"a",@progbits
	.p2align	6, 0x0
	.amdhsa_kernel _ZL41rocblas_syrkx_herkx_small_restrict_kernelIi19rocblas_complex_numIdELi16ELb1ELb0ELc67ELc76EKS1_S1_EviT_T0_PT6_S3_lS6_S3_lS4_PT7_S3_li
		.amdhsa_group_segment_fixed_size 8192
		.amdhsa_private_segment_fixed_size 0
		.amdhsa_kernarg_size 116
		.amdhsa_user_sgpr_count 6
		.amdhsa_user_sgpr_private_segment_buffer 1
		.amdhsa_user_sgpr_dispatch_ptr 0
		.amdhsa_user_sgpr_queue_ptr 0
		.amdhsa_user_sgpr_kernarg_segment_ptr 1
		.amdhsa_user_sgpr_dispatch_id 0
		.amdhsa_user_sgpr_flat_scratch_init 0
		.amdhsa_user_sgpr_private_segment_size 0
		.amdhsa_uses_dynamic_stack 0
		.amdhsa_system_sgpr_private_segment_wavefront_offset 0
		.amdhsa_system_sgpr_workgroup_id_x 1
		.amdhsa_system_sgpr_workgroup_id_y 1
		.amdhsa_system_sgpr_workgroup_id_z 1
		.amdhsa_system_sgpr_workgroup_info 0
		.amdhsa_system_vgpr_workitem_id 1
		.amdhsa_next_free_vgpr 36
		.amdhsa_next_free_sgpr 61
		.amdhsa_reserve_vcc 1
		.amdhsa_reserve_flat_scratch 0
		.amdhsa_float_round_mode_32 0
		.amdhsa_float_round_mode_16_64 0
		.amdhsa_float_denorm_mode_32 3
		.amdhsa_float_denorm_mode_16_64 3
		.amdhsa_dx10_clamp 1
		.amdhsa_ieee_mode 1
		.amdhsa_fp16_overflow 0
		.amdhsa_exception_fp_ieee_invalid_op 0
		.amdhsa_exception_fp_denorm_src 0
		.amdhsa_exception_fp_ieee_div_zero 0
		.amdhsa_exception_fp_ieee_overflow 0
		.amdhsa_exception_fp_ieee_underflow 0
		.amdhsa_exception_fp_ieee_inexact 0
		.amdhsa_exception_int_div_zero 0
	.end_amdhsa_kernel
	.section	.text._ZL41rocblas_syrkx_herkx_small_restrict_kernelIi19rocblas_complex_numIdELi16ELb1ELb0ELc67ELc76EKS1_S1_EviT_T0_PT6_S3_lS6_S3_lS4_PT7_S3_li,"axG",@progbits,_ZL41rocblas_syrkx_herkx_small_restrict_kernelIi19rocblas_complex_numIdELi16ELb1ELb0ELc67ELc76EKS1_S1_EviT_T0_PT6_S3_lS6_S3_lS4_PT7_S3_li,comdat
.Lfunc_end270:
	.size	_ZL41rocblas_syrkx_herkx_small_restrict_kernelIi19rocblas_complex_numIdELi16ELb1ELb0ELc67ELc76EKS1_S1_EviT_T0_PT6_S3_lS6_S3_lS4_PT7_S3_li, .Lfunc_end270-_ZL41rocblas_syrkx_herkx_small_restrict_kernelIi19rocblas_complex_numIdELi16ELb1ELb0ELc67ELc76EKS1_S1_EviT_T0_PT6_S3_lS6_S3_lS4_PT7_S3_li
                                        ; -- End function
	.set _ZL41rocblas_syrkx_herkx_small_restrict_kernelIi19rocblas_complex_numIdELi16ELb1ELb0ELc67ELc76EKS1_S1_EviT_T0_PT6_S3_lS6_S3_lS4_PT7_S3_li.num_vgpr, 36
	.set _ZL41rocblas_syrkx_herkx_small_restrict_kernelIi19rocblas_complex_numIdELi16ELb1ELb0ELc67ELc76EKS1_S1_EviT_T0_PT6_S3_lS6_S3_lS4_PT7_S3_li.num_agpr, 0
	.set _ZL41rocblas_syrkx_herkx_small_restrict_kernelIi19rocblas_complex_numIdELi16ELb1ELb0ELc67ELc76EKS1_S1_EviT_T0_PT6_S3_lS6_S3_lS4_PT7_S3_li.numbered_sgpr, 20
	.set _ZL41rocblas_syrkx_herkx_small_restrict_kernelIi19rocblas_complex_numIdELi16ELb1ELb0ELc67ELc76EKS1_S1_EviT_T0_PT6_S3_lS6_S3_lS4_PT7_S3_li.num_named_barrier, 0
	.set _ZL41rocblas_syrkx_herkx_small_restrict_kernelIi19rocblas_complex_numIdELi16ELb1ELb0ELc67ELc76EKS1_S1_EviT_T0_PT6_S3_lS6_S3_lS4_PT7_S3_li.private_seg_size, 0
	.set _ZL41rocblas_syrkx_herkx_small_restrict_kernelIi19rocblas_complex_numIdELi16ELb1ELb0ELc67ELc76EKS1_S1_EviT_T0_PT6_S3_lS6_S3_lS4_PT7_S3_li.uses_vcc, 1
	.set _ZL41rocblas_syrkx_herkx_small_restrict_kernelIi19rocblas_complex_numIdELi16ELb1ELb0ELc67ELc76EKS1_S1_EviT_T0_PT6_S3_lS6_S3_lS4_PT7_S3_li.uses_flat_scratch, 0
	.set _ZL41rocblas_syrkx_herkx_small_restrict_kernelIi19rocblas_complex_numIdELi16ELb1ELb0ELc67ELc76EKS1_S1_EviT_T0_PT6_S3_lS6_S3_lS4_PT7_S3_li.has_dyn_sized_stack, 0
	.set _ZL41rocblas_syrkx_herkx_small_restrict_kernelIi19rocblas_complex_numIdELi16ELb1ELb0ELc67ELc76EKS1_S1_EviT_T0_PT6_S3_lS6_S3_lS4_PT7_S3_li.has_recursion, 0
	.set _ZL41rocblas_syrkx_herkx_small_restrict_kernelIi19rocblas_complex_numIdELi16ELb1ELb0ELc67ELc76EKS1_S1_EviT_T0_PT6_S3_lS6_S3_lS4_PT7_S3_li.has_indirect_call, 0
	.section	.AMDGPU.csdata,"",@progbits
; Kernel info:
; codeLenInByte = 1648
; TotalNumSgprs: 24
; NumVgprs: 36
; ScratchSize: 0
; MemoryBound: 0
; FloatMode: 240
; IeeeMode: 1
; LDSByteSize: 8192 bytes/workgroup (compile time only)
; SGPRBlocks: 8
; VGPRBlocks: 8
; NumSGPRsForWavesPerEU: 65
; NumVGPRsForWavesPerEU: 36
; Occupancy: 7
; WaveLimiterHint : 0
; COMPUTE_PGM_RSRC2:SCRATCH_EN: 0
; COMPUTE_PGM_RSRC2:USER_SGPR: 6
; COMPUTE_PGM_RSRC2:TRAP_HANDLER: 0
; COMPUTE_PGM_RSRC2:TGID_X_EN: 1
; COMPUTE_PGM_RSRC2:TGID_Y_EN: 1
; COMPUTE_PGM_RSRC2:TGID_Z_EN: 1
; COMPUTE_PGM_RSRC2:TIDIG_COMP_CNT: 1
	.section	.text._ZL41rocblas_syrkx_herkx_small_restrict_kernelIi19rocblas_complex_numIdELi16ELb1ELb0ELc78ELc76EKS1_S1_EviT_T0_PT6_S3_lS6_S3_lS4_PT7_S3_li,"axG",@progbits,_ZL41rocblas_syrkx_herkx_small_restrict_kernelIi19rocblas_complex_numIdELi16ELb1ELb0ELc78ELc76EKS1_S1_EviT_T0_PT6_S3_lS6_S3_lS4_PT7_S3_li,comdat
	.globl	_ZL41rocblas_syrkx_herkx_small_restrict_kernelIi19rocblas_complex_numIdELi16ELb1ELb0ELc78ELc76EKS1_S1_EviT_T0_PT6_S3_lS6_S3_lS4_PT7_S3_li ; -- Begin function _ZL41rocblas_syrkx_herkx_small_restrict_kernelIi19rocblas_complex_numIdELi16ELb1ELb0ELc78ELc76EKS1_S1_EviT_T0_PT6_S3_lS6_S3_lS4_PT7_S3_li
	.p2align	8
	.type	_ZL41rocblas_syrkx_herkx_small_restrict_kernelIi19rocblas_complex_numIdELi16ELb1ELb0ELc78ELc76EKS1_S1_EviT_T0_PT6_S3_lS6_S3_lS4_PT7_S3_li,@function
_ZL41rocblas_syrkx_herkx_small_restrict_kernelIi19rocblas_complex_numIdELi16ELb1ELb0ELc78ELc76EKS1_S1_EviT_T0_PT6_S3_lS6_S3_lS4_PT7_S3_li: ; @_ZL41rocblas_syrkx_herkx_small_restrict_kernelIi19rocblas_complex_numIdELi16ELb1ELb0ELc78ELc76EKS1_S1_EviT_T0_PT6_S3_lS6_S3_lS4_PT7_S3_li
; %bb.0:
	s_load_dword s9, s[4:5], 0x4
	s_load_dwordx4 s[0:3], s[4:5], 0x8
	s_load_dwordx2 s[10:11], s[4:5], 0x18
	v_lshl_add_u32 v2, s6, 4, v0
	s_mov_b32 s16, 0
	v_lshl_add_u32 v4, s7, 4, v1
	s_waitcnt lgkmcnt(0)
	s_cmp_lt_i32 s9, 1
	v_ashrrev_i32_e32 v3, 31, v2
	s_cbranch_scc1 .LBB271_6
; %bb.1:
	s_load_dword s18, s[4:5], 0x20
	s_load_dword s6, s[4:5], 0x38
	s_load_dwordx2 s[20:21], s[4:5], 0x40
	s_load_dwordx4 s[12:15], s[4:5], 0x28
	v_lshlrev_b32_e32 v6, 8, v1
	v_lshlrev_b32_e32 v11, 4, v0
	v_add_u32_e32 v12, v11, v6
	v_add_u32_e32 v13, 0x1000, v6
	s_waitcnt lgkmcnt(0)
	v_mad_i64_i32 v[6:7], s[22:23], s6, v0, 0
	s_mul_i32 s17, s21, s8
	s_mul_hi_u32 s21, s20, s8
	s_add_i32 s21, s21, s17
	s_mul_i32 s20, s20, s8
	v_lshlrev_b64 v[6:7], 4, v[6:7]
	v_ashrrev_i32_e32 v5, 31, v4
	s_lshl_b64 s[20:21], s[20:21], 4
	v_mov_b32_e32 v0, s21
	v_add_co_u32_e32 v8, vcc, s20, v6
	v_lshlrev_b64 v[5:6], 4, v[4:5]
	v_addc_co_u32_e32 v0, vcc, v0, v7, vcc
	v_add_co_u32_e32 v5, vcc, v8, v5
	v_addc_co_u32_e32 v0, vcc, v0, v6, vcc
	v_mov_b32_e32 v6, s15
	v_add_co_u32_e32 v5, vcc, s14, v5
	v_addc_co_u32_e32 v0, vcc, v6, v0, vcc
	v_add_co_u32_e32 v5, vcc, 8, v5
	v_addc_co_u32_e32 v6, vcc, 0, v0, vcc
	v_mad_i64_i32 v[0:1], s[14:15], s18, v1, 0
	s_mul_i32 s13, s13, s8
	s_mul_hi_u32 s17, s12, s8
	s_add_i32 s13, s17, s13
	s_mul_i32 s12, s12, s8
	v_lshlrev_b64 v[0:1], 4, v[0:1]
	s_lshl_b64 s[12:13], s[12:13], 4
	v_mov_b32_e32 v7, s13
	v_add_co_u32_e32 v8, vcc, s12, v0
	v_addc_co_u32_e32 v7, vcc, v7, v1, vcc
	v_lshlrev_b64 v[0:1], 4, v[2:3]
	s_ashr_i32 s19, s18, 31
	v_add_co_u32_e32 v0, vcc, v8, v0
	v_addc_co_u32_e32 v1, vcc, v7, v1, vcc
	s_ashr_i32 s7, s6, 31
	v_mov_b32_e32 v7, s11
	v_add_co_u32_e32 v0, vcc, s10, v0
	s_lshl_b64 s[6:7], s[6:7], 8
	v_addc_co_u32_e32 v1, vcc, v7, v1, vcc
	s_lshl_b64 s[10:11], s[18:19], 8
	v_mov_b32_e32 v9, 0
	v_mov_b32_e32 v7, 0
	;; [unrolled: 1-line block ×6, first 2 shown]
.LBB271_2:                              ; =>This Inner Loop Header: Depth=1
	global_load_dwordx4 v[16:19], v[0:1], off
	v_add_u32_e32 v20, v13, v11
	s_add_i32 s16, s16, 16
	s_cmp_lt_i32 s16, s9
	s_waitcnt vmcnt(0)
	ds_write2_b64 v12, v[16:17], v[18:19] offset1:1
	global_load_dwordx4 v[16:19], v[5:6], off offset:-8
	v_add_co_u32_e32 v5, vcc, s6, v5
	v_addc_co_u32_e32 v6, vcc, v6, v14, vcc
	v_add_co_u32_e32 v0, vcc, s10, v0
	v_addc_co_u32_e32 v1, vcc, v1, v15, vcc
	s_waitcnt vmcnt(0)
	ds_write_b128 v20, v[16:19]
	s_waitcnt lgkmcnt(0)
	s_barrier
	ds_read_b128 v[16:19], v13
	ds_read_b128 v[20:23], v13 offset:16
	ds_read_b128 v[24:27], v13 offset:32
	;; [unrolled: 1-line block ×3, first 2 shown]
	ds_read_b128 v[32:35], v11
	s_waitcnt lgkmcnt(0)
	v_mul_f64 v[36:37], v[18:19], v[34:35]
	v_fma_f64 v[36:37], v[16:17], v[32:33], -v[36:37]
	v_mul_f64 v[16:17], v[16:17], v[34:35]
	v_fma_f64 v[16:17], v[18:19], v[32:33], v[16:17]
	v_add_f64 v[18:19], v[7:8], v[36:37]
	v_add_f64 v[16:17], v[9:10], v[16:17]
	ds_read_b128 v[7:10], v11 offset:256
	s_waitcnt lgkmcnt(0)
	v_mul_f64 v[32:33], v[22:23], v[9:10]
	v_mul_f64 v[9:10], v[20:21], v[9:10]
	v_fma_f64 v[32:33], v[20:21], v[7:8], -v[32:33]
	v_fma_f64 v[7:8], v[22:23], v[7:8], v[9:10]
	v_add_f64 v[18:19], v[18:19], v[32:33]
	v_add_f64 v[16:17], v[16:17], v[7:8]
	ds_read_b128 v[7:10], v11 offset:512
	s_waitcnt lgkmcnt(0)
	v_mul_f64 v[20:21], v[26:27], v[9:10]
	v_mul_f64 v[9:10], v[24:25], v[9:10]
	v_fma_f64 v[20:21], v[24:25], v[7:8], -v[20:21]
	v_fma_f64 v[7:8], v[26:27], v[7:8], v[9:10]
	v_add_f64 v[18:19], v[18:19], v[20:21]
	v_add_f64 v[16:17], v[16:17], v[7:8]
	ds_read_b128 v[7:10], v11 offset:768
	s_waitcnt lgkmcnt(0)
	v_mul_f64 v[20:21], v[30:31], v[9:10]
	v_mul_f64 v[9:10], v[28:29], v[9:10]
	v_fma_f64 v[20:21], v[28:29], v[7:8], -v[20:21]
	v_fma_f64 v[7:8], v[30:31], v[7:8], v[9:10]
	v_add_f64 v[20:21], v[18:19], v[20:21]
	v_add_f64 v[22:23], v[16:17], v[7:8]
	ds_read_b128 v[7:10], v13 offset:64
	ds_read_b128 v[16:19], v11 offset:1024
	s_waitcnt lgkmcnt(0)
	v_mul_f64 v[24:25], v[9:10], v[18:19]
	v_fma_f64 v[24:25], v[7:8], v[16:17], -v[24:25]
	v_mul_f64 v[7:8], v[7:8], v[18:19]
	v_add_f64 v[20:21], v[20:21], v[24:25]
	v_fma_f64 v[7:8], v[9:10], v[16:17], v[7:8]
	v_add_f64 v[22:23], v[22:23], v[7:8]
	ds_read_b128 v[7:10], v13 offset:80
	ds_read_b128 v[16:19], v11 offset:1280
	s_waitcnt lgkmcnt(0)
	v_mul_f64 v[24:25], v[9:10], v[18:19]
	v_fma_f64 v[24:25], v[7:8], v[16:17], -v[24:25]
	v_mul_f64 v[7:8], v[7:8], v[18:19]
	v_add_f64 v[20:21], v[20:21], v[24:25]
	v_fma_f64 v[7:8], v[9:10], v[16:17], v[7:8]
	;; [unrolled: 9-line block ×11, first 2 shown]
	v_add_f64 v[22:23], v[22:23], v[7:8]
	ds_read_b128 v[7:10], v13 offset:240
	ds_read_b128 v[16:19], v11 offset:3840
	s_waitcnt lgkmcnt(0)
	s_barrier
	v_mul_f64 v[24:25], v[9:10], v[18:19]
	v_fma_f64 v[24:25], v[7:8], v[16:17], -v[24:25]
	v_mul_f64 v[7:8], v[7:8], v[18:19]
	v_fma_f64 v[9:10], v[9:10], v[16:17], v[7:8]
	v_add_f64 v[7:8], v[20:21], v[24:25]
	v_add_f64 v[9:10], v[22:23], v[9:10]
	s_cbranch_scc1 .LBB271_2
; %bb.3:
	v_cmp_le_i32_e32 vcc, v4, v2
	s_and_saveexec_b64 s[6:7], vcc
	s_cbranch_execz .LBB271_5
.LBB271_4:
	s_load_dwordx2 s[6:7], s[4:5], 0x68
	s_load_dwordx2 s[10:11], s[4:5], 0x58
	s_load_dword s9, s[4:5], 0x60
	v_mul_f64 v[0:1], s[2:3], v[9:10]
	v_mul_f64 v[9:10], s[0:1], v[9:10]
	s_waitcnt lgkmcnt(0)
	s_mul_i32 s4, s7, s8
	s_mul_hi_u32 s5, s6, s8
	s_add_i32 s5, s5, s4
	s_mul_i32 s4, s6, s8
	v_mad_i64_i32 v[11:12], s[6:7], s9, v4, 0
	s_lshl_b64 s[4:5], s[4:5], 4
	v_fma_f64 v[4:5], s[0:1], v[7:8], -v[0:1]
	v_fma_f64 v[6:7], s[2:3], v[7:8], v[9:10]
	s_add_u32 s4, s10, s4
	v_lshlrev_b64 v[0:1], 4, v[11:12]
	s_addc_u32 s5, s11, s5
	v_mov_b32_e32 v8, s5
	v_add_co_u32_e32 v9, vcc, s4, v0
	v_addc_co_u32_e32 v8, vcc, v8, v1, vcc
	v_lshlrev_b64 v[0:1], 4, v[2:3]
	v_add_co_u32_e32 v0, vcc, v9, v0
	v_addc_co_u32_e32 v1, vcc, v8, v1, vcc
	global_store_dwordx4 v[0:1], v[4:7], off
.LBB271_5:
	s_endpgm
.LBB271_6:
	v_mov_b32_e32 v9, 0
	v_mov_b32_e32 v7, 0
	;; [unrolled: 1-line block ×4, first 2 shown]
	v_cmp_le_i32_e32 vcc, v4, v2
	s_and_saveexec_b64 s[6:7], vcc
	s_cbranch_execnz .LBB271_4
	s_branch .LBB271_5
	.section	.rodata,"a",@progbits
	.p2align	6, 0x0
	.amdhsa_kernel _ZL41rocblas_syrkx_herkx_small_restrict_kernelIi19rocblas_complex_numIdELi16ELb1ELb0ELc78ELc76EKS1_S1_EviT_T0_PT6_S3_lS6_S3_lS4_PT7_S3_li
		.amdhsa_group_segment_fixed_size 8192
		.amdhsa_private_segment_fixed_size 0
		.amdhsa_kernarg_size 116
		.amdhsa_user_sgpr_count 6
		.amdhsa_user_sgpr_private_segment_buffer 1
		.amdhsa_user_sgpr_dispatch_ptr 0
		.amdhsa_user_sgpr_queue_ptr 0
		.amdhsa_user_sgpr_kernarg_segment_ptr 1
		.amdhsa_user_sgpr_dispatch_id 0
		.amdhsa_user_sgpr_flat_scratch_init 0
		.amdhsa_user_sgpr_private_segment_size 0
		.amdhsa_uses_dynamic_stack 0
		.amdhsa_system_sgpr_private_segment_wavefront_offset 0
		.amdhsa_system_sgpr_workgroup_id_x 1
		.amdhsa_system_sgpr_workgroup_id_y 1
		.amdhsa_system_sgpr_workgroup_id_z 1
		.amdhsa_system_sgpr_workgroup_info 0
		.amdhsa_system_vgpr_workitem_id 1
		.amdhsa_next_free_vgpr 38
		.amdhsa_next_free_sgpr 61
		.amdhsa_reserve_vcc 1
		.amdhsa_reserve_flat_scratch 0
		.amdhsa_float_round_mode_32 0
		.amdhsa_float_round_mode_16_64 0
		.amdhsa_float_denorm_mode_32 3
		.amdhsa_float_denorm_mode_16_64 3
		.amdhsa_dx10_clamp 1
		.amdhsa_ieee_mode 1
		.amdhsa_fp16_overflow 0
		.amdhsa_exception_fp_ieee_invalid_op 0
		.amdhsa_exception_fp_denorm_src 0
		.amdhsa_exception_fp_ieee_div_zero 0
		.amdhsa_exception_fp_ieee_overflow 0
		.amdhsa_exception_fp_ieee_underflow 0
		.amdhsa_exception_fp_ieee_inexact 0
		.amdhsa_exception_int_div_zero 0
	.end_amdhsa_kernel
	.section	.text._ZL41rocblas_syrkx_herkx_small_restrict_kernelIi19rocblas_complex_numIdELi16ELb1ELb0ELc78ELc76EKS1_S1_EviT_T0_PT6_S3_lS6_S3_lS4_PT7_S3_li,"axG",@progbits,_ZL41rocblas_syrkx_herkx_small_restrict_kernelIi19rocblas_complex_numIdELi16ELb1ELb0ELc78ELc76EKS1_S1_EviT_T0_PT6_S3_lS6_S3_lS4_PT7_S3_li,comdat
.Lfunc_end271:
	.size	_ZL41rocblas_syrkx_herkx_small_restrict_kernelIi19rocblas_complex_numIdELi16ELb1ELb0ELc78ELc76EKS1_S1_EviT_T0_PT6_S3_lS6_S3_lS4_PT7_S3_li, .Lfunc_end271-_ZL41rocblas_syrkx_herkx_small_restrict_kernelIi19rocblas_complex_numIdELi16ELb1ELb0ELc78ELc76EKS1_S1_EviT_T0_PT6_S3_lS6_S3_lS4_PT7_S3_li
                                        ; -- End function
	.set _ZL41rocblas_syrkx_herkx_small_restrict_kernelIi19rocblas_complex_numIdELi16ELb1ELb0ELc78ELc76EKS1_S1_EviT_T0_PT6_S3_lS6_S3_lS4_PT7_S3_li.num_vgpr, 38
	.set _ZL41rocblas_syrkx_herkx_small_restrict_kernelIi19rocblas_complex_numIdELi16ELb1ELb0ELc78ELc76EKS1_S1_EviT_T0_PT6_S3_lS6_S3_lS4_PT7_S3_li.num_agpr, 0
	.set _ZL41rocblas_syrkx_herkx_small_restrict_kernelIi19rocblas_complex_numIdELi16ELb1ELb0ELc78ELc76EKS1_S1_EviT_T0_PT6_S3_lS6_S3_lS4_PT7_S3_li.numbered_sgpr, 24
	.set _ZL41rocblas_syrkx_herkx_small_restrict_kernelIi19rocblas_complex_numIdELi16ELb1ELb0ELc78ELc76EKS1_S1_EviT_T0_PT6_S3_lS6_S3_lS4_PT7_S3_li.num_named_barrier, 0
	.set _ZL41rocblas_syrkx_herkx_small_restrict_kernelIi19rocblas_complex_numIdELi16ELb1ELb0ELc78ELc76EKS1_S1_EviT_T0_PT6_S3_lS6_S3_lS4_PT7_S3_li.private_seg_size, 0
	.set _ZL41rocblas_syrkx_herkx_small_restrict_kernelIi19rocblas_complex_numIdELi16ELb1ELb0ELc78ELc76EKS1_S1_EviT_T0_PT6_S3_lS6_S3_lS4_PT7_S3_li.uses_vcc, 1
	.set _ZL41rocblas_syrkx_herkx_small_restrict_kernelIi19rocblas_complex_numIdELi16ELb1ELb0ELc78ELc76EKS1_S1_EviT_T0_PT6_S3_lS6_S3_lS4_PT7_S3_li.uses_flat_scratch, 0
	.set _ZL41rocblas_syrkx_herkx_small_restrict_kernelIi19rocblas_complex_numIdELi16ELb1ELb0ELc78ELc76EKS1_S1_EviT_T0_PT6_S3_lS6_S3_lS4_PT7_S3_li.has_dyn_sized_stack, 0
	.set _ZL41rocblas_syrkx_herkx_small_restrict_kernelIi19rocblas_complex_numIdELi16ELb1ELb0ELc78ELc76EKS1_S1_EviT_T0_PT6_S3_lS6_S3_lS4_PT7_S3_li.has_recursion, 0
	.set _ZL41rocblas_syrkx_herkx_small_restrict_kernelIi19rocblas_complex_numIdELi16ELb1ELb0ELc78ELc76EKS1_S1_EviT_T0_PT6_S3_lS6_S3_lS4_PT7_S3_li.has_indirect_call, 0
	.section	.AMDGPU.csdata,"",@progbits
; Kernel info:
; codeLenInByte = 1680
; TotalNumSgprs: 28
; NumVgprs: 38
; ScratchSize: 0
; MemoryBound: 0
; FloatMode: 240
; IeeeMode: 1
; LDSByteSize: 8192 bytes/workgroup (compile time only)
; SGPRBlocks: 8
; VGPRBlocks: 9
; NumSGPRsForWavesPerEU: 65
; NumVGPRsForWavesPerEU: 38
; Occupancy: 6
; WaveLimiterHint : 0
; COMPUTE_PGM_RSRC2:SCRATCH_EN: 0
; COMPUTE_PGM_RSRC2:USER_SGPR: 6
; COMPUTE_PGM_RSRC2:TRAP_HANDLER: 0
; COMPUTE_PGM_RSRC2:TGID_X_EN: 1
; COMPUTE_PGM_RSRC2:TGID_Y_EN: 1
; COMPUTE_PGM_RSRC2:TGID_Z_EN: 1
; COMPUTE_PGM_RSRC2:TIDIG_COMP_CNT: 1
	.section	.text._ZL41rocblas_syrkx_herkx_small_restrict_kernelIi19rocblas_complex_numIdELi16ELb1ELb0ELc84ELc85EKS1_S1_EviT_T0_PT6_S3_lS6_S3_lS4_PT7_S3_li,"axG",@progbits,_ZL41rocblas_syrkx_herkx_small_restrict_kernelIi19rocblas_complex_numIdELi16ELb1ELb0ELc84ELc85EKS1_S1_EviT_T0_PT6_S3_lS6_S3_lS4_PT7_S3_li,comdat
	.globl	_ZL41rocblas_syrkx_herkx_small_restrict_kernelIi19rocblas_complex_numIdELi16ELb1ELb0ELc84ELc85EKS1_S1_EviT_T0_PT6_S3_lS6_S3_lS4_PT7_S3_li ; -- Begin function _ZL41rocblas_syrkx_herkx_small_restrict_kernelIi19rocblas_complex_numIdELi16ELb1ELb0ELc84ELc85EKS1_S1_EviT_T0_PT6_S3_lS6_S3_lS4_PT7_S3_li
	.p2align	8
	.type	_ZL41rocblas_syrkx_herkx_small_restrict_kernelIi19rocblas_complex_numIdELi16ELb1ELb0ELc84ELc85EKS1_S1_EviT_T0_PT6_S3_lS6_S3_lS4_PT7_S3_li,@function
_ZL41rocblas_syrkx_herkx_small_restrict_kernelIi19rocblas_complex_numIdELi16ELb1ELb0ELc84ELc85EKS1_S1_EviT_T0_PT6_S3_lS6_S3_lS4_PT7_S3_li: ; @_ZL41rocblas_syrkx_herkx_small_restrict_kernelIi19rocblas_complex_numIdELi16ELb1ELb0ELc84ELc85EKS1_S1_EviT_T0_PT6_S3_lS6_S3_lS4_PT7_S3_li
; %bb.0:
	s_load_dword s9, s[4:5], 0x4
	s_load_dwordx4 s[0:3], s[4:5], 0x8
	s_load_dwordx2 s[10:11], s[4:5], 0x18
	s_mov_b32 s12, 0
	v_lshl_add_u32 v2, s6, 4, v0
	s_waitcnt lgkmcnt(0)
	s_cmp_lt_i32 s9, 1
	v_lshl_add_u32 v9, s7, 4, v1
	s_cbranch_scc1 .LBB272_6
; %bb.1:
	s_load_dword s13, s[4:5], 0x20
	s_load_dwordx4 s[16:19], s[4:5], 0x28
	s_load_dword s14, s[4:5], 0x38
	s_load_dwordx2 s[6:7], s[4:5], 0x40
	v_lshlrev_b32_e32 v5, 8, v1
	v_lshlrev_b32_e32 v10, 4, v0
	v_add_u32_e32 v11, v10, v5
	s_waitcnt lgkmcnt(0)
	v_mad_i64_i32 v[3:4], s[14:15], s14, v9, 0
	s_mul_i32 s7, s7, s8
	s_mul_hi_u32 s14, s6, s8
	v_lshlrev_b64 v[3:4], 4, v[3:4]
	s_add_i32 s7, s14, s7
	s_mul_i32 s6, s6, s8
	s_lshl_b64 s[6:7], s[6:7], 4
	v_add_u32_e32 v12, 0x1000, v5
	v_mov_b32_e32 v0, s7
	v_add_co_u32_e32 v3, vcc, s6, v3
	v_mad_i64_i32 v[5:6], s[6:7], s13, v2, 0
	v_addc_co_u32_e32 v0, vcc, v4, v0, vcc
	v_add_co_u32_e32 v3, vcc, v3, v10
	v_addc_co_u32_e32 v0, vcc, 0, v0, vcc
	s_mul_i32 s6, s17, s8
	s_mul_hi_u32 s7, s16, s8
	v_mov_b32_e32 v4, s19
	v_add_co_u32_e32 v3, vcc, s18, v3
	v_lshlrev_b64 v[5:6], 4, v[5:6]
	s_add_i32 s7, s7, s6
	s_mul_i32 s6, s16, s8
	v_addc_co_u32_e32 v4, vcc, v4, v0, vcc
	s_lshl_b64 s[6:7], s[6:7], 4
	v_mov_b32_e32 v0, s7
	v_add_co_u32_e32 v5, vcc, s6, v5
	v_addc_co_u32_e32 v0, vcc, v6, v0, vcc
	v_lshlrev_b32_e32 v1, 4, v1
	v_add_co_u32_e32 v1, vcc, v5, v1
	v_addc_co_u32_e32 v14, vcc, 0, v0, vcc
	v_mov_b32_e32 v15, s11
	v_mov_b32_e32 v7, 0
	;; [unrolled: 1-line block ×3, first 2 shown]
	v_add_co_u32_e32 v0, vcc, s10, v1
	v_add_u32_e32 v13, v12, v10
	v_mov_b32_e32 v8, 0
	v_mov_b32_e32 v6, 0
	v_addc_co_u32_e32 v1, vcc, v15, v14, vcc
.LBB272_2:                              ; =>This Inner Loop Header: Depth=1
	global_load_dwordx4 v[14:17], v[0:1], off
	s_add_i32 s12, s12, 16
	s_cmp_lt_i32 s12, s9
	s_waitcnt vmcnt(0)
	ds_write2_b64 v11, v[14:15], v[16:17] offset1:1
	global_load_dwordx4 v[14:17], v[3:4], off
	v_add_co_u32_e32 v3, vcc, 0x100, v3
	v_addc_co_u32_e32 v4, vcc, 0, v4, vcc
	v_add_co_u32_e32 v0, vcc, 0x100, v0
	v_addc_co_u32_e32 v1, vcc, 0, v1, vcc
	s_waitcnt vmcnt(0)
	ds_write2_b64 v13, v[14:15], v[16:17] offset1:1
	s_waitcnt lgkmcnt(0)
	s_barrier
	ds_read_b128 v[14:17], v12
	ds_read_b128 v[18:21], v12 offset:16
	ds_read_b128 v[22:25], v12 offset:32
	;; [unrolled: 1-line block ×3, first 2 shown]
	ds_read_b128 v[30:33], v10
	s_waitcnt lgkmcnt(0)
	v_mul_f64 v[34:35], v[16:17], v[32:33]
	v_fma_f64 v[34:35], v[14:15], v[30:31], -v[34:35]
	v_mul_f64 v[14:15], v[14:15], v[32:33]
	v_fma_f64 v[14:15], v[16:17], v[30:31], v[14:15]
	v_add_f64 v[16:17], v[5:6], v[34:35]
	v_add_f64 v[14:15], v[7:8], v[14:15]
	ds_read_b128 v[5:8], v10 offset:256
	s_waitcnt lgkmcnt(0)
	v_mul_f64 v[30:31], v[20:21], v[7:8]
	v_mul_f64 v[7:8], v[18:19], v[7:8]
	v_fma_f64 v[30:31], v[18:19], v[5:6], -v[30:31]
	v_fma_f64 v[5:6], v[20:21], v[5:6], v[7:8]
	v_add_f64 v[16:17], v[16:17], v[30:31]
	v_add_f64 v[14:15], v[14:15], v[5:6]
	ds_read_b128 v[5:8], v10 offset:512
	s_waitcnt lgkmcnt(0)
	v_mul_f64 v[18:19], v[24:25], v[7:8]
	v_mul_f64 v[7:8], v[22:23], v[7:8]
	v_fma_f64 v[18:19], v[22:23], v[5:6], -v[18:19]
	;; [unrolled: 8-line block ×3, first 2 shown]
	v_fma_f64 v[5:6], v[28:29], v[5:6], v[7:8]
	v_add_f64 v[18:19], v[16:17], v[18:19]
	v_add_f64 v[20:21], v[14:15], v[5:6]
	ds_read_b128 v[5:8], v12 offset:64
	ds_read_b128 v[14:17], v10 offset:1024
	s_waitcnt lgkmcnt(0)
	v_mul_f64 v[22:23], v[7:8], v[16:17]
	v_fma_f64 v[22:23], v[5:6], v[14:15], -v[22:23]
	v_mul_f64 v[5:6], v[5:6], v[16:17]
	v_add_f64 v[18:19], v[18:19], v[22:23]
	v_fma_f64 v[5:6], v[7:8], v[14:15], v[5:6]
	v_add_f64 v[20:21], v[20:21], v[5:6]
	ds_read_b128 v[5:8], v12 offset:80
	ds_read_b128 v[14:17], v10 offset:1280
	s_waitcnt lgkmcnt(0)
	v_mul_f64 v[22:23], v[7:8], v[16:17]
	v_fma_f64 v[22:23], v[5:6], v[14:15], -v[22:23]
	v_mul_f64 v[5:6], v[5:6], v[16:17]
	v_add_f64 v[18:19], v[18:19], v[22:23]
	v_fma_f64 v[5:6], v[7:8], v[14:15], v[5:6]
	;; [unrolled: 9-line block ×11, first 2 shown]
	v_add_f64 v[20:21], v[20:21], v[5:6]
	ds_read_b128 v[5:8], v12 offset:240
	ds_read_b128 v[14:17], v10 offset:3840
	s_waitcnt lgkmcnt(0)
	s_barrier
	v_mul_f64 v[22:23], v[7:8], v[16:17]
	v_fma_f64 v[22:23], v[5:6], v[14:15], -v[22:23]
	v_mul_f64 v[5:6], v[5:6], v[16:17]
	v_fma_f64 v[7:8], v[7:8], v[14:15], v[5:6]
	v_add_f64 v[5:6], v[18:19], v[22:23]
	v_add_f64 v[7:8], v[20:21], v[7:8]
	s_cbranch_scc1 .LBB272_2
; %bb.3:
	v_cmp_le_i32_e32 vcc, v2, v9
	s_and_saveexec_b64 s[6:7], vcc
	s_cbranch_execz .LBB272_5
.LBB272_4:
	s_load_dwordx2 s[6:7], s[4:5], 0x68
	s_load_dwordx2 s[10:11], s[4:5], 0x58
	s_load_dword s9, s[4:5], 0x60
	v_mul_f64 v[0:1], s[2:3], v[7:8]
	v_mul_f64 v[3:4], s[0:1], v[7:8]
	s_waitcnt lgkmcnt(0)
	s_mul_i32 s4, s7, s8
	s_mul_hi_u32 s5, s6, s8
	s_add_i32 s5, s5, s4
	s_mul_i32 s4, s6, s8
	s_lshl_b64 s[4:5], s[4:5], 4
	s_add_u32 s6, s10, s4
	s_addc_u32 s7, s11, s5
	v_mad_i64_i32 v[11:12], s[4:5], s9, v9, 0
	v_fma_f64 v[7:8], s[0:1], v[5:6], -v[0:1]
	v_fma_f64 v[9:10], s[2:3], v[5:6], v[3:4]
	v_lshlrev_b64 v[0:1], 4, v[11:12]
	v_ashrrev_i32_e32 v3, 31, v2
	v_mov_b32_e32 v4, s7
	v_add_co_u32_e32 v5, vcc, s6, v0
	v_addc_co_u32_e32 v4, vcc, v4, v1, vcc
	v_lshlrev_b64 v[0:1], 4, v[2:3]
	v_add_co_u32_e32 v0, vcc, v5, v0
	v_addc_co_u32_e32 v1, vcc, v4, v1, vcc
	global_store_dwordx4 v[0:1], v[7:10], off
.LBB272_5:
	s_endpgm
.LBB272_6:
	v_mov_b32_e32 v7, 0
	v_mov_b32_e32 v5, 0
	v_mov_b32_e32 v8, 0
	v_mov_b32_e32 v6, 0
	v_cmp_le_i32_e32 vcc, v2, v9
	s_and_saveexec_b64 s[6:7], vcc
	s_cbranch_execnz .LBB272_4
	s_branch .LBB272_5
	.section	.rodata,"a",@progbits
	.p2align	6, 0x0
	.amdhsa_kernel _ZL41rocblas_syrkx_herkx_small_restrict_kernelIi19rocblas_complex_numIdELi16ELb1ELb0ELc84ELc85EKS1_S1_EviT_T0_PT6_S3_lS6_S3_lS4_PT7_S3_li
		.amdhsa_group_segment_fixed_size 8192
		.amdhsa_private_segment_fixed_size 0
		.amdhsa_kernarg_size 116
		.amdhsa_user_sgpr_count 6
		.amdhsa_user_sgpr_private_segment_buffer 1
		.amdhsa_user_sgpr_dispatch_ptr 0
		.amdhsa_user_sgpr_queue_ptr 0
		.amdhsa_user_sgpr_kernarg_segment_ptr 1
		.amdhsa_user_sgpr_dispatch_id 0
		.amdhsa_user_sgpr_flat_scratch_init 0
		.amdhsa_user_sgpr_private_segment_size 0
		.amdhsa_uses_dynamic_stack 0
		.amdhsa_system_sgpr_private_segment_wavefront_offset 0
		.amdhsa_system_sgpr_workgroup_id_x 1
		.amdhsa_system_sgpr_workgroup_id_y 1
		.amdhsa_system_sgpr_workgroup_id_z 1
		.amdhsa_system_sgpr_workgroup_info 0
		.amdhsa_system_vgpr_workitem_id 1
		.amdhsa_next_free_vgpr 36
		.amdhsa_next_free_sgpr 61
		.amdhsa_reserve_vcc 1
		.amdhsa_reserve_flat_scratch 0
		.amdhsa_float_round_mode_32 0
		.amdhsa_float_round_mode_16_64 0
		.amdhsa_float_denorm_mode_32 3
		.amdhsa_float_denorm_mode_16_64 3
		.amdhsa_dx10_clamp 1
		.amdhsa_ieee_mode 1
		.amdhsa_fp16_overflow 0
		.amdhsa_exception_fp_ieee_invalid_op 0
		.amdhsa_exception_fp_denorm_src 0
		.amdhsa_exception_fp_ieee_div_zero 0
		.amdhsa_exception_fp_ieee_overflow 0
		.amdhsa_exception_fp_ieee_underflow 0
		.amdhsa_exception_fp_ieee_inexact 0
		.amdhsa_exception_int_div_zero 0
	.end_amdhsa_kernel
	.section	.text._ZL41rocblas_syrkx_herkx_small_restrict_kernelIi19rocblas_complex_numIdELi16ELb1ELb0ELc84ELc85EKS1_S1_EviT_T0_PT6_S3_lS6_S3_lS4_PT7_S3_li,"axG",@progbits,_ZL41rocblas_syrkx_herkx_small_restrict_kernelIi19rocblas_complex_numIdELi16ELb1ELb0ELc84ELc85EKS1_S1_EviT_T0_PT6_S3_lS6_S3_lS4_PT7_S3_li,comdat
.Lfunc_end272:
	.size	_ZL41rocblas_syrkx_herkx_small_restrict_kernelIi19rocblas_complex_numIdELi16ELb1ELb0ELc84ELc85EKS1_S1_EviT_T0_PT6_S3_lS6_S3_lS4_PT7_S3_li, .Lfunc_end272-_ZL41rocblas_syrkx_herkx_small_restrict_kernelIi19rocblas_complex_numIdELi16ELb1ELb0ELc84ELc85EKS1_S1_EviT_T0_PT6_S3_lS6_S3_lS4_PT7_S3_li
                                        ; -- End function
	.set _ZL41rocblas_syrkx_herkx_small_restrict_kernelIi19rocblas_complex_numIdELi16ELb1ELb0ELc84ELc85EKS1_S1_EviT_T0_PT6_S3_lS6_S3_lS4_PT7_S3_li.num_vgpr, 36
	.set _ZL41rocblas_syrkx_herkx_small_restrict_kernelIi19rocblas_complex_numIdELi16ELb1ELb0ELc84ELc85EKS1_S1_EviT_T0_PT6_S3_lS6_S3_lS4_PT7_S3_li.num_agpr, 0
	.set _ZL41rocblas_syrkx_herkx_small_restrict_kernelIi19rocblas_complex_numIdELi16ELb1ELb0ELc84ELc85EKS1_S1_EviT_T0_PT6_S3_lS6_S3_lS4_PT7_S3_li.numbered_sgpr, 20
	.set _ZL41rocblas_syrkx_herkx_small_restrict_kernelIi19rocblas_complex_numIdELi16ELb1ELb0ELc84ELc85EKS1_S1_EviT_T0_PT6_S3_lS6_S3_lS4_PT7_S3_li.num_named_barrier, 0
	.set _ZL41rocblas_syrkx_herkx_small_restrict_kernelIi19rocblas_complex_numIdELi16ELb1ELb0ELc84ELc85EKS1_S1_EviT_T0_PT6_S3_lS6_S3_lS4_PT7_S3_li.private_seg_size, 0
	.set _ZL41rocblas_syrkx_herkx_small_restrict_kernelIi19rocblas_complex_numIdELi16ELb1ELb0ELc84ELc85EKS1_S1_EviT_T0_PT6_S3_lS6_S3_lS4_PT7_S3_li.uses_vcc, 1
	.set _ZL41rocblas_syrkx_herkx_small_restrict_kernelIi19rocblas_complex_numIdELi16ELb1ELb0ELc84ELc85EKS1_S1_EviT_T0_PT6_S3_lS6_S3_lS4_PT7_S3_li.uses_flat_scratch, 0
	.set _ZL41rocblas_syrkx_herkx_small_restrict_kernelIi19rocblas_complex_numIdELi16ELb1ELb0ELc84ELc85EKS1_S1_EviT_T0_PT6_S3_lS6_S3_lS4_PT7_S3_li.has_dyn_sized_stack, 0
	.set _ZL41rocblas_syrkx_herkx_small_restrict_kernelIi19rocblas_complex_numIdELi16ELb1ELb0ELc84ELc85EKS1_S1_EviT_T0_PT6_S3_lS6_S3_lS4_PT7_S3_li.has_recursion, 0
	.set _ZL41rocblas_syrkx_herkx_small_restrict_kernelIi19rocblas_complex_numIdELi16ELb1ELb0ELc84ELc85EKS1_S1_EviT_T0_PT6_S3_lS6_S3_lS4_PT7_S3_li.has_indirect_call, 0
	.section	.AMDGPU.csdata,"",@progbits
; Kernel info:
; codeLenInByte = 1640
; TotalNumSgprs: 24
; NumVgprs: 36
; ScratchSize: 0
; MemoryBound: 0
; FloatMode: 240
; IeeeMode: 1
; LDSByteSize: 8192 bytes/workgroup (compile time only)
; SGPRBlocks: 8
; VGPRBlocks: 8
; NumSGPRsForWavesPerEU: 65
; NumVGPRsForWavesPerEU: 36
; Occupancy: 7
; WaveLimiterHint : 0
; COMPUTE_PGM_RSRC2:SCRATCH_EN: 0
; COMPUTE_PGM_RSRC2:USER_SGPR: 6
; COMPUTE_PGM_RSRC2:TRAP_HANDLER: 0
; COMPUTE_PGM_RSRC2:TGID_X_EN: 1
; COMPUTE_PGM_RSRC2:TGID_Y_EN: 1
; COMPUTE_PGM_RSRC2:TGID_Z_EN: 1
; COMPUTE_PGM_RSRC2:TIDIG_COMP_CNT: 1
	.section	.text._ZL41rocblas_syrkx_herkx_small_restrict_kernelIi19rocblas_complex_numIdELi16ELb1ELb0ELc67ELc85EKS1_S1_EviT_T0_PT6_S3_lS6_S3_lS4_PT7_S3_li,"axG",@progbits,_ZL41rocblas_syrkx_herkx_small_restrict_kernelIi19rocblas_complex_numIdELi16ELb1ELb0ELc67ELc85EKS1_S1_EviT_T0_PT6_S3_lS6_S3_lS4_PT7_S3_li,comdat
	.globl	_ZL41rocblas_syrkx_herkx_small_restrict_kernelIi19rocblas_complex_numIdELi16ELb1ELb0ELc67ELc85EKS1_S1_EviT_T0_PT6_S3_lS6_S3_lS4_PT7_S3_li ; -- Begin function _ZL41rocblas_syrkx_herkx_small_restrict_kernelIi19rocblas_complex_numIdELi16ELb1ELb0ELc67ELc85EKS1_S1_EviT_T0_PT6_S3_lS6_S3_lS4_PT7_S3_li
	.p2align	8
	.type	_ZL41rocblas_syrkx_herkx_small_restrict_kernelIi19rocblas_complex_numIdELi16ELb1ELb0ELc67ELc85EKS1_S1_EviT_T0_PT6_S3_lS6_S3_lS4_PT7_S3_li,@function
_ZL41rocblas_syrkx_herkx_small_restrict_kernelIi19rocblas_complex_numIdELi16ELb1ELb0ELc67ELc85EKS1_S1_EviT_T0_PT6_S3_lS6_S3_lS4_PT7_S3_li: ; @_ZL41rocblas_syrkx_herkx_small_restrict_kernelIi19rocblas_complex_numIdELi16ELb1ELb0ELc67ELc85EKS1_S1_EviT_T0_PT6_S3_lS6_S3_lS4_PT7_S3_li
; %bb.0:
	s_load_dword s9, s[4:5], 0x4
	s_load_dwordx4 s[0:3], s[4:5], 0x8
	s_load_dwordx2 s[10:11], s[4:5], 0x18
	s_mov_b32 s12, 0
	v_lshl_add_u32 v2, s6, 4, v0
	s_waitcnt lgkmcnt(0)
	s_cmp_lt_i32 s9, 1
	v_lshl_add_u32 v9, s7, 4, v1
	s_cbranch_scc1 .LBB273_6
; %bb.1:
	s_load_dword s13, s[4:5], 0x20
	s_load_dwordx4 s[16:19], s[4:5], 0x28
	s_load_dword s14, s[4:5], 0x38
	s_load_dwordx2 s[6:7], s[4:5], 0x40
	v_lshlrev_b32_e32 v5, 8, v1
	v_lshlrev_b32_e32 v10, 4, v0
	v_add_u32_e32 v11, v10, v5
	s_waitcnt lgkmcnt(0)
	v_mad_i64_i32 v[3:4], s[14:15], s14, v9, 0
	s_mul_i32 s7, s7, s8
	s_mul_hi_u32 s14, s6, s8
	v_lshlrev_b64 v[3:4], 4, v[3:4]
	s_add_i32 s7, s14, s7
	s_mul_i32 s6, s6, s8
	s_lshl_b64 s[6:7], s[6:7], 4
	v_add_u32_e32 v12, 0x1000, v5
	v_mov_b32_e32 v0, s7
	v_add_co_u32_e32 v3, vcc, s6, v3
	v_mad_i64_i32 v[5:6], s[6:7], s13, v2, 0
	v_addc_co_u32_e32 v0, vcc, v4, v0, vcc
	v_add_co_u32_e32 v3, vcc, v3, v10
	v_addc_co_u32_e32 v0, vcc, 0, v0, vcc
	s_mul_i32 s6, s17, s8
	s_mul_hi_u32 s7, s16, s8
	v_mov_b32_e32 v4, s19
	v_add_co_u32_e32 v3, vcc, s18, v3
	v_lshlrev_b64 v[5:6], 4, v[5:6]
	s_add_i32 s7, s7, s6
	s_mul_i32 s6, s16, s8
	v_addc_co_u32_e32 v4, vcc, v4, v0, vcc
	s_lshl_b64 s[6:7], s[6:7], 4
	v_mov_b32_e32 v0, s7
	v_add_co_u32_e32 v5, vcc, s6, v5
	v_addc_co_u32_e32 v0, vcc, v6, v0, vcc
	v_lshlrev_b32_e32 v1, 4, v1
	v_add_co_u32_e32 v1, vcc, v5, v1
	v_addc_co_u32_e32 v0, vcc, 0, v0, vcc
	v_mov_b32_e32 v5, s11
	v_add_co_u32_e32 v1, vcc, s10, v1
	v_addc_co_u32_e32 v14, vcc, v5, v0, vcc
	v_mov_b32_e32 v7, 0
	v_mov_b32_e32 v5, 0
	v_add_co_u32_e32 v0, vcc, 8, v1
	v_add_u32_e32 v13, v12, v10
	v_mov_b32_e32 v8, 0
	v_mov_b32_e32 v6, 0
	v_addc_co_u32_e32 v1, vcc, 0, v14, vcc
.LBB273_2:                              ; =>This Inner Loop Header: Depth=1
	global_load_dwordx4 v[14:17], v[0:1], off offset:-8
	s_add_i32 s12, s12, 16
	s_cmp_lt_i32 s12, s9
	s_waitcnt vmcnt(0)
	ds_write_b128 v11, v[14:17]
	global_load_dwordx4 v[14:17], v[3:4], off
	v_add_co_u32_e32 v3, vcc, 0x100, v3
	v_addc_co_u32_e32 v4, vcc, 0, v4, vcc
	v_add_co_u32_e32 v0, vcc, 0x100, v0
	v_addc_co_u32_e32 v1, vcc, 0, v1, vcc
	s_waitcnt vmcnt(0)
	ds_write2_b64 v13, v[14:15], v[16:17] offset1:1
	s_waitcnt lgkmcnt(0)
	s_barrier
	ds_read_b128 v[14:17], v12
	ds_read_b128 v[18:21], v12 offset:16
	ds_read_b128 v[22:25], v12 offset:32
	;; [unrolled: 1-line block ×3, first 2 shown]
	ds_read_b128 v[30:33], v10
	s_waitcnt lgkmcnt(0)
	v_mul_f64 v[34:35], v[16:17], v[32:33]
	v_fma_f64 v[34:35], v[14:15], v[30:31], -v[34:35]
	v_mul_f64 v[14:15], v[14:15], v[32:33]
	v_fma_f64 v[14:15], v[16:17], v[30:31], v[14:15]
	v_add_f64 v[16:17], v[5:6], v[34:35]
	v_add_f64 v[14:15], v[7:8], v[14:15]
	ds_read_b128 v[5:8], v10 offset:256
	s_waitcnt lgkmcnt(0)
	v_mul_f64 v[30:31], v[20:21], v[7:8]
	v_mul_f64 v[7:8], v[18:19], v[7:8]
	v_fma_f64 v[30:31], v[18:19], v[5:6], -v[30:31]
	v_fma_f64 v[5:6], v[20:21], v[5:6], v[7:8]
	v_add_f64 v[16:17], v[16:17], v[30:31]
	v_add_f64 v[14:15], v[14:15], v[5:6]
	ds_read_b128 v[5:8], v10 offset:512
	s_waitcnt lgkmcnt(0)
	v_mul_f64 v[18:19], v[24:25], v[7:8]
	v_mul_f64 v[7:8], v[22:23], v[7:8]
	v_fma_f64 v[18:19], v[22:23], v[5:6], -v[18:19]
	;; [unrolled: 8-line block ×3, first 2 shown]
	v_fma_f64 v[5:6], v[28:29], v[5:6], v[7:8]
	v_add_f64 v[18:19], v[16:17], v[18:19]
	v_add_f64 v[20:21], v[14:15], v[5:6]
	ds_read_b128 v[5:8], v12 offset:64
	ds_read_b128 v[14:17], v10 offset:1024
	s_waitcnt lgkmcnt(0)
	v_mul_f64 v[22:23], v[7:8], v[16:17]
	v_fma_f64 v[22:23], v[5:6], v[14:15], -v[22:23]
	v_mul_f64 v[5:6], v[5:6], v[16:17]
	v_add_f64 v[18:19], v[18:19], v[22:23]
	v_fma_f64 v[5:6], v[7:8], v[14:15], v[5:6]
	v_add_f64 v[20:21], v[20:21], v[5:6]
	ds_read_b128 v[5:8], v12 offset:80
	ds_read_b128 v[14:17], v10 offset:1280
	s_waitcnt lgkmcnt(0)
	v_mul_f64 v[22:23], v[7:8], v[16:17]
	v_fma_f64 v[22:23], v[5:6], v[14:15], -v[22:23]
	v_mul_f64 v[5:6], v[5:6], v[16:17]
	v_add_f64 v[18:19], v[18:19], v[22:23]
	v_fma_f64 v[5:6], v[7:8], v[14:15], v[5:6]
	;; [unrolled: 9-line block ×11, first 2 shown]
	v_add_f64 v[20:21], v[20:21], v[5:6]
	ds_read_b128 v[5:8], v12 offset:240
	ds_read_b128 v[14:17], v10 offset:3840
	s_waitcnt lgkmcnt(0)
	s_barrier
	v_mul_f64 v[22:23], v[7:8], v[16:17]
	v_fma_f64 v[22:23], v[5:6], v[14:15], -v[22:23]
	v_mul_f64 v[5:6], v[5:6], v[16:17]
	v_fma_f64 v[7:8], v[7:8], v[14:15], v[5:6]
	v_add_f64 v[5:6], v[18:19], v[22:23]
	v_add_f64 v[7:8], v[20:21], v[7:8]
	s_cbranch_scc1 .LBB273_2
; %bb.3:
	v_cmp_le_i32_e32 vcc, v2, v9
	s_and_saveexec_b64 s[6:7], vcc
	s_cbranch_execz .LBB273_5
.LBB273_4:
	s_load_dwordx2 s[6:7], s[4:5], 0x68
	s_load_dwordx2 s[10:11], s[4:5], 0x58
	s_load_dword s9, s[4:5], 0x60
	v_mul_f64 v[0:1], s[2:3], v[7:8]
	v_mul_f64 v[3:4], s[0:1], v[7:8]
	s_waitcnt lgkmcnt(0)
	s_mul_i32 s4, s7, s8
	s_mul_hi_u32 s5, s6, s8
	s_add_i32 s5, s5, s4
	s_mul_i32 s4, s6, s8
	s_lshl_b64 s[4:5], s[4:5], 4
	s_add_u32 s6, s10, s4
	s_addc_u32 s7, s11, s5
	v_mad_i64_i32 v[11:12], s[4:5], s9, v9, 0
	v_fma_f64 v[7:8], s[0:1], v[5:6], -v[0:1]
	v_fma_f64 v[9:10], s[2:3], v[5:6], v[3:4]
	v_lshlrev_b64 v[0:1], 4, v[11:12]
	v_ashrrev_i32_e32 v3, 31, v2
	v_mov_b32_e32 v4, s7
	v_add_co_u32_e32 v5, vcc, s6, v0
	v_addc_co_u32_e32 v4, vcc, v4, v1, vcc
	v_lshlrev_b64 v[0:1], 4, v[2:3]
	v_add_co_u32_e32 v0, vcc, v5, v0
	v_addc_co_u32_e32 v1, vcc, v4, v1, vcc
	global_store_dwordx4 v[0:1], v[7:10], off
.LBB273_5:
	s_endpgm
.LBB273_6:
	v_mov_b32_e32 v7, 0
	v_mov_b32_e32 v5, 0
	v_mov_b32_e32 v8, 0
	v_mov_b32_e32 v6, 0
	v_cmp_le_i32_e32 vcc, v2, v9
	s_and_saveexec_b64 s[6:7], vcc
	s_cbranch_execnz .LBB273_4
	s_branch .LBB273_5
	.section	.rodata,"a",@progbits
	.p2align	6, 0x0
	.amdhsa_kernel _ZL41rocblas_syrkx_herkx_small_restrict_kernelIi19rocblas_complex_numIdELi16ELb1ELb0ELc67ELc85EKS1_S1_EviT_T0_PT6_S3_lS6_S3_lS4_PT7_S3_li
		.amdhsa_group_segment_fixed_size 8192
		.amdhsa_private_segment_fixed_size 0
		.amdhsa_kernarg_size 116
		.amdhsa_user_sgpr_count 6
		.amdhsa_user_sgpr_private_segment_buffer 1
		.amdhsa_user_sgpr_dispatch_ptr 0
		.amdhsa_user_sgpr_queue_ptr 0
		.amdhsa_user_sgpr_kernarg_segment_ptr 1
		.amdhsa_user_sgpr_dispatch_id 0
		.amdhsa_user_sgpr_flat_scratch_init 0
		.amdhsa_user_sgpr_private_segment_size 0
		.amdhsa_uses_dynamic_stack 0
		.amdhsa_system_sgpr_private_segment_wavefront_offset 0
		.amdhsa_system_sgpr_workgroup_id_x 1
		.amdhsa_system_sgpr_workgroup_id_y 1
		.amdhsa_system_sgpr_workgroup_id_z 1
		.amdhsa_system_sgpr_workgroup_info 0
		.amdhsa_system_vgpr_workitem_id 1
		.amdhsa_next_free_vgpr 36
		.amdhsa_next_free_sgpr 61
		.amdhsa_reserve_vcc 1
		.amdhsa_reserve_flat_scratch 0
		.amdhsa_float_round_mode_32 0
		.amdhsa_float_round_mode_16_64 0
		.amdhsa_float_denorm_mode_32 3
		.amdhsa_float_denorm_mode_16_64 3
		.amdhsa_dx10_clamp 1
		.amdhsa_ieee_mode 1
		.amdhsa_fp16_overflow 0
		.amdhsa_exception_fp_ieee_invalid_op 0
		.amdhsa_exception_fp_denorm_src 0
		.amdhsa_exception_fp_ieee_div_zero 0
		.amdhsa_exception_fp_ieee_overflow 0
		.amdhsa_exception_fp_ieee_underflow 0
		.amdhsa_exception_fp_ieee_inexact 0
		.amdhsa_exception_int_div_zero 0
	.end_amdhsa_kernel
	.section	.text._ZL41rocblas_syrkx_herkx_small_restrict_kernelIi19rocblas_complex_numIdELi16ELb1ELb0ELc67ELc85EKS1_S1_EviT_T0_PT6_S3_lS6_S3_lS4_PT7_S3_li,"axG",@progbits,_ZL41rocblas_syrkx_herkx_small_restrict_kernelIi19rocblas_complex_numIdELi16ELb1ELb0ELc67ELc85EKS1_S1_EviT_T0_PT6_S3_lS6_S3_lS4_PT7_S3_li,comdat
.Lfunc_end273:
	.size	_ZL41rocblas_syrkx_herkx_small_restrict_kernelIi19rocblas_complex_numIdELi16ELb1ELb0ELc67ELc85EKS1_S1_EviT_T0_PT6_S3_lS6_S3_lS4_PT7_S3_li, .Lfunc_end273-_ZL41rocblas_syrkx_herkx_small_restrict_kernelIi19rocblas_complex_numIdELi16ELb1ELb0ELc67ELc85EKS1_S1_EviT_T0_PT6_S3_lS6_S3_lS4_PT7_S3_li
                                        ; -- End function
	.set _ZL41rocblas_syrkx_herkx_small_restrict_kernelIi19rocblas_complex_numIdELi16ELb1ELb0ELc67ELc85EKS1_S1_EviT_T0_PT6_S3_lS6_S3_lS4_PT7_S3_li.num_vgpr, 36
	.set _ZL41rocblas_syrkx_herkx_small_restrict_kernelIi19rocblas_complex_numIdELi16ELb1ELb0ELc67ELc85EKS1_S1_EviT_T0_PT6_S3_lS6_S3_lS4_PT7_S3_li.num_agpr, 0
	.set _ZL41rocblas_syrkx_herkx_small_restrict_kernelIi19rocblas_complex_numIdELi16ELb1ELb0ELc67ELc85EKS1_S1_EviT_T0_PT6_S3_lS6_S3_lS4_PT7_S3_li.numbered_sgpr, 20
	.set _ZL41rocblas_syrkx_herkx_small_restrict_kernelIi19rocblas_complex_numIdELi16ELb1ELb0ELc67ELc85EKS1_S1_EviT_T0_PT6_S3_lS6_S3_lS4_PT7_S3_li.num_named_barrier, 0
	.set _ZL41rocblas_syrkx_herkx_small_restrict_kernelIi19rocblas_complex_numIdELi16ELb1ELb0ELc67ELc85EKS1_S1_EviT_T0_PT6_S3_lS6_S3_lS4_PT7_S3_li.private_seg_size, 0
	.set _ZL41rocblas_syrkx_herkx_small_restrict_kernelIi19rocblas_complex_numIdELi16ELb1ELb0ELc67ELc85EKS1_S1_EviT_T0_PT6_S3_lS6_S3_lS4_PT7_S3_li.uses_vcc, 1
	.set _ZL41rocblas_syrkx_herkx_small_restrict_kernelIi19rocblas_complex_numIdELi16ELb1ELb0ELc67ELc85EKS1_S1_EviT_T0_PT6_S3_lS6_S3_lS4_PT7_S3_li.uses_flat_scratch, 0
	.set _ZL41rocblas_syrkx_herkx_small_restrict_kernelIi19rocblas_complex_numIdELi16ELb1ELb0ELc67ELc85EKS1_S1_EviT_T0_PT6_S3_lS6_S3_lS4_PT7_S3_li.has_dyn_sized_stack, 0
	.set _ZL41rocblas_syrkx_herkx_small_restrict_kernelIi19rocblas_complex_numIdELi16ELb1ELb0ELc67ELc85EKS1_S1_EviT_T0_PT6_S3_lS6_S3_lS4_PT7_S3_li.has_recursion, 0
	.set _ZL41rocblas_syrkx_herkx_small_restrict_kernelIi19rocblas_complex_numIdELi16ELb1ELb0ELc67ELc85EKS1_S1_EviT_T0_PT6_S3_lS6_S3_lS4_PT7_S3_li.has_indirect_call, 0
	.section	.AMDGPU.csdata,"",@progbits
; Kernel info:
; codeLenInByte = 1648
; TotalNumSgprs: 24
; NumVgprs: 36
; ScratchSize: 0
; MemoryBound: 0
; FloatMode: 240
; IeeeMode: 1
; LDSByteSize: 8192 bytes/workgroup (compile time only)
; SGPRBlocks: 8
; VGPRBlocks: 8
; NumSGPRsForWavesPerEU: 65
; NumVGPRsForWavesPerEU: 36
; Occupancy: 7
; WaveLimiterHint : 0
; COMPUTE_PGM_RSRC2:SCRATCH_EN: 0
; COMPUTE_PGM_RSRC2:USER_SGPR: 6
; COMPUTE_PGM_RSRC2:TRAP_HANDLER: 0
; COMPUTE_PGM_RSRC2:TGID_X_EN: 1
; COMPUTE_PGM_RSRC2:TGID_Y_EN: 1
; COMPUTE_PGM_RSRC2:TGID_Z_EN: 1
; COMPUTE_PGM_RSRC2:TIDIG_COMP_CNT: 1
	.section	.text._ZL41rocblas_syrkx_herkx_small_restrict_kernelIi19rocblas_complex_numIdELi16ELb1ELb0ELc78ELc85EKS1_S1_EviT_T0_PT6_S3_lS6_S3_lS4_PT7_S3_li,"axG",@progbits,_ZL41rocblas_syrkx_herkx_small_restrict_kernelIi19rocblas_complex_numIdELi16ELb1ELb0ELc78ELc85EKS1_S1_EviT_T0_PT6_S3_lS6_S3_lS4_PT7_S3_li,comdat
	.globl	_ZL41rocblas_syrkx_herkx_small_restrict_kernelIi19rocblas_complex_numIdELi16ELb1ELb0ELc78ELc85EKS1_S1_EviT_T0_PT6_S3_lS6_S3_lS4_PT7_S3_li ; -- Begin function _ZL41rocblas_syrkx_herkx_small_restrict_kernelIi19rocblas_complex_numIdELi16ELb1ELb0ELc78ELc85EKS1_S1_EviT_T0_PT6_S3_lS6_S3_lS4_PT7_S3_li
	.p2align	8
	.type	_ZL41rocblas_syrkx_herkx_small_restrict_kernelIi19rocblas_complex_numIdELi16ELb1ELb0ELc78ELc85EKS1_S1_EviT_T0_PT6_S3_lS6_S3_lS4_PT7_S3_li,@function
_ZL41rocblas_syrkx_herkx_small_restrict_kernelIi19rocblas_complex_numIdELi16ELb1ELb0ELc78ELc85EKS1_S1_EviT_T0_PT6_S3_lS6_S3_lS4_PT7_S3_li: ; @_ZL41rocblas_syrkx_herkx_small_restrict_kernelIi19rocblas_complex_numIdELi16ELb1ELb0ELc78ELc85EKS1_S1_EviT_T0_PT6_S3_lS6_S3_lS4_PT7_S3_li
; %bb.0:
	s_load_dword s9, s[4:5], 0x4
	s_load_dwordx4 s[0:3], s[4:5], 0x8
	s_load_dwordx2 s[10:11], s[4:5], 0x18
	v_lshl_add_u32 v2, s6, 4, v0
	s_mov_b32 s16, 0
	v_lshl_add_u32 v4, s7, 4, v1
	s_waitcnt lgkmcnt(0)
	s_cmp_lt_i32 s9, 1
	v_ashrrev_i32_e32 v3, 31, v2
	s_cbranch_scc1 .LBB274_6
; %bb.1:
	s_load_dword s18, s[4:5], 0x20
	s_load_dword s6, s[4:5], 0x38
	s_load_dwordx2 s[20:21], s[4:5], 0x40
	s_load_dwordx4 s[12:15], s[4:5], 0x28
	v_lshlrev_b32_e32 v6, 8, v1
	v_lshlrev_b32_e32 v11, 4, v0
	v_add_u32_e32 v12, v11, v6
	v_add_u32_e32 v13, 0x1000, v6
	s_waitcnt lgkmcnt(0)
	v_mad_i64_i32 v[6:7], s[22:23], s6, v0, 0
	s_mul_i32 s17, s21, s8
	s_mul_hi_u32 s21, s20, s8
	s_add_i32 s21, s21, s17
	s_mul_i32 s20, s20, s8
	v_lshlrev_b64 v[6:7], 4, v[6:7]
	v_ashrrev_i32_e32 v5, 31, v4
	s_lshl_b64 s[20:21], s[20:21], 4
	v_mov_b32_e32 v0, s21
	v_add_co_u32_e32 v8, vcc, s20, v6
	v_lshlrev_b64 v[5:6], 4, v[4:5]
	v_addc_co_u32_e32 v0, vcc, v0, v7, vcc
	v_add_co_u32_e32 v5, vcc, v8, v5
	v_addc_co_u32_e32 v0, vcc, v0, v6, vcc
	v_mov_b32_e32 v6, s15
	v_add_co_u32_e32 v5, vcc, s14, v5
	v_addc_co_u32_e32 v0, vcc, v6, v0, vcc
	v_add_co_u32_e32 v5, vcc, 8, v5
	v_addc_co_u32_e32 v6, vcc, 0, v0, vcc
	v_mad_i64_i32 v[0:1], s[14:15], s18, v1, 0
	s_mul_i32 s13, s13, s8
	s_mul_hi_u32 s17, s12, s8
	s_add_i32 s13, s17, s13
	s_mul_i32 s12, s12, s8
	v_lshlrev_b64 v[0:1], 4, v[0:1]
	s_lshl_b64 s[12:13], s[12:13], 4
	v_mov_b32_e32 v7, s13
	v_add_co_u32_e32 v8, vcc, s12, v0
	v_addc_co_u32_e32 v7, vcc, v7, v1, vcc
	v_lshlrev_b64 v[0:1], 4, v[2:3]
	s_ashr_i32 s19, s18, 31
	v_add_co_u32_e32 v0, vcc, v8, v0
	v_addc_co_u32_e32 v1, vcc, v7, v1, vcc
	s_ashr_i32 s7, s6, 31
	v_mov_b32_e32 v7, s11
	v_add_co_u32_e32 v0, vcc, s10, v0
	s_lshl_b64 s[6:7], s[6:7], 8
	v_addc_co_u32_e32 v1, vcc, v7, v1, vcc
	s_lshl_b64 s[10:11], s[18:19], 8
	v_mov_b32_e32 v9, 0
	v_mov_b32_e32 v7, 0
	;; [unrolled: 1-line block ×6, first 2 shown]
.LBB274_2:                              ; =>This Inner Loop Header: Depth=1
	global_load_dwordx4 v[16:19], v[0:1], off
	v_add_u32_e32 v20, v13, v11
	s_add_i32 s16, s16, 16
	s_cmp_lt_i32 s16, s9
	s_waitcnt vmcnt(0)
	ds_write2_b64 v12, v[16:17], v[18:19] offset1:1
	global_load_dwordx4 v[16:19], v[5:6], off offset:-8
	v_add_co_u32_e32 v5, vcc, s6, v5
	v_addc_co_u32_e32 v6, vcc, v6, v14, vcc
	v_add_co_u32_e32 v0, vcc, s10, v0
	v_addc_co_u32_e32 v1, vcc, v1, v15, vcc
	s_waitcnt vmcnt(0)
	ds_write_b128 v20, v[16:19]
	s_waitcnt lgkmcnt(0)
	s_barrier
	ds_read_b128 v[16:19], v13
	ds_read_b128 v[20:23], v13 offset:16
	ds_read_b128 v[24:27], v13 offset:32
	;; [unrolled: 1-line block ×3, first 2 shown]
	ds_read_b128 v[32:35], v11
	s_waitcnt lgkmcnt(0)
	v_mul_f64 v[36:37], v[18:19], v[34:35]
	v_fma_f64 v[36:37], v[16:17], v[32:33], -v[36:37]
	v_mul_f64 v[16:17], v[16:17], v[34:35]
	v_fma_f64 v[16:17], v[18:19], v[32:33], v[16:17]
	v_add_f64 v[18:19], v[7:8], v[36:37]
	v_add_f64 v[16:17], v[9:10], v[16:17]
	ds_read_b128 v[7:10], v11 offset:256
	s_waitcnt lgkmcnt(0)
	v_mul_f64 v[32:33], v[22:23], v[9:10]
	v_mul_f64 v[9:10], v[20:21], v[9:10]
	v_fma_f64 v[32:33], v[20:21], v[7:8], -v[32:33]
	v_fma_f64 v[7:8], v[22:23], v[7:8], v[9:10]
	v_add_f64 v[18:19], v[18:19], v[32:33]
	v_add_f64 v[16:17], v[16:17], v[7:8]
	ds_read_b128 v[7:10], v11 offset:512
	s_waitcnt lgkmcnt(0)
	v_mul_f64 v[20:21], v[26:27], v[9:10]
	v_mul_f64 v[9:10], v[24:25], v[9:10]
	v_fma_f64 v[20:21], v[24:25], v[7:8], -v[20:21]
	;; [unrolled: 8-line block ×3, first 2 shown]
	v_fma_f64 v[7:8], v[30:31], v[7:8], v[9:10]
	v_add_f64 v[20:21], v[18:19], v[20:21]
	v_add_f64 v[22:23], v[16:17], v[7:8]
	ds_read_b128 v[7:10], v13 offset:64
	ds_read_b128 v[16:19], v11 offset:1024
	s_waitcnt lgkmcnt(0)
	v_mul_f64 v[24:25], v[9:10], v[18:19]
	v_fma_f64 v[24:25], v[7:8], v[16:17], -v[24:25]
	v_mul_f64 v[7:8], v[7:8], v[18:19]
	v_add_f64 v[20:21], v[20:21], v[24:25]
	v_fma_f64 v[7:8], v[9:10], v[16:17], v[7:8]
	v_add_f64 v[22:23], v[22:23], v[7:8]
	ds_read_b128 v[7:10], v13 offset:80
	ds_read_b128 v[16:19], v11 offset:1280
	s_waitcnt lgkmcnt(0)
	v_mul_f64 v[24:25], v[9:10], v[18:19]
	v_fma_f64 v[24:25], v[7:8], v[16:17], -v[24:25]
	v_mul_f64 v[7:8], v[7:8], v[18:19]
	v_add_f64 v[20:21], v[20:21], v[24:25]
	v_fma_f64 v[7:8], v[9:10], v[16:17], v[7:8]
	;; [unrolled: 9-line block ×11, first 2 shown]
	v_add_f64 v[22:23], v[22:23], v[7:8]
	ds_read_b128 v[7:10], v13 offset:240
	ds_read_b128 v[16:19], v11 offset:3840
	s_waitcnt lgkmcnt(0)
	s_barrier
	v_mul_f64 v[24:25], v[9:10], v[18:19]
	v_fma_f64 v[24:25], v[7:8], v[16:17], -v[24:25]
	v_mul_f64 v[7:8], v[7:8], v[18:19]
	v_fma_f64 v[9:10], v[9:10], v[16:17], v[7:8]
	v_add_f64 v[7:8], v[20:21], v[24:25]
	v_add_f64 v[9:10], v[22:23], v[9:10]
	s_cbranch_scc1 .LBB274_2
; %bb.3:
	v_cmp_le_i32_e32 vcc, v2, v4
	s_and_saveexec_b64 s[6:7], vcc
	s_cbranch_execz .LBB274_5
.LBB274_4:
	s_load_dwordx2 s[6:7], s[4:5], 0x68
	s_load_dwordx2 s[10:11], s[4:5], 0x58
	s_load_dword s9, s[4:5], 0x60
	v_mul_f64 v[0:1], s[2:3], v[9:10]
	v_mul_f64 v[9:10], s[0:1], v[9:10]
	s_waitcnt lgkmcnt(0)
	s_mul_i32 s4, s7, s8
	s_mul_hi_u32 s5, s6, s8
	s_add_i32 s5, s5, s4
	s_mul_i32 s4, s6, s8
	v_mad_i64_i32 v[11:12], s[6:7], s9, v4, 0
	s_lshl_b64 s[4:5], s[4:5], 4
	v_fma_f64 v[4:5], s[0:1], v[7:8], -v[0:1]
	v_fma_f64 v[6:7], s[2:3], v[7:8], v[9:10]
	s_add_u32 s4, s10, s4
	v_lshlrev_b64 v[0:1], 4, v[11:12]
	s_addc_u32 s5, s11, s5
	v_mov_b32_e32 v8, s5
	v_add_co_u32_e32 v9, vcc, s4, v0
	v_addc_co_u32_e32 v8, vcc, v8, v1, vcc
	v_lshlrev_b64 v[0:1], 4, v[2:3]
	v_add_co_u32_e32 v0, vcc, v9, v0
	v_addc_co_u32_e32 v1, vcc, v8, v1, vcc
	global_store_dwordx4 v[0:1], v[4:7], off
.LBB274_5:
	s_endpgm
.LBB274_6:
	v_mov_b32_e32 v9, 0
	v_mov_b32_e32 v7, 0
	;; [unrolled: 1-line block ×4, first 2 shown]
	v_cmp_le_i32_e32 vcc, v2, v4
	s_and_saveexec_b64 s[6:7], vcc
	s_cbranch_execnz .LBB274_4
	s_branch .LBB274_5
	.section	.rodata,"a",@progbits
	.p2align	6, 0x0
	.amdhsa_kernel _ZL41rocblas_syrkx_herkx_small_restrict_kernelIi19rocblas_complex_numIdELi16ELb1ELb0ELc78ELc85EKS1_S1_EviT_T0_PT6_S3_lS6_S3_lS4_PT7_S3_li
		.amdhsa_group_segment_fixed_size 8192
		.amdhsa_private_segment_fixed_size 0
		.amdhsa_kernarg_size 116
		.amdhsa_user_sgpr_count 6
		.amdhsa_user_sgpr_private_segment_buffer 1
		.amdhsa_user_sgpr_dispatch_ptr 0
		.amdhsa_user_sgpr_queue_ptr 0
		.amdhsa_user_sgpr_kernarg_segment_ptr 1
		.amdhsa_user_sgpr_dispatch_id 0
		.amdhsa_user_sgpr_flat_scratch_init 0
		.amdhsa_user_sgpr_private_segment_size 0
		.amdhsa_uses_dynamic_stack 0
		.amdhsa_system_sgpr_private_segment_wavefront_offset 0
		.amdhsa_system_sgpr_workgroup_id_x 1
		.amdhsa_system_sgpr_workgroup_id_y 1
		.amdhsa_system_sgpr_workgroup_id_z 1
		.amdhsa_system_sgpr_workgroup_info 0
		.amdhsa_system_vgpr_workitem_id 1
		.amdhsa_next_free_vgpr 38
		.amdhsa_next_free_sgpr 61
		.amdhsa_reserve_vcc 1
		.amdhsa_reserve_flat_scratch 0
		.amdhsa_float_round_mode_32 0
		.amdhsa_float_round_mode_16_64 0
		.amdhsa_float_denorm_mode_32 3
		.amdhsa_float_denorm_mode_16_64 3
		.amdhsa_dx10_clamp 1
		.amdhsa_ieee_mode 1
		.amdhsa_fp16_overflow 0
		.amdhsa_exception_fp_ieee_invalid_op 0
		.amdhsa_exception_fp_denorm_src 0
		.amdhsa_exception_fp_ieee_div_zero 0
		.amdhsa_exception_fp_ieee_overflow 0
		.amdhsa_exception_fp_ieee_underflow 0
		.amdhsa_exception_fp_ieee_inexact 0
		.amdhsa_exception_int_div_zero 0
	.end_amdhsa_kernel
	.section	.text._ZL41rocblas_syrkx_herkx_small_restrict_kernelIi19rocblas_complex_numIdELi16ELb1ELb0ELc78ELc85EKS1_S1_EviT_T0_PT6_S3_lS6_S3_lS4_PT7_S3_li,"axG",@progbits,_ZL41rocblas_syrkx_herkx_small_restrict_kernelIi19rocblas_complex_numIdELi16ELb1ELb0ELc78ELc85EKS1_S1_EviT_T0_PT6_S3_lS6_S3_lS4_PT7_S3_li,comdat
.Lfunc_end274:
	.size	_ZL41rocblas_syrkx_herkx_small_restrict_kernelIi19rocblas_complex_numIdELi16ELb1ELb0ELc78ELc85EKS1_S1_EviT_T0_PT6_S3_lS6_S3_lS4_PT7_S3_li, .Lfunc_end274-_ZL41rocblas_syrkx_herkx_small_restrict_kernelIi19rocblas_complex_numIdELi16ELb1ELb0ELc78ELc85EKS1_S1_EviT_T0_PT6_S3_lS6_S3_lS4_PT7_S3_li
                                        ; -- End function
	.set _ZL41rocblas_syrkx_herkx_small_restrict_kernelIi19rocblas_complex_numIdELi16ELb1ELb0ELc78ELc85EKS1_S1_EviT_T0_PT6_S3_lS6_S3_lS4_PT7_S3_li.num_vgpr, 38
	.set _ZL41rocblas_syrkx_herkx_small_restrict_kernelIi19rocblas_complex_numIdELi16ELb1ELb0ELc78ELc85EKS1_S1_EviT_T0_PT6_S3_lS6_S3_lS4_PT7_S3_li.num_agpr, 0
	.set _ZL41rocblas_syrkx_herkx_small_restrict_kernelIi19rocblas_complex_numIdELi16ELb1ELb0ELc78ELc85EKS1_S1_EviT_T0_PT6_S3_lS6_S3_lS4_PT7_S3_li.numbered_sgpr, 24
	.set _ZL41rocblas_syrkx_herkx_small_restrict_kernelIi19rocblas_complex_numIdELi16ELb1ELb0ELc78ELc85EKS1_S1_EviT_T0_PT6_S3_lS6_S3_lS4_PT7_S3_li.num_named_barrier, 0
	.set _ZL41rocblas_syrkx_herkx_small_restrict_kernelIi19rocblas_complex_numIdELi16ELb1ELb0ELc78ELc85EKS1_S1_EviT_T0_PT6_S3_lS6_S3_lS4_PT7_S3_li.private_seg_size, 0
	.set _ZL41rocblas_syrkx_herkx_small_restrict_kernelIi19rocblas_complex_numIdELi16ELb1ELb0ELc78ELc85EKS1_S1_EviT_T0_PT6_S3_lS6_S3_lS4_PT7_S3_li.uses_vcc, 1
	.set _ZL41rocblas_syrkx_herkx_small_restrict_kernelIi19rocblas_complex_numIdELi16ELb1ELb0ELc78ELc85EKS1_S1_EviT_T0_PT6_S3_lS6_S3_lS4_PT7_S3_li.uses_flat_scratch, 0
	.set _ZL41rocblas_syrkx_herkx_small_restrict_kernelIi19rocblas_complex_numIdELi16ELb1ELb0ELc78ELc85EKS1_S1_EviT_T0_PT6_S3_lS6_S3_lS4_PT7_S3_li.has_dyn_sized_stack, 0
	.set _ZL41rocblas_syrkx_herkx_small_restrict_kernelIi19rocblas_complex_numIdELi16ELb1ELb0ELc78ELc85EKS1_S1_EviT_T0_PT6_S3_lS6_S3_lS4_PT7_S3_li.has_recursion, 0
	.set _ZL41rocblas_syrkx_herkx_small_restrict_kernelIi19rocblas_complex_numIdELi16ELb1ELb0ELc78ELc85EKS1_S1_EviT_T0_PT6_S3_lS6_S3_lS4_PT7_S3_li.has_indirect_call, 0
	.section	.AMDGPU.csdata,"",@progbits
; Kernel info:
; codeLenInByte = 1680
; TotalNumSgprs: 28
; NumVgprs: 38
; ScratchSize: 0
; MemoryBound: 0
; FloatMode: 240
; IeeeMode: 1
; LDSByteSize: 8192 bytes/workgroup (compile time only)
; SGPRBlocks: 8
; VGPRBlocks: 9
; NumSGPRsForWavesPerEU: 65
; NumVGPRsForWavesPerEU: 38
; Occupancy: 6
; WaveLimiterHint : 0
; COMPUTE_PGM_RSRC2:SCRATCH_EN: 0
; COMPUTE_PGM_RSRC2:USER_SGPR: 6
; COMPUTE_PGM_RSRC2:TRAP_HANDLER: 0
; COMPUTE_PGM_RSRC2:TGID_X_EN: 1
; COMPUTE_PGM_RSRC2:TGID_Y_EN: 1
; COMPUTE_PGM_RSRC2:TGID_Z_EN: 1
; COMPUTE_PGM_RSRC2:TIDIG_COMP_CNT: 1
	.section	.text._ZL41rocblas_syrkx_herkx_small_restrict_kernelIi19rocblas_complex_numIdELi16ELb0ELb0ELc84ELc76EKS1_S1_EviT_T0_PT6_S3_lS6_S3_lS4_PT7_S3_li,"axG",@progbits,_ZL41rocblas_syrkx_herkx_small_restrict_kernelIi19rocblas_complex_numIdELi16ELb0ELb0ELc84ELc76EKS1_S1_EviT_T0_PT6_S3_lS6_S3_lS4_PT7_S3_li,comdat
	.globl	_ZL41rocblas_syrkx_herkx_small_restrict_kernelIi19rocblas_complex_numIdELi16ELb0ELb0ELc84ELc76EKS1_S1_EviT_T0_PT6_S3_lS6_S3_lS4_PT7_S3_li ; -- Begin function _ZL41rocblas_syrkx_herkx_small_restrict_kernelIi19rocblas_complex_numIdELi16ELb0ELb0ELc84ELc76EKS1_S1_EviT_T0_PT6_S3_lS6_S3_lS4_PT7_S3_li
	.p2align	8
	.type	_ZL41rocblas_syrkx_herkx_small_restrict_kernelIi19rocblas_complex_numIdELi16ELb0ELb0ELc84ELc76EKS1_S1_EviT_T0_PT6_S3_lS6_S3_lS4_PT7_S3_li,@function
_ZL41rocblas_syrkx_herkx_small_restrict_kernelIi19rocblas_complex_numIdELi16ELb0ELb0ELc84ELc76EKS1_S1_EviT_T0_PT6_S3_lS6_S3_lS4_PT7_S3_li: ; @_ZL41rocblas_syrkx_herkx_small_restrict_kernelIi19rocblas_complex_numIdELi16ELb0ELb0ELc84ELc76EKS1_S1_EviT_T0_PT6_S3_lS6_S3_lS4_PT7_S3_li
; %bb.0:
	s_load_dword s9, s[4:5], 0x4
	s_load_dwordx4 s[0:3], s[4:5], 0x8
	s_load_dwordx2 s[10:11], s[4:5], 0x18
	s_load_dwordx8 s[12:19], s[4:5], 0x40
	s_mov_b32 s20, 0
	v_lshl_add_u32 v2, s6, 4, v0
	s_waitcnt lgkmcnt(0)
	s_cmp_lt_i32 s9, 1
	v_lshl_add_u32 v9, s7, 4, v1
	s_cbranch_scc1 .LBB275_6
; %bb.1:
	s_load_dword s21, s[4:5], 0x20
	s_load_dword s6, s[4:5], 0x38
	s_load_dwordx4 s[24:27], s[4:5], 0x28
	v_lshlrev_b32_e32 v5, 8, v1
	v_lshlrev_b32_e32 v10, 4, v0
	v_add_u32_e32 v11, v10, v5
	s_waitcnt lgkmcnt(0)
	v_mad_i64_i32 v[3:4], s[6:7], s6, v9, 0
	s_mul_i32 s6, s13, s8
	s_mul_hi_u32 s7, s12, s8
	v_lshlrev_b64 v[3:4], 4, v[3:4]
	s_add_i32 s7, s7, s6
	s_mul_i32 s6, s12, s8
	s_lshl_b64 s[6:7], s[6:7], 4
	v_add_u32_e32 v12, 0x1000, v5
	v_mov_b32_e32 v0, s7
	v_add_co_u32_e32 v3, vcc, s6, v3
	v_mad_i64_i32 v[5:6], s[6:7], s21, v2, 0
	v_addc_co_u32_e32 v0, vcc, v4, v0, vcc
	v_add_co_u32_e32 v3, vcc, v3, v10
	v_addc_co_u32_e32 v0, vcc, 0, v0, vcc
	s_mul_i32 s6, s25, s8
	s_mul_hi_u32 s7, s24, s8
	v_mov_b32_e32 v4, s27
	v_add_co_u32_e32 v3, vcc, s26, v3
	v_lshlrev_b64 v[5:6], 4, v[5:6]
	s_add_i32 s7, s7, s6
	s_mul_i32 s6, s24, s8
	v_addc_co_u32_e32 v4, vcc, v4, v0, vcc
	s_lshl_b64 s[6:7], s[6:7], 4
	v_mov_b32_e32 v0, s7
	v_add_co_u32_e32 v5, vcc, s6, v5
	v_addc_co_u32_e32 v0, vcc, v6, v0, vcc
	v_lshlrev_b32_e32 v1, 4, v1
	v_add_co_u32_e32 v1, vcc, v5, v1
	v_addc_co_u32_e32 v14, vcc, 0, v0, vcc
	v_mov_b32_e32 v15, s11
	v_mov_b32_e32 v7, 0
	;; [unrolled: 1-line block ×3, first 2 shown]
	v_add_co_u32_e32 v0, vcc, s10, v1
	v_add_u32_e32 v13, v12, v10
	v_mov_b32_e32 v8, 0
	v_mov_b32_e32 v6, 0
	v_addc_co_u32_e32 v1, vcc, v15, v14, vcc
.LBB275_2:                              ; =>This Inner Loop Header: Depth=1
	global_load_dwordx4 v[14:17], v[0:1], off
	s_add_i32 s20, s20, 16
	s_cmp_lt_i32 s20, s9
	s_waitcnt vmcnt(0)
	ds_write2_b64 v11, v[14:15], v[16:17] offset1:1
	global_load_dwordx4 v[14:17], v[3:4], off
	v_add_co_u32_e32 v3, vcc, 0x100, v3
	v_addc_co_u32_e32 v4, vcc, 0, v4, vcc
	v_add_co_u32_e32 v0, vcc, 0x100, v0
	v_addc_co_u32_e32 v1, vcc, 0, v1, vcc
	s_waitcnt vmcnt(0)
	ds_write2_b64 v13, v[14:15], v[16:17] offset1:1
	s_waitcnt lgkmcnt(0)
	s_barrier
	ds_read_b128 v[14:17], v12
	ds_read_b128 v[18:21], v12 offset:16
	ds_read_b128 v[22:25], v12 offset:32
	;; [unrolled: 1-line block ×3, first 2 shown]
	ds_read_b128 v[30:33], v10
	s_waitcnt lgkmcnt(0)
	v_mul_f64 v[34:35], v[16:17], v[32:33]
	v_fma_f64 v[34:35], v[14:15], v[30:31], -v[34:35]
	v_mul_f64 v[14:15], v[14:15], v[32:33]
	v_fma_f64 v[14:15], v[16:17], v[30:31], v[14:15]
	v_add_f64 v[16:17], v[5:6], v[34:35]
	v_add_f64 v[14:15], v[7:8], v[14:15]
	ds_read_b128 v[5:8], v10 offset:256
	s_waitcnt lgkmcnt(0)
	v_mul_f64 v[30:31], v[20:21], v[7:8]
	v_mul_f64 v[7:8], v[18:19], v[7:8]
	v_fma_f64 v[30:31], v[18:19], v[5:6], -v[30:31]
	v_fma_f64 v[5:6], v[20:21], v[5:6], v[7:8]
	v_add_f64 v[16:17], v[16:17], v[30:31]
	v_add_f64 v[14:15], v[14:15], v[5:6]
	ds_read_b128 v[5:8], v10 offset:512
	s_waitcnt lgkmcnt(0)
	v_mul_f64 v[18:19], v[24:25], v[7:8]
	v_mul_f64 v[7:8], v[22:23], v[7:8]
	v_fma_f64 v[18:19], v[22:23], v[5:6], -v[18:19]
	;; [unrolled: 8-line block ×3, first 2 shown]
	v_fma_f64 v[5:6], v[28:29], v[5:6], v[7:8]
	v_add_f64 v[18:19], v[16:17], v[18:19]
	v_add_f64 v[20:21], v[14:15], v[5:6]
	ds_read_b128 v[5:8], v12 offset:64
	ds_read_b128 v[14:17], v10 offset:1024
	s_waitcnt lgkmcnt(0)
	v_mul_f64 v[22:23], v[7:8], v[16:17]
	v_fma_f64 v[22:23], v[5:6], v[14:15], -v[22:23]
	v_mul_f64 v[5:6], v[5:6], v[16:17]
	v_add_f64 v[18:19], v[18:19], v[22:23]
	v_fma_f64 v[5:6], v[7:8], v[14:15], v[5:6]
	v_add_f64 v[20:21], v[20:21], v[5:6]
	ds_read_b128 v[5:8], v12 offset:80
	ds_read_b128 v[14:17], v10 offset:1280
	s_waitcnt lgkmcnt(0)
	v_mul_f64 v[22:23], v[7:8], v[16:17]
	v_fma_f64 v[22:23], v[5:6], v[14:15], -v[22:23]
	v_mul_f64 v[5:6], v[5:6], v[16:17]
	v_add_f64 v[18:19], v[18:19], v[22:23]
	v_fma_f64 v[5:6], v[7:8], v[14:15], v[5:6]
	;; [unrolled: 9-line block ×11, first 2 shown]
	v_add_f64 v[20:21], v[20:21], v[5:6]
	ds_read_b128 v[5:8], v12 offset:240
	ds_read_b128 v[14:17], v10 offset:3840
	s_waitcnt lgkmcnt(0)
	s_barrier
	v_mul_f64 v[22:23], v[7:8], v[16:17]
	v_fma_f64 v[22:23], v[5:6], v[14:15], -v[22:23]
	v_mul_f64 v[5:6], v[5:6], v[16:17]
	v_fma_f64 v[7:8], v[7:8], v[14:15], v[5:6]
	v_add_f64 v[5:6], v[18:19], v[22:23]
	v_add_f64 v[7:8], v[20:21], v[7:8]
	s_cbranch_scc1 .LBB275_2
; %bb.3:
	v_cmp_le_i32_e32 vcc, v9, v2
	s_and_saveexec_b64 s[6:7], vcc
	s_cbranch_execz .LBB275_5
.LBB275_4:
	s_load_dwordx2 s[6:7], s[4:5], 0x68
	s_load_dword s9, s[4:5], 0x60
	v_ashrrev_i32_e32 v3, 31, v2
	v_mul_f64 v[11:12], s[2:3], v[7:8]
	v_mul_f64 v[7:8], s[0:1], v[7:8]
	s_waitcnt lgkmcnt(0)
	s_mul_i32 s5, s7, s8
	s_mul_hi_u32 s7, s6, s8
	s_mul_i32 s4, s6, s8
	s_add_i32 s5, s7, s5
	v_mad_i64_i32 v[0:1], s[6:7], s9, v9, 0
	s_lshl_b64 s[4:5], s[4:5], 4
	s_add_u32 s4, s18, s4
	v_lshlrev_b64 v[0:1], 4, v[0:1]
	s_addc_u32 s5, s19, s5
	v_mov_b32_e32 v4, s5
	v_add_co_u32_e32 v9, vcc, s4, v0
	v_addc_co_u32_e32 v4, vcc, v4, v1, vcc
	v_lshlrev_b64 v[0:1], 4, v[2:3]
	v_fma_f64 v[11:12], s[0:1], v[5:6], -v[11:12]
	v_add_co_u32_e32 v9, vcc, v9, v0
	v_addc_co_u32_e32 v10, vcc, v4, v1, vcc
	global_load_dwordx4 v[0:3], v[9:10], off
	v_fma_f64 v[4:5], s[2:3], v[5:6], v[7:8]
	s_waitcnt vmcnt(0)
	v_mul_f64 v[13:14], s[16:17], v[2:3]
	v_mul_f64 v[2:3], s[14:15], v[2:3]
	v_fma_f64 v[6:7], s[14:15], v[0:1], -v[13:14]
	v_fma_f64 v[2:3], s[16:17], v[0:1], v[2:3]
	v_add_f64 v[0:1], v[11:12], v[6:7]
	v_add_f64 v[2:3], v[4:5], v[2:3]
	global_store_dwordx4 v[9:10], v[0:3], off
.LBB275_5:
	s_endpgm
.LBB275_6:
	v_mov_b32_e32 v7, 0
	v_mov_b32_e32 v5, 0
	;; [unrolled: 1-line block ×4, first 2 shown]
	v_cmp_le_i32_e32 vcc, v9, v2
	s_and_saveexec_b64 s[6:7], vcc
	s_cbranch_execnz .LBB275_4
	s_branch .LBB275_5
	.section	.rodata,"a",@progbits
	.p2align	6, 0x0
	.amdhsa_kernel _ZL41rocblas_syrkx_herkx_small_restrict_kernelIi19rocblas_complex_numIdELi16ELb0ELb0ELc84ELc76EKS1_S1_EviT_T0_PT6_S3_lS6_S3_lS4_PT7_S3_li
		.amdhsa_group_segment_fixed_size 8192
		.amdhsa_private_segment_fixed_size 0
		.amdhsa_kernarg_size 116
		.amdhsa_user_sgpr_count 6
		.amdhsa_user_sgpr_private_segment_buffer 1
		.amdhsa_user_sgpr_dispatch_ptr 0
		.amdhsa_user_sgpr_queue_ptr 0
		.amdhsa_user_sgpr_kernarg_segment_ptr 1
		.amdhsa_user_sgpr_dispatch_id 0
		.amdhsa_user_sgpr_flat_scratch_init 0
		.amdhsa_user_sgpr_private_segment_size 0
		.amdhsa_uses_dynamic_stack 0
		.amdhsa_system_sgpr_private_segment_wavefront_offset 0
		.amdhsa_system_sgpr_workgroup_id_x 1
		.amdhsa_system_sgpr_workgroup_id_y 1
		.amdhsa_system_sgpr_workgroup_id_z 1
		.amdhsa_system_sgpr_workgroup_info 0
		.amdhsa_system_vgpr_workitem_id 1
		.amdhsa_next_free_vgpr 36
		.amdhsa_next_free_sgpr 61
		.amdhsa_reserve_vcc 1
		.amdhsa_reserve_flat_scratch 0
		.amdhsa_float_round_mode_32 0
		.amdhsa_float_round_mode_16_64 0
		.amdhsa_float_denorm_mode_32 3
		.amdhsa_float_denorm_mode_16_64 3
		.amdhsa_dx10_clamp 1
		.amdhsa_ieee_mode 1
		.amdhsa_fp16_overflow 0
		.amdhsa_exception_fp_ieee_invalid_op 0
		.amdhsa_exception_fp_denorm_src 0
		.amdhsa_exception_fp_ieee_div_zero 0
		.amdhsa_exception_fp_ieee_overflow 0
		.amdhsa_exception_fp_ieee_underflow 0
		.amdhsa_exception_fp_ieee_inexact 0
		.amdhsa_exception_int_div_zero 0
	.end_amdhsa_kernel
	.section	.text._ZL41rocblas_syrkx_herkx_small_restrict_kernelIi19rocblas_complex_numIdELi16ELb0ELb0ELc84ELc76EKS1_S1_EviT_T0_PT6_S3_lS6_S3_lS4_PT7_S3_li,"axG",@progbits,_ZL41rocblas_syrkx_herkx_small_restrict_kernelIi19rocblas_complex_numIdELi16ELb0ELb0ELc84ELc76EKS1_S1_EviT_T0_PT6_S3_lS6_S3_lS4_PT7_S3_li,comdat
.Lfunc_end275:
	.size	_ZL41rocblas_syrkx_herkx_small_restrict_kernelIi19rocblas_complex_numIdELi16ELb0ELb0ELc84ELc76EKS1_S1_EviT_T0_PT6_S3_lS6_S3_lS4_PT7_S3_li, .Lfunc_end275-_ZL41rocblas_syrkx_herkx_small_restrict_kernelIi19rocblas_complex_numIdELi16ELb0ELb0ELc84ELc76EKS1_S1_EviT_T0_PT6_S3_lS6_S3_lS4_PT7_S3_li
                                        ; -- End function
	.set _ZL41rocblas_syrkx_herkx_small_restrict_kernelIi19rocblas_complex_numIdELi16ELb0ELb0ELc84ELc76EKS1_S1_EviT_T0_PT6_S3_lS6_S3_lS4_PT7_S3_li.num_vgpr, 36
	.set _ZL41rocblas_syrkx_herkx_small_restrict_kernelIi19rocblas_complex_numIdELi16ELb0ELb0ELc84ELc76EKS1_S1_EviT_T0_PT6_S3_lS6_S3_lS4_PT7_S3_li.num_agpr, 0
	.set _ZL41rocblas_syrkx_herkx_small_restrict_kernelIi19rocblas_complex_numIdELi16ELb0ELb0ELc84ELc76EKS1_S1_EviT_T0_PT6_S3_lS6_S3_lS4_PT7_S3_li.numbered_sgpr, 28
	.set _ZL41rocblas_syrkx_herkx_small_restrict_kernelIi19rocblas_complex_numIdELi16ELb0ELb0ELc84ELc76EKS1_S1_EviT_T0_PT6_S3_lS6_S3_lS4_PT7_S3_li.num_named_barrier, 0
	.set _ZL41rocblas_syrkx_herkx_small_restrict_kernelIi19rocblas_complex_numIdELi16ELb0ELb0ELc84ELc76EKS1_S1_EviT_T0_PT6_S3_lS6_S3_lS4_PT7_S3_li.private_seg_size, 0
	.set _ZL41rocblas_syrkx_herkx_small_restrict_kernelIi19rocblas_complex_numIdELi16ELb0ELb0ELc84ELc76EKS1_S1_EviT_T0_PT6_S3_lS6_S3_lS4_PT7_S3_li.uses_vcc, 1
	.set _ZL41rocblas_syrkx_herkx_small_restrict_kernelIi19rocblas_complex_numIdELi16ELb0ELb0ELc84ELc76EKS1_S1_EviT_T0_PT6_S3_lS6_S3_lS4_PT7_S3_li.uses_flat_scratch, 0
	.set _ZL41rocblas_syrkx_herkx_small_restrict_kernelIi19rocblas_complex_numIdELi16ELb0ELb0ELc84ELc76EKS1_S1_EviT_T0_PT6_S3_lS6_S3_lS4_PT7_S3_li.has_dyn_sized_stack, 0
	.set _ZL41rocblas_syrkx_herkx_small_restrict_kernelIi19rocblas_complex_numIdELi16ELb0ELb0ELc84ELc76EKS1_S1_EviT_T0_PT6_S3_lS6_S3_lS4_PT7_S3_li.has_recursion, 0
	.set _ZL41rocblas_syrkx_herkx_small_restrict_kernelIi19rocblas_complex_numIdELi16ELb0ELb0ELc84ELc76EKS1_S1_EviT_T0_PT6_S3_lS6_S3_lS4_PT7_S3_li.has_indirect_call, 0
	.section	.AMDGPU.csdata,"",@progbits
; Kernel info:
; codeLenInByte = 1692
; TotalNumSgprs: 32
; NumVgprs: 36
; ScratchSize: 0
; MemoryBound: 0
; FloatMode: 240
; IeeeMode: 1
; LDSByteSize: 8192 bytes/workgroup (compile time only)
; SGPRBlocks: 8
; VGPRBlocks: 8
; NumSGPRsForWavesPerEU: 65
; NumVGPRsForWavesPerEU: 36
; Occupancy: 7
; WaveLimiterHint : 0
; COMPUTE_PGM_RSRC2:SCRATCH_EN: 0
; COMPUTE_PGM_RSRC2:USER_SGPR: 6
; COMPUTE_PGM_RSRC2:TRAP_HANDLER: 0
; COMPUTE_PGM_RSRC2:TGID_X_EN: 1
; COMPUTE_PGM_RSRC2:TGID_Y_EN: 1
; COMPUTE_PGM_RSRC2:TGID_Z_EN: 1
; COMPUTE_PGM_RSRC2:TIDIG_COMP_CNT: 1
	.section	.text._ZL41rocblas_syrkx_herkx_small_restrict_kernelIi19rocblas_complex_numIdELi16ELb0ELb0ELc67ELc76EKS1_S1_EviT_T0_PT6_S3_lS6_S3_lS4_PT7_S3_li,"axG",@progbits,_ZL41rocblas_syrkx_herkx_small_restrict_kernelIi19rocblas_complex_numIdELi16ELb0ELb0ELc67ELc76EKS1_S1_EviT_T0_PT6_S3_lS6_S3_lS4_PT7_S3_li,comdat
	.globl	_ZL41rocblas_syrkx_herkx_small_restrict_kernelIi19rocblas_complex_numIdELi16ELb0ELb0ELc67ELc76EKS1_S1_EviT_T0_PT6_S3_lS6_S3_lS4_PT7_S3_li ; -- Begin function _ZL41rocblas_syrkx_herkx_small_restrict_kernelIi19rocblas_complex_numIdELi16ELb0ELb0ELc67ELc76EKS1_S1_EviT_T0_PT6_S3_lS6_S3_lS4_PT7_S3_li
	.p2align	8
	.type	_ZL41rocblas_syrkx_herkx_small_restrict_kernelIi19rocblas_complex_numIdELi16ELb0ELb0ELc67ELc76EKS1_S1_EviT_T0_PT6_S3_lS6_S3_lS4_PT7_S3_li,@function
_ZL41rocblas_syrkx_herkx_small_restrict_kernelIi19rocblas_complex_numIdELi16ELb0ELb0ELc67ELc76EKS1_S1_EviT_T0_PT6_S3_lS6_S3_lS4_PT7_S3_li: ; @_ZL41rocblas_syrkx_herkx_small_restrict_kernelIi19rocblas_complex_numIdELi16ELb0ELb0ELc67ELc76EKS1_S1_EviT_T0_PT6_S3_lS6_S3_lS4_PT7_S3_li
; %bb.0:
	s_load_dword s9, s[4:5], 0x4
	s_load_dwordx4 s[0:3], s[4:5], 0x8
	s_load_dwordx2 s[10:11], s[4:5], 0x18
	s_load_dwordx8 s[12:19], s[4:5], 0x40
	s_mov_b32 s20, 0
	v_lshl_add_u32 v2, s6, 4, v0
	s_waitcnt lgkmcnt(0)
	s_cmp_lt_i32 s9, 1
	v_lshl_add_u32 v9, s7, 4, v1
	s_cbranch_scc1 .LBB276_6
; %bb.1:
	s_load_dword s21, s[4:5], 0x20
	s_load_dword s6, s[4:5], 0x38
	s_load_dwordx4 s[24:27], s[4:5], 0x28
	v_lshlrev_b32_e32 v5, 8, v1
	v_lshlrev_b32_e32 v10, 4, v0
	v_add_u32_e32 v11, v10, v5
	s_waitcnt lgkmcnt(0)
	v_mad_i64_i32 v[3:4], s[6:7], s6, v9, 0
	s_mul_i32 s6, s13, s8
	s_mul_hi_u32 s7, s12, s8
	v_lshlrev_b64 v[3:4], 4, v[3:4]
	s_add_i32 s7, s7, s6
	s_mul_i32 s6, s12, s8
	s_lshl_b64 s[6:7], s[6:7], 4
	v_add_u32_e32 v12, 0x1000, v5
	v_mov_b32_e32 v0, s7
	v_add_co_u32_e32 v3, vcc, s6, v3
	v_mad_i64_i32 v[5:6], s[6:7], s21, v2, 0
	v_addc_co_u32_e32 v0, vcc, v4, v0, vcc
	v_add_co_u32_e32 v3, vcc, v3, v10
	v_addc_co_u32_e32 v0, vcc, 0, v0, vcc
	s_mul_i32 s6, s25, s8
	s_mul_hi_u32 s7, s24, s8
	v_mov_b32_e32 v4, s27
	v_add_co_u32_e32 v3, vcc, s26, v3
	v_lshlrev_b64 v[5:6], 4, v[5:6]
	s_add_i32 s7, s7, s6
	s_mul_i32 s6, s24, s8
	v_addc_co_u32_e32 v4, vcc, v4, v0, vcc
	s_lshl_b64 s[6:7], s[6:7], 4
	v_mov_b32_e32 v0, s7
	v_add_co_u32_e32 v5, vcc, s6, v5
	v_addc_co_u32_e32 v0, vcc, v6, v0, vcc
	v_lshlrev_b32_e32 v1, 4, v1
	v_add_co_u32_e32 v1, vcc, v5, v1
	v_addc_co_u32_e32 v0, vcc, 0, v0, vcc
	v_mov_b32_e32 v5, s11
	v_add_co_u32_e32 v1, vcc, s10, v1
	v_addc_co_u32_e32 v14, vcc, v5, v0, vcc
	v_mov_b32_e32 v7, 0
	v_mov_b32_e32 v5, 0
	v_add_co_u32_e32 v0, vcc, 8, v1
	v_add_u32_e32 v13, v12, v10
	v_mov_b32_e32 v8, 0
	v_mov_b32_e32 v6, 0
	v_addc_co_u32_e32 v1, vcc, 0, v14, vcc
.LBB276_2:                              ; =>This Inner Loop Header: Depth=1
	global_load_dwordx4 v[14:17], v[0:1], off offset:-8
	s_add_i32 s20, s20, 16
	s_cmp_lt_i32 s20, s9
	s_waitcnt vmcnt(0)
	ds_write_b128 v11, v[14:17]
	global_load_dwordx4 v[14:17], v[3:4], off
	v_add_co_u32_e32 v3, vcc, 0x100, v3
	v_addc_co_u32_e32 v4, vcc, 0, v4, vcc
	v_add_co_u32_e32 v0, vcc, 0x100, v0
	v_addc_co_u32_e32 v1, vcc, 0, v1, vcc
	s_waitcnt vmcnt(0)
	ds_write2_b64 v13, v[14:15], v[16:17] offset1:1
	s_waitcnt lgkmcnt(0)
	s_barrier
	ds_read_b128 v[14:17], v12
	ds_read_b128 v[18:21], v12 offset:16
	ds_read_b128 v[22:25], v12 offset:32
	;; [unrolled: 1-line block ×3, first 2 shown]
	ds_read_b128 v[30:33], v10
	s_waitcnt lgkmcnt(0)
	v_mul_f64 v[34:35], v[16:17], v[32:33]
	v_fma_f64 v[34:35], v[14:15], v[30:31], -v[34:35]
	v_mul_f64 v[14:15], v[14:15], v[32:33]
	v_fma_f64 v[14:15], v[16:17], v[30:31], v[14:15]
	v_add_f64 v[16:17], v[5:6], v[34:35]
	v_add_f64 v[14:15], v[7:8], v[14:15]
	ds_read_b128 v[5:8], v10 offset:256
	s_waitcnt lgkmcnt(0)
	v_mul_f64 v[30:31], v[20:21], v[7:8]
	v_mul_f64 v[7:8], v[18:19], v[7:8]
	v_fma_f64 v[30:31], v[18:19], v[5:6], -v[30:31]
	v_fma_f64 v[5:6], v[20:21], v[5:6], v[7:8]
	v_add_f64 v[16:17], v[16:17], v[30:31]
	v_add_f64 v[14:15], v[14:15], v[5:6]
	ds_read_b128 v[5:8], v10 offset:512
	s_waitcnt lgkmcnt(0)
	v_mul_f64 v[18:19], v[24:25], v[7:8]
	v_mul_f64 v[7:8], v[22:23], v[7:8]
	v_fma_f64 v[18:19], v[22:23], v[5:6], -v[18:19]
	;; [unrolled: 8-line block ×3, first 2 shown]
	v_fma_f64 v[5:6], v[28:29], v[5:6], v[7:8]
	v_add_f64 v[18:19], v[16:17], v[18:19]
	v_add_f64 v[20:21], v[14:15], v[5:6]
	ds_read_b128 v[5:8], v12 offset:64
	ds_read_b128 v[14:17], v10 offset:1024
	s_waitcnt lgkmcnt(0)
	v_mul_f64 v[22:23], v[7:8], v[16:17]
	v_fma_f64 v[22:23], v[5:6], v[14:15], -v[22:23]
	v_mul_f64 v[5:6], v[5:6], v[16:17]
	v_add_f64 v[18:19], v[18:19], v[22:23]
	v_fma_f64 v[5:6], v[7:8], v[14:15], v[5:6]
	v_add_f64 v[20:21], v[20:21], v[5:6]
	ds_read_b128 v[5:8], v12 offset:80
	ds_read_b128 v[14:17], v10 offset:1280
	s_waitcnt lgkmcnt(0)
	v_mul_f64 v[22:23], v[7:8], v[16:17]
	v_fma_f64 v[22:23], v[5:6], v[14:15], -v[22:23]
	v_mul_f64 v[5:6], v[5:6], v[16:17]
	v_add_f64 v[18:19], v[18:19], v[22:23]
	v_fma_f64 v[5:6], v[7:8], v[14:15], v[5:6]
	;; [unrolled: 9-line block ×11, first 2 shown]
	v_add_f64 v[20:21], v[20:21], v[5:6]
	ds_read_b128 v[5:8], v12 offset:240
	ds_read_b128 v[14:17], v10 offset:3840
	s_waitcnt lgkmcnt(0)
	s_barrier
	v_mul_f64 v[22:23], v[7:8], v[16:17]
	v_fma_f64 v[22:23], v[5:6], v[14:15], -v[22:23]
	v_mul_f64 v[5:6], v[5:6], v[16:17]
	v_fma_f64 v[7:8], v[7:8], v[14:15], v[5:6]
	v_add_f64 v[5:6], v[18:19], v[22:23]
	v_add_f64 v[7:8], v[20:21], v[7:8]
	s_cbranch_scc1 .LBB276_2
; %bb.3:
	v_cmp_le_i32_e32 vcc, v9, v2
	s_and_saveexec_b64 s[6:7], vcc
	s_cbranch_execz .LBB276_5
.LBB276_4:
	s_load_dwordx2 s[6:7], s[4:5], 0x68
	s_load_dword s9, s[4:5], 0x60
	v_ashrrev_i32_e32 v3, 31, v2
	v_mul_f64 v[11:12], s[2:3], v[7:8]
	v_mul_f64 v[7:8], s[0:1], v[7:8]
	s_waitcnt lgkmcnt(0)
	s_mul_i32 s5, s7, s8
	s_mul_hi_u32 s7, s6, s8
	s_mul_i32 s4, s6, s8
	s_add_i32 s5, s7, s5
	v_mad_i64_i32 v[0:1], s[6:7], s9, v9, 0
	s_lshl_b64 s[4:5], s[4:5], 4
	s_add_u32 s4, s18, s4
	v_lshlrev_b64 v[0:1], 4, v[0:1]
	s_addc_u32 s5, s19, s5
	v_mov_b32_e32 v4, s5
	v_add_co_u32_e32 v9, vcc, s4, v0
	v_addc_co_u32_e32 v4, vcc, v4, v1, vcc
	v_lshlrev_b64 v[0:1], 4, v[2:3]
	v_fma_f64 v[11:12], s[0:1], v[5:6], -v[11:12]
	v_add_co_u32_e32 v9, vcc, v9, v0
	v_addc_co_u32_e32 v10, vcc, v4, v1, vcc
	global_load_dwordx4 v[0:3], v[9:10], off
	v_fma_f64 v[4:5], s[2:3], v[5:6], v[7:8]
	s_waitcnt vmcnt(0)
	v_mul_f64 v[13:14], s[16:17], v[2:3]
	v_mul_f64 v[2:3], s[14:15], v[2:3]
	v_fma_f64 v[6:7], s[14:15], v[0:1], -v[13:14]
	v_fma_f64 v[2:3], s[16:17], v[0:1], v[2:3]
	v_add_f64 v[0:1], v[11:12], v[6:7]
	v_add_f64 v[2:3], v[4:5], v[2:3]
	global_store_dwordx4 v[9:10], v[0:3], off
.LBB276_5:
	s_endpgm
.LBB276_6:
	v_mov_b32_e32 v7, 0
	v_mov_b32_e32 v5, 0
	v_mov_b32_e32 v8, 0
	v_mov_b32_e32 v6, 0
	v_cmp_le_i32_e32 vcc, v9, v2
	s_and_saveexec_b64 s[6:7], vcc
	s_cbranch_execnz .LBB276_4
	s_branch .LBB276_5
	.section	.rodata,"a",@progbits
	.p2align	6, 0x0
	.amdhsa_kernel _ZL41rocblas_syrkx_herkx_small_restrict_kernelIi19rocblas_complex_numIdELi16ELb0ELb0ELc67ELc76EKS1_S1_EviT_T0_PT6_S3_lS6_S3_lS4_PT7_S3_li
		.amdhsa_group_segment_fixed_size 8192
		.amdhsa_private_segment_fixed_size 0
		.amdhsa_kernarg_size 116
		.amdhsa_user_sgpr_count 6
		.amdhsa_user_sgpr_private_segment_buffer 1
		.amdhsa_user_sgpr_dispatch_ptr 0
		.amdhsa_user_sgpr_queue_ptr 0
		.amdhsa_user_sgpr_kernarg_segment_ptr 1
		.amdhsa_user_sgpr_dispatch_id 0
		.amdhsa_user_sgpr_flat_scratch_init 0
		.amdhsa_user_sgpr_private_segment_size 0
		.amdhsa_uses_dynamic_stack 0
		.amdhsa_system_sgpr_private_segment_wavefront_offset 0
		.amdhsa_system_sgpr_workgroup_id_x 1
		.amdhsa_system_sgpr_workgroup_id_y 1
		.amdhsa_system_sgpr_workgroup_id_z 1
		.amdhsa_system_sgpr_workgroup_info 0
		.amdhsa_system_vgpr_workitem_id 1
		.amdhsa_next_free_vgpr 36
		.amdhsa_next_free_sgpr 61
		.amdhsa_reserve_vcc 1
		.amdhsa_reserve_flat_scratch 0
		.amdhsa_float_round_mode_32 0
		.amdhsa_float_round_mode_16_64 0
		.amdhsa_float_denorm_mode_32 3
		.amdhsa_float_denorm_mode_16_64 3
		.amdhsa_dx10_clamp 1
		.amdhsa_ieee_mode 1
		.amdhsa_fp16_overflow 0
		.amdhsa_exception_fp_ieee_invalid_op 0
		.amdhsa_exception_fp_denorm_src 0
		.amdhsa_exception_fp_ieee_div_zero 0
		.amdhsa_exception_fp_ieee_overflow 0
		.amdhsa_exception_fp_ieee_underflow 0
		.amdhsa_exception_fp_ieee_inexact 0
		.amdhsa_exception_int_div_zero 0
	.end_amdhsa_kernel
	.section	.text._ZL41rocblas_syrkx_herkx_small_restrict_kernelIi19rocblas_complex_numIdELi16ELb0ELb0ELc67ELc76EKS1_S1_EviT_T0_PT6_S3_lS6_S3_lS4_PT7_S3_li,"axG",@progbits,_ZL41rocblas_syrkx_herkx_small_restrict_kernelIi19rocblas_complex_numIdELi16ELb0ELb0ELc67ELc76EKS1_S1_EviT_T0_PT6_S3_lS6_S3_lS4_PT7_S3_li,comdat
.Lfunc_end276:
	.size	_ZL41rocblas_syrkx_herkx_small_restrict_kernelIi19rocblas_complex_numIdELi16ELb0ELb0ELc67ELc76EKS1_S1_EviT_T0_PT6_S3_lS6_S3_lS4_PT7_S3_li, .Lfunc_end276-_ZL41rocblas_syrkx_herkx_small_restrict_kernelIi19rocblas_complex_numIdELi16ELb0ELb0ELc67ELc76EKS1_S1_EviT_T0_PT6_S3_lS6_S3_lS4_PT7_S3_li
                                        ; -- End function
	.set _ZL41rocblas_syrkx_herkx_small_restrict_kernelIi19rocblas_complex_numIdELi16ELb0ELb0ELc67ELc76EKS1_S1_EviT_T0_PT6_S3_lS6_S3_lS4_PT7_S3_li.num_vgpr, 36
	.set _ZL41rocblas_syrkx_herkx_small_restrict_kernelIi19rocblas_complex_numIdELi16ELb0ELb0ELc67ELc76EKS1_S1_EviT_T0_PT6_S3_lS6_S3_lS4_PT7_S3_li.num_agpr, 0
	.set _ZL41rocblas_syrkx_herkx_small_restrict_kernelIi19rocblas_complex_numIdELi16ELb0ELb0ELc67ELc76EKS1_S1_EviT_T0_PT6_S3_lS6_S3_lS4_PT7_S3_li.numbered_sgpr, 28
	.set _ZL41rocblas_syrkx_herkx_small_restrict_kernelIi19rocblas_complex_numIdELi16ELb0ELb0ELc67ELc76EKS1_S1_EviT_T0_PT6_S3_lS6_S3_lS4_PT7_S3_li.num_named_barrier, 0
	.set _ZL41rocblas_syrkx_herkx_small_restrict_kernelIi19rocblas_complex_numIdELi16ELb0ELb0ELc67ELc76EKS1_S1_EviT_T0_PT6_S3_lS6_S3_lS4_PT7_S3_li.private_seg_size, 0
	.set _ZL41rocblas_syrkx_herkx_small_restrict_kernelIi19rocblas_complex_numIdELi16ELb0ELb0ELc67ELc76EKS1_S1_EviT_T0_PT6_S3_lS6_S3_lS4_PT7_S3_li.uses_vcc, 1
	.set _ZL41rocblas_syrkx_herkx_small_restrict_kernelIi19rocblas_complex_numIdELi16ELb0ELb0ELc67ELc76EKS1_S1_EviT_T0_PT6_S3_lS6_S3_lS4_PT7_S3_li.uses_flat_scratch, 0
	.set _ZL41rocblas_syrkx_herkx_small_restrict_kernelIi19rocblas_complex_numIdELi16ELb0ELb0ELc67ELc76EKS1_S1_EviT_T0_PT6_S3_lS6_S3_lS4_PT7_S3_li.has_dyn_sized_stack, 0
	.set _ZL41rocblas_syrkx_herkx_small_restrict_kernelIi19rocblas_complex_numIdELi16ELb0ELb0ELc67ELc76EKS1_S1_EviT_T0_PT6_S3_lS6_S3_lS4_PT7_S3_li.has_recursion, 0
	.set _ZL41rocblas_syrkx_herkx_small_restrict_kernelIi19rocblas_complex_numIdELi16ELb0ELb0ELc67ELc76EKS1_S1_EviT_T0_PT6_S3_lS6_S3_lS4_PT7_S3_li.has_indirect_call, 0
	.section	.AMDGPU.csdata,"",@progbits
; Kernel info:
; codeLenInByte = 1700
; TotalNumSgprs: 32
; NumVgprs: 36
; ScratchSize: 0
; MemoryBound: 0
; FloatMode: 240
; IeeeMode: 1
; LDSByteSize: 8192 bytes/workgroup (compile time only)
; SGPRBlocks: 8
; VGPRBlocks: 8
; NumSGPRsForWavesPerEU: 65
; NumVGPRsForWavesPerEU: 36
; Occupancy: 7
; WaveLimiterHint : 0
; COMPUTE_PGM_RSRC2:SCRATCH_EN: 0
; COMPUTE_PGM_RSRC2:USER_SGPR: 6
; COMPUTE_PGM_RSRC2:TRAP_HANDLER: 0
; COMPUTE_PGM_RSRC2:TGID_X_EN: 1
; COMPUTE_PGM_RSRC2:TGID_Y_EN: 1
; COMPUTE_PGM_RSRC2:TGID_Z_EN: 1
; COMPUTE_PGM_RSRC2:TIDIG_COMP_CNT: 1
	.section	.text._ZL41rocblas_syrkx_herkx_small_restrict_kernelIi19rocblas_complex_numIdELi16ELb0ELb0ELc78ELc76EKS1_S1_EviT_T0_PT6_S3_lS6_S3_lS4_PT7_S3_li,"axG",@progbits,_ZL41rocblas_syrkx_herkx_small_restrict_kernelIi19rocblas_complex_numIdELi16ELb0ELb0ELc78ELc76EKS1_S1_EviT_T0_PT6_S3_lS6_S3_lS4_PT7_S3_li,comdat
	.globl	_ZL41rocblas_syrkx_herkx_small_restrict_kernelIi19rocblas_complex_numIdELi16ELb0ELb0ELc78ELc76EKS1_S1_EviT_T0_PT6_S3_lS6_S3_lS4_PT7_S3_li ; -- Begin function _ZL41rocblas_syrkx_herkx_small_restrict_kernelIi19rocblas_complex_numIdELi16ELb0ELb0ELc78ELc76EKS1_S1_EviT_T0_PT6_S3_lS6_S3_lS4_PT7_S3_li
	.p2align	8
	.type	_ZL41rocblas_syrkx_herkx_small_restrict_kernelIi19rocblas_complex_numIdELi16ELb0ELb0ELc78ELc76EKS1_S1_EviT_T0_PT6_S3_lS6_S3_lS4_PT7_S3_li,@function
_ZL41rocblas_syrkx_herkx_small_restrict_kernelIi19rocblas_complex_numIdELi16ELb0ELb0ELc78ELc76EKS1_S1_EviT_T0_PT6_S3_lS6_S3_lS4_PT7_S3_li: ; @_ZL41rocblas_syrkx_herkx_small_restrict_kernelIi19rocblas_complex_numIdELi16ELb0ELb0ELc78ELc76EKS1_S1_EviT_T0_PT6_S3_lS6_S3_lS4_PT7_S3_li
; %bb.0:
	s_load_dword s9, s[4:5], 0x4
	s_load_dwordx4 s[0:3], s[4:5], 0x8
	s_load_dwordx2 s[10:11], s[4:5], 0x18
	s_load_dwordx8 s[12:19], s[4:5], 0x40
	v_lshl_add_u32 v2, s6, 4, v0
	s_mov_b32 s24, 0
	v_lshl_add_u32 v4, s7, 4, v1
	s_waitcnt lgkmcnt(0)
	s_cmp_lt_i32 s9, 1
	v_ashrrev_i32_e32 v3, 31, v2
	s_cbranch_scc1 .LBB277_6
; %bb.1:
	s_load_dword s26, s[4:5], 0x20
	s_load_dword s6, s[4:5], 0x38
	s_load_dwordx4 s[20:23], s[4:5], 0x28
	v_lshlrev_b32_e32 v6, 8, v1
	v_lshlrev_b32_e32 v11, 4, v0
	v_add_u32_e32 v12, v11, v6
	v_add_u32_e32 v13, 0x1000, v6
	s_waitcnt lgkmcnt(0)
	v_mad_i64_i32 v[6:7], s[28:29], s6, v0, 0
	s_mul_i32 s13, s13, s8
	s_mul_hi_u32 s25, s12, s8
	s_add_i32 s13, s25, s13
	s_mul_i32 s12, s12, s8
	v_lshlrev_b64 v[6:7], 4, v[6:7]
	v_ashrrev_i32_e32 v5, 31, v4
	s_lshl_b64 s[12:13], s[12:13], 4
	v_mov_b32_e32 v0, s13
	v_add_co_u32_e32 v8, vcc, s12, v6
	v_lshlrev_b64 v[5:6], 4, v[4:5]
	v_addc_co_u32_e32 v0, vcc, v0, v7, vcc
	v_add_co_u32_e32 v5, vcc, v8, v5
	v_addc_co_u32_e32 v0, vcc, v0, v6, vcc
	v_mov_b32_e32 v6, s23
	v_add_co_u32_e32 v5, vcc, s22, v5
	v_addc_co_u32_e32 v0, vcc, v6, v0, vcc
	v_add_co_u32_e32 v5, vcc, 8, v5
	v_addc_co_u32_e32 v6, vcc, 0, v0, vcc
	v_mad_i64_i32 v[0:1], s[12:13], s26, v1, 0
	s_mul_i32 s21, s21, s8
	s_mul_hi_u32 s22, s20, s8
	s_add_i32 s13, s22, s21
	s_mul_i32 s12, s20, s8
	v_lshlrev_b64 v[0:1], 4, v[0:1]
	s_lshl_b64 s[12:13], s[12:13], 4
	v_mov_b32_e32 v7, s13
	v_add_co_u32_e32 v8, vcc, s12, v0
	v_addc_co_u32_e32 v7, vcc, v7, v1, vcc
	v_lshlrev_b64 v[0:1], 4, v[2:3]
	s_ashr_i32 s27, s26, 31
	v_add_co_u32_e32 v0, vcc, v8, v0
	v_addc_co_u32_e32 v1, vcc, v7, v1, vcc
	s_ashr_i32 s7, s6, 31
	v_mov_b32_e32 v7, s11
	v_add_co_u32_e32 v0, vcc, s10, v0
	s_lshl_b64 s[6:7], s[6:7], 8
	v_addc_co_u32_e32 v1, vcc, v7, v1, vcc
	s_lshl_b64 s[10:11], s[26:27], 8
	v_mov_b32_e32 v7, 0
	v_mov_b32_e32 v9, 0
	;; [unrolled: 1-line block ×6, first 2 shown]
.LBB277_2:                              ; =>This Inner Loop Header: Depth=1
	global_load_dwordx4 v[16:19], v[0:1], off
	v_add_u32_e32 v20, v13, v11
	s_add_i32 s24, s24, 16
	s_cmp_lt_i32 s24, s9
	s_waitcnt vmcnt(0)
	ds_write2_b64 v12, v[16:17], v[18:19] offset1:1
	global_load_dwordx4 v[16:19], v[5:6], off offset:-8
	v_add_co_u32_e32 v5, vcc, s6, v5
	v_addc_co_u32_e32 v6, vcc, v6, v14, vcc
	v_add_co_u32_e32 v0, vcc, s10, v0
	v_addc_co_u32_e32 v1, vcc, v1, v15, vcc
	s_waitcnt vmcnt(0)
	ds_write_b128 v20, v[16:19]
	s_waitcnt lgkmcnt(0)
	s_barrier
	ds_read_b128 v[16:19], v13
	ds_read_b128 v[20:23], v13 offset:16
	ds_read_b128 v[24:27], v13 offset:32
	;; [unrolled: 1-line block ×3, first 2 shown]
	ds_read_b128 v[32:35], v11
	s_waitcnt lgkmcnt(0)
	v_mul_f64 v[36:37], v[18:19], v[34:35]
	v_fma_f64 v[36:37], v[16:17], v[32:33], -v[36:37]
	v_mul_f64 v[16:17], v[16:17], v[34:35]
	v_fma_f64 v[16:17], v[18:19], v[32:33], v[16:17]
	v_add_f64 v[18:19], v[9:10], v[36:37]
	v_add_f64 v[16:17], v[7:8], v[16:17]
	ds_read_b128 v[7:10], v11 offset:256
	s_waitcnt lgkmcnt(0)
	v_mul_f64 v[32:33], v[22:23], v[9:10]
	v_mul_f64 v[9:10], v[20:21], v[9:10]
	v_fma_f64 v[32:33], v[20:21], v[7:8], -v[32:33]
	v_fma_f64 v[7:8], v[22:23], v[7:8], v[9:10]
	v_add_f64 v[18:19], v[18:19], v[32:33]
	v_add_f64 v[16:17], v[16:17], v[7:8]
	ds_read_b128 v[7:10], v11 offset:512
	s_waitcnt lgkmcnt(0)
	v_mul_f64 v[20:21], v[26:27], v[9:10]
	v_mul_f64 v[9:10], v[24:25], v[9:10]
	v_fma_f64 v[20:21], v[24:25], v[7:8], -v[20:21]
	;; [unrolled: 8-line block ×3, first 2 shown]
	v_fma_f64 v[7:8], v[30:31], v[7:8], v[9:10]
	v_add_f64 v[20:21], v[18:19], v[20:21]
	v_add_f64 v[22:23], v[16:17], v[7:8]
	ds_read_b128 v[7:10], v13 offset:64
	ds_read_b128 v[16:19], v11 offset:1024
	s_waitcnt lgkmcnt(0)
	v_mul_f64 v[24:25], v[9:10], v[18:19]
	v_fma_f64 v[24:25], v[7:8], v[16:17], -v[24:25]
	v_mul_f64 v[7:8], v[7:8], v[18:19]
	v_add_f64 v[20:21], v[20:21], v[24:25]
	v_fma_f64 v[7:8], v[9:10], v[16:17], v[7:8]
	v_add_f64 v[22:23], v[22:23], v[7:8]
	ds_read_b128 v[7:10], v13 offset:80
	ds_read_b128 v[16:19], v11 offset:1280
	s_waitcnt lgkmcnt(0)
	v_mul_f64 v[24:25], v[9:10], v[18:19]
	v_fma_f64 v[24:25], v[7:8], v[16:17], -v[24:25]
	v_mul_f64 v[7:8], v[7:8], v[18:19]
	v_add_f64 v[20:21], v[20:21], v[24:25]
	v_fma_f64 v[7:8], v[9:10], v[16:17], v[7:8]
	;; [unrolled: 9-line block ×11, first 2 shown]
	v_add_f64 v[22:23], v[22:23], v[7:8]
	ds_read_b128 v[7:10], v13 offset:240
	ds_read_b128 v[16:19], v11 offset:3840
	s_waitcnt lgkmcnt(0)
	s_barrier
	v_mul_f64 v[24:25], v[9:10], v[18:19]
	v_fma_f64 v[24:25], v[7:8], v[16:17], -v[24:25]
	v_mul_f64 v[7:8], v[7:8], v[18:19]
	v_fma_f64 v[7:8], v[9:10], v[16:17], v[7:8]
	v_add_f64 v[9:10], v[20:21], v[24:25]
	v_add_f64 v[7:8], v[22:23], v[7:8]
	s_cbranch_scc1 .LBB277_2
; %bb.3:
	v_cmp_le_i32_e32 vcc, v4, v2
	s_and_saveexec_b64 s[6:7], vcc
	s_cbranch_execz .LBB277_5
.LBB277_4:
	s_load_dwordx2 s[6:7], s[4:5], 0x68
	s_load_dword s9, s[4:5], 0x60
	v_mul_f64 v[11:12], s[2:3], v[7:8]
	s_waitcnt lgkmcnt(0)
	s_mul_i32 s5, s7, s8
	s_mul_hi_u32 s7, s6, s8
	s_mul_i32 s4, s6, s8
	s_add_i32 s5, s7, s5
	v_mad_i64_i32 v[0:1], s[6:7], s9, v4, 0
	s_lshl_b64 s[4:5], s[4:5], 4
	s_add_u32 s4, s18, s4
	v_lshlrev_b64 v[0:1], 4, v[0:1]
	s_addc_u32 s5, s19, s5
	v_mov_b32_e32 v4, s5
	v_add_co_u32_e32 v5, vcc, s4, v0
	v_addc_co_u32_e32 v6, vcc, v4, v1, vcc
	v_lshlrev_b64 v[0:1], 4, v[2:3]
	v_fma_f64 v[11:12], s[0:1], v[9:10], -v[11:12]
	v_add_co_u32_e32 v4, vcc, v5, v0
	v_addc_co_u32_e32 v5, vcc, v6, v1, vcc
	global_load_dwordx4 v[0:3], v[4:5], off
	v_mul_f64 v[6:7], s[0:1], v[7:8]
	v_fma_f64 v[6:7], s[2:3], v[9:10], v[6:7]
	s_waitcnt vmcnt(0)
	v_mul_f64 v[13:14], s[16:17], v[2:3]
	v_mul_f64 v[2:3], s[14:15], v[2:3]
	v_fma_f64 v[8:9], s[14:15], v[0:1], -v[13:14]
	v_fma_f64 v[2:3], s[16:17], v[0:1], v[2:3]
	v_add_f64 v[0:1], v[11:12], v[8:9]
	v_add_f64 v[2:3], v[6:7], v[2:3]
	global_store_dwordx4 v[4:5], v[0:3], off
.LBB277_5:
	s_endpgm
.LBB277_6:
	v_mov_b32_e32 v7, 0
	v_mov_b32_e32 v9, 0
	;; [unrolled: 1-line block ×4, first 2 shown]
	v_cmp_le_i32_e32 vcc, v4, v2
	s_and_saveexec_b64 s[6:7], vcc
	s_cbranch_execnz .LBB277_4
	s_branch .LBB277_5
	.section	.rodata,"a",@progbits
	.p2align	6, 0x0
	.amdhsa_kernel _ZL41rocblas_syrkx_herkx_small_restrict_kernelIi19rocblas_complex_numIdELi16ELb0ELb0ELc78ELc76EKS1_S1_EviT_T0_PT6_S3_lS6_S3_lS4_PT7_S3_li
		.amdhsa_group_segment_fixed_size 8192
		.amdhsa_private_segment_fixed_size 0
		.amdhsa_kernarg_size 116
		.amdhsa_user_sgpr_count 6
		.amdhsa_user_sgpr_private_segment_buffer 1
		.amdhsa_user_sgpr_dispatch_ptr 0
		.amdhsa_user_sgpr_queue_ptr 0
		.amdhsa_user_sgpr_kernarg_segment_ptr 1
		.amdhsa_user_sgpr_dispatch_id 0
		.amdhsa_user_sgpr_flat_scratch_init 0
		.amdhsa_user_sgpr_private_segment_size 0
		.amdhsa_uses_dynamic_stack 0
		.amdhsa_system_sgpr_private_segment_wavefront_offset 0
		.amdhsa_system_sgpr_workgroup_id_x 1
		.amdhsa_system_sgpr_workgroup_id_y 1
		.amdhsa_system_sgpr_workgroup_id_z 1
		.amdhsa_system_sgpr_workgroup_info 0
		.amdhsa_system_vgpr_workitem_id 1
		.amdhsa_next_free_vgpr 38
		.amdhsa_next_free_sgpr 61
		.amdhsa_reserve_vcc 1
		.amdhsa_reserve_flat_scratch 0
		.amdhsa_float_round_mode_32 0
		.amdhsa_float_round_mode_16_64 0
		.amdhsa_float_denorm_mode_32 3
		.amdhsa_float_denorm_mode_16_64 3
		.amdhsa_dx10_clamp 1
		.amdhsa_ieee_mode 1
		.amdhsa_fp16_overflow 0
		.amdhsa_exception_fp_ieee_invalid_op 0
		.amdhsa_exception_fp_denorm_src 0
		.amdhsa_exception_fp_ieee_div_zero 0
		.amdhsa_exception_fp_ieee_overflow 0
		.amdhsa_exception_fp_ieee_underflow 0
		.amdhsa_exception_fp_ieee_inexact 0
		.amdhsa_exception_int_div_zero 0
	.end_amdhsa_kernel
	.section	.text._ZL41rocblas_syrkx_herkx_small_restrict_kernelIi19rocblas_complex_numIdELi16ELb0ELb0ELc78ELc76EKS1_S1_EviT_T0_PT6_S3_lS6_S3_lS4_PT7_S3_li,"axG",@progbits,_ZL41rocblas_syrkx_herkx_small_restrict_kernelIi19rocblas_complex_numIdELi16ELb0ELb0ELc78ELc76EKS1_S1_EviT_T0_PT6_S3_lS6_S3_lS4_PT7_S3_li,comdat
.Lfunc_end277:
	.size	_ZL41rocblas_syrkx_herkx_small_restrict_kernelIi19rocblas_complex_numIdELi16ELb0ELb0ELc78ELc76EKS1_S1_EviT_T0_PT6_S3_lS6_S3_lS4_PT7_S3_li, .Lfunc_end277-_ZL41rocblas_syrkx_herkx_small_restrict_kernelIi19rocblas_complex_numIdELi16ELb0ELb0ELc78ELc76EKS1_S1_EviT_T0_PT6_S3_lS6_S3_lS4_PT7_S3_li
                                        ; -- End function
	.set _ZL41rocblas_syrkx_herkx_small_restrict_kernelIi19rocblas_complex_numIdELi16ELb0ELb0ELc78ELc76EKS1_S1_EviT_T0_PT6_S3_lS6_S3_lS4_PT7_S3_li.num_vgpr, 38
	.set _ZL41rocblas_syrkx_herkx_small_restrict_kernelIi19rocblas_complex_numIdELi16ELb0ELb0ELc78ELc76EKS1_S1_EviT_T0_PT6_S3_lS6_S3_lS4_PT7_S3_li.num_agpr, 0
	.set _ZL41rocblas_syrkx_herkx_small_restrict_kernelIi19rocblas_complex_numIdELi16ELb0ELb0ELc78ELc76EKS1_S1_EviT_T0_PT6_S3_lS6_S3_lS4_PT7_S3_li.numbered_sgpr, 30
	.set _ZL41rocblas_syrkx_herkx_small_restrict_kernelIi19rocblas_complex_numIdELi16ELb0ELb0ELc78ELc76EKS1_S1_EviT_T0_PT6_S3_lS6_S3_lS4_PT7_S3_li.num_named_barrier, 0
	.set _ZL41rocblas_syrkx_herkx_small_restrict_kernelIi19rocblas_complex_numIdELi16ELb0ELb0ELc78ELc76EKS1_S1_EviT_T0_PT6_S3_lS6_S3_lS4_PT7_S3_li.private_seg_size, 0
	.set _ZL41rocblas_syrkx_herkx_small_restrict_kernelIi19rocblas_complex_numIdELi16ELb0ELb0ELc78ELc76EKS1_S1_EviT_T0_PT6_S3_lS6_S3_lS4_PT7_S3_li.uses_vcc, 1
	.set _ZL41rocblas_syrkx_herkx_small_restrict_kernelIi19rocblas_complex_numIdELi16ELb0ELb0ELc78ELc76EKS1_S1_EviT_T0_PT6_S3_lS6_S3_lS4_PT7_S3_li.uses_flat_scratch, 0
	.set _ZL41rocblas_syrkx_herkx_small_restrict_kernelIi19rocblas_complex_numIdELi16ELb0ELb0ELc78ELc76EKS1_S1_EviT_T0_PT6_S3_lS6_S3_lS4_PT7_S3_li.has_dyn_sized_stack, 0
	.set _ZL41rocblas_syrkx_herkx_small_restrict_kernelIi19rocblas_complex_numIdELi16ELb0ELb0ELc78ELc76EKS1_S1_EviT_T0_PT6_S3_lS6_S3_lS4_PT7_S3_li.has_recursion, 0
	.set _ZL41rocblas_syrkx_herkx_small_restrict_kernelIi19rocblas_complex_numIdELi16ELb0ELb0ELc78ELc76EKS1_S1_EviT_T0_PT6_S3_lS6_S3_lS4_PT7_S3_li.has_indirect_call, 0
	.section	.AMDGPU.csdata,"",@progbits
; Kernel info:
; codeLenInByte = 1732
; TotalNumSgprs: 34
; NumVgprs: 38
; ScratchSize: 0
; MemoryBound: 0
; FloatMode: 240
; IeeeMode: 1
; LDSByteSize: 8192 bytes/workgroup (compile time only)
; SGPRBlocks: 8
; VGPRBlocks: 9
; NumSGPRsForWavesPerEU: 65
; NumVGPRsForWavesPerEU: 38
; Occupancy: 6
; WaveLimiterHint : 0
; COMPUTE_PGM_RSRC2:SCRATCH_EN: 0
; COMPUTE_PGM_RSRC2:USER_SGPR: 6
; COMPUTE_PGM_RSRC2:TRAP_HANDLER: 0
; COMPUTE_PGM_RSRC2:TGID_X_EN: 1
; COMPUTE_PGM_RSRC2:TGID_Y_EN: 1
; COMPUTE_PGM_RSRC2:TGID_Z_EN: 1
; COMPUTE_PGM_RSRC2:TIDIG_COMP_CNT: 1
	.section	.text._ZL41rocblas_syrkx_herkx_small_restrict_kernelIi19rocblas_complex_numIdELi16ELb0ELb0ELc84ELc85EKS1_S1_EviT_T0_PT6_S3_lS6_S3_lS4_PT7_S3_li,"axG",@progbits,_ZL41rocblas_syrkx_herkx_small_restrict_kernelIi19rocblas_complex_numIdELi16ELb0ELb0ELc84ELc85EKS1_S1_EviT_T0_PT6_S3_lS6_S3_lS4_PT7_S3_li,comdat
	.globl	_ZL41rocblas_syrkx_herkx_small_restrict_kernelIi19rocblas_complex_numIdELi16ELb0ELb0ELc84ELc85EKS1_S1_EviT_T0_PT6_S3_lS6_S3_lS4_PT7_S3_li ; -- Begin function _ZL41rocblas_syrkx_herkx_small_restrict_kernelIi19rocblas_complex_numIdELi16ELb0ELb0ELc84ELc85EKS1_S1_EviT_T0_PT6_S3_lS6_S3_lS4_PT7_S3_li
	.p2align	8
	.type	_ZL41rocblas_syrkx_herkx_small_restrict_kernelIi19rocblas_complex_numIdELi16ELb0ELb0ELc84ELc85EKS1_S1_EviT_T0_PT6_S3_lS6_S3_lS4_PT7_S3_li,@function
_ZL41rocblas_syrkx_herkx_small_restrict_kernelIi19rocblas_complex_numIdELi16ELb0ELb0ELc84ELc85EKS1_S1_EviT_T0_PT6_S3_lS6_S3_lS4_PT7_S3_li: ; @_ZL41rocblas_syrkx_herkx_small_restrict_kernelIi19rocblas_complex_numIdELi16ELb0ELb0ELc84ELc85EKS1_S1_EviT_T0_PT6_S3_lS6_S3_lS4_PT7_S3_li
; %bb.0:
	s_load_dword s9, s[4:5], 0x4
	s_load_dwordx4 s[0:3], s[4:5], 0x8
	s_load_dwordx2 s[10:11], s[4:5], 0x18
	s_load_dwordx8 s[12:19], s[4:5], 0x40
	s_mov_b32 s20, 0
	v_lshl_add_u32 v2, s6, 4, v0
	s_waitcnt lgkmcnt(0)
	s_cmp_lt_i32 s9, 1
	v_lshl_add_u32 v9, s7, 4, v1
	s_cbranch_scc1 .LBB278_6
; %bb.1:
	s_load_dword s21, s[4:5], 0x20
	s_load_dword s6, s[4:5], 0x38
	s_load_dwordx4 s[24:27], s[4:5], 0x28
	v_lshlrev_b32_e32 v5, 8, v1
	v_lshlrev_b32_e32 v10, 4, v0
	v_add_u32_e32 v11, v10, v5
	s_waitcnt lgkmcnt(0)
	v_mad_i64_i32 v[3:4], s[6:7], s6, v9, 0
	s_mul_i32 s6, s13, s8
	s_mul_hi_u32 s7, s12, s8
	v_lshlrev_b64 v[3:4], 4, v[3:4]
	s_add_i32 s7, s7, s6
	s_mul_i32 s6, s12, s8
	s_lshl_b64 s[6:7], s[6:7], 4
	v_add_u32_e32 v12, 0x1000, v5
	v_mov_b32_e32 v0, s7
	v_add_co_u32_e32 v3, vcc, s6, v3
	v_mad_i64_i32 v[5:6], s[6:7], s21, v2, 0
	v_addc_co_u32_e32 v0, vcc, v4, v0, vcc
	v_add_co_u32_e32 v3, vcc, v3, v10
	v_addc_co_u32_e32 v0, vcc, 0, v0, vcc
	s_mul_i32 s6, s25, s8
	s_mul_hi_u32 s7, s24, s8
	v_mov_b32_e32 v4, s27
	v_add_co_u32_e32 v3, vcc, s26, v3
	v_lshlrev_b64 v[5:6], 4, v[5:6]
	s_add_i32 s7, s7, s6
	s_mul_i32 s6, s24, s8
	v_addc_co_u32_e32 v4, vcc, v4, v0, vcc
	s_lshl_b64 s[6:7], s[6:7], 4
	v_mov_b32_e32 v0, s7
	v_add_co_u32_e32 v5, vcc, s6, v5
	v_addc_co_u32_e32 v0, vcc, v6, v0, vcc
	v_lshlrev_b32_e32 v1, 4, v1
	v_add_co_u32_e32 v1, vcc, v5, v1
	v_addc_co_u32_e32 v14, vcc, 0, v0, vcc
	v_mov_b32_e32 v15, s11
	v_mov_b32_e32 v7, 0
	;; [unrolled: 1-line block ×3, first 2 shown]
	v_add_co_u32_e32 v0, vcc, s10, v1
	v_add_u32_e32 v13, v12, v10
	v_mov_b32_e32 v8, 0
	v_mov_b32_e32 v6, 0
	v_addc_co_u32_e32 v1, vcc, v15, v14, vcc
.LBB278_2:                              ; =>This Inner Loop Header: Depth=1
	global_load_dwordx4 v[14:17], v[0:1], off
	s_add_i32 s20, s20, 16
	s_cmp_lt_i32 s20, s9
	s_waitcnt vmcnt(0)
	ds_write2_b64 v11, v[14:15], v[16:17] offset1:1
	global_load_dwordx4 v[14:17], v[3:4], off
	v_add_co_u32_e32 v3, vcc, 0x100, v3
	v_addc_co_u32_e32 v4, vcc, 0, v4, vcc
	v_add_co_u32_e32 v0, vcc, 0x100, v0
	v_addc_co_u32_e32 v1, vcc, 0, v1, vcc
	s_waitcnt vmcnt(0)
	ds_write2_b64 v13, v[14:15], v[16:17] offset1:1
	s_waitcnt lgkmcnt(0)
	s_barrier
	ds_read_b128 v[14:17], v12
	ds_read_b128 v[18:21], v12 offset:16
	ds_read_b128 v[22:25], v12 offset:32
	;; [unrolled: 1-line block ×3, first 2 shown]
	ds_read_b128 v[30:33], v10
	s_waitcnt lgkmcnt(0)
	v_mul_f64 v[34:35], v[16:17], v[32:33]
	v_fma_f64 v[34:35], v[14:15], v[30:31], -v[34:35]
	v_mul_f64 v[14:15], v[14:15], v[32:33]
	v_fma_f64 v[14:15], v[16:17], v[30:31], v[14:15]
	v_add_f64 v[16:17], v[5:6], v[34:35]
	v_add_f64 v[14:15], v[7:8], v[14:15]
	ds_read_b128 v[5:8], v10 offset:256
	s_waitcnt lgkmcnt(0)
	v_mul_f64 v[30:31], v[20:21], v[7:8]
	v_mul_f64 v[7:8], v[18:19], v[7:8]
	v_fma_f64 v[30:31], v[18:19], v[5:6], -v[30:31]
	v_fma_f64 v[5:6], v[20:21], v[5:6], v[7:8]
	v_add_f64 v[16:17], v[16:17], v[30:31]
	v_add_f64 v[14:15], v[14:15], v[5:6]
	ds_read_b128 v[5:8], v10 offset:512
	s_waitcnt lgkmcnt(0)
	v_mul_f64 v[18:19], v[24:25], v[7:8]
	v_mul_f64 v[7:8], v[22:23], v[7:8]
	v_fma_f64 v[18:19], v[22:23], v[5:6], -v[18:19]
	;; [unrolled: 8-line block ×3, first 2 shown]
	v_fma_f64 v[5:6], v[28:29], v[5:6], v[7:8]
	v_add_f64 v[18:19], v[16:17], v[18:19]
	v_add_f64 v[20:21], v[14:15], v[5:6]
	ds_read_b128 v[5:8], v12 offset:64
	ds_read_b128 v[14:17], v10 offset:1024
	s_waitcnt lgkmcnt(0)
	v_mul_f64 v[22:23], v[7:8], v[16:17]
	v_fma_f64 v[22:23], v[5:6], v[14:15], -v[22:23]
	v_mul_f64 v[5:6], v[5:6], v[16:17]
	v_add_f64 v[18:19], v[18:19], v[22:23]
	v_fma_f64 v[5:6], v[7:8], v[14:15], v[5:6]
	v_add_f64 v[20:21], v[20:21], v[5:6]
	ds_read_b128 v[5:8], v12 offset:80
	ds_read_b128 v[14:17], v10 offset:1280
	s_waitcnt lgkmcnt(0)
	v_mul_f64 v[22:23], v[7:8], v[16:17]
	v_fma_f64 v[22:23], v[5:6], v[14:15], -v[22:23]
	v_mul_f64 v[5:6], v[5:6], v[16:17]
	v_add_f64 v[18:19], v[18:19], v[22:23]
	v_fma_f64 v[5:6], v[7:8], v[14:15], v[5:6]
	;; [unrolled: 9-line block ×11, first 2 shown]
	v_add_f64 v[20:21], v[20:21], v[5:6]
	ds_read_b128 v[5:8], v12 offset:240
	ds_read_b128 v[14:17], v10 offset:3840
	s_waitcnt lgkmcnt(0)
	s_barrier
	v_mul_f64 v[22:23], v[7:8], v[16:17]
	v_fma_f64 v[22:23], v[5:6], v[14:15], -v[22:23]
	v_mul_f64 v[5:6], v[5:6], v[16:17]
	v_fma_f64 v[7:8], v[7:8], v[14:15], v[5:6]
	v_add_f64 v[5:6], v[18:19], v[22:23]
	v_add_f64 v[7:8], v[20:21], v[7:8]
	s_cbranch_scc1 .LBB278_2
; %bb.3:
	v_cmp_le_i32_e32 vcc, v2, v9
	s_and_saveexec_b64 s[6:7], vcc
	s_cbranch_execz .LBB278_5
.LBB278_4:
	s_load_dwordx2 s[6:7], s[4:5], 0x68
	s_load_dword s9, s[4:5], 0x60
	v_ashrrev_i32_e32 v3, 31, v2
	v_mul_f64 v[11:12], s[2:3], v[7:8]
	v_mul_f64 v[7:8], s[0:1], v[7:8]
	s_waitcnt lgkmcnt(0)
	s_mul_i32 s5, s7, s8
	s_mul_hi_u32 s7, s6, s8
	s_mul_i32 s4, s6, s8
	s_add_i32 s5, s7, s5
	v_mad_i64_i32 v[0:1], s[6:7], s9, v9, 0
	s_lshl_b64 s[4:5], s[4:5], 4
	s_add_u32 s4, s18, s4
	v_lshlrev_b64 v[0:1], 4, v[0:1]
	s_addc_u32 s5, s19, s5
	v_mov_b32_e32 v4, s5
	v_add_co_u32_e32 v9, vcc, s4, v0
	v_addc_co_u32_e32 v4, vcc, v4, v1, vcc
	v_lshlrev_b64 v[0:1], 4, v[2:3]
	v_fma_f64 v[11:12], s[0:1], v[5:6], -v[11:12]
	v_add_co_u32_e32 v9, vcc, v9, v0
	v_addc_co_u32_e32 v10, vcc, v4, v1, vcc
	global_load_dwordx4 v[0:3], v[9:10], off
	v_fma_f64 v[4:5], s[2:3], v[5:6], v[7:8]
	s_waitcnt vmcnt(0)
	v_mul_f64 v[13:14], s[16:17], v[2:3]
	v_mul_f64 v[2:3], s[14:15], v[2:3]
	v_fma_f64 v[6:7], s[14:15], v[0:1], -v[13:14]
	v_fma_f64 v[2:3], s[16:17], v[0:1], v[2:3]
	v_add_f64 v[0:1], v[11:12], v[6:7]
	v_add_f64 v[2:3], v[4:5], v[2:3]
	global_store_dwordx4 v[9:10], v[0:3], off
.LBB278_5:
	s_endpgm
.LBB278_6:
	v_mov_b32_e32 v7, 0
	v_mov_b32_e32 v5, 0
	;; [unrolled: 1-line block ×4, first 2 shown]
	v_cmp_le_i32_e32 vcc, v2, v9
	s_and_saveexec_b64 s[6:7], vcc
	s_cbranch_execnz .LBB278_4
	s_branch .LBB278_5
	.section	.rodata,"a",@progbits
	.p2align	6, 0x0
	.amdhsa_kernel _ZL41rocblas_syrkx_herkx_small_restrict_kernelIi19rocblas_complex_numIdELi16ELb0ELb0ELc84ELc85EKS1_S1_EviT_T0_PT6_S3_lS6_S3_lS4_PT7_S3_li
		.amdhsa_group_segment_fixed_size 8192
		.amdhsa_private_segment_fixed_size 0
		.amdhsa_kernarg_size 116
		.amdhsa_user_sgpr_count 6
		.amdhsa_user_sgpr_private_segment_buffer 1
		.amdhsa_user_sgpr_dispatch_ptr 0
		.amdhsa_user_sgpr_queue_ptr 0
		.amdhsa_user_sgpr_kernarg_segment_ptr 1
		.amdhsa_user_sgpr_dispatch_id 0
		.amdhsa_user_sgpr_flat_scratch_init 0
		.amdhsa_user_sgpr_private_segment_size 0
		.amdhsa_uses_dynamic_stack 0
		.amdhsa_system_sgpr_private_segment_wavefront_offset 0
		.amdhsa_system_sgpr_workgroup_id_x 1
		.amdhsa_system_sgpr_workgroup_id_y 1
		.amdhsa_system_sgpr_workgroup_id_z 1
		.amdhsa_system_sgpr_workgroup_info 0
		.amdhsa_system_vgpr_workitem_id 1
		.amdhsa_next_free_vgpr 36
		.amdhsa_next_free_sgpr 61
		.amdhsa_reserve_vcc 1
		.amdhsa_reserve_flat_scratch 0
		.amdhsa_float_round_mode_32 0
		.amdhsa_float_round_mode_16_64 0
		.amdhsa_float_denorm_mode_32 3
		.amdhsa_float_denorm_mode_16_64 3
		.amdhsa_dx10_clamp 1
		.amdhsa_ieee_mode 1
		.amdhsa_fp16_overflow 0
		.amdhsa_exception_fp_ieee_invalid_op 0
		.amdhsa_exception_fp_denorm_src 0
		.amdhsa_exception_fp_ieee_div_zero 0
		.amdhsa_exception_fp_ieee_overflow 0
		.amdhsa_exception_fp_ieee_underflow 0
		.amdhsa_exception_fp_ieee_inexact 0
		.amdhsa_exception_int_div_zero 0
	.end_amdhsa_kernel
	.section	.text._ZL41rocblas_syrkx_herkx_small_restrict_kernelIi19rocblas_complex_numIdELi16ELb0ELb0ELc84ELc85EKS1_S1_EviT_T0_PT6_S3_lS6_S3_lS4_PT7_S3_li,"axG",@progbits,_ZL41rocblas_syrkx_herkx_small_restrict_kernelIi19rocblas_complex_numIdELi16ELb0ELb0ELc84ELc85EKS1_S1_EviT_T0_PT6_S3_lS6_S3_lS4_PT7_S3_li,comdat
.Lfunc_end278:
	.size	_ZL41rocblas_syrkx_herkx_small_restrict_kernelIi19rocblas_complex_numIdELi16ELb0ELb0ELc84ELc85EKS1_S1_EviT_T0_PT6_S3_lS6_S3_lS4_PT7_S3_li, .Lfunc_end278-_ZL41rocblas_syrkx_herkx_small_restrict_kernelIi19rocblas_complex_numIdELi16ELb0ELb0ELc84ELc85EKS1_S1_EviT_T0_PT6_S3_lS6_S3_lS4_PT7_S3_li
                                        ; -- End function
	.set _ZL41rocblas_syrkx_herkx_small_restrict_kernelIi19rocblas_complex_numIdELi16ELb0ELb0ELc84ELc85EKS1_S1_EviT_T0_PT6_S3_lS6_S3_lS4_PT7_S3_li.num_vgpr, 36
	.set _ZL41rocblas_syrkx_herkx_small_restrict_kernelIi19rocblas_complex_numIdELi16ELb0ELb0ELc84ELc85EKS1_S1_EviT_T0_PT6_S3_lS6_S3_lS4_PT7_S3_li.num_agpr, 0
	.set _ZL41rocblas_syrkx_herkx_small_restrict_kernelIi19rocblas_complex_numIdELi16ELb0ELb0ELc84ELc85EKS1_S1_EviT_T0_PT6_S3_lS6_S3_lS4_PT7_S3_li.numbered_sgpr, 28
	.set _ZL41rocblas_syrkx_herkx_small_restrict_kernelIi19rocblas_complex_numIdELi16ELb0ELb0ELc84ELc85EKS1_S1_EviT_T0_PT6_S3_lS6_S3_lS4_PT7_S3_li.num_named_barrier, 0
	.set _ZL41rocblas_syrkx_herkx_small_restrict_kernelIi19rocblas_complex_numIdELi16ELb0ELb0ELc84ELc85EKS1_S1_EviT_T0_PT6_S3_lS6_S3_lS4_PT7_S3_li.private_seg_size, 0
	.set _ZL41rocblas_syrkx_herkx_small_restrict_kernelIi19rocblas_complex_numIdELi16ELb0ELb0ELc84ELc85EKS1_S1_EviT_T0_PT6_S3_lS6_S3_lS4_PT7_S3_li.uses_vcc, 1
	.set _ZL41rocblas_syrkx_herkx_small_restrict_kernelIi19rocblas_complex_numIdELi16ELb0ELb0ELc84ELc85EKS1_S1_EviT_T0_PT6_S3_lS6_S3_lS4_PT7_S3_li.uses_flat_scratch, 0
	.set _ZL41rocblas_syrkx_herkx_small_restrict_kernelIi19rocblas_complex_numIdELi16ELb0ELb0ELc84ELc85EKS1_S1_EviT_T0_PT6_S3_lS6_S3_lS4_PT7_S3_li.has_dyn_sized_stack, 0
	.set _ZL41rocblas_syrkx_herkx_small_restrict_kernelIi19rocblas_complex_numIdELi16ELb0ELb0ELc84ELc85EKS1_S1_EviT_T0_PT6_S3_lS6_S3_lS4_PT7_S3_li.has_recursion, 0
	.set _ZL41rocblas_syrkx_herkx_small_restrict_kernelIi19rocblas_complex_numIdELi16ELb0ELb0ELc84ELc85EKS1_S1_EviT_T0_PT6_S3_lS6_S3_lS4_PT7_S3_li.has_indirect_call, 0
	.section	.AMDGPU.csdata,"",@progbits
; Kernel info:
; codeLenInByte = 1692
; TotalNumSgprs: 32
; NumVgprs: 36
; ScratchSize: 0
; MemoryBound: 0
; FloatMode: 240
; IeeeMode: 1
; LDSByteSize: 8192 bytes/workgroup (compile time only)
; SGPRBlocks: 8
; VGPRBlocks: 8
; NumSGPRsForWavesPerEU: 65
; NumVGPRsForWavesPerEU: 36
; Occupancy: 7
; WaveLimiterHint : 0
; COMPUTE_PGM_RSRC2:SCRATCH_EN: 0
; COMPUTE_PGM_RSRC2:USER_SGPR: 6
; COMPUTE_PGM_RSRC2:TRAP_HANDLER: 0
; COMPUTE_PGM_RSRC2:TGID_X_EN: 1
; COMPUTE_PGM_RSRC2:TGID_Y_EN: 1
; COMPUTE_PGM_RSRC2:TGID_Z_EN: 1
; COMPUTE_PGM_RSRC2:TIDIG_COMP_CNT: 1
	.section	.text._ZL41rocblas_syrkx_herkx_small_restrict_kernelIi19rocblas_complex_numIdELi16ELb0ELb0ELc67ELc85EKS1_S1_EviT_T0_PT6_S3_lS6_S3_lS4_PT7_S3_li,"axG",@progbits,_ZL41rocblas_syrkx_herkx_small_restrict_kernelIi19rocblas_complex_numIdELi16ELb0ELb0ELc67ELc85EKS1_S1_EviT_T0_PT6_S3_lS6_S3_lS4_PT7_S3_li,comdat
	.globl	_ZL41rocblas_syrkx_herkx_small_restrict_kernelIi19rocblas_complex_numIdELi16ELb0ELb0ELc67ELc85EKS1_S1_EviT_T0_PT6_S3_lS6_S3_lS4_PT7_S3_li ; -- Begin function _ZL41rocblas_syrkx_herkx_small_restrict_kernelIi19rocblas_complex_numIdELi16ELb0ELb0ELc67ELc85EKS1_S1_EviT_T0_PT6_S3_lS6_S3_lS4_PT7_S3_li
	.p2align	8
	.type	_ZL41rocblas_syrkx_herkx_small_restrict_kernelIi19rocblas_complex_numIdELi16ELb0ELb0ELc67ELc85EKS1_S1_EviT_T0_PT6_S3_lS6_S3_lS4_PT7_S3_li,@function
_ZL41rocblas_syrkx_herkx_small_restrict_kernelIi19rocblas_complex_numIdELi16ELb0ELb0ELc67ELc85EKS1_S1_EviT_T0_PT6_S3_lS6_S3_lS4_PT7_S3_li: ; @_ZL41rocblas_syrkx_herkx_small_restrict_kernelIi19rocblas_complex_numIdELi16ELb0ELb0ELc67ELc85EKS1_S1_EviT_T0_PT6_S3_lS6_S3_lS4_PT7_S3_li
; %bb.0:
	s_load_dword s9, s[4:5], 0x4
	s_load_dwordx4 s[0:3], s[4:5], 0x8
	s_load_dwordx2 s[10:11], s[4:5], 0x18
	s_load_dwordx8 s[12:19], s[4:5], 0x40
	s_mov_b32 s20, 0
	v_lshl_add_u32 v2, s6, 4, v0
	s_waitcnt lgkmcnt(0)
	s_cmp_lt_i32 s9, 1
	v_lshl_add_u32 v9, s7, 4, v1
	s_cbranch_scc1 .LBB279_6
; %bb.1:
	s_load_dword s21, s[4:5], 0x20
	s_load_dword s6, s[4:5], 0x38
	s_load_dwordx4 s[24:27], s[4:5], 0x28
	v_lshlrev_b32_e32 v5, 8, v1
	v_lshlrev_b32_e32 v10, 4, v0
	v_add_u32_e32 v11, v10, v5
	s_waitcnt lgkmcnt(0)
	v_mad_i64_i32 v[3:4], s[6:7], s6, v9, 0
	s_mul_i32 s6, s13, s8
	s_mul_hi_u32 s7, s12, s8
	v_lshlrev_b64 v[3:4], 4, v[3:4]
	s_add_i32 s7, s7, s6
	s_mul_i32 s6, s12, s8
	s_lshl_b64 s[6:7], s[6:7], 4
	v_add_u32_e32 v12, 0x1000, v5
	v_mov_b32_e32 v0, s7
	v_add_co_u32_e32 v3, vcc, s6, v3
	v_mad_i64_i32 v[5:6], s[6:7], s21, v2, 0
	v_addc_co_u32_e32 v0, vcc, v4, v0, vcc
	v_add_co_u32_e32 v3, vcc, v3, v10
	v_addc_co_u32_e32 v0, vcc, 0, v0, vcc
	s_mul_i32 s6, s25, s8
	s_mul_hi_u32 s7, s24, s8
	v_mov_b32_e32 v4, s27
	v_add_co_u32_e32 v3, vcc, s26, v3
	v_lshlrev_b64 v[5:6], 4, v[5:6]
	s_add_i32 s7, s7, s6
	s_mul_i32 s6, s24, s8
	v_addc_co_u32_e32 v4, vcc, v4, v0, vcc
	s_lshl_b64 s[6:7], s[6:7], 4
	v_mov_b32_e32 v0, s7
	v_add_co_u32_e32 v5, vcc, s6, v5
	v_addc_co_u32_e32 v0, vcc, v6, v0, vcc
	v_lshlrev_b32_e32 v1, 4, v1
	v_add_co_u32_e32 v1, vcc, v5, v1
	v_addc_co_u32_e32 v0, vcc, 0, v0, vcc
	v_mov_b32_e32 v5, s11
	v_add_co_u32_e32 v1, vcc, s10, v1
	v_addc_co_u32_e32 v14, vcc, v5, v0, vcc
	v_mov_b32_e32 v7, 0
	v_mov_b32_e32 v5, 0
	v_add_co_u32_e32 v0, vcc, 8, v1
	v_add_u32_e32 v13, v12, v10
	v_mov_b32_e32 v8, 0
	v_mov_b32_e32 v6, 0
	v_addc_co_u32_e32 v1, vcc, 0, v14, vcc
.LBB279_2:                              ; =>This Inner Loop Header: Depth=1
	global_load_dwordx4 v[14:17], v[0:1], off offset:-8
	s_add_i32 s20, s20, 16
	s_cmp_lt_i32 s20, s9
	s_waitcnt vmcnt(0)
	ds_write_b128 v11, v[14:17]
	global_load_dwordx4 v[14:17], v[3:4], off
	v_add_co_u32_e32 v3, vcc, 0x100, v3
	v_addc_co_u32_e32 v4, vcc, 0, v4, vcc
	v_add_co_u32_e32 v0, vcc, 0x100, v0
	v_addc_co_u32_e32 v1, vcc, 0, v1, vcc
	s_waitcnt vmcnt(0)
	ds_write2_b64 v13, v[14:15], v[16:17] offset1:1
	s_waitcnt lgkmcnt(0)
	s_barrier
	ds_read_b128 v[14:17], v12
	ds_read_b128 v[18:21], v12 offset:16
	ds_read_b128 v[22:25], v12 offset:32
	;; [unrolled: 1-line block ×3, first 2 shown]
	ds_read_b128 v[30:33], v10
	s_waitcnt lgkmcnt(0)
	v_mul_f64 v[34:35], v[16:17], v[32:33]
	v_fma_f64 v[34:35], v[14:15], v[30:31], -v[34:35]
	v_mul_f64 v[14:15], v[14:15], v[32:33]
	v_fma_f64 v[14:15], v[16:17], v[30:31], v[14:15]
	v_add_f64 v[16:17], v[5:6], v[34:35]
	v_add_f64 v[14:15], v[7:8], v[14:15]
	ds_read_b128 v[5:8], v10 offset:256
	s_waitcnt lgkmcnt(0)
	v_mul_f64 v[30:31], v[20:21], v[7:8]
	v_mul_f64 v[7:8], v[18:19], v[7:8]
	v_fma_f64 v[30:31], v[18:19], v[5:6], -v[30:31]
	v_fma_f64 v[5:6], v[20:21], v[5:6], v[7:8]
	v_add_f64 v[16:17], v[16:17], v[30:31]
	v_add_f64 v[14:15], v[14:15], v[5:6]
	ds_read_b128 v[5:8], v10 offset:512
	s_waitcnt lgkmcnt(0)
	v_mul_f64 v[18:19], v[24:25], v[7:8]
	v_mul_f64 v[7:8], v[22:23], v[7:8]
	v_fma_f64 v[18:19], v[22:23], v[5:6], -v[18:19]
	;; [unrolled: 8-line block ×3, first 2 shown]
	v_fma_f64 v[5:6], v[28:29], v[5:6], v[7:8]
	v_add_f64 v[18:19], v[16:17], v[18:19]
	v_add_f64 v[20:21], v[14:15], v[5:6]
	ds_read_b128 v[5:8], v12 offset:64
	ds_read_b128 v[14:17], v10 offset:1024
	s_waitcnt lgkmcnt(0)
	v_mul_f64 v[22:23], v[7:8], v[16:17]
	v_fma_f64 v[22:23], v[5:6], v[14:15], -v[22:23]
	v_mul_f64 v[5:6], v[5:6], v[16:17]
	v_add_f64 v[18:19], v[18:19], v[22:23]
	v_fma_f64 v[5:6], v[7:8], v[14:15], v[5:6]
	v_add_f64 v[20:21], v[20:21], v[5:6]
	ds_read_b128 v[5:8], v12 offset:80
	ds_read_b128 v[14:17], v10 offset:1280
	s_waitcnt lgkmcnt(0)
	v_mul_f64 v[22:23], v[7:8], v[16:17]
	v_fma_f64 v[22:23], v[5:6], v[14:15], -v[22:23]
	v_mul_f64 v[5:6], v[5:6], v[16:17]
	v_add_f64 v[18:19], v[18:19], v[22:23]
	v_fma_f64 v[5:6], v[7:8], v[14:15], v[5:6]
	;; [unrolled: 9-line block ×11, first 2 shown]
	v_add_f64 v[20:21], v[20:21], v[5:6]
	ds_read_b128 v[5:8], v12 offset:240
	ds_read_b128 v[14:17], v10 offset:3840
	s_waitcnt lgkmcnt(0)
	s_barrier
	v_mul_f64 v[22:23], v[7:8], v[16:17]
	v_fma_f64 v[22:23], v[5:6], v[14:15], -v[22:23]
	v_mul_f64 v[5:6], v[5:6], v[16:17]
	v_fma_f64 v[7:8], v[7:8], v[14:15], v[5:6]
	v_add_f64 v[5:6], v[18:19], v[22:23]
	v_add_f64 v[7:8], v[20:21], v[7:8]
	s_cbranch_scc1 .LBB279_2
; %bb.3:
	v_cmp_le_i32_e32 vcc, v2, v9
	s_and_saveexec_b64 s[6:7], vcc
	s_cbranch_execz .LBB279_5
.LBB279_4:
	s_load_dwordx2 s[6:7], s[4:5], 0x68
	s_load_dword s9, s[4:5], 0x60
	v_ashrrev_i32_e32 v3, 31, v2
	v_mul_f64 v[11:12], s[2:3], v[7:8]
	v_mul_f64 v[7:8], s[0:1], v[7:8]
	s_waitcnt lgkmcnt(0)
	s_mul_i32 s5, s7, s8
	s_mul_hi_u32 s7, s6, s8
	s_mul_i32 s4, s6, s8
	s_add_i32 s5, s7, s5
	v_mad_i64_i32 v[0:1], s[6:7], s9, v9, 0
	s_lshl_b64 s[4:5], s[4:5], 4
	s_add_u32 s4, s18, s4
	v_lshlrev_b64 v[0:1], 4, v[0:1]
	s_addc_u32 s5, s19, s5
	v_mov_b32_e32 v4, s5
	v_add_co_u32_e32 v9, vcc, s4, v0
	v_addc_co_u32_e32 v4, vcc, v4, v1, vcc
	v_lshlrev_b64 v[0:1], 4, v[2:3]
	v_fma_f64 v[11:12], s[0:1], v[5:6], -v[11:12]
	v_add_co_u32_e32 v9, vcc, v9, v0
	v_addc_co_u32_e32 v10, vcc, v4, v1, vcc
	global_load_dwordx4 v[0:3], v[9:10], off
	v_fma_f64 v[4:5], s[2:3], v[5:6], v[7:8]
	s_waitcnt vmcnt(0)
	v_mul_f64 v[13:14], s[16:17], v[2:3]
	v_mul_f64 v[2:3], s[14:15], v[2:3]
	v_fma_f64 v[6:7], s[14:15], v[0:1], -v[13:14]
	v_fma_f64 v[2:3], s[16:17], v[0:1], v[2:3]
	v_add_f64 v[0:1], v[11:12], v[6:7]
	v_add_f64 v[2:3], v[4:5], v[2:3]
	global_store_dwordx4 v[9:10], v[0:3], off
.LBB279_5:
	s_endpgm
.LBB279_6:
	v_mov_b32_e32 v7, 0
	v_mov_b32_e32 v5, 0
	;; [unrolled: 1-line block ×4, first 2 shown]
	v_cmp_le_i32_e32 vcc, v2, v9
	s_and_saveexec_b64 s[6:7], vcc
	s_cbranch_execnz .LBB279_4
	s_branch .LBB279_5
	.section	.rodata,"a",@progbits
	.p2align	6, 0x0
	.amdhsa_kernel _ZL41rocblas_syrkx_herkx_small_restrict_kernelIi19rocblas_complex_numIdELi16ELb0ELb0ELc67ELc85EKS1_S1_EviT_T0_PT6_S3_lS6_S3_lS4_PT7_S3_li
		.amdhsa_group_segment_fixed_size 8192
		.amdhsa_private_segment_fixed_size 0
		.amdhsa_kernarg_size 116
		.amdhsa_user_sgpr_count 6
		.amdhsa_user_sgpr_private_segment_buffer 1
		.amdhsa_user_sgpr_dispatch_ptr 0
		.amdhsa_user_sgpr_queue_ptr 0
		.amdhsa_user_sgpr_kernarg_segment_ptr 1
		.amdhsa_user_sgpr_dispatch_id 0
		.amdhsa_user_sgpr_flat_scratch_init 0
		.amdhsa_user_sgpr_private_segment_size 0
		.amdhsa_uses_dynamic_stack 0
		.amdhsa_system_sgpr_private_segment_wavefront_offset 0
		.amdhsa_system_sgpr_workgroup_id_x 1
		.amdhsa_system_sgpr_workgroup_id_y 1
		.amdhsa_system_sgpr_workgroup_id_z 1
		.amdhsa_system_sgpr_workgroup_info 0
		.amdhsa_system_vgpr_workitem_id 1
		.amdhsa_next_free_vgpr 36
		.amdhsa_next_free_sgpr 61
		.amdhsa_reserve_vcc 1
		.amdhsa_reserve_flat_scratch 0
		.amdhsa_float_round_mode_32 0
		.amdhsa_float_round_mode_16_64 0
		.amdhsa_float_denorm_mode_32 3
		.amdhsa_float_denorm_mode_16_64 3
		.amdhsa_dx10_clamp 1
		.amdhsa_ieee_mode 1
		.amdhsa_fp16_overflow 0
		.amdhsa_exception_fp_ieee_invalid_op 0
		.amdhsa_exception_fp_denorm_src 0
		.amdhsa_exception_fp_ieee_div_zero 0
		.amdhsa_exception_fp_ieee_overflow 0
		.amdhsa_exception_fp_ieee_underflow 0
		.amdhsa_exception_fp_ieee_inexact 0
		.amdhsa_exception_int_div_zero 0
	.end_amdhsa_kernel
	.section	.text._ZL41rocblas_syrkx_herkx_small_restrict_kernelIi19rocblas_complex_numIdELi16ELb0ELb0ELc67ELc85EKS1_S1_EviT_T0_PT6_S3_lS6_S3_lS4_PT7_S3_li,"axG",@progbits,_ZL41rocblas_syrkx_herkx_small_restrict_kernelIi19rocblas_complex_numIdELi16ELb0ELb0ELc67ELc85EKS1_S1_EviT_T0_PT6_S3_lS6_S3_lS4_PT7_S3_li,comdat
.Lfunc_end279:
	.size	_ZL41rocblas_syrkx_herkx_small_restrict_kernelIi19rocblas_complex_numIdELi16ELb0ELb0ELc67ELc85EKS1_S1_EviT_T0_PT6_S3_lS6_S3_lS4_PT7_S3_li, .Lfunc_end279-_ZL41rocblas_syrkx_herkx_small_restrict_kernelIi19rocblas_complex_numIdELi16ELb0ELb0ELc67ELc85EKS1_S1_EviT_T0_PT6_S3_lS6_S3_lS4_PT7_S3_li
                                        ; -- End function
	.set _ZL41rocblas_syrkx_herkx_small_restrict_kernelIi19rocblas_complex_numIdELi16ELb0ELb0ELc67ELc85EKS1_S1_EviT_T0_PT6_S3_lS6_S3_lS4_PT7_S3_li.num_vgpr, 36
	.set _ZL41rocblas_syrkx_herkx_small_restrict_kernelIi19rocblas_complex_numIdELi16ELb0ELb0ELc67ELc85EKS1_S1_EviT_T0_PT6_S3_lS6_S3_lS4_PT7_S3_li.num_agpr, 0
	.set _ZL41rocblas_syrkx_herkx_small_restrict_kernelIi19rocblas_complex_numIdELi16ELb0ELb0ELc67ELc85EKS1_S1_EviT_T0_PT6_S3_lS6_S3_lS4_PT7_S3_li.numbered_sgpr, 28
	.set _ZL41rocblas_syrkx_herkx_small_restrict_kernelIi19rocblas_complex_numIdELi16ELb0ELb0ELc67ELc85EKS1_S1_EviT_T0_PT6_S3_lS6_S3_lS4_PT7_S3_li.num_named_barrier, 0
	.set _ZL41rocblas_syrkx_herkx_small_restrict_kernelIi19rocblas_complex_numIdELi16ELb0ELb0ELc67ELc85EKS1_S1_EviT_T0_PT6_S3_lS6_S3_lS4_PT7_S3_li.private_seg_size, 0
	.set _ZL41rocblas_syrkx_herkx_small_restrict_kernelIi19rocblas_complex_numIdELi16ELb0ELb0ELc67ELc85EKS1_S1_EviT_T0_PT6_S3_lS6_S3_lS4_PT7_S3_li.uses_vcc, 1
	.set _ZL41rocblas_syrkx_herkx_small_restrict_kernelIi19rocblas_complex_numIdELi16ELb0ELb0ELc67ELc85EKS1_S1_EviT_T0_PT6_S3_lS6_S3_lS4_PT7_S3_li.uses_flat_scratch, 0
	.set _ZL41rocblas_syrkx_herkx_small_restrict_kernelIi19rocblas_complex_numIdELi16ELb0ELb0ELc67ELc85EKS1_S1_EviT_T0_PT6_S3_lS6_S3_lS4_PT7_S3_li.has_dyn_sized_stack, 0
	.set _ZL41rocblas_syrkx_herkx_small_restrict_kernelIi19rocblas_complex_numIdELi16ELb0ELb0ELc67ELc85EKS1_S1_EviT_T0_PT6_S3_lS6_S3_lS4_PT7_S3_li.has_recursion, 0
	.set _ZL41rocblas_syrkx_herkx_small_restrict_kernelIi19rocblas_complex_numIdELi16ELb0ELb0ELc67ELc85EKS1_S1_EviT_T0_PT6_S3_lS6_S3_lS4_PT7_S3_li.has_indirect_call, 0
	.section	.AMDGPU.csdata,"",@progbits
; Kernel info:
; codeLenInByte = 1700
; TotalNumSgprs: 32
; NumVgprs: 36
; ScratchSize: 0
; MemoryBound: 0
; FloatMode: 240
; IeeeMode: 1
; LDSByteSize: 8192 bytes/workgroup (compile time only)
; SGPRBlocks: 8
; VGPRBlocks: 8
; NumSGPRsForWavesPerEU: 65
; NumVGPRsForWavesPerEU: 36
; Occupancy: 7
; WaveLimiterHint : 0
; COMPUTE_PGM_RSRC2:SCRATCH_EN: 0
; COMPUTE_PGM_RSRC2:USER_SGPR: 6
; COMPUTE_PGM_RSRC2:TRAP_HANDLER: 0
; COMPUTE_PGM_RSRC2:TGID_X_EN: 1
; COMPUTE_PGM_RSRC2:TGID_Y_EN: 1
; COMPUTE_PGM_RSRC2:TGID_Z_EN: 1
; COMPUTE_PGM_RSRC2:TIDIG_COMP_CNT: 1
	.section	.text._ZL41rocblas_syrkx_herkx_small_restrict_kernelIi19rocblas_complex_numIdELi16ELb0ELb0ELc78ELc85EKS1_S1_EviT_T0_PT6_S3_lS6_S3_lS4_PT7_S3_li,"axG",@progbits,_ZL41rocblas_syrkx_herkx_small_restrict_kernelIi19rocblas_complex_numIdELi16ELb0ELb0ELc78ELc85EKS1_S1_EviT_T0_PT6_S3_lS6_S3_lS4_PT7_S3_li,comdat
	.globl	_ZL41rocblas_syrkx_herkx_small_restrict_kernelIi19rocblas_complex_numIdELi16ELb0ELb0ELc78ELc85EKS1_S1_EviT_T0_PT6_S3_lS6_S3_lS4_PT7_S3_li ; -- Begin function _ZL41rocblas_syrkx_herkx_small_restrict_kernelIi19rocblas_complex_numIdELi16ELb0ELb0ELc78ELc85EKS1_S1_EviT_T0_PT6_S3_lS6_S3_lS4_PT7_S3_li
	.p2align	8
	.type	_ZL41rocblas_syrkx_herkx_small_restrict_kernelIi19rocblas_complex_numIdELi16ELb0ELb0ELc78ELc85EKS1_S1_EviT_T0_PT6_S3_lS6_S3_lS4_PT7_S3_li,@function
_ZL41rocblas_syrkx_herkx_small_restrict_kernelIi19rocblas_complex_numIdELi16ELb0ELb0ELc78ELc85EKS1_S1_EviT_T0_PT6_S3_lS6_S3_lS4_PT7_S3_li: ; @_ZL41rocblas_syrkx_herkx_small_restrict_kernelIi19rocblas_complex_numIdELi16ELb0ELb0ELc78ELc85EKS1_S1_EviT_T0_PT6_S3_lS6_S3_lS4_PT7_S3_li
; %bb.0:
	s_load_dword s9, s[4:5], 0x4
	s_load_dwordx4 s[0:3], s[4:5], 0x8
	s_load_dwordx2 s[10:11], s[4:5], 0x18
	s_load_dwordx8 s[12:19], s[4:5], 0x40
	v_lshl_add_u32 v2, s6, 4, v0
	s_mov_b32 s24, 0
	v_lshl_add_u32 v4, s7, 4, v1
	s_waitcnt lgkmcnt(0)
	s_cmp_lt_i32 s9, 1
	v_ashrrev_i32_e32 v3, 31, v2
	s_cbranch_scc1 .LBB280_6
; %bb.1:
	s_load_dword s26, s[4:5], 0x20
	s_load_dword s6, s[4:5], 0x38
	s_load_dwordx4 s[20:23], s[4:5], 0x28
	v_lshlrev_b32_e32 v6, 8, v1
	v_lshlrev_b32_e32 v11, 4, v0
	v_add_u32_e32 v12, v11, v6
	v_add_u32_e32 v13, 0x1000, v6
	s_waitcnt lgkmcnt(0)
	v_mad_i64_i32 v[6:7], s[28:29], s6, v0, 0
	s_mul_i32 s13, s13, s8
	s_mul_hi_u32 s25, s12, s8
	s_add_i32 s13, s25, s13
	s_mul_i32 s12, s12, s8
	v_lshlrev_b64 v[6:7], 4, v[6:7]
	v_ashrrev_i32_e32 v5, 31, v4
	s_lshl_b64 s[12:13], s[12:13], 4
	v_mov_b32_e32 v0, s13
	v_add_co_u32_e32 v8, vcc, s12, v6
	v_lshlrev_b64 v[5:6], 4, v[4:5]
	v_addc_co_u32_e32 v0, vcc, v0, v7, vcc
	v_add_co_u32_e32 v5, vcc, v8, v5
	v_addc_co_u32_e32 v0, vcc, v0, v6, vcc
	v_mov_b32_e32 v6, s23
	v_add_co_u32_e32 v5, vcc, s22, v5
	v_addc_co_u32_e32 v0, vcc, v6, v0, vcc
	v_add_co_u32_e32 v5, vcc, 8, v5
	v_addc_co_u32_e32 v6, vcc, 0, v0, vcc
	v_mad_i64_i32 v[0:1], s[12:13], s26, v1, 0
	s_mul_i32 s21, s21, s8
	s_mul_hi_u32 s22, s20, s8
	s_add_i32 s13, s22, s21
	s_mul_i32 s12, s20, s8
	v_lshlrev_b64 v[0:1], 4, v[0:1]
	s_lshl_b64 s[12:13], s[12:13], 4
	v_mov_b32_e32 v7, s13
	v_add_co_u32_e32 v8, vcc, s12, v0
	v_addc_co_u32_e32 v7, vcc, v7, v1, vcc
	v_lshlrev_b64 v[0:1], 4, v[2:3]
	s_ashr_i32 s27, s26, 31
	v_add_co_u32_e32 v0, vcc, v8, v0
	v_addc_co_u32_e32 v1, vcc, v7, v1, vcc
	s_ashr_i32 s7, s6, 31
	v_mov_b32_e32 v7, s11
	v_add_co_u32_e32 v0, vcc, s10, v0
	s_lshl_b64 s[6:7], s[6:7], 8
	v_addc_co_u32_e32 v1, vcc, v7, v1, vcc
	s_lshl_b64 s[10:11], s[26:27], 8
	v_mov_b32_e32 v7, 0
	v_mov_b32_e32 v9, 0
	;; [unrolled: 1-line block ×6, first 2 shown]
.LBB280_2:                              ; =>This Inner Loop Header: Depth=1
	global_load_dwordx4 v[16:19], v[0:1], off
	v_add_u32_e32 v20, v13, v11
	s_add_i32 s24, s24, 16
	s_cmp_lt_i32 s24, s9
	s_waitcnt vmcnt(0)
	ds_write2_b64 v12, v[16:17], v[18:19] offset1:1
	global_load_dwordx4 v[16:19], v[5:6], off offset:-8
	v_add_co_u32_e32 v5, vcc, s6, v5
	v_addc_co_u32_e32 v6, vcc, v6, v14, vcc
	v_add_co_u32_e32 v0, vcc, s10, v0
	v_addc_co_u32_e32 v1, vcc, v1, v15, vcc
	s_waitcnt vmcnt(0)
	ds_write_b128 v20, v[16:19]
	s_waitcnt lgkmcnt(0)
	s_barrier
	ds_read_b128 v[16:19], v13
	ds_read_b128 v[20:23], v13 offset:16
	ds_read_b128 v[24:27], v13 offset:32
	;; [unrolled: 1-line block ×3, first 2 shown]
	ds_read_b128 v[32:35], v11
	s_waitcnt lgkmcnt(0)
	v_mul_f64 v[36:37], v[18:19], v[34:35]
	v_fma_f64 v[36:37], v[16:17], v[32:33], -v[36:37]
	v_mul_f64 v[16:17], v[16:17], v[34:35]
	v_fma_f64 v[16:17], v[18:19], v[32:33], v[16:17]
	v_add_f64 v[18:19], v[9:10], v[36:37]
	v_add_f64 v[16:17], v[7:8], v[16:17]
	ds_read_b128 v[7:10], v11 offset:256
	s_waitcnt lgkmcnt(0)
	v_mul_f64 v[32:33], v[22:23], v[9:10]
	v_mul_f64 v[9:10], v[20:21], v[9:10]
	v_fma_f64 v[32:33], v[20:21], v[7:8], -v[32:33]
	v_fma_f64 v[7:8], v[22:23], v[7:8], v[9:10]
	v_add_f64 v[18:19], v[18:19], v[32:33]
	v_add_f64 v[16:17], v[16:17], v[7:8]
	ds_read_b128 v[7:10], v11 offset:512
	s_waitcnt lgkmcnt(0)
	v_mul_f64 v[20:21], v[26:27], v[9:10]
	v_mul_f64 v[9:10], v[24:25], v[9:10]
	v_fma_f64 v[20:21], v[24:25], v[7:8], -v[20:21]
	;; [unrolled: 8-line block ×3, first 2 shown]
	v_fma_f64 v[7:8], v[30:31], v[7:8], v[9:10]
	v_add_f64 v[20:21], v[18:19], v[20:21]
	v_add_f64 v[22:23], v[16:17], v[7:8]
	ds_read_b128 v[7:10], v13 offset:64
	ds_read_b128 v[16:19], v11 offset:1024
	s_waitcnt lgkmcnt(0)
	v_mul_f64 v[24:25], v[9:10], v[18:19]
	v_fma_f64 v[24:25], v[7:8], v[16:17], -v[24:25]
	v_mul_f64 v[7:8], v[7:8], v[18:19]
	v_add_f64 v[20:21], v[20:21], v[24:25]
	v_fma_f64 v[7:8], v[9:10], v[16:17], v[7:8]
	v_add_f64 v[22:23], v[22:23], v[7:8]
	ds_read_b128 v[7:10], v13 offset:80
	ds_read_b128 v[16:19], v11 offset:1280
	s_waitcnt lgkmcnt(0)
	v_mul_f64 v[24:25], v[9:10], v[18:19]
	v_fma_f64 v[24:25], v[7:8], v[16:17], -v[24:25]
	v_mul_f64 v[7:8], v[7:8], v[18:19]
	v_add_f64 v[20:21], v[20:21], v[24:25]
	v_fma_f64 v[7:8], v[9:10], v[16:17], v[7:8]
	;; [unrolled: 9-line block ×11, first 2 shown]
	v_add_f64 v[22:23], v[22:23], v[7:8]
	ds_read_b128 v[7:10], v13 offset:240
	ds_read_b128 v[16:19], v11 offset:3840
	s_waitcnt lgkmcnt(0)
	s_barrier
	v_mul_f64 v[24:25], v[9:10], v[18:19]
	v_fma_f64 v[24:25], v[7:8], v[16:17], -v[24:25]
	v_mul_f64 v[7:8], v[7:8], v[18:19]
	v_fma_f64 v[7:8], v[9:10], v[16:17], v[7:8]
	v_add_f64 v[9:10], v[20:21], v[24:25]
	v_add_f64 v[7:8], v[22:23], v[7:8]
	s_cbranch_scc1 .LBB280_2
; %bb.3:
	v_cmp_le_i32_e32 vcc, v2, v4
	s_and_saveexec_b64 s[6:7], vcc
	s_cbranch_execz .LBB280_5
.LBB280_4:
	s_load_dwordx2 s[6:7], s[4:5], 0x68
	s_load_dword s9, s[4:5], 0x60
	v_mul_f64 v[11:12], s[2:3], v[7:8]
	s_waitcnt lgkmcnt(0)
	s_mul_i32 s5, s7, s8
	s_mul_hi_u32 s7, s6, s8
	s_mul_i32 s4, s6, s8
	s_add_i32 s5, s7, s5
	v_mad_i64_i32 v[0:1], s[6:7], s9, v4, 0
	s_lshl_b64 s[4:5], s[4:5], 4
	s_add_u32 s4, s18, s4
	v_lshlrev_b64 v[0:1], 4, v[0:1]
	s_addc_u32 s5, s19, s5
	v_mov_b32_e32 v4, s5
	v_add_co_u32_e32 v5, vcc, s4, v0
	v_addc_co_u32_e32 v6, vcc, v4, v1, vcc
	v_lshlrev_b64 v[0:1], 4, v[2:3]
	v_fma_f64 v[11:12], s[0:1], v[9:10], -v[11:12]
	v_add_co_u32_e32 v4, vcc, v5, v0
	v_addc_co_u32_e32 v5, vcc, v6, v1, vcc
	global_load_dwordx4 v[0:3], v[4:5], off
	v_mul_f64 v[6:7], s[0:1], v[7:8]
	v_fma_f64 v[6:7], s[2:3], v[9:10], v[6:7]
	s_waitcnt vmcnt(0)
	v_mul_f64 v[13:14], s[16:17], v[2:3]
	v_mul_f64 v[2:3], s[14:15], v[2:3]
	v_fma_f64 v[8:9], s[14:15], v[0:1], -v[13:14]
	v_fma_f64 v[2:3], s[16:17], v[0:1], v[2:3]
	v_add_f64 v[0:1], v[11:12], v[8:9]
	v_add_f64 v[2:3], v[6:7], v[2:3]
	global_store_dwordx4 v[4:5], v[0:3], off
.LBB280_5:
	s_endpgm
.LBB280_6:
	v_mov_b32_e32 v7, 0
	v_mov_b32_e32 v9, 0
	v_mov_b32_e32 v8, 0
	v_mov_b32_e32 v10, 0
	v_cmp_le_i32_e32 vcc, v2, v4
	s_and_saveexec_b64 s[6:7], vcc
	s_cbranch_execnz .LBB280_4
	s_branch .LBB280_5
	.section	.rodata,"a",@progbits
	.p2align	6, 0x0
	.amdhsa_kernel _ZL41rocblas_syrkx_herkx_small_restrict_kernelIi19rocblas_complex_numIdELi16ELb0ELb0ELc78ELc85EKS1_S1_EviT_T0_PT6_S3_lS6_S3_lS4_PT7_S3_li
		.amdhsa_group_segment_fixed_size 8192
		.amdhsa_private_segment_fixed_size 0
		.amdhsa_kernarg_size 116
		.amdhsa_user_sgpr_count 6
		.amdhsa_user_sgpr_private_segment_buffer 1
		.amdhsa_user_sgpr_dispatch_ptr 0
		.amdhsa_user_sgpr_queue_ptr 0
		.amdhsa_user_sgpr_kernarg_segment_ptr 1
		.amdhsa_user_sgpr_dispatch_id 0
		.amdhsa_user_sgpr_flat_scratch_init 0
		.amdhsa_user_sgpr_private_segment_size 0
		.amdhsa_uses_dynamic_stack 0
		.amdhsa_system_sgpr_private_segment_wavefront_offset 0
		.amdhsa_system_sgpr_workgroup_id_x 1
		.amdhsa_system_sgpr_workgroup_id_y 1
		.amdhsa_system_sgpr_workgroup_id_z 1
		.amdhsa_system_sgpr_workgroup_info 0
		.amdhsa_system_vgpr_workitem_id 1
		.amdhsa_next_free_vgpr 38
		.amdhsa_next_free_sgpr 61
		.amdhsa_reserve_vcc 1
		.amdhsa_reserve_flat_scratch 0
		.amdhsa_float_round_mode_32 0
		.amdhsa_float_round_mode_16_64 0
		.amdhsa_float_denorm_mode_32 3
		.amdhsa_float_denorm_mode_16_64 3
		.amdhsa_dx10_clamp 1
		.amdhsa_ieee_mode 1
		.amdhsa_fp16_overflow 0
		.amdhsa_exception_fp_ieee_invalid_op 0
		.amdhsa_exception_fp_denorm_src 0
		.amdhsa_exception_fp_ieee_div_zero 0
		.amdhsa_exception_fp_ieee_overflow 0
		.amdhsa_exception_fp_ieee_underflow 0
		.amdhsa_exception_fp_ieee_inexact 0
		.amdhsa_exception_int_div_zero 0
	.end_amdhsa_kernel
	.section	.text._ZL41rocblas_syrkx_herkx_small_restrict_kernelIi19rocblas_complex_numIdELi16ELb0ELb0ELc78ELc85EKS1_S1_EviT_T0_PT6_S3_lS6_S3_lS4_PT7_S3_li,"axG",@progbits,_ZL41rocblas_syrkx_herkx_small_restrict_kernelIi19rocblas_complex_numIdELi16ELb0ELb0ELc78ELc85EKS1_S1_EviT_T0_PT6_S3_lS6_S3_lS4_PT7_S3_li,comdat
.Lfunc_end280:
	.size	_ZL41rocblas_syrkx_herkx_small_restrict_kernelIi19rocblas_complex_numIdELi16ELb0ELb0ELc78ELc85EKS1_S1_EviT_T0_PT6_S3_lS6_S3_lS4_PT7_S3_li, .Lfunc_end280-_ZL41rocblas_syrkx_herkx_small_restrict_kernelIi19rocblas_complex_numIdELi16ELb0ELb0ELc78ELc85EKS1_S1_EviT_T0_PT6_S3_lS6_S3_lS4_PT7_S3_li
                                        ; -- End function
	.set _ZL41rocblas_syrkx_herkx_small_restrict_kernelIi19rocblas_complex_numIdELi16ELb0ELb0ELc78ELc85EKS1_S1_EviT_T0_PT6_S3_lS6_S3_lS4_PT7_S3_li.num_vgpr, 38
	.set _ZL41rocblas_syrkx_herkx_small_restrict_kernelIi19rocblas_complex_numIdELi16ELb0ELb0ELc78ELc85EKS1_S1_EviT_T0_PT6_S3_lS6_S3_lS4_PT7_S3_li.num_agpr, 0
	.set _ZL41rocblas_syrkx_herkx_small_restrict_kernelIi19rocblas_complex_numIdELi16ELb0ELb0ELc78ELc85EKS1_S1_EviT_T0_PT6_S3_lS6_S3_lS4_PT7_S3_li.numbered_sgpr, 30
	.set _ZL41rocblas_syrkx_herkx_small_restrict_kernelIi19rocblas_complex_numIdELi16ELb0ELb0ELc78ELc85EKS1_S1_EviT_T0_PT6_S3_lS6_S3_lS4_PT7_S3_li.num_named_barrier, 0
	.set _ZL41rocblas_syrkx_herkx_small_restrict_kernelIi19rocblas_complex_numIdELi16ELb0ELb0ELc78ELc85EKS1_S1_EviT_T0_PT6_S3_lS6_S3_lS4_PT7_S3_li.private_seg_size, 0
	.set _ZL41rocblas_syrkx_herkx_small_restrict_kernelIi19rocblas_complex_numIdELi16ELb0ELb0ELc78ELc85EKS1_S1_EviT_T0_PT6_S3_lS6_S3_lS4_PT7_S3_li.uses_vcc, 1
	.set _ZL41rocblas_syrkx_herkx_small_restrict_kernelIi19rocblas_complex_numIdELi16ELb0ELb0ELc78ELc85EKS1_S1_EviT_T0_PT6_S3_lS6_S3_lS4_PT7_S3_li.uses_flat_scratch, 0
	.set _ZL41rocblas_syrkx_herkx_small_restrict_kernelIi19rocblas_complex_numIdELi16ELb0ELb0ELc78ELc85EKS1_S1_EviT_T0_PT6_S3_lS6_S3_lS4_PT7_S3_li.has_dyn_sized_stack, 0
	.set _ZL41rocblas_syrkx_herkx_small_restrict_kernelIi19rocblas_complex_numIdELi16ELb0ELb0ELc78ELc85EKS1_S1_EviT_T0_PT6_S3_lS6_S3_lS4_PT7_S3_li.has_recursion, 0
	.set _ZL41rocblas_syrkx_herkx_small_restrict_kernelIi19rocblas_complex_numIdELi16ELb0ELb0ELc78ELc85EKS1_S1_EviT_T0_PT6_S3_lS6_S3_lS4_PT7_S3_li.has_indirect_call, 0
	.section	.AMDGPU.csdata,"",@progbits
; Kernel info:
; codeLenInByte = 1732
; TotalNumSgprs: 34
; NumVgprs: 38
; ScratchSize: 0
; MemoryBound: 0
; FloatMode: 240
; IeeeMode: 1
; LDSByteSize: 8192 bytes/workgroup (compile time only)
; SGPRBlocks: 8
; VGPRBlocks: 9
; NumSGPRsForWavesPerEU: 65
; NumVGPRsForWavesPerEU: 38
; Occupancy: 6
; WaveLimiterHint : 0
; COMPUTE_PGM_RSRC2:SCRATCH_EN: 0
; COMPUTE_PGM_RSRC2:USER_SGPR: 6
; COMPUTE_PGM_RSRC2:TRAP_HANDLER: 0
; COMPUTE_PGM_RSRC2:TGID_X_EN: 1
; COMPUTE_PGM_RSRC2:TGID_Y_EN: 1
; COMPUTE_PGM_RSRC2:TGID_Z_EN: 1
; COMPUTE_PGM_RSRC2:TIDIG_COMP_CNT: 1
	.section	.text._ZL32rocblas_syrkx_herkx_small_kernelIi19rocblas_complex_numIdELi16ELb1ELb0ELc84ELc76EKS1_S1_EviT_T0_PT6_S3_lS6_S3_lS4_PT7_S3_li,"axG",@progbits,_ZL32rocblas_syrkx_herkx_small_kernelIi19rocblas_complex_numIdELi16ELb1ELb0ELc84ELc76EKS1_S1_EviT_T0_PT6_S3_lS6_S3_lS4_PT7_S3_li,comdat
	.globl	_ZL32rocblas_syrkx_herkx_small_kernelIi19rocblas_complex_numIdELi16ELb1ELb0ELc84ELc76EKS1_S1_EviT_T0_PT6_S3_lS6_S3_lS4_PT7_S3_li ; -- Begin function _ZL32rocblas_syrkx_herkx_small_kernelIi19rocblas_complex_numIdELi16ELb1ELb0ELc84ELc76EKS1_S1_EviT_T0_PT6_S3_lS6_S3_lS4_PT7_S3_li
	.p2align	8
	.type	_ZL32rocblas_syrkx_herkx_small_kernelIi19rocblas_complex_numIdELi16ELb1ELb0ELc84ELc76EKS1_S1_EviT_T0_PT6_S3_lS6_S3_lS4_PT7_S3_li,@function
_ZL32rocblas_syrkx_herkx_small_kernelIi19rocblas_complex_numIdELi16ELb1ELb0ELc84ELc76EKS1_S1_EviT_T0_PT6_S3_lS6_S3_lS4_PT7_S3_li: ; @_ZL32rocblas_syrkx_herkx_small_kernelIi19rocblas_complex_numIdELi16ELb1ELb0ELc84ELc76EKS1_S1_EviT_T0_PT6_S3_lS6_S3_lS4_PT7_S3_li
; %bb.0:
	s_load_dwordx2 s[10:11], s[4:5], 0x0
	s_load_dwordx4 s[12:15], s[4:5], 0x8
	s_load_dwordx2 s[16:17], s[4:5], 0x18
	v_lshl_add_u32 v6, s6, 4, v0
	s_mov_b32 s9, 0
	v_lshl_add_u32 v15, s7, 4, v1
	s_waitcnt lgkmcnt(0)
	s_cmp_lt_i32 s11, 1
	v_cmp_gt_i32_e32 vcc, s10, v6
	s_cbranch_scc1 .LBB281_11
; %bb.1:
	s_load_dword s6, s[4:5], 0x20
	s_load_dwordx4 s[20:23], s[4:5], 0x28
	s_load_dword s0, s[4:5], 0x38
	s_load_dwordx2 s[2:3], s[4:5], 0x40
	v_lshlrev_b32_e32 v4, 8, v1
	v_lshlrev_b32_e32 v16, 4, v0
	v_add_u32_e32 v17, v16, v4
	s_waitcnt lgkmcnt(0)
	v_mad_i64_i32 v[2:3], s[0:1], s0, v15, 0
	s_mul_i32 s3, s3, s8
	s_mul_hi_u32 s7, s2, s8
	v_lshlrev_b64 v[2:3], 4, v[2:3]
	s_add_i32 s3, s7, s3
	s_mul_i32 s2, s2, s8
	s_lshl_b64 s[2:3], s[2:3], 4
	v_add_u32_e32 v18, 0x1000, v4
	v_mov_b32_e32 v4, s3
	v_add_co_u32_e64 v2, s[2:3], s2, v2
	v_addc_co_u32_e64 v3, s[2:3], v3, v4, s[2:3]
	v_add_co_u32_e64 v4, s[2:3], v2, v16
	v_addc_co_u32_e64 v5, s[2:3], 0, v3, s[2:3]
	v_mad_i64_i32 v[2:3], s[2:3], s6, v6, 0
	v_mov_b32_e32 v8, s23
	v_add_co_u32_e64 v7, s[2:3], s22, v4
	v_addc_co_u32_e64 v8, s[2:3], v8, v5, s[2:3]
	s_mul_i32 s2, s21, s8
	s_mul_hi_u32 s3, s20, s8
	v_lshlrev_b64 v[2:3], 4, v[2:3]
	s_add_i32 s3, s3, s2
	s_mul_i32 s2, s20, s8
	s_lshl_b64 s[2:3], s[2:3], 4
	v_mov_b32_e32 v4, s3
	v_add_co_u32_e64 v2, s[2:3], s2, v2
	v_addc_co_u32_e64 v3, s[2:3], v3, v4, s[2:3]
	v_lshlrev_b32_e32 v4, 4, v1
	v_add_co_u32_e64 v2, s[2:3], v2, v4
	v_addc_co_u32_e64 v3, s[2:3], 0, v3, s[2:3]
	v_mov_b32_e32 v4, s17
	v_add_co_u32_e64 v9, s[2:3], s16, v2
	v_cmp_gt_i32_e64 s[0:1], s10, v15
	v_addc_co_u32_e64 v10, s[2:3], v4, v3, s[2:3]
	v_mov_b32_e32 v13, 0
	v_mov_b32_e32 v11, 0
	v_add_u32_e32 v19, v18, v16
	v_mov_b32_e32 v14, 0
	s_xor_b64 s[2:3], vcc, -1
	s_xor_b64 s[0:1], s[0:1], -1
	v_mov_b32_e32 v12, 0
	v_mov_b32_e32 v2, 0
	s_branch .LBB281_3
.LBB281_2:                              ;   in Loop: Header=BB281_3 Depth=1
	s_or_b64 exec, exec, s[6:7]
	s_waitcnt lgkmcnt(0)
	s_barrier
	ds_read_b128 v[20:23], v18
	ds_read_b128 v[24:27], v18 offset:16
	ds_read_b128 v[28:31], v18 offset:32
	;; [unrolled: 1-line block ×3, first 2 shown]
	ds_read_b128 v[36:39], v16
	v_add_co_u32_e32 v7, vcc, 0x100, v7
	v_addc_co_u32_e32 v8, vcc, 0, v8, vcc
	s_waitcnt lgkmcnt(0)
	v_mul_f64 v[3:4], v[22:23], v[38:39]
	s_add_i32 s9, s9, 16
	v_add_co_u32_e32 v9, vcc, 0x100, v9
	v_addc_co_u32_e32 v10, vcc, 0, v10, vcc
	s_cmp_ge_i32 s9, s11
	v_fma_f64 v[3:4], v[20:21], v[36:37], -v[3:4]
	v_mul_f64 v[20:21], v[20:21], v[38:39]
	v_add_f64 v[3:4], v[11:12], v[3:4]
	v_fma_f64 v[20:21], v[22:23], v[36:37], v[20:21]
	v_add_f64 v[20:21], v[13:14], v[20:21]
	ds_read_b128 v[11:14], v16 offset:256
	s_waitcnt lgkmcnt(0)
	v_mul_f64 v[22:23], v[26:27], v[13:14]
	v_mul_f64 v[13:14], v[24:25], v[13:14]
	v_fma_f64 v[22:23], v[24:25], v[11:12], -v[22:23]
	v_fma_f64 v[11:12], v[26:27], v[11:12], v[13:14]
	v_add_f64 v[3:4], v[3:4], v[22:23]
	v_add_f64 v[20:21], v[20:21], v[11:12]
	ds_read_b128 v[11:14], v16 offset:512
	s_waitcnt lgkmcnt(0)
	v_mul_f64 v[22:23], v[30:31], v[13:14]
	v_mul_f64 v[13:14], v[28:29], v[13:14]
	v_fma_f64 v[22:23], v[28:29], v[11:12], -v[22:23]
	v_fma_f64 v[11:12], v[30:31], v[11:12], v[13:14]
	v_add_f64 v[3:4], v[3:4], v[22:23]
	;; [unrolled: 8-line block ×3, first 2 shown]
	v_add_f64 v[24:25], v[20:21], v[11:12]
	ds_read_b128 v[11:14], v18 offset:64
	ds_read_b128 v[20:23], v16 offset:1024
	s_waitcnt lgkmcnt(0)
	v_mul_f64 v[26:27], v[13:14], v[22:23]
	v_fma_f64 v[26:27], v[11:12], v[20:21], -v[26:27]
	v_mul_f64 v[11:12], v[11:12], v[22:23]
	v_add_f64 v[3:4], v[3:4], v[26:27]
	v_fma_f64 v[11:12], v[13:14], v[20:21], v[11:12]
	v_add_f64 v[24:25], v[24:25], v[11:12]
	ds_read_b128 v[11:14], v18 offset:80
	ds_read_b128 v[20:23], v16 offset:1280
	s_waitcnt lgkmcnt(0)
	v_mul_f64 v[26:27], v[13:14], v[22:23]
	v_fma_f64 v[26:27], v[11:12], v[20:21], -v[26:27]
	v_mul_f64 v[11:12], v[11:12], v[22:23]
	v_add_f64 v[3:4], v[3:4], v[26:27]
	v_fma_f64 v[11:12], v[13:14], v[20:21], v[11:12]
	;; [unrolled: 9-line block ×11, first 2 shown]
	v_add_f64 v[24:25], v[24:25], v[11:12]
	ds_read_b128 v[11:14], v18 offset:240
	ds_read_b128 v[20:23], v16 offset:3840
	s_waitcnt lgkmcnt(0)
	s_barrier
	v_mul_f64 v[26:27], v[13:14], v[22:23]
	v_fma_f64 v[26:27], v[11:12], v[20:21], -v[26:27]
	v_mul_f64 v[11:12], v[11:12], v[22:23]
	v_fma_f64 v[13:14], v[13:14], v[20:21], v[11:12]
	v_add_f64 v[11:12], v[3:4], v[26:27]
	v_add_f64 v[13:14], v[24:25], v[13:14]
	s_cbranch_scc1 .LBB281_12
.LBB281_3:                              ; =>This Inner Loop Header: Depth=1
	v_add_u32_e32 v3, s9, v1
	v_cmp_le_i32_e32 vcc, s11, v3
	s_or_b64 s[6:7], s[2:3], vcc
	s_and_saveexec_b64 s[16:17], s[6:7]
	s_xor_b64 s[6:7], exec, s[16:17]
; %bb.4:                                ;   in Loop: Header=BB281_3 Depth=1
	v_mov_b32_e32 v3, v2
	v_mov_b32_e32 v4, v2
	;; [unrolled: 1-line block ×3, first 2 shown]
	ds_write_b128 v17, v[2:5]
; %bb.5:                                ;   in Loop: Header=BB281_3 Depth=1
	s_andn2_saveexec_b64 s[6:7], s[6:7]
	s_cbranch_execz .LBB281_7
; %bb.6:                                ;   in Loop: Header=BB281_3 Depth=1
	global_load_dwordx4 v[20:23], v[9:10], off
	s_waitcnt vmcnt(0)
	ds_write2_b64 v17, v[20:21], v[22:23] offset1:1
.LBB281_7:                              ;   in Loop: Header=BB281_3 Depth=1
	s_or_b64 exec, exec, s[6:7]
	v_add_u32_e32 v3, s9, v0
	v_cmp_le_i32_e32 vcc, s11, v3
	s_or_b64 s[6:7], s[0:1], vcc
	s_and_saveexec_b64 s[16:17], s[6:7]
	s_xor_b64 s[6:7], exec, s[16:17]
; %bb.8:                                ;   in Loop: Header=BB281_3 Depth=1
	v_mov_b32_e32 v3, v2
	v_mov_b32_e32 v4, v2
	;; [unrolled: 1-line block ×3, first 2 shown]
	ds_write_b128 v19, v[2:5]
; %bb.9:                                ;   in Loop: Header=BB281_3 Depth=1
	s_andn2_saveexec_b64 s[6:7], s[6:7]
	s_cbranch_execz .LBB281_2
; %bb.10:                               ;   in Loop: Header=BB281_3 Depth=1
	global_load_dwordx4 v[20:23], v[7:8], off
	s_waitcnt vmcnt(0)
	ds_write2_b64 v19, v[20:21], v[22:23] offset1:1
	s_branch .LBB281_2
.LBB281_11:
	v_mov_b32_e32 v13, 0
	v_mov_b32_e32 v11, 0
	v_mov_b32_e32 v14, 0
	v_mov_b32_e32 v12, 0
.LBB281_12:
	v_cmp_le_i32_e32 vcc, v15, v6
	v_cmp_gt_i32_e64 s[0:1], s10, v6
	s_and_b64 s[0:1], vcc, s[0:1]
	s_and_saveexec_b64 s[2:3], s[0:1]
	s_cbranch_execz .LBB281_14
; %bb.13:
	s_load_dwordx2 s[0:1], s[4:5], 0x68
	s_load_dwordx2 s[2:3], s[4:5], 0x58
	s_load_dword s6, s[4:5], 0x60
	v_mul_f64 v[0:1], s[14:15], v[13:14]
	v_mul_f64 v[2:3], s[12:13], v[13:14]
	s_waitcnt lgkmcnt(0)
	s_mul_i32 s1, s1, s8
	s_mul_hi_u32 s4, s0, s8
	s_add_i32 s1, s4, s1
	s_mul_i32 s0, s0, s8
	s_lshl_b64 s[0:1], s[0:1], 4
	s_add_u32 s2, s2, s0
	s_addc_u32 s3, s3, s1
	v_mad_i64_i32 v[4:5], s[0:1], s6, v15, 0
	v_fma_f64 v[0:1], s[12:13], v[11:12], -v[0:1]
	v_fma_f64 v[2:3], s[14:15], v[11:12], v[2:3]
	v_lshlrev_b64 v[4:5], 4, v[4:5]
	v_ashrrev_i32_e32 v7, 31, v6
	v_mov_b32_e32 v8, s3
	v_add_co_u32_e32 v9, vcc, s2, v4
	v_addc_co_u32_e32 v8, vcc, v8, v5, vcc
	v_lshlrev_b64 v[4:5], 4, v[6:7]
	v_add_co_u32_e32 v4, vcc, v9, v4
	v_addc_co_u32_e32 v5, vcc, v8, v5, vcc
	global_store_dwordx4 v[4:5], v[0:3], off
.LBB281_14:
	s_endpgm
	.section	.rodata,"a",@progbits
	.p2align	6, 0x0
	.amdhsa_kernel _ZL32rocblas_syrkx_herkx_small_kernelIi19rocblas_complex_numIdELi16ELb1ELb0ELc84ELc76EKS1_S1_EviT_T0_PT6_S3_lS6_S3_lS4_PT7_S3_li
		.amdhsa_group_segment_fixed_size 8192
		.amdhsa_private_segment_fixed_size 0
		.amdhsa_kernarg_size 116
		.amdhsa_user_sgpr_count 6
		.amdhsa_user_sgpr_private_segment_buffer 1
		.amdhsa_user_sgpr_dispatch_ptr 0
		.amdhsa_user_sgpr_queue_ptr 0
		.amdhsa_user_sgpr_kernarg_segment_ptr 1
		.amdhsa_user_sgpr_dispatch_id 0
		.amdhsa_user_sgpr_flat_scratch_init 0
		.amdhsa_user_sgpr_private_segment_size 0
		.amdhsa_uses_dynamic_stack 0
		.amdhsa_system_sgpr_private_segment_wavefront_offset 0
		.amdhsa_system_sgpr_workgroup_id_x 1
		.amdhsa_system_sgpr_workgroup_id_y 1
		.amdhsa_system_sgpr_workgroup_id_z 1
		.amdhsa_system_sgpr_workgroup_info 0
		.amdhsa_system_vgpr_workitem_id 1
		.amdhsa_next_free_vgpr 40
		.amdhsa_next_free_sgpr 61
		.amdhsa_reserve_vcc 1
		.amdhsa_reserve_flat_scratch 0
		.amdhsa_float_round_mode_32 0
		.amdhsa_float_round_mode_16_64 0
		.amdhsa_float_denorm_mode_32 3
		.amdhsa_float_denorm_mode_16_64 3
		.amdhsa_dx10_clamp 1
		.amdhsa_ieee_mode 1
		.amdhsa_fp16_overflow 0
		.amdhsa_exception_fp_ieee_invalid_op 0
		.amdhsa_exception_fp_denorm_src 0
		.amdhsa_exception_fp_ieee_div_zero 0
		.amdhsa_exception_fp_ieee_overflow 0
		.amdhsa_exception_fp_ieee_underflow 0
		.amdhsa_exception_fp_ieee_inexact 0
		.amdhsa_exception_int_div_zero 0
	.end_amdhsa_kernel
	.section	.text._ZL32rocblas_syrkx_herkx_small_kernelIi19rocblas_complex_numIdELi16ELb1ELb0ELc84ELc76EKS1_S1_EviT_T0_PT6_S3_lS6_S3_lS4_PT7_S3_li,"axG",@progbits,_ZL32rocblas_syrkx_herkx_small_kernelIi19rocblas_complex_numIdELi16ELb1ELb0ELc84ELc76EKS1_S1_EviT_T0_PT6_S3_lS6_S3_lS4_PT7_S3_li,comdat
.Lfunc_end281:
	.size	_ZL32rocblas_syrkx_herkx_small_kernelIi19rocblas_complex_numIdELi16ELb1ELb0ELc84ELc76EKS1_S1_EviT_T0_PT6_S3_lS6_S3_lS4_PT7_S3_li, .Lfunc_end281-_ZL32rocblas_syrkx_herkx_small_kernelIi19rocblas_complex_numIdELi16ELb1ELb0ELc84ELc76EKS1_S1_EviT_T0_PT6_S3_lS6_S3_lS4_PT7_S3_li
                                        ; -- End function
	.set _ZL32rocblas_syrkx_herkx_small_kernelIi19rocblas_complex_numIdELi16ELb1ELb0ELc84ELc76EKS1_S1_EviT_T0_PT6_S3_lS6_S3_lS4_PT7_S3_li.num_vgpr, 40
	.set _ZL32rocblas_syrkx_herkx_small_kernelIi19rocblas_complex_numIdELi16ELb1ELb0ELc84ELc76EKS1_S1_EviT_T0_PT6_S3_lS6_S3_lS4_PT7_S3_li.num_agpr, 0
	.set _ZL32rocblas_syrkx_herkx_small_kernelIi19rocblas_complex_numIdELi16ELb1ELb0ELc84ELc76EKS1_S1_EviT_T0_PT6_S3_lS6_S3_lS4_PT7_S3_li.numbered_sgpr, 24
	.set _ZL32rocblas_syrkx_herkx_small_kernelIi19rocblas_complex_numIdELi16ELb1ELb0ELc84ELc76EKS1_S1_EviT_T0_PT6_S3_lS6_S3_lS4_PT7_S3_li.num_named_barrier, 0
	.set _ZL32rocblas_syrkx_herkx_small_kernelIi19rocblas_complex_numIdELi16ELb1ELb0ELc84ELc76EKS1_S1_EviT_T0_PT6_S3_lS6_S3_lS4_PT7_S3_li.private_seg_size, 0
	.set _ZL32rocblas_syrkx_herkx_small_kernelIi19rocblas_complex_numIdELi16ELb1ELb0ELc84ELc76EKS1_S1_EviT_T0_PT6_S3_lS6_S3_lS4_PT7_S3_li.uses_vcc, 1
	.set _ZL32rocblas_syrkx_herkx_small_kernelIi19rocblas_complex_numIdELi16ELb1ELb0ELc84ELc76EKS1_S1_EviT_T0_PT6_S3_lS6_S3_lS4_PT7_S3_li.uses_flat_scratch, 0
	.set _ZL32rocblas_syrkx_herkx_small_kernelIi19rocblas_complex_numIdELi16ELb1ELb0ELc84ELc76EKS1_S1_EviT_T0_PT6_S3_lS6_S3_lS4_PT7_S3_li.has_dyn_sized_stack, 0
	.set _ZL32rocblas_syrkx_herkx_small_kernelIi19rocblas_complex_numIdELi16ELb1ELb0ELc84ELc76EKS1_S1_EviT_T0_PT6_S3_lS6_S3_lS4_PT7_S3_li.has_recursion, 0
	.set _ZL32rocblas_syrkx_herkx_small_kernelIi19rocblas_complex_numIdELi16ELb1ELb0ELc84ELc76EKS1_S1_EviT_T0_PT6_S3_lS6_S3_lS4_PT7_S3_li.has_indirect_call, 0
	.section	.AMDGPU.csdata,"",@progbits
; Kernel info:
; codeLenInByte = 1820
; TotalNumSgprs: 28
; NumVgprs: 40
; ScratchSize: 0
; MemoryBound: 0
; FloatMode: 240
; IeeeMode: 1
; LDSByteSize: 8192 bytes/workgroup (compile time only)
; SGPRBlocks: 8
; VGPRBlocks: 9
; NumSGPRsForWavesPerEU: 65
; NumVGPRsForWavesPerEU: 40
; Occupancy: 6
; WaveLimiterHint : 0
; COMPUTE_PGM_RSRC2:SCRATCH_EN: 0
; COMPUTE_PGM_RSRC2:USER_SGPR: 6
; COMPUTE_PGM_RSRC2:TRAP_HANDLER: 0
; COMPUTE_PGM_RSRC2:TGID_X_EN: 1
; COMPUTE_PGM_RSRC2:TGID_Y_EN: 1
; COMPUTE_PGM_RSRC2:TGID_Z_EN: 1
; COMPUTE_PGM_RSRC2:TIDIG_COMP_CNT: 1
	.section	.text._ZL32rocblas_syrkx_herkx_small_kernelIi19rocblas_complex_numIdELi16ELb1ELb0ELc67ELc76EKS1_S1_EviT_T0_PT6_S3_lS6_S3_lS4_PT7_S3_li,"axG",@progbits,_ZL32rocblas_syrkx_herkx_small_kernelIi19rocblas_complex_numIdELi16ELb1ELb0ELc67ELc76EKS1_S1_EviT_T0_PT6_S3_lS6_S3_lS4_PT7_S3_li,comdat
	.globl	_ZL32rocblas_syrkx_herkx_small_kernelIi19rocblas_complex_numIdELi16ELb1ELb0ELc67ELc76EKS1_S1_EviT_T0_PT6_S3_lS6_S3_lS4_PT7_S3_li ; -- Begin function _ZL32rocblas_syrkx_herkx_small_kernelIi19rocblas_complex_numIdELi16ELb1ELb0ELc67ELc76EKS1_S1_EviT_T0_PT6_S3_lS6_S3_lS4_PT7_S3_li
	.p2align	8
	.type	_ZL32rocblas_syrkx_herkx_small_kernelIi19rocblas_complex_numIdELi16ELb1ELb0ELc67ELc76EKS1_S1_EviT_T0_PT6_S3_lS6_S3_lS4_PT7_S3_li,@function
_ZL32rocblas_syrkx_herkx_small_kernelIi19rocblas_complex_numIdELi16ELb1ELb0ELc67ELc76EKS1_S1_EviT_T0_PT6_S3_lS6_S3_lS4_PT7_S3_li: ; @_ZL32rocblas_syrkx_herkx_small_kernelIi19rocblas_complex_numIdELi16ELb1ELb0ELc67ELc76EKS1_S1_EviT_T0_PT6_S3_lS6_S3_lS4_PT7_S3_li
; %bb.0:
	s_load_dwordx2 s[10:11], s[4:5], 0x0
	s_load_dwordx4 s[12:15], s[4:5], 0x8
	s_load_dwordx2 s[16:17], s[4:5], 0x18
	v_lshl_add_u32 v7, s6, 4, v0
	s_mov_b32 s9, 0
	v_lshl_add_u32 v16, s7, 4, v1
	s_waitcnt lgkmcnt(0)
	s_cmp_lt_i32 s11, 1
	v_cmp_gt_i32_e64 s[0:1], s10, v7
	s_cbranch_scc1 .LBB282_9
; %bb.1:
	s_load_dword s18, s[4:5], 0x20
	s_load_dwordx4 s[20:23], s[4:5], 0x28
	s_load_dword s6, s[4:5], 0x38
	s_load_dwordx2 s[2:3], s[4:5], 0x40
	v_lshlrev_b32_e32 v4, 8, v1
	v_lshlrev_b32_e32 v17, 4, v0
	v_add_u32_e32 v18, v17, v4
	s_waitcnt lgkmcnt(0)
	v_mad_i64_i32 v[2:3], s[6:7], s6, v16, 0
	s_mul_i32 s3, s3, s8
	s_mul_hi_u32 s6, s2, s8
	v_lshlrev_b64 v[2:3], 4, v[2:3]
	s_add_i32 s3, s6, s3
	s_mul_i32 s2, s2, s8
	s_lshl_b64 s[2:3], s[2:3], 4
	v_add_u32_e32 v19, 0x1000, v4
	v_mov_b32_e32 v4, s3
	v_add_co_u32_e64 v2, s[2:3], s2, v2
	v_addc_co_u32_e64 v3, s[2:3], v3, v4, s[2:3]
	v_add_co_u32_e64 v4, s[2:3], v2, v17
	v_addc_co_u32_e64 v5, s[2:3], 0, v3, s[2:3]
	v_mad_i64_i32 v[2:3], s[2:3], s18, v7, 0
	v_mov_b32_e32 v6, s23
	v_add_co_u32_e64 v8, s[2:3], s22, v4
	v_addc_co_u32_e64 v9, s[2:3], v6, v5, s[2:3]
	s_mul_i32 s2, s21, s8
	s_mul_hi_u32 s3, s20, s8
	v_lshlrev_b64 v[2:3], 4, v[2:3]
	s_add_i32 s3, s3, s2
	s_mul_i32 s2, s20, s8
	s_lshl_b64 s[2:3], s[2:3], 4
	v_mov_b32_e32 v4, s3
	v_add_co_u32_e64 v2, s[2:3], s2, v2
	v_addc_co_u32_e64 v3, s[2:3], v3, v4, s[2:3]
	v_lshlrev_b32_e32 v4, 4, v1
	v_add_co_u32_e64 v2, s[2:3], v2, v4
	v_addc_co_u32_e64 v3, s[2:3], 0, v3, s[2:3]
	v_mov_b32_e32 v4, s17
	v_add_co_u32_e64 v2, s[2:3], s16, v2
	v_addc_co_u32_e64 v3, s[2:3], v4, v3, s[2:3]
	v_add_co_u32_e64 v10, s[2:3], 8, v2
	v_cmp_gt_i32_e32 vcc, s10, v16
	v_addc_co_u32_e64 v11, s[2:3], 0, v3, s[2:3]
	v_mov_b32_e32 v14, 0
	v_mov_b32_e32 v12, 0
	v_add_u32_e32 v20, v19, v17
	v_mov_b32_e32 v15, 0
	s_xor_b64 s[2:3], vcc, -1
	v_mov_b32_e32 v13, 0
	v_mov_b32_e32 v2, 0
	s_branch .LBB282_3
.LBB282_2:                              ;   in Loop: Header=BB282_3 Depth=1
	s_or_b64 exec, exec, s[6:7]
	s_waitcnt lgkmcnt(0)
	s_barrier
	ds_read_b128 v[3:6], v17
	ds_read_b128 v[21:24], v19
	ds_read_b128 v[25:28], v19 offset:16
	ds_read_b128 v[29:32], v17 offset:256
	;; [unrolled: 1-line block ×4, first 2 shown]
	s_waitcnt lgkmcnt(4)
	v_mul_f64 v[41:42], v[23:24], v[5:6]
	v_mul_f64 v[5:6], v[21:22], v[5:6]
	s_waitcnt lgkmcnt(2)
	v_mul_f64 v[43:44], v[27:28], v[31:32]
	v_mul_f64 v[31:32], v[25:26], v[31:32]
	s_waitcnt lgkmcnt(0)
	v_mul_f64 v[47:48], v[35:36], v[39:40]
	v_add_co_u32_e32 v8, vcc, 0x100, v8
	v_addc_co_u32_e32 v9, vcc, 0, v9, vcc
	v_fma_f64 v[41:42], v[21:22], v[3:4], -v[41:42]
	v_fma_f64 v[45:46], v[23:24], v[3:4], v[5:6]
	v_fma_f64 v[25:26], v[25:26], v[29:30], -v[43:44]
	v_fma_f64 v[27:28], v[27:28], v[29:30], v[31:32]
	v_mul_f64 v[29:30], v[33:34], v[39:40]
	ds_read_b128 v[3:6], v19 offset:48
	ds_read_b128 v[21:24], v17 offset:768
	v_fma_f64 v[33:34], v[33:34], v[37:38], -v[47:48]
	s_add_i32 s9, s9, 16
	v_add_f64 v[31:32], v[12:13], v[41:42]
	v_add_f64 v[39:40], v[14:15], v[45:46]
	s_waitcnt lgkmcnt(0)
	v_mul_f64 v[41:42], v[5:6], v[23:24]
	v_mul_f64 v[43:44], v[3:4], v[23:24]
	v_fma_f64 v[35:36], v[35:36], v[37:38], v[29:30]
	ds_read_b128 v[12:15], v19 offset:64
	v_add_co_u32_e32 v10, vcc, 0x100, v10
	v_add_f64 v[31:32], v[31:32], v[25:26]
	v_add_f64 v[37:38], v[39:40], v[27:28]
	ds_read_b128 v[23:26], v17 offset:1024
	v_fma_f64 v[39:40], v[3:4], v[21:22], -v[41:42]
	v_fma_f64 v[21:22], v[5:6], v[21:22], v[43:44]
	ds_read_b128 v[3:6], v19 offset:80
	ds_read_b128 v[27:30], v17 offset:1280
	s_cmp_ge_i32 s9, s11
	s_waitcnt lgkmcnt(2)
	v_mul_f64 v[41:42], v[14:15], v[25:26]
	v_mul_f64 v[25:26], v[12:13], v[25:26]
	v_add_f64 v[43:44], v[31:32], v[33:34]
	v_add_f64 v[35:36], v[37:38], v[35:36]
	s_waitcnt lgkmcnt(0)
	v_mul_f64 v[45:46], v[5:6], v[29:30]
	v_mul_f64 v[29:30], v[3:4], v[29:30]
	ds_read_b128 v[31:34], v19 offset:96
	v_addc_co_u32_e32 v11, vcc, 0, v11, vcc
	v_fma_f64 v[41:42], v[12:13], v[23:24], -v[41:42]
	v_fma_f64 v[25:26], v[14:15], v[23:24], v[25:26]
	v_add_f64 v[39:40], v[43:44], v[39:40]
	v_add_f64 v[43:44], v[35:36], v[21:22]
	ds_read_b128 v[12:15], v17 offset:1536
	v_fma_f64 v[45:46], v[3:4], v[27:28], -v[45:46]
	v_fma_f64 v[27:28], v[5:6], v[27:28], v[29:30]
	ds_read_b128 v[21:24], v19 offset:112
	ds_read_b128 v[35:38], v17 offset:1792
	;; [unrolled: 1-line block ×3, first 2 shown]
	s_waitcnt lgkmcnt(3)
	v_mul_f64 v[47:48], v[33:34], v[14:15]
	v_mul_f64 v[14:15], v[31:32], v[14:15]
	v_add_f64 v[29:30], v[39:40], v[41:42]
	v_add_f64 v[25:26], v[43:44], v[25:26]
	s_waitcnt lgkmcnt(1)
	v_mul_f64 v[39:40], v[23:24], v[37:38]
	v_mul_f64 v[37:38], v[21:22], v[37:38]
	v_fma_f64 v[31:32], v[31:32], v[12:13], -v[47:48]
	v_fma_f64 v[33:34], v[33:34], v[12:13], v[14:15]
	v_add_f64 v[29:30], v[29:30], v[45:46]
	v_add_f64 v[41:42], v[25:26], v[27:28]
	ds_read_b128 v[12:15], v17 offset:2048
	v_fma_f64 v[39:40], v[21:22], v[35:36], -v[39:40]
	v_fma_f64 v[35:36], v[23:24], v[35:36], v[37:38]
	ds_read_b128 v[21:24], v19 offset:144
	ds_read_b128 v[25:28], v17 offset:2304
	s_waitcnt lgkmcnt(2)
	v_mul_f64 v[37:38], v[5:6], v[14:15]
	v_mul_f64 v[14:15], v[3:4], v[14:15]
	v_add_f64 v[43:44], v[29:30], v[31:32]
	v_add_f64 v[33:34], v[41:42], v[33:34]
	s_waitcnt lgkmcnt(0)
	v_mul_f64 v[41:42], v[23:24], v[27:28]
	v_mul_f64 v[27:28], v[21:22], v[27:28]
	ds_read_b128 v[29:32], v19 offset:160
	v_fma_f64 v[37:38], v[3:4], v[12:13], -v[37:38]
	v_fma_f64 v[45:46], v[5:6], v[12:13], v[14:15]
	v_add_f64 v[39:40], v[43:44], v[39:40]
	v_add_f64 v[43:44], v[33:34], v[35:36]
	ds_read_b128 v[3:6], v17 offset:2560
	v_fma_f64 v[41:42], v[21:22], v[25:26], -v[41:42]
	v_fma_f64 v[25:26], v[23:24], v[25:26], v[27:28]
	ds_read_b128 v[12:15], v19 offset:176
	ds_read_b128 v[33:36], v17 offset:2816
	;; [unrolled: 1-line block ×3, first 2 shown]
	s_waitcnt lgkmcnt(3)
	v_mul_f64 v[47:48], v[31:32], v[5:6]
	v_mul_f64 v[5:6], v[29:30], v[5:6]
	v_add_f64 v[27:28], v[39:40], v[37:38]
	v_add_f64 v[37:38], v[43:44], v[45:46]
	s_waitcnt lgkmcnt(1)
	v_mul_f64 v[39:40], v[14:15], v[35:36]
	v_mul_f64 v[35:36], v[12:13], v[35:36]
	v_fma_f64 v[29:30], v[29:30], v[3:4], -v[47:48]
	v_fma_f64 v[31:32], v[31:32], v[3:4], v[5:6]
	v_add_f64 v[41:42], v[27:28], v[41:42]
	v_add_f64 v[37:38], v[37:38], v[25:26]
	ds_read_b128 v[3:6], v17 offset:3072
	v_fma_f64 v[39:40], v[12:13], v[33:34], -v[39:40]
	v_fma_f64 v[33:34], v[14:15], v[33:34], v[35:36]
	ds_read_b128 v[12:15], v19 offset:208
	ds_read_b128 v[25:28], v17 offset:3328
	s_waitcnt lgkmcnt(2)
	v_mul_f64 v[35:36], v[23:24], v[5:6]
	v_mul_f64 v[5:6], v[21:22], v[5:6]
	v_add_f64 v[41:42], v[41:42], v[29:30]
	v_add_f64 v[37:38], v[37:38], v[31:32]
	s_waitcnt lgkmcnt(0)
	v_mul_f64 v[43:44], v[14:15], v[27:28]
	v_mul_f64 v[27:28], v[12:13], v[27:28]
	ds_read_b128 v[29:32], v19 offset:224
	v_fma_f64 v[45:46], v[21:22], v[3:4], -v[35:36]
	v_fma_f64 v[47:48], v[23:24], v[3:4], v[5:6]
	v_add_f64 v[39:40], v[41:42], v[39:40]
	v_add_f64 v[37:38], v[37:38], v[33:34]
	ds_read_b128 v[3:6], v17 offset:3584
	v_fma_f64 v[12:13], v[12:13], v[25:26], -v[43:44]
	v_fma_f64 v[14:15], v[14:15], v[25:26], v[27:28]
	ds_read_b128 v[21:24], v19 offset:240
	ds_read_b128 v[33:36], v17 offset:3840
	s_waitcnt lgkmcnt(0)
	v_mul_f64 v[41:42], v[31:32], v[5:6]
	v_mul_f64 v[5:6], v[29:30], v[5:6]
	v_add_f64 v[25:26], v[39:40], v[45:46]
	v_add_f64 v[27:28], v[37:38], v[47:48]
	v_mul_f64 v[37:38], v[23:24], v[35:36]
	v_mul_f64 v[35:36], v[21:22], v[35:36]
	s_barrier
	v_fma_f64 v[29:30], v[29:30], v[3:4], -v[41:42]
	v_fma_f64 v[3:4], v[31:32], v[3:4], v[5:6]
	v_add_f64 v[5:6], v[25:26], v[12:13]
	v_add_f64 v[12:13], v[27:28], v[14:15]
	v_fma_f64 v[14:15], v[21:22], v[33:34], -v[37:38]
	v_fma_f64 v[21:22], v[23:24], v[33:34], v[35:36]
	v_add_f64 v[5:6], v[5:6], v[29:30]
	v_add_f64 v[3:4], v[12:13], v[3:4]
	;; [unrolled: 1-line block ×4, first 2 shown]
	s_cbranch_scc1 .LBB282_10
.LBB282_3:                              ; =>This Inner Loop Header: Depth=1
	v_add_u32_e32 v3, s9, v1
	v_cmp_gt_i32_e32 vcc, s11, v3
	v_mov_b32_e32 v3, 0
	v_mov_b32_e32 v5, 0
	;; [unrolled: 1-line block ×4, first 2 shown]
	s_and_b64 s[16:17], s[0:1], vcc
	s_and_saveexec_b64 s[6:7], s[16:17]
	s_cbranch_execz .LBB282_5
; %bb.4:                                ;   in Loop: Header=BB282_3 Depth=1
	global_load_dwordx4 v[3:6], v[10:11], off offset:-8
.LBB282_5:                              ;   in Loop: Header=BB282_3 Depth=1
	s_or_b64 exec, exec, s[6:7]
	s_waitcnt vmcnt(0)
	ds_write_b128 v18, v[3:6]
	v_add_u32_e32 v3, s9, v0
	v_cmp_le_i32_e32 vcc, s11, v3
	s_or_b64 s[6:7], s[2:3], vcc
	s_and_saveexec_b64 s[16:17], s[6:7]
	s_xor_b64 s[6:7], exec, s[16:17]
; %bb.6:                                ;   in Loop: Header=BB282_3 Depth=1
	v_mov_b32_e32 v3, v2
	v_mov_b32_e32 v4, v2
	;; [unrolled: 1-line block ×3, first 2 shown]
	ds_write_b128 v20, v[2:5]
; %bb.7:                                ;   in Loop: Header=BB282_3 Depth=1
	s_andn2_saveexec_b64 s[6:7], s[6:7]
	s_cbranch_execz .LBB282_2
; %bb.8:                                ;   in Loop: Header=BB282_3 Depth=1
	global_load_dwordx4 v[3:6], v[8:9], off
	s_waitcnt vmcnt(0)
	ds_write2_b64 v20, v[3:4], v[5:6] offset1:1
	s_branch .LBB282_2
.LBB282_9:
	v_mov_b32_e32 v14, 0
	v_mov_b32_e32 v12, 0
	;; [unrolled: 1-line block ×4, first 2 shown]
.LBB282_10:
	v_cmp_le_i32_e32 vcc, v16, v7
	v_cmp_gt_i32_e64 s[0:1], s10, v7
	s_and_b64 s[0:1], vcc, s[0:1]
	s_and_saveexec_b64 s[2:3], s[0:1]
	s_cbranch_execz .LBB282_12
; %bb.11:
	s_load_dwordx2 s[0:1], s[4:5], 0x68
	s_load_dwordx2 s[2:3], s[4:5], 0x58
	s_load_dword s6, s[4:5], 0x60
	v_mul_f64 v[0:1], s[14:15], v[14:15]
	v_mul_f64 v[2:3], s[12:13], v[14:15]
	s_waitcnt lgkmcnt(0)
	s_mul_i32 s1, s1, s8
	s_mul_hi_u32 s4, s0, s8
	s_add_i32 s1, s4, s1
	s_mul_i32 s0, s0, s8
	s_lshl_b64 s[0:1], s[0:1], 4
	s_add_u32 s2, s2, s0
	s_addc_u32 s3, s3, s1
	v_mad_i64_i32 v[4:5], s[0:1], s6, v16, 0
	v_fma_f64 v[0:1], s[12:13], v[12:13], -v[0:1]
	v_fma_f64 v[2:3], s[14:15], v[12:13], v[2:3]
	v_lshlrev_b64 v[4:5], 4, v[4:5]
	v_ashrrev_i32_e32 v8, 31, v7
	v_mov_b32_e32 v6, s3
	v_add_co_u32_e32 v9, vcc, s2, v4
	v_addc_co_u32_e32 v6, vcc, v6, v5, vcc
	v_lshlrev_b64 v[4:5], 4, v[7:8]
	v_add_co_u32_e32 v4, vcc, v9, v4
	v_addc_co_u32_e32 v5, vcc, v6, v5, vcc
	global_store_dwordx4 v[4:5], v[0:3], off
.LBB282_12:
	s_endpgm
	.section	.rodata,"a",@progbits
	.p2align	6, 0x0
	.amdhsa_kernel _ZL32rocblas_syrkx_herkx_small_kernelIi19rocblas_complex_numIdELi16ELb1ELb0ELc67ELc76EKS1_S1_EviT_T0_PT6_S3_lS6_S3_lS4_PT7_S3_li
		.amdhsa_group_segment_fixed_size 8192
		.amdhsa_private_segment_fixed_size 0
		.amdhsa_kernarg_size 116
		.amdhsa_user_sgpr_count 6
		.amdhsa_user_sgpr_private_segment_buffer 1
		.amdhsa_user_sgpr_dispatch_ptr 0
		.amdhsa_user_sgpr_queue_ptr 0
		.amdhsa_user_sgpr_kernarg_segment_ptr 1
		.amdhsa_user_sgpr_dispatch_id 0
		.amdhsa_user_sgpr_flat_scratch_init 0
		.amdhsa_user_sgpr_private_segment_size 0
		.amdhsa_uses_dynamic_stack 0
		.amdhsa_system_sgpr_private_segment_wavefront_offset 0
		.amdhsa_system_sgpr_workgroup_id_x 1
		.amdhsa_system_sgpr_workgroup_id_y 1
		.amdhsa_system_sgpr_workgroup_id_z 1
		.amdhsa_system_sgpr_workgroup_info 0
		.amdhsa_system_vgpr_workitem_id 1
		.amdhsa_next_free_vgpr 49
		.amdhsa_next_free_sgpr 61
		.amdhsa_reserve_vcc 1
		.amdhsa_reserve_flat_scratch 0
		.amdhsa_float_round_mode_32 0
		.amdhsa_float_round_mode_16_64 0
		.amdhsa_float_denorm_mode_32 3
		.amdhsa_float_denorm_mode_16_64 3
		.amdhsa_dx10_clamp 1
		.amdhsa_ieee_mode 1
		.amdhsa_fp16_overflow 0
		.amdhsa_exception_fp_ieee_invalid_op 0
		.amdhsa_exception_fp_denorm_src 0
		.amdhsa_exception_fp_ieee_div_zero 0
		.amdhsa_exception_fp_ieee_overflow 0
		.amdhsa_exception_fp_ieee_underflow 0
		.amdhsa_exception_fp_ieee_inexact 0
		.amdhsa_exception_int_div_zero 0
	.end_amdhsa_kernel
	.section	.text._ZL32rocblas_syrkx_herkx_small_kernelIi19rocblas_complex_numIdELi16ELb1ELb0ELc67ELc76EKS1_S1_EviT_T0_PT6_S3_lS6_S3_lS4_PT7_S3_li,"axG",@progbits,_ZL32rocblas_syrkx_herkx_small_kernelIi19rocblas_complex_numIdELi16ELb1ELb0ELc67ELc76EKS1_S1_EviT_T0_PT6_S3_lS6_S3_lS4_PT7_S3_li,comdat
.Lfunc_end282:
	.size	_ZL32rocblas_syrkx_herkx_small_kernelIi19rocblas_complex_numIdELi16ELb1ELb0ELc67ELc76EKS1_S1_EviT_T0_PT6_S3_lS6_S3_lS4_PT7_S3_li, .Lfunc_end282-_ZL32rocblas_syrkx_herkx_small_kernelIi19rocblas_complex_numIdELi16ELb1ELb0ELc67ELc76EKS1_S1_EviT_T0_PT6_S3_lS6_S3_lS4_PT7_S3_li
                                        ; -- End function
	.set _ZL32rocblas_syrkx_herkx_small_kernelIi19rocblas_complex_numIdELi16ELb1ELb0ELc67ELc76EKS1_S1_EviT_T0_PT6_S3_lS6_S3_lS4_PT7_S3_li.num_vgpr, 49
	.set _ZL32rocblas_syrkx_herkx_small_kernelIi19rocblas_complex_numIdELi16ELb1ELb0ELc67ELc76EKS1_S1_EviT_T0_PT6_S3_lS6_S3_lS4_PT7_S3_li.num_agpr, 0
	.set _ZL32rocblas_syrkx_herkx_small_kernelIi19rocblas_complex_numIdELi16ELb1ELb0ELc67ELc76EKS1_S1_EviT_T0_PT6_S3_lS6_S3_lS4_PT7_S3_li.numbered_sgpr, 24
	.set _ZL32rocblas_syrkx_herkx_small_kernelIi19rocblas_complex_numIdELi16ELb1ELb0ELc67ELc76EKS1_S1_EviT_T0_PT6_S3_lS6_S3_lS4_PT7_S3_li.num_named_barrier, 0
	.set _ZL32rocblas_syrkx_herkx_small_kernelIi19rocblas_complex_numIdELi16ELb1ELb0ELc67ELc76EKS1_S1_EviT_T0_PT6_S3_lS6_S3_lS4_PT7_S3_li.private_seg_size, 0
	.set _ZL32rocblas_syrkx_herkx_small_kernelIi19rocblas_complex_numIdELi16ELb1ELb0ELc67ELc76EKS1_S1_EviT_T0_PT6_S3_lS6_S3_lS4_PT7_S3_li.uses_vcc, 1
	.set _ZL32rocblas_syrkx_herkx_small_kernelIi19rocblas_complex_numIdELi16ELb1ELb0ELc67ELc76EKS1_S1_EviT_T0_PT6_S3_lS6_S3_lS4_PT7_S3_li.uses_flat_scratch, 0
	.set _ZL32rocblas_syrkx_herkx_small_kernelIi19rocblas_complex_numIdELi16ELb1ELb0ELc67ELc76EKS1_S1_EviT_T0_PT6_S3_lS6_S3_lS4_PT7_S3_li.has_dyn_sized_stack, 0
	.set _ZL32rocblas_syrkx_herkx_small_kernelIi19rocblas_complex_numIdELi16ELb1ELb0ELc67ELc76EKS1_S1_EviT_T0_PT6_S3_lS6_S3_lS4_PT7_S3_li.has_recursion, 0
	.set _ZL32rocblas_syrkx_herkx_small_kernelIi19rocblas_complex_numIdELi16ELb1ELb0ELc67ELc76EKS1_S1_EviT_T0_PT6_S3_lS6_S3_lS4_PT7_S3_li.has_indirect_call, 0
	.section	.AMDGPU.csdata,"",@progbits
; Kernel info:
; codeLenInByte = 1816
; TotalNumSgprs: 28
; NumVgprs: 49
; ScratchSize: 0
; MemoryBound: 1
; FloatMode: 240
; IeeeMode: 1
; LDSByteSize: 8192 bytes/workgroup (compile time only)
; SGPRBlocks: 8
; VGPRBlocks: 12
; NumSGPRsForWavesPerEU: 65
; NumVGPRsForWavesPerEU: 49
; Occupancy: 4
; WaveLimiterHint : 0
; COMPUTE_PGM_RSRC2:SCRATCH_EN: 0
; COMPUTE_PGM_RSRC2:USER_SGPR: 6
; COMPUTE_PGM_RSRC2:TRAP_HANDLER: 0
; COMPUTE_PGM_RSRC2:TGID_X_EN: 1
; COMPUTE_PGM_RSRC2:TGID_Y_EN: 1
; COMPUTE_PGM_RSRC2:TGID_Z_EN: 1
; COMPUTE_PGM_RSRC2:TIDIG_COMP_CNT: 1
	.section	.text._ZL32rocblas_syrkx_herkx_small_kernelIi19rocblas_complex_numIdELi16ELb1ELb0ELc78ELc76EKS1_S1_EviT_T0_PT6_S3_lS6_S3_lS4_PT7_S3_li,"axG",@progbits,_ZL32rocblas_syrkx_herkx_small_kernelIi19rocblas_complex_numIdELi16ELb1ELb0ELc78ELc76EKS1_S1_EviT_T0_PT6_S3_lS6_S3_lS4_PT7_S3_li,comdat
	.globl	_ZL32rocblas_syrkx_herkx_small_kernelIi19rocblas_complex_numIdELi16ELb1ELb0ELc78ELc76EKS1_S1_EviT_T0_PT6_S3_lS6_S3_lS4_PT7_S3_li ; -- Begin function _ZL32rocblas_syrkx_herkx_small_kernelIi19rocblas_complex_numIdELi16ELb1ELb0ELc78ELc76EKS1_S1_EviT_T0_PT6_S3_lS6_S3_lS4_PT7_S3_li
	.p2align	8
	.type	_ZL32rocblas_syrkx_herkx_small_kernelIi19rocblas_complex_numIdELi16ELb1ELb0ELc78ELc76EKS1_S1_EviT_T0_PT6_S3_lS6_S3_lS4_PT7_S3_li,@function
_ZL32rocblas_syrkx_herkx_small_kernelIi19rocblas_complex_numIdELi16ELb1ELb0ELc78ELc76EKS1_S1_EviT_T0_PT6_S3_lS6_S3_lS4_PT7_S3_li: ; @_ZL32rocblas_syrkx_herkx_small_kernelIi19rocblas_complex_numIdELi16ELb1ELb0ELc78ELc76EKS1_S1_EviT_T0_PT6_S3_lS6_S3_lS4_PT7_S3_li
; %bb.0:
	s_load_dwordx2 s[10:11], s[4:5], 0x0
	s_load_dwordx4 s[12:15], s[4:5], 0x8
	s_load_dwordx2 s[20:21], s[4:5], 0x18
	v_lshl_add_u32 v7, s6, 4, v0
	s_mov_b32 s9, 0
	v_lshl_add_u32 v9, s7, 4, v1
	s_waitcnt lgkmcnt(0)
	s_cmp_lt_i32 s11, 1
	v_cmp_gt_i32_e64 s[0:1], s10, v7
	v_ashrrev_i32_e32 v8, 31, v7
	s_cbranch_scc1 .LBB283_9
; %bb.1:
	s_load_dword s22, s[4:5], 0x20
	s_load_dword s6, s[4:5], 0x38
	s_load_dwordx4 s[16:19], s[4:5], 0x28
	s_load_dwordx2 s[2:3], s[4:5], 0x40
	v_lshlrev_b32_e32 v2, 8, v1
	v_lshlrev_b32_e32 v18, 4, v0
	v_add_u32_e32 v19, v18, v2
	v_add_u32_e32 v20, 0x1000, v2
	s_waitcnt lgkmcnt(0)
	v_mad_i64_i32 v[2:3], s[24:25], s6, v0, 0
	s_mul_i32 s3, s3, s8
	s_mul_hi_u32 s26, s2, s8
	s_add_i32 s3, s26, s3
	s_mul_i32 s2, s2, s8
	v_lshlrev_b64 v[2:3], 4, v[2:3]
	s_lshl_b64 s[2:3], s[2:3], 4
	v_ashrrev_i32_e32 v10, 31, v9
	v_mov_b32_e32 v4, s3
	v_add_co_u32_e64 v5, s[2:3], s2, v2
	v_addc_co_u32_e64 v4, s[2:3], v4, v3, s[2:3]
	v_lshlrev_b64 v[2:3], 4, v[9:10]
	s_mul_i32 s17, s17, s8
	v_add_co_u32_e64 v2, s[2:3], v5, v2
	v_addc_co_u32_e64 v3, s[2:3], v4, v3, s[2:3]
	v_mov_b32_e32 v4, s19
	v_add_co_u32_e64 v2, s[2:3], s18, v2
	v_addc_co_u32_e64 v3, s[2:3], v4, v3, s[2:3]
	v_add_co_u32_e64 v10, s[2:3], 8, v2
	v_addc_co_u32_e64 v11, s[2:3], 0, v3, s[2:3]
	v_mad_i64_i32 v[2:3], s[2:3], s22, v1, 0
	s_mul_hi_u32 s18, s16, s8
	s_add_i32 s3, s18, s17
	s_mul_i32 s2, s16, s8
	v_lshlrev_b64 v[2:3], 4, v[2:3]
	s_lshl_b64 s[2:3], s[2:3], 4
	v_mov_b32_e32 v4, s3
	v_add_co_u32_e64 v5, s[2:3], s2, v2
	v_addc_co_u32_e64 v4, s[2:3], v4, v3, s[2:3]
	v_lshlrev_b64 v[2:3], 4, v[7:8]
	s_ashr_i32 s23, s22, 31
	v_add_co_u32_e64 v2, s[2:3], v5, v2
	v_addc_co_u32_e64 v3, s[2:3], v4, v3, s[2:3]
	v_mov_b32_e32 v4, s21
	v_add_co_u32_e64 v12, s[2:3], s20, v2
	s_ashr_i32 s7, s6, 31
	v_addc_co_u32_e64 v13, s[2:3], v4, v3, s[2:3]
	s_lshl_b64 s[6:7], s[6:7], 8
	s_lshl_b64 s[2:3], s[22:23], 8
	v_mov_b32_e32 v14, 0
	v_mov_b32_e32 v16, 0
	v_cmp_gt_i32_e32 vcc, s10, v9
	v_add_u32_e32 v21, v20, v18
	v_mov_b32_e32 v15, 0
	s_xor_b64 s[16:17], s[0:1], -1
	v_mov_b32_e32 v22, s7
	v_mov_b32_e32 v23, s3
	;; [unrolled: 1-line block ×4, first 2 shown]
	s_branch .LBB283_3
.LBB283_2:                              ;   in Loop: Header=BB283_3 Depth=1
	s_or_b64 exec, exec, s[0:1]
	s_waitcnt vmcnt(0)
	ds_write_b128 v21, v[3:6]
	s_waitcnt lgkmcnt(0)
	s_barrier
	ds_read_b128 v[3:6], v18
	ds_read_b128 v[24:27], v20
	ds_read_b128 v[28:31], v20 offset:16
	ds_read_b128 v[32:35], v18 offset:256
	v_add_co_u32_e64 v10, s[0:1], s6, v10
	s_waitcnt lgkmcnt(2)
	v_mul_f64 v[36:37], v[26:27], v[5:6]
	v_mul_f64 v[5:6], v[24:25], v[5:6]
	s_waitcnt lgkmcnt(0)
	v_mul_f64 v[38:39], v[30:31], v[34:35]
	v_mul_f64 v[40:41], v[28:29], v[34:35]
	v_addc_co_u32_e64 v11, s[0:1], v11, v22, s[0:1]
	s_add_i32 s9, s9, 16
	v_add_co_u32_e64 v12, s[0:1], s2, v12
	v_fma_f64 v[42:43], v[24:25], v[3:4], -v[36:37]
	v_fma_f64 v[44:45], v[26:27], v[3:4], v[5:6]
	ds_read_b128 v[3:6], v18 offset:512
	ds_read_b128 v[24:27], v20 offset:32
	;; [unrolled: 1-line block ×3, first 2 shown]
	v_fma_f64 v[38:39], v[28:29], v[32:33], -v[38:39]
	v_fma_f64 v[32:33], v[30:31], v[32:33], v[40:41]
	ds_read_b128 v[28:31], v18 offset:768
	s_waitcnt lgkmcnt(2)
	v_mul_f64 v[40:41], v[26:27], v[5:6]
	v_mul_f64 v[5:6], v[24:25], v[5:6]
	v_add_f64 v[16:17], v[16:17], v[42:43]
	v_add_f64 v[14:15], v[14:15], v[44:45]
	s_waitcnt lgkmcnt(0)
	v_mul_f64 v[42:43], v[36:37], v[30:31]
	v_mul_f64 v[30:31], v[34:35], v[30:31]
	s_cmp_ge_i32 s9, s11
	v_addc_co_u32_e64 v13, s[0:1], v13, v23, s[0:1]
	v_fma_f64 v[40:41], v[24:25], v[3:4], -v[40:41]
	v_fma_f64 v[44:45], v[26:27], v[3:4], v[5:6]
	v_add_f64 v[38:39], v[16:17], v[38:39]
	v_add_f64 v[32:33], v[14:15], v[32:33]
	ds_read_b128 v[3:6], v20 offset:64
	ds_read_b128 v[14:17], v18 offset:1024
	v_fma_f64 v[34:35], v[34:35], v[28:29], -v[42:43]
	v_fma_f64 v[36:37], v[36:37], v[28:29], v[30:31]
	ds_read_b128 v[24:27], v20 offset:80
	ds_read_b128 v[28:31], v18 offset:1280
	s_waitcnt lgkmcnt(2)
	v_mul_f64 v[42:43], v[5:6], v[16:17]
	v_mul_f64 v[16:17], v[3:4], v[16:17]
	v_add_f64 v[38:39], v[38:39], v[40:41]
	v_add_f64 v[32:33], v[32:33], v[44:45]
	s_waitcnt lgkmcnt(0)
	v_mul_f64 v[40:41], v[26:27], v[30:31]
	v_mul_f64 v[30:31], v[24:25], v[30:31]
	v_fma_f64 v[42:43], v[3:4], v[14:15], -v[42:43]
	v_fma_f64 v[44:45], v[5:6], v[14:15], v[16:17]
	v_add_f64 v[34:35], v[38:39], v[34:35]
	v_add_f64 v[32:33], v[32:33], v[36:37]
	ds_read_b128 v[3:6], v20 offset:96
	ds_read_b128 v[14:17], v18 offset:1536
	v_fma_f64 v[36:37], v[24:25], v[28:29], -v[40:41]
	v_fma_f64 v[38:39], v[26:27], v[28:29], v[30:31]
	ds_read_b128 v[24:27], v20 offset:112
	ds_read_b128 v[28:31], v18 offset:1792
	s_waitcnt lgkmcnt(2)
	v_mul_f64 v[40:41], v[5:6], v[16:17]
	v_mul_f64 v[16:17], v[3:4], v[16:17]
	v_add_f64 v[34:35], v[34:35], v[42:43]
	v_add_f64 v[32:33], v[32:33], v[44:45]
	s_waitcnt lgkmcnt(0)
	v_mul_f64 v[42:43], v[26:27], v[30:31]
	v_mul_f64 v[30:31], v[24:25], v[30:31]
	;; [unrolled: 18-line block ×5, first 2 shown]
	v_fma_f64 v[42:43], v[3:4], v[14:15], -v[42:43]
	v_fma_f64 v[44:45], v[5:6], v[14:15], v[16:17]
	v_add_f64 v[34:35], v[34:35], v[36:37]
	v_add_f64 v[32:33], v[32:33], v[38:39]
	ds_read_b128 v[3:6], v20 offset:224
	ds_read_b128 v[14:17], v18 offset:3584
	v_fma_f64 v[36:37], v[24:25], v[28:29], -v[40:41]
	v_fma_f64 v[38:39], v[26:27], v[28:29], v[30:31]
	ds_read_b128 v[24:27], v20 offset:240
	ds_read_b128 v[28:31], v18 offset:3840
	s_waitcnt lgkmcnt(0)
	v_mul_f64 v[40:41], v[5:6], v[16:17]
	v_mul_f64 v[16:17], v[3:4], v[16:17]
	v_add_f64 v[34:35], v[34:35], v[42:43]
	v_add_f64 v[32:33], v[32:33], v[44:45]
	v_mul_f64 v[42:43], v[26:27], v[30:31]
	v_mul_f64 v[30:31], v[24:25], v[30:31]
	s_barrier
	v_fma_f64 v[3:4], v[3:4], v[14:15], -v[40:41]
	v_fma_f64 v[5:6], v[5:6], v[14:15], v[16:17]
	v_add_f64 v[14:15], v[34:35], v[36:37]
	v_add_f64 v[16:17], v[32:33], v[38:39]
	v_fma_f64 v[24:25], v[24:25], v[28:29], -v[42:43]
	v_fma_f64 v[26:27], v[26:27], v[28:29], v[30:31]
	v_add_f64 v[3:4], v[14:15], v[3:4]
	v_add_f64 v[5:6], v[16:17], v[5:6]
	;; [unrolled: 1-line block ×4, first 2 shown]
	s_cbranch_scc1 .LBB283_10
.LBB283_3:                              ; =>This Inner Loop Header: Depth=1
	v_add_u32_e32 v3, s9, v1
	v_cmp_le_i32_e64 s[0:1], s11, v3
	s_or_b64 s[0:1], s[16:17], s[0:1]
	s_and_saveexec_b64 s[18:19], s[0:1]
	s_xor_b64 s[0:1], exec, s[18:19]
; %bb.4:                                ;   in Loop: Header=BB283_3 Depth=1
	v_mov_b32_e32 v3, v2
	v_mov_b32_e32 v4, v2
	;; [unrolled: 1-line block ×3, first 2 shown]
	ds_write_b128 v19, v[2:5]
; %bb.5:                                ;   in Loop: Header=BB283_3 Depth=1
	s_andn2_saveexec_b64 s[0:1], s[0:1]
	s_cbranch_execz .LBB283_7
; %bb.6:                                ;   in Loop: Header=BB283_3 Depth=1
	global_load_dwordx4 v[3:6], v[12:13], off
	s_waitcnt vmcnt(0)
	ds_write2_b64 v19, v[3:4], v[5:6] offset1:1
.LBB283_7:                              ;   in Loop: Header=BB283_3 Depth=1
	s_or_b64 exec, exec, s[0:1]
	v_add_u32_e32 v3, s9, v0
	v_cmp_gt_i32_e64 s[0:1], s11, v3
	v_mov_b32_e32 v3, 0
	v_mov_b32_e32 v5, 0
	;; [unrolled: 1-line block ×4, first 2 shown]
	s_and_b64 s[18:19], vcc, s[0:1]
	s_and_saveexec_b64 s[0:1], s[18:19]
	s_cbranch_execz .LBB283_2
; %bb.8:                                ;   in Loop: Header=BB283_3 Depth=1
	global_load_dwordx4 v[3:6], v[10:11], off offset:-8
	s_branch .LBB283_2
.LBB283_9:
	v_mov_b32_e32 v14, 0
	v_mov_b32_e32 v16, 0
	;; [unrolled: 1-line block ×4, first 2 shown]
.LBB283_10:
	v_cmp_le_i32_e32 vcc, v9, v7
	v_cmp_gt_i32_e64 s[0:1], s10, v7
	s_and_b64 s[0:1], vcc, s[0:1]
	s_and_saveexec_b64 s[2:3], s[0:1]
	s_cbranch_execz .LBB283_12
; %bb.11:
	s_load_dwordx2 s[0:1], s[4:5], 0x68
	s_load_dwordx2 s[2:3], s[4:5], 0x58
	s_load_dword s6, s[4:5], 0x60
	v_mul_f64 v[0:1], s[14:15], v[14:15]
	v_mul_f64 v[2:3], s[12:13], v[14:15]
	s_waitcnt lgkmcnt(0)
	s_mul_i32 s1, s1, s8
	s_mul_hi_u32 s4, s0, s8
	s_add_i32 s1, s4, s1
	v_mad_i64_i32 v[4:5], s[4:5], s6, v9, 0
	s_mul_i32 s0, s0, s8
	s_lshl_b64 s[0:1], s[0:1], 4
	v_fma_f64 v[0:1], s[12:13], v[16:17], -v[0:1]
	v_fma_f64 v[2:3], s[14:15], v[16:17], v[2:3]
	s_add_u32 s0, s2, s0
	v_lshlrev_b64 v[4:5], 4, v[4:5]
	s_addc_u32 s1, s3, s1
	v_mov_b32_e32 v6, s1
	v_add_co_u32_e32 v9, vcc, s0, v4
	v_addc_co_u32_e32 v6, vcc, v6, v5, vcc
	v_lshlrev_b64 v[4:5], 4, v[7:8]
	v_add_co_u32_e32 v4, vcc, v9, v4
	v_addc_co_u32_e32 v5, vcc, v6, v5, vcc
	global_store_dwordx4 v[4:5], v[0:3], off
.LBB283_12:
	s_endpgm
	.section	.rodata,"a",@progbits
	.p2align	6, 0x0
	.amdhsa_kernel _ZL32rocblas_syrkx_herkx_small_kernelIi19rocblas_complex_numIdELi16ELb1ELb0ELc78ELc76EKS1_S1_EviT_T0_PT6_S3_lS6_S3_lS4_PT7_S3_li
		.amdhsa_group_segment_fixed_size 8192
		.amdhsa_private_segment_fixed_size 0
		.amdhsa_kernarg_size 116
		.amdhsa_user_sgpr_count 6
		.amdhsa_user_sgpr_private_segment_buffer 1
		.amdhsa_user_sgpr_dispatch_ptr 0
		.amdhsa_user_sgpr_queue_ptr 0
		.amdhsa_user_sgpr_kernarg_segment_ptr 1
		.amdhsa_user_sgpr_dispatch_id 0
		.amdhsa_user_sgpr_flat_scratch_init 0
		.amdhsa_user_sgpr_private_segment_size 0
		.amdhsa_uses_dynamic_stack 0
		.amdhsa_system_sgpr_private_segment_wavefront_offset 0
		.amdhsa_system_sgpr_workgroup_id_x 1
		.amdhsa_system_sgpr_workgroup_id_y 1
		.amdhsa_system_sgpr_workgroup_id_z 1
		.amdhsa_system_sgpr_workgroup_info 0
		.amdhsa_system_vgpr_workitem_id 1
		.amdhsa_next_free_vgpr 46
		.amdhsa_next_free_sgpr 61
		.amdhsa_reserve_vcc 1
		.amdhsa_reserve_flat_scratch 0
		.amdhsa_float_round_mode_32 0
		.amdhsa_float_round_mode_16_64 0
		.amdhsa_float_denorm_mode_32 3
		.amdhsa_float_denorm_mode_16_64 3
		.amdhsa_dx10_clamp 1
		.amdhsa_ieee_mode 1
		.amdhsa_fp16_overflow 0
		.amdhsa_exception_fp_ieee_invalid_op 0
		.amdhsa_exception_fp_denorm_src 0
		.amdhsa_exception_fp_ieee_div_zero 0
		.amdhsa_exception_fp_ieee_overflow 0
		.amdhsa_exception_fp_ieee_underflow 0
		.amdhsa_exception_fp_ieee_inexact 0
		.amdhsa_exception_int_div_zero 0
	.end_amdhsa_kernel
	.section	.text._ZL32rocblas_syrkx_herkx_small_kernelIi19rocblas_complex_numIdELi16ELb1ELb0ELc78ELc76EKS1_S1_EviT_T0_PT6_S3_lS6_S3_lS4_PT7_S3_li,"axG",@progbits,_ZL32rocblas_syrkx_herkx_small_kernelIi19rocblas_complex_numIdELi16ELb1ELb0ELc78ELc76EKS1_S1_EviT_T0_PT6_S3_lS6_S3_lS4_PT7_S3_li,comdat
.Lfunc_end283:
	.size	_ZL32rocblas_syrkx_herkx_small_kernelIi19rocblas_complex_numIdELi16ELb1ELb0ELc78ELc76EKS1_S1_EviT_T0_PT6_S3_lS6_S3_lS4_PT7_S3_li, .Lfunc_end283-_ZL32rocblas_syrkx_herkx_small_kernelIi19rocblas_complex_numIdELi16ELb1ELb0ELc78ELc76EKS1_S1_EviT_T0_PT6_S3_lS6_S3_lS4_PT7_S3_li
                                        ; -- End function
	.set _ZL32rocblas_syrkx_herkx_small_kernelIi19rocblas_complex_numIdELi16ELb1ELb0ELc78ELc76EKS1_S1_EviT_T0_PT6_S3_lS6_S3_lS4_PT7_S3_li.num_vgpr, 46
	.set _ZL32rocblas_syrkx_herkx_small_kernelIi19rocblas_complex_numIdELi16ELb1ELb0ELc78ELc76EKS1_S1_EviT_T0_PT6_S3_lS6_S3_lS4_PT7_S3_li.num_agpr, 0
	.set _ZL32rocblas_syrkx_herkx_small_kernelIi19rocblas_complex_numIdELi16ELb1ELb0ELc78ELc76EKS1_S1_EviT_T0_PT6_S3_lS6_S3_lS4_PT7_S3_li.numbered_sgpr, 27
	.set _ZL32rocblas_syrkx_herkx_small_kernelIi19rocblas_complex_numIdELi16ELb1ELb0ELc78ELc76EKS1_S1_EviT_T0_PT6_S3_lS6_S3_lS4_PT7_S3_li.num_named_barrier, 0
	.set _ZL32rocblas_syrkx_herkx_small_kernelIi19rocblas_complex_numIdELi16ELb1ELb0ELc78ELc76EKS1_S1_EviT_T0_PT6_S3_lS6_S3_lS4_PT7_S3_li.private_seg_size, 0
	.set _ZL32rocblas_syrkx_herkx_small_kernelIi19rocblas_complex_numIdELi16ELb1ELb0ELc78ELc76EKS1_S1_EviT_T0_PT6_S3_lS6_S3_lS4_PT7_S3_li.uses_vcc, 1
	.set _ZL32rocblas_syrkx_herkx_small_kernelIi19rocblas_complex_numIdELi16ELb1ELb0ELc78ELc76EKS1_S1_EviT_T0_PT6_S3_lS6_S3_lS4_PT7_S3_li.uses_flat_scratch, 0
	.set _ZL32rocblas_syrkx_herkx_small_kernelIi19rocblas_complex_numIdELi16ELb1ELb0ELc78ELc76EKS1_S1_EviT_T0_PT6_S3_lS6_S3_lS4_PT7_S3_li.has_dyn_sized_stack, 0
	.set _ZL32rocblas_syrkx_herkx_small_kernelIi19rocblas_complex_numIdELi16ELb1ELb0ELc78ELc76EKS1_S1_EviT_T0_PT6_S3_lS6_S3_lS4_PT7_S3_li.has_recursion, 0
	.set _ZL32rocblas_syrkx_herkx_small_kernelIi19rocblas_complex_numIdELi16ELb1ELb0ELc78ELc76EKS1_S1_EviT_T0_PT6_S3_lS6_S3_lS4_PT7_S3_li.has_indirect_call, 0
	.section	.AMDGPU.csdata,"",@progbits
; Kernel info:
; codeLenInByte = 1872
; TotalNumSgprs: 31
; NumVgprs: 46
; ScratchSize: 0
; MemoryBound: 1
; FloatMode: 240
; IeeeMode: 1
; LDSByteSize: 8192 bytes/workgroup (compile time only)
; SGPRBlocks: 8
; VGPRBlocks: 11
; NumSGPRsForWavesPerEU: 65
; NumVGPRsForWavesPerEU: 46
; Occupancy: 5
; WaveLimiterHint : 0
; COMPUTE_PGM_RSRC2:SCRATCH_EN: 0
; COMPUTE_PGM_RSRC2:USER_SGPR: 6
; COMPUTE_PGM_RSRC2:TRAP_HANDLER: 0
; COMPUTE_PGM_RSRC2:TGID_X_EN: 1
; COMPUTE_PGM_RSRC2:TGID_Y_EN: 1
; COMPUTE_PGM_RSRC2:TGID_Z_EN: 1
; COMPUTE_PGM_RSRC2:TIDIG_COMP_CNT: 1
	.section	.text._ZL32rocblas_syrkx_herkx_small_kernelIi19rocblas_complex_numIdELi16ELb1ELb0ELc84ELc85EKS1_S1_EviT_T0_PT6_S3_lS6_S3_lS4_PT7_S3_li,"axG",@progbits,_ZL32rocblas_syrkx_herkx_small_kernelIi19rocblas_complex_numIdELi16ELb1ELb0ELc84ELc85EKS1_S1_EviT_T0_PT6_S3_lS6_S3_lS4_PT7_S3_li,comdat
	.globl	_ZL32rocblas_syrkx_herkx_small_kernelIi19rocblas_complex_numIdELi16ELb1ELb0ELc84ELc85EKS1_S1_EviT_T0_PT6_S3_lS6_S3_lS4_PT7_S3_li ; -- Begin function _ZL32rocblas_syrkx_herkx_small_kernelIi19rocblas_complex_numIdELi16ELb1ELb0ELc84ELc85EKS1_S1_EviT_T0_PT6_S3_lS6_S3_lS4_PT7_S3_li
	.p2align	8
	.type	_ZL32rocblas_syrkx_herkx_small_kernelIi19rocblas_complex_numIdELi16ELb1ELb0ELc84ELc85EKS1_S1_EviT_T0_PT6_S3_lS6_S3_lS4_PT7_S3_li,@function
_ZL32rocblas_syrkx_herkx_small_kernelIi19rocblas_complex_numIdELi16ELb1ELb0ELc84ELc85EKS1_S1_EviT_T0_PT6_S3_lS6_S3_lS4_PT7_S3_li: ; @_ZL32rocblas_syrkx_herkx_small_kernelIi19rocblas_complex_numIdELi16ELb1ELb0ELc84ELc85EKS1_S1_EviT_T0_PT6_S3_lS6_S3_lS4_PT7_S3_li
; %bb.0:
	s_load_dwordx2 s[10:11], s[4:5], 0x0
	s_load_dwordx4 s[12:15], s[4:5], 0x8
	s_load_dwordx2 s[16:17], s[4:5], 0x18
	v_lshl_add_u32 v15, s7, 4, v1
	s_mov_b32 s9, 0
	v_lshl_add_u32 v6, s6, 4, v0
	s_waitcnt lgkmcnt(0)
	s_cmp_lt_i32 s11, 1
	v_cmp_gt_i32_e32 vcc, s10, v15
	s_cbranch_scc1 .LBB284_11
; %bb.1:
	s_load_dword s18, s[4:5], 0x20
	s_load_dwordx4 s[20:23], s[4:5], 0x28
	s_load_dword s6, s[4:5], 0x38
	s_load_dwordx2 s[2:3], s[4:5], 0x40
	v_lshlrev_b32_e32 v4, 8, v1
	v_lshlrev_b32_e32 v16, 4, v0
	v_add_u32_e32 v17, v16, v4
	s_waitcnt lgkmcnt(0)
	v_mad_i64_i32 v[2:3], s[6:7], s6, v15, 0
	s_mul_i32 s3, s3, s8
	s_mul_hi_u32 s6, s2, s8
	v_lshlrev_b64 v[2:3], 4, v[2:3]
	s_add_i32 s3, s6, s3
	s_mul_i32 s2, s2, s8
	s_lshl_b64 s[2:3], s[2:3], 4
	v_add_u32_e32 v18, 0x1000, v4
	v_mov_b32_e32 v4, s3
	v_add_co_u32_e64 v2, s[2:3], s2, v2
	v_addc_co_u32_e64 v3, s[2:3], v3, v4, s[2:3]
	v_add_co_u32_e64 v4, s[2:3], v2, v16
	v_addc_co_u32_e64 v5, s[2:3], 0, v3, s[2:3]
	v_mad_i64_i32 v[2:3], s[2:3], s18, v6, 0
	v_mov_b32_e32 v8, s23
	v_add_co_u32_e64 v7, s[2:3], s22, v4
	v_addc_co_u32_e64 v8, s[2:3], v8, v5, s[2:3]
	s_mul_i32 s2, s21, s8
	s_mul_hi_u32 s3, s20, s8
	v_lshlrev_b64 v[2:3], 4, v[2:3]
	s_add_i32 s3, s3, s2
	s_mul_i32 s2, s20, s8
	s_lshl_b64 s[2:3], s[2:3], 4
	v_mov_b32_e32 v4, s3
	v_add_co_u32_e64 v2, s[2:3], s2, v2
	v_addc_co_u32_e64 v3, s[2:3], v3, v4, s[2:3]
	v_lshlrev_b32_e32 v4, 4, v1
	v_add_co_u32_e64 v2, s[2:3], v2, v4
	v_addc_co_u32_e64 v3, s[2:3], 0, v3, s[2:3]
	v_mov_b32_e32 v4, s17
	v_add_co_u32_e64 v9, s[2:3], s16, v2
	v_cmp_gt_i32_e64 s[0:1], s10, v6
	v_addc_co_u32_e64 v10, s[2:3], v4, v3, s[2:3]
	v_mov_b32_e32 v13, 0
	v_mov_b32_e32 v11, 0
	v_add_u32_e32 v19, v18, v16
	v_mov_b32_e32 v14, 0
	s_xor_b64 s[0:1], s[0:1], -1
	s_xor_b64 s[2:3], vcc, -1
	v_mov_b32_e32 v12, 0
	v_mov_b32_e32 v2, 0
	s_branch .LBB284_3
.LBB284_2:                              ;   in Loop: Header=BB284_3 Depth=1
	s_or_b64 exec, exec, s[6:7]
	s_waitcnt lgkmcnt(0)
	s_barrier
	ds_read_b128 v[20:23], v18
	ds_read_b128 v[24:27], v18 offset:16
	ds_read_b128 v[28:31], v18 offset:32
	;; [unrolled: 1-line block ×3, first 2 shown]
	ds_read_b128 v[36:39], v16
	v_add_co_u32_e32 v7, vcc, 0x100, v7
	v_addc_co_u32_e32 v8, vcc, 0, v8, vcc
	s_waitcnt lgkmcnt(0)
	v_mul_f64 v[3:4], v[22:23], v[38:39]
	s_add_i32 s9, s9, 16
	v_add_co_u32_e32 v9, vcc, 0x100, v9
	v_addc_co_u32_e32 v10, vcc, 0, v10, vcc
	s_cmp_ge_i32 s9, s11
	v_fma_f64 v[3:4], v[20:21], v[36:37], -v[3:4]
	v_mul_f64 v[20:21], v[20:21], v[38:39]
	v_add_f64 v[3:4], v[11:12], v[3:4]
	v_fma_f64 v[20:21], v[22:23], v[36:37], v[20:21]
	v_add_f64 v[20:21], v[13:14], v[20:21]
	ds_read_b128 v[11:14], v16 offset:256
	s_waitcnt lgkmcnt(0)
	v_mul_f64 v[22:23], v[26:27], v[13:14]
	v_mul_f64 v[13:14], v[24:25], v[13:14]
	v_fma_f64 v[22:23], v[24:25], v[11:12], -v[22:23]
	v_fma_f64 v[11:12], v[26:27], v[11:12], v[13:14]
	v_add_f64 v[3:4], v[3:4], v[22:23]
	v_add_f64 v[20:21], v[20:21], v[11:12]
	ds_read_b128 v[11:14], v16 offset:512
	s_waitcnt lgkmcnt(0)
	v_mul_f64 v[22:23], v[30:31], v[13:14]
	v_mul_f64 v[13:14], v[28:29], v[13:14]
	v_fma_f64 v[22:23], v[28:29], v[11:12], -v[22:23]
	v_fma_f64 v[11:12], v[30:31], v[11:12], v[13:14]
	v_add_f64 v[3:4], v[3:4], v[22:23]
	v_add_f64 v[20:21], v[20:21], v[11:12]
	ds_read_b128 v[11:14], v16 offset:768
	s_waitcnt lgkmcnt(0)
	v_mul_f64 v[22:23], v[34:35], v[13:14]
	v_mul_f64 v[13:14], v[32:33], v[13:14]
	v_fma_f64 v[22:23], v[32:33], v[11:12], -v[22:23]
	v_fma_f64 v[11:12], v[34:35], v[11:12], v[13:14]
	v_add_f64 v[3:4], v[3:4], v[22:23]
	v_add_f64 v[24:25], v[20:21], v[11:12]
	ds_read_b128 v[11:14], v18 offset:64
	ds_read_b128 v[20:23], v16 offset:1024
	s_waitcnt lgkmcnt(0)
	v_mul_f64 v[26:27], v[13:14], v[22:23]
	v_fma_f64 v[26:27], v[11:12], v[20:21], -v[26:27]
	v_mul_f64 v[11:12], v[11:12], v[22:23]
	v_add_f64 v[3:4], v[3:4], v[26:27]
	v_fma_f64 v[11:12], v[13:14], v[20:21], v[11:12]
	v_add_f64 v[24:25], v[24:25], v[11:12]
	ds_read_b128 v[11:14], v18 offset:80
	ds_read_b128 v[20:23], v16 offset:1280
	s_waitcnt lgkmcnt(0)
	v_mul_f64 v[26:27], v[13:14], v[22:23]
	v_fma_f64 v[26:27], v[11:12], v[20:21], -v[26:27]
	v_mul_f64 v[11:12], v[11:12], v[22:23]
	v_add_f64 v[3:4], v[3:4], v[26:27]
	v_fma_f64 v[11:12], v[13:14], v[20:21], v[11:12]
	;; [unrolled: 9-line block ×11, first 2 shown]
	v_add_f64 v[24:25], v[24:25], v[11:12]
	ds_read_b128 v[11:14], v18 offset:240
	ds_read_b128 v[20:23], v16 offset:3840
	s_waitcnt lgkmcnt(0)
	s_barrier
	v_mul_f64 v[26:27], v[13:14], v[22:23]
	v_fma_f64 v[26:27], v[11:12], v[20:21], -v[26:27]
	v_mul_f64 v[11:12], v[11:12], v[22:23]
	v_fma_f64 v[13:14], v[13:14], v[20:21], v[11:12]
	v_add_f64 v[11:12], v[3:4], v[26:27]
	v_add_f64 v[13:14], v[24:25], v[13:14]
	s_cbranch_scc1 .LBB284_12
.LBB284_3:                              ; =>This Inner Loop Header: Depth=1
	v_add_u32_e32 v3, s9, v1
	v_cmp_le_i32_e32 vcc, s11, v3
	s_or_b64 s[6:7], s[0:1], vcc
	s_and_saveexec_b64 s[16:17], s[6:7]
	s_xor_b64 s[6:7], exec, s[16:17]
; %bb.4:                                ;   in Loop: Header=BB284_3 Depth=1
	v_mov_b32_e32 v3, v2
	v_mov_b32_e32 v4, v2
	;; [unrolled: 1-line block ×3, first 2 shown]
	ds_write_b128 v17, v[2:5]
; %bb.5:                                ;   in Loop: Header=BB284_3 Depth=1
	s_andn2_saveexec_b64 s[6:7], s[6:7]
	s_cbranch_execz .LBB284_7
; %bb.6:                                ;   in Loop: Header=BB284_3 Depth=1
	global_load_dwordx4 v[20:23], v[9:10], off
	s_waitcnt vmcnt(0)
	ds_write2_b64 v17, v[20:21], v[22:23] offset1:1
.LBB284_7:                              ;   in Loop: Header=BB284_3 Depth=1
	s_or_b64 exec, exec, s[6:7]
	v_add_u32_e32 v3, s9, v0
	v_cmp_le_i32_e32 vcc, s11, v3
	s_or_b64 s[6:7], s[2:3], vcc
	s_and_saveexec_b64 s[16:17], s[6:7]
	s_xor_b64 s[6:7], exec, s[16:17]
; %bb.8:                                ;   in Loop: Header=BB284_3 Depth=1
	v_mov_b32_e32 v3, v2
	v_mov_b32_e32 v4, v2
	;; [unrolled: 1-line block ×3, first 2 shown]
	ds_write_b128 v19, v[2:5]
; %bb.9:                                ;   in Loop: Header=BB284_3 Depth=1
	s_andn2_saveexec_b64 s[6:7], s[6:7]
	s_cbranch_execz .LBB284_2
; %bb.10:                               ;   in Loop: Header=BB284_3 Depth=1
	global_load_dwordx4 v[20:23], v[7:8], off
	s_waitcnt vmcnt(0)
	ds_write2_b64 v19, v[20:21], v[22:23] offset1:1
	s_branch .LBB284_2
.LBB284_11:
	v_mov_b32_e32 v13, 0
	v_mov_b32_e32 v11, 0
	;; [unrolled: 1-line block ×4, first 2 shown]
.LBB284_12:
	v_cmp_le_i32_e32 vcc, v6, v15
	v_cmp_gt_i32_e64 s[0:1], s10, v15
	s_and_b64 s[0:1], vcc, s[0:1]
	s_and_saveexec_b64 s[2:3], s[0:1]
	s_cbranch_execz .LBB284_14
; %bb.13:
	s_load_dwordx2 s[0:1], s[4:5], 0x68
	s_load_dwordx2 s[2:3], s[4:5], 0x58
	s_load_dword s6, s[4:5], 0x60
	v_mul_f64 v[0:1], s[14:15], v[13:14]
	v_mul_f64 v[2:3], s[12:13], v[13:14]
	s_waitcnt lgkmcnt(0)
	s_mul_i32 s1, s1, s8
	s_mul_hi_u32 s4, s0, s8
	s_add_i32 s1, s4, s1
	s_mul_i32 s0, s0, s8
	s_lshl_b64 s[0:1], s[0:1], 4
	s_add_u32 s2, s2, s0
	s_addc_u32 s3, s3, s1
	v_mad_i64_i32 v[4:5], s[0:1], s6, v15, 0
	v_fma_f64 v[0:1], s[12:13], v[11:12], -v[0:1]
	v_fma_f64 v[2:3], s[14:15], v[11:12], v[2:3]
	v_lshlrev_b64 v[4:5], 4, v[4:5]
	v_ashrrev_i32_e32 v7, 31, v6
	v_mov_b32_e32 v8, s3
	v_add_co_u32_e32 v9, vcc, s2, v4
	v_addc_co_u32_e32 v8, vcc, v8, v5, vcc
	v_lshlrev_b64 v[4:5], 4, v[6:7]
	v_add_co_u32_e32 v4, vcc, v9, v4
	v_addc_co_u32_e32 v5, vcc, v8, v5, vcc
	global_store_dwordx4 v[4:5], v[0:3], off
.LBB284_14:
	s_endpgm
	.section	.rodata,"a",@progbits
	.p2align	6, 0x0
	.amdhsa_kernel _ZL32rocblas_syrkx_herkx_small_kernelIi19rocblas_complex_numIdELi16ELb1ELb0ELc84ELc85EKS1_S1_EviT_T0_PT6_S3_lS6_S3_lS4_PT7_S3_li
		.amdhsa_group_segment_fixed_size 8192
		.amdhsa_private_segment_fixed_size 0
		.amdhsa_kernarg_size 116
		.amdhsa_user_sgpr_count 6
		.amdhsa_user_sgpr_private_segment_buffer 1
		.amdhsa_user_sgpr_dispatch_ptr 0
		.amdhsa_user_sgpr_queue_ptr 0
		.amdhsa_user_sgpr_kernarg_segment_ptr 1
		.amdhsa_user_sgpr_dispatch_id 0
		.amdhsa_user_sgpr_flat_scratch_init 0
		.amdhsa_user_sgpr_private_segment_size 0
		.amdhsa_uses_dynamic_stack 0
		.amdhsa_system_sgpr_private_segment_wavefront_offset 0
		.amdhsa_system_sgpr_workgroup_id_x 1
		.amdhsa_system_sgpr_workgroup_id_y 1
		.amdhsa_system_sgpr_workgroup_id_z 1
		.amdhsa_system_sgpr_workgroup_info 0
		.amdhsa_system_vgpr_workitem_id 1
		.amdhsa_next_free_vgpr 40
		.amdhsa_next_free_sgpr 61
		.amdhsa_reserve_vcc 1
		.amdhsa_reserve_flat_scratch 0
		.amdhsa_float_round_mode_32 0
		.amdhsa_float_round_mode_16_64 0
		.amdhsa_float_denorm_mode_32 3
		.amdhsa_float_denorm_mode_16_64 3
		.amdhsa_dx10_clamp 1
		.amdhsa_ieee_mode 1
		.amdhsa_fp16_overflow 0
		.amdhsa_exception_fp_ieee_invalid_op 0
		.amdhsa_exception_fp_denorm_src 0
		.amdhsa_exception_fp_ieee_div_zero 0
		.amdhsa_exception_fp_ieee_overflow 0
		.amdhsa_exception_fp_ieee_underflow 0
		.amdhsa_exception_fp_ieee_inexact 0
		.amdhsa_exception_int_div_zero 0
	.end_amdhsa_kernel
	.section	.text._ZL32rocblas_syrkx_herkx_small_kernelIi19rocblas_complex_numIdELi16ELb1ELb0ELc84ELc85EKS1_S1_EviT_T0_PT6_S3_lS6_S3_lS4_PT7_S3_li,"axG",@progbits,_ZL32rocblas_syrkx_herkx_small_kernelIi19rocblas_complex_numIdELi16ELb1ELb0ELc84ELc85EKS1_S1_EviT_T0_PT6_S3_lS6_S3_lS4_PT7_S3_li,comdat
.Lfunc_end284:
	.size	_ZL32rocblas_syrkx_herkx_small_kernelIi19rocblas_complex_numIdELi16ELb1ELb0ELc84ELc85EKS1_S1_EviT_T0_PT6_S3_lS6_S3_lS4_PT7_S3_li, .Lfunc_end284-_ZL32rocblas_syrkx_herkx_small_kernelIi19rocblas_complex_numIdELi16ELb1ELb0ELc84ELc85EKS1_S1_EviT_T0_PT6_S3_lS6_S3_lS4_PT7_S3_li
                                        ; -- End function
	.set _ZL32rocblas_syrkx_herkx_small_kernelIi19rocblas_complex_numIdELi16ELb1ELb0ELc84ELc85EKS1_S1_EviT_T0_PT6_S3_lS6_S3_lS4_PT7_S3_li.num_vgpr, 40
	.set _ZL32rocblas_syrkx_herkx_small_kernelIi19rocblas_complex_numIdELi16ELb1ELb0ELc84ELc85EKS1_S1_EviT_T0_PT6_S3_lS6_S3_lS4_PT7_S3_li.num_agpr, 0
	.set _ZL32rocblas_syrkx_herkx_small_kernelIi19rocblas_complex_numIdELi16ELb1ELb0ELc84ELc85EKS1_S1_EviT_T0_PT6_S3_lS6_S3_lS4_PT7_S3_li.numbered_sgpr, 24
	.set _ZL32rocblas_syrkx_herkx_small_kernelIi19rocblas_complex_numIdELi16ELb1ELb0ELc84ELc85EKS1_S1_EviT_T0_PT6_S3_lS6_S3_lS4_PT7_S3_li.num_named_barrier, 0
	.set _ZL32rocblas_syrkx_herkx_small_kernelIi19rocblas_complex_numIdELi16ELb1ELb0ELc84ELc85EKS1_S1_EviT_T0_PT6_S3_lS6_S3_lS4_PT7_S3_li.private_seg_size, 0
	.set _ZL32rocblas_syrkx_herkx_small_kernelIi19rocblas_complex_numIdELi16ELb1ELb0ELc84ELc85EKS1_S1_EviT_T0_PT6_S3_lS6_S3_lS4_PT7_S3_li.uses_vcc, 1
	.set _ZL32rocblas_syrkx_herkx_small_kernelIi19rocblas_complex_numIdELi16ELb1ELb0ELc84ELc85EKS1_S1_EviT_T0_PT6_S3_lS6_S3_lS4_PT7_S3_li.uses_flat_scratch, 0
	.set _ZL32rocblas_syrkx_herkx_small_kernelIi19rocblas_complex_numIdELi16ELb1ELb0ELc84ELc85EKS1_S1_EviT_T0_PT6_S3_lS6_S3_lS4_PT7_S3_li.has_dyn_sized_stack, 0
	.set _ZL32rocblas_syrkx_herkx_small_kernelIi19rocblas_complex_numIdELi16ELb1ELb0ELc84ELc85EKS1_S1_EviT_T0_PT6_S3_lS6_S3_lS4_PT7_S3_li.has_recursion, 0
	.set _ZL32rocblas_syrkx_herkx_small_kernelIi19rocblas_complex_numIdELi16ELb1ELb0ELc84ELc85EKS1_S1_EviT_T0_PT6_S3_lS6_S3_lS4_PT7_S3_li.has_indirect_call, 0
	.section	.AMDGPU.csdata,"",@progbits
; Kernel info:
; codeLenInByte = 1820
; TotalNumSgprs: 28
; NumVgprs: 40
; ScratchSize: 0
; MemoryBound: 0
; FloatMode: 240
; IeeeMode: 1
; LDSByteSize: 8192 bytes/workgroup (compile time only)
; SGPRBlocks: 8
; VGPRBlocks: 9
; NumSGPRsForWavesPerEU: 65
; NumVGPRsForWavesPerEU: 40
; Occupancy: 6
; WaveLimiterHint : 0
; COMPUTE_PGM_RSRC2:SCRATCH_EN: 0
; COMPUTE_PGM_RSRC2:USER_SGPR: 6
; COMPUTE_PGM_RSRC2:TRAP_HANDLER: 0
; COMPUTE_PGM_RSRC2:TGID_X_EN: 1
; COMPUTE_PGM_RSRC2:TGID_Y_EN: 1
; COMPUTE_PGM_RSRC2:TGID_Z_EN: 1
; COMPUTE_PGM_RSRC2:TIDIG_COMP_CNT: 1
	.section	.text._ZL32rocblas_syrkx_herkx_small_kernelIi19rocblas_complex_numIdELi16ELb1ELb0ELc67ELc85EKS1_S1_EviT_T0_PT6_S3_lS6_S3_lS4_PT7_S3_li,"axG",@progbits,_ZL32rocblas_syrkx_herkx_small_kernelIi19rocblas_complex_numIdELi16ELb1ELb0ELc67ELc85EKS1_S1_EviT_T0_PT6_S3_lS6_S3_lS4_PT7_S3_li,comdat
	.globl	_ZL32rocblas_syrkx_herkx_small_kernelIi19rocblas_complex_numIdELi16ELb1ELb0ELc67ELc85EKS1_S1_EviT_T0_PT6_S3_lS6_S3_lS4_PT7_S3_li ; -- Begin function _ZL32rocblas_syrkx_herkx_small_kernelIi19rocblas_complex_numIdELi16ELb1ELb0ELc67ELc85EKS1_S1_EviT_T0_PT6_S3_lS6_S3_lS4_PT7_S3_li
	.p2align	8
	.type	_ZL32rocblas_syrkx_herkx_small_kernelIi19rocblas_complex_numIdELi16ELb1ELb0ELc67ELc85EKS1_S1_EviT_T0_PT6_S3_lS6_S3_lS4_PT7_S3_li,@function
_ZL32rocblas_syrkx_herkx_small_kernelIi19rocblas_complex_numIdELi16ELb1ELb0ELc67ELc85EKS1_S1_EviT_T0_PT6_S3_lS6_S3_lS4_PT7_S3_li: ; @_ZL32rocblas_syrkx_herkx_small_kernelIi19rocblas_complex_numIdELi16ELb1ELb0ELc67ELc85EKS1_S1_EviT_T0_PT6_S3_lS6_S3_lS4_PT7_S3_li
; %bb.0:
	s_load_dwordx2 s[10:11], s[4:5], 0x0
	s_load_dwordx4 s[12:15], s[4:5], 0x8
	s_load_dwordx2 s[16:17], s[4:5], 0x18
	v_lshl_add_u32 v16, s7, 4, v1
	s_mov_b32 s9, 0
	v_lshl_add_u32 v7, s6, 4, v0
	s_waitcnt lgkmcnt(0)
	s_cmp_lt_i32 s11, 1
	v_cmp_gt_i32_e32 vcc, s10, v16
	s_cbranch_scc1 .LBB285_9
; %bb.1:
	s_load_dword s18, s[4:5], 0x20
	s_load_dwordx4 s[20:23], s[4:5], 0x28
	s_load_dword s6, s[4:5], 0x38
	s_load_dwordx2 s[2:3], s[4:5], 0x40
	v_lshlrev_b32_e32 v4, 8, v1
	v_lshlrev_b32_e32 v17, 4, v0
	v_add_u32_e32 v18, v17, v4
	s_waitcnt lgkmcnt(0)
	v_mad_i64_i32 v[2:3], s[6:7], s6, v16, 0
	s_mul_i32 s3, s3, s8
	s_mul_hi_u32 s6, s2, s8
	v_lshlrev_b64 v[2:3], 4, v[2:3]
	s_add_i32 s3, s6, s3
	s_mul_i32 s2, s2, s8
	s_lshl_b64 s[2:3], s[2:3], 4
	v_add_u32_e32 v19, 0x1000, v4
	v_mov_b32_e32 v4, s3
	v_add_co_u32_e64 v2, s[2:3], s2, v2
	v_addc_co_u32_e64 v3, s[2:3], v3, v4, s[2:3]
	v_add_co_u32_e64 v4, s[2:3], v2, v17
	v_addc_co_u32_e64 v5, s[2:3], 0, v3, s[2:3]
	v_mad_i64_i32 v[2:3], s[2:3], s18, v7, 0
	v_mov_b32_e32 v6, s23
	v_add_co_u32_e64 v8, s[2:3], s22, v4
	v_addc_co_u32_e64 v9, s[2:3], v6, v5, s[2:3]
	s_mul_i32 s2, s21, s8
	s_mul_hi_u32 s3, s20, s8
	v_lshlrev_b64 v[2:3], 4, v[2:3]
	s_add_i32 s3, s3, s2
	s_mul_i32 s2, s20, s8
	s_lshl_b64 s[2:3], s[2:3], 4
	v_mov_b32_e32 v4, s3
	v_add_co_u32_e64 v2, s[2:3], s2, v2
	v_addc_co_u32_e64 v3, s[2:3], v3, v4, s[2:3]
	v_lshlrev_b32_e32 v4, 4, v1
	v_add_co_u32_e64 v2, s[2:3], v2, v4
	v_addc_co_u32_e64 v3, s[2:3], 0, v3, s[2:3]
	v_mov_b32_e32 v4, s17
	v_add_co_u32_e64 v2, s[2:3], s16, v2
	v_addc_co_u32_e64 v3, s[2:3], v4, v3, s[2:3]
	v_add_co_u32_e64 v10, s[2:3], 8, v2
	v_addc_co_u32_e64 v11, s[2:3], 0, v3, s[2:3]
	v_mov_b32_e32 v14, 0
	v_mov_b32_e32 v12, 0
	v_cmp_gt_i32_e64 s[0:1], s10, v7
	v_add_u32_e32 v20, v19, v17
	v_mov_b32_e32 v15, 0
	s_xor_b64 s[2:3], vcc, -1
	v_mov_b32_e32 v13, 0
	v_mov_b32_e32 v2, 0
	s_branch .LBB285_3
.LBB285_2:                              ;   in Loop: Header=BB285_3 Depth=1
	s_or_b64 exec, exec, s[6:7]
	s_waitcnt lgkmcnt(0)
	s_barrier
	ds_read_b128 v[3:6], v17
	ds_read_b128 v[21:24], v19
	ds_read_b128 v[25:28], v19 offset:16
	ds_read_b128 v[29:32], v17 offset:256
	;; [unrolled: 1-line block ×4, first 2 shown]
	s_waitcnt lgkmcnt(4)
	v_mul_f64 v[41:42], v[23:24], v[5:6]
	v_mul_f64 v[5:6], v[21:22], v[5:6]
	s_waitcnt lgkmcnt(2)
	v_mul_f64 v[43:44], v[27:28], v[31:32]
	v_mul_f64 v[31:32], v[25:26], v[31:32]
	s_waitcnt lgkmcnt(0)
	v_mul_f64 v[47:48], v[35:36], v[39:40]
	v_add_co_u32_e32 v8, vcc, 0x100, v8
	v_addc_co_u32_e32 v9, vcc, 0, v9, vcc
	v_fma_f64 v[41:42], v[21:22], v[3:4], -v[41:42]
	v_fma_f64 v[45:46], v[23:24], v[3:4], v[5:6]
	v_fma_f64 v[25:26], v[25:26], v[29:30], -v[43:44]
	v_fma_f64 v[27:28], v[27:28], v[29:30], v[31:32]
	v_mul_f64 v[29:30], v[33:34], v[39:40]
	ds_read_b128 v[3:6], v19 offset:48
	ds_read_b128 v[21:24], v17 offset:768
	v_fma_f64 v[33:34], v[33:34], v[37:38], -v[47:48]
	s_add_i32 s9, s9, 16
	v_add_f64 v[31:32], v[12:13], v[41:42]
	v_add_f64 v[39:40], v[14:15], v[45:46]
	s_waitcnt lgkmcnt(0)
	v_mul_f64 v[41:42], v[5:6], v[23:24]
	v_mul_f64 v[43:44], v[3:4], v[23:24]
	v_fma_f64 v[35:36], v[35:36], v[37:38], v[29:30]
	ds_read_b128 v[12:15], v19 offset:64
	v_add_co_u32_e32 v10, vcc, 0x100, v10
	v_add_f64 v[31:32], v[31:32], v[25:26]
	v_add_f64 v[37:38], v[39:40], v[27:28]
	ds_read_b128 v[23:26], v17 offset:1024
	v_fma_f64 v[39:40], v[3:4], v[21:22], -v[41:42]
	v_fma_f64 v[21:22], v[5:6], v[21:22], v[43:44]
	ds_read_b128 v[3:6], v19 offset:80
	ds_read_b128 v[27:30], v17 offset:1280
	s_cmp_ge_i32 s9, s11
	s_waitcnt lgkmcnt(2)
	v_mul_f64 v[41:42], v[14:15], v[25:26]
	v_mul_f64 v[25:26], v[12:13], v[25:26]
	v_add_f64 v[43:44], v[31:32], v[33:34]
	v_add_f64 v[35:36], v[37:38], v[35:36]
	s_waitcnt lgkmcnt(0)
	v_mul_f64 v[45:46], v[5:6], v[29:30]
	v_mul_f64 v[29:30], v[3:4], v[29:30]
	ds_read_b128 v[31:34], v19 offset:96
	v_addc_co_u32_e32 v11, vcc, 0, v11, vcc
	v_fma_f64 v[41:42], v[12:13], v[23:24], -v[41:42]
	v_fma_f64 v[25:26], v[14:15], v[23:24], v[25:26]
	v_add_f64 v[39:40], v[43:44], v[39:40]
	v_add_f64 v[43:44], v[35:36], v[21:22]
	ds_read_b128 v[12:15], v17 offset:1536
	v_fma_f64 v[45:46], v[3:4], v[27:28], -v[45:46]
	v_fma_f64 v[27:28], v[5:6], v[27:28], v[29:30]
	ds_read_b128 v[21:24], v19 offset:112
	ds_read_b128 v[35:38], v17 offset:1792
	;; [unrolled: 1-line block ×3, first 2 shown]
	s_waitcnt lgkmcnt(3)
	v_mul_f64 v[47:48], v[33:34], v[14:15]
	v_mul_f64 v[14:15], v[31:32], v[14:15]
	v_add_f64 v[29:30], v[39:40], v[41:42]
	v_add_f64 v[25:26], v[43:44], v[25:26]
	s_waitcnt lgkmcnt(1)
	v_mul_f64 v[39:40], v[23:24], v[37:38]
	v_mul_f64 v[37:38], v[21:22], v[37:38]
	v_fma_f64 v[31:32], v[31:32], v[12:13], -v[47:48]
	v_fma_f64 v[33:34], v[33:34], v[12:13], v[14:15]
	v_add_f64 v[29:30], v[29:30], v[45:46]
	v_add_f64 v[41:42], v[25:26], v[27:28]
	ds_read_b128 v[12:15], v17 offset:2048
	v_fma_f64 v[39:40], v[21:22], v[35:36], -v[39:40]
	v_fma_f64 v[35:36], v[23:24], v[35:36], v[37:38]
	ds_read_b128 v[21:24], v19 offset:144
	ds_read_b128 v[25:28], v17 offset:2304
	s_waitcnt lgkmcnt(2)
	v_mul_f64 v[37:38], v[5:6], v[14:15]
	v_mul_f64 v[14:15], v[3:4], v[14:15]
	v_add_f64 v[43:44], v[29:30], v[31:32]
	v_add_f64 v[33:34], v[41:42], v[33:34]
	s_waitcnt lgkmcnt(0)
	v_mul_f64 v[41:42], v[23:24], v[27:28]
	v_mul_f64 v[27:28], v[21:22], v[27:28]
	ds_read_b128 v[29:32], v19 offset:160
	v_fma_f64 v[37:38], v[3:4], v[12:13], -v[37:38]
	v_fma_f64 v[45:46], v[5:6], v[12:13], v[14:15]
	v_add_f64 v[39:40], v[43:44], v[39:40]
	v_add_f64 v[43:44], v[33:34], v[35:36]
	ds_read_b128 v[3:6], v17 offset:2560
	v_fma_f64 v[41:42], v[21:22], v[25:26], -v[41:42]
	v_fma_f64 v[25:26], v[23:24], v[25:26], v[27:28]
	ds_read_b128 v[12:15], v19 offset:176
	ds_read_b128 v[33:36], v17 offset:2816
	;; [unrolled: 1-line block ×3, first 2 shown]
	s_waitcnt lgkmcnt(3)
	v_mul_f64 v[47:48], v[31:32], v[5:6]
	v_mul_f64 v[5:6], v[29:30], v[5:6]
	v_add_f64 v[27:28], v[39:40], v[37:38]
	v_add_f64 v[37:38], v[43:44], v[45:46]
	s_waitcnt lgkmcnt(1)
	v_mul_f64 v[39:40], v[14:15], v[35:36]
	v_mul_f64 v[35:36], v[12:13], v[35:36]
	v_fma_f64 v[29:30], v[29:30], v[3:4], -v[47:48]
	v_fma_f64 v[31:32], v[31:32], v[3:4], v[5:6]
	v_add_f64 v[41:42], v[27:28], v[41:42]
	v_add_f64 v[37:38], v[37:38], v[25:26]
	ds_read_b128 v[3:6], v17 offset:3072
	v_fma_f64 v[39:40], v[12:13], v[33:34], -v[39:40]
	v_fma_f64 v[33:34], v[14:15], v[33:34], v[35:36]
	ds_read_b128 v[12:15], v19 offset:208
	ds_read_b128 v[25:28], v17 offset:3328
	s_waitcnt lgkmcnt(2)
	v_mul_f64 v[35:36], v[23:24], v[5:6]
	v_mul_f64 v[5:6], v[21:22], v[5:6]
	v_add_f64 v[41:42], v[41:42], v[29:30]
	v_add_f64 v[37:38], v[37:38], v[31:32]
	s_waitcnt lgkmcnt(0)
	v_mul_f64 v[43:44], v[14:15], v[27:28]
	v_mul_f64 v[27:28], v[12:13], v[27:28]
	ds_read_b128 v[29:32], v19 offset:224
	v_fma_f64 v[45:46], v[21:22], v[3:4], -v[35:36]
	v_fma_f64 v[47:48], v[23:24], v[3:4], v[5:6]
	v_add_f64 v[39:40], v[41:42], v[39:40]
	v_add_f64 v[37:38], v[37:38], v[33:34]
	ds_read_b128 v[3:6], v17 offset:3584
	v_fma_f64 v[12:13], v[12:13], v[25:26], -v[43:44]
	v_fma_f64 v[14:15], v[14:15], v[25:26], v[27:28]
	ds_read_b128 v[21:24], v19 offset:240
	ds_read_b128 v[33:36], v17 offset:3840
	s_waitcnt lgkmcnt(0)
	v_mul_f64 v[41:42], v[31:32], v[5:6]
	v_mul_f64 v[5:6], v[29:30], v[5:6]
	v_add_f64 v[25:26], v[39:40], v[45:46]
	v_add_f64 v[27:28], v[37:38], v[47:48]
	v_mul_f64 v[37:38], v[23:24], v[35:36]
	v_mul_f64 v[35:36], v[21:22], v[35:36]
	s_barrier
	v_fma_f64 v[29:30], v[29:30], v[3:4], -v[41:42]
	v_fma_f64 v[3:4], v[31:32], v[3:4], v[5:6]
	v_add_f64 v[5:6], v[25:26], v[12:13]
	v_add_f64 v[12:13], v[27:28], v[14:15]
	v_fma_f64 v[14:15], v[21:22], v[33:34], -v[37:38]
	v_fma_f64 v[21:22], v[23:24], v[33:34], v[35:36]
	v_add_f64 v[5:6], v[5:6], v[29:30]
	v_add_f64 v[3:4], v[12:13], v[3:4]
	;; [unrolled: 1-line block ×4, first 2 shown]
	s_cbranch_scc1 .LBB285_10
.LBB285_3:                              ; =>This Inner Loop Header: Depth=1
	v_add_u32_e32 v3, s9, v1
	v_cmp_gt_i32_e32 vcc, s11, v3
	v_mov_b32_e32 v3, 0
	v_mov_b32_e32 v5, 0
	;; [unrolled: 1-line block ×4, first 2 shown]
	s_and_b64 s[16:17], s[0:1], vcc
	s_and_saveexec_b64 s[6:7], s[16:17]
	s_cbranch_execz .LBB285_5
; %bb.4:                                ;   in Loop: Header=BB285_3 Depth=1
	global_load_dwordx4 v[3:6], v[10:11], off offset:-8
.LBB285_5:                              ;   in Loop: Header=BB285_3 Depth=1
	s_or_b64 exec, exec, s[6:7]
	s_waitcnt vmcnt(0)
	ds_write_b128 v18, v[3:6]
	v_add_u32_e32 v3, s9, v0
	v_cmp_le_i32_e32 vcc, s11, v3
	s_or_b64 s[6:7], s[2:3], vcc
	s_and_saveexec_b64 s[16:17], s[6:7]
	s_xor_b64 s[6:7], exec, s[16:17]
; %bb.6:                                ;   in Loop: Header=BB285_3 Depth=1
	v_mov_b32_e32 v3, v2
	v_mov_b32_e32 v4, v2
	;; [unrolled: 1-line block ×3, first 2 shown]
	ds_write_b128 v20, v[2:5]
; %bb.7:                                ;   in Loop: Header=BB285_3 Depth=1
	s_andn2_saveexec_b64 s[6:7], s[6:7]
	s_cbranch_execz .LBB285_2
; %bb.8:                                ;   in Loop: Header=BB285_3 Depth=1
	global_load_dwordx4 v[3:6], v[8:9], off
	s_waitcnt vmcnt(0)
	ds_write2_b64 v20, v[3:4], v[5:6] offset1:1
	s_branch .LBB285_2
.LBB285_9:
	v_mov_b32_e32 v14, 0
	v_mov_b32_e32 v12, 0
	;; [unrolled: 1-line block ×4, first 2 shown]
.LBB285_10:
	v_cmp_le_i32_e32 vcc, v7, v16
	v_cmp_gt_i32_e64 s[0:1], s10, v16
	s_and_b64 s[0:1], vcc, s[0:1]
	s_and_saveexec_b64 s[2:3], s[0:1]
	s_cbranch_execz .LBB285_12
; %bb.11:
	s_load_dwordx2 s[0:1], s[4:5], 0x68
	s_load_dwordx2 s[2:3], s[4:5], 0x58
	s_load_dword s6, s[4:5], 0x60
	v_mul_f64 v[0:1], s[14:15], v[14:15]
	v_mul_f64 v[2:3], s[12:13], v[14:15]
	s_waitcnt lgkmcnt(0)
	s_mul_i32 s1, s1, s8
	s_mul_hi_u32 s4, s0, s8
	s_add_i32 s1, s4, s1
	s_mul_i32 s0, s0, s8
	s_lshl_b64 s[0:1], s[0:1], 4
	s_add_u32 s2, s2, s0
	s_addc_u32 s3, s3, s1
	v_mad_i64_i32 v[4:5], s[0:1], s6, v16, 0
	v_fma_f64 v[0:1], s[12:13], v[12:13], -v[0:1]
	v_fma_f64 v[2:3], s[14:15], v[12:13], v[2:3]
	v_lshlrev_b64 v[4:5], 4, v[4:5]
	v_ashrrev_i32_e32 v8, 31, v7
	v_mov_b32_e32 v6, s3
	v_add_co_u32_e32 v9, vcc, s2, v4
	v_addc_co_u32_e32 v6, vcc, v6, v5, vcc
	v_lshlrev_b64 v[4:5], 4, v[7:8]
	v_add_co_u32_e32 v4, vcc, v9, v4
	v_addc_co_u32_e32 v5, vcc, v6, v5, vcc
	global_store_dwordx4 v[4:5], v[0:3], off
.LBB285_12:
	s_endpgm
	.section	.rodata,"a",@progbits
	.p2align	6, 0x0
	.amdhsa_kernel _ZL32rocblas_syrkx_herkx_small_kernelIi19rocblas_complex_numIdELi16ELb1ELb0ELc67ELc85EKS1_S1_EviT_T0_PT6_S3_lS6_S3_lS4_PT7_S3_li
		.amdhsa_group_segment_fixed_size 8192
		.amdhsa_private_segment_fixed_size 0
		.amdhsa_kernarg_size 116
		.amdhsa_user_sgpr_count 6
		.amdhsa_user_sgpr_private_segment_buffer 1
		.amdhsa_user_sgpr_dispatch_ptr 0
		.amdhsa_user_sgpr_queue_ptr 0
		.amdhsa_user_sgpr_kernarg_segment_ptr 1
		.amdhsa_user_sgpr_dispatch_id 0
		.amdhsa_user_sgpr_flat_scratch_init 0
		.amdhsa_user_sgpr_private_segment_size 0
		.amdhsa_uses_dynamic_stack 0
		.amdhsa_system_sgpr_private_segment_wavefront_offset 0
		.amdhsa_system_sgpr_workgroup_id_x 1
		.amdhsa_system_sgpr_workgroup_id_y 1
		.amdhsa_system_sgpr_workgroup_id_z 1
		.amdhsa_system_sgpr_workgroup_info 0
		.amdhsa_system_vgpr_workitem_id 1
		.amdhsa_next_free_vgpr 49
		.amdhsa_next_free_sgpr 61
		.amdhsa_reserve_vcc 1
		.amdhsa_reserve_flat_scratch 0
		.amdhsa_float_round_mode_32 0
		.amdhsa_float_round_mode_16_64 0
		.amdhsa_float_denorm_mode_32 3
		.amdhsa_float_denorm_mode_16_64 3
		.amdhsa_dx10_clamp 1
		.amdhsa_ieee_mode 1
		.amdhsa_fp16_overflow 0
		.amdhsa_exception_fp_ieee_invalid_op 0
		.amdhsa_exception_fp_denorm_src 0
		.amdhsa_exception_fp_ieee_div_zero 0
		.amdhsa_exception_fp_ieee_overflow 0
		.amdhsa_exception_fp_ieee_underflow 0
		.amdhsa_exception_fp_ieee_inexact 0
		.amdhsa_exception_int_div_zero 0
	.end_amdhsa_kernel
	.section	.text._ZL32rocblas_syrkx_herkx_small_kernelIi19rocblas_complex_numIdELi16ELb1ELb0ELc67ELc85EKS1_S1_EviT_T0_PT6_S3_lS6_S3_lS4_PT7_S3_li,"axG",@progbits,_ZL32rocblas_syrkx_herkx_small_kernelIi19rocblas_complex_numIdELi16ELb1ELb0ELc67ELc85EKS1_S1_EviT_T0_PT6_S3_lS6_S3_lS4_PT7_S3_li,comdat
.Lfunc_end285:
	.size	_ZL32rocblas_syrkx_herkx_small_kernelIi19rocblas_complex_numIdELi16ELb1ELb0ELc67ELc85EKS1_S1_EviT_T0_PT6_S3_lS6_S3_lS4_PT7_S3_li, .Lfunc_end285-_ZL32rocblas_syrkx_herkx_small_kernelIi19rocblas_complex_numIdELi16ELb1ELb0ELc67ELc85EKS1_S1_EviT_T0_PT6_S3_lS6_S3_lS4_PT7_S3_li
                                        ; -- End function
	.set _ZL32rocblas_syrkx_herkx_small_kernelIi19rocblas_complex_numIdELi16ELb1ELb0ELc67ELc85EKS1_S1_EviT_T0_PT6_S3_lS6_S3_lS4_PT7_S3_li.num_vgpr, 49
	.set _ZL32rocblas_syrkx_herkx_small_kernelIi19rocblas_complex_numIdELi16ELb1ELb0ELc67ELc85EKS1_S1_EviT_T0_PT6_S3_lS6_S3_lS4_PT7_S3_li.num_agpr, 0
	.set _ZL32rocblas_syrkx_herkx_small_kernelIi19rocblas_complex_numIdELi16ELb1ELb0ELc67ELc85EKS1_S1_EviT_T0_PT6_S3_lS6_S3_lS4_PT7_S3_li.numbered_sgpr, 24
	.set _ZL32rocblas_syrkx_herkx_small_kernelIi19rocblas_complex_numIdELi16ELb1ELb0ELc67ELc85EKS1_S1_EviT_T0_PT6_S3_lS6_S3_lS4_PT7_S3_li.num_named_barrier, 0
	.set _ZL32rocblas_syrkx_herkx_small_kernelIi19rocblas_complex_numIdELi16ELb1ELb0ELc67ELc85EKS1_S1_EviT_T0_PT6_S3_lS6_S3_lS4_PT7_S3_li.private_seg_size, 0
	.set _ZL32rocblas_syrkx_herkx_small_kernelIi19rocblas_complex_numIdELi16ELb1ELb0ELc67ELc85EKS1_S1_EviT_T0_PT6_S3_lS6_S3_lS4_PT7_S3_li.uses_vcc, 1
	.set _ZL32rocblas_syrkx_herkx_small_kernelIi19rocblas_complex_numIdELi16ELb1ELb0ELc67ELc85EKS1_S1_EviT_T0_PT6_S3_lS6_S3_lS4_PT7_S3_li.uses_flat_scratch, 0
	.set _ZL32rocblas_syrkx_herkx_small_kernelIi19rocblas_complex_numIdELi16ELb1ELb0ELc67ELc85EKS1_S1_EviT_T0_PT6_S3_lS6_S3_lS4_PT7_S3_li.has_dyn_sized_stack, 0
	.set _ZL32rocblas_syrkx_herkx_small_kernelIi19rocblas_complex_numIdELi16ELb1ELb0ELc67ELc85EKS1_S1_EviT_T0_PT6_S3_lS6_S3_lS4_PT7_S3_li.has_recursion, 0
	.set _ZL32rocblas_syrkx_herkx_small_kernelIi19rocblas_complex_numIdELi16ELb1ELb0ELc67ELc85EKS1_S1_EviT_T0_PT6_S3_lS6_S3_lS4_PT7_S3_li.has_indirect_call, 0
	.section	.AMDGPU.csdata,"",@progbits
; Kernel info:
; codeLenInByte = 1816
; TotalNumSgprs: 28
; NumVgprs: 49
; ScratchSize: 0
; MemoryBound: 1
; FloatMode: 240
; IeeeMode: 1
; LDSByteSize: 8192 bytes/workgroup (compile time only)
; SGPRBlocks: 8
; VGPRBlocks: 12
; NumSGPRsForWavesPerEU: 65
; NumVGPRsForWavesPerEU: 49
; Occupancy: 4
; WaveLimiterHint : 0
; COMPUTE_PGM_RSRC2:SCRATCH_EN: 0
; COMPUTE_PGM_RSRC2:USER_SGPR: 6
; COMPUTE_PGM_RSRC2:TRAP_HANDLER: 0
; COMPUTE_PGM_RSRC2:TGID_X_EN: 1
; COMPUTE_PGM_RSRC2:TGID_Y_EN: 1
; COMPUTE_PGM_RSRC2:TGID_Z_EN: 1
; COMPUTE_PGM_RSRC2:TIDIG_COMP_CNT: 1
	.section	.text._ZL32rocblas_syrkx_herkx_small_kernelIi19rocblas_complex_numIdELi16ELb1ELb0ELc78ELc85EKS1_S1_EviT_T0_PT6_S3_lS6_S3_lS4_PT7_S3_li,"axG",@progbits,_ZL32rocblas_syrkx_herkx_small_kernelIi19rocblas_complex_numIdELi16ELb1ELb0ELc78ELc85EKS1_S1_EviT_T0_PT6_S3_lS6_S3_lS4_PT7_S3_li,comdat
	.globl	_ZL32rocblas_syrkx_herkx_small_kernelIi19rocblas_complex_numIdELi16ELb1ELb0ELc78ELc85EKS1_S1_EviT_T0_PT6_S3_lS6_S3_lS4_PT7_S3_li ; -- Begin function _ZL32rocblas_syrkx_herkx_small_kernelIi19rocblas_complex_numIdELi16ELb1ELb0ELc78ELc85EKS1_S1_EviT_T0_PT6_S3_lS6_S3_lS4_PT7_S3_li
	.p2align	8
	.type	_ZL32rocblas_syrkx_herkx_small_kernelIi19rocblas_complex_numIdELi16ELb1ELb0ELc78ELc85EKS1_S1_EviT_T0_PT6_S3_lS6_S3_lS4_PT7_S3_li,@function
_ZL32rocblas_syrkx_herkx_small_kernelIi19rocblas_complex_numIdELi16ELb1ELb0ELc78ELc85EKS1_S1_EviT_T0_PT6_S3_lS6_S3_lS4_PT7_S3_li: ; @_ZL32rocblas_syrkx_herkx_small_kernelIi19rocblas_complex_numIdELi16ELb1ELb0ELc78ELc85EKS1_S1_EviT_T0_PT6_S3_lS6_S3_lS4_PT7_S3_li
; %bb.0:
	s_load_dwordx2 s[10:11], s[4:5], 0x0
	s_load_dwordx4 s[12:15], s[4:5], 0x8
	s_load_dwordx2 s[20:21], s[4:5], 0x18
	v_lshl_add_u32 v7, s6, 4, v0
	v_lshl_add_u32 v9, s7, 4, v1
	s_mov_b32 s9, 0
	s_waitcnt lgkmcnt(0)
	s_cmp_lt_i32 s11, 1
	v_ashrrev_i32_e32 v8, 31, v7
	v_cmp_gt_i32_e32 vcc, s10, v9
	s_cbranch_scc1 .LBB286_9
; %bb.1:
	s_load_dword s22, s[4:5], 0x20
	s_load_dword s6, s[4:5], 0x38
	s_load_dwordx4 s[16:19], s[4:5], 0x28
	s_load_dwordx2 s[2:3], s[4:5], 0x40
	v_lshlrev_b32_e32 v2, 8, v1
	v_lshlrev_b32_e32 v18, 4, v0
	v_add_u32_e32 v19, v18, v2
	v_add_u32_e32 v20, 0x1000, v2
	s_waitcnt lgkmcnt(0)
	v_mad_i64_i32 v[2:3], s[24:25], s6, v0, 0
	s_mul_i32 s3, s3, s8
	s_mul_hi_u32 s26, s2, s8
	s_add_i32 s3, s26, s3
	s_mul_i32 s2, s2, s8
	v_lshlrev_b64 v[2:3], 4, v[2:3]
	s_lshl_b64 s[2:3], s[2:3], 4
	v_ashrrev_i32_e32 v10, 31, v9
	v_mov_b32_e32 v4, s3
	v_add_co_u32_e64 v5, s[2:3], s2, v2
	v_addc_co_u32_e64 v4, s[2:3], v4, v3, s[2:3]
	v_lshlrev_b64 v[2:3], 4, v[9:10]
	s_mul_i32 s17, s17, s8
	v_add_co_u32_e64 v2, s[2:3], v5, v2
	v_addc_co_u32_e64 v3, s[2:3], v4, v3, s[2:3]
	v_mov_b32_e32 v4, s19
	v_add_co_u32_e64 v2, s[2:3], s18, v2
	v_addc_co_u32_e64 v3, s[2:3], v4, v3, s[2:3]
	v_add_co_u32_e64 v10, s[2:3], 8, v2
	v_addc_co_u32_e64 v11, s[2:3], 0, v3, s[2:3]
	v_mad_i64_i32 v[2:3], s[2:3], s22, v1, 0
	s_mul_hi_u32 s18, s16, s8
	s_add_i32 s3, s18, s17
	s_mul_i32 s2, s16, s8
	v_lshlrev_b64 v[2:3], 4, v[2:3]
	s_lshl_b64 s[2:3], s[2:3], 4
	v_mov_b32_e32 v4, s3
	v_add_co_u32_e64 v5, s[2:3], s2, v2
	v_addc_co_u32_e64 v4, s[2:3], v4, v3, s[2:3]
	v_lshlrev_b64 v[2:3], 4, v[7:8]
	s_ashr_i32 s23, s22, 31
	v_add_co_u32_e64 v2, s[2:3], v5, v2
	v_addc_co_u32_e64 v3, s[2:3], v4, v3, s[2:3]
	v_mov_b32_e32 v4, s21
	v_add_co_u32_e64 v12, s[2:3], s20, v2
	s_ashr_i32 s7, s6, 31
	v_addc_co_u32_e64 v13, s[2:3], v4, v3, s[2:3]
	v_cmp_gt_i32_e64 s[0:1], s10, v7
	s_lshl_b64 s[6:7], s[6:7], 8
	s_lshl_b64 s[2:3], s[22:23], 8
	v_mov_b32_e32 v14, 0
	v_mov_b32_e32 v16, 0
	v_add_u32_e32 v21, v20, v18
	v_mov_b32_e32 v15, 0
	s_xor_b64 s[16:17], s[0:1], -1
	v_mov_b32_e32 v22, s7
	v_mov_b32_e32 v23, s3
	;; [unrolled: 1-line block ×4, first 2 shown]
	s_branch .LBB286_3
.LBB286_2:                              ;   in Loop: Header=BB286_3 Depth=1
	s_or_b64 exec, exec, s[0:1]
	s_waitcnt vmcnt(0)
	ds_write_b128 v21, v[3:6]
	s_waitcnt lgkmcnt(0)
	s_barrier
	ds_read_b128 v[3:6], v18
	ds_read_b128 v[24:27], v20
	ds_read_b128 v[28:31], v20 offset:16
	ds_read_b128 v[32:35], v18 offset:256
	v_add_co_u32_e64 v10, s[0:1], s6, v10
	s_waitcnt lgkmcnt(2)
	v_mul_f64 v[36:37], v[26:27], v[5:6]
	v_mul_f64 v[5:6], v[24:25], v[5:6]
	s_waitcnt lgkmcnt(0)
	v_mul_f64 v[38:39], v[30:31], v[34:35]
	v_mul_f64 v[40:41], v[28:29], v[34:35]
	v_addc_co_u32_e64 v11, s[0:1], v11, v22, s[0:1]
	s_add_i32 s9, s9, 16
	v_add_co_u32_e64 v12, s[0:1], s2, v12
	v_fma_f64 v[42:43], v[24:25], v[3:4], -v[36:37]
	v_fma_f64 v[44:45], v[26:27], v[3:4], v[5:6]
	ds_read_b128 v[3:6], v18 offset:512
	ds_read_b128 v[24:27], v20 offset:32
	;; [unrolled: 1-line block ×3, first 2 shown]
	v_fma_f64 v[38:39], v[28:29], v[32:33], -v[38:39]
	v_fma_f64 v[32:33], v[30:31], v[32:33], v[40:41]
	ds_read_b128 v[28:31], v18 offset:768
	s_waitcnt lgkmcnt(2)
	v_mul_f64 v[40:41], v[26:27], v[5:6]
	v_mul_f64 v[5:6], v[24:25], v[5:6]
	v_add_f64 v[16:17], v[16:17], v[42:43]
	v_add_f64 v[14:15], v[14:15], v[44:45]
	s_waitcnt lgkmcnt(0)
	v_mul_f64 v[42:43], v[36:37], v[30:31]
	v_mul_f64 v[30:31], v[34:35], v[30:31]
	s_cmp_ge_i32 s9, s11
	v_addc_co_u32_e64 v13, s[0:1], v13, v23, s[0:1]
	v_fma_f64 v[40:41], v[24:25], v[3:4], -v[40:41]
	v_fma_f64 v[44:45], v[26:27], v[3:4], v[5:6]
	v_add_f64 v[38:39], v[16:17], v[38:39]
	v_add_f64 v[32:33], v[14:15], v[32:33]
	ds_read_b128 v[3:6], v20 offset:64
	ds_read_b128 v[14:17], v18 offset:1024
	v_fma_f64 v[34:35], v[34:35], v[28:29], -v[42:43]
	v_fma_f64 v[36:37], v[36:37], v[28:29], v[30:31]
	ds_read_b128 v[24:27], v20 offset:80
	ds_read_b128 v[28:31], v18 offset:1280
	s_waitcnt lgkmcnt(2)
	v_mul_f64 v[42:43], v[5:6], v[16:17]
	v_mul_f64 v[16:17], v[3:4], v[16:17]
	v_add_f64 v[38:39], v[38:39], v[40:41]
	v_add_f64 v[32:33], v[32:33], v[44:45]
	s_waitcnt lgkmcnt(0)
	v_mul_f64 v[40:41], v[26:27], v[30:31]
	v_mul_f64 v[30:31], v[24:25], v[30:31]
	v_fma_f64 v[42:43], v[3:4], v[14:15], -v[42:43]
	v_fma_f64 v[44:45], v[5:6], v[14:15], v[16:17]
	v_add_f64 v[34:35], v[38:39], v[34:35]
	v_add_f64 v[32:33], v[32:33], v[36:37]
	ds_read_b128 v[3:6], v20 offset:96
	ds_read_b128 v[14:17], v18 offset:1536
	v_fma_f64 v[36:37], v[24:25], v[28:29], -v[40:41]
	v_fma_f64 v[38:39], v[26:27], v[28:29], v[30:31]
	ds_read_b128 v[24:27], v20 offset:112
	ds_read_b128 v[28:31], v18 offset:1792
	s_waitcnt lgkmcnt(2)
	v_mul_f64 v[40:41], v[5:6], v[16:17]
	v_mul_f64 v[16:17], v[3:4], v[16:17]
	v_add_f64 v[34:35], v[34:35], v[42:43]
	v_add_f64 v[32:33], v[32:33], v[44:45]
	s_waitcnt lgkmcnt(0)
	v_mul_f64 v[42:43], v[26:27], v[30:31]
	v_mul_f64 v[30:31], v[24:25], v[30:31]
	;; [unrolled: 18-line block ×5, first 2 shown]
	v_fma_f64 v[42:43], v[3:4], v[14:15], -v[42:43]
	v_fma_f64 v[44:45], v[5:6], v[14:15], v[16:17]
	v_add_f64 v[34:35], v[34:35], v[36:37]
	v_add_f64 v[32:33], v[32:33], v[38:39]
	ds_read_b128 v[3:6], v20 offset:224
	ds_read_b128 v[14:17], v18 offset:3584
	v_fma_f64 v[36:37], v[24:25], v[28:29], -v[40:41]
	v_fma_f64 v[38:39], v[26:27], v[28:29], v[30:31]
	ds_read_b128 v[24:27], v20 offset:240
	ds_read_b128 v[28:31], v18 offset:3840
	s_waitcnt lgkmcnt(0)
	v_mul_f64 v[40:41], v[5:6], v[16:17]
	v_mul_f64 v[16:17], v[3:4], v[16:17]
	v_add_f64 v[34:35], v[34:35], v[42:43]
	v_add_f64 v[32:33], v[32:33], v[44:45]
	v_mul_f64 v[42:43], v[26:27], v[30:31]
	v_mul_f64 v[30:31], v[24:25], v[30:31]
	s_barrier
	v_fma_f64 v[3:4], v[3:4], v[14:15], -v[40:41]
	v_fma_f64 v[5:6], v[5:6], v[14:15], v[16:17]
	v_add_f64 v[14:15], v[34:35], v[36:37]
	v_add_f64 v[16:17], v[32:33], v[38:39]
	v_fma_f64 v[24:25], v[24:25], v[28:29], -v[42:43]
	v_fma_f64 v[26:27], v[26:27], v[28:29], v[30:31]
	v_add_f64 v[3:4], v[14:15], v[3:4]
	v_add_f64 v[5:6], v[16:17], v[5:6]
	;; [unrolled: 1-line block ×4, first 2 shown]
	s_cbranch_scc1 .LBB286_10
.LBB286_3:                              ; =>This Inner Loop Header: Depth=1
	v_add_u32_e32 v3, s9, v1
	v_cmp_le_i32_e64 s[0:1], s11, v3
	s_or_b64 s[0:1], s[16:17], s[0:1]
	s_and_saveexec_b64 s[18:19], s[0:1]
	s_xor_b64 s[0:1], exec, s[18:19]
; %bb.4:                                ;   in Loop: Header=BB286_3 Depth=1
	v_mov_b32_e32 v3, v2
	v_mov_b32_e32 v4, v2
	v_mov_b32_e32 v5, v2
	ds_write_b128 v19, v[2:5]
; %bb.5:                                ;   in Loop: Header=BB286_3 Depth=1
	s_andn2_saveexec_b64 s[0:1], s[0:1]
	s_cbranch_execz .LBB286_7
; %bb.6:                                ;   in Loop: Header=BB286_3 Depth=1
	global_load_dwordx4 v[3:6], v[12:13], off
	s_waitcnt vmcnt(0)
	ds_write2_b64 v19, v[3:4], v[5:6] offset1:1
.LBB286_7:                              ;   in Loop: Header=BB286_3 Depth=1
	s_or_b64 exec, exec, s[0:1]
	v_add_u32_e32 v3, s9, v0
	v_cmp_gt_i32_e64 s[0:1], s11, v3
	v_mov_b32_e32 v3, 0
	v_mov_b32_e32 v5, 0
	;; [unrolled: 1-line block ×4, first 2 shown]
	s_and_b64 s[18:19], vcc, s[0:1]
	s_and_saveexec_b64 s[0:1], s[18:19]
	s_cbranch_execz .LBB286_2
; %bb.8:                                ;   in Loop: Header=BB286_3 Depth=1
	global_load_dwordx4 v[3:6], v[10:11], off offset:-8
	s_branch .LBB286_2
.LBB286_9:
	v_mov_b32_e32 v14, 0
	v_mov_b32_e32 v16, 0
	;; [unrolled: 1-line block ×4, first 2 shown]
.LBB286_10:
	v_cmp_le_i32_e32 vcc, v7, v9
	v_cmp_gt_i32_e64 s[0:1], s10, v9
	s_and_b64 s[0:1], vcc, s[0:1]
	s_and_saveexec_b64 s[2:3], s[0:1]
	s_cbranch_execz .LBB286_12
; %bb.11:
	s_load_dwordx2 s[0:1], s[4:5], 0x68
	s_load_dwordx2 s[2:3], s[4:5], 0x58
	s_load_dword s6, s[4:5], 0x60
	v_mul_f64 v[0:1], s[14:15], v[14:15]
	v_mul_f64 v[2:3], s[12:13], v[14:15]
	s_waitcnt lgkmcnt(0)
	s_mul_i32 s1, s1, s8
	s_mul_hi_u32 s4, s0, s8
	s_add_i32 s1, s4, s1
	v_mad_i64_i32 v[4:5], s[4:5], s6, v9, 0
	s_mul_i32 s0, s0, s8
	s_lshl_b64 s[0:1], s[0:1], 4
	v_fma_f64 v[0:1], s[12:13], v[16:17], -v[0:1]
	v_fma_f64 v[2:3], s[14:15], v[16:17], v[2:3]
	s_add_u32 s0, s2, s0
	v_lshlrev_b64 v[4:5], 4, v[4:5]
	s_addc_u32 s1, s3, s1
	v_mov_b32_e32 v6, s1
	v_add_co_u32_e32 v9, vcc, s0, v4
	v_addc_co_u32_e32 v6, vcc, v6, v5, vcc
	v_lshlrev_b64 v[4:5], 4, v[7:8]
	v_add_co_u32_e32 v4, vcc, v9, v4
	v_addc_co_u32_e32 v5, vcc, v6, v5, vcc
	global_store_dwordx4 v[4:5], v[0:3], off
.LBB286_12:
	s_endpgm
	.section	.rodata,"a",@progbits
	.p2align	6, 0x0
	.amdhsa_kernel _ZL32rocblas_syrkx_herkx_small_kernelIi19rocblas_complex_numIdELi16ELb1ELb0ELc78ELc85EKS1_S1_EviT_T0_PT6_S3_lS6_S3_lS4_PT7_S3_li
		.amdhsa_group_segment_fixed_size 8192
		.amdhsa_private_segment_fixed_size 0
		.amdhsa_kernarg_size 116
		.amdhsa_user_sgpr_count 6
		.amdhsa_user_sgpr_private_segment_buffer 1
		.amdhsa_user_sgpr_dispatch_ptr 0
		.amdhsa_user_sgpr_queue_ptr 0
		.amdhsa_user_sgpr_kernarg_segment_ptr 1
		.amdhsa_user_sgpr_dispatch_id 0
		.amdhsa_user_sgpr_flat_scratch_init 0
		.amdhsa_user_sgpr_private_segment_size 0
		.amdhsa_uses_dynamic_stack 0
		.amdhsa_system_sgpr_private_segment_wavefront_offset 0
		.amdhsa_system_sgpr_workgroup_id_x 1
		.amdhsa_system_sgpr_workgroup_id_y 1
		.amdhsa_system_sgpr_workgroup_id_z 1
		.amdhsa_system_sgpr_workgroup_info 0
		.amdhsa_system_vgpr_workitem_id 1
		.amdhsa_next_free_vgpr 46
		.amdhsa_next_free_sgpr 61
		.amdhsa_reserve_vcc 1
		.amdhsa_reserve_flat_scratch 0
		.amdhsa_float_round_mode_32 0
		.amdhsa_float_round_mode_16_64 0
		.amdhsa_float_denorm_mode_32 3
		.amdhsa_float_denorm_mode_16_64 3
		.amdhsa_dx10_clamp 1
		.amdhsa_ieee_mode 1
		.amdhsa_fp16_overflow 0
		.amdhsa_exception_fp_ieee_invalid_op 0
		.amdhsa_exception_fp_denorm_src 0
		.amdhsa_exception_fp_ieee_div_zero 0
		.amdhsa_exception_fp_ieee_overflow 0
		.amdhsa_exception_fp_ieee_underflow 0
		.amdhsa_exception_fp_ieee_inexact 0
		.amdhsa_exception_int_div_zero 0
	.end_amdhsa_kernel
	.section	.text._ZL32rocblas_syrkx_herkx_small_kernelIi19rocblas_complex_numIdELi16ELb1ELb0ELc78ELc85EKS1_S1_EviT_T0_PT6_S3_lS6_S3_lS4_PT7_S3_li,"axG",@progbits,_ZL32rocblas_syrkx_herkx_small_kernelIi19rocblas_complex_numIdELi16ELb1ELb0ELc78ELc85EKS1_S1_EviT_T0_PT6_S3_lS6_S3_lS4_PT7_S3_li,comdat
.Lfunc_end286:
	.size	_ZL32rocblas_syrkx_herkx_small_kernelIi19rocblas_complex_numIdELi16ELb1ELb0ELc78ELc85EKS1_S1_EviT_T0_PT6_S3_lS6_S3_lS4_PT7_S3_li, .Lfunc_end286-_ZL32rocblas_syrkx_herkx_small_kernelIi19rocblas_complex_numIdELi16ELb1ELb0ELc78ELc85EKS1_S1_EviT_T0_PT6_S3_lS6_S3_lS4_PT7_S3_li
                                        ; -- End function
	.set _ZL32rocblas_syrkx_herkx_small_kernelIi19rocblas_complex_numIdELi16ELb1ELb0ELc78ELc85EKS1_S1_EviT_T0_PT6_S3_lS6_S3_lS4_PT7_S3_li.num_vgpr, 46
	.set _ZL32rocblas_syrkx_herkx_small_kernelIi19rocblas_complex_numIdELi16ELb1ELb0ELc78ELc85EKS1_S1_EviT_T0_PT6_S3_lS6_S3_lS4_PT7_S3_li.num_agpr, 0
	.set _ZL32rocblas_syrkx_herkx_small_kernelIi19rocblas_complex_numIdELi16ELb1ELb0ELc78ELc85EKS1_S1_EviT_T0_PT6_S3_lS6_S3_lS4_PT7_S3_li.numbered_sgpr, 27
	.set _ZL32rocblas_syrkx_herkx_small_kernelIi19rocblas_complex_numIdELi16ELb1ELb0ELc78ELc85EKS1_S1_EviT_T0_PT6_S3_lS6_S3_lS4_PT7_S3_li.num_named_barrier, 0
	.set _ZL32rocblas_syrkx_herkx_small_kernelIi19rocblas_complex_numIdELi16ELb1ELb0ELc78ELc85EKS1_S1_EviT_T0_PT6_S3_lS6_S3_lS4_PT7_S3_li.private_seg_size, 0
	.set _ZL32rocblas_syrkx_herkx_small_kernelIi19rocblas_complex_numIdELi16ELb1ELb0ELc78ELc85EKS1_S1_EviT_T0_PT6_S3_lS6_S3_lS4_PT7_S3_li.uses_vcc, 1
	.set _ZL32rocblas_syrkx_herkx_small_kernelIi19rocblas_complex_numIdELi16ELb1ELb0ELc78ELc85EKS1_S1_EviT_T0_PT6_S3_lS6_S3_lS4_PT7_S3_li.uses_flat_scratch, 0
	.set _ZL32rocblas_syrkx_herkx_small_kernelIi19rocblas_complex_numIdELi16ELb1ELb0ELc78ELc85EKS1_S1_EviT_T0_PT6_S3_lS6_S3_lS4_PT7_S3_li.has_dyn_sized_stack, 0
	.set _ZL32rocblas_syrkx_herkx_small_kernelIi19rocblas_complex_numIdELi16ELb1ELb0ELc78ELc85EKS1_S1_EviT_T0_PT6_S3_lS6_S3_lS4_PT7_S3_li.has_recursion, 0
	.set _ZL32rocblas_syrkx_herkx_small_kernelIi19rocblas_complex_numIdELi16ELb1ELb0ELc78ELc85EKS1_S1_EviT_T0_PT6_S3_lS6_S3_lS4_PT7_S3_li.has_indirect_call, 0
	.section	.AMDGPU.csdata,"",@progbits
; Kernel info:
; codeLenInByte = 1872
; TotalNumSgprs: 31
; NumVgprs: 46
; ScratchSize: 0
; MemoryBound: 1
; FloatMode: 240
; IeeeMode: 1
; LDSByteSize: 8192 bytes/workgroup (compile time only)
; SGPRBlocks: 8
; VGPRBlocks: 11
; NumSGPRsForWavesPerEU: 65
; NumVGPRsForWavesPerEU: 46
; Occupancy: 5
; WaveLimiterHint : 0
; COMPUTE_PGM_RSRC2:SCRATCH_EN: 0
; COMPUTE_PGM_RSRC2:USER_SGPR: 6
; COMPUTE_PGM_RSRC2:TRAP_HANDLER: 0
; COMPUTE_PGM_RSRC2:TGID_X_EN: 1
; COMPUTE_PGM_RSRC2:TGID_Y_EN: 1
; COMPUTE_PGM_RSRC2:TGID_Z_EN: 1
; COMPUTE_PGM_RSRC2:TIDIG_COMP_CNT: 1
	.section	.text._ZL32rocblas_syrkx_herkx_small_kernelIi19rocblas_complex_numIdELi16ELb0ELb0ELc84ELc76EKS1_S1_EviT_T0_PT6_S3_lS6_S3_lS4_PT7_S3_li,"axG",@progbits,_ZL32rocblas_syrkx_herkx_small_kernelIi19rocblas_complex_numIdELi16ELb0ELb0ELc84ELc76EKS1_S1_EviT_T0_PT6_S3_lS6_S3_lS4_PT7_S3_li,comdat
	.globl	_ZL32rocblas_syrkx_herkx_small_kernelIi19rocblas_complex_numIdELi16ELb0ELb0ELc84ELc76EKS1_S1_EviT_T0_PT6_S3_lS6_S3_lS4_PT7_S3_li ; -- Begin function _ZL32rocblas_syrkx_herkx_small_kernelIi19rocblas_complex_numIdELi16ELb0ELb0ELc84ELc76EKS1_S1_EviT_T0_PT6_S3_lS6_S3_lS4_PT7_S3_li
	.p2align	8
	.type	_ZL32rocblas_syrkx_herkx_small_kernelIi19rocblas_complex_numIdELi16ELb0ELb0ELc84ELc76EKS1_S1_EviT_T0_PT6_S3_lS6_S3_lS4_PT7_S3_li,@function
_ZL32rocblas_syrkx_herkx_small_kernelIi19rocblas_complex_numIdELi16ELb0ELb0ELc84ELc76EKS1_S1_EviT_T0_PT6_S3_lS6_S3_lS4_PT7_S3_li: ; @_ZL32rocblas_syrkx_herkx_small_kernelIi19rocblas_complex_numIdELi16ELb0ELb0ELc84ELc76EKS1_S1_EviT_T0_PT6_S3_lS6_S3_lS4_PT7_S3_li
; %bb.0:
	s_load_dwordx2 s[10:11], s[4:5], 0x0
	s_load_dwordx4 s[20:23], s[4:5], 0x8
	s_load_dwordx2 s[24:25], s[4:5], 0x18
	s_load_dwordx8 s[12:19], s[4:5], 0x40
	v_lshl_add_u32 v6, s6, 4, v0
	s_mov_b32 s9, 0
	v_lshl_add_u32 v15, s7, 4, v1
	s_waitcnt lgkmcnt(0)
	s_cmp_lt_i32 s11, 1
	v_cmp_gt_i32_e32 vcc, s10, v6
	s_cbranch_scc1 .LBB287_11
; %bb.1:
	s_load_dword s6, s[4:5], 0x20
	s_load_dwordx4 s[28:31], s[4:5], 0x28
	s_load_dword s0, s[4:5], 0x38
	s_mul_i32 s2, s13, s8
	s_mul_hi_u32 s3, s12, s8
	s_add_i32 s3, s3, s2
	s_mul_i32 s2, s12, s8
	s_waitcnt lgkmcnt(0)
	v_mad_i64_i32 v[2:3], s[0:1], s0, v15, 0
	v_lshlrev_b32_e32 v4, 8, v1
	v_lshlrev_b32_e32 v16, 4, v0
	v_lshlrev_b64 v[2:3], 4, v[2:3]
	s_lshl_b64 s[2:3], s[2:3], 4
	v_add_u32_e32 v17, v16, v4
	v_add_u32_e32 v18, 0x1000, v4
	v_mov_b32_e32 v4, s3
	v_add_co_u32_e64 v2, s[2:3], s2, v2
	v_addc_co_u32_e64 v3, s[2:3], v3, v4, s[2:3]
	v_add_co_u32_e64 v4, s[2:3], v2, v16
	v_addc_co_u32_e64 v5, s[2:3], 0, v3, s[2:3]
	v_mad_i64_i32 v[2:3], s[2:3], s6, v6, 0
	v_mov_b32_e32 v8, s31
	v_add_co_u32_e64 v7, s[2:3], s30, v4
	v_addc_co_u32_e64 v8, s[2:3], v8, v5, s[2:3]
	s_mul_i32 s2, s29, s8
	s_mul_hi_u32 s3, s28, s8
	v_lshlrev_b64 v[2:3], 4, v[2:3]
	s_add_i32 s3, s3, s2
	s_mul_i32 s2, s28, s8
	s_lshl_b64 s[2:3], s[2:3], 4
	v_mov_b32_e32 v4, s3
	v_add_co_u32_e64 v2, s[2:3], s2, v2
	v_addc_co_u32_e64 v3, s[2:3], v3, v4, s[2:3]
	v_lshlrev_b32_e32 v4, 4, v1
	v_add_co_u32_e64 v2, s[2:3], v2, v4
	v_addc_co_u32_e64 v3, s[2:3], 0, v3, s[2:3]
	v_mov_b32_e32 v4, s25
	v_add_co_u32_e64 v9, s[2:3], s24, v2
	v_cmp_gt_i32_e64 s[0:1], s10, v15
	v_addc_co_u32_e64 v10, s[2:3], v4, v3, s[2:3]
	v_mov_b32_e32 v11, 0
	v_mov_b32_e32 v13, 0
	v_add_u32_e32 v19, v18, v16
	v_mov_b32_e32 v12, 0
	s_xor_b64 s[2:3], vcc, -1
	s_xor_b64 s[0:1], s[0:1], -1
	v_mov_b32_e32 v14, 0
	v_mov_b32_e32 v2, 0
	s_branch .LBB287_3
.LBB287_2:                              ;   in Loop: Header=BB287_3 Depth=1
	s_or_b64 exec, exec, s[6:7]
	s_waitcnt lgkmcnt(0)
	s_barrier
	ds_read_b128 v[20:23], v18
	ds_read_b128 v[24:27], v18 offset:16
	ds_read_b128 v[28:31], v18 offset:32
	ds_read_b128 v[32:35], v18 offset:48
	ds_read_b128 v[36:39], v16
	v_add_co_u32_e32 v7, vcc, 0x100, v7
	v_addc_co_u32_e32 v8, vcc, 0, v8, vcc
	s_waitcnt lgkmcnt(0)
	v_mul_f64 v[3:4], v[22:23], v[38:39]
	s_add_i32 s9, s9, 16
	v_add_co_u32_e32 v9, vcc, 0x100, v9
	v_addc_co_u32_e32 v10, vcc, 0, v10, vcc
	s_cmp_ge_i32 s9, s11
	v_fma_f64 v[3:4], v[20:21], v[36:37], -v[3:4]
	v_mul_f64 v[20:21], v[20:21], v[38:39]
	v_add_f64 v[3:4], v[13:14], v[3:4]
	v_fma_f64 v[20:21], v[22:23], v[36:37], v[20:21]
	v_add_f64 v[20:21], v[11:12], v[20:21]
	ds_read_b128 v[11:14], v16 offset:256
	s_waitcnt lgkmcnt(0)
	v_mul_f64 v[22:23], v[26:27], v[13:14]
	v_mul_f64 v[13:14], v[24:25], v[13:14]
	v_fma_f64 v[22:23], v[24:25], v[11:12], -v[22:23]
	v_fma_f64 v[11:12], v[26:27], v[11:12], v[13:14]
	v_add_f64 v[3:4], v[3:4], v[22:23]
	v_add_f64 v[20:21], v[20:21], v[11:12]
	ds_read_b128 v[11:14], v16 offset:512
	s_waitcnt lgkmcnt(0)
	v_mul_f64 v[22:23], v[30:31], v[13:14]
	v_mul_f64 v[13:14], v[28:29], v[13:14]
	v_fma_f64 v[22:23], v[28:29], v[11:12], -v[22:23]
	v_fma_f64 v[11:12], v[30:31], v[11:12], v[13:14]
	v_add_f64 v[3:4], v[3:4], v[22:23]
	;; [unrolled: 8-line block ×3, first 2 shown]
	v_add_f64 v[24:25], v[20:21], v[11:12]
	ds_read_b128 v[11:14], v18 offset:64
	ds_read_b128 v[20:23], v16 offset:1024
	s_waitcnt lgkmcnt(0)
	v_mul_f64 v[26:27], v[13:14], v[22:23]
	v_fma_f64 v[26:27], v[11:12], v[20:21], -v[26:27]
	v_mul_f64 v[11:12], v[11:12], v[22:23]
	v_add_f64 v[3:4], v[3:4], v[26:27]
	v_fma_f64 v[11:12], v[13:14], v[20:21], v[11:12]
	v_add_f64 v[24:25], v[24:25], v[11:12]
	ds_read_b128 v[11:14], v18 offset:80
	ds_read_b128 v[20:23], v16 offset:1280
	s_waitcnt lgkmcnt(0)
	v_mul_f64 v[26:27], v[13:14], v[22:23]
	v_fma_f64 v[26:27], v[11:12], v[20:21], -v[26:27]
	v_mul_f64 v[11:12], v[11:12], v[22:23]
	v_add_f64 v[3:4], v[3:4], v[26:27]
	v_fma_f64 v[11:12], v[13:14], v[20:21], v[11:12]
	;; [unrolled: 9-line block ×11, first 2 shown]
	v_add_f64 v[24:25], v[24:25], v[11:12]
	ds_read_b128 v[11:14], v18 offset:240
	ds_read_b128 v[20:23], v16 offset:3840
	s_waitcnt lgkmcnt(0)
	s_barrier
	v_mul_f64 v[26:27], v[13:14], v[22:23]
	v_fma_f64 v[26:27], v[11:12], v[20:21], -v[26:27]
	v_mul_f64 v[11:12], v[11:12], v[22:23]
	v_fma_f64 v[11:12], v[13:14], v[20:21], v[11:12]
	v_add_f64 v[13:14], v[3:4], v[26:27]
	v_add_f64 v[11:12], v[24:25], v[11:12]
	s_cbranch_scc1 .LBB287_12
.LBB287_3:                              ; =>This Inner Loop Header: Depth=1
	v_add_u32_e32 v3, s9, v1
	v_cmp_le_i32_e32 vcc, s11, v3
	s_or_b64 s[6:7], s[2:3], vcc
	s_and_saveexec_b64 s[12:13], s[6:7]
	s_xor_b64 s[6:7], exec, s[12:13]
; %bb.4:                                ;   in Loop: Header=BB287_3 Depth=1
	v_mov_b32_e32 v3, v2
	v_mov_b32_e32 v4, v2
	;; [unrolled: 1-line block ×3, first 2 shown]
	ds_write_b128 v17, v[2:5]
; %bb.5:                                ;   in Loop: Header=BB287_3 Depth=1
	s_andn2_saveexec_b64 s[6:7], s[6:7]
	s_cbranch_execz .LBB287_7
; %bb.6:                                ;   in Loop: Header=BB287_3 Depth=1
	global_load_dwordx4 v[20:23], v[9:10], off
	s_waitcnt vmcnt(0)
	ds_write2_b64 v17, v[20:21], v[22:23] offset1:1
.LBB287_7:                              ;   in Loop: Header=BB287_3 Depth=1
	s_or_b64 exec, exec, s[6:7]
	v_add_u32_e32 v3, s9, v0
	v_cmp_le_i32_e32 vcc, s11, v3
	s_or_b64 s[6:7], s[0:1], vcc
	s_and_saveexec_b64 s[12:13], s[6:7]
	s_xor_b64 s[6:7], exec, s[12:13]
; %bb.8:                                ;   in Loop: Header=BB287_3 Depth=1
	v_mov_b32_e32 v3, v2
	v_mov_b32_e32 v4, v2
	;; [unrolled: 1-line block ×3, first 2 shown]
	ds_write_b128 v19, v[2:5]
; %bb.9:                                ;   in Loop: Header=BB287_3 Depth=1
	s_andn2_saveexec_b64 s[6:7], s[6:7]
	s_cbranch_execz .LBB287_2
; %bb.10:                               ;   in Loop: Header=BB287_3 Depth=1
	global_load_dwordx4 v[20:23], v[7:8], off
	s_waitcnt vmcnt(0)
	ds_write2_b64 v19, v[20:21], v[22:23] offset1:1
	s_branch .LBB287_2
.LBB287_11:
	v_mov_b32_e32 v11, 0
	v_mov_b32_e32 v13, 0
	;; [unrolled: 1-line block ×4, first 2 shown]
.LBB287_12:
	v_cmp_le_i32_e32 vcc, v15, v6
	v_cmp_gt_i32_e64 s[0:1], s10, v6
	s_and_b64 s[0:1], vcc, s[0:1]
	s_and_saveexec_b64 s[2:3], s[0:1]
	s_cbranch_execz .LBB287_14
; %bb.13:
	s_load_dwordx2 s[0:1], s[4:5], 0x68
	s_load_dword s2, s[4:5], 0x60
	v_ashrrev_i32_e32 v7, 31, v6
	v_mul_f64 v[8:9], s[20:21], v[11:12]
	s_waitcnt lgkmcnt(0)
	s_mul_i32 s1, s1, s8
	s_mul_hi_u32 s3, s0, s8
	s_add_i32 s1, s3, s1
	v_mad_i64_i32 v[0:1], s[2:3], s2, v15, 0
	s_mul_i32 s0, s0, s8
	s_lshl_b64 s[0:1], s[0:1], 4
	s_add_u32 s0, s18, s0
	v_lshlrev_b64 v[0:1], 4, v[0:1]
	s_addc_u32 s1, s19, s1
	v_mov_b32_e32 v2, s1
	v_add_co_u32_e32 v3, vcc, s0, v0
	v_addc_co_u32_e32 v2, vcc, v2, v1, vcc
	v_lshlrev_b64 v[0:1], 4, v[6:7]
	v_mul_f64 v[6:7], s[22:23], v[11:12]
	v_add_co_u32_e32 v4, vcc, v3, v0
	v_addc_co_u32_e32 v5, vcc, v2, v1, vcc
	global_load_dwordx4 v[0:3], v[4:5], off
	v_fma_f64 v[8:9], s[22:23], v[13:14], v[8:9]
	v_fma_f64 v[6:7], s[20:21], v[13:14], -v[6:7]
	s_waitcnt vmcnt(0)
	v_mul_f64 v[10:11], s[16:17], v[2:3]
	v_mul_f64 v[2:3], s[14:15], v[2:3]
	v_fma_f64 v[10:11], s[14:15], v[0:1], -v[10:11]
	v_fma_f64 v[2:3], s[16:17], v[0:1], v[2:3]
	v_add_f64 v[0:1], v[6:7], v[10:11]
	v_add_f64 v[2:3], v[8:9], v[2:3]
	global_store_dwordx4 v[4:5], v[0:3], off
.LBB287_14:
	s_endpgm
	.section	.rodata,"a",@progbits
	.p2align	6, 0x0
	.amdhsa_kernel _ZL32rocblas_syrkx_herkx_small_kernelIi19rocblas_complex_numIdELi16ELb0ELb0ELc84ELc76EKS1_S1_EviT_T0_PT6_S3_lS6_S3_lS4_PT7_S3_li
		.amdhsa_group_segment_fixed_size 8192
		.amdhsa_private_segment_fixed_size 0
		.amdhsa_kernarg_size 116
		.amdhsa_user_sgpr_count 6
		.amdhsa_user_sgpr_private_segment_buffer 1
		.amdhsa_user_sgpr_dispatch_ptr 0
		.amdhsa_user_sgpr_queue_ptr 0
		.amdhsa_user_sgpr_kernarg_segment_ptr 1
		.amdhsa_user_sgpr_dispatch_id 0
		.amdhsa_user_sgpr_flat_scratch_init 0
		.amdhsa_user_sgpr_private_segment_size 0
		.amdhsa_uses_dynamic_stack 0
		.amdhsa_system_sgpr_private_segment_wavefront_offset 0
		.amdhsa_system_sgpr_workgroup_id_x 1
		.amdhsa_system_sgpr_workgroup_id_y 1
		.amdhsa_system_sgpr_workgroup_id_z 1
		.amdhsa_system_sgpr_workgroup_info 0
		.amdhsa_system_vgpr_workitem_id 1
		.amdhsa_next_free_vgpr 40
		.amdhsa_next_free_sgpr 61
		.amdhsa_reserve_vcc 1
		.amdhsa_reserve_flat_scratch 0
		.amdhsa_float_round_mode_32 0
		.amdhsa_float_round_mode_16_64 0
		.amdhsa_float_denorm_mode_32 3
		.amdhsa_float_denorm_mode_16_64 3
		.amdhsa_dx10_clamp 1
		.amdhsa_ieee_mode 1
		.amdhsa_fp16_overflow 0
		.amdhsa_exception_fp_ieee_invalid_op 0
		.amdhsa_exception_fp_denorm_src 0
		.amdhsa_exception_fp_ieee_div_zero 0
		.amdhsa_exception_fp_ieee_overflow 0
		.amdhsa_exception_fp_ieee_underflow 0
		.amdhsa_exception_fp_ieee_inexact 0
		.amdhsa_exception_int_div_zero 0
	.end_amdhsa_kernel
	.section	.text._ZL32rocblas_syrkx_herkx_small_kernelIi19rocblas_complex_numIdELi16ELb0ELb0ELc84ELc76EKS1_S1_EviT_T0_PT6_S3_lS6_S3_lS4_PT7_S3_li,"axG",@progbits,_ZL32rocblas_syrkx_herkx_small_kernelIi19rocblas_complex_numIdELi16ELb0ELb0ELc84ELc76EKS1_S1_EviT_T0_PT6_S3_lS6_S3_lS4_PT7_S3_li,comdat
.Lfunc_end287:
	.size	_ZL32rocblas_syrkx_herkx_small_kernelIi19rocblas_complex_numIdELi16ELb0ELb0ELc84ELc76EKS1_S1_EviT_T0_PT6_S3_lS6_S3_lS4_PT7_S3_li, .Lfunc_end287-_ZL32rocblas_syrkx_herkx_small_kernelIi19rocblas_complex_numIdELi16ELb0ELb0ELc84ELc76EKS1_S1_EviT_T0_PT6_S3_lS6_S3_lS4_PT7_S3_li
                                        ; -- End function
	.set _ZL32rocblas_syrkx_herkx_small_kernelIi19rocblas_complex_numIdELi16ELb0ELb0ELc84ELc76EKS1_S1_EviT_T0_PT6_S3_lS6_S3_lS4_PT7_S3_li.num_vgpr, 40
	.set _ZL32rocblas_syrkx_herkx_small_kernelIi19rocblas_complex_numIdELi16ELb0ELb0ELc84ELc76EKS1_S1_EviT_T0_PT6_S3_lS6_S3_lS4_PT7_S3_li.num_agpr, 0
	.set _ZL32rocblas_syrkx_herkx_small_kernelIi19rocblas_complex_numIdELi16ELb0ELb0ELc84ELc76EKS1_S1_EviT_T0_PT6_S3_lS6_S3_lS4_PT7_S3_li.numbered_sgpr, 32
	.set _ZL32rocblas_syrkx_herkx_small_kernelIi19rocblas_complex_numIdELi16ELb0ELb0ELc84ELc76EKS1_S1_EviT_T0_PT6_S3_lS6_S3_lS4_PT7_S3_li.num_named_barrier, 0
	.set _ZL32rocblas_syrkx_herkx_small_kernelIi19rocblas_complex_numIdELi16ELb0ELb0ELc84ELc76EKS1_S1_EviT_T0_PT6_S3_lS6_S3_lS4_PT7_S3_li.private_seg_size, 0
	.set _ZL32rocblas_syrkx_herkx_small_kernelIi19rocblas_complex_numIdELi16ELb0ELb0ELc84ELc76EKS1_S1_EviT_T0_PT6_S3_lS6_S3_lS4_PT7_S3_li.uses_vcc, 1
	.set _ZL32rocblas_syrkx_herkx_small_kernelIi19rocblas_complex_numIdELi16ELb0ELb0ELc84ELc76EKS1_S1_EviT_T0_PT6_S3_lS6_S3_lS4_PT7_S3_li.uses_flat_scratch, 0
	.set _ZL32rocblas_syrkx_herkx_small_kernelIi19rocblas_complex_numIdELi16ELb0ELb0ELc84ELc76EKS1_S1_EviT_T0_PT6_S3_lS6_S3_lS4_PT7_S3_li.has_dyn_sized_stack, 0
	.set _ZL32rocblas_syrkx_herkx_small_kernelIi19rocblas_complex_numIdELi16ELb0ELb0ELc84ELc76EKS1_S1_EviT_T0_PT6_S3_lS6_S3_lS4_PT7_S3_li.has_recursion, 0
	.set _ZL32rocblas_syrkx_herkx_small_kernelIi19rocblas_complex_numIdELi16ELb0ELb0ELc84ELc76EKS1_S1_EviT_T0_PT6_S3_lS6_S3_lS4_PT7_S3_li.has_indirect_call, 0
	.section	.AMDGPU.csdata,"",@progbits
; Kernel info:
; codeLenInByte = 1872
; TotalNumSgprs: 36
; NumVgprs: 40
; ScratchSize: 0
; MemoryBound: 0
; FloatMode: 240
; IeeeMode: 1
; LDSByteSize: 8192 bytes/workgroup (compile time only)
; SGPRBlocks: 8
; VGPRBlocks: 9
; NumSGPRsForWavesPerEU: 65
; NumVGPRsForWavesPerEU: 40
; Occupancy: 6
; WaveLimiterHint : 0
; COMPUTE_PGM_RSRC2:SCRATCH_EN: 0
; COMPUTE_PGM_RSRC2:USER_SGPR: 6
; COMPUTE_PGM_RSRC2:TRAP_HANDLER: 0
; COMPUTE_PGM_RSRC2:TGID_X_EN: 1
; COMPUTE_PGM_RSRC2:TGID_Y_EN: 1
; COMPUTE_PGM_RSRC2:TGID_Z_EN: 1
; COMPUTE_PGM_RSRC2:TIDIG_COMP_CNT: 1
	.section	.text._ZL32rocblas_syrkx_herkx_small_kernelIi19rocblas_complex_numIdELi16ELb0ELb0ELc67ELc76EKS1_S1_EviT_T0_PT6_S3_lS6_S3_lS4_PT7_S3_li,"axG",@progbits,_ZL32rocblas_syrkx_herkx_small_kernelIi19rocblas_complex_numIdELi16ELb0ELb0ELc67ELc76EKS1_S1_EviT_T0_PT6_S3_lS6_S3_lS4_PT7_S3_li,comdat
	.globl	_ZL32rocblas_syrkx_herkx_small_kernelIi19rocblas_complex_numIdELi16ELb0ELb0ELc67ELc76EKS1_S1_EviT_T0_PT6_S3_lS6_S3_lS4_PT7_S3_li ; -- Begin function _ZL32rocblas_syrkx_herkx_small_kernelIi19rocblas_complex_numIdELi16ELb0ELb0ELc67ELc76EKS1_S1_EviT_T0_PT6_S3_lS6_S3_lS4_PT7_S3_li
	.p2align	8
	.type	_ZL32rocblas_syrkx_herkx_small_kernelIi19rocblas_complex_numIdELi16ELb0ELb0ELc67ELc76EKS1_S1_EviT_T0_PT6_S3_lS6_S3_lS4_PT7_S3_li,@function
_ZL32rocblas_syrkx_herkx_small_kernelIi19rocblas_complex_numIdELi16ELb0ELb0ELc67ELc76EKS1_S1_EviT_T0_PT6_S3_lS6_S3_lS4_PT7_S3_li: ; @_ZL32rocblas_syrkx_herkx_small_kernelIi19rocblas_complex_numIdELi16ELb0ELb0ELc67ELc76EKS1_S1_EviT_T0_PT6_S3_lS6_S3_lS4_PT7_S3_li
; %bb.0:
	s_load_dwordx2 s[10:11], s[4:5], 0x0
	s_load_dwordx4 s[20:23], s[4:5], 0x8
	s_load_dwordx2 s[24:25], s[4:5], 0x18
	s_load_dwordx8 s[12:19], s[4:5], 0x40
	v_lshl_add_u32 v7, s6, 4, v0
	s_mov_b32 s9, 0
	v_lshl_add_u32 v16, s7, 4, v1
	s_waitcnt lgkmcnt(0)
	s_cmp_lt_i32 s11, 1
	v_cmp_gt_i32_e64 s[0:1], s10, v7
	s_cbranch_scc1 .LBB288_9
; %bb.1:
	s_load_dword s6, s[4:5], 0x20
	s_load_dwordx4 s[28:31], s[4:5], 0x28
	s_load_dword s2, s[4:5], 0x38
	v_lshlrev_b32_e32 v4, 8, v1
	v_lshlrev_b32_e32 v17, 4, v0
	v_add_u32_e32 v18, v17, v4
	v_add_u32_e32 v19, 0x1000, v4
	s_waitcnt lgkmcnt(0)
	v_mad_i64_i32 v[2:3], s[2:3], s2, v16, 0
	s_mul_i32 s2, s13, s8
	s_mul_hi_u32 s3, s12, s8
	v_lshlrev_b64 v[2:3], 4, v[2:3]
	s_add_i32 s3, s3, s2
	s_mul_i32 s2, s12, s8
	s_lshl_b64 s[2:3], s[2:3], 4
	v_mov_b32_e32 v4, s3
	v_add_co_u32_e64 v2, s[2:3], s2, v2
	v_addc_co_u32_e64 v3, s[2:3], v3, v4, s[2:3]
	v_add_co_u32_e64 v4, s[2:3], v2, v17
	v_addc_co_u32_e64 v5, s[2:3], 0, v3, s[2:3]
	v_mad_i64_i32 v[2:3], s[2:3], s6, v7, 0
	v_mov_b32_e32 v6, s31
	v_add_co_u32_e64 v8, s[2:3], s30, v4
	v_addc_co_u32_e64 v9, s[2:3], v6, v5, s[2:3]
	s_mul_i32 s2, s29, s8
	s_mul_hi_u32 s3, s28, s8
	v_lshlrev_b64 v[2:3], 4, v[2:3]
	s_add_i32 s3, s3, s2
	s_mul_i32 s2, s28, s8
	s_lshl_b64 s[2:3], s[2:3], 4
	v_mov_b32_e32 v4, s3
	v_add_co_u32_e64 v2, s[2:3], s2, v2
	v_addc_co_u32_e64 v3, s[2:3], v3, v4, s[2:3]
	v_lshlrev_b32_e32 v4, 4, v1
	v_add_co_u32_e64 v2, s[2:3], v2, v4
	v_addc_co_u32_e64 v3, s[2:3], 0, v3, s[2:3]
	v_mov_b32_e32 v4, s25
	v_add_co_u32_e64 v2, s[2:3], s24, v2
	v_addc_co_u32_e64 v3, s[2:3], v4, v3, s[2:3]
	v_add_co_u32_e64 v10, s[2:3], 8, v2
	v_cmp_gt_i32_e32 vcc, s10, v16
	v_addc_co_u32_e64 v11, s[2:3], 0, v3, s[2:3]
	v_mov_b32_e32 v12, 0
	v_mov_b32_e32 v14, 0
	v_add_u32_e32 v20, v19, v17
	v_mov_b32_e32 v13, 0
	s_xor_b64 s[2:3], vcc, -1
	v_mov_b32_e32 v15, 0
	v_mov_b32_e32 v2, 0
	s_branch .LBB288_3
.LBB288_2:                              ;   in Loop: Header=BB288_3 Depth=1
	s_or_b64 exec, exec, s[6:7]
	s_waitcnt lgkmcnt(0)
	s_barrier
	ds_read_b128 v[3:6], v17
	ds_read_b128 v[21:24], v19
	ds_read_b128 v[25:28], v19 offset:16
	ds_read_b128 v[29:32], v17 offset:256
	;; [unrolled: 1-line block ×4, first 2 shown]
	s_waitcnt lgkmcnt(4)
	v_mul_f64 v[41:42], v[23:24], v[5:6]
	v_mul_f64 v[5:6], v[21:22], v[5:6]
	s_waitcnt lgkmcnt(2)
	v_mul_f64 v[43:44], v[27:28], v[31:32]
	v_mul_f64 v[31:32], v[25:26], v[31:32]
	s_waitcnt lgkmcnt(0)
	v_mul_f64 v[47:48], v[35:36], v[39:40]
	v_add_co_u32_e32 v8, vcc, 0x100, v8
	v_addc_co_u32_e32 v9, vcc, 0, v9, vcc
	v_fma_f64 v[41:42], v[21:22], v[3:4], -v[41:42]
	v_fma_f64 v[45:46], v[23:24], v[3:4], v[5:6]
	v_fma_f64 v[25:26], v[25:26], v[29:30], -v[43:44]
	v_fma_f64 v[27:28], v[27:28], v[29:30], v[31:32]
	v_mul_f64 v[29:30], v[33:34], v[39:40]
	ds_read_b128 v[3:6], v19 offset:48
	ds_read_b128 v[21:24], v17 offset:768
	v_fma_f64 v[33:34], v[33:34], v[37:38], -v[47:48]
	s_add_i32 s9, s9, 16
	v_add_f64 v[31:32], v[14:15], v[41:42]
	v_add_f64 v[39:40], v[12:13], v[45:46]
	s_waitcnt lgkmcnt(0)
	v_mul_f64 v[41:42], v[5:6], v[23:24]
	v_mul_f64 v[43:44], v[3:4], v[23:24]
	v_fma_f64 v[35:36], v[35:36], v[37:38], v[29:30]
	ds_read_b128 v[12:15], v19 offset:64
	v_add_co_u32_e32 v10, vcc, 0x100, v10
	v_add_f64 v[31:32], v[31:32], v[25:26]
	v_add_f64 v[37:38], v[39:40], v[27:28]
	ds_read_b128 v[23:26], v17 offset:1024
	v_fma_f64 v[39:40], v[3:4], v[21:22], -v[41:42]
	v_fma_f64 v[21:22], v[5:6], v[21:22], v[43:44]
	ds_read_b128 v[3:6], v19 offset:80
	ds_read_b128 v[27:30], v17 offset:1280
	s_cmp_ge_i32 s9, s11
	s_waitcnt lgkmcnt(2)
	v_mul_f64 v[41:42], v[14:15], v[25:26]
	v_mul_f64 v[25:26], v[12:13], v[25:26]
	v_add_f64 v[43:44], v[31:32], v[33:34]
	v_add_f64 v[35:36], v[37:38], v[35:36]
	s_waitcnt lgkmcnt(0)
	v_mul_f64 v[45:46], v[5:6], v[29:30]
	v_mul_f64 v[29:30], v[3:4], v[29:30]
	ds_read_b128 v[31:34], v19 offset:96
	v_addc_co_u32_e32 v11, vcc, 0, v11, vcc
	v_fma_f64 v[41:42], v[12:13], v[23:24], -v[41:42]
	v_fma_f64 v[25:26], v[14:15], v[23:24], v[25:26]
	v_add_f64 v[39:40], v[43:44], v[39:40]
	v_add_f64 v[43:44], v[35:36], v[21:22]
	ds_read_b128 v[12:15], v17 offset:1536
	v_fma_f64 v[45:46], v[3:4], v[27:28], -v[45:46]
	v_fma_f64 v[27:28], v[5:6], v[27:28], v[29:30]
	ds_read_b128 v[21:24], v19 offset:112
	ds_read_b128 v[35:38], v17 offset:1792
	;; [unrolled: 1-line block ×3, first 2 shown]
	s_waitcnt lgkmcnt(3)
	v_mul_f64 v[47:48], v[33:34], v[14:15]
	v_mul_f64 v[14:15], v[31:32], v[14:15]
	v_add_f64 v[29:30], v[39:40], v[41:42]
	v_add_f64 v[25:26], v[43:44], v[25:26]
	s_waitcnt lgkmcnt(1)
	v_mul_f64 v[39:40], v[23:24], v[37:38]
	v_mul_f64 v[37:38], v[21:22], v[37:38]
	v_fma_f64 v[31:32], v[31:32], v[12:13], -v[47:48]
	v_fma_f64 v[33:34], v[33:34], v[12:13], v[14:15]
	v_add_f64 v[29:30], v[29:30], v[45:46]
	v_add_f64 v[41:42], v[25:26], v[27:28]
	ds_read_b128 v[12:15], v17 offset:2048
	v_fma_f64 v[39:40], v[21:22], v[35:36], -v[39:40]
	v_fma_f64 v[35:36], v[23:24], v[35:36], v[37:38]
	ds_read_b128 v[21:24], v19 offset:144
	ds_read_b128 v[25:28], v17 offset:2304
	s_waitcnt lgkmcnt(2)
	v_mul_f64 v[37:38], v[5:6], v[14:15]
	v_mul_f64 v[14:15], v[3:4], v[14:15]
	v_add_f64 v[43:44], v[29:30], v[31:32]
	v_add_f64 v[33:34], v[41:42], v[33:34]
	s_waitcnt lgkmcnt(0)
	v_mul_f64 v[41:42], v[23:24], v[27:28]
	v_mul_f64 v[27:28], v[21:22], v[27:28]
	ds_read_b128 v[29:32], v19 offset:160
	v_fma_f64 v[37:38], v[3:4], v[12:13], -v[37:38]
	v_fma_f64 v[45:46], v[5:6], v[12:13], v[14:15]
	v_add_f64 v[39:40], v[43:44], v[39:40]
	v_add_f64 v[43:44], v[33:34], v[35:36]
	ds_read_b128 v[3:6], v17 offset:2560
	v_fma_f64 v[41:42], v[21:22], v[25:26], -v[41:42]
	v_fma_f64 v[25:26], v[23:24], v[25:26], v[27:28]
	ds_read_b128 v[12:15], v19 offset:176
	ds_read_b128 v[33:36], v17 offset:2816
	;; [unrolled: 1-line block ×3, first 2 shown]
	s_waitcnt lgkmcnt(3)
	v_mul_f64 v[47:48], v[31:32], v[5:6]
	v_mul_f64 v[5:6], v[29:30], v[5:6]
	v_add_f64 v[27:28], v[39:40], v[37:38]
	v_add_f64 v[37:38], v[43:44], v[45:46]
	s_waitcnt lgkmcnt(1)
	v_mul_f64 v[39:40], v[14:15], v[35:36]
	v_mul_f64 v[35:36], v[12:13], v[35:36]
	v_fma_f64 v[29:30], v[29:30], v[3:4], -v[47:48]
	v_fma_f64 v[31:32], v[31:32], v[3:4], v[5:6]
	v_add_f64 v[41:42], v[27:28], v[41:42]
	v_add_f64 v[37:38], v[37:38], v[25:26]
	ds_read_b128 v[3:6], v17 offset:3072
	v_fma_f64 v[39:40], v[12:13], v[33:34], -v[39:40]
	v_fma_f64 v[33:34], v[14:15], v[33:34], v[35:36]
	ds_read_b128 v[12:15], v19 offset:208
	ds_read_b128 v[25:28], v17 offset:3328
	s_waitcnt lgkmcnt(2)
	v_mul_f64 v[35:36], v[23:24], v[5:6]
	v_mul_f64 v[5:6], v[21:22], v[5:6]
	v_add_f64 v[41:42], v[41:42], v[29:30]
	v_add_f64 v[37:38], v[37:38], v[31:32]
	s_waitcnt lgkmcnt(0)
	v_mul_f64 v[43:44], v[14:15], v[27:28]
	v_mul_f64 v[27:28], v[12:13], v[27:28]
	ds_read_b128 v[29:32], v19 offset:224
	v_fma_f64 v[45:46], v[21:22], v[3:4], -v[35:36]
	v_fma_f64 v[47:48], v[23:24], v[3:4], v[5:6]
	v_add_f64 v[39:40], v[41:42], v[39:40]
	v_add_f64 v[37:38], v[37:38], v[33:34]
	ds_read_b128 v[3:6], v17 offset:3584
	v_fma_f64 v[12:13], v[12:13], v[25:26], -v[43:44]
	v_fma_f64 v[14:15], v[14:15], v[25:26], v[27:28]
	ds_read_b128 v[21:24], v19 offset:240
	ds_read_b128 v[33:36], v17 offset:3840
	s_waitcnt lgkmcnt(0)
	v_mul_f64 v[41:42], v[31:32], v[5:6]
	v_mul_f64 v[5:6], v[29:30], v[5:6]
	v_add_f64 v[25:26], v[39:40], v[45:46]
	v_add_f64 v[27:28], v[37:38], v[47:48]
	v_mul_f64 v[37:38], v[23:24], v[35:36]
	v_mul_f64 v[35:36], v[21:22], v[35:36]
	s_barrier
	v_fma_f64 v[29:30], v[29:30], v[3:4], -v[41:42]
	v_fma_f64 v[3:4], v[31:32], v[3:4], v[5:6]
	v_add_f64 v[5:6], v[25:26], v[12:13]
	v_add_f64 v[12:13], v[27:28], v[14:15]
	v_fma_f64 v[14:15], v[21:22], v[33:34], -v[37:38]
	v_fma_f64 v[21:22], v[23:24], v[33:34], v[35:36]
	v_add_f64 v[5:6], v[5:6], v[29:30]
	v_add_f64 v[3:4], v[12:13], v[3:4]
	;; [unrolled: 1-line block ×4, first 2 shown]
	s_cbranch_scc1 .LBB288_10
.LBB288_3:                              ; =>This Inner Loop Header: Depth=1
	v_add_u32_e32 v3, s9, v1
	v_cmp_gt_i32_e32 vcc, s11, v3
	v_mov_b32_e32 v3, 0
	v_mov_b32_e32 v5, 0
	;; [unrolled: 1-line block ×4, first 2 shown]
	s_and_b64 s[12:13], s[0:1], vcc
	s_and_saveexec_b64 s[6:7], s[12:13]
	s_cbranch_execz .LBB288_5
; %bb.4:                                ;   in Loop: Header=BB288_3 Depth=1
	global_load_dwordx4 v[3:6], v[10:11], off offset:-8
.LBB288_5:                              ;   in Loop: Header=BB288_3 Depth=1
	s_or_b64 exec, exec, s[6:7]
	s_waitcnt vmcnt(0)
	ds_write_b128 v18, v[3:6]
	v_add_u32_e32 v3, s9, v0
	v_cmp_le_i32_e32 vcc, s11, v3
	s_or_b64 s[6:7], s[2:3], vcc
	s_and_saveexec_b64 s[12:13], s[6:7]
	s_xor_b64 s[6:7], exec, s[12:13]
; %bb.6:                                ;   in Loop: Header=BB288_3 Depth=1
	v_mov_b32_e32 v3, v2
	v_mov_b32_e32 v4, v2
	;; [unrolled: 1-line block ×3, first 2 shown]
	ds_write_b128 v20, v[2:5]
; %bb.7:                                ;   in Loop: Header=BB288_3 Depth=1
	s_andn2_saveexec_b64 s[6:7], s[6:7]
	s_cbranch_execz .LBB288_2
; %bb.8:                                ;   in Loop: Header=BB288_3 Depth=1
	global_load_dwordx4 v[3:6], v[8:9], off
	s_waitcnt vmcnt(0)
	ds_write2_b64 v20, v[3:4], v[5:6] offset1:1
	s_branch .LBB288_2
.LBB288_9:
	v_mov_b32_e32 v12, 0
	v_mov_b32_e32 v14, 0
	;; [unrolled: 1-line block ×4, first 2 shown]
.LBB288_10:
	v_cmp_le_i32_e32 vcc, v16, v7
	v_cmp_gt_i32_e64 s[0:1], s10, v7
	s_and_b64 s[0:1], vcc, s[0:1]
	s_and_saveexec_b64 s[2:3], s[0:1]
	s_cbranch_execz .LBB288_12
; %bb.11:
	s_load_dwordx2 s[0:1], s[4:5], 0x68
	s_load_dword s2, s[4:5], 0x60
	v_ashrrev_i32_e32 v8, 31, v7
	s_waitcnt lgkmcnt(0)
	s_mul_i32 s1, s1, s8
	s_mul_hi_u32 s3, s0, s8
	s_add_i32 s1, s3, s1
	v_mad_i64_i32 v[0:1], s[2:3], s2, v16, 0
	s_mul_i32 s0, s0, s8
	s_lshl_b64 s[0:1], s[0:1], 4
	s_add_u32 s0, s18, s0
	v_lshlrev_b64 v[0:1], 4, v[0:1]
	s_addc_u32 s1, s19, s1
	v_mov_b32_e32 v2, s1
	v_add_co_u32_e32 v3, vcc, s0, v0
	v_addc_co_u32_e32 v2, vcc, v2, v1, vcc
	v_lshlrev_b64 v[0:1], 4, v[7:8]
	v_mul_f64 v[6:7], s[22:23], v[12:13]
	v_add_co_u32_e32 v4, vcc, v3, v0
	v_addc_co_u32_e32 v5, vcc, v2, v1, vcc
	global_load_dwordx4 v[0:3], v[4:5], off
	v_mul_f64 v[8:9], s[20:21], v[12:13]
	v_fma_f64 v[6:7], s[20:21], v[14:15], -v[6:7]
	v_fma_f64 v[8:9], s[22:23], v[14:15], v[8:9]
	s_waitcnt vmcnt(0)
	v_mul_f64 v[10:11], s[16:17], v[2:3]
	v_mul_f64 v[2:3], s[14:15], v[2:3]
	v_fma_f64 v[10:11], s[14:15], v[0:1], -v[10:11]
	v_fma_f64 v[2:3], s[16:17], v[0:1], v[2:3]
	v_add_f64 v[0:1], v[6:7], v[10:11]
	v_add_f64 v[2:3], v[8:9], v[2:3]
	global_store_dwordx4 v[4:5], v[0:3], off
.LBB288_12:
	s_endpgm
	.section	.rodata,"a",@progbits
	.p2align	6, 0x0
	.amdhsa_kernel _ZL32rocblas_syrkx_herkx_small_kernelIi19rocblas_complex_numIdELi16ELb0ELb0ELc67ELc76EKS1_S1_EviT_T0_PT6_S3_lS6_S3_lS4_PT7_S3_li
		.amdhsa_group_segment_fixed_size 8192
		.amdhsa_private_segment_fixed_size 0
		.amdhsa_kernarg_size 116
		.amdhsa_user_sgpr_count 6
		.amdhsa_user_sgpr_private_segment_buffer 1
		.amdhsa_user_sgpr_dispatch_ptr 0
		.amdhsa_user_sgpr_queue_ptr 0
		.amdhsa_user_sgpr_kernarg_segment_ptr 1
		.amdhsa_user_sgpr_dispatch_id 0
		.amdhsa_user_sgpr_flat_scratch_init 0
		.amdhsa_user_sgpr_private_segment_size 0
		.amdhsa_uses_dynamic_stack 0
		.amdhsa_system_sgpr_private_segment_wavefront_offset 0
		.amdhsa_system_sgpr_workgroup_id_x 1
		.amdhsa_system_sgpr_workgroup_id_y 1
		.amdhsa_system_sgpr_workgroup_id_z 1
		.amdhsa_system_sgpr_workgroup_info 0
		.amdhsa_system_vgpr_workitem_id 1
		.amdhsa_next_free_vgpr 49
		.amdhsa_next_free_sgpr 61
		.amdhsa_reserve_vcc 1
		.amdhsa_reserve_flat_scratch 0
		.amdhsa_float_round_mode_32 0
		.amdhsa_float_round_mode_16_64 0
		.amdhsa_float_denorm_mode_32 3
		.amdhsa_float_denorm_mode_16_64 3
		.amdhsa_dx10_clamp 1
		.amdhsa_ieee_mode 1
		.amdhsa_fp16_overflow 0
		.amdhsa_exception_fp_ieee_invalid_op 0
		.amdhsa_exception_fp_denorm_src 0
		.amdhsa_exception_fp_ieee_div_zero 0
		.amdhsa_exception_fp_ieee_overflow 0
		.amdhsa_exception_fp_ieee_underflow 0
		.amdhsa_exception_fp_ieee_inexact 0
		.amdhsa_exception_int_div_zero 0
	.end_amdhsa_kernel
	.section	.text._ZL32rocblas_syrkx_herkx_small_kernelIi19rocblas_complex_numIdELi16ELb0ELb0ELc67ELc76EKS1_S1_EviT_T0_PT6_S3_lS6_S3_lS4_PT7_S3_li,"axG",@progbits,_ZL32rocblas_syrkx_herkx_small_kernelIi19rocblas_complex_numIdELi16ELb0ELb0ELc67ELc76EKS1_S1_EviT_T0_PT6_S3_lS6_S3_lS4_PT7_S3_li,comdat
.Lfunc_end288:
	.size	_ZL32rocblas_syrkx_herkx_small_kernelIi19rocblas_complex_numIdELi16ELb0ELb0ELc67ELc76EKS1_S1_EviT_T0_PT6_S3_lS6_S3_lS4_PT7_S3_li, .Lfunc_end288-_ZL32rocblas_syrkx_herkx_small_kernelIi19rocblas_complex_numIdELi16ELb0ELb0ELc67ELc76EKS1_S1_EviT_T0_PT6_S3_lS6_S3_lS4_PT7_S3_li
                                        ; -- End function
	.set _ZL32rocblas_syrkx_herkx_small_kernelIi19rocblas_complex_numIdELi16ELb0ELb0ELc67ELc76EKS1_S1_EviT_T0_PT6_S3_lS6_S3_lS4_PT7_S3_li.num_vgpr, 49
	.set _ZL32rocblas_syrkx_herkx_small_kernelIi19rocblas_complex_numIdELi16ELb0ELb0ELc67ELc76EKS1_S1_EviT_T0_PT6_S3_lS6_S3_lS4_PT7_S3_li.num_agpr, 0
	.set _ZL32rocblas_syrkx_herkx_small_kernelIi19rocblas_complex_numIdELi16ELb0ELb0ELc67ELc76EKS1_S1_EviT_T0_PT6_S3_lS6_S3_lS4_PT7_S3_li.numbered_sgpr, 32
	.set _ZL32rocblas_syrkx_herkx_small_kernelIi19rocblas_complex_numIdELi16ELb0ELb0ELc67ELc76EKS1_S1_EviT_T0_PT6_S3_lS6_S3_lS4_PT7_S3_li.num_named_barrier, 0
	.set _ZL32rocblas_syrkx_herkx_small_kernelIi19rocblas_complex_numIdELi16ELb0ELb0ELc67ELc76EKS1_S1_EviT_T0_PT6_S3_lS6_S3_lS4_PT7_S3_li.private_seg_size, 0
	.set _ZL32rocblas_syrkx_herkx_small_kernelIi19rocblas_complex_numIdELi16ELb0ELb0ELc67ELc76EKS1_S1_EviT_T0_PT6_S3_lS6_S3_lS4_PT7_S3_li.uses_vcc, 1
	.set _ZL32rocblas_syrkx_herkx_small_kernelIi19rocblas_complex_numIdELi16ELb0ELb0ELc67ELc76EKS1_S1_EviT_T0_PT6_S3_lS6_S3_lS4_PT7_S3_li.uses_flat_scratch, 0
	.set _ZL32rocblas_syrkx_herkx_small_kernelIi19rocblas_complex_numIdELi16ELb0ELb0ELc67ELc76EKS1_S1_EviT_T0_PT6_S3_lS6_S3_lS4_PT7_S3_li.has_dyn_sized_stack, 0
	.set _ZL32rocblas_syrkx_herkx_small_kernelIi19rocblas_complex_numIdELi16ELb0ELb0ELc67ELc76EKS1_S1_EviT_T0_PT6_S3_lS6_S3_lS4_PT7_S3_li.has_recursion, 0
	.set _ZL32rocblas_syrkx_herkx_small_kernelIi19rocblas_complex_numIdELi16ELb0ELb0ELc67ELc76EKS1_S1_EviT_T0_PT6_S3_lS6_S3_lS4_PT7_S3_li.has_indirect_call, 0
	.section	.AMDGPU.csdata,"",@progbits
; Kernel info:
; codeLenInByte = 1868
; TotalNumSgprs: 36
; NumVgprs: 49
; ScratchSize: 0
; MemoryBound: 1
; FloatMode: 240
; IeeeMode: 1
; LDSByteSize: 8192 bytes/workgroup (compile time only)
; SGPRBlocks: 8
; VGPRBlocks: 12
; NumSGPRsForWavesPerEU: 65
; NumVGPRsForWavesPerEU: 49
; Occupancy: 4
; WaveLimiterHint : 0
; COMPUTE_PGM_RSRC2:SCRATCH_EN: 0
; COMPUTE_PGM_RSRC2:USER_SGPR: 6
; COMPUTE_PGM_RSRC2:TRAP_HANDLER: 0
; COMPUTE_PGM_RSRC2:TGID_X_EN: 1
; COMPUTE_PGM_RSRC2:TGID_Y_EN: 1
; COMPUTE_PGM_RSRC2:TGID_Z_EN: 1
; COMPUTE_PGM_RSRC2:TIDIG_COMP_CNT: 1
	.section	.text._ZL32rocblas_syrkx_herkx_small_kernelIi19rocblas_complex_numIdELi16ELb0ELb0ELc78ELc76EKS1_S1_EviT_T0_PT6_S3_lS6_S3_lS4_PT7_S3_li,"axG",@progbits,_ZL32rocblas_syrkx_herkx_small_kernelIi19rocblas_complex_numIdELi16ELb0ELb0ELc78ELc76EKS1_S1_EviT_T0_PT6_S3_lS6_S3_lS4_PT7_S3_li,comdat
	.globl	_ZL32rocblas_syrkx_herkx_small_kernelIi19rocblas_complex_numIdELi16ELb0ELb0ELc78ELc76EKS1_S1_EviT_T0_PT6_S3_lS6_S3_lS4_PT7_S3_li ; -- Begin function _ZL32rocblas_syrkx_herkx_small_kernelIi19rocblas_complex_numIdELi16ELb0ELb0ELc78ELc76EKS1_S1_EviT_T0_PT6_S3_lS6_S3_lS4_PT7_S3_li
	.p2align	8
	.type	_ZL32rocblas_syrkx_herkx_small_kernelIi19rocblas_complex_numIdELi16ELb0ELb0ELc78ELc76EKS1_S1_EviT_T0_PT6_S3_lS6_S3_lS4_PT7_S3_li,@function
_ZL32rocblas_syrkx_herkx_small_kernelIi19rocblas_complex_numIdELi16ELb0ELb0ELc78ELc76EKS1_S1_EviT_T0_PT6_S3_lS6_S3_lS4_PT7_S3_li: ; @_ZL32rocblas_syrkx_herkx_small_kernelIi19rocblas_complex_numIdELi16ELb0ELb0ELc78ELc76EKS1_S1_EviT_T0_PT6_S3_lS6_S3_lS4_PT7_S3_li
; %bb.0:
	s_load_dwordx2 s[10:11], s[4:5], 0x0
	s_load_dwordx4 s[20:23], s[4:5], 0x8
	s_load_dwordx2 s[28:29], s[4:5], 0x18
	s_load_dwordx8 s[12:19], s[4:5], 0x40
	v_lshl_add_u32 v7, s6, 4, v0
	s_mov_b32 s9, 0
	v_lshl_add_u32 v9, s7, 4, v1
	s_waitcnt lgkmcnt(0)
	s_cmp_lt_i32 s11, 1
	v_cmp_gt_i32_e64 s[0:1], s10, v7
	v_ashrrev_i32_e32 v8, 31, v7
	s_cbranch_scc1 .LBB289_9
; %bb.1:
	s_load_dword s30, s[4:5], 0x20
	s_load_dword s6, s[4:5], 0x38
	s_load_dwordx4 s[24:27], s[4:5], 0x28
	v_lshlrev_b32_e32 v2, 8, v1
	v_lshlrev_b32_e32 v18, 4, v0
	v_add_u32_e32 v19, v18, v2
	v_add_u32_e32 v20, 0x1000, v2
	s_waitcnt lgkmcnt(0)
	v_mad_i64_i32 v[2:3], s[2:3], s6, v0, 0
	s_mul_i32 s13, s13, s8
	s_mul_hi_u32 s33, s12, s8
	s_add_i32 s3, s33, s13
	s_mul_i32 s2, s12, s8
	v_lshlrev_b64 v[2:3], 4, v[2:3]
	s_lshl_b64 s[2:3], s[2:3], 4
	v_ashrrev_i32_e32 v10, 31, v9
	v_mov_b32_e32 v4, s3
	v_add_co_u32_e64 v5, s[2:3], s2, v2
	v_addc_co_u32_e64 v4, s[2:3], v4, v3, s[2:3]
	v_lshlrev_b64 v[2:3], 4, v[9:10]
	s_mul_i32 s12, s25, s8
	v_add_co_u32_e64 v2, s[2:3], v5, v2
	v_addc_co_u32_e64 v3, s[2:3], v4, v3, s[2:3]
	v_mov_b32_e32 v4, s27
	v_add_co_u32_e64 v2, s[2:3], s26, v2
	v_addc_co_u32_e64 v3, s[2:3], v4, v3, s[2:3]
	v_add_co_u32_e64 v10, s[2:3], 8, v2
	v_addc_co_u32_e64 v11, s[2:3], 0, v3, s[2:3]
	v_mad_i64_i32 v[2:3], s[2:3], s30, v1, 0
	s_mul_hi_u32 s13, s24, s8
	s_add_i32 s3, s13, s12
	s_mul_i32 s2, s24, s8
	v_lshlrev_b64 v[2:3], 4, v[2:3]
	s_lshl_b64 s[2:3], s[2:3], 4
	v_mov_b32_e32 v4, s3
	v_add_co_u32_e64 v5, s[2:3], s2, v2
	v_addc_co_u32_e64 v4, s[2:3], v4, v3, s[2:3]
	v_lshlrev_b64 v[2:3], 4, v[7:8]
	s_ashr_i32 s31, s30, 31
	v_add_co_u32_e64 v2, s[2:3], v5, v2
	v_addc_co_u32_e64 v3, s[2:3], v4, v3, s[2:3]
	v_mov_b32_e32 v4, s29
	v_add_co_u32_e64 v12, s[2:3], s28, v2
	s_ashr_i32 s7, s6, 31
	v_addc_co_u32_e64 v13, s[2:3], v4, v3, s[2:3]
	s_lshl_b64 s[6:7], s[6:7], 8
	s_lshl_b64 s[2:3], s[30:31], 8
	v_mov_b32_e32 v14, 0
	v_mov_b32_e32 v16, 0
	v_cmp_gt_i32_e32 vcc, s10, v9
	v_add_u32_e32 v21, v20, v18
	v_mov_b32_e32 v15, 0
	s_xor_b64 s[12:13], s[0:1], -1
	v_mov_b32_e32 v22, s7
	v_mov_b32_e32 v23, s3
	;; [unrolled: 1-line block ×4, first 2 shown]
	s_branch .LBB289_3
.LBB289_2:                              ;   in Loop: Header=BB289_3 Depth=1
	s_or_b64 exec, exec, s[0:1]
	s_waitcnt vmcnt(0)
	ds_write_b128 v21, v[3:6]
	s_waitcnt lgkmcnt(0)
	s_barrier
	ds_read_b128 v[3:6], v18
	ds_read_b128 v[24:27], v20
	ds_read_b128 v[28:31], v20 offset:16
	ds_read_b128 v[32:35], v18 offset:256
	v_add_co_u32_e64 v10, s[0:1], s6, v10
	s_waitcnt lgkmcnt(2)
	v_mul_f64 v[36:37], v[26:27], v[5:6]
	v_mul_f64 v[5:6], v[24:25], v[5:6]
	s_waitcnt lgkmcnt(0)
	v_mul_f64 v[38:39], v[30:31], v[34:35]
	v_mul_f64 v[40:41], v[28:29], v[34:35]
	v_addc_co_u32_e64 v11, s[0:1], v11, v22, s[0:1]
	s_add_i32 s9, s9, 16
	v_add_co_u32_e64 v12, s[0:1], s2, v12
	v_fma_f64 v[42:43], v[24:25], v[3:4], -v[36:37]
	v_fma_f64 v[44:45], v[26:27], v[3:4], v[5:6]
	ds_read_b128 v[3:6], v18 offset:512
	ds_read_b128 v[24:27], v20 offset:32
	ds_read_b128 v[34:37], v20 offset:48
	v_fma_f64 v[38:39], v[28:29], v[32:33], -v[38:39]
	v_fma_f64 v[32:33], v[30:31], v[32:33], v[40:41]
	ds_read_b128 v[28:31], v18 offset:768
	s_waitcnt lgkmcnt(2)
	v_mul_f64 v[40:41], v[26:27], v[5:6]
	v_mul_f64 v[5:6], v[24:25], v[5:6]
	v_add_f64 v[16:17], v[16:17], v[42:43]
	v_add_f64 v[14:15], v[14:15], v[44:45]
	s_waitcnt lgkmcnt(0)
	v_mul_f64 v[42:43], v[36:37], v[30:31]
	v_mul_f64 v[30:31], v[34:35], v[30:31]
	s_cmp_ge_i32 s9, s11
	v_addc_co_u32_e64 v13, s[0:1], v13, v23, s[0:1]
	v_fma_f64 v[40:41], v[24:25], v[3:4], -v[40:41]
	v_fma_f64 v[44:45], v[26:27], v[3:4], v[5:6]
	v_add_f64 v[38:39], v[16:17], v[38:39]
	v_add_f64 v[32:33], v[14:15], v[32:33]
	ds_read_b128 v[3:6], v20 offset:64
	ds_read_b128 v[14:17], v18 offset:1024
	v_fma_f64 v[34:35], v[34:35], v[28:29], -v[42:43]
	v_fma_f64 v[36:37], v[36:37], v[28:29], v[30:31]
	ds_read_b128 v[24:27], v20 offset:80
	ds_read_b128 v[28:31], v18 offset:1280
	s_waitcnt lgkmcnt(2)
	v_mul_f64 v[42:43], v[5:6], v[16:17]
	v_mul_f64 v[16:17], v[3:4], v[16:17]
	v_add_f64 v[38:39], v[38:39], v[40:41]
	v_add_f64 v[32:33], v[32:33], v[44:45]
	s_waitcnt lgkmcnt(0)
	v_mul_f64 v[40:41], v[26:27], v[30:31]
	v_mul_f64 v[30:31], v[24:25], v[30:31]
	v_fma_f64 v[42:43], v[3:4], v[14:15], -v[42:43]
	v_fma_f64 v[44:45], v[5:6], v[14:15], v[16:17]
	v_add_f64 v[34:35], v[38:39], v[34:35]
	v_add_f64 v[32:33], v[32:33], v[36:37]
	ds_read_b128 v[3:6], v20 offset:96
	ds_read_b128 v[14:17], v18 offset:1536
	v_fma_f64 v[36:37], v[24:25], v[28:29], -v[40:41]
	v_fma_f64 v[38:39], v[26:27], v[28:29], v[30:31]
	ds_read_b128 v[24:27], v20 offset:112
	ds_read_b128 v[28:31], v18 offset:1792
	s_waitcnt lgkmcnt(2)
	v_mul_f64 v[40:41], v[5:6], v[16:17]
	v_mul_f64 v[16:17], v[3:4], v[16:17]
	v_add_f64 v[34:35], v[34:35], v[42:43]
	v_add_f64 v[32:33], v[32:33], v[44:45]
	s_waitcnt lgkmcnt(0)
	v_mul_f64 v[42:43], v[26:27], v[30:31]
	v_mul_f64 v[30:31], v[24:25], v[30:31]
	;; [unrolled: 18-line block ×5, first 2 shown]
	v_fma_f64 v[42:43], v[3:4], v[14:15], -v[42:43]
	v_fma_f64 v[44:45], v[5:6], v[14:15], v[16:17]
	v_add_f64 v[34:35], v[34:35], v[36:37]
	v_add_f64 v[32:33], v[32:33], v[38:39]
	ds_read_b128 v[3:6], v20 offset:224
	ds_read_b128 v[14:17], v18 offset:3584
	v_fma_f64 v[36:37], v[24:25], v[28:29], -v[40:41]
	v_fma_f64 v[38:39], v[26:27], v[28:29], v[30:31]
	ds_read_b128 v[24:27], v20 offset:240
	ds_read_b128 v[28:31], v18 offset:3840
	s_waitcnt lgkmcnt(0)
	v_mul_f64 v[40:41], v[5:6], v[16:17]
	v_mul_f64 v[16:17], v[3:4], v[16:17]
	v_add_f64 v[34:35], v[34:35], v[42:43]
	v_add_f64 v[32:33], v[32:33], v[44:45]
	v_mul_f64 v[42:43], v[26:27], v[30:31]
	v_mul_f64 v[30:31], v[24:25], v[30:31]
	s_barrier
	v_fma_f64 v[3:4], v[3:4], v[14:15], -v[40:41]
	v_fma_f64 v[5:6], v[5:6], v[14:15], v[16:17]
	v_add_f64 v[14:15], v[34:35], v[36:37]
	v_add_f64 v[16:17], v[32:33], v[38:39]
	v_fma_f64 v[24:25], v[24:25], v[28:29], -v[42:43]
	v_fma_f64 v[26:27], v[26:27], v[28:29], v[30:31]
	v_add_f64 v[3:4], v[14:15], v[3:4]
	v_add_f64 v[5:6], v[16:17], v[5:6]
	v_add_f64 v[16:17], v[3:4], v[24:25]
	v_add_f64 v[14:15], v[5:6], v[26:27]
	s_cbranch_scc1 .LBB289_10
.LBB289_3:                              ; =>This Inner Loop Header: Depth=1
	v_add_u32_e32 v3, s9, v1
	v_cmp_le_i32_e64 s[0:1], s11, v3
	s_or_b64 s[0:1], s[12:13], s[0:1]
	s_and_saveexec_b64 s[24:25], s[0:1]
	s_xor_b64 s[0:1], exec, s[24:25]
; %bb.4:                                ;   in Loop: Header=BB289_3 Depth=1
	v_mov_b32_e32 v3, v2
	v_mov_b32_e32 v4, v2
	;; [unrolled: 1-line block ×3, first 2 shown]
	ds_write_b128 v19, v[2:5]
; %bb.5:                                ;   in Loop: Header=BB289_3 Depth=1
	s_andn2_saveexec_b64 s[0:1], s[0:1]
	s_cbranch_execz .LBB289_7
; %bb.6:                                ;   in Loop: Header=BB289_3 Depth=1
	global_load_dwordx4 v[3:6], v[12:13], off
	s_waitcnt vmcnt(0)
	ds_write2_b64 v19, v[3:4], v[5:6] offset1:1
.LBB289_7:                              ;   in Loop: Header=BB289_3 Depth=1
	s_or_b64 exec, exec, s[0:1]
	v_add_u32_e32 v3, s9, v0
	v_cmp_gt_i32_e64 s[0:1], s11, v3
	v_mov_b32_e32 v3, 0
	v_mov_b32_e32 v5, 0
	;; [unrolled: 1-line block ×4, first 2 shown]
	s_and_b64 s[24:25], vcc, s[0:1]
	s_and_saveexec_b64 s[0:1], s[24:25]
	s_cbranch_execz .LBB289_2
; %bb.8:                                ;   in Loop: Header=BB289_3 Depth=1
	global_load_dwordx4 v[3:6], v[10:11], off offset:-8
	s_branch .LBB289_2
.LBB289_9:
	v_mov_b32_e32 v14, 0
	v_mov_b32_e32 v16, 0
	;; [unrolled: 1-line block ×4, first 2 shown]
.LBB289_10:
	v_cmp_le_i32_e32 vcc, v9, v7
	v_cmp_gt_i32_e64 s[0:1], s10, v7
	s_and_b64 s[0:1], vcc, s[0:1]
	s_and_saveexec_b64 s[2:3], s[0:1]
	s_cbranch_execz .LBB289_12
; %bb.11:
	s_load_dwordx2 s[0:1], s[4:5], 0x68
	s_load_dword s2, s[4:5], 0x60
	s_waitcnt lgkmcnt(0)
	s_mul_i32 s1, s1, s8
	s_mul_hi_u32 s3, s0, s8
	s_add_i32 s1, s3, s1
	v_mad_i64_i32 v[0:1], s[2:3], s2, v9, 0
	s_mul_i32 s0, s0, s8
	s_lshl_b64 s[0:1], s[0:1], 4
	s_add_u32 s0, s18, s0
	v_lshlrev_b64 v[0:1], 4, v[0:1]
	s_addc_u32 s1, s19, s1
	v_mov_b32_e32 v2, s1
	v_add_co_u32_e32 v3, vcc, s0, v0
	v_addc_co_u32_e32 v2, vcc, v2, v1, vcc
	v_lshlrev_b64 v[0:1], 4, v[7:8]
	v_mul_f64 v[6:7], s[22:23], v[14:15]
	v_add_co_u32_e32 v4, vcc, v3, v0
	v_addc_co_u32_e32 v5, vcc, v2, v1, vcc
	global_load_dwordx4 v[0:3], v[4:5], off
	v_mul_f64 v[8:9], s[20:21], v[14:15]
	v_fma_f64 v[6:7], s[20:21], v[16:17], -v[6:7]
	v_fma_f64 v[8:9], s[22:23], v[16:17], v[8:9]
	s_waitcnt vmcnt(0)
	v_mul_f64 v[10:11], s[16:17], v[2:3]
	v_mul_f64 v[2:3], s[14:15], v[2:3]
	v_fma_f64 v[10:11], s[14:15], v[0:1], -v[10:11]
	v_fma_f64 v[2:3], s[16:17], v[0:1], v[2:3]
	v_add_f64 v[0:1], v[6:7], v[10:11]
	v_add_f64 v[2:3], v[8:9], v[2:3]
	global_store_dwordx4 v[4:5], v[0:3], off
.LBB289_12:
	s_endpgm
	.section	.rodata,"a",@progbits
	.p2align	6, 0x0
	.amdhsa_kernel _ZL32rocblas_syrkx_herkx_small_kernelIi19rocblas_complex_numIdELi16ELb0ELb0ELc78ELc76EKS1_S1_EviT_T0_PT6_S3_lS6_S3_lS4_PT7_S3_li
		.amdhsa_group_segment_fixed_size 8192
		.amdhsa_private_segment_fixed_size 0
		.amdhsa_kernarg_size 116
		.amdhsa_user_sgpr_count 6
		.amdhsa_user_sgpr_private_segment_buffer 1
		.amdhsa_user_sgpr_dispatch_ptr 0
		.amdhsa_user_sgpr_queue_ptr 0
		.amdhsa_user_sgpr_kernarg_segment_ptr 1
		.amdhsa_user_sgpr_dispatch_id 0
		.amdhsa_user_sgpr_flat_scratch_init 0
		.amdhsa_user_sgpr_private_segment_size 0
		.amdhsa_uses_dynamic_stack 0
		.amdhsa_system_sgpr_private_segment_wavefront_offset 0
		.amdhsa_system_sgpr_workgroup_id_x 1
		.amdhsa_system_sgpr_workgroup_id_y 1
		.amdhsa_system_sgpr_workgroup_id_z 1
		.amdhsa_system_sgpr_workgroup_info 0
		.amdhsa_system_vgpr_workitem_id 1
		.amdhsa_next_free_vgpr 46
		.amdhsa_next_free_sgpr 61
		.amdhsa_reserve_vcc 1
		.amdhsa_reserve_flat_scratch 0
		.amdhsa_float_round_mode_32 0
		.amdhsa_float_round_mode_16_64 0
		.amdhsa_float_denorm_mode_32 3
		.amdhsa_float_denorm_mode_16_64 3
		.amdhsa_dx10_clamp 1
		.amdhsa_ieee_mode 1
		.amdhsa_fp16_overflow 0
		.amdhsa_exception_fp_ieee_invalid_op 0
		.amdhsa_exception_fp_denorm_src 0
		.amdhsa_exception_fp_ieee_div_zero 0
		.amdhsa_exception_fp_ieee_overflow 0
		.amdhsa_exception_fp_ieee_underflow 0
		.amdhsa_exception_fp_ieee_inexact 0
		.amdhsa_exception_int_div_zero 0
	.end_amdhsa_kernel
	.section	.text._ZL32rocblas_syrkx_herkx_small_kernelIi19rocblas_complex_numIdELi16ELb0ELb0ELc78ELc76EKS1_S1_EviT_T0_PT6_S3_lS6_S3_lS4_PT7_S3_li,"axG",@progbits,_ZL32rocblas_syrkx_herkx_small_kernelIi19rocblas_complex_numIdELi16ELb0ELb0ELc78ELc76EKS1_S1_EviT_T0_PT6_S3_lS6_S3_lS4_PT7_S3_li,comdat
.Lfunc_end289:
	.size	_ZL32rocblas_syrkx_herkx_small_kernelIi19rocblas_complex_numIdELi16ELb0ELb0ELc78ELc76EKS1_S1_EviT_T0_PT6_S3_lS6_S3_lS4_PT7_S3_li, .Lfunc_end289-_ZL32rocblas_syrkx_herkx_small_kernelIi19rocblas_complex_numIdELi16ELb0ELb0ELc78ELc76EKS1_S1_EviT_T0_PT6_S3_lS6_S3_lS4_PT7_S3_li
                                        ; -- End function
	.set _ZL32rocblas_syrkx_herkx_small_kernelIi19rocblas_complex_numIdELi16ELb0ELb0ELc78ELc76EKS1_S1_EviT_T0_PT6_S3_lS6_S3_lS4_PT7_S3_li.num_vgpr, 46
	.set _ZL32rocblas_syrkx_herkx_small_kernelIi19rocblas_complex_numIdELi16ELb0ELb0ELc78ELc76EKS1_S1_EviT_T0_PT6_S3_lS6_S3_lS4_PT7_S3_li.num_agpr, 0
	.set _ZL32rocblas_syrkx_herkx_small_kernelIi19rocblas_complex_numIdELi16ELb0ELb0ELc78ELc76EKS1_S1_EviT_T0_PT6_S3_lS6_S3_lS4_PT7_S3_li.numbered_sgpr, 34
	.set _ZL32rocblas_syrkx_herkx_small_kernelIi19rocblas_complex_numIdELi16ELb0ELb0ELc78ELc76EKS1_S1_EviT_T0_PT6_S3_lS6_S3_lS4_PT7_S3_li.num_named_barrier, 0
	.set _ZL32rocblas_syrkx_herkx_small_kernelIi19rocblas_complex_numIdELi16ELb0ELb0ELc78ELc76EKS1_S1_EviT_T0_PT6_S3_lS6_S3_lS4_PT7_S3_li.private_seg_size, 0
	.set _ZL32rocblas_syrkx_herkx_small_kernelIi19rocblas_complex_numIdELi16ELb0ELb0ELc78ELc76EKS1_S1_EviT_T0_PT6_S3_lS6_S3_lS4_PT7_S3_li.uses_vcc, 1
	.set _ZL32rocblas_syrkx_herkx_small_kernelIi19rocblas_complex_numIdELi16ELb0ELb0ELc78ELc76EKS1_S1_EviT_T0_PT6_S3_lS6_S3_lS4_PT7_S3_li.uses_flat_scratch, 0
	.set _ZL32rocblas_syrkx_herkx_small_kernelIi19rocblas_complex_numIdELi16ELb0ELb0ELc78ELc76EKS1_S1_EviT_T0_PT6_S3_lS6_S3_lS4_PT7_S3_li.has_dyn_sized_stack, 0
	.set _ZL32rocblas_syrkx_herkx_small_kernelIi19rocblas_complex_numIdELi16ELb0ELb0ELc78ELc76EKS1_S1_EviT_T0_PT6_S3_lS6_S3_lS4_PT7_S3_li.has_recursion, 0
	.set _ZL32rocblas_syrkx_herkx_small_kernelIi19rocblas_complex_numIdELi16ELb0ELb0ELc78ELc76EKS1_S1_EviT_T0_PT6_S3_lS6_S3_lS4_PT7_S3_li.has_indirect_call, 0
	.section	.AMDGPU.csdata,"",@progbits
; Kernel info:
; codeLenInByte = 1924
; TotalNumSgprs: 38
; NumVgprs: 46
; ScratchSize: 0
; MemoryBound: 1
; FloatMode: 240
; IeeeMode: 1
; LDSByteSize: 8192 bytes/workgroup (compile time only)
; SGPRBlocks: 8
; VGPRBlocks: 11
; NumSGPRsForWavesPerEU: 65
; NumVGPRsForWavesPerEU: 46
; Occupancy: 5
; WaveLimiterHint : 0
; COMPUTE_PGM_RSRC2:SCRATCH_EN: 0
; COMPUTE_PGM_RSRC2:USER_SGPR: 6
; COMPUTE_PGM_RSRC2:TRAP_HANDLER: 0
; COMPUTE_PGM_RSRC2:TGID_X_EN: 1
; COMPUTE_PGM_RSRC2:TGID_Y_EN: 1
; COMPUTE_PGM_RSRC2:TGID_Z_EN: 1
; COMPUTE_PGM_RSRC2:TIDIG_COMP_CNT: 1
	.section	.text._ZL32rocblas_syrkx_herkx_small_kernelIi19rocblas_complex_numIdELi16ELb0ELb0ELc84ELc85EKS1_S1_EviT_T0_PT6_S3_lS6_S3_lS4_PT7_S3_li,"axG",@progbits,_ZL32rocblas_syrkx_herkx_small_kernelIi19rocblas_complex_numIdELi16ELb0ELb0ELc84ELc85EKS1_S1_EviT_T0_PT6_S3_lS6_S3_lS4_PT7_S3_li,comdat
	.globl	_ZL32rocblas_syrkx_herkx_small_kernelIi19rocblas_complex_numIdELi16ELb0ELb0ELc84ELc85EKS1_S1_EviT_T0_PT6_S3_lS6_S3_lS4_PT7_S3_li ; -- Begin function _ZL32rocblas_syrkx_herkx_small_kernelIi19rocblas_complex_numIdELi16ELb0ELb0ELc84ELc85EKS1_S1_EviT_T0_PT6_S3_lS6_S3_lS4_PT7_S3_li
	.p2align	8
	.type	_ZL32rocblas_syrkx_herkx_small_kernelIi19rocblas_complex_numIdELi16ELb0ELb0ELc84ELc85EKS1_S1_EviT_T0_PT6_S3_lS6_S3_lS4_PT7_S3_li,@function
_ZL32rocblas_syrkx_herkx_small_kernelIi19rocblas_complex_numIdELi16ELb0ELb0ELc84ELc85EKS1_S1_EviT_T0_PT6_S3_lS6_S3_lS4_PT7_S3_li: ; @_ZL32rocblas_syrkx_herkx_small_kernelIi19rocblas_complex_numIdELi16ELb0ELb0ELc84ELc85EKS1_S1_EviT_T0_PT6_S3_lS6_S3_lS4_PT7_S3_li
; %bb.0:
	s_load_dwordx2 s[10:11], s[4:5], 0x0
	s_load_dwordx4 s[20:23], s[4:5], 0x8
	s_load_dwordx2 s[24:25], s[4:5], 0x18
	s_load_dwordx8 s[12:19], s[4:5], 0x40
	v_lshl_add_u32 v15, s7, 4, v1
	s_mov_b32 s9, 0
	v_lshl_add_u32 v6, s6, 4, v0
	s_waitcnt lgkmcnt(0)
	s_cmp_lt_i32 s11, 1
	v_cmp_gt_i32_e32 vcc, s10, v15
	s_cbranch_scc1 .LBB290_11
; %bb.1:
	s_load_dword s6, s[4:5], 0x20
	s_load_dwordx4 s[28:31], s[4:5], 0x28
	s_load_dword s2, s[4:5], 0x38
	v_lshlrev_b32_e32 v4, 8, v1
	v_lshlrev_b32_e32 v16, 4, v0
	v_add_u32_e32 v17, v16, v4
	v_add_u32_e32 v18, 0x1000, v4
	s_waitcnt lgkmcnt(0)
	v_mad_i64_i32 v[2:3], s[2:3], s2, v15, 0
	s_mul_i32 s2, s13, s8
	s_mul_hi_u32 s3, s12, s8
	v_lshlrev_b64 v[2:3], 4, v[2:3]
	s_add_i32 s3, s3, s2
	s_mul_i32 s2, s12, s8
	s_lshl_b64 s[2:3], s[2:3], 4
	v_mov_b32_e32 v4, s3
	v_add_co_u32_e64 v2, s[2:3], s2, v2
	v_addc_co_u32_e64 v3, s[2:3], v3, v4, s[2:3]
	v_add_co_u32_e64 v4, s[2:3], v2, v16
	v_addc_co_u32_e64 v5, s[2:3], 0, v3, s[2:3]
	v_mad_i64_i32 v[2:3], s[2:3], s6, v6, 0
	v_mov_b32_e32 v8, s31
	v_add_co_u32_e64 v7, s[2:3], s30, v4
	v_addc_co_u32_e64 v8, s[2:3], v8, v5, s[2:3]
	s_mul_i32 s2, s29, s8
	s_mul_hi_u32 s3, s28, s8
	v_lshlrev_b64 v[2:3], 4, v[2:3]
	s_add_i32 s3, s3, s2
	s_mul_i32 s2, s28, s8
	s_lshl_b64 s[2:3], s[2:3], 4
	v_mov_b32_e32 v4, s3
	v_add_co_u32_e64 v2, s[2:3], s2, v2
	v_addc_co_u32_e64 v3, s[2:3], v3, v4, s[2:3]
	v_lshlrev_b32_e32 v4, 4, v1
	v_add_co_u32_e64 v2, s[2:3], v2, v4
	v_addc_co_u32_e64 v3, s[2:3], 0, v3, s[2:3]
	v_mov_b32_e32 v4, s25
	v_add_co_u32_e64 v9, s[2:3], s24, v2
	v_cmp_gt_i32_e64 s[0:1], s10, v6
	v_addc_co_u32_e64 v10, s[2:3], v4, v3, s[2:3]
	v_mov_b32_e32 v11, 0
	v_mov_b32_e32 v13, 0
	v_add_u32_e32 v19, v18, v16
	v_mov_b32_e32 v12, 0
	s_xor_b64 s[0:1], s[0:1], -1
	s_xor_b64 s[2:3], vcc, -1
	v_mov_b32_e32 v14, 0
	v_mov_b32_e32 v2, 0
	s_branch .LBB290_3
.LBB290_2:                              ;   in Loop: Header=BB290_3 Depth=1
	s_or_b64 exec, exec, s[6:7]
	s_waitcnt lgkmcnt(0)
	s_barrier
	ds_read_b128 v[20:23], v18
	ds_read_b128 v[24:27], v18 offset:16
	ds_read_b128 v[28:31], v18 offset:32
	;; [unrolled: 1-line block ×3, first 2 shown]
	ds_read_b128 v[36:39], v16
	v_add_co_u32_e32 v7, vcc, 0x100, v7
	v_addc_co_u32_e32 v8, vcc, 0, v8, vcc
	s_waitcnt lgkmcnt(0)
	v_mul_f64 v[3:4], v[22:23], v[38:39]
	s_add_i32 s9, s9, 16
	v_add_co_u32_e32 v9, vcc, 0x100, v9
	v_addc_co_u32_e32 v10, vcc, 0, v10, vcc
	s_cmp_ge_i32 s9, s11
	v_fma_f64 v[3:4], v[20:21], v[36:37], -v[3:4]
	v_mul_f64 v[20:21], v[20:21], v[38:39]
	v_add_f64 v[3:4], v[13:14], v[3:4]
	v_fma_f64 v[20:21], v[22:23], v[36:37], v[20:21]
	v_add_f64 v[20:21], v[11:12], v[20:21]
	ds_read_b128 v[11:14], v16 offset:256
	s_waitcnt lgkmcnt(0)
	v_mul_f64 v[22:23], v[26:27], v[13:14]
	v_mul_f64 v[13:14], v[24:25], v[13:14]
	v_fma_f64 v[22:23], v[24:25], v[11:12], -v[22:23]
	v_fma_f64 v[11:12], v[26:27], v[11:12], v[13:14]
	v_add_f64 v[3:4], v[3:4], v[22:23]
	v_add_f64 v[20:21], v[20:21], v[11:12]
	ds_read_b128 v[11:14], v16 offset:512
	s_waitcnt lgkmcnt(0)
	v_mul_f64 v[22:23], v[30:31], v[13:14]
	v_mul_f64 v[13:14], v[28:29], v[13:14]
	v_fma_f64 v[22:23], v[28:29], v[11:12], -v[22:23]
	v_fma_f64 v[11:12], v[30:31], v[11:12], v[13:14]
	v_add_f64 v[3:4], v[3:4], v[22:23]
	;; [unrolled: 8-line block ×3, first 2 shown]
	v_add_f64 v[24:25], v[20:21], v[11:12]
	ds_read_b128 v[11:14], v18 offset:64
	ds_read_b128 v[20:23], v16 offset:1024
	s_waitcnt lgkmcnt(0)
	v_mul_f64 v[26:27], v[13:14], v[22:23]
	v_fma_f64 v[26:27], v[11:12], v[20:21], -v[26:27]
	v_mul_f64 v[11:12], v[11:12], v[22:23]
	v_add_f64 v[3:4], v[3:4], v[26:27]
	v_fma_f64 v[11:12], v[13:14], v[20:21], v[11:12]
	v_add_f64 v[24:25], v[24:25], v[11:12]
	ds_read_b128 v[11:14], v18 offset:80
	ds_read_b128 v[20:23], v16 offset:1280
	s_waitcnt lgkmcnt(0)
	v_mul_f64 v[26:27], v[13:14], v[22:23]
	v_fma_f64 v[26:27], v[11:12], v[20:21], -v[26:27]
	v_mul_f64 v[11:12], v[11:12], v[22:23]
	v_add_f64 v[3:4], v[3:4], v[26:27]
	v_fma_f64 v[11:12], v[13:14], v[20:21], v[11:12]
	;; [unrolled: 9-line block ×11, first 2 shown]
	v_add_f64 v[24:25], v[24:25], v[11:12]
	ds_read_b128 v[11:14], v18 offset:240
	ds_read_b128 v[20:23], v16 offset:3840
	s_waitcnt lgkmcnt(0)
	s_barrier
	v_mul_f64 v[26:27], v[13:14], v[22:23]
	v_fma_f64 v[26:27], v[11:12], v[20:21], -v[26:27]
	v_mul_f64 v[11:12], v[11:12], v[22:23]
	v_fma_f64 v[11:12], v[13:14], v[20:21], v[11:12]
	v_add_f64 v[13:14], v[3:4], v[26:27]
	v_add_f64 v[11:12], v[24:25], v[11:12]
	s_cbranch_scc1 .LBB290_12
.LBB290_3:                              ; =>This Inner Loop Header: Depth=1
	v_add_u32_e32 v3, s9, v1
	v_cmp_le_i32_e32 vcc, s11, v3
	s_or_b64 s[6:7], s[0:1], vcc
	s_and_saveexec_b64 s[12:13], s[6:7]
	s_xor_b64 s[6:7], exec, s[12:13]
; %bb.4:                                ;   in Loop: Header=BB290_3 Depth=1
	v_mov_b32_e32 v3, v2
	v_mov_b32_e32 v4, v2
	;; [unrolled: 1-line block ×3, first 2 shown]
	ds_write_b128 v17, v[2:5]
; %bb.5:                                ;   in Loop: Header=BB290_3 Depth=1
	s_andn2_saveexec_b64 s[6:7], s[6:7]
	s_cbranch_execz .LBB290_7
; %bb.6:                                ;   in Loop: Header=BB290_3 Depth=1
	global_load_dwordx4 v[20:23], v[9:10], off
	s_waitcnt vmcnt(0)
	ds_write2_b64 v17, v[20:21], v[22:23] offset1:1
.LBB290_7:                              ;   in Loop: Header=BB290_3 Depth=1
	s_or_b64 exec, exec, s[6:7]
	v_add_u32_e32 v3, s9, v0
	v_cmp_le_i32_e32 vcc, s11, v3
	s_or_b64 s[6:7], s[2:3], vcc
	s_and_saveexec_b64 s[12:13], s[6:7]
	s_xor_b64 s[6:7], exec, s[12:13]
; %bb.8:                                ;   in Loop: Header=BB290_3 Depth=1
	v_mov_b32_e32 v3, v2
	v_mov_b32_e32 v4, v2
	;; [unrolled: 1-line block ×3, first 2 shown]
	ds_write_b128 v19, v[2:5]
; %bb.9:                                ;   in Loop: Header=BB290_3 Depth=1
	s_andn2_saveexec_b64 s[6:7], s[6:7]
	s_cbranch_execz .LBB290_2
; %bb.10:                               ;   in Loop: Header=BB290_3 Depth=1
	global_load_dwordx4 v[20:23], v[7:8], off
	s_waitcnt vmcnt(0)
	ds_write2_b64 v19, v[20:21], v[22:23] offset1:1
	s_branch .LBB290_2
.LBB290_11:
	v_mov_b32_e32 v11, 0
	v_mov_b32_e32 v13, 0
	;; [unrolled: 1-line block ×4, first 2 shown]
.LBB290_12:
	v_cmp_le_i32_e32 vcc, v6, v15
	v_cmp_gt_i32_e64 s[0:1], s10, v15
	s_and_b64 s[0:1], vcc, s[0:1]
	s_and_saveexec_b64 s[2:3], s[0:1]
	s_cbranch_execz .LBB290_14
; %bb.13:
	s_load_dwordx2 s[0:1], s[4:5], 0x68
	s_load_dword s2, s[4:5], 0x60
	v_ashrrev_i32_e32 v7, 31, v6
	v_mul_f64 v[8:9], s[20:21], v[11:12]
	s_waitcnt lgkmcnt(0)
	s_mul_i32 s1, s1, s8
	s_mul_hi_u32 s3, s0, s8
	s_add_i32 s1, s3, s1
	v_mad_i64_i32 v[0:1], s[2:3], s2, v15, 0
	s_mul_i32 s0, s0, s8
	s_lshl_b64 s[0:1], s[0:1], 4
	s_add_u32 s0, s18, s0
	v_lshlrev_b64 v[0:1], 4, v[0:1]
	s_addc_u32 s1, s19, s1
	v_mov_b32_e32 v2, s1
	v_add_co_u32_e32 v3, vcc, s0, v0
	v_addc_co_u32_e32 v2, vcc, v2, v1, vcc
	v_lshlrev_b64 v[0:1], 4, v[6:7]
	v_mul_f64 v[6:7], s[22:23], v[11:12]
	v_add_co_u32_e32 v4, vcc, v3, v0
	v_addc_co_u32_e32 v5, vcc, v2, v1, vcc
	global_load_dwordx4 v[0:3], v[4:5], off
	v_fma_f64 v[8:9], s[22:23], v[13:14], v[8:9]
	v_fma_f64 v[6:7], s[20:21], v[13:14], -v[6:7]
	s_waitcnt vmcnt(0)
	v_mul_f64 v[10:11], s[16:17], v[2:3]
	v_mul_f64 v[2:3], s[14:15], v[2:3]
	v_fma_f64 v[10:11], s[14:15], v[0:1], -v[10:11]
	v_fma_f64 v[2:3], s[16:17], v[0:1], v[2:3]
	v_add_f64 v[0:1], v[6:7], v[10:11]
	v_add_f64 v[2:3], v[8:9], v[2:3]
	global_store_dwordx4 v[4:5], v[0:3], off
.LBB290_14:
	s_endpgm
	.section	.rodata,"a",@progbits
	.p2align	6, 0x0
	.amdhsa_kernel _ZL32rocblas_syrkx_herkx_small_kernelIi19rocblas_complex_numIdELi16ELb0ELb0ELc84ELc85EKS1_S1_EviT_T0_PT6_S3_lS6_S3_lS4_PT7_S3_li
		.amdhsa_group_segment_fixed_size 8192
		.amdhsa_private_segment_fixed_size 0
		.amdhsa_kernarg_size 116
		.amdhsa_user_sgpr_count 6
		.amdhsa_user_sgpr_private_segment_buffer 1
		.amdhsa_user_sgpr_dispatch_ptr 0
		.amdhsa_user_sgpr_queue_ptr 0
		.amdhsa_user_sgpr_kernarg_segment_ptr 1
		.amdhsa_user_sgpr_dispatch_id 0
		.amdhsa_user_sgpr_flat_scratch_init 0
		.amdhsa_user_sgpr_private_segment_size 0
		.amdhsa_uses_dynamic_stack 0
		.amdhsa_system_sgpr_private_segment_wavefront_offset 0
		.amdhsa_system_sgpr_workgroup_id_x 1
		.amdhsa_system_sgpr_workgroup_id_y 1
		.amdhsa_system_sgpr_workgroup_id_z 1
		.amdhsa_system_sgpr_workgroup_info 0
		.amdhsa_system_vgpr_workitem_id 1
		.amdhsa_next_free_vgpr 40
		.amdhsa_next_free_sgpr 61
		.amdhsa_reserve_vcc 1
		.amdhsa_reserve_flat_scratch 0
		.amdhsa_float_round_mode_32 0
		.amdhsa_float_round_mode_16_64 0
		.amdhsa_float_denorm_mode_32 3
		.amdhsa_float_denorm_mode_16_64 3
		.amdhsa_dx10_clamp 1
		.amdhsa_ieee_mode 1
		.amdhsa_fp16_overflow 0
		.amdhsa_exception_fp_ieee_invalid_op 0
		.amdhsa_exception_fp_denorm_src 0
		.amdhsa_exception_fp_ieee_div_zero 0
		.amdhsa_exception_fp_ieee_overflow 0
		.amdhsa_exception_fp_ieee_underflow 0
		.amdhsa_exception_fp_ieee_inexact 0
		.amdhsa_exception_int_div_zero 0
	.end_amdhsa_kernel
	.section	.text._ZL32rocblas_syrkx_herkx_small_kernelIi19rocblas_complex_numIdELi16ELb0ELb0ELc84ELc85EKS1_S1_EviT_T0_PT6_S3_lS6_S3_lS4_PT7_S3_li,"axG",@progbits,_ZL32rocblas_syrkx_herkx_small_kernelIi19rocblas_complex_numIdELi16ELb0ELb0ELc84ELc85EKS1_S1_EviT_T0_PT6_S3_lS6_S3_lS4_PT7_S3_li,comdat
.Lfunc_end290:
	.size	_ZL32rocblas_syrkx_herkx_small_kernelIi19rocblas_complex_numIdELi16ELb0ELb0ELc84ELc85EKS1_S1_EviT_T0_PT6_S3_lS6_S3_lS4_PT7_S3_li, .Lfunc_end290-_ZL32rocblas_syrkx_herkx_small_kernelIi19rocblas_complex_numIdELi16ELb0ELb0ELc84ELc85EKS1_S1_EviT_T0_PT6_S3_lS6_S3_lS4_PT7_S3_li
                                        ; -- End function
	.set _ZL32rocblas_syrkx_herkx_small_kernelIi19rocblas_complex_numIdELi16ELb0ELb0ELc84ELc85EKS1_S1_EviT_T0_PT6_S3_lS6_S3_lS4_PT7_S3_li.num_vgpr, 40
	.set _ZL32rocblas_syrkx_herkx_small_kernelIi19rocblas_complex_numIdELi16ELb0ELb0ELc84ELc85EKS1_S1_EviT_T0_PT6_S3_lS6_S3_lS4_PT7_S3_li.num_agpr, 0
	.set _ZL32rocblas_syrkx_herkx_small_kernelIi19rocblas_complex_numIdELi16ELb0ELb0ELc84ELc85EKS1_S1_EviT_T0_PT6_S3_lS6_S3_lS4_PT7_S3_li.numbered_sgpr, 32
	.set _ZL32rocblas_syrkx_herkx_small_kernelIi19rocblas_complex_numIdELi16ELb0ELb0ELc84ELc85EKS1_S1_EviT_T0_PT6_S3_lS6_S3_lS4_PT7_S3_li.num_named_barrier, 0
	.set _ZL32rocblas_syrkx_herkx_small_kernelIi19rocblas_complex_numIdELi16ELb0ELb0ELc84ELc85EKS1_S1_EviT_T0_PT6_S3_lS6_S3_lS4_PT7_S3_li.private_seg_size, 0
	.set _ZL32rocblas_syrkx_herkx_small_kernelIi19rocblas_complex_numIdELi16ELb0ELb0ELc84ELc85EKS1_S1_EviT_T0_PT6_S3_lS6_S3_lS4_PT7_S3_li.uses_vcc, 1
	.set _ZL32rocblas_syrkx_herkx_small_kernelIi19rocblas_complex_numIdELi16ELb0ELb0ELc84ELc85EKS1_S1_EviT_T0_PT6_S3_lS6_S3_lS4_PT7_S3_li.uses_flat_scratch, 0
	.set _ZL32rocblas_syrkx_herkx_small_kernelIi19rocblas_complex_numIdELi16ELb0ELb0ELc84ELc85EKS1_S1_EviT_T0_PT6_S3_lS6_S3_lS4_PT7_S3_li.has_dyn_sized_stack, 0
	.set _ZL32rocblas_syrkx_herkx_small_kernelIi19rocblas_complex_numIdELi16ELb0ELb0ELc84ELc85EKS1_S1_EviT_T0_PT6_S3_lS6_S3_lS4_PT7_S3_li.has_recursion, 0
	.set _ZL32rocblas_syrkx_herkx_small_kernelIi19rocblas_complex_numIdELi16ELb0ELb0ELc84ELc85EKS1_S1_EviT_T0_PT6_S3_lS6_S3_lS4_PT7_S3_li.has_indirect_call, 0
	.section	.AMDGPU.csdata,"",@progbits
; Kernel info:
; codeLenInByte = 1872
; TotalNumSgprs: 36
; NumVgprs: 40
; ScratchSize: 0
; MemoryBound: 0
; FloatMode: 240
; IeeeMode: 1
; LDSByteSize: 8192 bytes/workgroup (compile time only)
; SGPRBlocks: 8
; VGPRBlocks: 9
; NumSGPRsForWavesPerEU: 65
; NumVGPRsForWavesPerEU: 40
; Occupancy: 6
; WaveLimiterHint : 0
; COMPUTE_PGM_RSRC2:SCRATCH_EN: 0
; COMPUTE_PGM_RSRC2:USER_SGPR: 6
; COMPUTE_PGM_RSRC2:TRAP_HANDLER: 0
; COMPUTE_PGM_RSRC2:TGID_X_EN: 1
; COMPUTE_PGM_RSRC2:TGID_Y_EN: 1
; COMPUTE_PGM_RSRC2:TGID_Z_EN: 1
; COMPUTE_PGM_RSRC2:TIDIG_COMP_CNT: 1
	.section	.text._ZL32rocblas_syrkx_herkx_small_kernelIi19rocblas_complex_numIdELi16ELb0ELb0ELc67ELc85EKS1_S1_EviT_T0_PT6_S3_lS6_S3_lS4_PT7_S3_li,"axG",@progbits,_ZL32rocblas_syrkx_herkx_small_kernelIi19rocblas_complex_numIdELi16ELb0ELb0ELc67ELc85EKS1_S1_EviT_T0_PT6_S3_lS6_S3_lS4_PT7_S3_li,comdat
	.globl	_ZL32rocblas_syrkx_herkx_small_kernelIi19rocblas_complex_numIdELi16ELb0ELb0ELc67ELc85EKS1_S1_EviT_T0_PT6_S3_lS6_S3_lS4_PT7_S3_li ; -- Begin function _ZL32rocblas_syrkx_herkx_small_kernelIi19rocblas_complex_numIdELi16ELb0ELb0ELc67ELc85EKS1_S1_EviT_T0_PT6_S3_lS6_S3_lS4_PT7_S3_li
	.p2align	8
	.type	_ZL32rocblas_syrkx_herkx_small_kernelIi19rocblas_complex_numIdELi16ELb0ELb0ELc67ELc85EKS1_S1_EviT_T0_PT6_S3_lS6_S3_lS4_PT7_S3_li,@function
_ZL32rocblas_syrkx_herkx_small_kernelIi19rocblas_complex_numIdELi16ELb0ELb0ELc67ELc85EKS1_S1_EviT_T0_PT6_S3_lS6_S3_lS4_PT7_S3_li: ; @_ZL32rocblas_syrkx_herkx_small_kernelIi19rocblas_complex_numIdELi16ELb0ELb0ELc67ELc85EKS1_S1_EviT_T0_PT6_S3_lS6_S3_lS4_PT7_S3_li
; %bb.0:
	s_load_dwordx2 s[10:11], s[4:5], 0x0
	s_load_dwordx4 s[20:23], s[4:5], 0x8
	s_load_dwordx2 s[24:25], s[4:5], 0x18
	s_load_dwordx8 s[12:19], s[4:5], 0x40
	v_lshl_add_u32 v16, s7, 4, v1
	s_mov_b32 s9, 0
	v_lshl_add_u32 v7, s6, 4, v0
	s_waitcnt lgkmcnt(0)
	s_cmp_lt_i32 s11, 1
	v_cmp_gt_i32_e32 vcc, s10, v16
	s_cbranch_scc1 .LBB291_9
; %bb.1:
	s_load_dword s6, s[4:5], 0x20
	s_load_dwordx4 s[28:31], s[4:5], 0x28
	s_load_dword s2, s[4:5], 0x38
	v_lshlrev_b32_e32 v4, 8, v1
	v_lshlrev_b32_e32 v17, 4, v0
	v_add_u32_e32 v18, v17, v4
	v_add_u32_e32 v19, 0x1000, v4
	s_waitcnt lgkmcnt(0)
	v_mad_i64_i32 v[2:3], s[2:3], s2, v16, 0
	s_mul_i32 s2, s13, s8
	s_mul_hi_u32 s3, s12, s8
	v_lshlrev_b64 v[2:3], 4, v[2:3]
	s_add_i32 s3, s3, s2
	s_mul_i32 s2, s12, s8
	s_lshl_b64 s[2:3], s[2:3], 4
	v_mov_b32_e32 v4, s3
	v_add_co_u32_e64 v2, s[2:3], s2, v2
	v_addc_co_u32_e64 v3, s[2:3], v3, v4, s[2:3]
	v_add_co_u32_e64 v4, s[2:3], v2, v17
	v_addc_co_u32_e64 v5, s[2:3], 0, v3, s[2:3]
	v_mad_i64_i32 v[2:3], s[2:3], s6, v7, 0
	v_mov_b32_e32 v6, s31
	v_add_co_u32_e64 v8, s[2:3], s30, v4
	v_addc_co_u32_e64 v9, s[2:3], v6, v5, s[2:3]
	s_mul_i32 s2, s29, s8
	s_mul_hi_u32 s3, s28, s8
	v_lshlrev_b64 v[2:3], 4, v[2:3]
	s_add_i32 s3, s3, s2
	s_mul_i32 s2, s28, s8
	s_lshl_b64 s[2:3], s[2:3], 4
	v_mov_b32_e32 v4, s3
	v_add_co_u32_e64 v2, s[2:3], s2, v2
	v_addc_co_u32_e64 v3, s[2:3], v3, v4, s[2:3]
	v_lshlrev_b32_e32 v4, 4, v1
	v_add_co_u32_e64 v2, s[2:3], v2, v4
	v_addc_co_u32_e64 v3, s[2:3], 0, v3, s[2:3]
	v_mov_b32_e32 v4, s25
	v_add_co_u32_e64 v2, s[2:3], s24, v2
	v_addc_co_u32_e64 v3, s[2:3], v4, v3, s[2:3]
	v_add_co_u32_e64 v10, s[2:3], 8, v2
	v_addc_co_u32_e64 v11, s[2:3], 0, v3, s[2:3]
	v_mov_b32_e32 v12, 0
	v_mov_b32_e32 v14, 0
	v_cmp_gt_i32_e64 s[0:1], s10, v7
	v_add_u32_e32 v20, v19, v17
	v_mov_b32_e32 v13, 0
	s_xor_b64 s[2:3], vcc, -1
	v_mov_b32_e32 v15, 0
	v_mov_b32_e32 v2, 0
	s_branch .LBB291_3
.LBB291_2:                              ;   in Loop: Header=BB291_3 Depth=1
	s_or_b64 exec, exec, s[6:7]
	s_waitcnt lgkmcnt(0)
	s_barrier
	ds_read_b128 v[3:6], v17
	ds_read_b128 v[21:24], v19
	ds_read_b128 v[25:28], v19 offset:16
	ds_read_b128 v[29:32], v17 offset:256
	;; [unrolled: 1-line block ×4, first 2 shown]
	s_waitcnt lgkmcnt(4)
	v_mul_f64 v[41:42], v[23:24], v[5:6]
	v_mul_f64 v[5:6], v[21:22], v[5:6]
	s_waitcnt lgkmcnt(2)
	v_mul_f64 v[43:44], v[27:28], v[31:32]
	v_mul_f64 v[31:32], v[25:26], v[31:32]
	s_waitcnt lgkmcnt(0)
	v_mul_f64 v[47:48], v[35:36], v[39:40]
	v_add_co_u32_e32 v8, vcc, 0x100, v8
	v_addc_co_u32_e32 v9, vcc, 0, v9, vcc
	v_fma_f64 v[41:42], v[21:22], v[3:4], -v[41:42]
	v_fma_f64 v[45:46], v[23:24], v[3:4], v[5:6]
	v_fma_f64 v[25:26], v[25:26], v[29:30], -v[43:44]
	v_fma_f64 v[27:28], v[27:28], v[29:30], v[31:32]
	v_mul_f64 v[29:30], v[33:34], v[39:40]
	ds_read_b128 v[3:6], v19 offset:48
	ds_read_b128 v[21:24], v17 offset:768
	v_fma_f64 v[33:34], v[33:34], v[37:38], -v[47:48]
	s_add_i32 s9, s9, 16
	v_add_f64 v[31:32], v[14:15], v[41:42]
	v_add_f64 v[39:40], v[12:13], v[45:46]
	s_waitcnt lgkmcnt(0)
	v_mul_f64 v[41:42], v[5:6], v[23:24]
	v_mul_f64 v[43:44], v[3:4], v[23:24]
	v_fma_f64 v[35:36], v[35:36], v[37:38], v[29:30]
	ds_read_b128 v[12:15], v19 offset:64
	v_add_co_u32_e32 v10, vcc, 0x100, v10
	v_add_f64 v[31:32], v[31:32], v[25:26]
	v_add_f64 v[37:38], v[39:40], v[27:28]
	ds_read_b128 v[23:26], v17 offset:1024
	v_fma_f64 v[39:40], v[3:4], v[21:22], -v[41:42]
	v_fma_f64 v[21:22], v[5:6], v[21:22], v[43:44]
	ds_read_b128 v[3:6], v19 offset:80
	ds_read_b128 v[27:30], v17 offset:1280
	s_cmp_ge_i32 s9, s11
	s_waitcnt lgkmcnt(2)
	v_mul_f64 v[41:42], v[14:15], v[25:26]
	v_mul_f64 v[25:26], v[12:13], v[25:26]
	v_add_f64 v[43:44], v[31:32], v[33:34]
	v_add_f64 v[35:36], v[37:38], v[35:36]
	s_waitcnt lgkmcnt(0)
	v_mul_f64 v[45:46], v[5:6], v[29:30]
	v_mul_f64 v[29:30], v[3:4], v[29:30]
	ds_read_b128 v[31:34], v19 offset:96
	v_addc_co_u32_e32 v11, vcc, 0, v11, vcc
	v_fma_f64 v[41:42], v[12:13], v[23:24], -v[41:42]
	v_fma_f64 v[25:26], v[14:15], v[23:24], v[25:26]
	v_add_f64 v[39:40], v[43:44], v[39:40]
	v_add_f64 v[43:44], v[35:36], v[21:22]
	ds_read_b128 v[12:15], v17 offset:1536
	v_fma_f64 v[45:46], v[3:4], v[27:28], -v[45:46]
	v_fma_f64 v[27:28], v[5:6], v[27:28], v[29:30]
	ds_read_b128 v[21:24], v19 offset:112
	ds_read_b128 v[35:38], v17 offset:1792
	;; [unrolled: 1-line block ×3, first 2 shown]
	s_waitcnt lgkmcnt(3)
	v_mul_f64 v[47:48], v[33:34], v[14:15]
	v_mul_f64 v[14:15], v[31:32], v[14:15]
	v_add_f64 v[29:30], v[39:40], v[41:42]
	v_add_f64 v[25:26], v[43:44], v[25:26]
	s_waitcnt lgkmcnt(1)
	v_mul_f64 v[39:40], v[23:24], v[37:38]
	v_mul_f64 v[37:38], v[21:22], v[37:38]
	v_fma_f64 v[31:32], v[31:32], v[12:13], -v[47:48]
	v_fma_f64 v[33:34], v[33:34], v[12:13], v[14:15]
	v_add_f64 v[29:30], v[29:30], v[45:46]
	v_add_f64 v[41:42], v[25:26], v[27:28]
	ds_read_b128 v[12:15], v17 offset:2048
	v_fma_f64 v[39:40], v[21:22], v[35:36], -v[39:40]
	v_fma_f64 v[35:36], v[23:24], v[35:36], v[37:38]
	ds_read_b128 v[21:24], v19 offset:144
	ds_read_b128 v[25:28], v17 offset:2304
	s_waitcnt lgkmcnt(2)
	v_mul_f64 v[37:38], v[5:6], v[14:15]
	v_mul_f64 v[14:15], v[3:4], v[14:15]
	v_add_f64 v[43:44], v[29:30], v[31:32]
	v_add_f64 v[33:34], v[41:42], v[33:34]
	s_waitcnt lgkmcnt(0)
	v_mul_f64 v[41:42], v[23:24], v[27:28]
	v_mul_f64 v[27:28], v[21:22], v[27:28]
	ds_read_b128 v[29:32], v19 offset:160
	v_fma_f64 v[37:38], v[3:4], v[12:13], -v[37:38]
	v_fma_f64 v[45:46], v[5:6], v[12:13], v[14:15]
	v_add_f64 v[39:40], v[43:44], v[39:40]
	v_add_f64 v[43:44], v[33:34], v[35:36]
	ds_read_b128 v[3:6], v17 offset:2560
	v_fma_f64 v[41:42], v[21:22], v[25:26], -v[41:42]
	v_fma_f64 v[25:26], v[23:24], v[25:26], v[27:28]
	ds_read_b128 v[12:15], v19 offset:176
	ds_read_b128 v[33:36], v17 offset:2816
	;; [unrolled: 1-line block ×3, first 2 shown]
	s_waitcnt lgkmcnt(3)
	v_mul_f64 v[47:48], v[31:32], v[5:6]
	v_mul_f64 v[5:6], v[29:30], v[5:6]
	v_add_f64 v[27:28], v[39:40], v[37:38]
	v_add_f64 v[37:38], v[43:44], v[45:46]
	s_waitcnt lgkmcnt(1)
	v_mul_f64 v[39:40], v[14:15], v[35:36]
	v_mul_f64 v[35:36], v[12:13], v[35:36]
	v_fma_f64 v[29:30], v[29:30], v[3:4], -v[47:48]
	v_fma_f64 v[31:32], v[31:32], v[3:4], v[5:6]
	v_add_f64 v[41:42], v[27:28], v[41:42]
	v_add_f64 v[37:38], v[37:38], v[25:26]
	ds_read_b128 v[3:6], v17 offset:3072
	v_fma_f64 v[39:40], v[12:13], v[33:34], -v[39:40]
	v_fma_f64 v[33:34], v[14:15], v[33:34], v[35:36]
	ds_read_b128 v[12:15], v19 offset:208
	ds_read_b128 v[25:28], v17 offset:3328
	s_waitcnt lgkmcnt(2)
	v_mul_f64 v[35:36], v[23:24], v[5:6]
	v_mul_f64 v[5:6], v[21:22], v[5:6]
	v_add_f64 v[41:42], v[41:42], v[29:30]
	v_add_f64 v[37:38], v[37:38], v[31:32]
	s_waitcnt lgkmcnt(0)
	v_mul_f64 v[43:44], v[14:15], v[27:28]
	v_mul_f64 v[27:28], v[12:13], v[27:28]
	ds_read_b128 v[29:32], v19 offset:224
	v_fma_f64 v[45:46], v[21:22], v[3:4], -v[35:36]
	v_fma_f64 v[47:48], v[23:24], v[3:4], v[5:6]
	v_add_f64 v[39:40], v[41:42], v[39:40]
	v_add_f64 v[37:38], v[37:38], v[33:34]
	ds_read_b128 v[3:6], v17 offset:3584
	v_fma_f64 v[12:13], v[12:13], v[25:26], -v[43:44]
	v_fma_f64 v[14:15], v[14:15], v[25:26], v[27:28]
	ds_read_b128 v[21:24], v19 offset:240
	ds_read_b128 v[33:36], v17 offset:3840
	s_waitcnt lgkmcnt(0)
	v_mul_f64 v[41:42], v[31:32], v[5:6]
	v_mul_f64 v[5:6], v[29:30], v[5:6]
	v_add_f64 v[25:26], v[39:40], v[45:46]
	v_add_f64 v[27:28], v[37:38], v[47:48]
	v_mul_f64 v[37:38], v[23:24], v[35:36]
	v_mul_f64 v[35:36], v[21:22], v[35:36]
	s_barrier
	v_fma_f64 v[29:30], v[29:30], v[3:4], -v[41:42]
	v_fma_f64 v[3:4], v[31:32], v[3:4], v[5:6]
	v_add_f64 v[5:6], v[25:26], v[12:13]
	v_add_f64 v[12:13], v[27:28], v[14:15]
	v_fma_f64 v[14:15], v[21:22], v[33:34], -v[37:38]
	v_fma_f64 v[21:22], v[23:24], v[33:34], v[35:36]
	v_add_f64 v[5:6], v[5:6], v[29:30]
	v_add_f64 v[3:4], v[12:13], v[3:4]
	;; [unrolled: 1-line block ×4, first 2 shown]
	s_cbranch_scc1 .LBB291_10
.LBB291_3:                              ; =>This Inner Loop Header: Depth=1
	v_add_u32_e32 v3, s9, v1
	v_cmp_gt_i32_e32 vcc, s11, v3
	v_mov_b32_e32 v3, 0
	v_mov_b32_e32 v5, 0
	v_mov_b32_e32 v4, 0
	v_mov_b32_e32 v6, 0
	s_and_b64 s[12:13], s[0:1], vcc
	s_and_saveexec_b64 s[6:7], s[12:13]
	s_cbranch_execz .LBB291_5
; %bb.4:                                ;   in Loop: Header=BB291_3 Depth=1
	global_load_dwordx4 v[3:6], v[10:11], off offset:-8
.LBB291_5:                              ;   in Loop: Header=BB291_3 Depth=1
	s_or_b64 exec, exec, s[6:7]
	s_waitcnt vmcnt(0)
	ds_write_b128 v18, v[3:6]
	v_add_u32_e32 v3, s9, v0
	v_cmp_le_i32_e32 vcc, s11, v3
	s_or_b64 s[6:7], s[2:3], vcc
	s_and_saveexec_b64 s[12:13], s[6:7]
	s_xor_b64 s[6:7], exec, s[12:13]
; %bb.6:                                ;   in Loop: Header=BB291_3 Depth=1
	v_mov_b32_e32 v3, v2
	v_mov_b32_e32 v4, v2
	;; [unrolled: 1-line block ×3, first 2 shown]
	ds_write_b128 v20, v[2:5]
; %bb.7:                                ;   in Loop: Header=BB291_3 Depth=1
	s_andn2_saveexec_b64 s[6:7], s[6:7]
	s_cbranch_execz .LBB291_2
; %bb.8:                                ;   in Loop: Header=BB291_3 Depth=1
	global_load_dwordx4 v[3:6], v[8:9], off
	s_waitcnt vmcnt(0)
	ds_write2_b64 v20, v[3:4], v[5:6] offset1:1
	s_branch .LBB291_2
.LBB291_9:
	v_mov_b32_e32 v12, 0
	v_mov_b32_e32 v14, 0
	;; [unrolled: 1-line block ×4, first 2 shown]
.LBB291_10:
	v_cmp_le_i32_e32 vcc, v7, v16
	v_cmp_gt_i32_e64 s[0:1], s10, v16
	s_and_b64 s[0:1], vcc, s[0:1]
	s_and_saveexec_b64 s[2:3], s[0:1]
	s_cbranch_execz .LBB291_12
; %bb.11:
	s_load_dwordx2 s[0:1], s[4:5], 0x68
	s_load_dword s2, s[4:5], 0x60
	v_ashrrev_i32_e32 v8, 31, v7
	s_waitcnt lgkmcnt(0)
	s_mul_i32 s1, s1, s8
	s_mul_hi_u32 s3, s0, s8
	s_add_i32 s1, s3, s1
	v_mad_i64_i32 v[0:1], s[2:3], s2, v16, 0
	s_mul_i32 s0, s0, s8
	s_lshl_b64 s[0:1], s[0:1], 4
	s_add_u32 s0, s18, s0
	v_lshlrev_b64 v[0:1], 4, v[0:1]
	s_addc_u32 s1, s19, s1
	v_mov_b32_e32 v2, s1
	v_add_co_u32_e32 v3, vcc, s0, v0
	v_addc_co_u32_e32 v2, vcc, v2, v1, vcc
	v_lshlrev_b64 v[0:1], 4, v[7:8]
	v_mul_f64 v[6:7], s[22:23], v[12:13]
	v_add_co_u32_e32 v4, vcc, v3, v0
	v_addc_co_u32_e32 v5, vcc, v2, v1, vcc
	global_load_dwordx4 v[0:3], v[4:5], off
	v_mul_f64 v[8:9], s[20:21], v[12:13]
	v_fma_f64 v[6:7], s[20:21], v[14:15], -v[6:7]
	v_fma_f64 v[8:9], s[22:23], v[14:15], v[8:9]
	s_waitcnt vmcnt(0)
	v_mul_f64 v[10:11], s[16:17], v[2:3]
	v_mul_f64 v[2:3], s[14:15], v[2:3]
	v_fma_f64 v[10:11], s[14:15], v[0:1], -v[10:11]
	v_fma_f64 v[2:3], s[16:17], v[0:1], v[2:3]
	v_add_f64 v[0:1], v[6:7], v[10:11]
	v_add_f64 v[2:3], v[8:9], v[2:3]
	global_store_dwordx4 v[4:5], v[0:3], off
.LBB291_12:
	s_endpgm
	.section	.rodata,"a",@progbits
	.p2align	6, 0x0
	.amdhsa_kernel _ZL32rocblas_syrkx_herkx_small_kernelIi19rocblas_complex_numIdELi16ELb0ELb0ELc67ELc85EKS1_S1_EviT_T0_PT6_S3_lS6_S3_lS4_PT7_S3_li
		.amdhsa_group_segment_fixed_size 8192
		.amdhsa_private_segment_fixed_size 0
		.amdhsa_kernarg_size 116
		.amdhsa_user_sgpr_count 6
		.amdhsa_user_sgpr_private_segment_buffer 1
		.amdhsa_user_sgpr_dispatch_ptr 0
		.amdhsa_user_sgpr_queue_ptr 0
		.amdhsa_user_sgpr_kernarg_segment_ptr 1
		.amdhsa_user_sgpr_dispatch_id 0
		.amdhsa_user_sgpr_flat_scratch_init 0
		.amdhsa_user_sgpr_private_segment_size 0
		.amdhsa_uses_dynamic_stack 0
		.amdhsa_system_sgpr_private_segment_wavefront_offset 0
		.amdhsa_system_sgpr_workgroup_id_x 1
		.amdhsa_system_sgpr_workgroup_id_y 1
		.amdhsa_system_sgpr_workgroup_id_z 1
		.amdhsa_system_sgpr_workgroup_info 0
		.amdhsa_system_vgpr_workitem_id 1
		.amdhsa_next_free_vgpr 49
		.amdhsa_next_free_sgpr 61
		.amdhsa_reserve_vcc 1
		.amdhsa_reserve_flat_scratch 0
		.amdhsa_float_round_mode_32 0
		.amdhsa_float_round_mode_16_64 0
		.amdhsa_float_denorm_mode_32 3
		.amdhsa_float_denorm_mode_16_64 3
		.amdhsa_dx10_clamp 1
		.amdhsa_ieee_mode 1
		.amdhsa_fp16_overflow 0
		.amdhsa_exception_fp_ieee_invalid_op 0
		.amdhsa_exception_fp_denorm_src 0
		.amdhsa_exception_fp_ieee_div_zero 0
		.amdhsa_exception_fp_ieee_overflow 0
		.amdhsa_exception_fp_ieee_underflow 0
		.amdhsa_exception_fp_ieee_inexact 0
		.amdhsa_exception_int_div_zero 0
	.end_amdhsa_kernel
	.section	.text._ZL32rocblas_syrkx_herkx_small_kernelIi19rocblas_complex_numIdELi16ELb0ELb0ELc67ELc85EKS1_S1_EviT_T0_PT6_S3_lS6_S3_lS4_PT7_S3_li,"axG",@progbits,_ZL32rocblas_syrkx_herkx_small_kernelIi19rocblas_complex_numIdELi16ELb0ELb0ELc67ELc85EKS1_S1_EviT_T0_PT6_S3_lS6_S3_lS4_PT7_S3_li,comdat
.Lfunc_end291:
	.size	_ZL32rocblas_syrkx_herkx_small_kernelIi19rocblas_complex_numIdELi16ELb0ELb0ELc67ELc85EKS1_S1_EviT_T0_PT6_S3_lS6_S3_lS4_PT7_S3_li, .Lfunc_end291-_ZL32rocblas_syrkx_herkx_small_kernelIi19rocblas_complex_numIdELi16ELb0ELb0ELc67ELc85EKS1_S1_EviT_T0_PT6_S3_lS6_S3_lS4_PT7_S3_li
                                        ; -- End function
	.set _ZL32rocblas_syrkx_herkx_small_kernelIi19rocblas_complex_numIdELi16ELb0ELb0ELc67ELc85EKS1_S1_EviT_T0_PT6_S3_lS6_S3_lS4_PT7_S3_li.num_vgpr, 49
	.set _ZL32rocblas_syrkx_herkx_small_kernelIi19rocblas_complex_numIdELi16ELb0ELb0ELc67ELc85EKS1_S1_EviT_T0_PT6_S3_lS6_S3_lS4_PT7_S3_li.num_agpr, 0
	.set _ZL32rocblas_syrkx_herkx_small_kernelIi19rocblas_complex_numIdELi16ELb0ELb0ELc67ELc85EKS1_S1_EviT_T0_PT6_S3_lS6_S3_lS4_PT7_S3_li.numbered_sgpr, 32
	.set _ZL32rocblas_syrkx_herkx_small_kernelIi19rocblas_complex_numIdELi16ELb0ELb0ELc67ELc85EKS1_S1_EviT_T0_PT6_S3_lS6_S3_lS4_PT7_S3_li.num_named_barrier, 0
	.set _ZL32rocblas_syrkx_herkx_small_kernelIi19rocblas_complex_numIdELi16ELb0ELb0ELc67ELc85EKS1_S1_EviT_T0_PT6_S3_lS6_S3_lS4_PT7_S3_li.private_seg_size, 0
	.set _ZL32rocblas_syrkx_herkx_small_kernelIi19rocblas_complex_numIdELi16ELb0ELb0ELc67ELc85EKS1_S1_EviT_T0_PT6_S3_lS6_S3_lS4_PT7_S3_li.uses_vcc, 1
	.set _ZL32rocblas_syrkx_herkx_small_kernelIi19rocblas_complex_numIdELi16ELb0ELb0ELc67ELc85EKS1_S1_EviT_T0_PT6_S3_lS6_S3_lS4_PT7_S3_li.uses_flat_scratch, 0
	.set _ZL32rocblas_syrkx_herkx_small_kernelIi19rocblas_complex_numIdELi16ELb0ELb0ELc67ELc85EKS1_S1_EviT_T0_PT6_S3_lS6_S3_lS4_PT7_S3_li.has_dyn_sized_stack, 0
	.set _ZL32rocblas_syrkx_herkx_small_kernelIi19rocblas_complex_numIdELi16ELb0ELb0ELc67ELc85EKS1_S1_EviT_T0_PT6_S3_lS6_S3_lS4_PT7_S3_li.has_recursion, 0
	.set _ZL32rocblas_syrkx_herkx_small_kernelIi19rocblas_complex_numIdELi16ELb0ELb0ELc67ELc85EKS1_S1_EviT_T0_PT6_S3_lS6_S3_lS4_PT7_S3_li.has_indirect_call, 0
	.section	.AMDGPU.csdata,"",@progbits
; Kernel info:
; codeLenInByte = 1868
; TotalNumSgprs: 36
; NumVgprs: 49
; ScratchSize: 0
; MemoryBound: 1
; FloatMode: 240
; IeeeMode: 1
; LDSByteSize: 8192 bytes/workgroup (compile time only)
; SGPRBlocks: 8
; VGPRBlocks: 12
; NumSGPRsForWavesPerEU: 65
; NumVGPRsForWavesPerEU: 49
; Occupancy: 4
; WaveLimiterHint : 0
; COMPUTE_PGM_RSRC2:SCRATCH_EN: 0
; COMPUTE_PGM_RSRC2:USER_SGPR: 6
; COMPUTE_PGM_RSRC2:TRAP_HANDLER: 0
; COMPUTE_PGM_RSRC2:TGID_X_EN: 1
; COMPUTE_PGM_RSRC2:TGID_Y_EN: 1
; COMPUTE_PGM_RSRC2:TGID_Z_EN: 1
; COMPUTE_PGM_RSRC2:TIDIG_COMP_CNT: 1
	.section	.text._ZL32rocblas_syrkx_herkx_small_kernelIi19rocblas_complex_numIdELi16ELb0ELb0ELc78ELc85EKS1_S1_EviT_T0_PT6_S3_lS6_S3_lS4_PT7_S3_li,"axG",@progbits,_ZL32rocblas_syrkx_herkx_small_kernelIi19rocblas_complex_numIdELi16ELb0ELb0ELc78ELc85EKS1_S1_EviT_T0_PT6_S3_lS6_S3_lS4_PT7_S3_li,comdat
	.globl	_ZL32rocblas_syrkx_herkx_small_kernelIi19rocblas_complex_numIdELi16ELb0ELb0ELc78ELc85EKS1_S1_EviT_T0_PT6_S3_lS6_S3_lS4_PT7_S3_li ; -- Begin function _ZL32rocblas_syrkx_herkx_small_kernelIi19rocblas_complex_numIdELi16ELb0ELb0ELc78ELc85EKS1_S1_EviT_T0_PT6_S3_lS6_S3_lS4_PT7_S3_li
	.p2align	8
	.type	_ZL32rocblas_syrkx_herkx_small_kernelIi19rocblas_complex_numIdELi16ELb0ELb0ELc78ELc85EKS1_S1_EviT_T0_PT6_S3_lS6_S3_lS4_PT7_S3_li,@function
_ZL32rocblas_syrkx_herkx_small_kernelIi19rocblas_complex_numIdELi16ELb0ELb0ELc78ELc85EKS1_S1_EviT_T0_PT6_S3_lS6_S3_lS4_PT7_S3_li: ; @_ZL32rocblas_syrkx_herkx_small_kernelIi19rocblas_complex_numIdELi16ELb0ELb0ELc78ELc85EKS1_S1_EviT_T0_PT6_S3_lS6_S3_lS4_PT7_S3_li
; %bb.0:
	s_load_dwordx2 s[10:11], s[4:5], 0x0
	s_load_dwordx4 s[20:23], s[4:5], 0x8
	s_load_dwordx2 s[28:29], s[4:5], 0x18
	s_load_dwordx8 s[12:19], s[4:5], 0x40
	v_lshl_add_u32 v7, s6, 4, v0
	v_lshl_add_u32 v9, s7, 4, v1
	s_mov_b32 s9, 0
	s_waitcnt lgkmcnt(0)
	s_cmp_lt_i32 s11, 1
	v_ashrrev_i32_e32 v8, 31, v7
	v_cmp_gt_i32_e32 vcc, s10, v9
	s_cbranch_scc1 .LBB292_9
; %bb.1:
	s_load_dword s30, s[4:5], 0x20
	s_load_dword s6, s[4:5], 0x38
	s_load_dwordx4 s[24:27], s[4:5], 0x28
	v_lshlrev_b32_e32 v2, 8, v1
	v_lshlrev_b32_e32 v18, 4, v0
	v_add_u32_e32 v19, v18, v2
	v_add_u32_e32 v20, 0x1000, v2
	s_waitcnt lgkmcnt(0)
	v_mad_i64_i32 v[2:3], s[2:3], s6, v0, 0
	s_mul_i32 s13, s13, s8
	s_mul_hi_u32 s33, s12, s8
	s_add_i32 s3, s33, s13
	s_mul_i32 s2, s12, s8
	v_lshlrev_b64 v[2:3], 4, v[2:3]
	s_lshl_b64 s[2:3], s[2:3], 4
	v_ashrrev_i32_e32 v10, 31, v9
	v_mov_b32_e32 v4, s3
	v_add_co_u32_e64 v5, s[2:3], s2, v2
	v_addc_co_u32_e64 v4, s[2:3], v4, v3, s[2:3]
	v_lshlrev_b64 v[2:3], 4, v[9:10]
	s_mul_i32 s12, s25, s8
	v_add_co_u32_e64 v2, s[2:3], v5, v2
	v_addc_co_u32_e64 v3, s[2:3], v4, v3, s[2:3]
	v_mov_b32_e32 v4, s27
	v_add_co_u32_e64 v2, s[2:3], s26, v2
	v_addc_co_u32_e64 v3, s[2:3], v4, v3, s[2:3]
	v_add_co_u32_e64 v10, s[2:3], 8, v2
	v_addc_co_u32_e64 v11, s[2:3], 0, v3, s[2:3]
	v_mad_i64_i32 v[2:3], s[2:3], s30, v1, 0
	s_mul_hi_u32 s13, s24, s8
	s_add_i32 s3, s13, s12
	s_mul_i32 s2, s24, s8
	v_lshlrev_b64 v[2:3], 4, v[2:3]
	s_lshl_b64 s[2:3], s[2:3], 4
	v_mov_b32_e32 v4, s3
	v_add_co_u32_e64 v5, s[2:3], s2, v2
	v_addc_co_u32_e64 v4, s[2:3], v4, v3, s[2:3]
	v_lshlrev_b64 v[2:3], 4, v[7:8]
	s_ashr_i32 s31, s30, 31
	v_add_co_u32_e64 v2, s[2:3], v5, v2
	v_addc_co_u32_e64 v3, s[2:3], v4, v3, s[2:3]
	v_mov_b32_e32 v4, s29
	v_add_co_u32_e64 v12, s[2:3], s28, v2
	s_ashr_i32 s7, s6, 31
	v_addc_co_u32_e64 v13, s[2:3], v4, v3, s[2:3]
	v_cmp_gt_i32_e64 s[0:1], s10, v7
	s_lshl_b64 s[6:7], s[6:7], 8
	s_lshl_b64 s[2:3], s[30:31], 8
	v_mov_b32_e32 v14, 0
	v_mov_b32_e32 v16, 0
	v_add_u32_e32 v21, v20, v18
	v_mov_b32_e32 v15, 0
	s_xor_b64 s[12:13], s[0:1], -1
	v_mov_b32_e32 v22, s7
	v_mov_b32_e32 v23, s3
	;; [unrolled: 1-line block ×4, first 2 shown]
	s_branch .LBB292_3
.LBB292_2:                              ;   in Loop: Header=BB292_3 Depth=1
	s_or_b64 exec, exec, s[0:1]
	s_waitcnt vmcnt(0)
	ds_write_b128 v21, v[3:6]
	s_waitcnt lgkmcnt(0)
	s_barrier
	ds_read_b128 v[3:6], v18
	ds_read_b128 v[24:27], v20
	ds_read_b128 v[28:31], v20 offset:16
	ds_read_b128 v[32:35], v18 offset:256
	v_add_co_u32_e64 v10, s[0:1], s6, v10
	s_waitcnt lgkmcnt(2)
	v_mul_f64 v[36:37], v[26:27], v[5:6]
	v_mul_f64 v[5:6], v[24:25], v[5:6]
	s_waitcnt lgkmcnt(0)
	v_mul_f64 v[38:39], v[30:31], v[34:35]
	v_mul_f64 v[40:41], v[28:29], v[34:35]
	v_addc_co_u32_e64 v11, s[0:1], v11, v22, s[0:1]
	s_add_i32 s9, s9, 16
	v_add_co_u32_e64 v12, s[0:1], s2, v12
	v_fma_f64 v[42:43], v[24:25], v[3:4], -v[36:37]
	v_fma_f64 v[44:45], v[26:27], v[3:4], v[5:6]
	ds_read_b128 v[3:6], v18 offset:512
	ds_read_b128 v[24:27], v20 offset:32
	;; [unrolled: 1-line block ×3, first 2 shown]
	v_fma_f64 v[38:39], v[28:29], v[32:33], -v[38:39]
	v_fma_f64 v[32:33], v[30:31], v[32:33], v[40:41]
	ds_read_b128 v[28:31], v18 offset:768
	s_waitcnt lgkmcnt(2)
	v_mul_f64 v[40:41], v[26:27], v[5:6]
	v_mul_f64 v[5:6], v[24:25], v[5:6]
	v_add_f64 v[16:17], v[16:17], v[42:43]
	v_add_f64 v[14:15], v[14:15], v[44:45]
	s_waitcnt lgkmcnt(0)
	v_mul_f64 v[42:43], v[36:37], v[30:31]
	v_mul_f64 v[30:31], v[34:35], v[30:31]
	s_cmp_ge_i32 s9, s11
	v_addc_co_u32_e64 v13, s[0:1], v13, v23, s[0:1]
	v_fma_f64 v[40:41], v[24:25], v[3:4], -v[40:41]
	v_fma_f64 v[44:45], v[26:27], v[3:4], v[5:6]
	v_add_f64 v[38:39], v[16:17], v[38:39]
	v_add_f64 v[32:33], v[14:15], v[32:33]
	ds_read_b128 v[3:6], v20 offset:64
	ds_read_b128 v[14:17], v18 offset:1024
	v_fma_f64 v[34:35], v[34:35], v[28:29], -v[42:43]
	v_fma_f64 v[36:37], v[36:37], v[28:29], v[30:31]
	ds_read_b128 v[24:27], v20 offset:80
	ds_read_b128 v[28:31], v18 offset:1280
	s_waitcnt lgkmcnt(2)
	v_mul_f64 v[42:43], v[5:6], v[16:17]
	v_mul_f64 v[16:17], v[3:4], v[16:17]
	v_add_f64 v[38:39], v[38:39], v[40:41]
	v_add_f64 v[32:33], v[32:33], v[44:45]
	s_waitcnt lgkmcnt(0)
	v_mul_f64 v[40:41], v[26:27], v[30:31]
	v_mul_f64 v[30:31], v[24:25], v[30:31]
	v_fma_f64 v[42:43], v[3:4], v[14:15], -v[42:43]
	v_fma_f64 v[44:45], v[5:6], v[14:15], v[16:17]
	v_add_f64 v[34:35], v[38:39], v[34:35]
	v_add_f64 v[32:33], v[32:33], v[36:37]
	ds_read_b128 v[3:6], v20 offset:96
	ds_read_b128 v[14:17], v18 offset:1536
	v_fma_f64 v[36:37], v[24:25], v[28:29], -v[40:41]
	v_fma_f64 v[38:39], v[26:27], v[28:29], v[30:31]
	ds_read_b128 v[24:27], v20 offset:112
	ds_read_b128 v[28:31], v18 offset:1792
	s_waitcnt lgkmcnt(2)
	v_mul_f64 v[40:41], v[5:6], v[16:17]
	v_mul_f64 v[16:17], v[3:4], v[16:17]
	v_add_f64 v[34:35], v[34:35], v[42:43]
	v_add_f64 v[32:33], v[32:33], v[44:45]
	s_waitcnt lgkmcnt(0)
	v_mul_f64 v[42:43], v[26:27], v[30:31]
	v_mul_f64 v[30:31], v[24:25], v[30:31]
	;; [unrolled: 18-line block ×5, first 2 shown]
	v_fma_f64 v[42:43], v[3:4], v[14:15], -v[42:43]
	v_fma_f64 v[44:45], v[5:6], v[14:15], v[16:17]
	v_add_f64 v[34:35], v[34:35], v[36:37]
	v_add_f64 v[32:33], v[32:33], v[38:39]
	ds_read_b128 v[3:6], v20 offset:224
	ds_read_b128 v[14:17], v18 offset:3584
	v_fma_f64 v[36:37], v[24:25], v[28:29], -v[40:41]
	v_fma_f64 v[38:39], v[26:27], v[28:29], v[30:31]
	ds_read_b128 v[24:27], v20 offset:240
	ds_read_b128 v[28:31], v18 offset:3840
	s_waitcnt lgkmcnt(0)
	v_mul_f64 v[40:41], v[5:6], v[16:17]
	v_mul_f64 v[16:17], v[3:4], v[16:17]
	v_add_f64 v[34:35], v[34:35], v[42:43]
	v_add_f64 v[32:33], v[32:33], v[44:45]
	v_mul_f64 v[42:43], v[26:27], v[30:31]
	v_mul_f64 v[30:31], v[24:25], v[30:31]
	s_barrier
	v_fma_f64 v[3:4], v[3:4], v[14:15], -v[40:41]
	v_fma_f64 v[5:6], v[5:6], v[14:15], v[16:17]
	v_add_f64 v[14:15], v[34:35], v[36:37]
	v_add_f64 v[16:17], v[32:33], v[38:39]
	v_fma_f64 v[24:25], v[24:25], v[28:29], -v[42:43]
	v_fma_f64 v[26:27], v[26:27], v[28:29], v[30:31]
	v_add_f64 v[3:4], v[14:15], v[3:4]
	v_add_f64 v[5:6], v[16:17], v[5:6]
	;; [unrolled: 1-line block ×4, first 2 shown]
	s_cbranch_scc1 .LBB292_10
.LBB292_3:                              ; =>This Inner Loop Header: Depth=1
	v_add_u32_e32 v3, s9, v1
	v_cmp_le_i32_e64 s[0:1], s11, v3
	s_or_b64 s[0:1], s[12:13], s[0:1]
	s_and_saveexec_b64 s[24:25], s[0:1]
	s_xor_b64 s[0:1], exec, s[24:25]
; %bb.4:                                ;   in Loop: Header=BB292_3 Depth=1
	v_mov_b32_e32 v3, v2
	v_mov_b32_e32 v4, v2
	;; [unrolled: 1-line block ×3, first 2 shown]
	ds_write_b128 v19, v[2:5]
; %bb.5:                                ;   in Loop: Header=BB292_3 Depth=1
	s_andn2_saveexec_b64 s[0:1], s[0:1]
	s_cbranch_execz .LBB292_7
; %bb.6:                                ;   in Loop: Header=BB292_3 Depth=1
	global_load_dwordx4 v[3:6], v[12:13], off
	s_waitcnt vmcnt(0)
	ds_write2_b64 v19, v[3:4], v[5:6] offset1:1
.LBB292_7:                              ;   in Loop: Header=BB292_3 Depth=1
	s_or_b64 exec, exec, s[0:1]
	v_add_u32_e32 v3, s9, v0
	v_cmp_gt_i32_e64 s[0:1], s11, v3
	v_mov_b32_e32 v3, 0
	v_mov_b32_e32 v5, 0
	;; [unrolled: 1-line block ×4, first 2 shown]
	s_and_b64 s[24:25], vcc, s[0:1]
	s_and_saveexec_b64 s[0:1], s[24:25]
	s_cbranch_execz .LBB292_2
; %bb.8:                                ;   in Loop: Header=BB292_3 Depth=1
	global_load_dwordx4 v[3:6], v[10:11], off offset:-8
	s_branch .LBB292_2
.LBB292_9:
	v_mov_b32_e32 v14, 0
	v_mov_b32_e32 v16, 0
	;; [unrolled: 1-line block ×4, first 2 shown]
.LBB292_10:
	v_cmp_le_i32_e32 vcc, v7, v9
	v_cmp_gt_i32_e64 s[0:1], s10, v9
	s_and_b64 s[0:1], vcc, s[0:1]
	s_and_saveexec_b64 s[2:3], s[0:1]
	s_cbranch_execz .LBB292_12
; %bb.11:
	s_load_dwordx2 s[0:1], s[4:5], 0x68
	s_load_dword s2, s[4:5], 0x60
	s_waitcnt lgkmcnt(0)
	s_mul_i32 s1, s1, s8
	s_mul_hi_u32 s3, s0, s8
	s_add_i32 s1, s3, s1
	v_mad_i64_i32 v[0:1], s[2:3], s2, v9, 0
	s_mul_i32 s0, s0, s8
	s_lshl_b64 s[0:1], s[0:1], 4
	s_add_u32 s0, s18, s0
	v_lshlrev_b64 v[0:1], 4, v[0:1]
	s_addc_u32 s1, s19, s1
	v_mov_b32_e32 v2, s1
	v_add_co_u32_e32 v3, vcc, s0, v0
	v_addc_co_u32_e32 v2, vcc, v2, v1, vcc
	v_lshlrev_b64 v[0:1], 4, v[7:8]
	v_mul_f64 v[6:7], s[22:23], v[14:15]
	v_add_co_u32_e32 v4, vcc, v3, v0
	v_addc_co_u32_e32 v5, vcc, v2, v1, vcc
	global_load_dwordx4 v[0:3], v[4:5], off
	v_mul_f64 v[8:9], s[20:21], v[14:15]
	v_fma_f64 v[6:7], s[20:21], v[16:17], -v[6:7]
	v_fma_f64 v[8:9], s[22:23], v[16:17], v[8:9]
	s_waitcnt vmcnt(0)
	v_mul_f64 v[10:11], s[16:17], v[2:3]
	v_mul_f64 v[2:3], s[14:15], v[2:3]
	v_fma_f64 v[10:11], s[14:15], v[0:1], -v[10:11]
	v_fma_f64 v[2:3], s[16:17], v[0:1], v[2:3]
	v_add_f64 v[0:1], v[6:7], v[10:11]
	v_add_f64 v[2:3], v[8:9], v[2:3]
	global_store_dwordx4 v[4:5], v[0:3], off
.LBB292_12:
	s_endpgm
	.section	.rodata,"a",@progbits
	.p2align	6, 0x0
	.amdhsa_kernel _ZL32rocblas_syrkx_herkx_small_kernelIi19rocblas_complex_numIdELi16ELb0ELb0ELc78ELc85EKS1_S1_EviT_T0_PT6_S3_lS6_S3_lS4_PT7_S3_li
		.amdhsa_group_segment_fixed_size 8192
		.amdhsa_private_segment_fixed_size 0
		.amdhsa_kernarg_size 116
		.amdhsa_user_sgpr_count 6
		.amdhsa_user_sgpr_private_segment_buffer 1
		.amdhsa_user_sgpr_dispatch_ptr 0
		.amdhsa_user_sgpr_queue_ptr 0
		.amdhsa_user_sgpr_kernarg_segment_ptr 1
		.amdhsa_user_sgpr_dispatch_id 0
		.amdhsa_user_sgpr_flat_scratch_init 0
		.amdhsa_user_sgpr_private_segment_size 0
		.amdhsa_uses_dynamic_stack 0
		.amdhsa_system_sgpr_private_segment_wavefront_offset 0
		.amdhsa_system_sgpr_workgroup_id_x 1
		.amdhsa_system_sgpr_workgroup_id_y 1
		.amdhsa_system_sgpr_workgroup_id_z 1
		.amdhsa_system_sgpr_workgroup_info 0
		.amdhsa_system_vgpr_workitem_id 1
		.amdhsa_next_free_vgpr 46
		.amdhsa_next_free_sgpr 61
		.amdhsa_reserve_vcc 1
		.amdhsa_reserve_flat_scratch 0
		.amdhsa_float_round_mode_32 0
		.amdhsa_float_round_mode_16_64 0
		.amdhsa_float_denorm_mode_32 3
		.amdhsa_float_denorm_mode_16_64 3
		.amdhsa_dx10_clamp 1
		.amdhsa_ieee_mode 1
		.amdhsa_fp16_overflow 0
		.amdhsa_exception_fp_ieee_invalid_op 0
		.amdhsa_exception_fp_denorm_src 0
		.amdhsa_exception_fp_ieee_div_zero 0
		.amdhsa_exception_fp_ieee_overflow 0
		.amdhsa_exception_fp_ieee_underflow 0
		.amdhsa_exception_fp_ieee_inexact 0
		.amdhsa_exception_int_div_zero 0
	.end_amdhsa_kernel
	.section	.text._ZL32rocblas_syrkx_herkx_small_kernelIi19rocblas_complex_numIdELi16ELb0ELb0ELc78ELc85EKS1_S1_EviT_T0_PT6_S3_lS6_S3_lS4_PT7_S3_li,"axG",@progbits,_ZL32rocblas_syrkx_herkx_small_kernelIi19rocblas_complex_numIdELi16ELb0ELb0ELc78ELc85EKS1_S1_EviT_T0_PT6_S3_lS6_S3_lS4_PT7_S3_li,comdat
.Lfunc_end292:
	.size	_ZL32rocblas_syrkx_herkx_small_kernelIi19rocblas_complex_numIdELi16ELb0ELb0ELc78ELc85EKS1_S1_EviT_T0_PT6_S3_lS6_S3_lS4_PT7_S3_li, .Lfunc_end292-_ZL32rocblas_syrkx_herkx_small_kernelIi19rocblas_complex_numIdELi16ELb0ELb0ELc78ELc85EKS1_S1_EviT_T0_PT6_S3_lS6_S3_lS4_PT7_S3_li
                                        ; -- End function
	.set _ZL32rocblas_syrkx_herkx_small_kernelIi19rocblas_complex_numIdELi16ELb0ELb0ELc78ELc85EKS1_S1_EviT_T0_PT6_S3_lS6_S3_lS4_PT7_S3_li.num_vgpr, 46
	.set _ZL32rocblas_syrkx_herkx_small_kernelIi19rocblas_complex_numIdELi16ELb0ELb0ELc78ELc85EKS1_S1_EviT_T0_PT6_S3_lS6_S3_lS4_PT7_S3_li.num_agpr, 0
	.set _ZL32rocblas_syrkx_herkx_small_kernelIi19rocblas_complex_numIdELi16ELb0ELb0ELc78ELc85EKS1_S1_EviT_T0_PT6_S3_lS6_S3_lS4_PT7_S3_li.numbered_sgpr, 34
	.set _ZL32rocblas_syrkx_herkx_small_kernelIi19rocblas_complex_numIdELi16ELb0ELb0ELc78ELc85EKS1_S1_EviT_T0_PT6_S3_lS6_S3_lS4_PT7_S3_li.num_named_barrier, 0
	.set _ZL32rocblas_syrkx_herkx_small_kernelIi19rocblas_complex_numIdELi16ELb0ELb0ELc78ELc85EKS1_S1_EviT_T0_PT6_S3_lS6_S3_lS4_PT7_S3_li.private_seg_size, 0
	.set _ZL32rocblas_syrkx_herkx_small_kernelIi19rocblas_complex_numIdELi16ELb0ELb0ELc78ELc85EKS1_S1_EviT_T0_PT6_S3_lS6_S3_lS4_PT7_S3_li.uses_vcc, 1
	.set _ZL32rocblas_syrkx_herkx_small_kernelIi19rocblas_complex_numIdELi16ELb0ELb0ELc78ELc85EKS1_S1_EviT_T0_PT6_S3_lS6_S3_lS4_PT7_S3_li.uses_flat_scratch, 0
	.set _ZL32rocblas_syrkx_herkx_small_kernelIi19rocblas_complex_numIdELi16ELb0ELb0ELc78ELc85EKS1_S1_EviT_T0_PT6_S3_lS6_S3_lS4_PT7_S3_li.has_dyn_sized_stack, 0
	.set _ZL32rocblas_syrkx_herkx_small_kernelIi19rocblas_complex_numIdELi16ELb0ELb0ELc78ELc85EKS1_S1_EviT_T0_PT6_S3_lS6_S3_lS4_PT7_S3_li.has_recursion, 0
	.set _ZL32rocblas_syrkx_herkx_small_kernelIi19rocblas_complex_numIdELi16ELb0ELb0ELc78ELc85EKS1_S1_EviT_T0_PT6_S3_lS6_S3_lS4_PT7_S3_li.has_indirect_call, 0
	.section	.AMDGPU.csdata,"",@progbits
; Kernel info:
; codeLenInByte = 1924
; TotalNumSgprs: 38
; NumVgprs: 46
; ScratchSize: 0
; MemoryBound: 1
; FloatMode: 240
; IeeeMode: 1
; LDSByteSize: 8192 bytes/workgroup (compile time only)
; SGPRBlocks: 8
; VGPRBlocks: 11
; NumSGPRsForWavesPerEU: 65
; NumVGPRsForWavesPerEU: 46
; Occupancy: 5
; WaveLimiterHint : 0
; COMPUTE_PGM_RSRC2:SCRATCH_EN: 0
; COMPUTE_PGM_RSRC2:USER_SGPR: 6
; COMPUTE_PGM_RSRC2:TRAP_HANDLER: 0
; COMPUTE_PGM_RSRC2:TGID_X_EN: 1
; COMPUTE_PGM_RSRC2:TGID_Y_EN: 1
; COMPUTE_PGM_RSRC2:TGID_Z_EN: 1
; COMPUTE_PGM_RSRC2:TIDIG_COMP_CNT: 1
	.section	.text._ZL34rocblas_syrkx_herkx_general_kernelIi19rocblas_complex_numIdELi16ELi32ELi8ELb1ELb0ELc84ELc76EKS1_S1_EviT_T0_PT8_S3_lS6_S3_lS4_PT9_S3_li,"axG",@progbits,_ZL34rocblas_syrkx_herkx_general_kernelIi19rocblas_complex_numIdELi16ELi32ELi8ELb1ELb0ELc84ELc76EKS1_S1_EviT_T0_PT8_S3_lS6_S3_lS4_PT9_S3_li,comdat
	.globl	_ZL34rocblas_syrkx_herkx_general_kernelIi19rocblas_complex_numIdELi16ELi32ELi8ELb1ELb0ELc84ELc76EKS1_S1_EviT_T0_PT8_S3_lS6_S3_lS4_PT9_S3_li ; -- Begin function _ZL34rocblas_syrkx_herkx_general_kernelIi19rocblas_complex_numIdELi16ELi32ELi8ELb1ELb0ELc84ELc76EKS1_S1_EviT_T0_PT8_S3_lS6_S3_lS4_PT9_S3_li
	.p2align	8
	.type	_ZL34rocblas_syrkx_herkx_general_kernelIi19rocblas_complex_numIdELi16ELi32ELi8ELb1ELb0ELc84ELc76EKS1_S1_EviT_T0_PT8_S3_lS6_S3_lS4_PT9_S3_li,@function
_ZL34rocblas_syrkx_herkx_general_kernelIi19rocblas_complex_numIdELi16ELi32ELi8ELb1ELb0ELc84ELc76EKS1_S1_EviT_T0_PT8_S3_lS6_S3_lS4_PT9_S3_li: ; @_ZL34rocblas_syrkx_herkx_general_kernelIi19rocblas_complex_numIdELi16ELi32ELi8ELb1ELb0ELc84ELc76EKS1_S1_EviT_T0_PT8_S3_lS6_S3_lS4_PT9_S3_li
; %bb.0:
	s_load_dwordx2 s[10:11], s[4:5], 0x0
	s_load_dwordx4 s[12:15], s[4:5], 0x8
	s_load_dwordx2 s[20:21], s[4:5], 0x18
	s_lshl_b32 s9, s6, 5
	s_lshl_b32 s22, s7, 5
	s_waitcnt lgkmcnt(0)
	s_cmp_lt_i32 s11, 1
	s_mov_b32 s23, 0
	s_cbranch_scc1 .LBB293_11
; %bb.1:
	v_lshl_add_u32 v2, v1, 4, v0
	v_lshrrev_b32_e32 v27, 5, v2
	v_lshrrev_b32_e32 v3, 3, v2
	v_and_b32_e32 v2, 31, v2
	v_or_b32_e32 v5, s9, v2
	v_and_b32_e32 v26, 7, v0
	v_cmp_gt_i32_e32 vcc, s10, v5
	v_lshlrev_b32_e32 v5, 4, v2
	s_load_dword s2, s[4:5], 0x20
	s_load_dwordx4 s[16:19], s[4:5], 0x28
	s_load_dword s24, s[4:5], 0x38
	s_load_dwordx2 s[6:7], s[4:5], 0x40
	v_lshl_or_b32 v28, v27, 9, v5
	v_lshlrev_b32_e32 v5, 4, v26
	v_add_u32_e32 v4, s22, v3
	v_lshl_or_b32 v3, v3, 7, v5
	v_add_u32_e32 v2, s9, v2
	v_add_u32_e32 v29, 0x1000, v3
	s_waitcnt lgkmcnt(0)
	v_mad_i64_i32 v[2:3], s[2:3], s2, v2, 0
	s_mul_i32 s2, s17, s8
	s_mul_hi_u32 s3, s16, s8
	v_lshlrev_b64 v[2:3], 4, v[2:3]
	s_add_i32 s3, s3, s2
	s_mul_i32 s2, s16, s8
	v_mov_b32_e32 v6, 0x1000
	s_lshl_b64 s[2:3], s[2:3], 4
	v_lshl_add_u32 v31, v1, 7, v6
	v_mov_b32_e32 v6, s3
	v_add_co_u32_e64 v2, s[2:3], s2, v2
	v_addc_co_u32_e64 v3, s[2:3], v3, v6, s[2:3]
	v_lshlrev_b32_e32 v6, 4, v27
	v_add_co_u32_e64 v6, s[2:3], v2, v6
	v_addc_co_u32_e64 v7, s[2:3], 0, v3, s[2:3]
	v_mad_i64_i32 v[2:3], s[2:3], s24, v4, 0
	v_mov_b32_e32 v8, s21
	v_add_co_u32_e64 v6, s[2:3], s20, v6
	v_addc_co_u32_e64 v7, s[2:3], v8, v7, s[2:3]
	s_mul_i32 s2, s7, s8
	s_mul_hi_u32 s3, s6, s8
	v_lshlrev_b64 v[2:3], 4, v[2:3]
	s_add_i32 s3, s3, s2
	s_mul_i32 s2, s6, s8
	s_lshl_b64 s[2:3], s[2:3], 4
	v_cmp_gt_i32_e64 s[0:1], s10, v4
	v_mov_b32_e32 v4, s3
	v_add_co_u32_e64 v2, s[2:3], s2, v2
	v_addc_co_u32_e64 v3, s[2:3], v3, v4, s[2:3]
	v_add_co_u32_e64 v2, s[2:3], v2, v5
	v_addc_co_u32_e64 v3, s[2:3], 0, v3, s[2:3]
	v_mov_b32_e32 v4, s19
	v_add_co_u32_e64 v8, s[2:3], s18, v2
	v_addc_co_u32_e64 v9, s[2:3], v4, v3, s[2:3]
	v_mov_b32_e32 v22, 0
	v_mov_b32_e32 v24, 0
	;; [unrolled: 1-line block ×8, first 2 shown]
	v_lshlrev_b32_e32 v30, 4, v0
	v_mov_b32_e32 v23, 0
	s_xor_b64 s[2:3], vcc, -1
	s_xor_b64 s[0:1], s[0:1], -1
	v_mov_b32_e32 v25, 0
	v_mov_b32_e32 v21, 0
	;; [unrolled: 1-line block ×8, first 2 shown]
	s_branch .LBB293_3
.LBB293_2:                              ;   in Loop: Header=BB293_3 Depth=1
	s_or_b64 exec, exec, s[6:7]
	s_waitcnt lgkmcnt(0)
	s_barrier
	ds_read_b128 v[32:35], v31
	ds_read_b128 v[36:39], v31 offset:16
	ds_read_b128 v[40:43], v31 offset:32
	;; [unrolled: 1-line block ×3, first 2 shown]
	ds_read_b128 v[48:51], v30
	v_add_co_u32_e32 v6, vcc, 0x80, v6
	v_addc_co_u32_e32 v7, vcc, 0, v7, vcc
	s_waitcnt lgkmcnt(0)
	v_mul_f64 v[3:4], v[34:35], v[50:51]
	v_mul_f64 v[52:53], v[32:33], v[50:51]
	s_add_i32 s23, s23, 8
	v_add_co_u32_e32 v8, vcc, 0x80, v8
	v_addc_co_u32_e32 v9, vcc, 0, v9, vcc
	s_cmp_ge_i32 s23, s11
	v_fma_f64 v[3:4], v[32:33], v[48:49], -v[3:4]
	v_fma_f64 v[52:53], v[34:35], v[48:49], v[52:53]
	v_add_f64 v[3:4], v[14:15], v[3:4]
	v_add_f64 v[14:15], v[52:53], v[18:19]
	ds_read_b128 v[52:55], v30 offset:256
	s_waitcnt lgkmcnt(0)
	v_mul_f64 v[18:19], v[34:35], v[54:55]
	v_fma_f64 v[18:19], v[32:33], v[52:53], -v[18:19]
	v_mul_f64 v[32:33], v[32:33], v[54:55]
	v_add_f64 v[18:19], v[10:11], v[18:19]
	v_fma_f64 v[32:33], v[34:35], v[52:53], v[32:33]
	v_add_f64 v[32:33], v[32:33], v[12:13]
	ds_read_b128 v[10:13], v31 offset:2048
	s_waitcnt lgkmcnt(0)
	v_mul_f64 v[34:35], v[12:13], v[50:51]
	v_mul_f64 v[50:51], v[10:11], v[50:51]
	v_fma_f64 v[34:35], v[10:11], v[48:49], -v[34:35]
	v_fma_f64 v[48:49], v[12:13], v[48:49], v[50:51]
	v_add_f64 v[34:35], v[16:17], v[34:35]
	v_mul_f64 v[16:17], v[12:13], v[54:55]
	v_add_f64 v[48:49], v[48:49], v[20:21]
	v_fma_f64 v[16:17], v[10:11], v[52:53], -v[16:17]
	v_mul_f64 v[10:11], v[10:11], v[54:55]
	v_add_f64 v[24:25], v[24:25], v[16:17]
	v_fma_f64 v[10:11], v[12:13], v[52:53], v[10:11]
	v_add_f64 v[22:23], v[10:11], v[22:23]
	ds_read_b128 v[10:13], v30 offset:512
	s_waitcnt lgkmcnt(0)
	v_mul_f64 v[16:17], v[38:39], v[12:13]
	v_mul_f64 v[20:21], v[36:37], v[12:13]
	v_fma_f64 v[16:17], v[36:37], v[10:11], -v[16:17]
	v_fma_f64 v[20:21], v[38:39], v[10:11], v[20:21]
	v_add_f64 v[3:4], v[3:4], v[16:17]
	v_add_f64 v[50:51], v[20:21], v[14:15]
	ds_read_b128 v[14:17], v30 offset:768
	s_waitcnt lgkmcnt(0)
	v_mul_f64 v[20:21], v[38:39], v[16:17]
	v_fma_f64 v[20:21], v[36:37], v[14:15], -v[20:21]
	v_mul_f64 v[36:37], v[36:37], v[16:17]
	v_fma_f64 v[36:37], v[38:39], v[14:15], v[36:37]
	v_add_f64 v[38:39], v[18:19], v[20:21]
	ds_read_b128 v[18:21], v31 offset:2064
	v_add_f64 v[32:33], v[36:37], v[32:33]
	s_waitcnt lgkmcnt(0)
	v_mul_f64 v[36:37], v[20:21], v[12:13]
	v_mul_f64 v[12:13], v[18:19], v[12:13]
	v_fma_f64 v[36:37], v[18:19], v[10:11], -v[36:37]
	v_fma_f64 v[10:11], v[20:21], v[10:11], v[12:13]
	v_mul_f64 v[12:13], v[18:19], v[16:17]
	v_add_f64 v[34:35], v[34:35], v[36:37]
	v_add_f64 v[36:37], v[10:11], v[48:49]
	v_mul_f64 v[10:11], v[20:21], v[16:17]
	v_fma_f64 v[12:13], v[20:21], v[14:15], v[12:13]
	v_fma_f64 v[10:11], v[18:19], v[14:15], -v[10:11]
	v_add_f64 v[22:23], v[12:13], v[22:23]
	v_add_f64 v[24:25], v[24:25], v[10:11]
	ds_read_b128 v[10:13], v30 offset:1024
	s_waitcnt lgkmcnt(0)
	v_mul_f64 v[14:15], v[42:43], v[12:13]
	v_mul_f64 v[16:17], v[40:41], v[12:13]
	v_fma_f64 v[14:15], v[40:41], v[10:11], -v[14:15]
	v_fma_f64 v[16:17], v[42:43], v[10:11], v[16:17]
	v_add_f64 v[3:4], v[3:4], v[14:15]
	v_add_f64 v[48:49], v[16:17], v[50:51]
	ds_read_b128 v[14:17], v30 offset:1280
	s_waitcnt lgkmcnt(0)
	v_mul_f64 v[18:19], v[42:43], v[16:17]
	v_mul_f64 v[20:21], v[40:41], v[16:17]
	v_fma_f64 v[18:19], v[40:41], v[14:15], -v[18:19]
	v_fma_f64 v[20:21], v[42:43], v[14:15], v[20:21]
	;; [unrolled: 8-line block ×3, first 2 shown]
	v_mul_f64 v[12:13], v[18:19], v[16:17]
	v_add_f64 v[34:35], v[34:35], v[40:41]
	v_add_f64 v[36:37], v[10:11], v[36:37]
	v_mul_f64 v[10:11], v[20:21], v[16:17]
	v_fma_f64 v[12:13], v[20:21], v[14:15], v[12:13]
	v_fma_f64 v[10:11], v[18:19], v[14:15], -v[10:11]
	v_add_f64 v[22:23], v[12:13], v[22:23]
	v_add_f64 v[24:25], v[24:25], v[10:11]
	ds_read_b128 v[10:13], v30 offset:1536
	s_waitcnt lgkmcnt(0)
	v_mul_f64 v[14:15], v[46:47], v[12:13]
	v_mul_f64 v[16:17], v[44:45], v[12:13]
	v_fma_f64 v[14:15], v[44:45], v[10:11], -v[14:15]
	v_fma_f64 v[16:17], v[46:47], v[10:11], v[16:17]
	v_add_f64 v[3:4], v[3:4], v[14:15]
	v_add_f64 v[40:41], v[16:17], v[48:49]
	ds_read_b128 v[14:17], v30 offset:1792
	s_waitcnt lgkmcnt(0)
	v_mul_f64 v[18:19], v[46:47], v[16:17]
	v_mul_f64 v[20:21], v[44:45], v[16:17]
	v_fma_f64 v[18:19], v[44:45], v[14:15], -v[18:19]
	v_fma_f64 v[20:21], v[46:47], v[14:15], v[20:21]
	;; [unrolled: 8-line block ×3, first 2 shown]
	v_mul_f64 v[12:13], v[18:19], v[16:17]
	v_add_f64 v[34:35], v[34:35], v[42:43]
	v_add_f64 v[36:37], v[10:11], v[36:37]
	v_mul_f64 v[10:11], v[20:21], v[16:17]
	v_fma_f64 v[12:13], v[20:21], v[14:15], v[12:13]
	v_fma_f64 v[10:11], v[18:19], v[14:15], -v[10:11]
	v_add_f64 v[22:23], v[12:13], v[22:23]
	v_add_f64 v[24:25], v[24:25], v[10:11]
	ds_read_b128 v[10:13], v31 offset:64
	ds_read_b128 v[14:17], v30 offset:2048
	s_waitcnt lgkmcnt(0)
	v_mul_f64 v[18:19], v[12:13], v[16:17]
	v_mul_f64 v[20:21], v[10:11], v[16:17]
	v_fma_f64 v[18:19], v[10:11], v[14:15], -v[18:19]
	v_fma_f64 v[20:21], v[12:13], v[14:15], v[20:21]
	v_add_f64 v[3:4], v[3:4], v[18:19]
	v_add_f64 v[40:41], v[20:21], v[40:41]
	ds_read_b128 v[18:21], v30 offset:2304
	s_waitcnt lgkmcnt(0)
	v_mul_f64 v[42:43], v[12:13], v[20:21]
	v_fma_f64 v[42:43], v[10:11], v[18:19], -v[42:43]
	v_mul_f64 v[10:11], v[10:11], v[20:21]
	v_add_f64 v[38:39], v[38:39], v[42:43]
	v_fma_f64 v[10:11], v[12:13], v[18:19], v[10:11]
	v_add_f64 v[32:33], v[10:11], v[32:33]
	ds_read_b128 v[10:13], v31 offset:2112
	s_waitcnt lgkmcnt(0)
	v_mul_f64 v[42:43], v[12:13], v[16:17]
	v_mul_f64 v[16:17], v[10:11], v[16:17]
	v_fma_f64 v[42:43], v[10:11], v[14:15], -v[42:43]
	v_fma_f64 v[14:15], v[12:13], v[14:15], v[16:17]
	v_add_f64 v[34:35], v[34:35], v[42:43]
	v_add_f64 v[36:37], v[14:15], v[36:37]
	v_mul_f64 v[14:15], v[12:13], v[20:21]
	v_fma_f64 v[14:15], v[10:11], v[18:19], -v[14:15]
	v_mul_f64 v[10:11], v[10:11], v[20:21]
	v_add_f64 v[24:25], v[24:25], v[14:15]
	v_fma_f64 v[10:11], v[12:13], v[18:19], v[10:11]
	v_add_f64 v[22:23], v[10:11], v[22:23]
	ds_read_b128 v[10:13], v31 offset:80
	ds_read_b128 v[14:17], v30 offset:2560
	s_waitcnt lgkmcnt(0)
	v_mul_f64 v[18:19], v[12:13], v[16:17]
	v_mul_f64 v[20:21], v[10:11], v[16:17]
	v_fma_f64 v[18:19], v[10:11], v[14:15], -v[18:19]
	v_fma_f64 v[20:21], v[12:13], v[14:15], v[20:21]
	v_add_f64 v[3:4], v[3:4], v[18:19]
	v_add_f64 v[40:41], v[20:21], v[40:41]
	ds_read_b128 v[18:21], v30 offset:2816
	s_waitcnt lgkmcnt(0)
	v_mul_f64 v[42:43], v[12:13], v[20:21]
	v_fma_f64 v[42:43], v[10:11], v[18:19], -v[42:43]
	v_mul_f64 v[10:11], v[10:11], v[20:21]
	v_add_f64 v[38:39], v[38:39], v[42:43]
	v_fma_f64 v[10:11], v[12:13], v[18:19], v[10:11]
	v_add_f64 v[32:33], v[10:11], v[32:33]
	ds_read_b128 v[10:13], v31 offset:2128
	s_waitcnt lgkmcnt(0)
	v_mul_f64 v[42:43], v[12:13], v[16:17]
	v_mul_f64 v[16:17], v[10:11], v[16:17]
	v_fma_f64 v[42:43], v[10:11], v[14:15], -v[42:43]
	v_fma_f64 v[14:15], v[12:13], v[14:15], v[16:17]
	v_add_f64 v[34:35], v[34:35], v[42:43]
	v_add_f64 v[36:37], v[14:15], v[36:37]
	v_mul_f64 v[14:15], v[12:13], v[20:21]
	v_fma_f64 v[14:15], v[10:11], v[18:19], -v[14:15]
	v_mul_f64 v[10:11], v[10:11], v[20:21]
	v_add_f64 v[24:25], v[24:25], v[14:15]
	v_fma_f64 v[10:11], v[12:13], v[18:19], v[10:11]
	;; [unrolled: 31-line block ×3, first 2 shown]
	v_add_f64 v[46:47], v[10:11], v[22:23]
	ds_read_b128 v[10:13], v31 offset:112
	ds_read_b128 v[20:23], v30 offset:3584
	;; [unrolled: 1-line block ×3, first 2 shown]
	s_waitcnt lgkmcnt(1)
	v_mul_f64 v[14:15], v[12:13], v[22:23]
	v_mul_f64 v[18:19], v[10:11], v[22:23]
	v_fma_f64 v[14:15], v[10:11], v[20:21], -v[14:15]
	v_fma_f64 v[18:19], v[12:13], v[20:21], v[18:19]
	v_add_f64 v[14:15], v[3:4], v[14:15]
	s_waitcnt lgkmcnt(0)
	v_mul_f64 v[3:4], v[12:13], v[34:35]
	v_add_f64 v[18:19], v[18:19], v[40:41]
	v_fma_f64 v[3:4], v[10:11], v[32:33], -v[3:4]
	v_mul_f64 v[10:11], v[10:11], v[34:35]
	v_fma_f64 v[12:13], v[12:13], v[32:33], v[10:11]
	v_add_f64 v[10:11], v[38:39], v[3:4]
	ds_read_b128 v[36:39], v31 offset:2160
	s_waitcnt lgkmcnt(0)
	s_barrier
	v_mul_f64 v[3:4], v[38:39], v[22:23]
	v_mul_f64 v[22:23], v[36:37], v[22:23]
	v_add_f64 v[12:13], v[12:13], v[42:43]
	v_fma_f64 v[3:4], v[36:37], v[20:21], -v[3:4]
	v_fma_f64 v[20:21], v[38:39], v[20:21], v[22:23]
	v_mul_f64 v[22:23], v[36:37], v[34:35]
	v_add_f64 v[16:17], v[16:17], v[3:4]
	v_mul_f64 v[3:4], v[38:39], v[34:35]
	v_fma_f64 v[22:23], v[38:39], v[32:33], v[22:23]
	v_add_f64 v[20:21], v[20:21], v[44:45]
	v_fma_f64 v[3:4], v[36:37], v[32:33], -v[3:4]
	v_add_f64 v[22:23], v[22:23], v[46:47]
	v_add_f64 v[24:25], v[24:25], v[3:4]
	s_cbranch_scc1 .LBB293_12
.LBB293_3:                              ; =>This Inner Loop Header: Depth=1
	v_add_u32_e32 v3, s23, v27
	v_cmp_le_i32_e32 vcc, s11, v3
	s_or_b64 s[6:7], s[2:3], vcc
	s_and_saveexec_b64 s[16:17], s[6:7]
	s_xor_b64 s[6:7], exec, s[16:17]
; %bb.4:                                ;   in Loop: Header=BB293_3 Depth=1
	v_mov_b32_e32 v3, v2
	v_mov_b32_e32 v4, v2
	;; [unrolled: 1-line block ×3, first 2 shown]
	ds_write_b128 v28, v[2:5]
; %bb.5:                                ;   in Loop: Header=BB293_3 Depth=1
	s_andn2_saveexec_b64 s[6:7], s[6:7]
	s_cbranch_execz .LBB293_7
; %bb.6:                                ;   in Loop: Header=BB293_3 Depth=1
	global_load_dwordx4 v[32:35], v[6:7], off
	s_waitcnt vmcnt(0)
	ds_write2_b64 v28, v[32:33], v[34:35] offset1:1
.LBB293_7:                              ;   in Loop: Header=BB293_3 Depth=1
	s_or_b64 exec, exec, s[6:7]
	v_add_u32_e32 v3, s23, v26
	v_cmp_le_i32_e32 vcc, s11, v3
	s_or_b64 s[6:7], vcc, s[0:1]
	s_and_saveexec_b64 s[16:17], s[6:7]
	s_xor_b64 s[6:7], exec, s[16:17]
; %bb.8:                                ;   in Loop: Header=BB293_3 Depth=1
	v_mov_b32_e32 v3, v2
	v_mov_b32_e32 v4, v2
	;; [unrolled: 1-line block ×3, first 2 shown]
	ds_write_b128 v29, v[2:5]
; %bb.9:                                ;   in Loop: Header=BB293_3 Depth=1
	s_andn2_saveexec_b64 s[6:7], s[6:7]
	s_cbranch_execz .LBB293_2
; %bb.10:                               ;   in Loop: Header=BB293_3 Depth=1
	global_load_dwordx4 v[32:35], v[8:9], off
	s_waitcnt vmcnt(0)
	ds_write2_b64 v29, v[32:33], v[34:35] offset1:1
	s_branch .LBB293_2
.LBB293_11:
	v_mov_b32_e32 v14, 0
	v_mov_b32_e32 v18, 0
	;; [unrolled: 1-line block ×16, first 2 shown]
.LBB293_12:
	s_load_dwordx2 s[0:1], s[4:5], 0x68
	s_load_dwordx2 s[2:3], s[4:5], 0x58
	s_load_dword s6, s[4:5], 0x60
	v_add_u32_e32 v4, s22, v1
	v_add_u32_e32 v0, s9, v0
	s_waitcnt lgkmcnt(0)
	s_mul_i32 s1, s1, s8
	s_mul_hi_u32 s4, s0, s8
	s_add_i32 s1, s4, s1
	v_mad_i64_i32 v[1:2], s[4:5], v4, s6, 0
	s_mul_i32 s0, s0, s8
	s_lshl_b64 s[0:1], s[0:1], 4
	s_add_u32 s7, s2, s0
	v_lshlrev_b64 v[1:2], 4, v[1:2]
	s_addc_u32 s8, s3, s1
	v_mov_b32_e32 v3, s8
	v_add_co_u32_e32 v5, vcc, s7, v1
	v_addc_co_u32_e32 v6, vcc, v3, v2, vcc
	v_cmp_le_i32_e64 s[0:1], v4, v0
	v_cmp_gt_i32_e32 vcc, s10, v0
	s_and_b64 s[0:1], s[0:1], vcc
	s_and_saveexec_b64 s[2:3], s[0:1]
	s_cbranch_execz .LBB293_14
; %bb.13:
	v_mul_f64 v[1:2], s[14:15], v[18:19]
	v_mul_f64 v[7:8], s[12:13], v[18:19]
	v_fma_f64 v[26:27], s[12:13], v[14:15], -v[1:2]
	v_fma_f64 v[28:29], s[14:15], v[14:15], v[7:8]
	v_ashrrev_i32_e32 v1, 31, v0
	v_lshlrev_b64 v[1:2], 4, v[0:1]
	v_add_co_u32_e64 v1, s[0:1], v5, v1
	v_addc_co_u32_e64 v2, s[0:1], v6, v2, s[0:1]
	global_store_dwordx4 v[1:2], v[26:29], off
.LBB293_14:
	s_or_b64 exec, exec, s[2:3]
	v_add_u32_e32 v2, 16, v0
	v_cmp_le_i32_e64 s[2:3], v4, v2
	v_cmp_gt_i32_e64 s[0:1], s10, v2
	s_and_b64 s[2:3], s[2:3], s[0:1]
	s_and_saveexec_b64 s[4:5], s[2:3]
	s_cbranch_execz .LBB293_16
; %bb.15:
	v_mul_f64 v[7:8], s[14:15], v[12:13]
	v_mul_f64 v[12:13], s[12:13], v[12:13]
	v_ashrrev_i32_e32 v3, 31, v2
	v_fma_f64 v[7:8], s[12:13], v[10:11], -v[7:8]
	v_fma_f64 v[9:10], s[14:15], v[10:11], v[12:13]
	v_lshlrev_b64 v[11:12], 4, v[2:3]
	v_add_co_u32_e64 v5, s[2:3], v5, v11
	v_addc_co_u32_e64 v6, s[2:3], v6, v12, s[2:3]
	global_store_dwordx4 v[5:6], v[7:10], off
.LBB293_16:
	s_or_b64 exec, exec, s[4:5]
	v_add_u32_e32 v3, 16, v4
	v_mad_i64_i32 v[4:5], s[2:3], v3, s6, 0
	v_mov_b32_e32 v1, s8
	v_lshlrev_b64 v[4:5], 4, v[4:5]
	v_add_co_u32_e64 v4, s[2:3], s7, v4
	v_addc_co_u32_e64 v5, s[2:3], v1, v5, s[2:3]
	v_cmp_le_i32_e64 s[2:3], v3, v0
	s_and_b64 s[4:5], s[2:3], vcc
	s_and_saveexec_b64 s[2:3], s[4:5]
	s_cbranch_execz .LBB293_18
; %bb.17:
	v_mul_f64 v[6:7], s[14:15], v[20:21]
	v_mul_f64 v[8:9], s[12:13], v[20:21]
	v_ashrrev_i32_e32 v1, 31, v0
	v_lshlrev_b64 v[0:1], 4, v[0:1]
	v_add_co_u32_e32 v0, vcc, v4, v0
	v_addc_co_u32_e32 v1, vcc, v5, v1, vcc
	v_fma_f64 v[6:7], s[12:13], v[16:17], -v[6:7]
	v_fma_f64 v[8:9], s[14:15], v[16:17], v[8:9]
	global_store_dwordx4 v[0:1], v[6:9], off
.LBB293_18:
	s_or_b64 exec, exec, s[2:3]
	v_cmp_le_i32_e32 vcc, v3, v2
	s_and_b64 s[0:1], vcc, s[0:1]
	s_and_saveexec_b64 s[2:3], s[0:1]
	s_cbranch_execz .LBB293_20
; %bb.19:
	v_mul_f64 v[0:1], s[14:15], v[22:23]
	v_mul_f64 v[8:9], s[12:13], v[22:23]
	v_ashrrev_i32_e32 v3, 31, v2
	v_fma_f64 v[6:7], s[12:13], v[24:25], -v[0:1]
	v_fma_f64 v[8:9], s[14:15], v[24:25], v[8:9]
	v_lshlrev_b64 v[0:1], 4, v[2:3]
	v_add_co_u32_e32 v0, vcc, v4, v0
	v_addc_co_u32_e32 v1, vcc, v5, v1, vcc
	global_store_dwordx4 v[0:1], v[6:9], off
.LBB293_20:
	s_endpgm
	.section	.rodata,"a",@progbits
	.p2align	6, 0x0
	.amdhsa_kernel _ZL34rocblas_syrkx_herkx_general_kernelIi19rocblas_complex_numIdELi16ELi32ELi8ELb1ELb0ELc84ELc76EKS1_S1_EviT_T0_PT8_S3_lS6_S3_lS4_PT9_S3_li
		.amdhsa_group_segment_fixed_size 8192
		.amdhsa_private_segment_fixed_size 0
		.amdhsa_kernarg_size 116
		.amdhsa_user_sgpr_count 6
		.amdhsa_user_sgpr_private_segment_buffer 1
		.amdhsa_user_sgpr_dispatch_ptr 0
		.amdhsa_user_sgpr_queue_ptr 0
		.amdhsa_user_sgpr_kernarg_segment_ptr 1
		.amdhsa_user_sgpr_dispatch_id 0
		.amdhsa_user_sgpr_flat_scratch_init 0
		.amdhsa_user_sgpr_private_segment_size 0
		.amdhsa_uses_dynamic_stack 0
		.amdhsa_system_sgpr_private_segment_wavefront_offset 0
		.amdhsa_system_sgpr_workgroup_id_x 1
		.amdhsa_system_sgpr_workgroup_id_y 1
		.amdhsa_system_sgpr_workgroup_id_z 1
		.amdhsa_system_sgpr_workgroup_info 0
		.amdhsa_system_vgpr_workitem_id 1
		.amdhsa_next_free_vgpr 56
		.amdhsa_next_free_sgpr 61
		.amdhsa_reserve_vcc 1
		.amdhsa_reserve_flat_scratch 0
		.amdhsa_float_round_mode_32 0
		.amdhsa_float_round_mode_16_64 0
		.amdhsa_float_denorm_mode_32 3
		.amdhsa_float_denorm_mode_16_64 3
		.amdhsa_dx10_clamp 1
		.amdhsa_ieee_mode 1
		.amdhsa_fp16_overflow 0
		.amdhsa_exception_fp_ieee_invalid_op 0
		.amdhsa_exception_fp_denorm_src 0
		.amdhsa_exception_fp_ieee_div_zero 0
		.amdhsa_exception_fp_ieee_overflow 0
		.amdhsa_exception_fp_ieee_underflow 0
		.amdhsa_exception_fp_ieee_inexact 0
		.amdhsa_exception_int_div_zero 0
	.end_amdhsa_kernel
	.section	.text._ZL34rocblas_syrkx_herkx_general_kernelIi19rocblas_complex_numIdELi16ELi32ELi8ELb1ELb0ELc84ELc76EKS1_S1_EviT_T0_PT8_S3_lS6_S3_lS4_PT9_S3_li,"axG",@progbits,_ZL34rocblas_syrkx_herkx_general_kernelIi19rocblas_complex_numIdELi16ELi32ELi8ELb1ELb0ELc84ELc76EKS1_S1_EviT_T0_PT8_S3_lS6_S3_lS4_PT9_S3_li,comdat
.Lfunc_end293:
	.size	_ZL34rocblas_syrkx_herkx_general_kernelIi19rocblas_complex_numIdELi16ELi32ELi8ELb1ELb0ELc84ELc76EKS1_S1_EviT_T0_PT8_S3_lS6_S3_lS4_PT9_S3_li, .Lfunc_end293-_ZL34rocblas_syrkx_herkx_general_kernelIi19rocblas_complex_numIdELi16ELi32ELi8ELb1ELb0ELc84ELc76EKS1_S1_EviT_T0_PT8_S3_lS6_S3_lS4_PT9_S3_li
                                        ; -- End function
	.set _ZL34rocblas_syrkx_herkx_general_kernelIi19rocblas_complex_numIdELi16ELi32ELi8ELb1ELb0ELc84ELc76EKS1_S1_EviT_T0_PT8_S3_lS6_S3_lS4_PT9_S3_li.num_vgpr, 56
	.set _ZL34rocblas_syrkx_herkx_general_kernelIi19rocblas_complex_numIdELi16ELi32ELi8ELb1ELb0ELc84ELc76EKS1_S1_EviT_T0_PT8_S3_lS6_S3_lS4_PT9_S3_li.num_agpr, 0
	.set _ZL34rocblas_syrkx_herkx_general_kernelIi19rocblas_complex_numIdELi16ELi32ELi8ELb1ELb0ELc84ELc76EKS1_S1_EviT_T0_PT8_S3_lS6_S3_lS4_PT9_S3_li.numbered_sgpr, 25
	.set _ZL34rocblas_syrkx_herkx_general_kernelIi19rocblas_complex_numIdELi16ELi32ELi8ELb1ELb0ELc84ELc76EKS1_S1_EviT_T0_PT8_S3_lS6_S3_lS4_PT9_S3_li.num_named_barrier, 0
	.set _ZL34rocblas_syrkx_herkx_general_kernelIi19rocblas_complex_numIdELi16ELi32ELi8ELb1ELb0ELc84ELc76EKS1_S1_EviT_T0_PT8_S3_lS6_S3_lS4_PT9_S3_li.private_seg_size, 0
	.set _ZL34rocblas_syrkx_herkx_general_kernelIi19rocblas_complex_numIdELi16ELi32ELi8ELb1ELb0ELc84ELc76EKS1_S1_EviT_T0_PT8_S3_lS6_S3_lS4_PT9_S3_li.uses_vcc, 1
	.set _ZL34rocblas_syrkx_herkx_general_kernelIi19rocblas_complex_numIdELi16ELi32ELi8ELb1ELb0ELc84ELc76EKS1_S1_EviT_T0_PT8_S3_lS6_S3_lS4_PT9_S3_li.uses_flat_scratch, 0
	.set _ZL34rocblas_syrkx_herkx_general_kernelIi19rocblas_complex_numIdELi16ELi32ELi8ELb1ELb0ELc84ELc76EKS1_S1_EviT_T0_PT8_S3_lS6_S3_lS4_PT9_S3_li.has_dyn_sized_stack, 0
	.set _ZL34rocblas_syrkx_herkx_general_kernelIi19rocblas_complex_numIdELi16ELi32ELi8ELb1ELb0ELc84ELc76EKS1_S1_EviT_T0_PT8_S3_lS6_S3_lS4_PT9_S3_li.has_recursion, 0
	.set _ZL34rocblas_syrkx_herkx_general_kernelIi19rocblas_complex_numIdELi16ELi32ELi8ELb1ELb0ELc84ELc76EKS1_S1_EviT_T0_PT8_S3_lS6_S3_lS4_PT9_S3_li.has_indirect_call, 0
	.section	.AMDGPU.csdata,"",@progbits
; Kernel info:
; codeLenInByte = 3096
; TotalNumSgprs: 29
; NumVgprs: 56
; ScratchSize: 0
; MemoryBound: 0
; FloatMode: 240
; IeeeMode: 1
; LDSByteSize: 8192 bytes/workgroup (compile time only)
; SGPRBlocks: 8
; VGPRBlocks: 13
; NumSGPRsForWavesPerEU: 65
; NumVGPRsForWavesPerEU: 56
; Occupancy: 4
; WaveLimiterHint : 0
; COMPUTE_PGM_RSRC2:SCRATCH_EN: 0
; COMPUTE_PGM_RSRC2:USER_SGPR: 6
; COMPUTE_PGM_RSRC2:TRAP_HANDLER: 0
; COMPUTE_PGM_RSRC2:TGID_X_EN: 1
; COMPUTE_PGM_RSRC2:TGID_Y_EN: 1
; COMPUTE_PGM_RSRC2:TGID_Z_EN: 1
; COMPUTE_PGM_RSRC2:TIDIG_COMP_CNT: 1
	.section	.text._ZL34rocblas_syrkx_herkx_general_kernelIi19rocblas_complex_numIdELi16ELi32ELi8ELb1ELb0ELc67ELc76EKS1_S1_EviT_T0_PT8_S3_lS6_S3_lS4_PT9_S3_li,"axG",@progbits,_ZL34rocblas_syrkx_herkx_general_kernelIi19rocblas_complex_numIdELi16ELi32ELi8ELb1ELb0ELc67ELc76EKS1_S1_EviT_T0_PT8_S3_lS6_S3_lS4_PT9_S3_li,comdat
	.globl	_ZL34rocblas_syrkx_herkx_general_kernelIi19rocblas_complex_numIdELi16ELi32ELi8ELb1ELb0ELc67ELc76EKS1_S1_EviT_T0_PT8_S3_lS6_S3_lS4_PT9_S3_li ; -- Begin function _ZL34rocblas_syrkx_herkx_general_kernelIi19rocblas_complex_numIdELi16ELi32ELi8ELb1ELb0ELc67ELc76EKS1_S1_EviT_T0_PT8_S3_lS6_S3_lS4_PT9_S3_li
	.p2align	8
	.type	_ZL34rocblas_syrkx_herkx_general_kernelIi19rocblas_complex_numIdELi16ELi32ELi8ELb1ELb0ELc67ELc76EKS1_S1_EviT_T0_PT8_S3_lS6_S3_lS4_PT9_S3_li,@function
_ZL34rocblas_syrkx_herkx_general_kernelIi19rocblas_complex_numIdELi16ELi32ELi8ELb1ELb0ELc67ELc76EKS1_S1_EviT_T0_PT8_S3_lS6_S3_lS4_PT9_S3_li: ; @_ZL34rocblas_syrkx_herkx_general_kernelIi19rocblas_complex_numIdELi16ELi32ELi8ELb1ELb0ELc67ELc76EKS1_S1_EviT_T0_PT8_S3_lS6_S3_lS4_PT9_S3_li
; %bb.0:
	s_load_dwordx2 s[10:11], s[4:5], 0x0
	s_load_dwordx4 s[12:15], s[4:5], 0x8
	s_load_dwordx2 s[20:21], s[4:5], 0x18
	s_lshl_b32 s9, s6, 5
	s_lshl_b32 s22, s7, 5
	s_waitcnt lgkmcnt(0)
	s_cmp_lt_i32 s11, 1
	s_mov_b32 s23, 0
	s_cbranch_scc1 .LBB294_9
; %bb.1:
	v_lshl_add_u32 v2, v1, 4, v0
	v_lshrrev_b32_e32 v28, 5, v2
	v_lshrrev_b32_e32 v3, 3, v2
	v_and_b32_e32 v2, 31, v2
	v_or_b32_e32 v5, s9, v2
	v_and_b32_e32 v27, 7, v0
	v_cmp_gt_i32_e64 s[0:1], s10, v5
	v_lshlrev_b32_e32 v5, 4, v2
	s_load_dword s2, s[4:5], 0x20
	s_load_dwordx4 s[16:19], s[4:5], 0x28
	s_load_dword s24, s[4:5], 0x38
	s_load_dwordx2 s[6:7], s[4:5], 0x40
	v_lshl_or_b32 v29, v28, 9, v5
	v_lshlrev_b32_e32 v5, 4, v27
	v_add_u32_e32 v4, s22, v3
	v_lshl_or_b32 v3, v3, 7, v5
	v_add_u32_e32 v2, s9, v2
	v_add_u32_e32 v30, 0x1000, v3
	s_waitcnt lgkmcnt(0)
	v_mad_i64_i32 v[2:3], s[2:3], s2, v2, 0
	s_mul_i32 s2, s17, s8
	s_mul_hi_u32 s3, s16, s8
	v_lshlrev_b64 v[2:3], 4, v[2:3]
	s_add_i32 s3, s3, s2
	s_mul_i32 s2, s16, s8
	v_mov_b32_e32 v6, 0x1000
	s_lshl_b64 s[2:3], s[2:3], 4
	v_lshl_add_u32 v32, v1, 7, v6
	v_mov_b32_e32 v6, s3
	v_add_co_u32_e64 v2, s[2:3], s2, v2
	v_addc_co_u32_e64 v3, s[2:3], v3, v6, s[2:3]
	v_lshlrev_b32_e32 v6, 4, v28
	v_add_co_u32_e64 v2, s[2:3], v2, v6
	v_addc_co_u32_e64 v3, s[2:3], 0, v3, s[2:3]
	v_mov_b32_e32 v6, s21
	v_add_co_u32_e64 v7, s[2:3], s20, v2
	v_addc_co_u32_e64 v6, s[2:3], v6, v3, s[2:3]
	v_mad_i64_i32 v[2:3], s[2:3], s24, v4, 0
	v_add_co_u32_e64 v7, s[2:3], 8, v7
	v_addc_co_u32_e64 v8, s[2:3], 0, v6, s[2:3]
	s_mul_i32 s2, s7, s8
	s_mul_hi_u32 s3, s6, s8
	v_lshlrev_b64 v[2:3], 4, v[2:3]
	s_add_i32 s3, s3, s2
	s_mul_i32 s2, s6, s8
	s_lshl_b64 s[2:3], s[2:3], 4
	v_cmp_gt_i32_e32 vcc, s10, v4
	v_mov_b32_e32 v4, s3
	v_add_co_u32_e64 v2, s[2:3], s2, v2
	v_addc_co_u32_e64 v3, s[2:3], v3, v4, s[2:3]
	v_add_co_u32_e64 v2, s[2:3], v2, v5
	v_addc_co_u32_e64 v3, s[2:3], 0, v3, s[2:3]
	v_mov_b32_e32 v4, s19
	v_add_co_u32_e64 v9, s[2:3], s18, v2
	v_addc_co_u32_e64 v10, s[2:3], v4, v3, s[2:3]
	v_mov_b32_e32 v23, 0
	v_mov_b32_e32 v25, 0
	v_mov_b32_e32 v21, 0
	v_mov_b32_e32 v17, 0
	v_mov_b32_e32 v13, 0
	v_mov_b32_e32 v11, 0
	v_mov_b32_e32 v19, 0
	v_mov_b32_e32 v15, 0
	v_lshlrev_b32_e32 v31, 4, v0
	v_mov_b32_e32 v24, 0
	s_xor_b64 s[2:3], vcc, -1
	v_mov_b32_e32 v26, 0
	v_mov_b32_e32 v22, 0
	v_mov_b32_e32 v18, 0
	v_mov_b32_e32 v14, 0
	v_mov_b32_e32 v12, 0
	v_mov_b32_e32 v20, 0
	v_mov_b32_e32 v16, 0
	v_mov_b32_e32 v2, 0
	s_branch .LBB294_3
.LBB294_2:                              ;   in Loop: Header=BB294_3 Depth=1
	s_or_b64 exec, exec, s[6:7]
	s_waitcnt lgkmcnt(0)
	s_barrier
	ds_read_b128 v[3:6], v32
	ds_read_b128 v[33:36], v32 offset:16
	ds_read_b128 v[37:40], v32 offset:32
	;; [unrolled: 1-line block ×3, first 2 shown]
	ds_read_b128 v[45:48], v31
	v_add_co_u32_e32 v7, vcc, 0x80, v7
	v_addc_co_u32_e32 v8, vcc, 0, v8, vcc
	s_waitcnt lgkmcnt(0)
	v_mul_f64 v[49:50], v[5:6], v[47:48]
	v_mul_f64 v[51:52], v[3:4], v[47:48]
	s_add_i32 s23, s23, 8
	v_add_co_u32_e32 v9, vcc, 0x80, v9
	v_addc_co_u32_e32 v10, vcc, 0, v10, vcc
	s_cmp_ge_i32 s23, s11
	v_fma_f64 v[49:50], v[3:4], v[45:46], -v[49:50]
	v_fma_f64 v[51:52], v[5:6], v[45:46], v[51:52]
	v_add_f64 v[15:16], v[15:16], v[49:50]
	v_add_f64 v[19:20], v[51:52], v[19:20]
	ds_read_b128 v[49:52], v31 offset:256
	s_waitcnt lgkmcnt(0)
	v_mul_f64 v[53:54], v[5:6], v[51:52]
	v_fma_f64 v[53:54], v[3:4], v[49:50], -v[53:54]
	v_mul_f64 v[3:4], v[3:4], v[51:52]
	v_add_f64 v[53:54], v[11:12], v[53:54]
	v_fma_f64 v[3:4], v[5:6], v[49:50], v[3:4]
	v_add_f64 v[55:56], v[3:4], v[13:14]
	ds_read_b128 v[3:6], v32 offset:2048
	s_waitcnt lgkmcnt(0)
	v_mul_f64 v[11:12], v[5:6], v[47:48]
	v_mul_f64 v[13:14], v[3:4], v[47:48]
	v_fma_f64 v[11:12], v[3:4], v[45:46], -v[11:12]
	v_fma_f64 v[13:14], v[5:6], v[45:46], v[13:14]
	v_add_f64 v[45:46], v[17:18], v[11:12]
	v_mul_f64 v[11:12], v[5:6], v[51:52]
	v_add_f64 v[21:22], v[13:14], v[21:22]
	v_fma_f64 v[11:12], v[3:4], v[49:50], -v[11:12]
	v_mul_f64 v[3:4], v[3:4], v[51:52]
	v_add_f64 v[25:26], v[25:26], v[11:12]
	v_fma_f64 v[3:4], v[5:6], v[49:50], v[3:4]
	v_add_f64 v[23:24], v[3:4], v[23:24]
	ds_read_b128 v[3:6], v31 offset:512
	s_waitcnt lgkmcnt(0)
	v_mul_f64 v[11:12], v[35:36], v[5:6]
	v_mul_f64 v[13:14], v[33:34], v[5:6]
	v_fma_f64 v[11:12], v[33:34], v[3:4], -v[11:12]
	v_fma_f64 v[13:14], v[35:36], v[3:4], v[13:14]
	v_add_f64 v[47:48], v[15:16], v[11:12]
	v_add_f64 v[19:20], v[13:14], v[19:20]
	ds_read_b128 v[11:14], v31 offset:768
	s_waitcnt lgkmcnt(0)
	v_mul_f64 v[15:16], v[35:36], v[13:14]
	v_mul_f64 v[17:18], v[33:34], v[13:14]
	v_fma_f64 v[15:16], v[33:34], v[11:12], -v[15:16]
	v_fma_f64 v[17:18], v[35:36], v[11:12], v[17:18]
	v_add_f64 v[33:34], v[53:54], v[15:16]
	v_add_f64 v[35:36], v[17:18], v[55:56]
	ds_read_b128 v[15:18], v32 offset:2064
	s_waitcnt lgkmcnt(0)
	v_mul_f64 v[49:50], v[17:18], v[5:6]
	v_mul_f64 v[5:6], v[15:16], v[5:6]
	v_fma_f64 v[49:50], v[15:16], v[3:4], -v[49:50]
	v_fma_f64 v[3:4], v[17:18], v[3:4], v[5:6]
	v_mul_f64 v[5:6], v[15:16], v[13:14]
	v_add_f64 v[45:46], v[45:46], v[49:50]
	v_add_f64 v[21:22], v[3:4], v[21:22]
	v_mul_f64 v[3:4], v[17:18], v[13:14]
	v_fma_f64 v[5:6], v[17:18], v[11:12], v[5:6]
	v_fma_f64 v[3:4], v[15:16], v[11:12], -v[3:4]
	v_add_f64 v[23:24], v[5:6], v[23:24]
	v_add_f64 v[25:26], v[25:26], v[3:4]
	ds_read_b128 v[3:6], v31 offset:1024
	s_waitcnt lgkmcnt(0)
	v_mul_f64 v[11:12], v[39:40], v[5:6]
	v_mul_f64 v[13:14], v[37:38], v[5:6]
	v_fma_f64 v[11:12], v[37:38], v[3:4], -v[11:12]
	v_fma_f64 v[13:14], v[39:40], v[3:4], v[13:14]
	v_add_f64 v[47:48], v[47:48], v[11:12]
	v_add_f64 v[19:20], v[13:14], v[19:20]
	ds_read_b128 v[11:14], v31 offset:1280
	s_waitcnt lgkmcnt(0)
	v_mul_f64 v[15:16], v[39:40], v[13:14]
	v_mul_f64 v[17:18], v[37:38], v[13:14]
	v_fma_f64 v[15:16], v[37:38], v[11:12], -v[15:16]
	v_fma_f64 v[17:18], v[39:40], v[11:12], v[17:18]
	v_add_f64 v[33:34], v[33:34], v[15:16]
	v_add_f64 v[35:36], v[17:18], v[35:36]
	ds_read_b128 v[15:18], v32 offset:2080
	s_waitcnt lgkmcnt(0)
	v_mul_f64 v[37:38], v[17:18], v[5:6]
	v_mul_f64 v[5:6], v[15:16], v[5:6]
	v_fma_f64 v[37:38], v[15:16], v[3:4], -v[37:38]
	v_fma_f64 v[3:4], v[17:18], v[3:4], v[5:6]
	v_mul_f64 v[5:6], v[15:16], v[13:14]
	v_add_f64 v[37:38], v[45:46], v[37:38]
	v_add_f64 v[21:22], v[3:4], v[21:22]
	v_mul_f64 v[3:4], v[17:18], v[13:14]
	v_fma_f64 v[5:6], v[17:18], v[11:12], v[5:6]
	v_fma_f64 v[3:4], v[15:16], v[11:12], -v[3:4]
	v_add_f64 v[23:24], v[5:6], v[23:24]
	;; [unrolled: 30-line block ×3, first 2 shown]
	v_add_f64 v[25:26], v[25:26], v[3:4]
	ds_read_b128 v[3:6], v32 offset:64
	ds_read_b128 v[11:14], v31 offset:2048
	s_waitcnt lgkmcnt(0)
	v_mul_f64 v[15:16], v[5:6], v[13:14]
	v_mul_f64 v[17:18], v[3:4], v[13:14]
	v_fma_f64 v[15:16], v[3:4], v[11:12], -v[15:16]
	v_fma_f64 v[17:18], v[5:6], v[11:12], v[17:18]
	v_add_f64 v[39:40], v[39:40], v[15:16]
	v_add_f64 v[19:20], v[17:18], v[19:20]
	ds_read_b128 v[15:18], v31 offset:2304
	s_waitcnt lgkmcnt(0)
	v_mul_f64 v[41:42], v[5:6], v[17:18]
	v_fma_f64 v[41:42], v[3:4], v[15:16], -v[41:42]
	v_mul_f64 v[3:4], v[3:4], v[17:18]
	v_add_f64 v[33:34], v[33:34], v[41:42]
	v_fma_f64 v[3:4], v[5:6], v[15:16], v[3:4]
	v_add_f64 v[35:36], v[3:4], v[35:36]
	ds_read_b128 v[3:6], v32 offset:2112
	s_waitcnt lgkmcnt(0)
	v_mul_f64 v[41:42], v[5:6], v[13:14]
	v_mul_f64 v[13:14], v[3:4], v[13:14]
	v_fma_f64 v[41:42], v[3:4], v[11:12], -v[41:42]
	v_fma_f64 v[11:12], v[5:6], v[11:12], v[13:14]
	v_add_f64 v[37:38], v[37:38], v[41:42]
	v_add_f64 v[21:22], v[11:12], v[21:22]
	v_mul_f64 v[11:12], v[5:6], v[17:18]
	v_fma_f64 v[11:12], v[3:4], v[15:16], -v[11:12]
	v_mul_f64 v[3:4], v[3:4], v[17:18]
	v_add_f64 v[25:26], v[25:26], v[11:12]
	v_fma_f64 v[3:4], v[5:6], v[15:16], v[3:4]
	v_add_f64 v[23:24], v[3:4], v[23:24]
	ds_read_b128 v[3:6], v32 offset:80
	ds_read_b128 v[11:14], v31 offset:2560
	s_waitcnt lgkmcnt(0)
	v_mul_f64 v[15:16], v[5:6], v[13:14]
	v_mul_f64 v[17:18], v[3:4], v[13:14]
	v_fma_f64 v[15:16], v[3:4], v[11:12], -v[15:16]
	v_fma_f64 v[17:18], v[5:6], v[11:12], v[17:18]
	v_add_f64 v[39:40], v[39:40], v[15:16]
	v_add_f64 v[19:20], v[17:18], v[19:20]
	ds_read_b128 v[15:18], v31 offset:2816
	s_waitcnt lgkmcnt(0)
	v_mul_f64 v[41:42], v[5:6], v[17:18]
	v_fma_f64 v[41:42], v[3:4], v[15:16], -v[41:42]
	v_mul_f64 v[3:4], v[3:4], v[17:18]
	v_add_f64 v[33:34], v[33:34], v[41:42]
	v_fma_f64 v[3:4], v[5:6], v[15:16], v[3:4]
	v_add_f64 v[35:36], v[3:4], v[35:36]
	ds_read_b128 v[3:6], v32 offset:2128
	s_waitcnt lgkmcnt(0)
	v_mul_f64 v[41:42], v[5:6], v[13:14]
	v_mul_f64 v[13:14], v[3:4], v[13:14]
	v_fma_f64 v[41:42], v[3:4], v[11:12], -v[41:42]
	v_fma_f64 v[11:12], v[5:6], v[11:12], v[13:14]
	v_add_f64 v[37:38], v[37:38], v[41:42]
	v_add_f64 v[21:22], v[11:12], v[21:22]
	v_mul_f64 v[11:12], v[5:6], v[17:18]
	v_fma_f64 v[11:12], v[3:4], v[15:16], -v[11:12]
	v_mul_f64 v[3:4], v[3:4], v[17:18]
	v_add_f64 v[25:26], v[25:26], v[11:12]
	v_fma_f64 v[3:4], v[5:6], v[15:16], v[3:4]
	;; [unrolled: 31-line block ×3, first 2 shown]
	v_add_f64 v[47:48], v[3:4], v[23:24]
	ds_read_b128 v[3:6], v32 offset:112
	ds_read_b128 v[21:24], v31 offset:3584
	;; [unrolled: 1-line block ×3, first 2 shown]
	s_waitcnt lgkmcnt(1)
	v_mul_f64 v[11:12], v[5:6], v[23:24]
	v_mul_f64 v[13:14], v[3:4], v[23:24]
	v_fma_f64 v[11:12], v[3:4], v[21:22], -v[11:12]
	v_fma_f64 v[13:14], v[5:6], v[21:22], v[13:14]
	v_add_f64 v[15:16], v[39:40], v[11:12]
	s_waitcnt lgkmcnt(0)
	v_mul_f64 v[11:12], v[5:6], v[35:36]
	v_add_f64 v[19:20], v[13:14], v[19:20]
	v_fma_f64 v[11:12], v[3:4], v[33:34], -v[11:12]
	v_mul_f64 v[3:4], v[3:4], v[35:36]
	v_add_f64 v[11:12], v[41:42], v[11:12]
	v_fma_f64 v[3:4], v[5:6], v[33:34], v[3:4]
	v_add_f64 v[13:14], v[3:4], v[43:44]
	ds_read_b128 v[3:6], v32 offset:2160
	s_waitcnt lgkmcnt(0)
	s_barrier
	v_mul_f64 v[17:18], v[5:6], v[23:24]
	v_mul_f64 v[23:24], v[3:4], v[23:24]
	v_fma_f64 v[17:18], v[3:4], v[21:22], -v[17:18]
	v_fma_f64 v[21:22], v[5:6], v[21:22], v[23:24]
	v_mul_f64 v[23:24], v[5:6], v[35:36]
	v_add_f64 v[17:18], v[37:38], v[17:18]
	v_add_f64 v[21:22], v[21:22], v[45:46]
	v_fma_f64 v[23:24], v[3:4], v[33:34], -v[23:24]
	v_mul_f64 v[3:4], v[3:4], v[35:36]
	v_add_f64 v[25:26], v[25:26], v[23:24]
	v_fma_f64 v[3:4], v[5:6], v[33:34], v[3:4]
	v_add_f64 v[23:24], v[3:4], v[47:48]
	s_cbranch_scc1 .LBB294_10
.LBB294_3:                              ; =>This Inner Loop Header: Depth=1
	v_add_u32_e32 v3, s23, v28
	v_cmp_gt_i32_e32 vcc, s11, v3
	v_mov_b32_e32 v3, 0
	v_mov_b32_e32 v5, 0
	;; [unrolled: 1-line block ×4, first 2 shown]
	s_and_b64 s[16:17], s[0:1], vcc
	s_and_saveexec_b64 s[6:7], s[16:17]
	s_cbranch_execz .LBB294_5
; %bb.4:                                ;   in Loop: Header=BB294_3 Depth=1
	global_load_dwordx4 v[3:6], v[7:8], off offset:-8
.LBB294_5:                              ;   in Loop: Header=BB294_3 Depth=1
	s_or_b64 exec, exec, s[6:7]
	s_waitcnt vmcnt(0)
	ds_write_b128 v29, v[3:6]
	v_add_u32_e32 v3, s23, v27
	v_cmp_le_i32_e32 vcc, s11, v3
	s_or_b64 s[6:7], vcc, s[2:3]
	s_and_saveexec_b64 s[16:17], s[6:7]
	s_xor_b64 s[6:7], exec, s[16:17]
; %bb.6:                                ;   in Loop: Header=BB294_3 Depth=1
	v_mov_b32_e32 v3, v2
	v_mov_b32_e32 v4, v2
	;; [unrolled: 1-line block ×3, first 2 shown]
	ds_write_b128 v30, v[2:5]
; %bb.7:                                ;   in Loop: Header=BB294_3 Depth=1
	s_andn2_saveexec_b64 s[6:7], s[6:7]
	s_cbranch_execz .LBB294_2
; %bb.8:                                ;   in Loop: Header=BB294_3 Depth=1
	global_load_dwordx4 v[3:6], v[9:10], off
	s_waitcnt vmcnt(0)
	ds_write2_b64 v30, v[3:4], v[5:6] offset1:1
	s_branch .LBB294_2
.LBB294_9:
	v_mov_b32_e32 v15, 0
	v_mov_b32_e32 v19, 0
	;; [unrolled: 1-line block ×16, first 2 shown]
.LBB294_10:
	s_load_dwordx2 s[0:1], s[4:5], 0x68
	s_load_dwordx2 s[2:3], s[4:5], 0x58
	s_load_dword s6, s[4:5], 0x60
	v_add_u32_e32 v4, s22, v1
	v_add_u32_e32 v0, s9, v0
	s_waitcnt lgkmcnt(0)
	s_mul_i32 s1, s1, s8
	s_mul_hi_u32 s4, s0, s8
	s_add_i32 s1, s4, s1
	v_mad_i64_i32 v[1:2], s[4:5], v4, s6, 0
	s_mul_i32 s0, s0, s8
	s_lshl_b64 s[0:1], s[0:1], 4
	s_add_u32 s7, s2, s0
	v_lshlrev_b64 v[1:2], 4, v[1:2]
	s_addc_u32 s8, s3, s1
	v_mov_b32_e32 v3, s8
	v_add_co_u32_e32 v5, vcc, s7, v1
	v_addc_co_u32_e32 v6, vcc, v3, v2, vcc
	v_cmp_le_i32_e64 s[0:1], v4, v0
	v_cmp_gt_i32_e32 vcc, s10, v0
	s_and_b64 s[0:1], s[0:1], vcc
	s_and_saveexec_b64 s[2:3], s[0:1]
	s_cbranch_execz .LBB294_12
; %bb.11:
	v_mul_f64 v[1:2], s[14:15], v[19:20]
	v_mul_f64 v[9:10], s[12:13], v[19:20]
	v_fma_f64 v[7:8], s[12:13], v[15:16], -v[1:2]
	v_fma_f64 v[9:10], s[14:15], v[15:16], v[9:10]
	v_ashrrev_i32_e32 v1, 31, v0
	v_lshlrev_b64 v[1:2], 4, v[0:1]
	v_add_co_u32_e64 v1, s[0:1], v5, v1
	v_addc_co_u32_e64 v2, s[0:1], v6, v2, s[0:1]
	global_store_dwordx4 v[1:2], v[7:10], off
.LBB294_12:
	s_or_b64 exec, exec, s[2:3]
	v_add_u32_e32 v2, 16, v0
	v_cmp_le_i32_e64 s[2:3], v4, v2
	v_cmp_gt_i32_e64 s[0:1], s10, v2
	s_and_b64 s[2:3], s[2:3], s[0:1]
	s_and_saveexec_b64 s[4:5], s[2:3]
	s_cbranch_execz .LBB294_14
; %bb.13:
	v_mul_f64 v[7:8], s[14:15], v[13:14]
	v_mul_f64 v[9:10], s[12:13], v[13:14]
	v_ashrrev_i32_e32 v3, 31, v2
	v_fma_f64 v[7:8], s[12:13], v[11:12], -v[7:8]
	v_fma_f64 v[9:10], s[14:15], v[11:12], v[9:10]
	v_lshlrev_b64 v[11:12], 4, v[2:3]
	v_add_co_u32_e64 v5, s[2:3], v5, v11
	v_addc_co_u32_e64 v6, s[2:3], v6, v12, s[2:3]
	global_store_dwordx4 v[5:6], v[7:10], off
.LBB294_14:
	s_or_b64 exec, exec, s[4:5]
	v_add_u32_e32 v3, 16, v4
	v_mad_i64_i32 v[4:5], s[2:3], v3, s6, 0
	v_mov_b32_e32 v1, s8
	v_lshlrev_b64 v[4:5], 4, v[4:5]
	v_add_co_u32_e64 v4, s[2:3], s7, v4
	v_addc_co_u32_e64 v5, s[2:3], v1, v5, s[2:3]
	v_cmp_le_i32_e64 s[2:3], v3, v0
	s_and_b64 s[4:5], s[2:3], vcc
	s_and_saveexec_b64 s[2:3], s[4:5]
	s_cbranch_execz .LBB294_16
; %bb.15:
	v_mul_f64 v[6:7], s[14:15], v[21:22]
	v_mul_f64 v[8:9], s[12:13], v[21:22]
	v_ashrrev_i32_e32 v1, 31, v0
	v_lshlrev_b64 v[0:1], 4, v[0:1]
	v_add_co_u32_e32 v0, vcc, v4, v0
	v_addc_co_u32_e32 v1, vcc, v5, v1, vcc
	v_fma_f64 v[6:7], s[12:13], v[17:18], -v[6:7]
	v_fma_f64 v[8:9], s[14:15], v[17:18], v[8:9]
	global_store_dwordx4 v[0:1], v[6:9], off
.LBB294_16:
	s_or_b64 exec, exec, s[2:3]
	v_cmp_le_i32_e32 vcc, v3, v2
	s_and_b64 s[0:1], vcc, s[0:1]
	s_and_saveexec_b64 s[2:3], s[0:1]
	s_cbranch_execz .LBB294_18
; %bb.17:
	v_mul_f64 v[0:1], s[14:15], v[23:24]
	v_mul_f64 v[8:9], s[12:13], v[23:24]
	v_ashrrev_i32_e32 v3, 31, v2
	v_fma_f64 v[6:7], s[12:13], v[25:26], -v[0:1]
	v_fma_f64 v[8:9], s[14:15], v[25:26], v[8:9]
	v_lshlrev_b64 v[0:1], 4, v[2:3]
	v_add_co_u32_e32 v0, vcc, v4, v0
	v_addc_co_u32_e32 v1, vcc, v5, v1, vcc
	global_store_dwordx4 v[0:1], v[6:9], off
.LBB294_18:
	s_endpgm
	.section	.rodata,"a",@progbits
	.p2align	6, 0x0
	.amdhsa_kernel _ZL34rocblas_syrkx_herkx_general_kernelIi19rocblas_complex_numIdELi16ELi32ELi8ELb1ELb0ELc67ELc76EKS1_S1_EviT_T0_PT8_S3_lS6_S3_lS4_PT9_S3_li
		.amdhsa_group_segment_fixed_size 8192
		.amdhsa_private_segment_fixed_size 0
		.amdhsa_kernarg_size 116
		.amdhsa_user_sgpr_count 6
		.amdhsa_user_sgpr_private_segment_buffer 1
		.amdhsa_user_sgpr_dispatch_ptr 0
		.amdhsa_user_sgpr_queue_ptr 0
		.amdhsa_user_sgpr_kernarg_segment_ptr 1
		.amdhsa_user_sgpr_dispatch_id 0
		.amdhsa_user_sgpr_flat_scratch_init 0
		.amdhsa_user_sgpr_private_segment_size 0
		.amdhsa_uses_dynamic_stack 0
		.amdhsa_system_sgpr_private_segment_wavefront_offset 0
		.amdhsa_system_sgpr_workgroup_id_x 1
		.amdhsa_system_sgpr_workgroup_id_y 1
		.amdhsa_system_sgpr_workgroup_id_z 1
		.amdhsa_system_sgpr_workgroup_info 0
		.amdhsa_system_vgpr_workitem_id 1
		.amdhsa_next_free_vgpr 57
		.amdhsa_next_free_sgpr 61
		.amdhsa_reserve_vcc 1
		.amdhsa_reserve_flat_scratch 0
		.amdhsa_float_round_mode_32 0
		.amdhsa_float_round_mode_16_64 0
		.amdhsa_float_denorm_mode_32 3
		.amdhsa_float_denorm_mode_16_64 3
		.amdhsa_dx10_clamp 1
		.amdhsa_ieee_mode 1
		.amdhsa_fp16_overflow 0
		.amdhsa_exception_fp_ieee_invalid_op 0
		.amdhsa_exception_fp_denorm_src 0
		.amdhsa_exception_fp_ieee_div_zero 0
		.amdhsa_exception_fp_ieee_overflow 0
		.amdhsa_exception_fp_ieee_underflow 0
		.amdhsa_exception_fp_ieee_inexact 0
		.amdhsa_exception_int_div_zero 0
	.end_amdhsa_kernel
	.section	.text._ZL34rocblas_syrkx_herkx_general_kernelIi19rocblas_complex_numIdELi16ELi32ELi8ELb1ELb0ELc67ELc76EKS1_S1_EviT_T0_PT8_S3_lS6_S3_lS4_PT9_S3_li,"axG",@progbits,_ZL34rocblas_syrkx_herkx_general_kernelIi19rocblas_complex_numIdELi16ELi32ELi8ELb1ELb0ELc67ELc76EKS1_S1_EviT_T0_PT8_S3_lS6_S3_lS4_PT9_S3_li,comdat
.Lfunc_end294:
	.size	_ZL34rocblas_syrkx_herkx_general_kernelIi19rocblas_complex_numIdELi16ELi32ELi8ELb1ELb0ELc67ELc76EKS1_S1_EviT_T0_PT8_S3_lS6_S3_lS4_PT9_S3_li, .Lfunc_end294-_ZL34rocblas_syrkx_herkx_general_kernelIi19rocblas_complex_numIdELi16ELi32ELi8ELb1ELb0ELc67ELc76EKS1_S1_EviT_T0_PT8_S3_lS6_S3_lS4_PT9_S3_li
                                        ; -- End function
	.set _ZL34rocblas_syrkx_herkx_general_kernelIi19rocblas_complex_numIdELi16ELi32ELi8ELb1ELb0ELc67ELc76EKS1_S1_EviT_T0_PT8_S3_lS6_S3_lS4_PT9_S3_li.num_vgpr, 57
	.set _ZL34rocblas_syrkx_herkx_general_kernelIi19rocblas_complex_numIdELi16ELi32ELi8ELb1ELb0ELc67ELc76EKS1_S1_EviT_T0_PT8_S3_lS6_S3_lS4_PT9_S3_li.num_agpr, 0
	.set _ZL34rocblas_syrkx_herkx_general_kernelIi19rocblas_complex_numIdELi16ELi32ELi8ELb1ELb0ELc67ELc76EKS1_S1_EviT_T0_PT8_S3_lS6_S3_lS4_PT9_S3_li.numbered_sgpr, 25
	.set _ZL34rocblas_syrkx_herkx_general_kernelIi19rocblas_complex_numIdELi16ELi32ELi8ELb1ELb0ELc67ELc76EKS1_S1_EviT_T0_PT8_S3_lS6_S3_lS4_PT9_S3_li.num_named_barrier, 0
	.set _ZL34rocblas_syrkx_herkx_general_kernelIi19rocblas_complex_numIdELi16ELi32ELi8ELb1ELb0ELc67ELc76EKS1_S1_EviT_T0_PT8_S3_lS6_S3_lS4_PT9_S3_li.private_seg_size, 0
	.set _ZL34rocblas_syrkx_herkx_general_kernelIi19rocblas_complex_numIdELi16ELi32ELi8ELb1ELb0ELc67ELc76EKS1_S1_EviT_T0_PT8_S3_lS6_S3_lS4_PT9_S3_li.uses_vcc, 1
	.set _ZL34rocblas_syrkx_herkx_general_kernelIi19rocblas_complex_numIdELi16ELi32ELi8ELb1ELb0ELc67ELc76EKS1_S1_EviT_T0_PT8_S3_lS6_S3_lS4_PT9_S3_li.uses_flat_scratch, 0
	.set _ZL34rocblas_syrkx_herkx_general_kernelIi19rocblas_complex_numIdELi16ELi32ELi8ELb1ELb0ELc67ELc76EKS1_S1_EviT_T0_PT8_S3_lS6_S3_lS4_PT9_S3_li.has_dyn_sized_stack, 0
	.set _ZL34rocblas_syrkx_herkx_general_kernelIi19rocblas_complex_numIdELi16ELi32ELi8ELb1ELb0ELc67ELc76EKS1_S1_EviT_T0_PT8_S3_lS6_S3_lS4_PT9_S3_li.has_recursion, 0
	.set _ZL34rocblas_syrkx_herkx_general_kernelIi19rocblas_complex_numIdELi16ELi32ELi8ELb1ELb0ELc67ELc76EKS1_S1_EviT_T0_PT8_S3_lS6_S3_lS4_PT9_S3_li.has_indirect_call, 0
	.section	.AMDGPU.csdata,"",@progbits
; Kernel info:
; codeLenInByte = 3096
; TotalNumSgprs: 29
; NumVgprs: 57
; ScratchSize: 0
; MemoryBound: 1
; FloatMode: 240
; IeeeMode: 1
; LDSByteSize: 8192 bytes/workgroup (compile time only)
; SGPRBlocks: 8
; VGPRBlocks: 14
; NumSGPRsForWavesPerEU: 65
; NumVGPRsForWavesPerEU: 57
; Occupancy: 4
; WaveLimiterHint : 0
; COMPUTE_PGM_RSRC2:SCRATCH_EN: 0
; COMPUTE_PGM_RSRC2:USER_SGPR: 6
; COMPUTE_PGM_RSRC2:TRAP_HANDLER: 0
; COMPUTE_PGM_RSRC2:TGID_X_EN: 1
; COMPUTE_PGM_RSRC2:TGID_Y_EN: 1
; COMPUTE_PGM_RSRC2:TGID_Z_EN: 1
; COMPUTE_PGM_RSRC2:TIDIG_COMP_CNT: 1
	.section	.text._ZL34rocblas_syrkx_herkx_general_kernelIi19rocblas_complex_numIdELi16ELi32ELi8ELb1ELb0ELc78ELc76EKS1_S1_EviT_T0_PT8_S3_lS6_S3_lS4_PT9_S3_li,"axG",@progbits,_ZL34rocblas_syrkx_herkx_general_kernelIi19rocblas_complex_numIdELi16ELi32ELi8ELb1ELb0ELc78ELc76EKS1_S1_EviT_T0_PT8_S3_lS6_S3_lS4_PT9_S3_li,comdat
	.globl	_ZL34rocblas_syrkx_herkx_general_kernelIi19rocblas_complex_numIdELi16ELi32ELi8ELb1ELb0ELc78ELc76EKS1_S1_EviT_T0_PT8_S3_lS6_S3_lS4_PT9_S3_li ; -- Begin function _ZL34rocblas_syrkx_herkx_general_kernelIi19rocblas_complex_numIdELi16ELi32ELi8ELb1ELb0ELc78ELc76EKS1_S1_EviT_T0_PT8_S3_lS6_S3_lS4_PT9_S3_li
	.p2align	8
	.type	_ZL34rocblas_syrkx_herkx_general_kernelIi19rocblas_complex_numIdELi16ELi32ELi8ELb1ELb0ELc78ELc76EKS1_S1_EviT_T0_PT8_S3_lS6_S3_lS4_PT9_S3_li,@function
_ZL34rocblas_syrkx_herkx_general_kernelIi19rocblas_complex_numIdELi16ELi32ELi8ELb1ELb0ELc78ELc76EKS1_S1_EviT_T0_PT8_S3_lS6_S3_lS4_PT9_S3_li: ; @_ZL34rocblas_syrkx_herkx_general_kernelIi19rocblas_complex_numIdELi16ELi32ELi8ELb1ELb0ELc78ELc76EKS1_S1_EviT_T0_PT8_S3_lS6_S3_lS4_PT9_S3_li
; %bb.0:
	s_load_dwordx2 s[10:11], s[4:5], 0x0
	s_load_dwordx4 s[12:15], s[4:5], 0x8
	s_load_dwordx2 s[20:21], s[4:5], 0x18
	s_lshl_b32 s9, s6, 5
	s_lshl_b32 s22, s7, 5
	s_waitcnt lgkmcnt(0)
	s_cmp_lt_i32 s11, 1
	s_mov_b32 s23, 0
	s_cbranch_scc1 .LBB295_9
; %bb.1:
	v_lshl_add_u32 v3, v1, 4, v0
	v_and_b32_e32 v6, 31, v3
	v_lshrrev_b32_e32 v28, 5, v3
	v_lshrrev_b32_e32 v4, 3, v3
	v_or_b32_e32 v3, s9, v6
	s_load_dword s6, s[4:5], 0x20
	s_load_dword s24, s[4:5], 0x38
	s_load_dwordx2 s[26:27], s[4:5], 0x40
	s_load_dwordx4 s[16:19], s[4:5], 0x28
	v_and_b32_e32 v27, 7, v0
	v_cmp_gt_i32_e64 s[0:1], s10, v3
	v_lshlrev_b32_e32 v3, 4, v6
	v_lshl_or_b32 v29, v28, 9, v3
	v_lshlrev_b32_e32 v3, 4, v27
	v_add_u32_e32 v2, s22, v4
	v_lshl_or_b32 v3, v4, 7, v3
	s_waitcnt lgkmcnt(0)
	v_mad_i64_i32 v[4:5], s[2:3], v28, s6, 0
	s_mul_i32 s2, s17, s8
	s_mul_hi_u32 s3, s16, s8
	v_lshlrev_b64 v[4:5], 4, v[4:5]
	s_add_i32 s3, s3, s2
	s_mul_i32 s2, s16, s8
	v_mov_b32_e32 v7, 0x1000
	s_lshl_b64 s[2:3], s[2:3], 4
	v_lshl_add_u32 v32, v1, 7, v7
	v_mov_b32_e32 v7, s3
	v_add_co_u32_e64 v8, s[2:3], s2, v4
	v_add_u32_e32 v4, s9, v6
	v_addc_co_u32_e64 v7, s[2:3], v5, v7, s[2:3]
	v_ashrrev_i32_e32 v5, 31, v4
	v_lshlrev_b64 v[4:5], 4, v[4:5]
	v_mov_b32_e32 v6, s21
	v_add_co_u32_e64 v4, s[2:3], v8, v4
	v_addc_co_u32_e64 v5, s[2:3], v7, v5, s[2:3]
	v_add_co_u32_e64 v7, s[2:3], s20, v4
	v_addc_co_u32_e64 v8, s[2:3], v6, v5, s[2:3]
	v_mad_i64_i32 v[4:5], s[2:3], s24, v27, 0
	s_mul_i32 s16, s27, s8
	s_mul_hi_u32 s17, s26, s8
	s_add_i32 s3, s17, s16
	s_mul_i32 s2, s26, s8
	v_lshlrev_b64 v[4:5], 4, v[4:5]
	v_add_u32_e32 v30, 0x1000, v3
	v_ashrrev_i32_e32 v3, 31, v2
	s_lshl_b64 s[2:3], s[2:3], 4
	v_cmp_gt_i32_e32 vcc, s10, v2
	v_mov_b32_e32 v6, s3
	v_add_co_u32_e64 v4, s[2:3], s2, v4
	v_lshlrev_b64 v[2:3], 4, v[2:3]
	v_addc_co_u32_e64 v5, s[2:3], v6, v5, s[2:3]
	v_add_co_u32_e64 v2, s[2:3], v4, v2
	v_addc_co_u32_e64 v3, s[2:3], v5, v3, s[2:3]
	v_mov_b32_e32 v4, s19
	v_add_co_u32_e64 v2, s[2:3], s18, v2
	v_addc_co_u32_e64 v3, s[2:3], v4, v3, s[2:3]
	v_add_co_u32_e64 v9, s[2:3], 8, v2
	s_ashr_i32 s7, s6, 31
	s_ashr_i32 s25, s24, 31
	v_addc_co_u32_e64 v10, s[2:3], 0, v3, s[2:3]
	s_lshl_b64 s[6:7], s[6:7], 7
	s_lshl_b64 s[2:3], s[24:25], 7
	v_mov_b32_e32 v23, 0
	v_mov_b32_e32 v25, 0
	;; [unrolled: 1-line block ×8, first 2 shown]
	v_lshlrev_b32_e32 v31, 4, v0
	v_mov_b32_e32 v24, 0
	s_xor_b64 s[16:17], s[0:1], -1
	v_mov_b32_e32 v33, s7
	v_mov_b32_e32 v34, s3
	;; [unrolled: 1-line block ×10, first 2 shown]
	s_branch .LBB295_3
.LBB295_2:                              ;   in Loop: Header=BB295_3 Depth=1
	s_or_b64 exec, exec, s[0:1]
	s_waitcnt vmcnt(0)
	ds_write_b128 v30, v[3:6]
	s_waitcnt lgkmcnt(0)
	s_barrier
	ds_read_b128 v[3:6], v32
	ds_read_b128 v[35:38], v32 offset:16
	ds_read_b128 v[39:42], v32 offset:32
	ds_read_b128 v[43:46], v32 offset:48
	ds_read_b128 v[47:50], v31
	v_add_co_u32_e64 v7, s[0:1], s6, v7
	v_addc_co_u32_e64 v8, s[0:1], v8, v33, s[0:1]
	s_waitcnt lgkmcnt(0)
	v_mul_f64 v[51:52], v[5:6], v[49:50]
	v_mul_f64 v[53:54], v[3:4], v[49:50]
	s_add_i32 s23, s23, 8
	v_add_co_u32_e64 v9, s[0:1], s2, v9
	v_addc_co_u32_e64 v10, s[0:1], v10, v34, s[0:1]
	s_cmp_ge_i32 s23, s11
	v_fma_f64 v[51:52], v[3:4], v[47:48], -v[51:52]
	v_fma_f64 v[53:54], v[5:6], v[47:48], v[53:54]
	v_add_f64 v[51:52], v[15:16], v[51:52]
	v_add_f64 v[53:54], v[53:54], v[17:18]
	ds_read_b128 v[15:18], v31 offset:256
	s_waitcnt lgkmcnt(0)
	v_mul_f64 v[55:56], v[5:6], v[17:18]
	v_fma_f64 v[55:56], v[3:4], v[15:16], -v[55:56]
	v_mul_f64 v[3:4], v[3:4], v[17:18]
	v_add_f64 v[55:56], v[11:12], v[55:56]
	v_fma_f64 v[3:4], v[5:6], v[15:16], v[3:4]
	v_add_f64 v[57:58], v[3:4], v[13:14]
	ds_read_b128 v[3:6], v32 offset:2048
	s_waitcnt lgkmcnt(0)
	v_mul_f64 v[11:12], v[5:6], v[49:50]
	v_mul_f64 v[13:14], v[3:4], v[49:50]
	v_fma_f64 v[11:12], v[3:4], v[47:48], -v[11:12]
	v_fma_f64 v[13:14], v[5:6], v[47:48], v[13:14]
	v_add_f64 v[19:20], v[19:20], v[11:12]
	v_mul_f64 v[11:12], v[5:6], v[17:18]
	v_add_f64 v[21:22], v[13:14], v[21:22]
	v_fma_f64 v[11:12], v[3:4], v[15:16], -v[11:12]
	v_mul_f64 v[3:4], v[3:4], v[17:18]
	v_add_f64 v[25:26], v[25:26], v[11:12]
	v_fma_f64 v[3:4], v[5:6], v[15:16], v[3:4]
	v_add_f64 v[23:24], v[3:4], v[23:24]
	ds_read_b128 v[3:6], v31 offset:512
	s_waitcnt lgkmcnt(0)
	v_mul_f64 v[11:12], v[37:38], v[5:6]
	v_mul_f64 v[13:14], v[35:36], v[5:6]
	v_fma_f64 v[11:12], v[35:36], v[3:4], -v[11:12]
	v_fma_f64 v[13:14], v[37:38], v[3:4], v[13:14]
	v_add_f64 v[47:48], v[51:52], v[11:12]
	v_add_f64 v[49:50], v[13:14], v[53:54]
	ds_read_b128 v[11:14], v31 offset:768
	s_waitcnt lgkmcnt(0)
	v_mul_f64 v[15:16], v[37:38], v[13:14]
	v_mul_f64 v[17:18], v[35:36], v[13:14]
	v_fma_f64 v[15:16], v[35:36], v[11:12], -v[15:16]
	v_fma_f64 v[17:18], v[37:38], v[11:12], v[17:18]
	v_add_f64 v[35:36], v[55:56], v[15:16]
	v_add_f64 v[37:38], v[17:18], v[57:58]
	ds_read_b128 v[15:18], v32 offset:2064
	s_waitcnt lgkmcnt(0)
	v_mul_f64 v[51:52], v[17:18], v[5:6]
	v_mul_f64 v[5:6], v[15:16], v[5:6]
	v_fma_f64 v[51:52], v[15:16], v[3:4], -v[51:52]
	v_fma_f64 v[3:4], v[17:18], v[3:4], v[5:6]
	v_mul_f64 v[5:6], v[15:16], v[13:14]
	v_add_f64 v[19:20], v[19:20], v[51:52]
	v_add_f64 v[21:22], v[3:4], v[21:22]
	v_mul_f64 v[3:4], v[17:18], v[13:14]
	v_fma_f64 v[5:6], v[17:18], v[11:12], v[5:6]
	v_fma_f64 v[3:4], v[15:16], v[11:12], -v[3:4]
	v_add_f64 v[23:24], v[5:6], v[23:24]
	v_add_f64 v[25:26], v[25:26], v[3:4]
	ds_read_b128 v[3:6], v31 offset:1024
	s_waitcnt lgkmcnt(0)
	v_mul_f64 v[11:12], v[41:42], v[5:6]
	v_mul_f64 v[13:14], v[39:40], v[5:6]
	v_fma_f64 v[11:12], v[39:40], v[3:4], -v[11:12]
	v_fma_f64 v[13:14], v[41:42], v[3:4], v[13:14]
	v_add_f64 v[47:48], v[47:48], v[11:12]
	v_add_f64 v[49:50], v[13:14], v[49:50]
	ds_read_b128 v[11:14], v31 offset:1280
	s_waitcnt lgkmcnt(0)
	v_mul_f64 v[15:16], v[41:42], v[13:14]
	v_mul_f64 v[17:18], v[39:40], v[13:14]
	v_fma_f64 v[15:16], v[39:40], v[11:12], -v[15:16]
	v_fma_f64 v[17:18], v[41:42], v[11:12], v[17:18]
	v_add_f64 v[35:36], v[35:36], v[15:16]
	v_add_f64 v[37:38], v[17:18], v[37:38]
	ds_read_b128 v[15:18], v32 offset:2080
	s_waitcnt lgkmcnt(0)
	v_mul_f64 v[39:40], v[17:18], v[5:6]
	v_mul_f64 v[5:6], v[15:16], v[5:6]
	v_fma_f64 v[39:40], v[15:16], v[3:4], -v[39:40]
	v_fma_f64 v[3:4], v[17:18], v[3:4], v[5:6]
	v_mul_f64 v[5:6], v[15:16], v[13:14]
	v_add_f64 v[19:20], v[19:20], v[39:40]
	v_add_f64 v[21:22], v[3:4], v[21:22]
	v_mul_f64 v[3:4], v[17:18], v[13:14]
	v_fma_f64 v[5:6], v[17:18], v[11:12], v[5:6]
	v_fma_f64 v[3:4], v[15:16], v[11:12], -v[3:4]
	v_add_f64 v[23:24], v[5:6], v[23:24]
	;; [unrolled: 30-line block ×3, first 2 shown]
	v_add_f64 v[25:26], v[25:26], v[3:4]
	ds_read_b128 v[3:6], v32 offset:64
	ds_read_b128 v[11:14], v31 offset:2048
	s_waitcnt lgkmcnt(0)
	v_mul_f64 v[15:16], v[5:6], v[13:14]
	v_mul_f64 v[17:18], v[3:4], v[13:14]
	v_fma_f64 v[15:16], v[3:4], v[11:12], -v[15:16]
	v_fma_f64 v[17:18], v[5:6], v[11:12], v[17:18]
	v_add_f64 v[39:40], v[39:40], v[15:16]
	v_add_f64 v[41:42], v[17:18], v[41:42]
	ds_read_b128 v[15:18], v31 offset:2304
	s_waitcnt lgkmcnt(0)
	v_mul_f64 v[43:44], v[5:6], v[17:18]
	v_fma_f64 v[43:44], v[3:4], v[15:16], -v[43:44]
	v_mul_f64 v[3:4], v[3:4], v[17:18]
	v_add_f64 v[35:36], v[35:36], v[43:44]
	v_fma_f64 v[3:4], v[5:6], v[15:16], v[3:4]
	v_add_f64 v[37:38], v[3:4], v[37:38]
	ds_read_b128 v[3:6], v32 offset:2112
	s_waitcnt lgkmcnt(0)
	v_mul_f64 v[43:44], v[5:6], v[13:14]
	v_mul_f64 v[13:14], v[3:4], v[13:14]
	v_fma_f64 v[43:44], v[3:4], v[11:12], -v[43:44]
	v_fma_f64 v[11:12], v[5:6], v[11:12], v[13:14]
	v_add_f64 v[19:20], v[19:20], v[43:44]
	v_add_f64 v[21:22], v[11:12], v[21:22]
	v_mul_f64 v[11:12], v[5:6], v[17:18]
	v_fma_f64 v[11:12], v[3:4], v[15:16], -v[11:12]
	v_mul_f64 v[3:4], v[3:4], v[17:18]
	v_add_f64 v[25:26], v[25:26], v[11:12]
	v_fma_f64 v[3:4], v[5:6], v[15:16], v[3:4]
	v_add_f64 v[23:24], v[3:4], v[23:24]
	ds_read_b128 v[3:6], v32 offset:80
	ds_read_b128 v[11:14], v31 offset:2560
	s_waitcnt lgkmcnt(0)
	v_mul_f64 v[15:16], v[5:6], v[13:14]
	v_mul_f64 v[17:18], v[3:4], v[13:14]
	v_fma_f64 v[15:16], v[3:4], v[11:12], -v[15:16]
	v_fma_f64 v[17:18], v[5:6], v[11:12], v[17:18]
	v_add_f64 v[39:40], v[39:40], v[15:16]
	v_add_f64 v[41:42], v[17:18], v[41:42]
	ds_read_b128 v[15:18], v31 offset:2816
	s_waitcnt lgkmcnt(0)
	v_mul_f64 v[43:44], v[5:6], v[17:18]
	v_fma_f64 v[43:44], v[3:4], v[15:16], -v[43:44]
	v_mul_f64 v[3:4], v[3:4], v[17:18]
	v_add_f64 v[35:36], v[35:36], v[43:44]
	v_fma_f64 v[3:4], v[5:6], v[15:16], v[3:4]
	v_add_f64 v[37:38], v[3:4], v[37:38]
	ds_read_b128 v[3:6], v32 offset:2128
	s_waitcnt lgkmcnt(0)
	v_mul_f64 v[43:44], v[5:6], v[13:14]
	v_mul_f64 v[13:14], v[3:4], v[13:14]
	v_fma_f64 v[43:44], v[3:4], v[11:12], -v[43:44]
	v_fma_f64 v[11:12], v[5:6], v[11:12], v[13:14]
	v_add_f64 v[19:20], v[19:20], v[43:44]
	v_add_f64 v[21:22], v[11:12], v[21:22]
	v_mul_f64 v[11:12], v[5:6], v[17:18]
	v_fma_f64 v[11:12], v[3:4], v[15:16], -v[11:12]
	v_mul_f64 v[3:4], v[3:4], v[17:18]
	v_add_f64 v[25:26], v[25:26], v[11:12]
	v_fma_f64 v[3:4], v[5:6], v[15:16], v[3:4]
	;; [unrolled: 31-line block ×3, first 2 shown]
	v_add_f64 v[49:50], v[3:4], v[23:24]
	ds_read_b128 v[3:6], v32 offset:112
	ds_read_b128 v[19:22], v31 offset:3584
	;; [unrolled: 1-line block ×3, first 2 shown]
	s_waitcnt lgkmcnt(1)
	v_mul_f64 v[11:12], v[5:6], v[21:22]
	v_mul_f64 v[13:14], v[3:4], v[21:22]
	v_fma_f64 v[11:12], v[3:4], v[19:20], -v[11:12]
	v_fma_f64 v[13:14], v[5:6], v[19:20], v[13:14]
	v_add_f64 v[15:16], v[39:40], v[11:12]
	s_waitcnt lgkmcnt(0)
	v_mul_f64 v[11:12], v[5:6], v[25:26]
	v_add_f64 v[17:18], v[13:14], v[41:42]
	v_fma_f64 v[11:12], v[3:4], v[23:24], -v[11:12]
	v_mul_f64 v[3:4], v[3:4], v[25:26]
	v_add_f64 v[11:12], v[35:36], v[11:12]
	v_fma_f64 v[3:4], v[5:6], v[23:24], v[3:4]
	v_add_f64 v[13:14], v[3:4], v[37:38]
	ds_read_b128 v[3:6], v32 offset:2160
	s_waitcnt lgkmcnt(0)
	s_barrier
	v_mul_f64 v[35:36], v[5:6], v[21:22]
	v_mul_f64 v[21:22], v[3:4], v[21:22]
	v_fma_f64 v[35:36], v[3:4], v[19:20], -v[35:36]
	v_fma_f64 v[21:22], v[5:6], v[19:20], v[21:22]
	v_add_f64 v[19:20], v[43:44], v[35:36]
	v_mul_f64 v[35:36], v[5:6], v[25:26]
	v_add_f64 v[21:22], v[21:22], v[45:46]
	v_fma_f64 v[35:36], v[3:4], v[23:24], -v[35:36]
	v_mul_f64 v[3:4], v[3:4], v[25:26]
	v_add_f64 v[25:26], v[47:48], v[35:36]
	v_fma_f64 v[3:4], v[5:6], v[23:24], v[3:4]
	v_add_f64 v[23:24], v[3:4], v[49:50]
	s_cbranch_scc1 .LBB295_10
.LBB295_3:                              ; =>This Inner Loop Header: Depth=1
	v_add_u32_e32 v3, s23, v28
	v_cmp_le_i32_e64 s[0:1], s11, v3
	s_or_b64 s[0:1], s[16:17], s[0:1]
	s_and_saveexec_b64 s[18:19], s[0:1]
	s_xor_b64 s[0:1], exec, s[18:19]
; %bb.4:                                ;   in Loop: Header=BB295_3 Depth=1
	v_mov_b32_e32 v3, v2
	v_mov_b32_e32 v4, v2
	;; [unrolled: 1-line block ×3, first 2 shown]
	ds_write_b128 v29, v[2:5]
; %bb.5:                                ;   in Loop: Header=BB295_3 Depth=1
	s_andn2_saveexec_b64 s[0:1], s[0:1]
	s_cbranch_execz .LBB295_7
; %bb.6:                                ;   in Loop: Header=BB295_3 Depth=1
	global_load_dwordx4 v[3:6], v[7:8], off
	s_waitcnt vmcnt(0)
	ds_write2_b64 v29, v[3:4], v[5:6] offset1:1
.LBB295_7:                              ;   in Loop: Header=BB295_3 Depth=1
	s_or_b64 exec, exec, s[0:1]
	v_add_u32_e32 v3, s23, v27
	v_cmp_gt_i32_e64 s[0:1], s11, v3
	v_mov_b32_e32 v3, 0
	v_mov_b32_e32 v5, 0
	v_mov_b32_e32 v4, 0
	v_mov_b32_e32 v6, 0
	s_and_b64 s[18:19], s[0:1], vcc
	s_and_saveexec_b64 s[0:1], s[18:19]
	s_cbranch_execz .LBB295_2
; %bb.8:                                ;   in Loop: Header=BB295_3 Depth=1
	global_load_dwordx4 v[3:6], v[9:10], off offset:-8
	s_branch .LBB295_2
.LBB295_9:
	v_mov_b32_e32 v15, 0
	v_mov_b32_e32 v17, 0
	;; [unrolled: 1-line block ×16, first 2 shown]
.LBB295_10:
	s_load_dwordx2 s[0:1], s[4:5], 0x68
	s_load_dwordx2 s[2:3], s[4:5], 0x58
	s_load_dword s6, s[4:5], 0x60
	v_add_u32_e32 v4, s22, v1
	v_add_u32_e32 v0, s9, v0
	s_waitcnt lgkmcnt(0)
	s_mul_i32 s1, s1, s8
	s_mul_hi_u32 s4, s0, s8
	s_add_i32 s1, s4, s1
	v_mad_i64_i32 v[1:2], s[4:5], v4, s6, 0
	s_mul_i32 s0, s0, s8
	s_lshl_b64 s[0:1], s[0:1], 4
	s_add_u32 s7, s2, s0
	v_lshlrev_b64 v[1:2], 4, v[1:2]
	s_addc_u32 s8, s3, s1
	v_mov_b32_e32 v3, s8
	v_add_co_u32_e32 v5, vcc, s7, v1
	v_addc_co_u32_e32 v6, vcc, v3, v2, vcc
	v_cmp_le_i32_e64 s[0:1], v4, v0
	v_cmp_gt_i32_e32 vcc, s10, v0
	s_and_b64 s[0:1], s[0:1], vcc
	s_and_saveexec_b64 s[2:3], s[0:1]
	s_cbranch_execz .LBB295_12
; %bb.11:
	v_mul_f64 v[1:2], s[14:15], v[17:18]
	v_mul_f64 v[9:10], s[12:13], v[17:18]
	v_fma_f64 v[7:8], s[12:13], v[15:16], -v[1:2]
	v_fma_f64 v[9:10], s[14:15], v[15:16], v[9:10]
	v_ashrrev_i32_e32 v1, 31, v0
	v_lshlrev_b64 v[1:2], 4, v[0:1]
	v_add_co_u32_e64 v1, s[0:1], v5, v1
	v_addc_co_u32_e64 v2, s[0:1], v6, v2, s[0:1]
	global_store_dwordx4 v[1:2], v[7:10], off
.LBB295_12:
	s_or_b64 exec, exec, s[2:3]
	v_add_u32_e32 v2, 16, v0
	v_cmp_le_i32_e64 s[2:3], v4, v2
	v_cmp_gt_i32_e64 s[0:1], s10, v2
	s_and_b64 s[2:3], s[2:3], s[0:1]
	s_and_saveexec_b64 s[4:5], s[2:3]
	s_cbranch_execz .LBB295_14
; %bb.13:
	v_mul_f64 v[7:8], s[14:15], v[13:14]
	v_mul_f64 v[9:10], s[12:13], v[13:14]
	v_ashrrev_i32_e32 v3, 31, v2
	v_fma_f64 v[7:8], s[12:13], v[11:12], -v[7:8]
	v_fma_f64 v[9:10], s[14:15], v[11:12], v[9:10]
	v_lshlrev_b64 v[11:12], 4, v[2:3]
	v_add_co_u32_e64 v5, s[2:3], v5, v11
	v_addc_co_u32_e64 v6, s[2:3], v6, v12, s[2:3]
	global_store_dwordx4 v[5:6], v[7:10], off
.LBB295_14:
	s_or_b64 exec, exec, s[4:5]
	v_add_u32_e32 v3, 16, v4
	v_mad_i64_i32 v[4:5], s[2:3], v3, s6, 0
	v_mov_b32_e32 v1, s8
	v_lshlrev_b64 v[4:5], 4, v[4:5]
	v_add_co_u32_e64 v4, s[2:3], s7, v4
	v_addc_co_u32_e64 v5, s[2:3], v1, v5, s[2:3]
	v_cmp_le_i32_e64 s[2:3], v3, v0
	s_and_b64 s[4:5], s[2:3], vcc
	s_and_saveexec_b64 s[2:3], s[4:5]
	s_cbranch_execz .LBB295_16
; %bb.15:
	v_mul_f64 v[6:7], s[14:15], v[21:22]
	v_mul_f64 v[8:9], s[12:13], v[21:22]
	v_ashrrev_i32_e32 v1, 31, v0
	v_lshlrev_b64 v[0:1], 4, v[0:1]
	v_add_co_u32_e32 v0, vcc, v4, v0
	v_addc_co_u32_e32 v1, vcc, v5, v1, vcc
	v_fma_f64 v[6:7], s[12:13], v[19:20], -v[6:7]
	v_fma_f64 v[8:9], s[14:15], v[19:20], v[8:9]
	global_store_dwordx4 v[0:1], v[6:9], off
.LBB295_16:
	s_or_b64 exec, exec, s[2:3]
	v_cmp_le_i32_e32 vcc, v3, v2
	s_and_b64 s[0:1], vcc, s[0:1]
	s_and_saveexec_b64 s[2:3], s[0:1]
	s_cbranch_execz .LBB295_18
; %bb.17:
	v_mul_f64 v[0:1], s[14:15], v[23:24]
	v_mul_f64 v[8:9], s[12:13], v[23:24]
	v_ashrrev_i32_e32 v3, 31, v2
	v_fma_f64 v[6:7], s[12:13], v[25:26], -v[0:1]
	v_fma_f64 v[8:9], s[14:15], v[25:26], v[8:9]
	v_lshlrev_b64 v[0:1], 4, v[2:3]
	v_add_co_u32_e32 v0, vcc, v4, v0
	v_addc_co_u32_e32 v1, vcc, v5, v1, vcc
	global_store_dwordx4 v[0:1], v[6:9], off
.LBB295_18:
	s_endpgm
	.section	.rodata,"a",@progbits
	.p2align	6, 0x0
	.amdhsa_kernel _ZL34rocblas_syrkx_herkx_general_kernelIi19rocblas_complex_numIdELi16ELi32ELi8ELb1ELb0ELc78ELc76EKS1_S1_EviT_T0_PT8_S3_lS6_S3_lS4_PT9_S3_li
		.amdhsa_group_segment_fixed_size 8192
		.amdhsa_private_segment_fixed_size 0
		.amdhsa_kernarg_size 116
		.amdhsa_user_sgpr_count 6
		.amdhsa_user_sgpr_private_segment_buffer 1
		.amdhsa_user_sgpr_dispatch_ptr 0
		.amdhsa_user_sgpr_queue_ptr 0
		.amdhsa_user_sgpr_kernarg_segment_ptr 1
		.amdhsa_user_sgpr_dispatch_id 0
		.amdhsa_user_sgpr_flat_scratch_init 0
		.amdhsa_user_sgpr_private_segment_size 0
		.amdhsa_uses_dynamic_stack 0
		.amdhsa_system_sgpr_private_segment_wavefront_offset 0
		.amdhsa_system_sgpr_workgroup_id_x 1
		.amdhsa_system_sgpr_workgroup_id_y 1
		.amdhsa_system_sgpr_workgroup_id_z 1
		.amdhsa_system_sgpr_workgroup_info 0
		.amdhsa_system_vgpr_workitem_id 1
		.amdhsa_next_free_vgpr 59
		.amdhsa_next_free_sgpr 61
		.amdhsa_reserve_vcc 1
		.amdhsa_reserve_flat_scratch 0
		.amdhsa_float_round_mode_32 0
		.amdhsa_float_round_mode_16_64 0
		.amdhsa_float_denorm_mode_32 3
		.amdhsa_float_denorm_mode_16_64 3
		.amdhsa_dx10_clamp 1
		.amdhsa_ieee_mode 1
		.amdhsa_fp16_overflow 0
		.amdhsa_exception_fp_ieee_invalid_op 0
		.amdhsa_exception_fp_denorm_src 0
		.amdhsa_exception_fp_ieee_div_zero 0
		.amdhsa_exception_fp_ieee_overflow 0
		.amdhsa_exception_fp_ieee_underflow 0
		.amdhsa_exception_fp_ieee_inexact 0
		.amdhsa_exception_int_div_zero 0
	.end_amdhsa_kernel
	.section	.text._ZL34rocblas_syrkx_herkx_general_kernelIi19rocblas_complex_numIdELi16ELi32ELi8ELb1ELb0ELc78ELc76EKS1_S1_EviT_T0_PT8_S3_lS6_S3_lS4_PT9_S3_li,"axG",@progbits,_ZL34rocblas_syrkx_herkx_general_kernelIi19rocblas_complex_numIdELi16ELi32ELi8ELb1ELb0ELc78ELc76EKS1_S1_EviT_T0_PT8_S3_lS6_S3_lS4_PT9_S3_li,comdat
.Lfunc_end295:
	.size	_ZL34rocblas_syrkx_herkx_general_kernelIi19rocblas_complex_numIdELi16ELi32ELi8ELb1ELb0ELc78ELc76EKS1_S1_EviT_T0_PT8_S3_lS6_S3_lS4_PT9_S3_li, .Lfunc_end295-_ZL34rocblas_syrkx_herkx_general_kernelIi19rocblas_complex_numIdELi16ELi32ELi8ELb1ELb0ELc78ELc76EKS1_S1_EviT_T0_PT8_S3_lS6_S3_lS4_PT9_S3_li
                                        ; -- End function
	.set _ZL34rocblas_syrkx_herkx_general_kernelIi19rocblas_complex_numIdELi16ELi32ELi8ELb1ELb0ELc78ELc76EKS1_S1_EviT_T0_PT8_S3_lS6_S3_lS4_PT9_S3_li.num_vgpr, 59
	.set _ZL34rocblas_syrkx_herkx_general_kernelIi19rocblas_complex_numIdELi16ELi32ELi8ELb1ELb0ELc78ELc76EKS1_S1_EviT_T0_PT8_S3_lS6_S3_lS4_PT9_S3_li.num_agpr, 0
	.set _ZL34rocblas_syrkx_herkx_general_kernelIi19rocblas_complex_numIdELi16ELi32ELi8ELb1ELb0ELc78ELc76EKS1_S1_EviT_T0_PT8_S3_lS6_S3_lS4_PT9_S3_li.numbered_sgpr, 28
	.set _ZL34rocblas_syrkx_herkx_general_kernelIi19rocblas_complex_numIdELi16ELi32ELi8ELb1ELb0ELc78ELc76EKS1_S1_EviT_T0_PT8_S3_lS6_S3_lS4_PT9_S3_li.num_named_barrier, 0
	.set _ZL34rocblas_syrkx_herkx_general_kernelIi19rocblas_complex_numIdELi16ELi32ELi8ELb1ELb0ELc78ELc76EKS1_S1_EviT_T0_PT8_S3_lS6_S3_lS4_PT9_S3_li.private_seg_size, 0
	.set _ZL34rocblas_syrkx_herkx_general_kernelIi19rocblas_complex_numIdELi16ELi32ELi8ELb1ELb0ELc78ELc76EKS1_S1_EviT_T0_PT8_S3_lS6_S3_lS4_PT9_S3_li.uses_vcc, 1
	.set _ZL34rocblas_syrkx_herkx_general_kernelIi19rocblas_complex_numIdELi16ELi32ELi8ELb1ELb0ELc78ELc76EKS1_S1_EviT_T0_PT8_S3_lS6_S3_lS4_PT9_S3_li.uses_flat_scratch, 0
	.set _ZL34rocblas_syrkx_herkx_general_kernelIi19rocblas_complex_numIdELi16ELi32ELi8ELb1ELb0ELc78ELc76EKS1_S1_EviT_T0_PT8_S3_lS6_S3_lS4_PT9_S3_li.has_dyn_sized_stack, 0
	.set _ZL34rocblas_syrkx_herkx_general_kernelIi19rocblas_complex_numIdELi16ELi32ELi8ELb1ELb0ELc78ELc76EKS1_S1_EviT_T0_PT8_S3_lS6_S3_lS4_PT9_S3_li.has_recursion, 0
	.set _ZL34rocblas_syrkx_herkx_general_kernelIi19rocblas_complex_numIdELi16ELi32ELi8ELb1ELb0ELc78ELc76EKS1_S1_EviT_T0_PT8_S3_lS6_S3_lS4_PT9_S3_li.has_indirect_call, 0
	.section	.AMDGPU.csdata,"",@progbits
; Kernel info:
; codeLenInByte = 3156
; TotalNumSgprs: 32
; NumVgprs: 59
; ScratchSize: 0
; MemoryBound: 1
; FloatMode: 240
; IeeeMode: 1
; LDSByteSize: 8192 bytes/workgroup (compile time only)
; SGPRBlocks: 8
; VGPRBlocks: 14
; NumSGPRsForWavesPerEU: 65
; NumVGPRsForWavesPerEU: 59
; Occupancy: 4
; WaveLimiterHint : 0
; COMPUTE_PGM_RSRC2:SCRATCH_EN: 0
; COMPUTE_PGM_RSRC2:USER_SGPR: 6
; COMPUTE_PGM_RSRC2:TRAP_HANDLER: 0
; COMPUTE_PGM_RSRC2:TGID_X_EN: 1
; COMPUTE_PGM_RSRC2:TGID_Y_EN: 1
; COMPUTE_PGM_RSRC2:TGID_Z_EN: 1
; COMPUTE_PGM_RSRC2:TIDIG_COMP_CNT: 1
	.section	.text._ZL34rocblas_syrkx_herkx_general_kernelIi19rocblas_complex_numIdELi16ELi32ELi8ELb1ELb0ELc84ELc85EKS1_S1_EviT_T0_PT8_S3_lS6_S3_lS4_PT9_S3_li,"axG",@progbits,_ZL34rocblas_syrkx_herkx_general_kernelIi19rocblas_complex_numIdELi16ELi32ELi8ELb1ELb0ELc84ELc85EKS1_S1_EviT_T0_PT8_S3_lS6_S3_lS4_PT9_S3_li,comdat
	.globl	_ZL34rocblas_syrkx_herkx_general_kernelIi19rocblas_complex_numIdELi16ELi32ELi8ELb1ELb0ELc84ELc85EKS1_S1_EviT_T0_PT8_S3_lS6_S3_lS4_PT9_S3_li ; -- Begin function _ZL34rocblas_syrkx_herkx_general_kernelIi19rocblas_complex_numIdELi16ELi32ELi8ELb1ELb0ELc84ELc85EKS1_S1_EviT_T0_PT8_S3_lS6_S3_lS4_PT9_S3_li
	.p2align	8
	.type	_ZL34rocblas_syrkx_herkx_general_kernelIi19rocblas_complex_numIdELi16ELi32ELi8ELb1ELb0ELc84ELc85EKS1_S1_EviT_T0_PT8_S3_lS6_S3_lS4_PT9_S3_li,@function
_ZL34rocblas_syrkx_herkx_general_kernelIi19rocblas_complex_numIdELi16ELi32ELi8ELb1ELb0ELc84ELc85EKS1_S1_EviT_T0_PT8_S3_lS6_S3_lS4_PT9_S3_li: ; @_ZL34rocblas_syrkx_herkx_general_kernelIi19rocblas_complex_numIdELi16ELi32ELi8ELb1ELb0ELc84ELc85EKS1_S1_EviT_T0_PT8_S3_lS6_S3_lS4_PT9_S3_li
; %bb.0:
	s_load_dwordx2 s[10:11], s[4:5], 0x0
	s_load_dwordx4 s[12:15], s[4:5], 0x8
	s_load_dwordx2 s[20:21], s[4:5], 0x18
	s_lshl_b32 s9, s6, 5
	s_lshl_b32 s22, s7, 5
	s_waitcnt lgkmcnt(0)
	s_cmp_lt_i32 s11, 1
	s_mov_b32 s23, 0
	s_cbranch_scc1 .LBB296_11
; %bb.1:
	v_lshl_add_u32 v2, v1, 4, v0
	v_lshrrev_b32_e32 v27, 5, v2
	v_lshrrev_b32_e32 v3, 3, v2
	v_and_b32_e32 v2, 31, v2
	v_or_b32_e32 v5, s9, v2
	v_and_b32_e32 v26, 7, v0
	v_cmp_gt_i32_e32 vcc, s10, v5
	v_lshlrev_b32_e32 v5, 4, v2
	s_load_dword s2, s[4:5], 0x20
	s_load_dwordx4 s[16:19], s[4:5], 0x28
	s_load_dword s24, s[4:5], 0x38
	s_load_dwordx2 s[6:7], s[4:5], 0x40
	v_lshl_or_b32 v28, v27, 9, v5
	v_lshlrev_b32_e32 v5, 4, v26
	v_add_u32_e32 v4, s22, v3
	v_lshl_or_b32 v3, v3, 7, v5
	v_add_u32_e32 v2, s9, v2
	v_add_u32_e32 v29, 0x1000, v3
	s_waitcnt lgkmcnt(0)
	v_mad_i64_i32 v[2:3], s[2:3], s2, v2, 0
	s_mul_i32 s2, s17, s8
	s_mul_hi_u32 s3, s16, s8
	v_lshlrev_b64 v[2:3], 4, v[2:3]
	s_add_i32 s3, s3, s2
	s_mul_i32 s2, s16, s8
	v_mov_b32_e32 v6, 0x1000
	s_lshl_b64 s[2:3], s[2:3], 4
	v_lshl_add_u32 v31, v1, 7, v6
	v_mov_b32_e32 v6, s3
	v_add_co_u32_e64 v2, s[2:3], s2, v2
	v_addc_co_u32_e64 v3, s[2:3], v3, v6, s[2:3]
	v_lshlrev_b32_e32 v6, 4, v27
	v_add_co_u32_e64 v6, s[2:3], v2, v6
	v_addc_co_u32_e64 v7, s[2:3], 0, v3, s[2:3]
	v_mad_i64_i32 v[2:3], s[2:3], s24, v4, 0
	v_mov_b32_e32 v8, s21
	v_add_co_u32_e64 v6, s[2:3], s20, v6
	v_addc_co_u32_e64 v7, s[2:3], v8, v7, s[2:3]
	s_mul_i32 s2, s7, s8
	s_mul_hi_u32 s3, s6, s8
	v_lshlrev_b64 v[2:3], 4, v[2:3]
	s_add_i32 s3, s3, s2
	s_mul_i32 s2, s6, s8
	s_lshl_b64 s[2:3], s[2:3], 4
	v_cmp_gt_i32_e64 s[0:1], s10, v4
	v_mov_b32_e32 v4, s3
	v_add_co_u32_e64 v2, s[2:3], s2, v2
	v_addc_co_u32_e64 v3, s[2:3], v3, v4, s[2:3]
	v_add_co_u32_e64 v2, s[2:3], v2, v5
	v_addc_co_u32_e64 v3, s[2:3], 0, v3, s[2:3]
	v_mov_b32_e32 v4, s19
	v_add_co_u32_e64 v8, s[2:3], s18, v2
	v_addc_co_u32_e64 v9, s[2:3], v4, v3, s[2:3]
	v_mov_b32_e32 v22, 0
	v_mov_b32_e32 v24, 0
	;; [unrolled: 1-line block ×8, first 2 shown]
	v_lshlrev_b32_e32 v30, 4, v0
	v_mov_b32_e32 v23, 0
	s_xor_b64 s[2:3], vcc, -1
	s_xor_b64 s[0:1], s[0:1], -1
	v_mov_b32_e32 v25, 0
	v_mov_b32_e32 v19, 0
	;; [unrolled: 1-line block ×8, first 2 shown]
	s_branch .LBB296_3
.LBB296_2:                              ;   in Loop: Header=BB296_3 Depth=1
	s_or_b64 exec, exec, s[6:7]
	s_waitcnt lgkmcnt(0)
	s_barrier
	ds_read_b128 v[32:35], v31
	ds_read_b128 v[36:39], v31 offset:16
	ds_read_b128 v[40:43], v31 offset:32
	;; [unrolled: 1-line block ×3, first 2 shown]
	ds_read_b128 v[48:51], v30
	v_add_co_u32_e32 v6, vcc, 0x80, v6
	v_addc_co_u32_e32 v7, vcc, 0, v7, vcc
	s_waitcnt lgkmcnt(0)
	v_mul_f64 v[3:4], v[34:35], v[50:51]
	v_mul_f64 v[52:53], v[32:33], v[50:51]
	s_add_i32 s23, s23, 8
	v_add_co_u32_e32 v8, vcc, 0x80, v8
	v_addc_co_u32_e32 v9, vcc, 0, v9, vcc
	s_cmp_ge_i32 s23, s11
	v_fma_f64 v[3:4], v[32:33], v[48:49], -v[3:4]
	v_fma_f64 v[52:53], v[34:35], v[48:49], v[52:53]
	v_add_f64 v[3:4], v[14:15], v[3:4]
	v_add_f64 v[14:15], v[52:53], v[20:21]
	ds_read_b128 v[52:55], v30 offset:256
	s_waitcnt lgkmcnt(0)
	v_mul_f64 v[20:21], v[34:35], v[54:55]
	v_fma_f64 v[20:21], v[32:33], v[52:53], -v[20:21]
	v_mul_f64 v[32:33], v[32:33], v[54:55]
	v_add_f64 v[20:21], v[10:11], v[20:21]
	v_fma_f64 v[32:33], v[34:35], v[52:53], v[32:33]
	v_add_f64 v[32:33], v[32:33], v[12:13]
	ds_read_b128 v[10:13], v31 offset:2048
	s_waitcnt lgkmcnt(0)
	v_mul_f64 v[34:35], v[12:13], v[50:51]
	v_mul_f64 v[50:51], v[10:11], v[50:51]
	v_fma_f64 v[34:35], v[10:11], v[48:49], -v[34:35]
	v_fma_f64 v[48:49], v[12:13], v[48:49], v[50:51]
	v_add_f64 v[34:35], v[16:17], v[34:35]
	v_mul_f64 v[16:17], v[12:13], v[54:55]
	v_add_f64 v[48:49], v[48:49], v[18:19]
	v_fma_f64 v[16:17], v[10:11], v[52:53], -v[16:17]
	v_mul_f64 v[10:11], v[10:11], v[54:55]
	v_add_f64 v[24:25], v[24:25], v[16:17]
	v_fma_f64 v[10:11], v[12:13], v[52:53], v[10:11]
	v_add_f64 v[22:23], v[10:11], v[22:23]
	ds_read_b128 v[10:13], v30 offset:512
	s_waitcnt lgkmcnt(0)
	v_mul_f64 v[16:17], v[38:39], v[12:13]
	v_mul_f64 v[18:19], v[36:37], v[12:13]
	v_fma_f64 v[16:17], v[36:37], v[10:11], -v[16:17]
	v_fma_f64 v[18:19], v[38:39], v[10:11], v[18:19]
	v_add_f64 v[3:4], v[3:4], v[16:17]
	v_add_f64 v[50:51], v[18:19], v[14:15]
	ds_read_b128 v[14:17], v30 offset:768
	s_waitcnt lgkmcnt(0)
	v_mul_f64 v[18:19], v[38:39], v[16:17]
	v_fma_f64 v[18:19], v[36:37], v[14:15], -v[18:19]
	v_mul_f64 v[36:37], v[36:37], v[16:17]
	v_fma_f64 v[36:37], v[38:39], v[14:15], v[36:37]
	v_add_f64 v[38:39], v[20:21], v[18:19]
	ds_read_b128 v[18:21], v31 offset:2064
	v_add_f64 v[32:33], v[36:37], v[32:33]
	s_waitcnt lgkmcnt(0)
	v_mul_f64 v[36:37], v[20:21], v[12:13]
	v_mul_f64 v[12:13], v[18:19], v[12:13]
	v_fma_f64 v[36:37], v[18:19], v[10:11], -v[36:37]
	v_fma_f64 v[10:11], v[20:21], v[10:11], v[12:13]
	v_mul_f64 v[12:13], v[18:19], v[16:17]
	v_add_f64 v[34:35], v[34:35], v[36:37]
	v_add_f64 v[36:37], v[10:11], v[48:49]
	v_mul_f64 v[10:11], v[20:21], v[16:17]
	v_fma_f64 v[12:13], v[20:21], v[14:15], v[12:13]
	v_fma_f64 v[10:11], v[18:19], v[14:15], -v[10:11]
	v_add_f64 v[22:23], v[12:13], v[22:23]
	v_add_f64 v[24:25], v[24:25], v[10:11]
	ds_read_b128 v[10:13], v30 offset:1024
	s_waitcnt lgkmcnt(0)
	v_mul_f64 v[14:15], v[42:43], v[12:13]
	v_mul_f64 v[16:17], v[40:41], v[12:13]
	v_fma_f64 v[14:15], v[40:41], v[10:11], -v[14:15]
	v_fma_f64 v[16:17], v[42:43], v[10:11], v[16:17]
	v_add_f64 v[3:4], v[3:4], v[14:15]
	v_add_f64 v[48:49], v[16:17], v[50:51]
	ds_read_b128 v[14:17], v30 offset:1280
	s_waitcnt lgkmcnt(0)
	v_mul_f64 v[18:19], v[42:43], v[16:17]
	v_mul_f64 v[20:21], v[40:41], v[16:17]
	v_fma_f64 v[18:19], v[40:41], v[14:15], -v[18:19]
	v_fma_f64 v[20:21], v[42:43], v[14:15], v[20:21]
	;; [unrolled: 8-line block ×3, first 2 shown]
	v_mul_f64 v[12:13], v[18:19], v[16:17]
	v_add_f64 v[34:35], v[34:35], v[40:41]
	v_add_f64 v[36:37], v[10:11], v[36:37]
	v_mul_f64 v[10:11], v[20:21], v[16:17]
	v_fma_f64 v[12:13], v[20:21], v[14:15], v[12:13]
	v_fma_f64 v[10:11], v[18:19], v[14:15], -v[10:11]
	v_add_f64 v[22:23], v[12:13], v[22:23]
	v_add_f64 v[24:25], v[24:25], v[10:11]
	ds_read_b128 v[10:13], v30 offset:1536
	s_waitcnt lgkmcnt(0)
	v_mul_f64 v[14:15], v[46:47], v[12:13]
	v_mul_f64 v[16:17], v[44:45], v[12:13]
	v_fma_f64 v[14:15], v[44:45], v[10:11], -v[14:15]
	v_fma_f64 v[16:17], v[46:47], v[10:11], v[16:17]
	v_add_f64 v[3:4], v[3:4], v[14:15]
	v_add_f64 v[40:41], v[16:17], v[48:49]
	ds_read_b128 v[14:17], v30 offset:1792
	s_waitcnt lgkmcnt(0)
	v_mul_f64 v[18:19], v[46:47], v[16:17]
	v_mul_f64 v[20:21], v[44:45], v[16:17]
	v_fma_f64 v[18:19], v[44:45], v[14:15], -v[18:19]
	v_fma_f64 v[20:21], v[46:47], v[14:15], v[20:21]
	;; [unrolled: 8-line block ×3, first 2 shown]
	v_mul_f64 v[12:13], v[18:19], v[16:17]
	v_add_f64 v[34:35], v[34:35], v[42:43]
	v_add_f64 v[36:37], v[10:11], v[36:37]
	v_mul_f64 v[10:11], v[20:21], v[16:17]
	v_fma_f64 v[12:13], v[20:21], v[14:15], v[12:13]
	v_fma_f64 v[10:11], v[18:19], v[14:15], -v[10:11]
	v_add_f64 v[22:23], v[12:13], v[22:23]
	v_add_f64 v[24:25], v[24:25], v[10:11]
	ds_read_b128 v[10:13], v31 offset:64
	ds_read_b128 v[14:17], v30 offset:2048
	s_waitcnt lgkmcnt(0)
	v_mul_f64 v[18:19], v[12:13], v[16:17]
	v_mul_f64 v[20:21], v[10:11], v[16:17]
	v_fma_f64 v[18:19], v[10:11], v[14:15], -v[18:19]
	v_fma_f64 v[20:21], v[12:13], v[14:15], v[20:21]
	v_add_f64 v[3:4], v[3:4], v[18:19]
	v_add_f64 v[40:41], v[20:21], v[40:41]
	ds_read_b128 v[18:21], v30 offset:2304
	s_waitcnt lgkmcnt(0)
	v_mul_f64 v[42:43], v[12:13], v[20:21]
	v_fma_f64 v[42:43], v[10:11], v[18:19], -v[42:43]
	v_mul_f64 v[10:11], v[10:11], v[20:21]
	v_add_f64 v[38:39], v[38:39], v[42:43]
	v_fma_f64 v[10:11], v[12:13], v[18:19], v[10:11]
	v_add_f64 v[32:33], v[10:11], v[32:33]
	ds_read_b128 v[10:13], v31 offset:2112
	s_waitcnt lgkmcnt(0)
	v_mul_f64 v[42:43], v[12:13], v[16:17]
	v_mul_f64 v[16:17], v[10:11], v[16:17]
	v_fma_f64 v[42:43], v[10:11], v[14:15], -v[42:43]
	v_fma_f64 v[14:15], v[12:13], v[14:15], v[16:17]
	v_add_f64 v[34:35], v[34:35], v[42:43]
	v_add_f64 v[36:37], v[14:15], v[36:37]
	v_mul_f64 v[14:15], v[12:13], v[20:21]
	v_fma_f64 v[14:15], v[10:11], v[18:19], -v[14:15]
	v_mul_f64 v[10:11], v[10:11], v[20:21]
	v_add_f64 v[24:25], v[24:25], v[14:15]
	v_fma_f64 v[10:11], v[12:13], v[18:19], v[10:11]
	v_add_f64 v[22:23], v[10:11], v[22:23]
	ds_read_b128 v[10:13], v31 offset:80
	ds_read_b128 v[14:17], v30 offset:2560
	s_waitcnt lgkmcnt(0)
	v_mul_f64 v[18:19], v[12:13], v[16:17]
	v_mul_f64 v[20:21], v[10:11], v[16:17]
	v_fma_f64 v[18:19], v[10:11], v[14:15], -v[18:19]
	v_fma_f64 v[20:21], v[12:13], v[14:15], v[20:21]
	v_add_f64 v[3:4], v[3:4], v[18:19]
	v_add_f64 v[40:41], v[20:21], v[40:41]
	ds_read_b128 v[18:21], v30 offset:2816
	s_waitcnt lgkmcnt(0)
	v_mul_f64 v[42:43], v[12:13], v[20:21]
	v_fma_f64 v[42:43], v[10:11], v[18:19], -v[42:43]
	v_mul_f64 v[10:11], v[10:11], v[20:21]
	v_add_f64 v[38:39], v[38:39], v[42:43]
	v_fma_f64 v[10:11], v[12:13], v[18:19], v[10:11]
	v_add_f64 v[32:33], v[10:11], v[32:33]
	ds_read_b128 v[10:13], v31 offset:2128
	s_waitcnt lgkmcnt(0)
	v_mul_f64 v[42:43], v[12:13], v[16:17]
	v_mul_f64 v[16:17], v[10:11], v[16:17]
	v_fma_f64 v[42:43], v[10:11], v[14:15], -v[42:43]
	v_fma_f64 v[14:15], v[12:13], v[14:15], v[16:17]
	v_add_f64 v[34:35], v[34:35], v[42:43]
	v_add_f64 v[36:37], v[14:15], v[36:37]
	v_mul_f64 v[14:15], v[12:13], v[20:21]
	v_fma_f64 v[14:15], v[10:11], v[18:19], -v[14:15]
	v_mul_f64 v[10:11], v[10:11], v[20:21]
	v_add_f64 v[24:25], v[24:25], v[14:15]
	v_fma_f64 v[10:11], v[12:13], v[18:19], v[10:11]
	;; [unrolled: 31-line block ×3, first 2 shown]
	v_add_f64 v[46:47], v[10:11], v[22:23]
	ds_read_b128 v[10:13], v31 offset:112
	ds_read_b128 v[16:19], v30 offset:3584
	;; [unrolled: 1-line block ×3, first 2 shown]
	s_waitcnt lgkmcnt(1)
	v_mul_f64 v[14:15], v[12:13], v[18:19]
	v_mul_f64 v[20:21], v[10:11], v[18:19]
	v_fma_f64 v[14:15], v[10:11], v[16:17], -v[14:15]
	v_fma_f64 v[20:21], v[12:13], v[16:17], v[20:21]
	v_add_f64 v[14:15], v[3:4], v[14:15]
	s_waitcnt lgkmcnt(0)
	v_mul_f64 v[3:4], v[12:13], v[24:25]
	v_add_f64 v[20:21], v[20:21], v[40:41]
	v_fma_f64 v[3:4], v[10:11], v[22:23], -v[3:4]
	v_mul_f64 v[10:11], v[10:11], v[24:25]
	v_fma_f64 v[12:13], v[12:13], v[22:23], v[10:11]
	v_add_f64 v[10:11], v[38:39], v[3:4]
	v_add_f64 v[12:13], v[12:13], v[32:33]
	ds_read_b128 v[32:35], v31 offset:2160
	s_waitcnt lgkmcnt(0)
	s_barrier
	v_mul_f64 v[3:4], v[34:35], v[18:19]
	v_mul_f64 v[18:19], v[32:33], v[18:19]
	v_fma_f64 v[3:4], v[32:33], v[16:17], -v[3:4]
	v_fma_f64 v[18:19], v[34:35], v[16:17], v[18:19]
	v_add_f64 v[16:17], v[42:43], v[3:4]
	v_mul_f64 v[3:4], v[34:35], v[24:25]
	v_mul_f64 v[24:25], v[32:33], v[24:25]
	v_add_f64 v[18:19], v[18:19], v[36:37]
	v_fma_f64 v[3:4], v[32:33], v[22:23], -v[3:4]
	v_fma_f64 v[22:23], v[34:35], v[22:23], v[24:25]
	v_add_f64 v[24:25], v[44:45], v[3:4]
	v_add_f64 v[22:23], v[22:23], v[46:47]
	s_cbranch_scc1 .LBB296_12
.LBB296_3:                              ; =>This Inner Loop Header: Depth=1
	v_add_u32_e32 v3, s23, v27
	v_cmp_le_i32_e32 vcc, s11, v3
	s_or_b64 s[6:7], s[2:3], vcc
	s_and_saveexec_b64 s[16:17], s[6:7]
	s_xor_b64 s[6:7], exec, s[16:17]
; %bb.4:                                ;   in Loop: Header=BB296_3 Depth=1
	v_mov_b32_e32 v3, v2
	v_mov_b32_e32 v4, v2
	;; [unrolled: 1-line block ×3, first 2 shown]
	ds_write_b128 v28, v[2:5]
; %bb.5:                                ;   in Loop: Header=BB296_3 Depth=1
	s_andn2_saveexec_b64 s[6:7], s[6:7]
	s_cbranch_execz .LBB296_7
; %bb.6:                                ;   in Loop: Header=BB296_3 Depth=1
	global_load_dwordx4 v[32:35], v[6:7], off
	s_waitcnt vmcnt(0)
	ds_write2_b64 v28, v[32:33], v[34:35] offset1:1
.LBB296_7:                              ;   in Loop: Header=BB296_3 Depth=1
	s_or_b64 exec, exec, s[6:7]
	v_add_u32_e32 v3, s23, v26
	v_cmp_le_i32_e32 vcc, s11, v3
	s_or_b64 s[6:7], vcc, s[0:1]
	s_and_saveexec_b64 s[16:17], s[6:7]
	s_xor_b64 s[6:7], exec, s[16:17]
; %bb.8:                                ;   in Loop: Header=BB296_3 Depth=1
	v_mov_b32_e32 v3, v2
	v_mov_b32_e32 v4, v2
	;; [unrolled: 1-line block ×3, first 2 shown]
	ds_write_b128 v29, v[2:5]
; %bb.9:                                ;   in Loop: Header=BB296_3 Depth=1
	s_andn2_saveexec_b64 s[6:7], s[6:7]
	s_cbranch_execz .LBB296_2
; %bb.10:                               ;   in Loop: Header=BB296_3 Depth=1
	global_load_dwordx4 v[32:35], v[8:9], off
	s_waitcnt vmcnt(0)
	ds_write2_b64 v29, v[32:33], v[34:35] offset1:1
	s_branch .LBB296_2
.LBB296_11:
	v_mov_b32_e32 v14, 0
	v_mov_b32_e32 v20, 0
	;; [unrolled: 1-line block ×16, first 2 shown]
.LBB296_12:
	s_load_dwordx2 s[0:1], s[4:5], 0x68
	s_load_dwordx2 s[2:3], s[4:5], 0x58
	s_load_dword s6, s[4:5], 0x60
	v_add_u32_e32 v4, s22, v1
	v_add_u32_e32 v0, s9, v0
	s_waitcnt lgkmcnt(0)
	s_mul_i32 s1, s1, s8
	s_mul_hi_u32 s4, s0, s8
	v_mad_i64_i32 v[1:2], s[16:17], v4, s6, 0
	s_mul_i32 s0, s0, s8
	s_add_i32 s1, s4, s1
	s_lshl_b64 s[0:1], s[0:1], 4
	s_add_u32 s4, s2, s0
	v_lshlrev_b64 v[1:2], 4, v[1:2]
	s_addc_u32 s5, s3, s1
	v_mov_b32_e32 v3, s5
	v_add_co_u32_e64 v5, s[0:1], s4, v1
	v_addc_co_u32_e64 v6, s[0:1], v3, v2, s[0:1]
	v_cmp_gt_i32_e32 vcc, s10, v4
	v_cmp_le_i32_e64 s[0:1], v0, v4
	s_and_b64 s[0:1], vcc, s[0:1]
	s_and_saveexec_b64 s[2:3], s[0:1]
	s_cbranch_execz .LBB296_14
; %bb.13:
	v_mul_f64 v[1:2], s[14:15], v[20:21]
	v_mul_f64 v[7:8], s[12:13], v[20:21]
	v_fma_f64 v[26:27], s[12:13], v[14:15], -v[1:2]
	v_fma_f64 v[28:29], s[14:15], v[14:15], v[7:8]
	v_ashrrev_i32_e32 v1, 31, v0
	v_lshlrev_b64 v[1:2], 4, v[0:1]
	v_add_co_u32_e64 v1, s[0:1], v5, v1
	v_addc_co_u32_e64 v2, s[0:1], v6, v2, s[0:1]
	global_store_dwordx4 v[1:2], v[26:29], off
.LBB296_14:
	s_or_b64 exec, exec, s[2:3]
	v_add_u32_e32 v2, 16, v0
	v_cmp_le_i32_e64 s[0:1], v2, v4
	s_and_b64 s[2:3], vcc, s[0:1]
	s_and_saveexec_b64 s[0:1], s[2:3]
	s_cbranch_execz .LBB296_16
; %bb.15:
	v_mul_f64 v[7:8], s[14:15], v[12:13]
	v_mul_f64 v[12:13], s[12:13], v[12:13]
	v_ashrrev_i32_e32 v3, 31, v2
	v_fma_f64 v[7:8], s[12:13], v[10:11], -v[7:8]
	v_fma_f64 v[9:10], s[14:15], v[10:11], v[12:13]
	v_lshlrev_b64 v[11:12], 4, v[2:3]
	v_add_co_u32_e32 v5, vcc, v5, v11
	v_addc_co_u32_e32 v6, vcc, v6, v12, vcc
	global_store_dwordx4 v[5:6], v[7:10], off
.LBB296_16:
	s_or_b64 exec, exec, s[0:1]
	v_add_u32_e32 v3, 16, v4
	v_mad_i64_i32 v[4:5], s[0:1], v3, s6, 0
	v_mov_b32_e32 v1, s5
	v_cmp_gt_i32_e32 vcc, s10, v3
	v_lshlrev_b64 v[4:5], 4, v[4:5]
	v_add_co_u32_e64 v4, s[0:1], s4, v4
	v_addc_co_u32_e64 v5, s[0:1], v1, v5, s[0:1]
	v_cmp_le_i32_e64 s[0:1], v0, v3
	s_and_b64 s[0:1], vcc, s[0:1]
	s_and_saveexec_b64 s[2:3], s[0:1]
	s_cbranch_execz .LBB296_18
; %bb.17:
	v_mul_f64 v[6:7], s[14:15], v[18:19]
	v_mul_f64 v[8:9], s[12:13], v[18:19]
	v_ashrrev_i32_e32 v1, 31, v0
	v_lshlrev_b64 v[0:1], 4, v[0:1]
	v_add_co_u32_e64 v0, s[0:1], v4, v0
	v_addc_co_u32_e64 v1, s[0:1], v5, v1, s[0:1]
	v_fma_f64 v[6:7], s[12:13], v[16:17], -v[6:7]
	v_fma_f64 v[8:9], s[14:15], v[16:17], v[8:9]
	global_store_dwordx4 v[0:1], v[6:9], off
.LBB296_18:
	s_or_b64 exec, exec, s[2:3]
	v_cmp_le_i32_e64 s[0:1], v2, v3
	s_and_b64 s[0:1], vcc, s[0:1]
	s_and_saveexec_b64 s[2:3], s[0:1]
	s_cbranch_execz .LBB296_20
; %bb.19:
	v_mul_f64 v[0:1], s[14:15], v[22:23]
	v_mul_f64 v[8:9], s[12:13], v[22:23]
	v_ashrrev_i32_e32 v3, 31, v2
	v_fma_f64 v[6:7], s[12:13], v[24:25], -v[0:1]
	v_fma_f64 v[8:9], s[14:15], v[24:25], v[8:9]
	v_lshlrev_b64 v[0:1], 4, v[2:3]
	v_add_co_u32_e32 v0, vcc, v4, v0
	v_addc_co_u32_e32 v1, vcc, v5, v1, vcc
	global_store_dwordx4 v[0:1], v[6:9], off
.LBB296_20:
	s_endpgm
	.section	.rodata,"a",@progbits
	.p2align	6, 0x0
	.amdhsa_kernel _ZL34rocblas_syrkx_herkx_general_kernelIi19rocblas_complex_numIdELi16ELi32ELi8ELb1ELb0ELc84ELc85EKS1_S1_EviT_T0_PT8_S3_lS6_S3_lS4_PT9_S3_li
		.amdhsa_group_segment_fixed_size 8192
		.amdhsa_private_segment_fixed_size 0
		.amdhsa_kernarg_size 116
		.amdhsa_user_sgpr_count 6
		.amdhsa_user_sgpr_private_segment_buffer 1
		.amdhsa_user_sgpr_dispatch_ptr 0
		.amdhsa_user_sgpr_queue_ptr 0
		.amdhsa_user_sgpr_kernarg_segment_ptr 1
		.amdhsa_user_sgpr_dispatch_id 0
		.amdhsa_user_sgpr_flat_scratch_init 0
		.amdhsa_user_sgpr_private_segment_size 0
		.amdhsa_uses_dynamic_stack 0
		.amdhsa_system_sgpr_private_segment_wavefront_offset 0
		.amdhsa_system_sgpr_workgroup_id_x 1
		.amdhsa_system_sgpr_workgroup_id_y 1
		.amdhsa_system_sgpr_workgroup_id_z 1
		.amdhsa_system_sgpr_workgroup_info 0
		.amdhsa_system_vgpr_workitem_id 1
		.amdhsa_next_free_vgpr 56
		.amdhsa_next_free_sgpr 61
		.amdhsa_reserve_vcc 1
		.amdhsa_reserve_flat_scratch 0
		.amdhsa_float_round_mode_32 0
		.amdhsa_float_round_mode_16_64 0
		.amdhsa_float_denorm_mode_32 3
		.amdhsa_float_denorm_mode_16_64 3
		.amdhsa_dx10_clamp 1
		.amdhsa_ieee_mode 1
		.amdhsa_fp16_overflow 0
		.amdhsa_exception_fp_ieee_invalid_op 0
		.amdhsa_exception_fp_denorm_src 0
		.amdhsa_exception_fp_ieee_div_zero 0
		.amdhsa_exception_fp_ieee_overflow 0
		.amdhsa_exception_fp_ieee_underflow 0
		.amdhsa_exception_fp_ieee_inexact 0
		.amdhsa_exception_int_div_zero 0
	.end_amdhsa_kernel
	.section	.text._ZL34rocblas_syrkx_herkx_general_kernelIi19rocblas_complex_numIdELi16ELi32ELi8ELb1ELb0ELc84ELc85EKS1_S1_EviT_T0_PT8_S3_lS6_S3_lS4_PT9_S3_li,"axG",@progbits,_ZL34rocblas_syrkx_herkx_general_kernelIi19rocblas_complex_numIdELi16ELi32ELi8ELb1ELb0ELc84ELc85EKS1_S1_EviT_T0_PT8_S3_lS6_S3_lS4_PT9_S3_li,comdat
.Lfunc_end296:
	.size	_ZL34rocblas_syrkx_herkx_general_kernelIi19rocblas_complex_numIdELi16ELi32ELi8ELb1ELb0ELc84ELc85EKS1_S1_EviT_T0_PT8_S3_lS6_S3_lS4_PT9_S3_li, .Lfunc_end296-_ZL34rocblas_syrkx_herkx_general_kernelIi19rocblas_complex_numIdELi16ELi32ELi8ELb1ELb0ELc84ELc85EKS1_S1_EviT_T0_PT8_S3_lS6_S3_lS4_PT9_S3_li
                                        ; -- End function
	.set _ZL34rocblas_syrkx_herkx_general_kernelIi19rocblas_complex_numIdELi16ELi32ELi8ELb1ELb0ELc84ELc85EKS1_S1_EviT_T0_PT8_S3_lS6_S3_lS4_PT9_S3_li.num_vgpr, 56
	.set _ZL34rocblas_syrkx_herkx_general_kernelIi19rocblas_complex_numIdELi16ELi32ELi8ELb1ELb0ELc84ELc85EKS1_S1_EviT_T0_PT8_S3_lS6_S3_lS4_PT9_S3_li.num_agpr, 0
	.set _ZL34rocblas_syrkx_herkx_general_kernelIi19rocblas_complex_numIdELi16ELi32ELi8ELb1ELb0ELc84ELc85EKS1_S1_EviT_T0_PT8_S3_lS6_S3_lS4_PT9_S3_li.numbered_sgpr, 25
	.set _ZL34rocblas_syrkx_herkx_general_kernelIi19rocblas_complex_numIdELi16ELi32ELi8ELb1ELb0ELc84ELc85EKS1_S1_EviT_T0_PT8_S3_lS6_S3_lS4_PT9_S3_li.num_named_barrier, 0
	.set _ZL34rocblas_syrkx_herkx_general_kernelIi19rocblas_complex_numIdELi16ELi32ELi8ELb1ELb0ELc84ELc85EKS1_S1_EviT_T0_PT8_S3_lS6_S3_lS4_PT9_S3_li.private_seg_size, 0
	.set _ZL34rocblas_syrkx_herkx_general_kernelIi19rocblas_complex_numIdELi16ELi32ELi8ELb1ELb0ELc84ELc85EKS1_S1_EviT_T0_PT8_S3_lS6_S3_lS4_PT9_S3_li.uses_vcc, 1
	.set _ZL34rocblas_syrkx_herkx_general_kernelIi19rocblas_complex_numIdELi16ELi32ELi8ELb1ELb0ELc84ELc85EKS1_S1_EviT_T0_PT8_S3_lS6_S3_lS4_PT9_S3_li.uses_flat_scratch, 0
	.set _ZL34rocblas_syrkx_herkx_general_kernelIi19rocblas_complex_numIdELi16ELi32ELi8ELb1ELb0ELc84ELc85EKS1_S1_EviT_T0_PT8_S3_lS6_S3_lS4_PT9_S3_li.has_dyn_sized_stack, 0
	.set _ZL34rocblas_syrkx_herkx_general_kernelIi19rocblas_complex_numIdELi16ELi32ELi8ELb1ELb0ELc84ELc85EKS1_S1_EviT_T0_PT8_S3_lS6_S3_lS4_PT9_S3_li.has_recursion, 0
	.set _ZL34rocblas_syrkx_herkx_general_kernelIi19rocblas_complex_numIdELi16ELi32ELi8ELb1ELb0ELc84ELc85EKS1_S1_EviT_T0_PT8_S3_lS6_S3_lS4_PT9_S3_li.has_indirect_call, 0
	.section	.AMDGPU.csdata,"",@progbits
; Kernel info:
; codeLenInByte = 3104
; TotalNumSgprs: 29
; NumVgprs: 56
; ScratchSize: 0
; MemoryBound: 0
; FloatMode: 240
; IeeeMode: 1
; LDSByteSize: 8192 bytes/workgroup (compile time only)
; SGPRBlocks: 8
; VGPRBlocks: 13
; NumSGPRsForWavesPerEU: 65
; NumVGPRsForWavesPerEU: 56
; Occupancy: 4
; WaveLimiterHint : 0
; COMPUTE_PGM_RSRC2:SCRATCH_EN: 0
; COMPUTE_PGM_RSRC2:USER_SGPR: 6
; COMPUTE_PGM_RSRC2:TRAP_HANDLER: 0
; COMPUTE_PGM_RSRC2:TGID_X_EN: 1
; COMPUTE_PGM_RSRC2:TGID_Y_EN: 1
; COMPUTE_PGM_RSRC2:TGID_Z_EN: 1
; COMPUTE_PGM_RSRC2:TIDIG_COMP_CNT: 1
	.section	.text._ZL34rocblas_syrkx_herkx_general_kernelIi19rocblas_complex_numIdELi16ELi32ELi8ELb1ELb0ELc67ELc85EKS1_S1_EviT_T0_PT8_S3_lS6_S3_lS4_PT9_S3_li,"axG",@progbits,_ZL34rocblas_syrkx_herkx_general_kernelIi19rocblas_complex_numIdELi16ELi32ELi8ELb1ELb0ELc67ELc85EKS1_S1_EviT_T0_PT8_S3_lS6_S3_lS4_PT9_S3_li,comdat
	.globl	_ZL34rocblas_syrkx_herkx_general_kernelIi19rocblas_complex_numIdELi16ELi32ELi8ELb1ELb0ELc67ELc85EKS1_S1_EviT_T0_PT8_S3_lS6_S3_lS4_PT9_S3_li ; -- Begin function _ZL34rocblas_syrkx_herkx_general_kernelIi19rocblas_complex_numIdELi16ELi32ELi8ELb1ELb0ELc67ELc85EKS1_S1_EviT_T0_PT8_S3_lS6_S3_lS4_PT9_S3_li
	.p2align	8
	.type	_ZL34rocblas_syrkx_herkx_general_kernelIi19rocblas_complex_numIdELi16ELi32ELi8ELb1ELb0ELc67ELc85EKS1_S1_EviT_T0_PT8_S3_lS6_S3_lS4_PT9_S3_li,@function
_ZL34rocblas_syrkx_herkx_general_kernelIi19rocblas_complex_numIdELi16ELi32ELi8ELb1ELb0ELc67ELc85EKS1_S1_EviT_T0_PT8_S3_lS6_S3_lS4_PT9_S3_li: ; @_ZL34rocblas_syrkx_herkx_general_kernelIi19rocblas_complex_numIdELi16ELi32ELi8ELb1ELb0ELc67ELc85EKS1_S1_EviT_T0_PT8_S3_lS6_S3_lS4_PT9_S3_li
; %bb.0:
	s_load_dwordx2 s[10:11], s[4:5], 0x0
	s_load_dwordx4 s[12:15], s[4:5], 0x8
	s_load_dwordx2 s[20:21], s[4:5], 0x18
	s_lshl_b32 s9, s6, 5
	s_lshl_b32 s22, s7, 5
	s_waitcnt lgkmcnt(0)
	s_cmp_lt_i32 s11, 1
	s_mov_b32 s23, 0
	s_cbranch_scc1 .LBB297_9
; %bb.1:
	v_lshl_add_u32 v2, v1, 4, v0
	v_lshrrev_b32_e32 v28, 5, v2
	v_lshrrev_b32_e32 v3, 3, v2
	v_and_b32_e32 v2, 31, v2
	v_or_b32_e32 v5, s9, v2
	v_and_b32_e32 v27, 7, v0
	v_cmp_gt_i32_e64 s[0:1], s10, v5
	v_lshlrev_b32_e32 v5, 4, v2
	s_load_dword s2, s[4:5], 0x20
	s_load_dwordx4 s[16:19], s[4:5], 0x28
	s_load_dword s24, s[4:5], 0x38
	s_load_dwordx2 s[6:7], s[4:5], 0x40
	v_lshl_or_b32 v29, v28, 9, v5
	v_lshlrev_b32_e32 v5, 4, v27
	v_add_u32_e32 v4, s22, v3
	v_lshl_or_b32 v3, v3, 7, v5
	v_add_u32_e32 v2, s9, v2
	v_add_u32_e32 v30, 0x1000, v3
	s_waitcnt lgkmcnt(0)
	v_mad_i64_i32 v[2:3], s[2:3], s2, v2, 0
	s_mul_i32 s2, s17, s8
	s_mul_hi_u32 s3, s16, s8
	v_lshlrev_b64 v[2:3], 4, v[2:3]
	s_add_i32 s3, s3, s2
	s_mul_i32 s2, s16, s8
	v_mov_b32_e32 v6, 0x1000
	s_lshl_b64 s[2:3], s[2:3], 4
	v_lshl_add_u32 v32, v1, 7, v6
	v_mov_b32_e32 v6, s3
	v_add_co_u32_e64 v2, s[2:3], s2, v2
	v_addc_co_u32_e64 v3, s[2:3], v3, v6, s[2:3]
	v_lshlrev_b32_e32 v6, 4, v28
	v_add_co_u32_e64 v2, s[2:3], v2, v6
	v_addc_co_u32_e64 v3, s[2:3], 0, v3, s[2:3]
	v_mov_b32_e32 v6, s21
	v_add_co_u32_e64 v7, s[2:3], s20, v2
	v_addc_co_u32_e64 v6, s[2:3], v6, v3, s[2:3]
	v_mad_i64_i32 v[2:3], s[2:3], s24, v4, 0
	v_add_co_u32_e64 v7, s[2:3], 8, v7
	v_addc_co_u32_e64 v8, s[2:3], 0, v6, s[2:3]
	s_mul_i32 s2, s7, s8
	s_mul_hi_u32 s3, s6, s8
	v_lshlrev_b64 v[2:3], 4, v[2:3]
	s_add_i32 s3, s3, s2
	s_mul_i32 s2, s6, s8
	s_lshl_b64 s[2:3], s[2:3], 4
	v_cmp_gt_i32_e32 vcc, s10, v4
	v_mov_b32_e32 v4, s3
	v_add_co_u32_e64 v2, s[2:3], s2, v2
	v_addc_co_u32_e64 v3, s[2:3], v3, v4, s[2:3]
	v_add_co_u32_e64 v2, s[2:3], v2, v5
	v_addc_co_u32_e64 v3, s[2:3], 0, v3, s[2:3]
	v_mov_b32_e32 v4, s19
	v_add_co_u32_e64 v9, s[2:3], s18, v2
	v_addc_co_u32_e64 v10, s[2:3], v4, v3, s[2:3]
	v_mov_b32_e32 v23, 0
	v_mov_b32_e32 v25, 0
	;; [unrolled: 1-line block ×8, first 2 shown]
	v_lshlrev_b32_e32 v31, 4, v0
	v_mov_b32_e32 v24, 0
	s_xor_b64 s[2:3], vcc, -1
	v_mov_b32_e32 v26, 0
	v_mov_b32_e32 v20, 0
	;; [unrolled: 1-line block ×8, first 2 shown]
	s_branch .LBB297_3
.LBB297_2:                              ;   in Loop: Header=BB297_3 Depth=1
	s_or_b64 exec, exec, s[6:7]
	s_waitcnt lgkmcnt(0)
	s_barrier
	ds_read_b128 v[3:6], v32
	ds_read_b128 v[33:36], v32 offset:16
	ds_read_b128 v[37:40], v32 offset:32
	;; [unrolled: 1-line block ×3, first 2 shown]
	ds_read_b128 v[45:48], v31
	v_add_co_u32_e32 v7, vcc, 0x80, v7
	v_addc_co_u32_e32 v8, vcc, 0, v8, vcc
	s_waitcnt lgkmcnt(0)
	v_mul_f64 v[49:50], v[5:6], v[47:48]
	v_mul_f64 v[51:52], v[3:4], v[47:48]
	s_add_i32 s23, s23, 8
	v_add_co_u32_e32 v9, vcc, 0x80, v9
	v_addc_co_u32_e32 v10, vcc, 0, v10, vcc
	s_cmp_ge_i32 s23, s11
	v_fma_f64 v[49:50], v[3:4], v[45:46], -v[49:50]
	v_fma_f64 v[51:52], v[5:6], v[45:46], v[51:52]
	v_add_f64 v[15:16], v[15:16], v[49:50]
	v_add_f64 v[21:22], v[51:52], v[21:22]
	ds_read_b128 v[49:52], v31 offset:256
	s_waitcnt lgkmcnt(0)
	v_mul_f64 v[53:54], v[5:6], v[51:52]
	v_fma_f64 v[53:54], v[3:4], v[49:50], -v[53:54]
	v_mul_f64 v[3:4], v[3:4], v[51:52]
	v_add_f64 v[53:54], v[11:12], v[53:54]
	v_fma_f64 v[3:4], v[5:6], v[49:50], v[3:4]
	v_add_f64 v[55:56], v[3:4], v[13:14]
	ds_read_b128 v[3:6], v32 offset:2048
	s_waitcnt lgkmcnt(0)
	v_mul_f64 v[11:12], v[5:6], v[47:48]
	v_mul_f64 v[13:14], v[3:4], v[47:48]
	v_fma_f64 v[11:12], v[3:4], v[45:46], -v[11:12]
	v_fma_f64 v[13:14], v[5:6], v[45:46], v[13:14]
	v_add_f64 v[45:46], v[17:18], v[11:12]
	v_mul_f64 v[11:12], v[5:6], v[51:52]
	v_add_f64 v[19:20], v[13:14], v[19:20]
	v_fma_f64 v[11:12], v[3:4], v[49:50], -v[11:12]
	v_mul_f64 v[3:4], v[3:4], v[51:52]
	v_add_f64 v[25:26], v[25:26], v[11:12]
	v_fma_f64 v[3:4], v[5:6], v[49:50], v[3:4]
	v_add_f64 v[23:24], v[3:4], v[23:24]
	ds_read_b128 v[3:6], v31 offset:512
	s_waitcnt lgkmcnt(0)
	v_mul_f64 v[11:12], v[35:36], v[5:6]
	v_mul_f64 v[13:14], v[33:34], v[5:6]
	v_fma_f64 v[11:12], v[33:34], v[3:4], -v[11:12]
	v_fma_f64 v[13:14], v[35:36], v[3:4], v[13:14]
	v_add_f64 v[47:48], v[15:16], v[11:12]
	v_add_f64 v[21:22], v[13:14], v[21:22]
	ds_read_b128 v[11:14], v31 offset:768
	s_waitcnt lgkmcnt(0)
	v_mul_f64 v[15:16], v[35:36], v[13:14]
	v_mul_f64 v[17:18], v[33:34], v[13:14]
	v_fma_f64 v[15:16], v[33:34], v[11:12], -v[15:16]
	v_fma_f64 v[17:18], v[35:36], v[11:12], v[17:18]
	v_add_f64 v[33:34], v[53:54], v[15:16]
	v_add_f64 v[35:36], v[17:18], v[55:56]
	ds_read_b128 v[15:18], v32 offset:2064
	s_waitcnt lgkmcnt(0)
	v_mul_f64 v[49:50], v[17:18], v[5:6]
	v_mul_f64 v[5:6], v[15:16], v[5:6]
	v_fma_f64 v[49:50], v[15:16], v[3:4], -v[49:50]
	v_fma_f64 v[3:4], v[17:18], v[3:4], v[5:6]
	v_mul_f64 v[5:6], v[15:16], v[13:14]
	v_add_f64 v[45:46], v[45:46], v[49:50]
	v_add_f64 v[19:20], v[3:4], v[19:20]
	v_mul_f64 v[3:4], v[17:18], v[13:14]
	v_fma_f64 v[5:6], v[17:18], v[11:12], v[5:6]
	v_fma_f64 v[3:4], v[15:16], v[11:12], -v[3:4]
	v_add_f64 v[23:24], v[5:6], v[23:24]
	v_add_f64 v[25:26], v[25:26], v[3:4]
	ds_read_b128 v[3:6], v31 offset:1024
	s_waitcnt lgkmcnt(0)
	v_mul_f64 v[11:12], v[39:40], v[5:6]
	v_mul_f64 v[13:14], v[37:38], v[5:6]
	v_fma_f64 v[11:12], v[37:38], v[3:4], -v[11:12]
	v_fma_f64 v[13:14], v[39:40], v[3:4], v[13:14]
	v_add_f64 v[47:48], v[47:48], v[11:12]
	v_add_f64 v[21:22], v[13:14], v[21:22]
	ds_read_b128 v[11:14], v31 offset:1280
	s_waitcnt lgkmcnt(0)
	v_mul_f64 v[15:16], v[39:40], v[13:14]
	v_mul_f64 v[17:18], v[37:38], v[13:14]
	v_fma_f64 v[15:16], v[37:38], v[11:12], -v[15:16]
	v_fma_f64 v[17:18], v[39:40], v[11:12], v[17:18]
	v_add_f64 v[33:34], v[33:34], v[15:16]
	v_add_f64 v[35:36], v[17:18], v[35:36]
	ds_read_b128 v[15:18], v32 offset:2080
	s_waitcnt lgkmcnt(0)
	v_mul_f64 v[37:38], v[17:18], v[5:6]
	v_mul_f64 v[5:6], v[15:16], v[5:6]
	v_fma_f64 v[37:38], v[15:16], v[3:4], -v[37:38]
	v_fma_f64 v[3:4], v[17:18], v[3:4], v[5:6]
	v_mul_f64 v[5:6], v[15:16], v[13:14]
	v_add_f64 v[37:38], v[45:46], v[37:38]
	v_add_f64 v[19:20], v[3:4], v[19:20]
	v_mul_f64 v[3:4], v[17:18], v[13:14]
	v_fma_f64 v[5:6], v[17:18], v[11:12], v[5:6]
	v_fma_f64 v[3:4], v[15:16], v[11:12], -v[3:4]
	v_add_f64 v[23:24], v[5:6], v[23:24]
	;; [unrolled: 30-line block ×3, first 2 shown]
	v_add_f64 v[25:26], v[25:26], v[3:4]
	ds_read_b128 v[3:6], v32 offset:64
	ds_read_b128 v[11:14], v31 offset:2048
	s_waitcnt lgkmcnt(0)
	v_mul_f64 v[15:16], v[5:6], v[13:14]
	v_mul_f64 v[17:18], v[3:4], v[13:14]
	v_fma_f64 v[15:16], v[3:4], v[11:12], -v[15:16]
	v_fma_f64 v[17:18], v[5:6], v[11:12], v[17:18]
	v_add_f64 v[39:40], v[39:40], v[15:16]
	v_add_f64 v[21:22], v[17:18], v[21:22]
	ds_read_b128 v[15:18], v31 offset:2304
	s_waitcnt lgkmcnt(0)
	v_mul_f64 v[41:42], v[5:6], v[17:18]
	v_fma_f64 v[41:42], v[3:4], v[15:16], -v[41:42]
	v_mul_f64 v[3:4], v[3:4], v[17:18]
	v_add_f64 v[33:34], v[33:34], v[41:42]
	v_fma_f64 v[3:4], v[5:6], v[15:16], v[3:4]
	v_add_f64 v[35:36], v[3:4], v[35:36]
	ds_read_b128 v[3:6], v32 offset:2112
	s_waitcnt lgkmcnt(0)
	v_mul_f64 v[41:42], v[5:6], v[13:14]
	v_mul_f64 v[13:14], v[3:4], v[13:14]
	v_fma_f64 v[41:42], v[3:4], v[11:12], -v[41:42]
	v_fma_f64 v[11:12], v[5:6], v[11:12], v[13:14]
	v_add_f64 v[37:38], v[37:38], v[41:42]
	v_add_f64 v[19:20], v[11:12], v[19:20]
	v_mul_f64 v[11:12], v[5:6], v[17:18]
	v_fma_f64 v[11:12], v[3:4], v[15:16], -v[11:12]
	v_mul_f64 v[3:4], v[3:4], v[17:18]
	v_add_f64 v[25:26], v[25:26], v[11:12]
	v_fma_f64 v[3:4], v[5:6], v[15:16], v[3:4]
	v_add_f64 v[23:24], v[3:4], v[23:24]
	ds_read_b128 v[3:6], v32 offset:80
	ds_read_b128 v[11:14], v31 offset:2560
	s_waitcnt lgkmcnt(0)
	v_mul_f64 v[15:16], v[5:6], v[13:14]
	v_mul_f64 v[17:18], v[3:4], v[13:14]
	v_fma_f64 v[15:16], v[3:4], v[11:12], -v[15:16]
	v_fma_f64 v[17:18], v[5:6], v[11:12], v[17:18]
	v_add_f64 v[39:40], v[39:40], v[15:16]
	v_add_f64 v[21:22], v[17:18], v[21:22]
	ds_read_b128 v[15:18], v31 offset:2816
	s_waitcnt lgkmcnt(0)
	v_mul_f64 v[41:42], v[5:6], v[17:18]
	v_fma_f64 v[41:42], v[3:4], v[15:16], -v[41:42]
	v_mul_f64 v[3:4], v[3:4], v[17:18]
	v_add_f64 v[33:34], v[33:34], v[41:42]
	v_fma_f64 v[3:4], v[5:6], v[15:16], v[3:4]
	v_add_f64 v[35:36], v[3:4], v[35:36]
	ds_read_b128 v[3:6], v32 offset:2128
	s_waitcnt lgkmcnt(0)
	v_mul_f64 v[41:42], v[5:6], v[13:14]
	v_mul_f64 v[13:14], v[3:4], v[13:14]
	v_fma_f64 v[41:42], v[3:4], v[11:12], -v[41:42]
	v_fma_f64 v[11:12], v[5:6], v[11:12], v[13:14]
	v_add_f64 v[37:38], v[37:38], v[41:42]
	v_add_f64 v[19:20], v[11:12], v[19:20]
	v_mul_f64 v[11:12], v[5:6], v[17:18]
	v_fma_f64 v[11:12], v[3:4], v[15:16], -v[11:12]
	v_mul_f64 v[3:4], v[3:4], v[17:18]
	v_add_f64 v[25:26], v[25:26], v[11:12]
	v_fma_f64 v[3:4], v[5:6], v[15:16], v[3:4]
	;; [unrolled: 31-line block ×3, first 2 shown]
	v_add_f64 v[45:46], v[3:4], v[23:24]
	ds_read_b128 v[3:6], v32 offset:112
	ds_read_b128 v[17:20], v31 offset:3584
	;; [unrolled: 1-line block ×3, first 2 shown]
	s_waitcnt lgkmcnt(1)
	v_mul_f64 v[11:12], v[5:6], v[19:20]
	v_mul_f64 v[13:14], v[3:4], v[19:20]
	v_fma_f64 v[11:12], v[3:4], v[17:18], -v[11:12]
	v_fma_f64 v[13:14], v[5:6], v[17:18], v[13:14]
	v_add_f64 v[15:16], v[39:40], v[11:12]
	s_waitcnt lgkmcnt(0)
	v_mul_f64 v[11:12], v[5:6], v[25:26]
	v_add_f64 v[21:22], v[13:14], v[21:22]
	v_fma_f64 v[11:12], v[3:4], v[23:24], -v[11:12]
	v_mul_f64 v[3:4], v[3:4], v[25:26]
	v_add_f64 v[11:12], v[33:34], v[11:12]
	v_fma_f64 v[3:4], v[5:6], v[23:24], v[3:4]
	v_add_f64 v[13:14], v[3:4], v[35:36]
	ds_read_b128 v[3:6], v32 offset:2160
	s_waitcnt lgkmcnt(0)
	s_barrier
	v_mul_f64 v[33:34], v[5:6], v[19:20]
	v_mul_f64 v[19:20], v[3:4], v[19:20]
	v_fma_f64 v[33:34], v[3:4], v[17:18], -v[33:34]
	v_fma_f64 v[19:20], v[5:6], v[17:18], v[19:20]
	v_add_f64 v[17:18], v[37:38], v[33:34]
	v_mul_f64 v[33:34], v[5:6], v[25:26]
	v_add_f64 v[19:20], v[19:20], v[41:42]
	v_fma_f64 v[33:34], v[3:4], v[23:24], -v[33:34]
	v_mul_f64 v[3:4], v[3:4], v[25:26]
	v_add_f64 v[25:26], v[43:44], v[33:34]
	v_fma_f64 v[3:4], v[5:6], v[23:24], v[3:4]
	v_add_f64 v[23:24], v[3:4], v[45:46]
	s_cbranch_scc1 .LBB297_10
.LBB297_3:                              ; =>This Inner Loop Header: Depth=1
	v_add_u32_e32 v3, s23, v28
	v_cmp_gt_i32_e32 vcc, s11, v3
	v_mov_b32_e32 v3, 0
	v_mov_b32_e32 v5, 0
	;; [unrolled: 1-line block ×4, first 2 shown]
	s_and_b64 s[16:17], s[0:1], vcc
	s_and_saveexec_b64 s[6:7], s[16:17]
	s_cbranch_execz .LBB297_5
; %bb.4:                                ;   in Loop: Header=BB297_3 Depth=1
	global_load_dwordx4 v[3:6], v[7:8], off offset:-8
.LBB297_5:                              ;   in Loop: Header=BB297_3 Depth=1
	s_or_b64 exec, exec, s[6:7]
	s_waitcnt vmcnt(0)
	ds_write_b128 v29, v[3:6]
	v_add_u32_e32 v3, s23, v27
	v_cmp_le_i32_e32 vcc, s11, v3
	s_or_b64 s[6:7], vcc, s[2:3]
	s_and_saveexec_b64 s[16:17], s[6:7]
	s_xor_b64 s[6:7], exec, s[16:17]
; %bb.6:                                ;   in Loop: Header=BB297_3 Depth=1
	v_mov_b32_e32 v3, v2
	v_mov_b32_e32 v4, v2
	;; [unrolled: 1-line block ×3, first 2 shown]
	ds_write_b128 v30, v[2:5]
; %bb.7:                                ;   in Loop: Header=BB297_3 Depth=1
	s_andn2_saveexec_b64 s[6:7], s[6:7]
	s_cbranch_execz .LBB297_2
; %bb.8:                                ;   in Loop: Header=BB297_3 Depth=1
	global_load_dwordx4 v[3:6], v[9:10], off
	s_waitcnt vmcnt(0)
	ds_write2_b64 v30, v[3:4], v[5:6] offset1:1
	s_branch .LBB297_2
.LBB297_9:
	v_mov_b32_e32 v15, 0
	v_mov_b32_e32 v21, 0
	;; [unrolled: 1-line block ×16, first 2 shown]
.LBB297_10:
	s_load_dwordx2 s[0:1], s[4:5], 0x68
	s_load_dwordx2 s[2:3], s[4:5], 0x58
	s_load_dword s6, s[4:5], 0x60
	v_add_u32_e32 v4, s22, v1
	v_add_u32_e32 v0, s9, v0
	s_waitcnt lgkmcnt(0)
	s_mul_i32 s1, s1, s8
	s_mul_hi_u32 s4, s0, s8
	v_mad_i64_i32 v[1:2], s[16:17], v4, s6, 0
	s_mul_i32 s0, s0, s8
	s_add_i32 s1, s4, s1
	s_lshl_b64 s[0:1], s[0:1], 4
	s_add_u32 s4, s2, s0
	v_lshlrev_b64 v[1:2], 4, v[1:2]
	s_addc_u32 s5, s3, s1
	v_mov_b32_e32 v3, s5
	v_add_co_u32_e64 v5, s[0:1], s4, v1
	v_addc_co_u32_e64 v6, s[0:1], v3, v2, s[0:1]
	v_cmp_gt_i32_e32 vcc, s10, v4
	v_cmp_le_i32_e64 s[0:1], v0, v4
	s_and_b64 s[0:1], vcc, s[0:1]
	s_and_saveexec_b64 s[2:3], s[0:1]
	s_cbranch_execz .LBB297_12
; %bb.11:
	v_mul_f64 v[1:2], s[14:15], v[21:22]
	v_mul_f64 v[9:10], s[12:13], v[21:22]
	v_fma_f64 v[7:8], s[12:13], v[15:16], -v[1:2]
	v_fma_f64 v[9:10], s[14:15], v[15:16], v[9:10]
	v_ashrrev_i32_e32 v1, 31, v0
	v_lshlrev_b64 v[1:2], 4, v[0:1]
	v_add_co_u32_e64 v1, s[0:1], v5, v1
	v_addc_co_u32_e64 v2, s[0:1], v6, v2, s[0:1]
	global_store_dwordx4 v[1:2], v[7:10], off
.LBB297_12:
	s_or_b64 exec, exec, s[2:3]
	v_add_u32_e32 v2, 16, v0
	v_cmp_le_i32_e64 s[0:1], v2, v4
	s_and_b64 s[2:3], vcc, s[0:1]
	s_and_saveexec_b64 s[0:1], s[2:3]
	s_cbranch_execz .LBB297_14
; %bb.13:
	v_mul_f64 v[7:8], s[14:15], v[13:14]
	v_mul_f64 v[9:10], s[12:13], v[13:14]
	v_ashrrev_i32_e32 v3, 31, v2
	v_fma_f64 v[7:8], s[12:13], v[11:12], -v[7:8]
	v_fma_f64 v[9:10], s[14:15], v[11:12], v[9:10]
	v_lshlrev_b64 v[11:12], 4, v[2:3]
	v_add_co_u32_e32 v5, vcc, v5, v11
	v_addc_co_u32_e32 v6, vcc, v6, v12, vcc
	global_store_dwordx4 v[5:6], v[7:10], off
.LBB297_14:
	s_or_b64 exec, exec, s[0:1]
	v_add_u32_e32 v3, 16, v4
	v_mad_i64_i32 v[4:5], s[0:1], v3, s6, 0
	v_mov_b32_e32 v1, s5
	v_cmp_gt_i32_e32 vcc, s10, v3
	v_lshlrev_b64 v[4:5], 4, v[4:5]
	v_add_co_u32_e64 v4, s[0:1], s4, v4
	v_addc_co_u32_e64 v5, s[0:1], v1, v5, s[0:1]
	v_cmp_le_i32_e64 s[0:1], v0, v3
	s_and_b64 s[0:1], vcc, s[0:1]
	s_and_saveexec_b64 s[2:3], s[0:1]
	s_cbranch_execz .LBB297_16
; %bb.15:
	v_mul_f64 v[6:7], s[14:15], v[19:20]
	v_mul_f64 v[8:9], s[12:13], v[19:20]
	v_ashrrev_i32_e32 v1, 31, v0
	v_lshlrev_b64 v[0:1], 4, v[0:1]
	v_add_co_u32_e64 v0, s[0:1], v4, v0
	v_addc_co_u32_e64 v1, s[0:1], v5, v1, s[0:1]
	v_fma_f64 v[6:7], s[12:13], v[17:18], -v[6:7]
	v_fma_f64 v[8:9], s[14:15], v[17:18], v[8:9]
	global_store_dwordx4 v[0:1], v[6:9], off
.LBB297_16:
	s_or_b64 exec, exec, s[2:3]
	v_cmp_le_i32_e64 s[0:1], v2, v3
	s_and_b64 s[0:1], vcc, s[0:1]
	s_and_saveexec_b64 s[2:3], s[0:1]
	s_cbranch_execz .LBB297_18
; %bb.17:
	v_mul_f64 v[0:1], s[14:15], v[23:24]
	v_mul_f64 v[8:9], s[12:13], v[23:24]
	v_ashrrev_i32_e32 v3, 31, v2
	v_fma_f64 v[6:7], s[12:13], v[25:26], -v[0:1]
	v_fma_f64 v[8:9], s[14:15], v[25:26], v[8:9]
	v_lshlrev_b64 v[0:1], 4, v[2:3]
	v_add_co_u32_e32 v0, vcc, v4, v0
	v_addc_co_u32_e32 v1, vcc, v5, v1, vcc
	global_store_dwordx4 v[0:1], v[6:9], off
.LBB297_18:
	s_endpgm
	.section	.rodata,"a",@progbits
	.p2align	6, 0x0
	.amdhsa_kernel _ZL34rocblas_syrkx_herkx_general_kernelIi19rocblas_complex_numIdELi16ELi32ELi8ELb1ELb0ELc67ELc85EKS1_S1_EviT_T0_PT8_S3_lS6_S3_lS4_PT9_S3_li
		.amdhsa_group_segment_fixed_size 8192
		.amdhsa_private_segment_fixed_size 0
		.amdhsa_kernarg_size 116
		.amdhsa_user_sgpr_count 6
		.amdhsa_user_sgpr_private_segment_buffer 1
		.amdhsa_user_sgpr_dispatch_ptr 0
		.amdhsa_user_sgpr_queue_ptr 0
		.amdhsa_user_sgpr_kernarg_segment_ptr 1
		.amdhsa_user_sgpr_dispatch_id 0
		.amdhsa_user_sgpr_flat_scratch_init 0
		.amdhsa_user_sgpr_private_segment_size 0
		.amdhsa_uses_dynamic_stack 0
		.amdhsa_system_sgpr_private_segment_wavefront_offset 0
		.amdhsa_system_sgpr_workgroup_id_x 1
		.amdhsa_system_sgpr_workgroup_id_y 1
		.amdhsa_system_sgpr_workgroup_id_z 1
		.amdhsa_system_sgpr_workgroup_info 0
		.amdhsa_system_vgpr_workitem_id 1
		.amdhsa_next_free_vgpr 57
		.amdhsa_next_free_sgpr 61
		.amdhsa_reserve_vcc 1
		.amdhsa_reserve_flat_scratch 0
		.amdhsa_float_round_mode_32 0
		.amdhsa_float_round_mode_16_64 0
		.amdhsa_float_denorm_mode_32 3
		.amdhsa_float_denorm_mode_16_64 3
		.amdhsa_dx10_clamp 1
		.amdhsa_ieee_mode 1
		.amdhsa_fp16_overflow 0
		.amdhsa_exception_fp_ieee_invalid_op 0
		.amdhsa_exception_fp_denorm_src 0
		.amdhsa_exception_fp_ieee_div_zero 0
		.amdhsa_exception_fp_ieee_overflow 0
		.amdhsa_exception_fp_ieee_underflow 0
		.amdhsa_exception_fp_ieee_inexact 0
		.amdhsa_exception_int_div_zero 0
	.end_amdhsa_kernel
	.section	.text._ZL34rocblas_syrkx_herkx_general_kernelIi19rocblas_complex_numIdELi16ELi32ELi8ELb1ELb0ELc67ELc85EKS1_S1_EviT_T0_PT8_S3_lS6_S3_lS4_PT9_S3_li,"axG",@progbits,_ZL34rocblas_syrkx_herkx_general_kernelIi19rocblas_complex_numIdELi16ELi32ELi8ELb1ELb0ELc67ELc85EKS1_S1_EviT_T0_PT8_S3_lS6_S3_lS4_PT9_S3_li,comdat
.Lfunc_end297:
	.size	_ZL34rocblas_syrkx_herkx_general_kernelIi19rocblas_complex_numIdELi16ELi32ELi8ELb1ELb0ELc67ELc85EKS1_S1_EviT_T0_PT8_S3_lS6_S3_lS4_PT9_S3_li, .Lfunc_end297-_ZL34rocblas_syrkx_herkx_general_kernelIi19rocblas_complex_numIdELi16ELi32ELi8ELb1ELb0ELc67ELc85EKS1_S1_EviT_T0_PT8_S3_lS6_S3_lS4_PT9_S3_li
                                        ; -- End function
	.set _ZL34rocblas_syrkx_herkx_general_kernelIi19rocblas_complex_numIdELi16ELi32ELi8ELb1ELb0ELc67ELc85EKS1_S1_EviT_T0_PT8_S3_lS6_S3_lS4_PT9_S3_li.num_vgpr, 57
	.set _ZL34rocblas_syrkx_herkx_general_kernelIi19rocblas_complex_numIdELi16ELi32ELi8ELb1ELb0ELc67ELc85EKS1_S1_EviT_T0_PT8_S3_lS6_S3_lS4_PT9_S3_li.num_agpr, 0
	.set _ZL34rocblas_syrkx_herkx_general_kernelIi19rocblas_complex_numIdELi16ELi32ELi8ELb1ELb0ELc67ELc85EKS1_S1_EviT_T0_PT8_S3_lS6_S3_lS4_PT9_S3_li.numbered_sgpr, 25
	.set _ZL34rocblas_syrkx_herkx_general_kernelIi19rocblas_complex_numIdELi16ELi32ELi8ELb1ELb0ELc67ELc85EKS1_S1_EviT_T0_PT8_S3_lS6_S3_lS4_PT9_S3_li.num_named_barrier, 0
	.set _ZL34rocblas_syrkx_herkx_general_kernelIi19rocblas_complex_numIdELi16ELi32ELi8ELb1ELb0ELc67ELc85EKS1_S1_EviT_T0_PT8_S3_lS6_S3_lS4_PT9_S3_li.private_seg_size, 0
	.set _ZL34rocblas_syrkx_herkx_general_kernelIi19rocblas_complex_numIdELi16ELi32ELi8ELb1ELb0ELc67ELc85EKS1_S1_EviT_T0_PT8_S3_lS6_S3_lS4_PT9_S3_li.uses_vcc, 1
	.set _ZL34rocblas_syrkx_herkx_general_kernelIi19rocblas_complex_numIdELi16ELi32ELi8ELb1ELb0ELc67ELc85EKS1_S1_EviT_T0_PT8_S3_lS6_S3_lS4_PT9_S3_li.uses_flat_scratch, 0
	.set _ZL34rocblas_syrkx_herkx_general_kernelIi19rocblas_complex_numIdELi16ELi32ELi8ELb1ELb0ELc67ELc85EKS1_S1_EviT_T0_PT8_S3_lS6_S3_lS4_PT9_S3_li.has_dyn_sized_stack, 0
	.set _ZL34rocblas_syrkx_herkx_general_kernelIi19rocblas_complex_numIdELi16ELi32ELi8ELb1ELb0ELc67ELc85EKS1_S1_EviT_T0_PT8_S3_lS6_S3_lS4_PT9_S3_li.has_recursion, 0
	.set _ZL34rocblas_syrkx_herkx_general_kernelIi19rocblas_complex_numIdELi16ELi32ELi8ELb1ELb0ELc67ELc85EKS1_S1_EviT_T0_PT8_S3_lS6_S3_lS4_PT9_S3_li.has_indirect_call, 0
	.section	.AMDGPU.csdata,"",@progbits
; Kernel info:
; codeLenInByte = 3104
; TotalNumSgprs: 29
; NumVgprs: 57
; ScratchSize: 0
; MemoryBound: 1
; FloatMode: 240
; IeeeMode: 1
; LDSByteSize: 8192 bytes/workgroup (compile time only)
; SGPRBlocks: 8
; VGPRBlocks: 14
; NumSGPRsForWavesPerEU: 65
; NumVGPRsForWavesPerEU: 57
; Occupancy: 4
; WaveLimiterHint : 0
; COMPUTE_PGM_RSRC2:SCRATCH_EN: 0
; COMPUTE_PGM_RSRC2:USER_SGPR: 6
; COMPUTE_PGM_RSRC2:TRAP_HANDLER: 0
; COMPUTE_PGM_RSRC2:TGID_X_EN: 1
; COMPUTE_PGM_RSRC2:TGID_Y_EN: 1
; COMPUTE_PGM_RSRC2:TGID_Z_EN: 1
; COMPUTE_PGM_RSRC2:TIDIG_COMP_CNT: 1
	.section	.text._ZL34rocblas_syrkx_herkx_general_kernelIi19rocblas_complex_numIdELi16ELi32ELi8ELb1ELb0ELc78ELc85EKS1_S1_EviT_T0_PT8_S3_lS6_S3_lS4_PT9_S3_li,"axG",@progbits,_ZL34rocblas_syrkx_herkx_general_kernelIi19rocblas_complex_numIdELi16ELi32ELi8ELb1ELb0ELc78ELc85EKS1_S1_EviT_T0_PT8_S3_lS6_S3_lS4_PT9_S3_li,comdat
	.globl	_ZL34rocblas_syrkx_herkx_general_kernelIi19rocblas_complex_numIdELi16ELi32ELi8ELb1ELb0ELc78ELc85EKS1_S1_EviT_T0_PT8_S3_lS6_S3_lS4_PT9_S3_li ; -- Begin function _ZL34rocblas_syrkx_herkx_general_kernelIi19rocblas_complex_numIdELi16ELi32ELi8ELb1ELb0ELc78ELc85EKS1_S1_EviT_T0_PT8_S3_lS6_S3_lS4_PT9_S3_li
	.p2align	8
	.type	_ZL34rocblas_syrkx_herkx_general_kernelIi19rocblas_complex_numIdELi16ELi32ELi8ELb1ELb0ELc78ELc85EKS1_S1_EviT_T0_PT8_S3_lS6_S3_lS4_PT9_S3_li,@function
_ZL34rocblas_syrkx_herkx_general_kernelIi19rocblas_complex_numIdELi16ELi32ELi8ELb1ELb0ELc78ELc85EKS1_S1_EviT_T0_PT8_S3_lS6_S3_lS4_PT9_S3_li: ; @_ZL34rocblas_syrkx_herkx_general_kernelIi19rocblas_complex_numIdELi16ELi32ELi8ELb1ELb0ELc78ELc85EKS1_S1_EviT_T0_PT8_S3_lS6_S3_lS4_PT9_S3_li
; %bb.0:
	s_load_dwordx2 s[10:11], s[4:5], 0x0
	s_load_dwordx4 s[12:15], s[4:5], 0x8
	s_load_dwordx2 s[20:21], s[4:5], 0x18
	s_lshl_b32 s9, s6, 5
	s_lshl_b32 s22, s7, 5
	s_waitcnt lgkmcnt(0)
	s_cmp_lt_i32 s11, 1
	s_mov_b32 s23, 0
	s_cbranch_scc1 .LBB298_9
; %bb.1:
	v_lshl_add_u32 v3, v1, 4, v0
	v_and_b32_e32 v6, 31, v3
	v_lshrrev_b32_e32 v28, 5, v3
	v_lshrrev_b32_e32 v4, 3, v3
	v_or_b32_e32 v3, s9, v6
	s_load_dword s6, s[4:5], 0x20
	s_load_dword s24, s[4:5], 0x38
	s_load_dwordx2 s[26:27], s[4:5], 0x40
	s_load_dwordx4 s[16:19], s[4:5], 0x28
	v_and_b32_e32 v27, 7, v0
	v_cmp_gt_i32_e64 s[0:1], s10, v3
	v_lshlrev_b32_e32 v3, 4, v6
	v_lshl_or_b32 v29, v28, 9, v3
	v_lshlrev_b32_e32 v3, 4, v27
	v_add_u32_e32 v2, s22, v4
	v_lshl_or_b32 v3, v4, 7, v3
	s_waitcnt lgkmcnt(0)
	v_mad_i64_i32 v[4:5], s[2:3], v28, s6, 0
	s_mul_i32 s2, s17, s8
	s_mul_hi_u32 s3, s16, s8
	v_lshlrev_b64 v[4:5], 4, v[4:5]
	s_add_i32 s3, s3, s2
	s_mul_i32 s2, s16, s8
	v_mov_b32_e32 v7, 0x1000
	s_lshl_b64 s[2:3], s[2:3], 4
	v_lshl_add_u32 v32, v1, 7, v7
	v_mov_b32_e32 v7, s3
	v_add_co_u32_e64 v8, s[2:3], s2, v4
	v_add_u32_e32 v4, s9, v6
	v_addc_co_u32_e64 v7, s[2:3], v5, v7, s[2:3]
	v_ashrrev_i32_e32 v5, 31, v4
	v_lshlrev_b64 v[4:5], 4, v[4:5]
	v_mov_b32_e32 v6, s21
	v_add_co_u32_e64 v4, s[2:3], v8, v4
	v_addc_co_u32_e64 v5, s[2:3], v7, v5, s[2:3]
	v_add_co_u32_e64 v7, s[2:3], s20, v4
	v_addc_co_u32_e64 v8, s[2:3], v6, v5, s[2:3]
	v_mad_i64_i32 v[4:5], s[2:3], s24, v27, 0
	s_mul_i32 s16, s27, s8
	s_mul_hi_u32 s17, s26, s8
	s_add_i32 s3, s17, s16
	s_mul_i32 s2, s26, s8
	v_lshlrev_b64 v[4:5], 4, v[4:5]
	v_add_u32_e32 v30, 0x1000, v3
	v_ashrrev_i32_e32 v3, 31, v2
	s_lshl_b64 s[2:3], s[2:3], 4
	v_cmp_gt_i32_e32 vcc, s10, v2
	v_mov_b32_e32 v6, s3
	v_add_co_u32_e64 v4, s[2:3], s2, v4
	v_lshlrev_b64 v[2:3], 4, v[2:3]
	v_addc_co_u32_e64 v5, s[2:3], v6, v5, s[2:3]
	v_add_co_u32_e64 v2, s[2:3], v4, v2
	v_addc_co_u32_e64 v3, s[2:3], v5, v3, s[2:3]
	v_mov_b32_e32 v4, s19
	v_add_co_u32_e64 v2, s[2:3], s18, v2
	v_addc_co_u32_e64 v3, s[2:3], v4, v3, s[2:3]
	v_add_co_u32_e64 v9, s[2:3], 8, v2
	s_ashr_i32 s7, s6, 31
	s_ashr_i32 s25, s24, 31
	v_addc_co_u32_e64 v10, s[2:3], 0, v3, s[2:3]
	s_lshl_b64 s[6:7], s[6:7], 7
	s_lshl_b64 s[2:3], s[24:25], 7
	v_mov_b32_e32 v23, 0
	v_mov_b32_e32 v25, 0
	;; [unrolled: 1-line block ×8, first 2 shown]
	v_lshlrev_b32_e32 v31, 4, v0
	v_mov_b32_e32 v24, 0
	s_xor_b64 s[16:17], s[0:1], -1
	v_mov_b32_e32 v33, s7
	v_mov_b32_e32 v34, s3
	;; [unrolled: 1-line block ×10, first 2 shown]
	s_branch .LBB298_3
.LBB298_2:                              ;   in Loop: Header=BB298_3 Depth=1
	s_or_b64 exec, exec, s[0:1]
	s_waitcnt vmcnt(0)
	ds_write_b128 v30, v[3:6]
	s_waitcnt lgkmcnt(0)
	s_barrier
	ds_read_b128 v[3:6], v32
	ds_read_b128 v[35:38], v32 offset:16
	ds_read_b128 v[39:42], v32 offset:32
	;; [unrolled: 1-line block ×3, first 2 shown]
	ds_read_b128 v[47:50], v31
	v_add_co_u32_e64 v7, s[0:1], s6, v7
	v_addc_co_u32_e64 v8, s[0:1], v8, v33, s[0:1]
	s_waitcnt lgkmcnt(0)
	v_mul_f64 v[51:52], v[5:6], v[49:50]
	v_mul_f64 v[53:54], v[3:4], v[49:50]
	s_add_i32 s23, s23, 8
	v_add_co_u32_e64 v9, s[0:1], s2, v9
	v_addc_co_u32_e64 v10, s[0:1], v10, v34, s[0:1]
	s_cmp_ge_i32 s23, s11
	v_fma_f64 v[51:52], v[3:4], v[47:48], -v[51:52]
	v_fma_f64 v[53:54], v[5:6], v[47:48], v[53:54]
	v_add_f64 v[51:52], v[15:16], v[51:52]
	v_add_f64 v[53:54], v[53:54], v[17:18]
	ds_read_b128 v[15:18], v31 offset:256
	s_waitcnt lgkmcnt(0)
	v_mul_f64 v[55:56], v[5:6], v[17:18]
	v_fma_f64 v[55:56], v[3:4], v[15:16], -v[55:56]
	v_mul_f64 v[3:4], v[3:4], v[17:18]
	v_add_f64 v[55:56], v[11:12], v[55:56]
	v_fma_f64 v[3:4], v[5:6], v[15:16], v[3:4]
	v_add_f64 v[57:58], v[3:4], v[13:14]
	ds_read_b128 v[3:6], v32 offset:2048
	s_waitcnt lgkmcnt(0)
	v_mul_f64 v[11:12], v[5:6], v[49:50]
	v_mul_f64 v[13:14], v[3:4], v[49:50]
	v_fma_f64 v[11:12], v[3:4], v[47:48], -v[11:12]
	v_fma_f64 v[13:14], v[5:6], v[47:48], v[13:14]
	v_add_f64 v[19:20], v[19:20], v[11:12]
	v_mul_f64 v[11:12], v[5:6], v[17:18]
	v_add_f64 v[21:22], v[13:14], v[21:22]
	v_fma_f64 v[11:12], v[3:4], v[15:16], -v[11:12]
	v_mul_f64 v[3:4], v[3:4], v[17:18]
	v_add_f64 v[25:26], v[25:26], v[11:12]
	v_fma_f64 v[3:4], v[5:6], v[15:16], v[3:4]
	v_add_f64 v[23:24], v[3:4], v[23:24]
	ds_read_b128 v[3:6], v31 offset:512
	s_waitcnt lgkmcnt(0)
	v_mul_f64 v[11:12], v[37:38], v[5:6]
	v_mul_f64 v[13:14], v[35:36], v[5:6]
	v_fma_f64 v[11:12], v[35:36], v[3:4], -v[11:12]
	v_fma_f64 v[13:14], v[37:38], v[3:4], v[13:14]
	v_add_f64 v[47:48], v[51:52], v[11:12]
	v_add_f64 v[49:50], v[13:14], v[53:54]
	ds_read_b128 v[11:14], v31 offset:768
	s_waitcnt lgkmcnt(0)
	v_mul_f64 v[15:16], v[37:38], v[13:14]
	v_mul_f64 v[17:18], v[35:36], v[13:14]
	v_fma_f64 v[15:16], v[35:36], v[11:12], -v[15:16]
	v_fma_f64 v[17:18], v[37:38], v[11:12], v[17:18]
	v_add_f64 v[35:36], v[55:56], v[15:16]
	v_add_f64 v[37:38], v[17:18], v[57:58]
	ds_read_b128 v[15:18], v32 offset:2064
	s_waitcnt lgkmcnt(0)
	v_mul_f64 v[51:52], v[17:18], v[5:6]
	v_mul_f64 v[5:6], v[15:16], v[5:6]
	v_fma_f64 v[51:52], v[15:16], v[3:4], -v[51:52]
	v_fma_f64 v[3:4], v[17:18], v[3:4], v[5:6]
	v_mul_f64 v[5:6], v[15:16], v[13:14]
	v_add_f64 v[19:20], v[19:20], v[51:52]
	v_add_f64 v[21:22], v[3:4], v[21:22]
	v_mul_f64 v[3:4], v[17:18], v[13:14]
	v_fma_f64 v[5:6], v[17:18], v[11:12], v[5:6]
	v_fma_f64 v[3:4], v[15:16], v[11:12], -v[3:4]
	v_add_f64 v[23:24], v[5:6], v[23:24]
	v_add_f64 v[25:26], v[25:26], v[3:4]
	ds_read_b128 v[3:6], v31 offset:1024
	s_waitcnt lgkmcnt(0)
	v_mul_f64 v[11:12], v[41:42], v[5:6]
	v_mul_f64 v[13:14], v[39:40], v[5:6]
	v_fma_f64 v[11:12], v[39:40], v[3:4], -v[11:12]
	v_fma_f64 v[13:14], v[41:42], v[3:4], v[13:14]
	v_add_f64 v[47:48], v[47:48], v[11:12]
	v_add_f64 v[49:50], v[13:14], v[49:50]
	ds_read_b128 v[11:14], v31 offset:1280
	s_waitcnt lgkmcnt(0)
	v_mul_f64 v[15:16], v[41:42], v[13:14]
	v_mul_f64 v[17:18], v[39:40], v[13:14]
	v_fma_f64 v[15:16], v[39:40], v[11:12], -v[15:16]
	v_fma_f64 v[17:18], v[41:42], v[11:12], v[17:18]
	v_add_f64 v[35:36], v[35:36], v[15:16]
	v_add_f64 v[37:38], v[17:18], v[37:38]
	ds_read_b128 v[15:18], v32 offset:2080
	s_waitcnt lgkmcnt(0)
	v_mul_f64 v[39:40], v[17:18], v[5:6]
	v_mul_f64 v[5:6], v[15:16], v[5:6]
	v_fma_f64 v[39:40], v[15:16], v[3:4], -v[39:40]
	v_fma_f64 v[3:4], v[17:18], v[3:4], v[5:6]
	v_mul_f64 v[5:6], v[15:16], v[13:14]
	v_add_f64 v[19:20], v[19:20], v[39:40]
	v_add_f64 v[21:22], v[3:4], v[21:22]
	v_mul_f64 v[3:4], v[17:18], v[13:14]
	v_fma_f64 v[5:6], v[17:18], v[11:12], v[5:6]
	v_fma_f64 v[3:4], v[15:16], v[11:12], -v[3:4]
	v_add_f64 v[23:24], v[5:6], v[23:24]
	;; [unrolled: 30-line block ×3, first 2 shown]
	v_add_f64 v[25:26], v[25:26], v[3:4]
	ds_read_b128 v[3:6], v32 offset:64
	ds_read_b128 v[11:14], v31 offset:2048
	s_waitcnt lgkmcnt(0)
	v_mul_f64 v[15:16], v[5:6], v[13:14]
	v_mul_f64 v[17:18], v[3:4], v[13:14]
	v_fma_f64 v[15:16], v[3:4], v[11:12], -v[15:16]
	v_fma_f64 v[17:18], v[5:6], v[11:12], v[17:18]
	v_add_f64 v[39:40], v[39:40], v[15:16]
	v_add_f64 v[41:42], v[17:18], v[41:42]
	ds_read_b128 v[15:18], v31 offset:2304
	s_waitcnt lgkmcnt(0)
	v_mul_f64 v[43:44], v[5:6], v[17:18]
	v_fma_f64 v[43:44], v[3:4], v[15:16], -v[43:44]
	v_mul_f64 v[3:4], v[3:4], v[17:18]
	v_add_f64 v[35:36], v[35:36], v[43:44]
	v_fma_f64 v[3:4], v[5:6], v[15:16], v[3:4]
	v_add_f64 v[37:38], v[3:4], v[37:38]
	ds_read_b128 v[3:6], v32 offset:2112
	s_waitcnt lgkmcnt(0)
	v_mul_f64 v[43:44], v[5:6], v[13:14]
	v_mul_f64 v[13:14], v[3:4], v[13:14]
	v_fma_f64 v[43:44], v[3:4], v[11:12], -v[43:44]
	v_fma_f64 v[11:12], v[5:6], v[11:12], v[13:14]
	v_add_f64 v[19:20], v[19:20], v[43:44]
	v_add_f64 v[21:22], v[11:12], v[21:22]
	v_mul_f64 v[11:12], v[5:6], v[17:18]
	v_fma_f64 v[11:12], v[3:4], v[15:16], -v[11:12]
	v_mul_f64 v[3:4], v[3:4], v[17:18]
	v_add_f64 v[25:26], v[25:26], v[11:12]
	v_fma_f64 v[3:4], v[5:6], v[15:16], v[3:4]
	v_add_f64 v[23:24], v[3:4], v[23:24]
	ds_read_b128 v[3:6], v32 offset:80
	ds_read_b128 v[11:14], v31 offset:2560
	s_waitcnt lgkmcnt(0)
	v_mul_f64 v[15:16], v[5:6], v[13:14]
	v_mul_f64 v[17:18], v[3:4], v[13:14]
	v_fma_f64 v[15:16], v[3:4], v[11:12], -v[15:16]
	v_fma_f64 v[17:18], v[5:6], v[11:12], v[17:18]
	v_add_f64 v[39:40], v[39:40], v[15:16]
	v_add_f64 v[41:42], v[17:18], v[41:42]
	ds_read_b128 v[15:18], v31 offset:2816
	s_waitcnt lgkmcnt(0)
	v_mul_f64 v[43:44], v[5:6], v[17:18]
	v_fma_f64 v[43:44], v[3:4], v[15:16], -v[43:44]
	v_mul_f64 v[3:4], v[3:4], v[17:18]
	v_add_f64 v[35:36], v[35:36], v[43:44]
	v_fma_f64 v[3:4], v[5:6], v[15:16], v[3:4]
	v_add_f64 v[37:38], v[3:4], v[37:38]
	ds_read_b128 v[3:6], v32 offset:2128
	s_waitcnt lgkmcnt(0)
	v_mul_f64 v[43:44], v[5:6], v[13:14]
	v_mul_f64 v[13:14], v[3:4], v[13:14]
	v_fma_f64 v[43:44], v[3:4], v[11:12], -v[43:44]
	v_fma_f64 v[11:12], v[5:6], v[11:12], v[13:14]
	v_add_f64 v[19:20], v[19:20], v[43:44]
	v_add_f64 v[21:22], v[11:12], v[21:22]
	v_mul_f64 v[11:12], v[5:6], v[17:18]
	v_fma_f64 v[11:12], v[3:4], v[15:16], -v[11:12]
	v_mul_f64 v[3:4], v[3:4], v[17:18]
	v_add_f64 v[25:26], v[25:26], v[11:12]
	v_fma_f64 v[3:4], v[5:6], v[15:16], v[3:4]
	;; [unrolled: 31-line block ×3, first 2 shown]
	v_add_f64 v[49:50], v[3:4], v[23:24]
	ds_read_b128 v[3:6], v32 offset:112
	ds_read_b128 v[19:22], v31 offset:3584
	;; [unrolled: 1-line block ×3, first 2 shown]
	s_waitcnt lgkmcnt(1)
	v_mul_f64 v[11:12], v[5:6], v[21:22]
	v_mul_f64 v[13:14], v[3:4], v[21:22]
	v_fma_f64 v[11:12], v[3:4], v[19:20], -v[11:12]
	v_fma_f64 v[13:14], v[5:6], v[19:20], v[13:14]
	v_add_f64 v[15:16], v[39:40], v[11:12]
	s_waitcnt lgkmcnt(0)
	v_mul_f64 v[11:12], v[5:6], v[25:26]
	v_add_f64 v[17:18], v[13:14], v[41:42]
	v_fma_f64 v[11:12], v[3:4], v[23:24], -v[11:12]
	v_mul_f64 v[3:4], v[3:4], v[25:26]
	v_add_f64 v[11:12], v[35:36], v[11:12]
	v_fma_f64 v[3:4], v[5:6], v[23:24], v[3:4]
	v_add_f64 v[13:14], v[3:4], v[37:38]
	ds_read_b128 v[3:6], v32 offset:2160
	s_waitcnt lgkmcnt(0)
	s_barrier
	v_mul_f64 v[35:36], v[5:6], v[21:22]
	v_mul_f64 v[21:22], v[3:4], v[21:22]
	v_fma_f64 v[35:36], v[3:4], v[19:20], -v[35:36]
	v_fma_f64 v[21:22], v[5:6], v[19:20], v[21:22]
	v_add_f64 v[19:20], v[43:44], v[35:36]
	v_mul_f64 v[35:36], v[5:6], v[25:26]
	v_add_f64 v[21:22], v[21:22], v[45:46]
	v_fma_f64 v[35:36], v[3:4], v[23:24], -v[35:36]
	v_mul_f64 v[3:4], v[3:4], v[25:26]
	v_add_f64 v[25:26], v[47:48], v[35:36]
	v_fma_f64 v[3:4], v[5:6], v[23:24], v[3:4]
	v_add_f64 v[23:24], v[3:4], v[49:50]
	s_cbranch_scc1 .LBB298_10
.LBB298_3:                              ; =>This Inner Loop Header: Depth=1
	v_add_u32_e32 v3, s23, v28
	v_cmp_le_i32_e64 s[0:1], s11, v3
	s_or_b64 s[0:1], s[16:17], s[0:1]
	s_and_saveexec_b64 s[18:19], s[0:1]
	s_xor_b64 s[0:1], exec, s[18:19]
; %bb.4:                                ;   in Loop: Header=BB298_3 Depth=1
	v_mov_b32_e32 v3, v2
	v_mov_b32_e32 v4, v2
	;; [unrolled: 1-line block ×3, first 2 shown]
	ds_write_b128 v29, v[2:5]
; %bb.5:                                ;   in Loop: Header=BB298_3 Depth=1
	s_andn2_saveexec_b64 s[0:1], s[0:1]
	s_cbranch_execz .LBB298_7
; %bb.6:                                ;   in Loop: Header=BB298_3 Depth=1
	global_load_dwordx4 v[3:6], v[7:8], off
	s_waitcnt vmcnt(0)
	ds_write2_b64 v29, v[3:4], v[5:6] offset1:1
.LBB298_7:                              ;   in Loop: Header=BB298_3 Depth=1
	s_or_b64 exec, exec, s[0:1]
	v_add_u32_e32 v3, s23, v27
	v_cmp_gt_i32_e64 s[0:1], s11, v3
	v_mov_b32_e32 v3, 0
	v_mov_b32_e32 v5, 0
	;; [unrolled: 1-line block ×4, first 2 shown]
	s_and_b64 s[18:19], s[0:1], vcc
	s_and_saveexec_b64 s[0:1], s[18:19]
	s_cbranch_execz .LBB298_2
; %bb.8:                                ;   in Loop: Header=BB298_3 Depth=1
	global_load_dwordx4 v[3:6], v[9:10], off offset:-8
	s_branch .LBB298_2
.LBB298_9:
	v_mov_b32_e32 v15, 0
	v_mov_b32_e32 v17, 0
	;; [unrolled: 1-line block ×16, first 2 shown]
.LBB298_10:
	s_load_dwordx2 s[0:1], s[4:5], 0x68
	s_load_dwordx2 s[2:3], s[4:5], 0x58
	s_load_dword s6, s[4:5], 0x60
	v_add_u32_e32 v4, s22, v1
	v_add_u32_e32 v0, s9, v0
	s_waitcnt lgkmcnt(0)
	s_mul_i32 s1, s1, s8
	s_mul_hi_u32 s4, s0, s8
	v_mad_i64_i32 v[1:2], s[16:17], v4, s6, 0
	s_mul_i32 s0, s0, s8
	s_add_i32 s1, s4, s1
	s_lshl_b64 s[0:1], s[0:1], 4
	s_add_u32 s4, s2, s0
	v_lshlrev_b64 v[1:2], 4, v[1:2]
	s_addc_u32 s5, s3, s1
	v_mov_b32_e32 v3, s5
	v_add_co_u32_e64 v5, s[0:1], s4, v1
	v_addc_co_u32_e64 v6, s[0:1], v3, v2, s[0:1]
	v_cmp_gt_i32_e32 vcc, s10, v4
	v_cmp_le_i32_e64 s[0:1], v0, v4
	s_and_b64 s[0:1], vcc, s[0:1]
	s_and_saveexec_b64 s[2:3], s[0:1]
	s_cbranch_execz .LBB298_12
; %bb.11:
	v_mul_f64 v[1:2], s[14:15], v[17:18]
	v_mul_f64 v[9:10], s[12:13], v[17:18]
	v_fma_f64 v[7:8], s[12:13], v[15:16], -v[1:2]
	v_fma_f64 v[9:10], s[14:15], v[15:16], v[9:10]
	v_ashrrev_i32_e32 v1, 31, v0
	v_lshlrev_b64 v[1:2], 4, v[0:1]
	v_add_co_u32_e64 v1, s[0:1], v5, v1
	v_addc_co_u32_e64 v2, s[0:1], v6, v2, s[0:1]
	global_store_dwordx4 v[1:2], v[7:10], off
.LBB298_12:
	s_or_b64 exec, exec, s[2:3]
	v_add_u32_e32 v2, 16, v0
	v_cmp_le_i32_e64 s[0:1], v2, v4
	s_and_b64 s[2:3], vcc, s[0:1]
	s_and_saveexec_b64 s[0:1], s[2:3]
	s_cbranch_execz .LBB298_14
; %bb.13:
	v_mul_f64 v[7:8], s[14:15], v[13:14]
	v_mul_f64 v[9:10], s[12:13], v[13:14]
	v_ashrrev_i32_e32 v3, 31, v2
	v_fma_f64 v[7:8], s[12:13], v[11:12], -v[7:8]
	v_fma_f64 v[9:10], s[14:15], v[11:12], v[9:10]
	v_lshlrev_b64 v[11:12], 4, v[2:3]
	v_add_co_u32_e32 v5, vcc, v5, v11
	v_addc_co_u32_e32 v6, vcc, v6, v12, vcc
	global_store_dwordx4 v[5:6], v[7:10], off
.LBB298_14:
	s_or_b64 exec, exec, s[0:1]
	v_add_u32_e32 v3, 16, v4
	v_mad_i64_i32 v[4:5], s[0:1], v3, s6, 0
	v_mov_b32_e32 v1, s5
	v_cmp_gt_i32_e32 vcc, s10, v3
	v_lshlrev_b64 v[4:5], 4, v[4:5]
	v_add_co_u32_e64 v4, s[0:1], s4, v4
	v_addc_co_u32_e64 v5, s[0:1], v1, v5, s[0:1]
	v_cmp_le_i32_e64 s[0:1], v0, v3
	s_and_b64 s[0:1], vcc, s[0:1]
	s_and_saveexec_b64 s[2:3], s[0:1]
	s_cbranch_execz .LBB298_16
; %bb.15:
	v_mul_f64 v[6:7], s[14:15], v[21:22]
	v_mul_f64 v[8:9], s[12:13], v[21:22]
	v_ashrrev_i32_e32 v1, 31, v0
	v_lshlrev_b64 v[0:1], 4, v[0:1]
	v_add_co_u32_e64 v0, s[0:1], v4, v0
	v_addc_co_u32_e64 v1, s[0:1], v5, v1, s[0:1]
	v_fma_f64 v[6:7], s[12:13], v[19:20], -v[6:7]
	v_fma_f64 v[8:9], s[14:15], v[19:20], v[8:9]
	global_store_dwordx4 v[0:1], v[6:9], off
.LBB298_16:
	s_or_b64 exec, exec, s[2:3]
	v_cmp_le_i32_e64 s[0:1], v2, v3
	s_and_b64 s[0:1], vcc, s[0:1]
	s_and_saveexec_b64 s[2:3], s[0:1]
	s_cbranch_execz .LBB298_18
; %bb.17:
	v_mul_f64 v[0:1], s[14:15], v[23:24]
	v_mul_f64 v[8:9], s[12:13], v[23:24]
	v_ashrrev_i32_e32 v3, 31, v2
	v_fma_f64 v[6:7], s[12:13], v[25:26], -v[0:1]
	v_fma_f64 v[8:9], s[14:15], v[25:26], v[8:9]
	v_lshlrev_b64 v[0:1], 4, v[2:3]
	v_add_co_u32_e32 v0, vcc, v4, v0
	v_addc_co_u32_e32 v1, vcc, v5, v1, vcc
	global_store_dwordx4 v[0:1], v[6:9], off
.LBB298_18:
	s_endpgm
	.section	.rodata,"a",@progbits
	.p2align	6, 0x0
	.amdhsa_kernel _ZL34rocblas_syrkx_herkx_general_kernelIi19rocblas_complex_numIdELi16ELi32ELi8ELb1ELb0ELc78ELc85EKS1_S1_EviT_T0_PT8_S3_lS6_S3_lS4_PT9_S3_li
		.amdhsa_group_segment_fixed_size 8192
		.amdhsa_private_segment_fixed_size 0
		.amdhsa_kernarg_size 116
		.amdhsa_user_sgpr_count 6
		.amdhsa_user_sgpr_private_segment_buffer 1
		.amdhsa_user_sgpr_dispatch_ptr 0
		.amdhsa_user_sgpr_queue_ptr 0
		.amdhsa_user_sgpr_kernarg_segment_ptr 1
		.amdhsa_user_sgpr_dispatch_id 0
		.amdhsa_user_sgpr_flat_scratch_init 0
		.amdhsa_user_sgpr_private_segment_size 0
		.amdhsa_uses_dynamic_stack 0
		.amdhsa_system_sgpr_private_segment_wavefront_offset 0
		.amdhsa_system_sgpr_workgroup_id_x 1
		.amdhsa_system_sgpr_workgroup_id_y 1
		.amdhsa_system_sgpr_workgroup_id_z 1
		.amdhsa_system_sgpr_workgroup_info 0
		.amdhsa_system_vgpr_workitem_id 1
		.amdhsa_next_free_vgpr 59
		.amdhsa_next_free_sgpr 61
		.amdhsa_reserve_vcc 1
		.amdhsa_reserve_flat_scratch 0
		.amdhsa_float_round_mode_32 0
		.amdhsa_float_round_mode_16_64 0
		.amdhsa_float_denorm_mode_32 3
		.amdhsa_float_denorm_mode_16_64 3
		.amdhsa_dx10_clamp 1
		.amdhsa_ieee_mode 1
		.amdhsa_fp16_overflow 0
		.amdhsa_exception_fp_ieee_invalid_op 0
		.amdhsa_exception_fp_denorm_src 0
		.amdhsa_exception_fp_ieee_div_zero 0
		.amdhsa_exception_fp_ieee_overflow 0
		.amdhsa_exception_fp_ieee_underflow 0
		.amdhsa_exception_fp_ieee_inexact 0
		.amdhsa_exception_int_div_zero 0
	.end_amdhsa_kernel
	.section	.text._ZL34rocblas_syrkx_herkx_general_kernelIi19rocblas_complex_numIdELi16ELi32ELi8ELb1ELb0ELc78ELc85EKS1_S1_EviT_T0_PT8_S3_lS6_S3_lS4_PT9_S3_li,"axG",@progbits,_ZL34rocblas_syrkx_herkx_general_kernelIi19rocblas_complex_numIdELi16ELi32ELi8ELb1ELb0ELc78ELc85EKS1_S1_EviT_T0_PT8_S3_lS6_S3_lS4_PT9_S3_li,comdat
.Lfunc_end298:
	.size	_ZL34rocblas_syrkx_herkx_general_kernelIi19rocblas_complex_numIdELi16ELi32ELi8ELb1ELb0ELc78ELc85EKS1_S1_EviT_T0_PT8_S3_lS6_S3_lS4_PT9_S3_li, .Lfunc_end298-_ZL34rocblas_syrkx_herkx_general_kernelIi19rocblas_complex_numIdELi16ELi32ELi8ELb1ELb0ELc78ELc85EKS1_S1_EviT_T0_PT8_S3_lS6_S3_lS4_PT9_S3_li
                                        ; -- End function
	.set _ZL34rocblas_syrkx_herkx_general_kernelIi19rocblas_complex_numIdELi16ELi32ELi8ELb1ELb0ELc78ELc85EKS1_S1_EviT_T0_PT8_S3_lS6_S3_lS4_PT9_S3_li.num_vgpr, 59
	.set _ZL34rocblas_syrkx_herkx_general_kernelIi19rocblas_complex_numIdELi16ELi32ELi8ELb1ELb0ELc78ELc85EKS1_S1_EviT_T0_PT8_S3_lS6_S3_lS4_PT9_S3_li.num_agpr, 0
	.set _ZL34rocblas_syrkx_herkx_general_kernelIi19rocblas_complex_numIdELi16ELi32ELi8ELb1ELb0ELc78ELc85EKS1_S1_EviT_T0_PT8_S3_lS6_S3_lS4_PT9_S3_li.numbered_sgpr, 28
	.set _ZL34rocblas_syrkx_herkx_general_kernelIi19rocblas_complex_numIdELi16ELi32ELi8ELb1ELb0ELc78ELc85EKS1_S1_EviT_T0_PT8_S3_lS6_S3_lS4_PT9_S3_li.num_named_barrier, 0
	.set _ZL34rocblas_syrkx_herkx_general_kernelIi19rocblas_complex_numIdELi16ELi32ELi8ELb1ELb0ELc78ELc85EKS1_S1_EviT_T0_PT8_S3_lS6_S3_lS4_PT9_S3_li.private_seg_size, 0
	.set _ZL34rocblas_syrkx_herkx_general_kernelIi19rocblas_complex_numIdELi16ELi32ELi8ELb1ELb0ELc78ELc85EKS1_S1_EviT_T0_PT8_S3_lS6_S3_lS4_PT9_S3_li.uses_vcc, 1
	.set _ZL34rocblas_syrkx_herkx_general_kernelIi19rocblas_complex_numIdELi16ELi32ELi8ELb1ELb0ELc78ELc85EKS1_S1_EviT_T0_PT8_S3_lS6_S3_lS4_PT9_S3_li.uses_flat_scratch, 0
	.set _ZL34rocblas_syrkx_herkx_general_kernelIi19rocblas_complex_numIdELi16ELi32ELi8ELb1ELb0ELc78ELc85EKS1_S1_EviT_T0_PT8_S3_lS6_S3_lS4_PT9_S3_li.has_dyn_sized_stack, 0
	.set _ZL34rocblas_syrkx_herkx_general_kernelIi19rocblas_complex_numIdELi16ELi32ELi8ELb1ELb0ELc78ELc85EKS1_S1_EviT_T0_PT8_S3_lS6_S3_lS4_PT9_S3_li.has_recursion, 0
	.set _ZL34rocblas_syrkx_herkx_general_kernelIi19rocblas_complex_numIdELi16ELi32ELi8ELb1ELb0ELc78ELc85EKS1_S1_EviT_T0_PT8_S3_lS6_S3_lS4_PT9_S3_li.has_indirect_call, 0
	.section	.AMDGPU.csdata,"",@progbits
; Kernel info:
; codeLenInByte = 3164
; TotalNumSgprs: 32
; NumVgprs: 59
; ScratchSize: 0
; MemoryBound: 1
; FloatMode: 240
; IeeeMode: 1
; LDSByteSize: 8192 bytes/workgroup (compile time only)
; SGPRBlocks: 8
; VGPRBlocks: 14
; NumSGPRsForWavesPerEU: 65
; NumVGPRsForWavesPerEU: 59
; Occupancy: 4
; WaveLimiterHint : 0
; COMPUTE_PGM_RSRC2:SCRATCH_EN: 0
; COMPUTE_PGM_RSRC2:USER_SGPR: 6
; COMPUTE_PGM_RSRC2:TRAP_HANDLER: 0
; COMPUTE_PGM_RSRC2:TGID_X_EN: 1
; COMPUTE_PGM_RSRC2:TGID_Y_EN: 1
; COMPUTE_PGM_RSRC2:TGID_Z_EN: 1
; COMPUTE_PGM_RSRC2:TIDIG_COMP_CNT: 1
	.section	.text._ZL34rocblas_syrkx_herkx_general_kernelIi19rocblas_complex_numIdELi16ELi32ELi8ELb0ELb0ELc84ELc76EKS1_S1_EviT_T0_PT8_S3_lS6_S3_lS4_PT9_S3_li,"axG",@progbits,_ZL34rocblas_syrkx_herkx_general_kernelIi19rocblas_complex_numIdELi16ELi32ELi8ELb0ELb0ELc84ELc76EKS1_S1_EviT_T0_PT8_S3_lS6_S3_lS4_PT9_S3_li,comdat
	.globl	_ZL34rocblas_syrkx_herkx_general_kernelIi19rocblas_complex_numIdELi16ELi32ELi8ELb0ELb0ELc84ELc76EKS1_S1_EviT_T0_PT8_S3_lS6_S3_lS4_PT9_S3_li ; -- Begin function _ZL34rocblas_syrkx_herkx_general_kernelIi19rocblas_complex_numIdELi16ELi32ELi8ELb0ELb0ELc84ELc76EKS1_S1_EviT_T0_PT8_S3_lS6_S3_lS4_PT9_S3_li
	.p2align	8
	.type	_ZL34rocblas_syrkx_herkx_general_kernelIi19rocblas_complex_numIdELi16ELi32ELi8ELb0ELb0ELc84ELc76EKS1_S1_EviT_T0_PT8_S3_lS6_S3_lS4_PT9_S3_li,@function
_ZL34rocblas_syrkx_herkx_general_kernelIi19rocblas_complex_numIdELi16ELi32ELi8ELb0ELb0ELc84ELc76EKS1_S1_EviT_T0_PT8_S3_lS6_S3_lS4_PT9_S3_li: ; @_ZL34rocblas_syrkx_herkx_general_kernelIi19rocblas_complex_numIdELi16ELi32ELi8ELb0ELb0ELc84ELc76EKS1_S1_EviT_T0_PT8_S3_lS6_S3_lS4_PT9_S3_li
; %bb.0:
	s_load_dwordx2 s[10:11], s[4:5], 0x0
	s_load_dwordx4 s[20:23], s[4:5], 0x8
	s_load_dwordx2 s[28:29], s[4:5], 0x18
	s_load_dwordx8 s[12:19], s[4:5], 0x40
	s_lshl_b32 s9, s6, 5
	s_lshl_b32 s30, s7, 5
	s_waitcnt lgkmcnt(0)
	s_cmp_lt_i32 s11, 1
	s_mov_b32 s31, 0
	s_cbranch_scc1 .LBB299_11
; %bb.1:
	v_lshl_add_u32 v2, v1, 4, v0
	v_lshrrev_b32_e32 v27, 5, v2
	v_lshrrev_b32_e32 v3, 3, v2
	v_and_b32_e32 v2, 31, v2
	v_or_b32_e32 v5, s9, v2
	s_load_dword s2, s[4:5], 0x20
	s_load_dwordx4 s[24:27], s[4:5], 0x28
	s_load_dword s6, s[4:5], 0x38
	v_and_b32_e32 v26, 7, v0
	v_cmp_gt_i32_e32 vcc, s10, v5
	v_lshlrev_b32_e32 v5, 4, v2
	v_lshl_or_b32 v28, v27, 9, v5
	v_lshlrev_b32_e32 v5, 4, v26
	v_add_u32_e32 v4, s30, v3
	v_lshl_or_b32 v3, v3, 7, v5
	v_add_u32_e32 v2, s9, v2
	v_add_u32_e32 v29, 0x1000, v3
	s_waitcnt lgkmcnt(0)
	v_mad_i64_i32 v[2:3], s[2:3], s2, v2, 0
	s_mul_i32 s2, s25, s8
	s_mul_hi_u32 s3, s24, s8
	v_lshlrev_b64 v[2:3], 4, v[2:3]
	s_add_i32 s3, s3, s2
	s_mul_i32 s2, s24, s8
	v_mov_b32_e32 v6, 0x1000
	s_lshl_b64 s[2:3], s[2:3], 4
	v_lshl_add_u32 v31, v1, 7, v6
	v_mov_b32_e32 v6, s3
	v_add_co_u32_e64 v2, s[2:3], s2, v2
	v_addc_co_u32_e64 v3, s[2:3], v3, v6, s[2:3]
	v_lshlrev_b32_e32 v6, 4, v27
	v_add_co_u32_e64 v6, s[2:3], v2, v6
	v_addc_co_u32_e64 v7, s[2:3], 0, v3, s[2:3]
	v_mad_i64_i32 v[2:3], s[2:3], s6, v4, 0
	v_mov_b32_e32 v8, s29
	v_add_co_u32_e64 v6, s[2:3], s28, v6
	v_addc_co_u32_e64 v7, s[2:3], v8, v7, s[2:3]
	s_mul_i32 s2, s13, s8
	s_mul_hi_u32 s3, s12, s8
	v_lshlrev_b64 v[2:3], 4, v[2:3]
	s_add_i32 s3, s3, s2
	s_mul_i32 s2, s12, s8
	s_lshl_b64 s[2:3], s[2:3], 4
	v_cmp_gt_i32_e64 s[0:1], s10, v4
	v_mov_b32_e32 v4, s3
	v_add_co_u32_e64 v2, s[2:3], s2, v2
	v_addc_co_u32_e64 v3, s[2:3], v3, v4, s[2:3]
	v_add_co_u32_e64 v2, s[2:3], v2, v5
	v_addc_co_u32_e64 v3, s[2:3], 0, v3, s[2:3]
	v_mov_b32_e32 v4, s27
	v_add_co_u32_e64 v8, s[2:3], s26, v2
	v_addc_co_u32_e64 v9, s[2:3], v4, v3, s[2:3]
	v_mov_b32_e32 v24, 0
	v_mov_b32_e32 v22, 0
	;; [unrolled: 1-line block ×8, first 2 shown]
	v_lshlrev_b32_e32 v30, 4, v0
	v_mov_b32_e32 v25, 0
	s_xor_b64 s[2:3], vcc, -1
	s_xor_b64 s[0:1], s[0:1], -1
	v_mov_b32_e32 v23, 0
	v_mov_b32_e32 v17, 0
	;; [unrolled: 1-line block ×8, first 2 shown]
	s_branch .LBB299_3
.LBB299_2:                              ;   in Loop: Header=BB299_3 Depth=1
	s_or_b64 exec, exec, s[6:7]
	s_waitcnt lgkmcnt(0)
	s_barrier
	ds_read_b128 v[32:35], v31
	ds_read_b128 v[36:39], v31 offset:16
	ds_read_b128 v[40:43], v31 offset:32
	ds_read_b128 v[44:47], v31 offset:48
	ds_read_b128 v[48:51], v30
	v_add_co_u32_e32 v6, vcc, 0x80, v6
	v_addc_co_u32_e32 v7, vcc, 0, v7, vcc
	s_waitcnt lgkmcnt(0)
	v_mul_f64 v[3:4], v[34:35], v[50:51]
	v_mul_f64 v[52:53], v[32:33], v[50:51]
	s_add_i32 s31, s31, 8
	v_add_co_u32_e32 v8, vcc, 0x80, v8
	v_addc_co_u32_e32 v9, vcc, 0, v9, vcc
	s_cmp_ge_i32 s31, s11
	v_fma_f64 v[3:4], v[32:33], v[48:49], -v[3:4]
	v_fma_f64 v[52:53], v[34:35], v[48:49], v[52:53]
	v_add_f64 v[3:4], v[18:19], v[3:4]
	v_add_f64 v[52:53], v[52:53], v[20:21]
	ds_read_b128 v[18:21], v30 offset:256
	s_waitcnt lgkmcnt(0)
	v_mul_f64 v[54:55], v[34:35], v[20:21]
	v_fma_f64 v[54:55], v[32:33], v[18:19], -v[54:55]
	v_mul_f64 v[32:33], v[32:33], v[20:21]
	v_fma_f64 v[32:33], v[34:35], v[18:19], v[32:33]
	v_add_f64 v[34:35], v[10:11], v[54:55]
	v_add_f64 v[32:33], v[32:33], v[12:13]
	ds_read_b128 v[10:13], v31 offset:2048
	s_waitcnt lgkmcnt(0)
	v_mul_f64 v[54:55], v[12:13], v[50:51]
	v_mul_f64 v[50:51], v[10:11], v[50:51]
	v_fma_f64 v[54:55], v[10:11], v[48:49], -v[54:55]
	v_fma_f64 v[48:49], v[12:13], v[48:49], v[50:51]
	v_add_f64 v[50:51], v[14:15], v[54:55]
	v_mul_f64 v[14:15], v[12:13], v[20:21]
	v_add_f64 v[48:49], v[48:49], v[16:17]
	v_fma_f64 v[14:15], v[10:11], v[18:19], -v[14:15]
	v_mul_f64 v[10:11], v[10:11], v[20:21]
	v_add_f64 v[22:23], v[22:23], v[14:15]
	v_fma_f64 v[10:11], v[12:13], v[18:19], v[10:11]
	v_add_f64 v[24:25], v[10:11], v[24:25]
	ds_read_b128 v[10:13], v30 offset:512
	s_waitcnt lgkmcnt(0)
	v_mul_f64 v[14:15], v[38:39], v[12:13]
	v_mul_f64 v[16:17], v[36:37], v[12:13]
	v_fma_f64 v[14:15], v[36:37], v[10:11], -v[14:15]
	v_fma_f64 v[16:17], v[38:39], v[10:11], v[16:17]
	v_add_f64 v[3:4], v[3:4], v[14:15]
	v_add_f64 v[52:53], v[16:17], v[52:53]
	ds_read_b128 v[14:17], v30 offset:768
	s_waitcnt lgkmcnt(0)
	v_mul_f64 v[18:19], v[38:39], v[16:17]
	v_mul_f64 v[20:21], v[36:37], v[16:17]
	v_fma_f64 v[18:19], v[36:37], v[14:15], -v[18:19]
	v_fma_f64 v[20:21], v[38:39], v[14:15], v[20:21]
	v_add_f64 v[34:35], v[34:35], v[18:19]
	v_add_f64 v[32:33], v[20:21], v[32:33]
	ds_read_b128 v[18:21], v31 offset:2064
	s_waitcnt lgkmcnt(0)
	v_mul_f64 v[36:37], v[20:21], v[12:13]
	v_mul_f64 v[12:13], v[18:19], v[12:13]
	v_fma_f64 v[36:37], v[18:19], v[10:11], -v[36:37]
	v_fma_f64 v[10:11], v[20:21], v[10:11], v[12:13]
	v_mul_f64 v[12:13], v[18:19], v[16:17]
	v_add_f64 v[36:37], v[50:51], v[36:37]
	v_add_f64 v[38:39], v[10:11], v[48:49]
	v_mul_f64 v[10:11], v[20:21], v[16:17]
	v_fma_f64 v[12:13], v[20:21], v[14:15], v[12:13]
	v_fma_f64 v[10:11], v[18:19], v[14:15], -v[10:11]
	v_add_f64 v[24:25], v[12:13], v[24:25]
	v_add_f64 v[22:23], v[22:23], v[10:11]
	ds_read_b128 v[10:13], v30 offset:1024
	s_waitcnt lgkmcnt(0)
	v_mul_f64 v[14:15], v[42:43], v[12:13]
	v_mul_f64 v[16:17], v[40:41], v[12:13]
	v_fma_f64 v[14:15], v[40:41], v[10:11], -v[14:15]
	v_fma_f64 v[16:17], v[42:43], v[10:11], v[16:17]
	v_add_f64 v[3:4], v[3:4], v[14:15]
	v_add_f64 v[48:49], v[16:17], v[52:53]
	ds_read_b128 v[14:17], v30 offset:1280
	s_waitcnt lgkmcnt(0)
	v_mul_f64 v[18:19], v[42:43], v[16:17]
	v_mul_f64 v[20:21], v[40:41], v[16:17]
	v_fma_f64 v[18:19], v[40:41], v[14:15], -v[18:19]
	v_fma_f64 v[20:21], v[42:43], v[14:15], v[20:21]
	v_add_f64 v[34:35], v[34:35], v[18:19]
	v_add_f64 v[32:33], v[20:21], v[32:33]
	ds_read_b128 v[18:21], v31 offset:2080
	s_waitcnt lgkmcnt(0)
	v_mul_f64 v[40:41], v[20:21], v[12:13]
	v_mul_f64 v[12:13], v[18:19], v[12:13]
	v_fma_f64 v[40:41], v[18:19], v[10:11], -v[40:41]
	v_fma_f64 v[10:11], v[20:21], v[10:11], v[12:13]
	v_mul_f64 v[12:13], v[18:19], v[16:17]
	v_add_f64 v[36:37], v[36:37], v[40:41]
	v_add_f64 v[38:39], v[10:11], v[38:39]
	v_mul_f64 v[10:11], v[20:21], v[16:17]
	v_fma_f64 v[12:13], v[20:21], v[14:15], v[12:13]
	v_fma_f64 v[10:11], v[18:19], v[14:15], -v[10:11]
	v_add_f64 v[24:25], v[12:13], v[24:25]
	v_add_f64 v[22:23], v[22:23], v[10:11]
	ds_read_b128 v[10:13], v30 offset:1536
	s_waitcnt lgkmcnt(0)
	v_mul_f64 v[14:15], v[46:47], v[12:13]
	v_mul_f64 v[16:17], v[44:45], v[12:13]
	v_fma_f64 v[14:15], v[44:45], v[10:11], -v[14:15]
	v_fma_f64 v[16:17], v[46:47], v[10:11], v[16:17]
	v_add_f64 v[3:4], v[3:4], v[14:15]
	v_add_f64 v[40:41], v[16:17], v[48:49]
	ds_read_b128 v[14:17], v30 offset:1792
	s_waitcnt lgkmcnt(0)
	v_mul_f64 v[18:19], v[46:47], v[16:17]
	v_mul_f64 v[20:21], v[44:45], v[16:17]
	v_fma_f64 v[18:19], v[44:45], v[14:15], -v[18:19]
	v_fma_f64 v[20:21], v[46:47], v[14:15], v[20:21]
	v_add_f64 v[34:35], v[34:35], v[18:19]
	v_add_f64 v[32:33], v[20:21], v[32:33]
	ds_read_b128 v[18:21], v31 offset:2096
	s_waitcnt lgkmcnt(0)
	v_mul_f64 v[42:43], v[20:21], v[12:13]
	v_mul_f64 v[12:13], v[18:19], v[12:13]
	v_fma_f64 v[42:43], v[18:19], v[10:11], -v[42:43]
	v_fma_f64 v[10:11], v[20:21], v[10:11], v[12:13]
	v_mul_f64 v[12:13], v[18:19], v[16:17]
	v_add_f64 v[36:37], v[36:37], v[42:43]
	v_add_f64 v[38:39], v[10:11], v[38:39]
	v_mul_f64 v[10:11], v[20:21], v[16:17]
	v_fma_f64 v[12:13], v[20:21], v[14:15], v[12:13]
	v_fma_f64 v[10:11], v[18:19], v[14:15], -v[10:11]
	v_add_f64 v[24:25], v[12:13], v[24:25]
	v_add_f64 v[22:23], v[22:23], v[10:11]
	ds_read_b128 v[10:13], v31 offset:64
	ds_read_b128 v[14:17], v30 offset:2048
	s_waitcnt lgkmcnt(0)
	v_mul_f64 v[18:19], v[12:13], v[16:17]
	v_mul_f64 v[20:21], v[10:11], v[16:17]
	v_fma_f64 v[18:19], v[10:11], v[14:15], -v[18:19]
	v_fma_f64 v[20:21], v[12:13], v[14:15], v[20:21]
	v_add_f64 v[3:4], v[3:4], v[18:19]
	v_add_f64 v[40:41], v[20:21], v[40:41]
	ds_read_b128 v[18:21], v30 offset:2304
	s_waitcnt lgkmcnt(0)
	v_mul_f64 v[42:43], v[12:13], v[20:21]
	v_fma_f64 v[42:43], v[10:11], v[18:19], -v[42:43]
	v_mul_f64 v[10:11], v[10:11], v[20:21]
	v_add_f64 v[34:35], v[34:35], v[42:43]
	v_fma_f64 v[10:11], v[12:13], v[18:19], v[10:11]
	v_add_f64 v[32:33], v[10:11], v[32:33]
	ds_read_b128 v[10:13], v31 offset:2112
	s_waitcnt lgkmcnt(0)
	v_mul_f64 v[42:43], v[12:13], v[16:17]
	v_mul_f64 v[16:17], v[10:11], v[16:17]
	v_fma_f64 v[42:43], v[10:11], v[14:15], -v[42:43]
	v_fma_f64 v[14:15], v[12:13], v[14:15], v[16:17]
	v_add_f64 v[36:37], v[36:37], v[42:43]
	v_add_f64 v[38:39], v[14:15], v[38:39]
	v_mul_f64 v[14:15], v[12:13], v[20:21]
	v_fma_f64 v[14:15], v[10:11], v[18:19], -v[14:15]
	v_mul_f64 v[10:11], v[10:11], v[20:21]
	v_add_f64 v[22:23], v[22:23], v[14:15]
	v_fma_f64 v[10:11], v[12:13], v[18:19], v[10:11]
	v_add_f64 v[24:25], v[10:11], v[24:25]
	ds_read_b128 v[10:13], v31 offset:80
	ds_read_b128 v[14:17], v30 offset:2560
	s_waitcnt lgkmcnt(0)
	v_mul_f64 v[18:19], v[12:13], v[16:17]
	v_mul_f64 v[20:21], v[10:11], v[16:17]
	v_fma_f64 v[18:19], v[10:11], v[14:15], -v[18:19]
	v_fma_f64 v[20:21], v[12:13], v[14:15], v[20:21]
	v_add_f64 v[3:4], v[3:4], v[18:19]
	v_add_f64 v[40:41], v[20:21], v[40:41]
	ds_read_b128 v[18:21], v30 offset:2816
	s_waitcnt lgkmcnt(0)
	v_mul_f64 v[42:43], v[12:13], v[20:21]
	v_fma_f64 v[42:43], v[10:11], v[18:19], -v[42:43]
	v_mul_f64 v[10:11], v[10:11], v[20:21]
	v_add_f64 v[34:35], v[34:35], v[42:43]
	v_fma_f64 v[10:11], v[12:13], v[18:19], v[10:11]
	v_add_f64 v[32:33], v[10:11], v[32:33]
	ds_read_b128 v[10:13], v31 offset:2128
	s_waitcnt lgkmcnt(0)
	v_mul_f64 v[42:43], v[12:13], v[16:17]
	v_mul_f64 v[16:17], v[10:11], v[16:17]
	v_fma_f64 v[42:43], v[10:11], v[14:15], -v[42:43]
	v_fma_f64 v[14:15], v[12:13], v[14:15], v[16:17]
	v_add_f64 v[36:37], v[36:37], v[42:43]
	v_add_f64 v[38:39], v[14:15], v[38:39]
	v_mul_f64 v[14:15], v[12:13], v[20:21]
	v_fma_f64 v[14:15], v[10:11], v[18:19], -v[14:15]
	v_mul_f64 v[10:11], v[10:11], v[20:21]
	v_add_f64 v[22:23], v[22:23], v[14:15]
	v_fma_f64 v[10:11], v[12:13], v[18:19], v[10:11]
	;; [unrolled: 31-line block ×3, first 2 shown]
	v_add_f64 v[44:45], v[10:11], v[24:25]
	ds_read_b128 v[10:13], v31 offset:112
	ds_read_b128 v[14:17], v30 offset:3584
	;; [unrolled: 1-line block ×3, first 2 shown]
	s_waitcnt lgkmcnt(1)
	v_mul_f64 v[18:19], v[12:13], v[16:17]
	v_mul_f64 v[20:21], v[10:11], v[16:17]
	v_fma_f64 v[18:19], v[10:11], v[14:15], -v[18:19]
	v_fma_f64 v[20:21], v[12:13], v[14:15], v[20:21]
	v_add_f64 v[18:19], v[3:4], v[18:19]
	s_waitcnt lgkmcnt(0)
	v_mul_f64 v[3:4], v[12:13], v[24:25]
	v_add_f64 v[20:21], v[20:21], v[40:41]
	v_fma_f64 v[3:4], v[10:11], v[22:23], -v[3:4]
	v_mul_f64 v[10:11], v[10:11], v[24:25]
	v_fma_f64 v[12:13], v[12:13], v[22:23], v[10:11]
	v_add_f64 v[10:11], v[34:35], v[3:4]
	v_add_f64 v[12:13], v[12:13], v[32:33]
	ds_read_b128 v[32:35], v31 offset:2160
	s_waitcnt lgkmcnt(0)
	s_barrier
	v_mul_f64 v[3:4], v[34:35], v[16:17]
	v_mul_f64 v[16:17], v[32:33], v[16:17]
	v_fma_f64 v[3:4], v[32:33], v[14:15], -v[3:4]
	v_fma_f64 v[16:17], v[34:35], v[14:15], v[16:17]
	v_add_f64 v[14:15], v[36:37], v[3:4]
	v_mul_f64 v[3:4], v[34:35], v[24:25]
	v_mul_f64 v[24:25], v[32:33], v[24:25]
	v_add_f64 v[16:17], v[16:17], v[38:39]
	v_fma_f64 v[3:4], v[32:33], v[22:23], -v[3:4]
	v_fma_f64 v[24:25], v[34:35], v[22:23], v[24:25]
	v_add_f64 v[22:23], v[42:43], v[3:4]
	v_add_f64 v[24:25], v[24:25], v[44:45]
	s_cbranch_scc1 .LBB299_12
.LBB299_3:                              ; =>This Inner Loop Header: Depth=1
	v_add_u32_e32 v3, s31, v27
	v_cmp_le_i32_e32 vcc, s11, v3
	s_or_b64 s[6:7], s[2:3], vcc
	s_and_saveexec_b64 s[12:13], s[6:7]
	s_xor_b64 s[6:7], exec, s[12:13]
; %bb.4:                                ;   in Loop: Header=BB299_3 Depth=1
	v_mov_b32_e32 v3, v2
	v_mov_b32_e32 v4, v2
	;; [unrolled: 1-line block ×3, first 2 shown]
	ds_write_b128 v28, v[2:5]
; %bb.5:                                ;   in Loop: Header=BB299_3 Depth=1
	s_andn2_saveexec_b64 s[6:7], s[6:7]
	s_cbranch_execz .LBB299_7
; %bb.6:                                ;   in Loop: Header=BB299_3 Depth=1
	global_load_dwordx4 v[32:35], v[6:7], off
	s_waitcnt vmcnt(0)
	ds_write2_b64 v28, v[32:33], v[34:35] offset1:1
.LBB299_7:                              ;   in Loop: Header=BB299_3 Depth=1
	s_or_b64 exec, exec, s[6:7]
	v_add_u32_e32 v3, s31, v26
	v_cmp_le_i32_e32 vcc, s11, v3
	s_or_b64 s[6:7], vcc, s[0:1]
	s_and_saveexec_b64 s[12:13], s[6:7]
	s_xor_b64 s[6:7], exec, s[12:13]
; %bb.8:                                ;   in Loop: Header=BB299_3 Depth=1
	v_mov_b32_e32 v3, v2
	v_mov_b32_e32 v4, v2
	;; [unrolled: 1-line block ×3, first 2 shown]
	ds_write_b128 v29, v[2:5]
; %bb.9:                                ;   in Loop: Header=BB299_3 Depth=1
	s_andn2_saveexec_b64 s[6:7], s[6:7]
	s_cbranch_execz .LBB299_2
; %bb.10:                               ;   in Loop: Header=BB299_3 Depth=1
	global_load_dwordx4 v[32:35], v[8:9], off
	s_waitcnt vmcnt(0)
	ds_write2_b64 v29, v[32:33], v[34:35] offset1:1
	s_branch .LBB299_2
.LBB299_11:
	v_mov_b32_e32 v18, 0
	v_mov_b32_e32 v20, 0
	;; [unrolled: 1-line block ×16, first 2 shown]
.LBB299_12:
	s_load_dwordx2 s[0:1], s[4:5], 0x68
	s_load_dword s6, s[4:5], 0x60
	v_add_u32_e32 v4, s30, v1
	v_add_u32_e32 v0, s9, v0
	s_waitcnt lgkmcnt(0)
	s_mul_i32 s1, s1, s8
	s_mul_hi_u32 s2, s0, s8
	s_add_i32 s1, s2, s1
	v_mad_i64_i32 v[1:2], s[2:3], v4, s6, 0
	s_mul_i32 s0, s0, s8
	s_lshl_b64 s[0:1], s[0:1], 4
	s_add_u32 s7, s18, s0
	v_lshlrev_b64 v[1:2], 4, v[1:2]
	s_addc_u32 s8, s19, s1
	v_mov_b32_e32 v3, s8
	v_add_co_u32_e32 v5, vcc, s7, v1
	v_addc_co_u32_e32 v6, vcc, v3, v2, vcc
	v_cmp_le_i32_e64 s[0:1], v4, v0
	v_cmp_gt_i32_e32 vcc, s10, v0
	s_and_b64 s[0:1], s[0:1], vcc
	s_and_saveexec_b64 s[2:3], s[0:1]
	s_cbranch_execz .LBB299_14
; %bb.13:
	v_ashrrev_i32_e32 v1, 31, v0
	v_lshlrev_b64 v[1:2], 4, v[0:1]
	v_mul_f64 v[7:8], s[22:23], v[20:21]
	v_add_co_u32_e64 v1, s[0:1], v5, v1
	v_addc_co_u32_e64 v2, s[0:1], v6, v2, s[0:1]
	global_load_dwordx4 v[26:29], v[1:2], off
	v_mul_f64 v[20:21], s[20:21], v[20:21]
	v_fma_f64 v[7:8], s[20:21], v[18:19], -v[7:8]
	v_fma_f64 v[20:21], s[22:23], v[18:19], v[20:21]
	s_waitcnt vmcnt(0)
	v_mul_f64 v[30:31], s[16:17], v[28:29]
	v_mul_f64 v[28:29], s[14:15], v[28:29]
	v_fma_f64 v[18:19], s[14:15], v[26:27], -v[30:31]
	v_fma_f64 v[26:27], s[16:17], v[26:27], v[28:29]
	v_add_f64 v[18:19], v[7:8], v[18:19]
	v_add_f64 v[20:21], v[20:21], v[26:27]
	global_store_dwordx4 v[1:2], v[18:21], off
.LBB299_14:
	s_or_b64 exec, exec, s[2:3]
	v_add_u32_e32 v2, 16, v0
	v_cmp_le_i32_e64 s[2:3], v4, v2
	v_cmp_gt_i32_e64 s[0:1], s10, v2
	s_and_b64 s[2:3], s[2:3], s[0:1]
	s_and_saveexec_b64 s[4:5], s[2:3]
	s_cbranch_execz .LBB299_16
; %bb.15:
	v_ashrrev_i32_e32 v3, 31, v2
	v_lshlrev_b64 v[7:8], 4, v[2:3]
	v_mul_f64 v[20:21], s[22:23], v[12:13]
	v_add_co_u32_e64 v18, s[2:3], v5, v7
	v_addc_co_u32_e64 v19, s[2:3], v6, v8, s[2:3]
	global_load_dwordx4 v[5:8], v[18:19], off
	v_mul_f64 v[12:13], s[20:21], v[12:13]
	v_fma_f64 v[20:21], s[20:21], v[10:11], -v[20:21]
	v_fma_f64 v[9:10], s[22:23], v[10:11], v[12:13]
	s_waitcnt vmcnt(0)
	v_mul_f64 v[26:27], s[16:17], v[7:8]
	v_mul_f64 v[7:8], s[14:15], v[7:8]
	v_fma_f64 v[11:12], s[14:15], v[5:6], -v[26:27]
	v_fma_f64 v[7:8], s[16:17], v[5:6], v[7:8]
	v_add_f64 v[5:6], v[20:21], v[11:12]
	v_add_f64 v[7:8], v[9:10], v[7:8]
	global_store_dwordx4 v[18:19], v[5:8], off
.LBB299_16:
	s_or_b64 exec, exec, s[4:5]
	v_add_u32_e32 v3, 16, v4
	v_mad_i64_i32 v[4:5], s[2:3], v3, s6, 0
	v_mov_b32_e32 v1, s8
	v_lshlrev_b64 v[4:5], 4, v[4:5]
	v_add_co_u32_e64 v4, s[2:3], s7, v4
	v_addc_co_u32_e64 v5, s[2:3], v1, v5, s[2:3]
	v_cmp_le_i32_e64 s[2:3], v3, v0
	s_and_b64 s[4:5], s[2:3], vcc
	s_and_saveexec_b64 s[2:3], s[4:5]
	s_cbranch_execz .LBB299_18
; %bb.17:
	v_ashrrev_i32_e32 v1, 31, v0
	v_lshlrev_b64 v[0:1], 4, v[0:1]
	v_mul_f64 v[10:11], s[22:23], v[16:17]
	v_add_co_u32_e32 v0, vcc, v4, v0
	v_addc_co_u32_e32 v1, vcc, v5, v1, vcc
	global_load_dwordx4 v[6:9], v[0:1], off
	v_mul_f64 v[12:13], s[20:21], v[16:17]
	v_fma_f64 v[10:11], s[20:21], v[14:15], -v[10:11]
	v_fma_f64 v[12:13], s[22:23], v[14:15], v[12:13]
	s_waitcnt vmcnt(0)
	v_mul_f64 v[16:17], s[16:17], v[8:9]
	v_mul_f64 v[8:9], s[14:15], v[8:9]
	v_fma_f64 v[14:15], s[14:15], v[6:7], -v[16:17]
	v_fma_f64 v[8:9], s[16:17], v[6:7], v[8:9]
	v_add_f64 v[6:7], v[10:11], v[14:15]
	v_add_f64 v[8:9], v[12:13], v[8:9]
	global_store_dwordx4 v[0:1], v[6:9], off
.LBB299_18:
	s_or_b64 exec, exec, s[2:3]
	v_cmp_le_i32_e32 vcc, v3, v2
	s_and_b64 s[0:1], vcc, s[0:1]
	s_and_saveexec_b64 s[2:3], s[0:1]
	s_cbranch_execz .LBB299_20
; %bb.19:
	v_ashrrev_i32_e32 v3, 31, v2
	v_lshlrev_b64 v[0:1], 4, v[2:3]
	v_mul_f64 v[6:7], s[22:23], v[24:25]
	v_add_co_u32_e32 v4, vcc, v4, v0
	v_addc_co_u32_e32 v5, vcc, v5, v1, vcc
	global_load_dwordx4 v[0:3], v[4:5], off
	v_mul_f64 v[8:9], s[20:21], v[24:25]
	v_fma_f64 v[6:7], s[20:21], v[22:23], -v[6:7]
	v_fma_f64 v[8:9], s[22:23], v[22:23], v[8:9]
	s_waitcnt vmcnt(0)
	v_mul_f64 v[10:11], s[16:17], v[2:3]
	v_mul_f64 v[2:3], s[14:15], v[2:3]
	v_fma_f64 v[10:11], s[14:15], v[0:1], -v[10:11]
	v_fma_f64 v[2:3], s[16:17], v[0:1], v[2:3]
	v_add_f64 v[0:1], v[6:7], v[10:11]
	v_add_f64 v[2:3], v[8:9], v[2:3]
	global_store_dwordx4 v[4:5], v[0:3], off
.LBB299_20:
	s_endpgm
	.section	.rodata,"a",@progbits
	.p2align	6, 0x0
	.amdhsa_kernel _ZL34rocblas_syrkx_herkx_general_kernelIi19rocblas_complex_numIdELi16ELi32ELi8ELb0ELb0ELc84ELc76EKS1_S1_EviT_T0_PT8_S3_lS6_S3_lS4_PT9_S3_li
		.amdhsa_group_segment_fixed_size 8192
		.amdhsa_private_segment_fixed_size 0
		.amdhsa_kernarg_size 116
		.amdhsa_user_sgpr_count 6
		.amdhsa_user_sgpr_private_segment_buffer 1
		.amdhsa_user_sgpr_dispatch_ptr 0
		.amdhsa_user_sgpr_queue_ptr 0
		.amdhsa_user_sgpr_kernarg_segment_ptr 1
		.amdhsa_user_sgpr_dispatch_id 0
		.amdhsa_user_sgpr_flat_scratch_init 0
		.amdhsa_user_sgpr_private_segment_size 0
		.amdhsa_uses_dynamic_stack 0
		.amdhsa_system_sgpr_private_segment_wavefront_offset 0
		.amdhsa_system_sgpr_workgroup_id_x 1
		.amdhsa_system_sgpr_workgroup_id_y 1
		.amdhsa_system_sgpr_workgroup_id_z 1
		.amdhsa_system_sgpr_workgroup_info 0
		.amdhsa_system_vgpr_workitem_id 1
		.amdhsa_next_free_vgpr 56
		.amdhsa_next_free_sgpr 61
		.amdhsa_reserve_vcc 1
		.amdhsa_reserve_flat_scratch 0
		.amdhsa_float_round_mode_32 0
		.amdhsa_float_round_mode_16_64 0
		.amdhsa_float_denorm_mode_32 3
		.amdhsa_float_denorm_mode_16_64 3
		.amdhsa_dx10_clamp 1
		.amdhsa_ieee_mode 1
		.amdhsa_fp16_overflow 0
		.amdhsa_exception_fp_ieee_invalid_op 0
		.amdhsa_exception_fp_denorm_src 0
		.amdhsa_exception_fp_ieee_div_zero 0
		.amdhsa_exception_fp_ieee_overflow 0
		.amdhsa_exception_fp_ieee_underflow 0
		.amdhsa_exception_fp_ieee_inexact 0
		.amdhsa_exception_int_div_zero 0
	.end_amdhsa_kernel
	.section	.text._ZL34rocblas_syrkx_herkx_general_kernelIi19rocblas_complex_numIdELi16ELi32ELi8ELb0ELb0ELc84ELc76EKS1_S1_EviT_T0_PT8_S3_lS6_S3_lS4_PT9_S3_li,"axG",@progbits,_ZL34rocblas_syrkx_herkx_general_kernelIi19rocblas_complex_numIdELi16ELi32ELi8ELb0ELb0ELc84ELc76EKS1_S1_EviT_T0_PT8_S3_lS6_S3_lS4_PT9_S3_li,comdat
.Lfunc_end299:
	.size	_ZL34rocblas_syrkx_herkx_general_kernelIi19rocblas_complex_numIdELi16ELi32ELi8ELb0ELb0ELc84ELc76EKS1_S1_EviT_T0_PT8_S3_lS6_S3_lS4_PT9_S3_li, .Lfunc_end299-_ZL34rocblas_syrkx_herkx_general_kernelIi19rocblas_complex_numIdELi16ELi32ELi8ELb0ELb0ELc84ELc76EKS1_S1_EviT_T0_PT8_S3_lS6_S3_lS4_PT9_S3_li
                                        ; -- End function
	.set _ZL34rocblas_syrkx_herkx_general_kernelIi19rocblas_complex_numIdELi16ELi32ELi8ELb0ELb0ELc84ELc76EKS1_S1_EviT_T0_PT8_S3_lS6_S3_lS4_PT9_S3_li.num_vgpr, 56
	.set _ZL34rocblas_syrkx_herkx_general_kernelIi19rocblas_complex_numIdELi16ELi32ELi8ELb0ELb0ELc84ELc76EKS1_S1_EviT_T0_PT8_S3_lS6_S3_lS4_PT9_S3_li.num_agpr, 0
	.set _ZL34rocblas_syrkx_herkx_general_kernelIi19rocblas_complex_numIdELi16ELi32ELi8ELb0ELb0ELc84ELc76EKS1_S1_EviT_T0_PT8_S3_lS6_S3_lS4_PT9_S3_li.numbered_sgpr, 32
	.set _ZL34rocblas_syrkx_herkx_general_kernelIi19rocblas_complex_numIdELi16ELi32ELi8ELb0ELb0ELc84ELc76EKS1_S1_EviT_T0_PT8_S3_lS6_S3_lS4_PT9_S3_li.num_named_barrier, 0
	.set _ZL34rocblas_syrkx_herkx_general_kernelIi19rocblas_complex_numIdELi16ELi32ELi8ELb0ELb0ELc84ELc76EKS1_S1_EviT_T0_PT8_S3_lS6_S3_lS4_PT9_S3_li.private_seg_size, 0
	.set _ZL34rocblas_syrkx_herkx_general_kernelIi19rocblas_complex_numIdELi16ELi32ELi8ELb0ELb0ELc84ELc76EKS1_S1_EviT_T0_PT8_S3_lS6_S3_lS4_PT9_S3_li.uses_vcc, 1
	.set _ZL34rocblas_syrkx_herkx_general_kernelIi19rocblas_complex_numIdELi16ELi32ELi8ELb0ELb0ELc84ELc76EKS1_S1_EviT_T0_PT8_S3_lS6_S3_lS4_PT9_S3_li.uses_flat_scratch, 0
	.set _ZL34rocblas_syrkx_herkx_general_kernelIi19rocblas_complex_numIdELi16ELi32ELi8ELb0ELb0ELc84ELc76EKS1_S1_EviT_T0_PT8_S3_lS6_S3_lS4_PT9_S3_li.has_dyn_sized_stack, 0
	.set _ZL34rocblas_syrkx_herkx_general_kernelIi19rocblas_complex_numIdELi16ELi32ELi8ELb0ELb0ELc84ELc76EKS1_S1_EviT_T0_PT8_S3_lS6_S3_lS4_PT9_S3_li.has_recursion, 0
	.set _ZL34rocblas_syrkx_herkx_general_kernelIi19rocblas_complex_numIdELi16ELi32ELi8ELb0ELb0ELc84ELc76EKS1_S1_EviT_T0_PT8_S3_lS6_S3_lS4_PT9_S3_li.has_indirect_call, 0
	.section	.AMDGPU.csdata,"",@progbits
; Kernel info:
; codeLenInByte = 3328
; TotalNumSgprs: 36
; NumVgprs: 56
; ScratchSize: 0
; MemoryBound: 0
; FloatMode: 240
; IeeeMode: 1
; LDSByteSize: 8192 bytes/workgroup (compile time only)
; SGPRBlocks: 8
; VGPRBlocks: 13
; NumSGPRsForWavesPerEU: 65
; NumVGPRsForWavesPerEU: 56
; Occupancy: 4
; WaveLimiterHint : 0
; COMPUTE_PGM_RSRC2:SCRATCH_EN: 0
; COMPUTE_PGM_RSRC2:USER_SGPR: 6
; COMPUTE_PGM_RSRC2:TRAP_HANDLER: 0
; COMPUTE_PGM_RSRC2:TGID_X_EN: 1
; COMPUTE_PGM_RSRC2:TGID_Y_EN: 1
; COMPUTE_PGM_RSRC2:TGID_Z_EN: 1
; COMPUTE_PGM_RSRC2:TIDIG_COMP_CNT: 1
	.section	.text._ZL34rocblas_syrkx_herkx_general_kernelIi19rocblas_complex_numIdELi16ELi32ELi8ELb0ELb0ELc67ELc76EKS1_S1_EviT_T0_PT8_S3_lS6_S3_lS4_PT9_S3_li,"axG",@progbits,_ZL34rocblas_syrkx_herkx_general_kernelIi19rocblas_complex_numIdELi16ELi32ELi8ELb0ELb0ELc67ELc76EKS1_S1_EviT_T0_PT8_S3_lS6_S3_lS4_PT9_S3_li,comdat
	.globl	_ZL34rocblas_syrkx_herkx_general_kernelIi19rocblas_complex_numIdELi16ELi32ELi8ELb0ELb0ELc67ELc76EKS1_S1_EviT_T0_PT8_S3_lS6_S3_lS4_PT9_S3_li ; -- Begin function _ZL34rocblas_syrkx_herkx_general_kernelIi19rocblas_complex_numIdELi16ELi32ELi8ELb0ELb0ELc67ELc76EKS1_S1_EviT_T0_PT8_S3_lS6_S3_lS4_PT9_S3_li
	.p2align	8
	.type	_ZL34rocblas_syrkx_herkx_general_kernelIi19rocblas_complex_numIdELi16ELi32ELi8ELb0ELb0ELc67ELc76EKS1_S1_EviT_T0_PT8_S3_lS6_S3_lS4_PT9_S3_li,@function
_ZL34rocblas_syrkx_herkx_general_kernelIi19rocblas_complex_numIdELi16ELi32ELi8ELb0ELb0ELc67ELc76EKS1_S1_EviT_T0_PT8_S3_lS6_S3_lS4_PT9_S3_li: ; @_ZL34rocblas_syrkx_herkx_general_kernelIi19rocblas_complex_numIdELi16ELi32ELi8ELb0ELb0ELc67ELc76EKS1_S1_EviT_T0_PT8_S3_lS6_S3_lS4_PT9_S3_li
; %bb.0:
	s_load_dwordx2 s[10:11], s[4:5], 0x0
	s_load_dwordx4 s[20:23], s[4:5], 0x8
	s_load_dwordx2 s[28:29], s[4:5], 0x18
	s_load_dwordx8 s[12:19], s[4:5], 0x40
	s_lshl_b32 s9, s6, 5
	s_lshl_b32 s30, s7, 5
	s_waitcnt lgkmcnt(0)
	s_cmp_lt_i32 s11, 1
	s_mov_b32 s31, 0
	s_cbranch_scc1 .LBB300_9
; %bb.1:
	v_lshl_add_u32 v2, v1, 4, v0
	v_lshrrev_b32_e32 v28, 5, v2
	v_lshrrev_b32_e32 v3, 3, v2
	v_and_b32_e32 v2, 31, v2
	v_or_b32_e32 v5, s9, v2
	s_load_dword s2, s[4:5], 0x20
	s_load_dwordx4 s[24:27], s[4:5], 0x28
	s_load_dword s6, s[4:5], 0x38
	v_and_b32_e32 v27, 7, v0
	v_cmp_gt_i32_e64 s[0:1], s10, v5
	v_lshlrev_b32_e32 v5, 4, v2
	v_lshl_or_b32 v29, v28, 9, v5
	v_lshlrev_b32_e32 v5, 4, v27
	v_add_u32_e32 v4, s30, v3
	v_lshl_or_b32 v3, v3, 7, v5
	v_add_u32_e32 v2, s9, v2
	v_add_u32_e32 v30, 0x1000, v3
	s_waitcnt lgkmcnt(0)
	v_mad_i64_i32 v[2:3], s[2:3], s2, v2, 0
	s_mul_i32 s2, s25, s8
	s_mul_hi_u32 s3, s24, s8
	v_lshlrev_b64 v[2:3], 4, v[2:3]
	s_add_i32 s3, s3, s2
	s_mul_i32 s2, s24, s8
	v_mov_b32_e32 v6, 0x1000
	s_lshl_b64 s[2:3], s[2:3], 4
	v_lshl_add_u32 v32, v1, 7, v6
	v_mov_b32_e32 v6, s3
	v_add_co_u32_e64 v2, s[2:3], s2, v2
	v_addc_co_u32_e64 v3, s[2:3], v3, v6, s[2:3]
	v_lshlrev_b32_e32 v6, 4, v28
	v_add_co_u32_e64 v2, s[2:3], v2, v6
	v_addc_co_u32_e64 v3, s[2:3], 0, v3, s[2:3]
	v_mov_b32_e32 v6, s29
	v_add_co_u32_e64 v7, s[2:3], s28, v2
	v_addc_co_u32_e64 v6, s[2:3], v6, v3, s[2:3]
	v_mad_i64_i32 v[2:3], s[2:3], s6, v4, 0
	v_add_co_u32_e64 v7, s[2:3], 8, v7
	v_addc_co_u32_e64 v8, s[2:3], 0, v6, s[2:3]
	s_mul_i32 s2, s13, s8
	s_mul_hi_u32 s3, s12, s8
	v_lshlrev_b64 v[2:3], 4, v[2:3]
	s_add_i32 s3, s3, s2
	s_mul_i32 s2, s12, s8
	s_lshl_b64 s[2:3], s[2:3], 4
	v_cmp_gt_i32_e32 vcc, s10, v4
	v_mov_b32_e32 v4, s3
	v_add_co_u32_e64 v2, s[2:3], s2, v2
	v_addc_co_u32_e64 v3, s[2:3], v3, v4, s[2:3]
	v_add_co_u32_e64 v2, s[2:3], v2, v5
	v_addc_co_u32_e64 v3, s[2:3], 0, v3, s[2:3]
	v_mov_b32_e32 v4, s27
	v_add_co_u32_e64 v9, s[2:3], s26, v2
	v_addc_co_u32_e64 v10, s[2:3], v4, v3, s[2:3]
	v_mov_b32_e32 v25, 0
	v_mov_b32_e32 v23, 0
	;; [unrolled: 1-line block ×8, first 2 shown]
	v_lshlrev_b32_e32 v31, 4, v0
	v_mov_b32_e32 v26, 0
	s_xor_b64 s[2:3], vcc, -1
	v_mov_b32_e32 v24, 0
	v_mov_b32_e32 v18, 0
	;; [unrolled: 1-line block ×8, first 2 shown]
	s_branch .LBB300_3
.LBB300_2:                              ;   in Loop: Header=BB300_3 Depth=1
	s_or_b64 exec, exec, s[6:7]
	s_waitcnt lgkmcnt(0)
	s_barrier
	ds_read_b128 v[3:6], v32
	ds_read_b128 v[33:36], v32 offset:16
	ds_read_b128 v[37:40], v32 offset:32
	;; [unrolled: 1-line block ×3, first 2 shown]
	ds_read_b128 v[45:48], v31
	v_add_co_u32_e32 v7, vcc, 0x80, v7
	v_addc_co_u32_e32 v8, vcc, 0, v8, vcc
	s_waitcnt lgkmcnt(0)
	v_mul_f64 v[49:50], v[5:6], v[47:48]
	v_mul_f64 v[51:52], v[3:4], v[47:48]
	s_add_i32 s31, s31, 8
	v_add_co_u32_e32 v9, vcc, 0x80, v9
	v_addc_co_u32_e32 v10, vcc, 0, v10, vcc
	s_cmp_ge_i32 s31, s11
	v_fma_f64 v[49:50], v[3:4], v[45:46], -v[49:50]
	v_fma_f64 v[51:52], v[5:6], v[45:46], v[51:52]
	v_add_f64 v[49:50], v[19:20], v[49:50]
	v_add_f64 v[51:52], v[51:52], v[21:22]
	ds_read_b128 v[19:22], v31 offset:256
	s_waitcnt lgkmcnt(0)
	v_mul_f64 v[53:54], v[5:6], v[21:22]
	v_fma_f64 v[53:54], v[3:4], v[19:20], -v[53:54]
	v_mul_f64 v[3:4], v[3:4], v[21:22]
	v_add_f64 v[53:54], v[11:12], v[53:54]
	v_fma_f64 v[3:4], v[5:6], v[19:20], v[3:4]
	v_add_f64 v[55:56], v[3:4], v[13:14]
	ds_read_b128 v[3:6], v32 offset:2048
	s_waitcnt lgkmcnt(0)
	v_mul_f64 v[11:12], v[5:6], v[47:48]
	v_mul_f64 v[13:14], v[3:4], v[47:48]
	v_fma_f64 v[11:12], v[3:4], v[45:46], -v[11:12]
	v_fma_f64 v[13:14], v[5:6], v[45:46], v[13:14]
	v_add_f64 v[45:46], v[15:16], v[11:12]
	v_mul_f64 v[11:12], v[5:6], v[21:22]
	v_add_f64 v[47:48], v[13:14], v[17:18]
	v_fma_f64 v[11:12], v[3:4], v[19:20], -v[11:12]
	v_mul_f64 v[3:4], v[3:4], v[21:22]
	v_fma_f64 v[3:4], v[5:6], v[19:20], v[3:4]
	v_add_f64 v[19:20], v[23:24], v[11:12]
	v_add_f64 v[21:22], v[3:4], v[25:26]
	ds_read_b128 v[3:6], v31 offset:512
	s_waitcnt lgkmcnt(0)
	v_mul_f64 v[11:12], v[35:36], v[5:6]
	v_mul_f64 v[13:14], v[33:34], v[5:6]
	v_fma_f64 v[11:12], v[33:34], v[3:4], -v[11:12]
	v_fma_f64 v[13:14], v[35:36], v[3:4], v[13:14]
	v_add_f64 v[23:24], v[49:50], v[11:12]
	v_add_f64 v[25:26], v[13:14], v[51:52]
	ds_read_b128 v[11:14], v31 offset:768
	s_waitcnt lgkmcnt(0)
	v_mul_f64 v[15:16], v[35:36], v[13:14]
	v_mul_f64 v[17:18], v[33:34], v[13:14]
	v_fma_f64 v[15:16], v[33:34], v[11:12], -v[15:16]
	;; [unrolled: 8-line block ×3, first 2 shown]
	v_fma_f64 v[3:4], v[17:18], v[3:4], v[5:6]
	v_mul_f64 v[5:6], v[15:16], v[13:14]
	v_add_f64 v[45:46], v[45:46], v[49:50]
	v_add_f64 v[47:48], v[3:4], v[47:48]
	v_mul_f64 v[3:4], v[17:18], v[13:14]
	v_fma_f64 v[5:6], v[17:18], v[11:12], v[5:6]
	v_fma_f64 v[3:4], v[15:16], v[11:12], -v[3:4]
	v_add_f64 v[21:22], v[5:6], v[21:22]
	v_add_f64 v[19:20], v[19:20], v[3:4]
	ds_read_b128 v[3:6], v31 offset:1024
	s_waitcnt lgkmcnt(0)
	v_mul_f64 v[11:12], v[39:40], v[5:6]
	v_mul_f64 v[13:14], v[37:38], v[5:6]
	v_fma_f64 v[11:12], v[37:38], v[3:4], -v[11:12]
	v_fma_f64 v[13:14], v[39:40], v[3:4], v[13:14]
	v_add_f64 v[23:24], v[23:24], v[11:12]
	v_add_f64 v[25:26], v[13:14], v[25:26]
	ds_read_b128 v[11:14], v31 offset:1280
	s_waitcnt lgkmcnt(0)
	v_mul_f64 v[15:16], v[39:40], v[13:14]
	v_mul_f64 v[17:18], v[37:38], v[13:14]
	v_fma_f64 v[15:16], v[37:38], v[11:12], -v[15:16]
	v_fma_f64 v[17:18], v[39:40], v[11:12], v[17:18]
	;; [unrolled: 8-line block ×3, first 2 shown]
	v_mul_f64 v[5:6], v[15:16], v[13:14]
	v_add_f64 v[37:38], v[45:46], v[37:38]
	v_add_f64 v[39:40], v[3:4], v[47:48]
	v_mul_f64 v[3:4], v[17:18], v[13:14]
	v_fma_f64 v[5:6], v[17:18], v[11:12], v[5:6]
	v_fma_f64 v[3:4], v[15:16], v[11:12], -v[3:4]
	v_add_f64 v[21:22], v[5:6], v[21:22]
	v_add_f64 v[19:20], v[19:20], v[3:4]
	ds_read_b128 v[3:6], v31 offset:1536
	s_waitcnt lgkmcnt(0)
	v_mul_f64 v[11:12], v[43:44], v[5:6]
	v_mul_f64 v[13:14], v[41:42], v[5:6]
	v_fma_f64 v[11:12], v[41:42], v[3:4], -v[11:12]
	v_fma_f64 v[13:14], v[43:44], v[3:4], v[13:14]
	v_add_f64 v[23:24], v[23:24], v[11:12]
	v_add_f64 v[25:26], v[13:14], v[25:26]
	ds_read_b128 v[11:14], v31 offset:1792
	s_waitcnt lgkmcnt(0)
	v_mul_f64 v[15:16], v[43:44], v[13:14]
	v_mul_f64 v[17:18], v[41:42], v[13:14]
	v_fma_f64 v[15:16], v[41:42], v[11:12], -v[15:16]
	v_fma_f64 v[17:18], v[43:44], v[11:12], v[17:18]
	;; [unrolled: 8-line block ×3, first 2 shown]
	v_mul_f64 v[5:6], v[15:16], v[13:14]
	v_add_f64 v[37:38], v[37:38], v[41:42]
	v_add_f64 v[39:40], v[3:4], v[39:40]
	v_mul_f64 v[3:4], v[17:18], v[13:14]
	v_fma_f64 v[5:6], v[17:18], v[11:12], v[5:6]
	v_fma_f64 v[3:4], v[15:16], v[11:12], -v[3:4]
	v_add_f64 v[21:22], v[5:6], v[21:22]
	v_add_f64 v[19:20], v[19:20], v[3:4]
	ds_read_b128 v[3:6], v32 offset:64
	ds_read_b128 v[11:14], v31 offset:2048
	s_waitcnt lgkmcnt(0)
	v_mul_f64 v[15:16], v[5:6], v[13:14]
	v_mul_f64 v[17:18], v[3:4], v[13:14]
	v_fma_f64 v[15:16], v[3:4], v[11:12], -v[15:16]
	v_fma_f64 v[17:18], v[5:6], v[11:12], v[17:18]
	v_add_f64 v[23:24], v[23:24], v[15:16]
	v_add_f64 v[25:26], v[17:18], v[25:26]
	ds_read_b128 v[15:18], v31 offset:2304
	s_waitcnt lgkmcnt(0)
	v_mul_f64 v[41:42], v[5:6], v[17:18]
	v_fma_f64 v[41:42], v[3:4], v[15:16], -v[41:42]
	v_mul_f64 v[3:4], v[3:4], v[17:18]
	v_add_f64 v[33:34], v[33:34], v[41:42]
	v_fma_f64 v[3:4], v[5:6], v[15:16], v[3:4]
	v_add_f64 v[35:36], v[3:4], v[35:36]
	ds_read_b128 v[3:6], v32 offset:2112
	s_waitcnt lgkmcnt(0)
	v_mul_f64 v[41:42], v[5:6], v[13:14]
	v_mul_f64 v[13:14], v[3:4], v[13:14]
	v_fma_f64 v[41:42], v[3:4], v[11:12], -v[41:42]
	v_fma_f64 v[11:12], v[5:6], v[11:12], v[13:14]
	v_add_f64 v[37:38], v[37:38], v[41:42]
	v_add_f64 v[39:40], v[11:12], v[39:40]
	v_mul_f64 v[11:12], v[5:6], v[17:18]
	v_fma_f64 v[11:12], v[3:4], v[15:16], -v[11:12]
	v_mul_f64 v[3:4], v[3:4], v[17:18]
	v_add_f64 v[19:20], v[19:20], v[11:12]
	v_fma_f64 v[3:4], v[5:6], v[15:16], v[3:4]
	v_add_f64 v[21:22], v[3:4], v[21:22]
	ds_read_b128 v[3:6], v32 offset:80
	ds_read_b128 v[11:14], v31 offset:2560
	s_waitcnt lgkmcnt(0)
	v_mul_f64 v[15:16], v[5:6], v[13:14]
	v_mul_f64 v[17:18], v[3:4], v[13:14]
	v_fma_f64 v[15:16], v[3:4], v[11:12], -v[15:16]
	v_fma_f64 v[17:18], v[5:6], v[11:12], v[17:18]
	v_add_f64 v[23:24], v[23:24], v[15:16]
	v_add_f64 v[25:26], v[17:18], v[25:26]
	ds_read_b128 v[15:18], v31 offset:2816
	s_waitcnt lgkmcnt(0)
	v_mul_f64 v[41:42], v[5:6], v[17:18]
	v_fma_f64 v[41:42], v[3:4], v[15:16], -v[41:42]
	v_mul_f64 v[3:4], v[3:4], v[17:18]
	v_add_f64 v[33:34], v[33:34], v[41:42]
	v_fma_f64 v[3:4], v[5:6], v[15:16], v[3:4]
	v_add_f64 v[35:36], v[3:4], v[35:36]
	ds_read_b128 v[3:6], v32 offset:2128
	s_waitcnt lgkmcnt(0)
	v_mul_f64 v[41:42], v[5:6], v[13:14]
	v_mul_f64 v[13:14], v[3:4], v[13:14]
	v_fma_f64 v[41:42], v[3:4], v[11:12], -v[41:42]
	v_fma_f64 v[11:12], v[5:6], v[11:12], v[13:14]
	v_add_f64 v[37:38], v[37:38], v[41:42]
	v_add_f64 v[39:40], v[11:12], v[39:40]
	v_mul_f64 v[11:12], v[5:6], v[17:18]
	v_fma_f64 v[11:12], v[3:4], v[15:16], -v[11:12]
	v_mul_f64 v[3:4], v[3:4], v[17:18]
	v_add_f64 v[19:20], v[19:20], v[11:12]
	v_fma_f64 v[3:4], v[5:6], v[15:16], v[3:4]
	;; [unrolled: 31-line block ×3, first 2 shown]
	v_add_f64 v[43:44], v[3:4], v[21:22]
	ds_read_b128 v[3:6], v32 offset:112
	ds_read_b128 v[15:18], v31 offset:3584
	s_waitcnt lgkmcnt(0)
	v_mul_f64 v[11:12], v[5:6], v[17:18]
	v_mul_f64 v[13:14], v[3:4], v[17:18]
	v_fma_f64 v[11:12], v[3:4], v[15:16], -v[11:12]
	v_fma_f64 v[13:14], v[5:6], v[15:16], v[13:14]
	v_add_f64 v[19:20], v[23:24], v[11:12]
	v_add_f64 v[21:22], v[13:14], v[25:26]
	ds_read_b128 v[23:26], v31 offset:3840
	s_waitcnt lgkmcnt(0)
	v_mul_f64 v[11:12], v[5:6], v[25:26]
	v_fma_f64 v[11:12], v[3:4], v[23:24], -v[11:12]
	v_mul_f64 v[3:4], v[3:4], v[25:26]
	v_add_f64 v[11:12], v[33:34], v[11:12]
	v_fma_f64 v[3:4], v[5:6], v[23:24], v[3:4]
	v_add_f64 v[13:14], v[3:4], v[35:36]
	ds_read_b128 v[3:6], v32 offset:2160
	s_waitcnt lgkmcnt(0)
	s_barrier
	v_mul_f64 v[33:34], v[5:6], v[17:18]
	v_mul_f64 v[17:18], v[3:4], v[17:18]
	v_fma_f64 v[33:34], v[3:4], v[15:16], -v[33:34]
	v_fma_f64 v[17:18], v[5:6], v[15:16], v[17:18]
	v_add_f64 v[15:16], v[37:38], v[33:34]
	v_mul_f64 v[33:34], v[5:6], v[25:26]
	v_add_f64 v[17:18], v[17:18], v[39:40]
	v_fma_f64 v[33:34], v[3:4], v[23:24], -v[33:34]
	v_mul_f64 v[3:4], v[3:4], v[25:26]
	v_fma_f64 v[3:4], v[5:6], v[23:24], v[3:4]
	v_add_f64 v[23:24], v[41:42], v[33:34]
	v_add_f64 v[25:26], v[3:4], v[43:44]
	s_cbranch_scc1 .LBB300_10
.LBB300_3:                              ; =>This Inner Loop Header: Depth=1
	v_add_u32_e32 v3, s31, v28
	v_cmp_gt_i32_e32 vcc, s11, v3
	v_mov_b32_e32 v3, 0
	v_mov_b32_e32 v5, 0
	;; [unrolled: 1-line block ×4, first 2 shown]
	s_and_b64 s[12:13], s[0:1], vcc
	s_and_saveexec_b64 s[6:7], s[12:13]
	s_cbranch_execz .LBB300_5
; %bb.4:                                ;   in Loop: Header=BB300_3 Depth=1
	global_load_dwordx4 v[3:6], v[7:8], off offset:-8
.LBB300_5:                              ;   in Loop: Header=BB300_3 Depth=1
	s_or_b64 exec, exec, s[6:7]
	s_waitcnt vmcnt(0)
	ds_write_b128 v29, v[3:6]
	v_add_u32_e32 v3, s31, v27
	v_cmp_le_i32_e32 vcc, s11, v3
	s_or_b64 s[6:7], vcc, s[2:3]
	s_and_saveexec_b64 s[12:13], s[6:7]
	s_xor_b64 s[6:7], exec, s[12:13]
; %bb.6:                                ;   in Loop: Header=BB300_3 Depth=1
	v_mov_b32_e32 v3, v2
	v_mov_b32_e32 v4, v2
	;; [unrolled: 1-line block ×3, first 2 shown]
	ds_write_b128 v30, v[2:5]
; %bb.7:                                ;   in Loop: Header=BB300_3 Depth=1
	s_andn2_saveexec_b64 s[6:7], s[6:7]
	s_cbranch_execz .LBB300_2
; %bb.8:                                ;   in Loop: Header=BB300_3 Depth=1
	global_load_dwordx4 v[3:6], v[9:10], off
	s_waitcnt vmcnt(0)
	ds_write2_b64 v30, v[3:4], v[5:6] offset1:1
	s_branch .LBB300_2
.LBB300_9:
	v_mov_b32_e32 v19, 0
	v_mov_b32_e32 v21, 0
	;; [unrolled: 1-line block ×16, first 2 shown]
.LBB300_10:
	s_load_dwordx2 s[0:1], s[4:5], 0x68
	s_load_dword s6, s[4:5], 0x60
	v_add_u32_e32 v4, s30, v1
	v_add_u32_e32 v0, s9, v0
	s_waitcnt lgkmcnt(0)
	s_mul_i32 s1, s1, s8
	s_mul_hi_u32 s2, s0, s8
	s_add_i32 s1, s2, s1
	v_mad_i64_i32 v[1:2], s[2:3], v4, s6, 0
	s_mul_i32 s0, s0, s8
	s_lshl_b64 s[0:1], s[0:1], 4
	s_add_u32 s7, s18, s0
	v_lshlrev_b64 v[1:2], 4, v[1:2]
	s_addc_u32 s8, s19, s1
	v_mov_b32_e32 v3, s8
	v_add_co_u32_e32 v5, vcc, s7, v1
	v_addc_co_u32_e32 v6, vcc, v3, v2, vcc
	v_cmp_le_i32_e64 s[0:1], v4, v0
	v_cmp_gt_i32_e32 vcc, s10, v0
	s_and_b64 s[0:1], s[0:1], vcc
	s_and_saveexec_b64 s[2:3], s[0:1]
	s_cbranch_execz .LBB300_12
; %bb.11:
	v_ashrrev_i32_e32 v1, 31, v0
	v_lshlrev_b64 v[1:2], 4, v[0:1]
	v_mul_f64 v[27:28], s[22:23], v[21:22]
	v_add_co_u32_e64 v1, s[0:1], v5, v1
	v_addc_co_u32_e64 v2, s[0:1], v6, v2, s[0:1]
	global_load_dwordx4 v[7:10], v[1:2], off
	v_mul_f64 v[21:22], s[20:21], v[21:22]
	v_fma_f64 v[27:28], s[20:21], v[19:20], -v[27:28]
	v_fma_f64 v[19:20], s[22:23], v[19:20], v[21:22]
	s_waitcnt vmcnt(0)
	v_mul_f64 v[29:30], s[16:17], v[9:10]
	v_mul_f64 v[9:10], s[14:15], v[9:10]
	v_fma_f64 v[21:22], s[14:15], v[7:8], -v[29:30]
	v_fma_f64 v[9:10], s[16:17], v[7:8], v[9:10]
	v_add_f64 v[7:8], v[27:28], v[21:22]
	v_add_f64 v[9:10], v[19:20], v[9:10]
	global_store_dwordx4 v[1:2], v[7:10], off
.LBB300_12:
	s_or_b64 exec, exec, s[2:3]
	v_add_u32_e32 v2, 16, v0
	v_cmp_le_i32_e64 s[2:3], v4, v2
	v_cmp_gt_i32_e64 s[0:1], s10, v2
	s_and_b64 s[2:3], s[2:3], s[0:1]
	s_and_saveexec_b64 s[4:5], s[2:3]
	s_cbranch_execz .LBB300_14
; %bb.13:
	v_ashrrev_i32_e32 v3, 31, v2
	v_lshlrev_b64 v[7:8], 4, v[2:3]
	v_mul_f64 v[19:20], s[22:23], v[13:14]
	v_add_co_u32_e64 v9, s[2:3], v5, v7
	v_addc_co_u32_e64 v10, s[2:3], v6, v8, s[2:3]
	global_load_dwordx4 v[5:8], v[9:10], off
	v_mul_f64 v[13:14], s[20:21], v[13:14]
	v_fma_f64 v[19:20], s[20:21], v[11:12], -v[19:20]
	v_fma_f64 v[11:12], s[22:23], v[11:12], v[13:14]
	s_waitcnt vmcnt(0)
	v_mul_f64 v[21:22], s[16:17], v[7:8]
	v_mul_f64 v[7:8], s[14:15], v[7:8]
	v_fma_f64 v[13:14], s[14:15], v[5:6], -v[21:22]
	v_fma_f64 v[7:8], s[16:17], v[5:6], v[7:8]
	v_add_f64 v[5:6], v[19:20], v[13:14]
	v_add_f64 v[7:8], v[11:12], v[7:8]
	global_store_dwordx4 v[9:10], v[5:8], off
.LBB300_14:
	s_or_b64 exec, exec, s[4:5]
	v_add_u32_e32 v3, 16, v4
	v_mad_i64_i32 v[4:5], s[2:3], v3, s6, 0
	v_mov_b32_e32 v1, s8
	v_lshlrev_b64 v[4:5], 4, v[4:5]
	v_add_co_u32_e64 v4, s[2:3], s7, v4
	v_addc_co_u32_e64 v5, s[2:3], v1, v5, s[2:3]
	v_cmp_le_i32_e64 s[2:3], v3, v0
	s_and_b64 s[4:5], s[2:3], vcc
	s_and_saveexec_b64 s[2:3], s[4:5]
	s_cbranch_execz .LBB300_16
; %bb.15:
	v_ashrrev_i32_e32 v1, 31, v0
	v_lshlrev_b64 v[0:1], 4, v[0:1]
	v_mul_f64 v[10:11], s[22:23], v[17:18]
	v_add_co_u32_e32 v0, vcc, v4, v0
	v_addc_co_u32_e32 v1, vcc, v5, v1, vcc
	global_load_dwordx4 v[6:9], v[0:1], off
	v_mul_f64 v[12:13], s[20:21], v[17:18]
	v_fma_f64 v[10:11], s[20:21], v[15:16], -v[10:11]
	v_fma_f64 v[12:13], s[22:23], v[15:16], v[12:13]
	s_waitcnt vmcnt(0)
	v_mul_f64 v[17:18], s[16:17], v[8:9]
	v_mul_f64 v[8:9], s[14:15], v[8:9]
	v_fma_f64 v[14:15], s[14:15], v[6:7], -v[17:18]
	v_fma_f64 v[8:9], s[16:17], v[6:7], v[8:9]
	v_add_f64 v[6:7], v[10:11], v[14:15]
	v_add_f64 v[8:9], v[12:13], v[8:9]
	global_store_dwordx4 v[0:1], v[6:9], off
.LBB300_16:
	s_or_b64 exec, exec, s[2:3]
	v_cmp_le_i32_e32 vcc, v3, v2
	s_and_b64 s[0:1], vcc, s[0:1]
	s_and_saveexec_b64 s[2:3], s[0:1]
	s_cbranch_execz .LBB300_18
; %bb.17:
	v_ashrrev_i32_e32 v3, 31, v2
	v_lshlrev_b64 v[0:1], 4, v[2:3]
	v_mul_f64 v[6:7], s[22:23], v[25:26]
	v_add_co_u32_e32 v4, vcc, v4, v0
	v_addc_co_u32_e32 v5, vcc, v5, v1, vcc
	global_load_dwordx4 v[0:3], v[4:5], off
	v_mul_f64 v[8:9], s[20:21], v[25:26]
	v_fma_f64 v[6:7], s[20:21], v[23:24], -v[6:7]
	v_fma_f64 v[8:9], s[22:23], v[23:24], v[8:9]
	s_waitcnt vmcnt(0)
	v_mul_f64 v[10:11], s[16:17], v[2:3]
	v_mul_f64 v[2:3], s[14:15], v[2:3]
	v_fma_f64 v[10:11], s[14:15], v[0:1], -v[10:11]
	v_fma_f64 v[2:3], s[16:17], v[0:1], v[2:3]
	v_add_f64 v[0:1], v[6:7], v[10:11]
	v_add_f64 v[2:3], v[8:9], v[2:3]
	global_store_dwordx4 v[4:5], v[0:3], off
.LBB300_18:
	s_endpgm
	.section	.rodata,"a",@progbits
	.p2align	6, 0x0
	.amdhsa_kernel _ZL34rocblas_syrkx_herkx_general_kernelIi19rocblas_complex_numIdELi16ELi32ELi8ELb0ELb0ELc67ELc76EKS1_S1_EviT_T0_PT8_S3_lS6_S3_lS4_PT9_S3_li
		.amdhsa_group_segment_fixed_size 8192
		.amdhsa_private_segment_fixed_size 0
		.amdhsa_kernarg_size 116
		.amdhsa_user_sgpr_count 6
		.amdhsa_user_sgpr_private_segment_buffer 1
		.amdhsa_user_sgpr_dispatch_ptr 0
		.amdhsa_user_sgpr_queue_ptr 0
		.amdhsa_user_sgpr_kernarg_segment_ptr 1
		.amdhsa_user_sgpr_dispatch_id 0
		.amdhsa_user_sgpr_flat_scratch_init 0
		.amdhsa_user_sgpr_private_segment_size 0
		.amdhsa_uses_dynamic_stack 0
		.amdhsa_system_sgpr_private_segment_wavefront_offset 0
		.amdhsa_system_sgpr_workgroup_id_x 1
		.amdhsa_system_sgpr_workgroup_id_y 1
		.amdhsa_system_sgpr_workgroup_id_z 1
		.amdhsa_system_sgpr_workgroup_info 0
		.amdhsa_system_vgpr_workitem_id 1
		.amdhsa_next_free_vgpr 57
		.amdhsa_next_free_sgpr 61
		.amdhsa_reserve_vcc 1
		.amdhsa_reserve_flat_scratch 0
		.amdhsa_float_round_mode_32 0
		.amdhsa_float_round_mode_16_64 0
		.amdhsa_float_denorm_mode_32 3
		.amdhsa_float_denorm_mode_16_64 3
		.amdhsa_dx10_clamp 1
		.amdhsa_ieee_mode 1
		.amdhsa_fp16_overflow 0
		.amdhsa_exception_fp_ieee_invalid_op 0
		.amdhsa_exception_fp_denorm_src 0
		.amdhsa_exception_fp_ieee_div_zero 0
		.amdhsa_exception_fp_ieee_overflow 0
		.amdhsa_exception_fp_ieee_underflow 0
		.amdhsa_exception_fp_ieee_inexact 0
		.amdhsa_exception_int_div_zero 0
	.end_amdhsa_kernel
	.section	.text._ZL34rocblas_syrkx_herkx_general_kernelIi19rocblas_complex_numIdELi16ELi32ELi8ELb0ELb0ELc67ELc76EKS1_S1_EviT_T0_PT8_S3_lS6_S3_lS4_PT9_S3_li,"axG",@progbits,_ZL34rocblas_syrkx_herkx_general_kernelIi19rocblas_complex_numIdELi16ELi32ELi8ELb0ELb0ELc67ELc76EKS1_S1_EviT_T0_PT8_S3_lS6_S3_lS4_PT9_S3_li,comdat
.Lfunc_end300:
	.size	_ZL34rocblas_syrkx_herkx_general_kernelIi19rocblas_complex_numIdELi16ELi32ELi8ELb0ELb0ELc67ELc76EKS1_S1_EviT_T0_PT8_S3_lS6_S3_lS4_PT9_S3_li, .Lfunc_end300-_ZL34rocblas_syrkx_herkx_general_kernelIi19rocblas_complex_numIdELi16ELi32ELi8ELb0ELb0ELc67ELc76EKS1_S1_EviT_T0_PT8_S3_lS6_S3_lS4_PT9_S3_li
                                        ; -- End function
	.set _ZL34rocblas_syrkx_herkx_general_kernelIi19rocblas_complex_numIdELi16ELi32ELi8ELb0ELb0ELc67ELc76EKS1_S1_EviT_T0_PT8_S3_lS6_S3_lS4_PT9_S3_li.num_vgpr, 57
	.set _ZL34rocblas_syrkx_herkx_general_kernelIi19rocblas_complex_numIdELi16ELi32ELi8ELb0ELb0ELc67ELc76EKS1_S1_EviT_T0_PT8_S3_lS6_S3_lS4_PT9_S3_li.num_agpr, 0
	.set _ZL34rocblas_syrkx_herkx_general_kernelIi19rocblas_complex_numIdELi16ELi32ELi8ELb0ELb0ELc67ELc76EKS1_S1_EviT_T0_PT8_S3_lS6_S3_lS4_PT9_S3_li.numbered_sgpr, 32
	.set _ZL34rocblas_syrkx_herkx_general_kernelIi19rocblas_complex_numIdELi16ELi32ELi8ELb0ELb0ELc67ELc76EKS1_S1_EviT_T0_PT8_S3_lS6_S3_lS4_PT9_S3_li.num_named_barrier, 0
	.set _ZL34rocblas_syrkx_herkx_general_kernelIi19rocblas_complex_numIdELi16ELi32ELi8ELb0ELb0ELc67ELc76EKS1_S1_EviT_T0_PT8_S3_lS6_S3_lS4_PT9_S3_li.private_seg_size, 0
	.set _ZL34rocblas_syrkx_herkx_general_kernelIi19rocblas_complex_numIdELi16ELi32ELi8ELb0ELb0ELc67ELc76EKS1_S1_EviT_T0_PT8_S3_lS6_S3_lS4_PT9_S3_li.uses_vcc, 1
	.set _ZL34rocblas_syrkx_herkx_general_kernelIi19rocblas_complex_numIdELi16ELi32ELi8ELb0ELb0ELc67ELc76EKS1_S1_EviT_T0_PT8_S3_lS6_S3_lS4_PT9_S3_li.uses_flat_scratch, 0
	.set _ZL34rocblas_syrkx_herkx_general_kernelIi19rocblas_complex_numIdELi16ELi32ELi8ELb0ELb0ELc67ELc76EKS1_S1_EviT_T0_PT8_S3_lS6_S3_lS4_PT9_S3_li.has_dyn_sized_stack, 0
	.set _ZL34rocblas_syrkx_herkx_general_kernelIi19rocblas_complex_numIdELi16ELi32ELi8ELb0ELb0ELc67ELc76EKS1_S1_EviT_T0_PT8_S3_lS6_S3_lS4_PT9_S3_li.has_recursion, 0
	.set _ZL34rocblas_syrkx_herkx_general_kernelIi19rocblas_complex_numIdELi16ELi32ELi8ELb0ELb0ELc67ELc76EKS1_S1_EviT_T0_PT8_S3_lS6_S3_lS4_PT9_S3_li.has_indirect_call, 0
	.section	.AMDGPU.csdata,"",@progbits
; Kernel info:
; codeLenInByte = 3328
; TotalNumSgprs: 36
; NumVgprs: 57
; ScratchSize: 0
; MemoryBound: 1
; FloatMode: 240
; IeeeMode: 1
; LDSByteSize: 8192 bytes/workgroup (compile time only)
; SGPRBlocks: 8
; VGPRBlocks: 14
; NumSGPRsForWavesPerEU: 65
; NumVGPRsForWavesPerEU: 57
; Occupancy: 4
; WaveLimiterHint : 0
; COMPUTE_PGM_RSRC2:SCRATCH_EN: 0
; COMPUTE_PGM_RSRC2:USER_SGPR: 6
; COMPUTE_PGM_RSRC2:TRAP_HANDLER: 0
; COMPUTE_PGM_RSRC2:TGID_X_EN: 1
; COMPUTE_PGM_RSRC2:TGID_Y_EN: 1
; COMPUTE_PGM_RSRC2:TGID_Z_EN: 1
; COMPUTE_PGM_RSRC2:TIDIG_COMP_CNT: 1
	.section	.text._ZL34rocblas_syrkx_herkx_general_kernelIi19rocblas_complex_numIdELi16ELi32ELi8ELb0ELb0ELc78ELc76EKS1_S1_EviT_T0_PT8_S3_lS6_S3_lS4_PT9_S3_li,"axG",@progbits,_ZL34rocblas_syrkx_herkx_general_kernelIi19rocblas_complex_numIdELi16ELi32ELi8ELb0ELb0ELc78ELc76EKS1_S1_EviT_T0_PT8_S3_lS6_S3_lS4_PT9_S3_li,comdat
	.globl	_ZL34rocblas_syrkx_herkx_general_kernelIi19rocblas_complex_numIdELi16ELi32ELi8ELb0ELb0ELc78ELc76EKS1_S1_EviT_T0_PT8_S3_lS6_S3_lS4_PT9_S3_li ; -- Begin function _ZL34rocblas_syrkx_herkx_general_kernelIi19rocblas_complex_numIdELi16ELi32ELi8ELb0ELb0ELc78ELc76EKS1_S1_EviT_T0_PT8_S3_lS6_S3_lS4_PT9_S3_li
	.p2align	8
	.type	_ZL34rocblas_syrkx_herkx_general_kernelIi19rocblas_complex_numIdELi16ELi32ELi8ELb0ELb0ELc78ELc76EKS1_S1_EviT_T0_PT8_S3_lS6_S3_lS4_PT9_S3_li,@function
_ZL34rocblas_syrkx_herkx_general_kernelIi19rocblas_complex_numIdELi16ELi32ELi8ELb0ELb0ELc78ELc76EKS1_S1_EviT_T0_PT8_S3_lS6_S3_lS4_PT9_S3_li: ; @_ZL34rocblas_syrkx_herkx_general_kernelIi19rocblas_complex_numIdELi16ELi32ELi8ELb0ELb0ELc78ELc76EKS1_S1_EviT_T0_PT8_S3_lS6_S3_lS4_PT9_S3_li
; %bb.0:
	s_load_dwordx2 s[10:11], s[4:5], 0x0
	s_load_dwordx4 s[20:23], s[4:5], 0x8
	s_load_dwordx2 s[28:29], s[4:5], 0x18
	s_load_dwordx8 s[12:19], s[4:5], 0x40
	s_lshl_b32 s9, s6, 5
	s_lshl_b32 s30, s7, 5
	s_waitcnt lgkmcnt(0)
	s_cmp_lt_i32 s11, 1
	s_mov_b32 s31, 0
	s_cbranch_scc1 .LBB301_9
; %bb.1:
	v_lshl_add_u32 v3, v1, 4, v0
	v_and_b32_e32 v6, 31, v3
	s_load_dword s6, s[4:5], 0x20
	s_load_dword s34, s[4:5], 0x38
	s_load_dwordx4 s[24:27], s[4:5], 0x28
	v_lshrrev_b32_e32 v28, 5, v3
	v_lshrrev_b32_e32 v4, 3, v3
	v_or_b32_e32 v3, s9, v6
	v_and_b32_e32 v27, 7, v0
	v_cmp_gt_i32_e64 s[0:1], s10, v3
	v_lshlrev_b32_e32 v3, 4, v6
	v_lshl_or_b32 v29, v28, 9, v3
	v_lshlrev_b32_e32 v3, 4, v27
	v_add_u32_e32 v2, s30, v4
	v_lshl_or_b32 v3, v4, 7, v3
	s_waitcnt lgkmcnt(0)
	v_mad_i64_i32 v[4:5], s[2:3], v28, s6, 0
	s_mul_i32 s2, s25, s8
	s_mul_hi_u32 s3, s24, s8
	v_lshlrev_b64 v[4:5], 4, v[4:5]
	s_add_i32 s3, s3, s2
	s_mul_i32 s2, s24, s8
	v_mov_b32_e32 v7, 0x1000
	s_lshl_b64 s[2:3], s[2:3], 4
	v_lshl_add_u32 v32, v1, 7, v7
	v_mov_b32_e32 v7, s3
	v_add_co_u32_e64 v8, s[2:3], s2, v4
	v_add_u32_e32 v4, s9, v6
	v_addc_co_u32_e64 v7, s[2:3], v5, v7, s[2:3]
	v_ashrrev_i32_e32 v5, 31, v4
	v_lshlrev_b64 v[4:5], 4, v[4:5]
	v_mov_b32_e32 v6, s29
	v_add_co_u32_e64 v4, s[2:3], v8, v4
	v_addc_co_u32_e64 v5, s[2:3], v7, v5, s[2:3]
	v_add_co_u32_e64 v7, s[2:3], s28, v4
	v_addc_co_u32_e64 v8, s[2:3], v6, v5, s[2:3]
	v_mad_i64_i32 v[4:5], s[2:3], s34, v27, 0
	s_mul_i32 s13, s13, s8
	s_mul_hi_u32 s24, s12, s8
	s_add_i32 s3, s24, s13
	s_mul_i32 s2, s12, s8
	v_lshlrev_b64 v[4:5], 4, v[4:5]
	v_add_u32_e32 v30, 0x1000, v3
	v_ashrrev_i32_e32 v3, 31, v2
	s_lshl_b64 s[2:3], s[2:3], 4
	v_cmp_gt_i32_e32 vcc, s10, v2
	v_mov_b32_e32 v6, s3
	v_add_co_u32_e64 v4, s[2:3], s2, v4
	v_lshlrev_b64 v[2:3], 4, v[2:3]
	v_addc_co_u32_e64 v5, s[2:3], v6, v5, s[2:3]
	v_add_co_u32_e64 v2, s[2:3], v4, v2
	v_addc_co_u32_e64 v3, s[2:3], v5, v3, s[2:3]
	v_mov_b32_e32 v4, s27
	v_add_co_u32_e64 v2, s[2:3], s26, v2
	v_addc_co_u32_e64 v3, s[2:3], v4, v3, s[2:3]
	v_add_co_u32_e64 v9, s[2:3], 8, v2
	s_ashr_i32 s7, s6, 31
	s_ashr_i32 s35, s34, 31
	v_addc_co_u32_e64 v10, s[2:3], 0, v3, s[2:3]
	s_lshl_b64 s[6:7], s[6:7], 7
	s_lshl_b64 s[2:3], s[34:35], 7
	v_mov_b32_e32 v25, 0
	v_mov_b32_e32 v23, 0
	;; [unrolled: 1-line block ×8, first 2 shown]
	v_lshlrev_b32_e32 v31, 4, v0
	v_mov_b32_e32 v26, 0
	s_xor_b64 s[12:13], s[0:1], -1
	v_mov_b32_e32 v33, s7
	v_mov_b32_e32 v34, s3
	;; [unrolled: 1-line block ×10, first 2 shown]
	s_branch .LBB301_3
.LBB301_2:                              ;   in Loop: Header=BB301_3 Depth=1
	s_or_b64 exec, exec, s[0:1]
	s_waitcnt vmcnt(0)
	ds_write_b128 v30, v[3:6]
	s_waitcnt lgkmcnt(0)
	s_barrier
	ds_read_b128 v[3:6], v32
	ds_read_b128 v[35:38], v32 offset:16
	ds_read_b128 v[39:42], v32 offset:32
	;; [unrolled: 1-line block ×3, first 2 shown]
	ds_read_b128 v[47:50], v31
	v_add_co_u32_e64 v7, s[0:1], s6, v7
	v_addc_co_u32_e64 v8, s[0:1], v8, v33, s[0:1]
	s_waitcnt lgkmcnt(0)
	v_mul_f64 v[51:52], v[5:6], v[49:50]
	v_mul_f64 v[53:54], v[3:4], v[49:50]
	s_add_i32 s31, s31, 8
	v_add_co_u32_e64 v9, s[0:1], s2, v9
	v_addc_co_u32_e64 v10, s[0:1], v10, v34, s[0:1]
	s_cmp_ge_i32 s31, s11
	v_fma_f64 v[51:52], v[3:4], v[47:48], -v[51:52]
	v_fma_f64 v[53:54], v[5:6], v[47:48], v[53:54]
	v_add_f64 v[51:52], v[19:20], v[51:52]
	v_add_f64 v[53:54], v[53:54], v[21:22]
	ds_read_b128 v[19:22], v31 offset:256
	s_waitcnt lgkmcnt(0)
	v_mul_f64 v[55:56], v[5:6], v[21:22]
	v_fma_f64 v[55:56], v[3:4], v[19:20], -v[55:56]
	v_mul_f64 v[3:4], v[3:4], v[21:22]
	v_add_f64 v[55:56], v[11:12], v[55:56]
	v_fma_f64 v[3:4], v[5:6], v[19:20], v[3:4]
	v_add_f64 v[57:58], v[3:4], v[13:14]
	ds_read_b128 v[3:6], v32 offset:2048
	s_waitcnt lgkmcnt(0)
	v_mul_f64 v[11:12], v[5:6], v[49:50]
	v_mul_f64 v[13:14], v[3:4], v[49:50]
	v_fma_f64 v[11:12], v[3:4], v[47:48], -v[11:12]
	v_fma_f64 v[13:14], v[5:6], v[47:48], v[13:14]
	v_add_f64 v[47:48], v[15:16], v[11:12]
	v_mul_f64 v[11:12], v[5:6], v[21:22]
	v_add_f64 v[49:50], v[13:14], v[17:18]
	v_fma_f64 v[11:12], v[3:4], v[19:20], -v[11:12]
	v_mul_f64 v[3:4], v[3:4], v[21:22]
	v_fma_f64 v[3:4], v[5:6], v[19:20], v[3:4]
	v_add_f64 v[19:20], v[23:24], v[11:12]
	v_add_f64 v[21:22], v[3:4], v[25:26]
	ds_read_b128 v[3:6], v31 offset:512
	s_waitcnt lgkmcnt(0)
	v_mul_f64 v[11:12], v[37:38], v[5:6]
	v_mul_f64 v[13:14], v[35:36], v[5:6]
	v_fma_f64 v[11:12], v[35:36], v[3:4], -v[11:12]
	v_fma_f64 v[13:14], v[37:38], v[3:4], v[13:14]
	v_add_f64 v[23:24], v[51:52], v[11:12]
	v_add_f64 v[25:26], v[13:14], v[53:54]
	ds_read_b128 v[11:14], v31 offset:768
	s_waitcnt lgkmcnt(0)
	v_mul_f64 v[15:16], v[37:38], v[13:14]
	v_mul_f64 v[17:18], v[35:36], v[13:14]
	v_fma_f64 v[15:16], v[35:36], v[11:12], -v[15:16]
	;; [unrolled: 8-line block ×3, first 2 shown]
	v_fma_f64 v[3:4], v[17:18], v[3:4], v[5:6]
	v_mul_f64 v[5:6], v[15:16], v[13:14]
	v_add_f64 v[47:48], v[47:48], v[51:52]
	v_add_f64 v[49:50], v[3:4], v[49:50]
	v_mul_f64 v[3:4], v[17:18], v[13:14]
	v_fma_f64 v[5:6], v[17:18], v[11:12], v[5:6]
	v_fma_f64 v[3:4], v[15:16], v[11:12], -v[3:4]
	v_add_f64 v[21:22], v[5:6], v[21:22]
	v_add_f64 v[19:20], v[19:20], v[3:4]
	ds_read_b128 v[3:6], v31 offset:1024
	s_waitcnt lgkmcnt(0)
	v_mul_f64 v[11:12], v[41:42], v[5:6]
	v_mul_f64 v[13:14], v[39:40], v[5:6]
	v_fma_f64 v[11:12], v[39:40], v[3:4], -v[11:12]
	v_fma_f64 v[13:14], v[41:42], v[3:4], v[13:14]
	v_add_f64 v[23:24], v[23:24], v[11:12]
	v_add_f64 v[25:26], v[13:14], v[25:26]
	ds_read_b128 v[11:14], v31 offset:1280
	s_waitcnt lgkmcnt(0)
	v_mul_f64 v[15:16], v[41:42], v[13:14]
	v_mul_f64 v[17:18], v[39:40], v[13:14]
	v_fma_f64 v[15:16], v[39:40], v[11:12], -v[15:16]
	v_fma_f64 v[17:18], v[41:42], v[11:12], v[17:18]
	v_add_f64 v[35:36], v[35:36], v[15:16]
	v_add_f64 v[37:38], v[17:18], v[37:38]
	ds_read_b128 v[15:18], v32 offset:2080
	s_waitcnt lgkmcnt(0)
	v_mul_f64 v[39:40], v[17:18], v[5:6]
	v_mul_f64 v[5:6], v[15:16], v[5:6]
	v_fma_f64 v[39:40], v[15:16], v[3:4], -v[39:40]
	v_fma_f64 v[3:4], v[17:18], v[3:4], v[5:6]
	v_mul_f64 v[5:6], v[15:16], v[13:14]
	v_add_f64 v[39:40], v[47:48], v[39:40]
	v_add_f64 v[41:42], v[3:4], v[49:50]
	v_mul_f64 v[3:4], v[17:18], v[13:14]
	v_fma_f64 v[5:6], v[17:18], v[11:12], v[5:6]
	v_fma_f64 v[3:4], v[15:16], v[11:12], -v[3:4]
	v_add_f64 v[21:22], v[5:6], v[21:22]
	v_add_f64 v[19:20], v[19:20], v[3:4]
	ds_read_b128 v[3:6], v31 offset:1536
	s_waitcnt lgkmcnt(0)
	v_mul_f64 v[11:12], v[45:46], v[5:6]
	v_mul_f64 v[13:14], v[43:44], v[5:6]
	v_fma_f64 v[11:12], v[43:44], v[3:4], -v[11:12]
	v_fma_f64 v[13:14], v[45:46], v[3:4], v[13:14]
	v_add_f64 v[23:24], v[23:24], v[11:12]
	v_add_f64 v[25:26], v[13:14], v[25:26]
	ds_read_b128 v[11:14], v31 offset:1792
	s_waitcnt lgkmcnt(0)
	v_mul_f64 v[15:16], v[45:46], v[13:14]
	v_mul_f64 v[17:18], v[43:44], v[13:14]
	v_fma_f64 v[15:16], v[43:44], v[11:12], -v[15:16]
	v_fma_f64 v[17:18], v[45:46], v[11:12], v[17:18]
	;; [unrolled: 8-line block ×3, first 2 shown]
	v_mul_f64 v[5:6], v[15:16], v[13:14]
	v_add_f64 v[39:40], v[39:40], v[43:44]
	v_add_f64 v[41:42], v[3:4], v[41:42]
	v_mul_f64 v[3:4], v[17:18], v[13:14]
	v_fma_f64 v[5:6], v[17:18], v[11:12], v[5:6]
	v_fma_f64 v[3:4], v[15:16], v[11:12], -v[3:4]
	v_add_f64 v[21:22], v[5:6], v[21:22]
	v_add_f64 v[19:20], v[19:20], v[3:4]
	ds_read_b128 v[3:6], v32 offset:64
	ds_read_b128 v[11:14], v31 offset:2048
	s_waitcnt lgkmcnt(0)
	v_mul_f64 v[15:16], v[5:6], v[13:14]
	v_mul_f64 v[17:18], v[3:4], v[13:14]
	v_fma_f64 v[15:16], v[3:4], v[11:12], -v[15:16]
	v_fma_f64 v[17:18], v[5:6], v[11:12], v[17:18]
	v_add_f64 v[23:24], v[23:24], v[15:16]
	v_add_f64 v[25:26], v[17:18], v[25:26]
	ds_read_b128 v[15:18], v31 offset:2304
	s_waitcnt lgkmcnt(0)
	v_mul_f64 v[43:44], v[5:6], v[17:18]
	v_fma_f64 v[43:44], v[3:4], v[15:16], -v[43:44]
	v_mul_f64 v[3:4], v[3:4], v[17:18]
	v_add_f64 v[35:36], v[35:36], v[43:44]
	v_fma_f64 v[3:4], v[5:6], v[15:16], v[3:4]
	v_add_f64 v[37:38], v[3:4], v[37:38]
	ds_read_b128 v[3:6], v32 offset:2112
	s_waitcnt lgkmcnt(0)
	v_mul_f64 v[43:44], v[5:6], v[13:14]
	v_mul_f64 v[13:14], v[3:4], v[13:14]
	v_fma_f64 v[43:44], v[3:4], v[11:12], -v[43:44]
	v_fma_f64 v[11:12], v[5:6], v[11:12], v[13:14]
	v_add_f64 v[39:40], v[39:40], v[43:44]
	v_add_f64 v[41:42], v[11:12], v[41:42]
	v_mul_f64 v[11:12], v[5:6], v[17:18]
	v_fma_f64 v[11:12], v[3:4], v[15:16], -v[11:12]
	v_mul_f64 v[3:4], v[3:4], v[17:18]
	v_add_f64 v[19:20], v[19:20], v[11:12]
	v_fma_f64 v[3:4], v[5:6], v[15:16], v[3:4]
	v_add_f64 v[21:22], v[3:4], v[21:22]
	ds_read_b128 v[3:6], v32 offset:80
	ds_read_b128 v[11:14], v31 offset:2560
	s_waitcnt lgkmcnt(0)
	v_mul_f64 v[15:16], v[5:6], v[13:14]
	v_mul_f64 v[17:18], v[3:4], v[13:14]
	v_fma_f64 v[15:16], v[3:4], v[11:12], -v[15:16]
	v_fma_f64 v[17:18], v[5:6], v[11:12], v[17:18]
	v_add_f64 v[23:24], v[23:24], v[15:16]
	v_add_f64 v[25:26], v[17:18], v[25:26]
	ds_read_b128 v[15:18], v31 offset:2816
	s_waitcnt lgkmcnt(0)
	v_mul_f64 v[43:44], v[5:6], v[17:18]
	v_fma_f64 v[43:44], v[3:4], v[15:16], -v[43:44]
	v_mul_f64 v[3:4], v[3:4], v[17:18]
	v_add_f64 v[35:36], v[35:36], v[43:44]
	v_fma_f64 v[3:4], v[5:6], v[15:16], v[3:4]
	v_add_f64 v[37:38], v[3:4], v[37:38]
	ds_read_b128 v[3:6], v32 offset:2128
	s_waitcnt lgkmcnt(0)
	v_mul_f64 v[43:44], v[5:6], v[13:14]
	v_mul_f64 v[13:14], v[3:4], v[13:14]
	v_fma_f64 v[43:44], v[3:4], v[11:12], -v[43:44]
	v_fma_f64 v[11:12], v[5:6], v[11:12], v[13:14]
	v_add_f64 v[39:40], v[39:40], v[43:44]
	v_add_f64 v[41:42], v[11:12], v[41:42]
	v_mul_f64 v[11:12], v[5:6], v[17:18]
	v_fma_f64 v[11:12], v[3:4], v[15:16], -v[11:12]
	v_mul_f64 v[3:4], v[3:4], v[17:18]
	v_add_f64 v[19:20], v[19:20], v[11:12]
	v_fma_f64 v[3:4], v[5:6], v[15:16], v[3:4]
	;; [unrolled: 31-line block ×3, first 2 shown]
	v_add_f64 v[45:46], v[3:4], v[21:22]
	ds_read_b128 v[3:6], v32 offset:112
	ds_read_b128 v[15:18], v31 offset:3584
	s_waitcnt lgkmcnt(0)
	v_mul_f64 v[11:12], v[5:6], v[17:18]
	v_mul_f64 v[13:14], v[3:4], v[17:18]
	v_fma_f64 v[11:12], v[3:4], v[15:16], -v[11:12]
	v_fma_f64 v[13:14], v[5:6], v[15:16], v[13:14]
	v_add_f64 v[19:20], v[23:24], v[11:12]
	v_add_f64 v[21:22], v[13:14], v[25:26]
	ds_read_b128 v[23:26], v31 offset:3840
	s_waitcnt lgkmcnt(0)
	v_mul_f64 v[11:12], v[5:6], v[25:26]
	v_fma_f64 v[11:12], v[3:4], v[23:24], -v[11:12]
	v_mul_f64 v[3:4], v[3:4], v[25:26]
	v_add_f64 v[11:12], v[35:36], v[11:12]
	v_fma_f64 v[3:4], v[5:6], v[23:24], v[3:4]
	v_add_f64 v[13:14], v[3:4], v[37:38]
	ds_read_b128 v[3:6], v32 offset:2160
	s_waitcnt lgkmcnt(0)
	s_barrier
	v_mul_f64 v[35:36], v[5:6], v[17:18]
	v_mul_f64 v[17:18], v[3:4], v[17:18]
	v_fma_f64 v[35:36], v[3:4], v[15:16], -v[35:36]
	v_fma_f64 v[17:18], v[5:6], v[15:16], v[17:18]
	v_add_f64 v[15:16], v[39:40], v[35:36]
	v_mul_f64 v[35:36], v[5:6], v[25:26]
	v_add_f64 v[17:18], v[17:18], v[41:42]
	v_fma_f64 v[35:36], v[3:4], v[23:24], -v[35:36]
	v_mul_f64 v[3:4], v[3:4], v[25:26]
	v_fma_f64 v[3:4], v[5:6], v[23:24], v[3:4]
	v_add_f64 v[23:24], v[43:44], v[35:36]
	v_add_f64 v[25:26], v[3:4], v[45:46]
	s_cbranch_scc1 .LBB301_10
.LBB301_3:                              ; =>This Inner Loop Header: Depth=1
	v_add_u32_e32 v3, s31, v28
	v_cmp_le_i32_e64 s[0:1], s11, v3
	s_or_b64 s[0:1], s[12:13], s[0:1]
	s_and_saveexec_b64 s[24:25], s[0:1]
	s_xor_b64 s[0:1], exec, s[24:25]
; %bb.4:                                ;   in Loop: Header=BB301_3 Depth=1
	v_mov_b32_e32 v3, v2
	v_mov_b32_e32 v4, v2
	;; [unrolled: 1-line block ×3, first 2 shown]
	ds_write_b128 v29, v[2:5]
; %bb.5:                                ;   in Loop: Header=BB301_3 Depth=1
	s_andn2_saveexec_b64 s[0:1], s[0:1]
	s_cbranch_execz .LBB301_7
; %bb.6:                                ;   in Loop: Header=BB301_3 Depth=1
	global_load_dwordx4 v[3:6], v[7:8], off
	s_waitcnt vmcnt(0)
	ds_write2_b64 v29, v[3:4], v[5:6] offset1:1
.LBB301_7:                              ;   in Loop: Header=BB301_3 Depth=1
	s_or_b64 exec, exec, s[0:1]
	v_add_u32_e32 v3, s31, v27
	v_cmp_gt_i32_e64 s[0:1], s11, v3
	v_mov_b32_e32 v3, 0
	v_mov_b32_e32 v5, 0
	;; [unrolled: 1-line block ×4, first 2 shown]
	s_and_b64 s[24:25], s[0:1], vcc
	s_and_saveexec_b64 s[0:1], s[24:25]
	s_cbranch_execz .LBB301_2
; %bb.8:                                ;   in Loop: Header=BB301_3 Depth=1
	global_load_dwordx4 v[3:6], v[9:10], off offset:-8
	s_branch .LBB301_2
.LBB301_9:
	v_mov_b32_e32 v19, 0
	v_mov_b32_e32 v21, 0
	;; [unrolled: 1-line block ×16, first 2 shown]
.LBB301_10:
	s_load_dwordx2 s[0:1], s[4:5], 0x68
	s_load_dword s6, s[4:5], 0x60
	v_add_u32_e32 v4, s30, v1
	v_add_u32_e32 v0, s9, v0
	s_waitcnt lgkmcnt(0)
	s_mul_i32 s1, s1, s8
	s_mul_hi_u32 s2, s0, s8
	s_add_i32 s1, s2, s1
	v_mad_i64_i32 v[1:2], s[2:3], v4, s6, 0
	s_mul_i32 s0, s0, s8
	s_lshl_b64 s[0:1], s[0:1], 4
	s_add_u32 s7, s18, s0
	v_lshlrev_b64 v[1:2], 4, v[1:2]
	s_addc_u32 s8, s19, s1
	v_mov_b32_e32 v3, s8
	v_add_co_u32_e32 v5, vcc, s7, v1
	v_addc_co_u32_e32 v6, vcc, v3, v2, vcc
	v_cmp_le_i32_e64 s[0:1], v4, v0
	v_cmp_gt_i32_e32 vcc, s10, v0
	s_and_b64 s[0:1], s[0:1], vcc
	s_and_saveexec_b64 s[2:3], s[0:1]
	s_cbranch_execz .LBB301_12
; %bb.11:
	v_ashrrev_i32_e32 v1, 31, v0
	v_lshlrev_b64 v[1:2], 4, v[0:1]
	v_mul_f64 v[27:28], s[22:23], v[21:22]
	v_add_co_u32_e64 v1, s[0:1], v5, v1
	v_addc_co_u32_e64 v2, s[0:1], v6, v2, s[0:1]
	global_load_dwordx4 v[7:10], v[1:2], off
	v_mul_f64 v[21:22], s[20:21], v[21:22]
	v_fma_f64 v[27:28], s[20:21], v[19:20], -v[27:28]
	v_fma_f64 v[19:20], s[22:23], v[19:20], v[21:22]
	s_waitcnt vmcnt(0)
	v_mul_f64 v[29:30], s[16:17], v[9:10]
	v_mul_f64 v[9:10], s[14:15], v[9:10]
	v_fma_f64 v[21:22], s[14:15], v[7:8], -v[29:30]
	v_fma_f64 v[9:10], s[16:17], v[7:8], v[9:10]
	v_add_f64 v[7:8], v[27:28], v[21:22]
	v_add_f64 v[9:10], v[19:20], v[9:10]
	global_store_dwordx4 v[1:2], v[7:10], off
.LBB301_12:
	s_or_b64 exec, exec, s[2:3]
	v_add_u32_e32 v2, 16, v0
	v_cmp_le_i32_e64 s[2:3], v4, v2
	v_cmp_gt_i32_e64 s[0:1], s10, v2
	s_and_b64 s[2:3], s[2:3], s[0:1]
	s_and_saveexec_b64 s[4:5], s[2:3]
	s_cbranch_execz .LBB301_14
; %bb.13:
	v_ashrrev_i32_e32 v3, 31, v2
	v_lshlrev_b64 v[7:8], 4, v[2:3]
	v_mul_f64 v[19:20], s[22:23], v[13:14]
	v_add_co_u32_e64 v9, s[2:3], v5, v7
	v_addc_co_u32_e64 v10, s[2:3], v6, v8, s[2:3]
	global_load_dwordx4 v[5:8], v[9:10], off
	v_mul_f64 v[13:14], s[20:21], v[13:14]
	v_fma_f64 v[19:20], s[20:21], v[11:12], -v[19:20]
	v_fma_f64 v[11:12], s[22:23], v[11:12], v[13:14]
	s_waitcnt vmcnt(0)
	v_mul_f64 v[21:22], s[16:17], v[7:8]
	v_mul_f64 v[7:8], s[14:15], v[7:8]
	v_fma_f64 v[13:14], s[14:15], v[5:6], -v[21:22]
	v_fma_f64 v[7:8], s[16:17], v[5:6], v[7:8]
	v_add_f64 v[5:6], v[19:20], v[13:14]
	v_add_f64 v[7:8], v[11:12], v[7:8]
	global_store_dwordx4 v[9:10], v[5:8], off
.LBB301_14:
	s_or_b64 exec, exec, s[4:5]
	v_add_u32_e32 v3, 16, v4
	v_mad_i64_i32 v[4:5], s[2:3], v3, s6, 0
	v_mov_b32_e32 v1, s8
	v_lshlrev_b64 v[4:5], 4, v[4:5]
	v_add_co_u32_e64 v4, s[2:3], s7, v4
	v_addc_co_u32_e64 v5, s[2:3], v1, v5, s[2:3]
	v_cmp_le_i32_e64 s[2:3], v3, v0
	s_and_b64 s[4:5], s[2:3], vcc
	s_and_saveexec_b64 s[2:3], s[4:5]
	s_cbranch_execz .LBB301_16
; %bb.15:
	v_ashrrev_i32_e32 v1, 31, v0
	v_lshlrev_b64 v[0:1], 4, v[0:1]
	v_mul_f64 v[10:11], s[22:23], v[17:18]
	v_add_co_u32_e32 v0, vcc, v4, v0
	v_addc_co_u32_e32 v1, vcc, v5, v1, vcc
	global_load_dwordx4 v[6:9], v[0:1], off
	v_mul_f64 v[12:13], s[20:21], v[17:18]
	v_fma_f64 v[10:11], s[20:21], v[15:16], -v[10:11]
	v_fma_f64 v[12:13], s[22:23], v[15:16], v[12:13]
	s_waitcnt vmcnt(0)
	v_mul_f64 v[17:18], s[16:17], v[8:9]
	v_mul_f64 v[8:9], s[14:15], v[8:9]
	v_fma_f64 v[14:15], s[14:15], v[6:7], -v[17:18]
	v_fma_f64 v[8:9], s[16:17], v[6:7], v[8:9]
	v_add_f64 v[6:7], v[10:11], v[14:15]
	v_add_f64 v[8:9], v[12:13], v[8:9]
	global_store_dwordx4 v[0:1], v[6:9], off
.LBB301_16:
	s_or_b64 exec, exec, s[2:3]
	v_cmp_le_i32_e32 vcc, v3, v2
	s_and_b64 s[0:1], vcc, s[0:1]
	s_and_saveexec_b64 s[2:3], s[0:1]
	s_cbranch_execz .LBB301_18
; %bb.17:
	v_ashrrev_i32_e32 v3, 31, v2
	v_lshlrev_b64 v[0:1], 4, v[2:3]
	v_mul_f64 v[6:7], s[22:23], v[25:26]
	v_add_co_u32_e32 v4, vcc, v4, v0
	v_addc_co_u32_e32 v5, vcc, v5, v1, vcc
	global_load_dwordx4 v[0:3], v[4:5], off
	v_mul_f64 v[8:9], s[20:21], v[25:26]
	v_fma_f64 v[6:7], s[20:21], v[23:24], -v[6:7]
	v_fma_f64 v[8:9], s[22:23], v[23:24], v[8:9]
	s_waitcnt vmcnt(0)
	v_mul_f64 v[10:11], s[16:17], v[2:3]
	v_mul_f64 v[2:3], s[14:15], v[2:3]
	v_fma_f64 v[10:11], s[14:15], v[0:1], -v[10:11]
	v_fma_f64 v[2:3], s[16:17], v[0:1], v[2:3]
	v_add_f64 v[0:1], v[6:7], v[10:11]
	v_add_f64 v[2:3], v[8:9], v[2:3]
	global_store_dwordx4 v[4:5], v[0:3], off
.LBB301_18:
	s_endpgm
	.section	.rodata,"a",@progbits
	.p2align	6, 0x0
	.amdhsa_kernel _ZL34rocblas_syrkx_herkx_general_kernelIi19rocblas_complex_numIdELi16ELi32ELi8ELb0ELb0ELc78ELc76EKS1_S1_EviT_T0_PT8_S3_lS6_S3_lS4_PT9_S3_li
		.amdhsa_group_segment_fixed_size 8192
		.amdhsa_private_segment_fixed_size 0
		.amdhsa_kernarg_size 116
		.amdhsa_user_sgpr_count 6
		.amdhsa_user_sgpr_private_segment_buffer 1
		.amdhsa_user_sgpr_dispatch_ptr 0
		.amdhsa_user_sgpr_queue_ptr 0
		.amdhsa_user_sgpr_kernarg_segment_ptr 1
		.amdhsa_user_sgpr_dispatch_id 0
		.amdhsa_user_sgpr_flat_scratch_init 0
		.amdhsa_user_sgpr_private_segment_size 0
		.amdhsa_uses_dynamic_stack 0
		.amdhsa_system_sgpr_private_segment_wavefront_offset 0
		.amdhsa_system_sgpr_workgroup_id_x 1
		.amdhsa_system_sgpr_workgroup_id_y 1
		.amdhsa_system_sgpr_workgroup_id_z 1
		.amdhsa_system_sgpr_workgroup_info 0
		.amdhsa_system_vgpr_workitem_id 1
		.amdhsa_next_free_vgpr 59
		.amdhsa_next_free_sgpr 61
		.amdhsa_reserve_vcc 1
		.amdhsa_reserve_flat_scratch 0
		.amdhsa_float_round_mode_32 0
		.amdhsa_float_round_mode_16_64 0
		.amdhsa_float_denorm_mode_32 3
		.amdhsa_float_denorm_mode_16_64 3
		.amdhsa_dx10_clamp 1
		.amdhsa_ieee_mode 1
		.amdhsa_fp16_overflow 0
		.amdhsa_exception_fp_ieee_invalid_op 0
		.amdhsa_exception_fp_denorm_src 0
		.amdhsa_exception_fp_ieee_div_zero 0
		.amdhsa_exception_fp_ieee_overflow 0
		.amdhsa_exception_fp_ieee_underflow 0
		.amdhsa_exception_fp_ieee_inexact 0
		.amdhsa_exception_int_div_zero 0
	.end_amdhsa_kernel
	.section	.text._ZL34rocblas_syrkx_herkx_general_kernelIi19rocblas_complex_numIdELi16ELi32ELi8ELb0ELb0ELc78ELc76EKS1_S1_EviT_T0_PT8_S3_lS6_S3_lS4_PT9_S3_li,"axG",@progbits,_ZL34rocblas_syrkx_herkx_general_kernelIi19rocblas_complex_numIdELi16ELi32ELi8ELb0ELb0ELc78ELc76EKS1_S1_EviT_T0_PT8_S3_lS6_S3_lS4_PT9_S3_li,comdat
.Lfunc_end301:
	.size	_ZL34rocblas_syrkx_herkx_general_kernelIi19rocblas_complex_numIdELi16ELi32ELi8ELb0ELb0ELc78ELc76EKS1_S1_EviT_T0_PT8_S3_lS6_S3_lS4_PT9_S3_li, .Lfunc_end301-_ZL34rocblas_syrkx_herkx_general_kernelIi19rocblas_complex_numIdELi16ELi32ELi8ELb0ELb0ELc78ELc76EKS1_S1_EviT_T0_PT8_S3_lS6_S3_lS4_PT9_S3_li
                                        ; -- End function
	.set _ZL34rocblas_syrkx_herkx_general_kernelIi19rocblas_complex_numIdELi16ELi32ELi8ELb0ELb0ELc78ELc76EKS1_S1_EviT_T0_PT8_S3_lS6_S3_lS4_PT9_S3_li.num_vgpr, 59
	.set _ZL34rocblas_syrkx_herkx_general_kernelIi19rocblas_complex_numIdELi16ELi32ELi8ELb0ELb0ELc78ELc76EKS1_S1_EviT_T0_PT8_S3_lS6_S3_lS4_PT9_S3_li.num_agpr, 0
	.set _ZL34rocblas_syrkx_herkx_general_kernelIi19rocblas_complex_numIdELi16ELi32ELi8ELb0ELb0ELc78ELc76EKS1_S1_EviT_T0_PT8_S3_lS6_S3_lS4_PT9_S3_li.numbered_sgpr, 36
	.set _ZL34rocblas_syrkx_herkx_general_kernelIi19rocblas_complex_numIdELi16ELi32ELi8ELb0ELb0ELc78ELc76EKS1_S1_EviT_T0_PT8_S3_lS6_S3_lS4_PT9_S3_li.num_named_barrier, 0
	.set _ZL34rocblas_syrkx_herkx_general_kernelIi19rocblas_complex_numIdELi16ELi32ELi8ELb0ELb0ELc78ELc76EKS1_S1_EviT_T0_PT8_S3_lS6_S3_lS4_PT9_S3_li.private_seg_size, 0
	.set _ZL34rocblas_syrkx_herkx_general_kernelIi19rocblas_complex_numIdELi16ELi32ELi8ELb0ELb0ELc78ELc76EKS1_S1_EviT_T0_PT8_S3_lS6_S3_lS4_PT9_S3_li.uses_vcc, 1
	.set _ZL34rocblas_syrkx_herkx_general_kernelIi19rocblas_complex_numIdELi16ELi32ELi8ELb0ELb0ELc78ELc76EKS1_S1_EviT_T0_PT8_S3_lS6_S3_lS4_PT9_S3_li.uses_flat_scratch, 0
	.set _ZL34rocblas_syrkx_herkx_general_kernelIi19rocblas_complex_numIdELi16ELi32ELi8ELb0ELb0ELc78ELc76EKS1_S1_EviT_T0_PT8_S3_lS6_S3_lS4_PT9_S3_li.has_dyn_sized_stack, 0
	.set _ZL34rocblas_syrkx_herkx_general_kernelIi19rocblas_complex_numIdELi16ELi32ELi8ELb0ELb0ELc78ELc76EKS1_S1_EviT_T0_PT8_S3_lS6_S3_lS4_PT9_S3_li.has_recursion, 0
	.set _ZL34rocblas_syrkx_herkx_general_kernelIi19rocblas_complex_numIdELi16ELi32ELi8ELb0ELb0ELc78ELc76EKS1_S1_EviT_T0_PT8_S3_lS6_S3_lS4_PT9_S3_li.has_indirect_call, 0
	.section	.AMDGPU.csdata,"",@progbits
; Kernel info:
; codeLenInByte = 3388
; TotalNumSgprs: 40
; NumVgprs: 59
; ScratchSize: 0
; MemoryBound: 1
; FloatMode: 240
; IeeeMode: 1
; LDSByteSize: 8192 bytes/workgroup (compile time only)
; SGPRBlocks: 8
; VGPRBlocks: 14
; NumSGPRsForWavesPerEU: 65
; NumVGPRsForWavesPerEU: 59
; Occupancy: 4
; WaveLimiterHint : 0
; COMPUTE_PGM_RSRC2:SCRATCH_EN: 0
; COMPUTE_PGM_RSRC2:USER_SGPR: 6
; COMPUTE_PGM_RSRC2:TRAP_HANDLER: 0
; COMPUTE_PGM_RSRC2:TGID_X_EN: 1
; COMPUTE_PGM_RSRC2:TGID_Y_EN: 1
; COMPUTE_PGM_RSRC2:TGID_Z_EN: 1
; COMPUTE_PGM_RSRC2:TIDIG_COMP_CNT: 1
	.section	.text._ZL34rocblas_syrkx_herkx_general_kernelIi19rocblas_complex_numIdELi16ELi32ELi8ELb0ELb0ELc84ELc85EKS1_S1_EviT_T0_PT8_S3_lS6_S3_lS4_PT9_S3_li,"axG",@progbits,_ZL34rocblas_syrkx_herkx_general_kernelIi19rocblas_complex_numIdELi16ELi32ELi8ELb0ELb0ELc84ELc85EKS1_S1_EviT_T0_PT8_S3_lS6_S3_lS4_PT9_S3_li,comdat
	.globl	_ZL34rocblas_syrkx_herkx_general_kernelIi19rocblas_complex_numIdELi16ELi32ELi8ELb0ELb0ELc84ELc85EKS1_S1_EviT_T0_PT8_S3_lS6_S3_lS4_PT9_S3_li ; -- Begin function _ZL34rocblas_syrkx_herkx_general_kernelIi19rocblas_complex_numIdELi16ELi32ELi8ELb0ELb0ELc84ELc85EKS1_S1_EviT_T0_PT8_S3_lS6_S3_lS4_PT9_S3_li
	.p2align	8
	.type	_ZL34rocblas_syrkx_herkx_general_kernelIi19rocblas_complex_numIdELi16ELi32ELi8ELb0ELb0ELc84ELc85EKS1_S1_EviT_T0_PT8_S3_lS6_S3_lS4_PT9_S3_li,@function
_ZL34rocblas_syrkx_herkx_general_kernelIi19rocblas_complex_numIdELi16ELi32ELi8ELb0ELb0ELc84ELc85EKS1_S1_EviT_T0_PT8_S3_lS6_S3_lS4_PT9_S3_li: ; @_ZL34rocblas_syrkx_herkx_general_kernelIi19rocblas_complex_numIdELi16ELi32ELi8ELb0ELb0ELc84ELc85EKS1_S1_EviT_T0_PT8_S3_lS6_S3_lS4_PT9_S3_li
; %bb.0:
	s_load_dwordx2 s[10:11], s[4:5], 0x0
	s_load_dwordx4 s[20:23], s[4:5], 0x8
	s_load_dwordx2 s[28:29], s[4:5], 0x18
	s_load_dwordx8 s[12:19], s[4:5], 0x40
	s_lshl_b32 s9, s6, 5
	s_lshl_b32 s30, s7, 5
	s_waitcnt lgkmcnt(0)
	s_cmp_lt_i32 s11, 1
	s_mov_b32 s31, 0
	s_cbranch_scc1 .LBB302_11
; %bb.1:
	v_lshl_add_u32 v2, v1, 4, v0
	v_lshrrev_b32_e32 v27, 5, v2
	v_lshrrev_b32_e32 v3, 3, v2
	v_and_b32_e32 v2, 31, v2
	v_or_b32_e32 v5, s9, v2
	s_load_dword s2, s[4:5], 0x20
	s_load_dwordx4 s[24:27], s[4:5], 0x28
	s_load_dword s6, s[4:5], 0x38
	v_and_b32_e32 v26, 7, v0
	v_cmp_gt_i32_e32 vcc, s10, v5
	v_lshlrev_b32_e32 v5, 4, v2
	v_lshl_or_b32 v28, v27, 9, v5
	v_lshlrev_b32_e32 v5, 4, v26
	v_add_u32_e32 v4, s30, v3
	v_lshl_or_b32 v3, v3, 7, v5
	v_add_u32_e32 v2, s9, v2
	v_add_u32_e32 v29, 0x1000, v3
	s_waitcnt lgkmcnt(0)
	v_mad_i64_i32 v[2:3], s[2:3], s2, v2, 0
	s_mul_i32 s2, s25, s8
	s_mul_hi_u32 s3, s24, s8
	v_lshlrev_b64 v[2:3], 4, v[2:3]
	s_add_i32 s3, s3, s2
	s_mul_i32 s2, s24, s8
	v_mov_b32_e32 v6, 0x1000
	s_lshl_b64 s[2:3], s[2:3], 4
	v_lshl_add_u32 v31, v1, 7, v6
	v_mov_b32_e32 v6, s3
	v_add_co_u32_e64 v2, s[2:3], s2, v2
	v_addc_co_u32_e64 v3, s[2:3], v3, v6, s[2:3]
	v_lshlrev_b32_e32 v6, 4, v27
	v_add_co_u32_e64 v6, s[2:3], v2, v6
	v_addc_co_u32_e64 v7, s[2:3], 0, v3, s[2:3]
	v_mad_i64_i32 v[2:3], s[2:3], s6, v4, 0
	v_mov_b32_e32 v8, s29
	v_add_co_u32_e64 v6, s[2:3], s28, v6
	v_addc_co_u32_e64 v7, s[2:3], v8, v7, s[2:3]
	s_mul_i32 s2, s13, s8
	s_mul_hi_u32 s3, s12, s8
	v_lshlrev_b64 v[2:3], 4, v[2:3]
	s_add_i32 s3, s3, s2
	s_mul_i32 s2, s12, s8
	s_lshl_b64 s[2:3], s[2:3], 4
	v_cmp_gt_i32_e64 s[0:1], s10, v4
	v_mov_b32_e32 v4, s3
	v_add_co_u32_e64 v2, s[2:3], s2, v2
	v_addc_co_u32_e64 v3, s[2:3], v3, v4, s[2:3]
	v_add_co_u32_e64 v2, s[2:3], v2, v5
	v_addc_co_u32_e64 v3, s[2:3], 0, v3, s[2:3]
	v_mov_b32_e32 v4, s27
	v_add_co_u32_e64 v8, s[2:3], s26, v2
	v_addc_co_u32_e64 v9, s[2:3], v4, v3, s[2:3]
	v_mov_b32_e32 v24, 0
	v_mov_b32_e32 v22, 0
	;; [unrolled: 1-line block ×8, first 2 shown]
	v_lshlrev_b32_e32 v30, 4, v0
	v_mov_b32_e32 v25, 0
	s_xor_b64 s[2:3], vcc, -1
	s_xor_b64 s[0:1], s[0:1], -1
	v_mov_b32_e32 v23, 0
	v_mov_b32_e32 v17, 0
	;; [unrolled: 1-line block ×8, first 2 shown]
	s_branch .LBB302_3
.LBB302_2:                              ;   in Loop: Header=BB302_3 Depth=1
	s_or_b64 exec, exec, s[6:7]
	s_waitcnt lgkmcnt(0)
	s_barrier
	ds_read_b128 v[32:35], v31
	ds_read_b128 v[36:39], v31 offset:16
	ds_read_b128 v[40:43], v31 offset:32
	;; [unrolled: 1-line block ×3, first 2 shown]
	ds_read_b128 v[48:51], v30
	v_add_co_u32_e32 v6, vcc, 0x80, v6
	v_addc_co_u32_e32 v7, vcc, 0, v7, vcc
	s_waitcnt lgkmcnt(0)
	v_mul_f64 v[3:4], v[34:35], v[50:51]
	v_mul_f64 v[52:53], v[32:33], v[50:51]
	s_add_i32 s31, s31, 8
	v_add_co_u32_e32 v8, vcc, 0x80, v8
	v_addc_co_u32_e32 v9, vcc, 0, v9, vcc
	s_cmp_ge_i32 s31, s11
	v_fma_f64 v[3:4], v[32:33], v[48:49], -v[3:4]
	v_fma_f64 v[52:53], v[34:35], v[48:49], v[52:53]
	v_add_f64 v[3:4], v[18:19], v[3:4]
	v_add_f64 v[52:53], v[52:53], v[20:21]
	ds_read_b128 v[18:21], v30 offset:256
	s_waitcnt lgkmcnt(0)
	v_mul_f64 v[54:55], v[34:35], v[20:21]
	v_fma_f64 v[54:55], v[32:33], v[18:19], -v[54:55]
	v_mul_f64 v[32:33], v[32:33], v[20:21]
	v_fma_f64 v[32:33], v[34:35], v[18:19], v[32:33]
	v_add_f64 v[34:35], v[10:11], v[54:55]
	v_add_f64 v[32:33], v[32:33], v[12:13]
	ds_read_b128 v[10:13], v31 offset:2048
	s_waitcnt lgkmcnt(0)
	v_mul_f64 v[54:55], v[12:13], v[50:51]
	v_mul_f64 v[50:51], v[10:11], v[50:51]
	v_fma_f64 v[54:55], v[10:11], v[48:49], -v[54:55]
	v_fma_f64 v[48:49], v[12:13], v[48:49], v[50:51]
	v_add_f64 v[50:51], v[14:15], v[54:55]
	v_mul_f64 v[14:15], v[12:13], v[20:21]
	v_add_f64 v[48:49], v[48:49], v[16:17]
	v_fma_f64 v[14:15], v[10:11], v[18:19], -v[14:15]
	v_mul_f64 v[10:11], v[10:11], v[20:21]
	v_add_f64 v[22:23], v[22:23], v[14:15]
	v_fma_f64 v[10:11], v[12:13], v[18:19], v[10:11]
	v_add_f64 v[24:25], v[10:11], v[24:25]
	ds_read_b128 v[10:13], v30 offset:512
	s_waitcnt lgkmcnt(0)
	v_mul_f64 v[14:15], v[38:39], v[12:13]
	v_mul_f64 v[16:17], v[36:37], v[12:13]
	v_fma_f64 v[14:15], v[36:37], v[10:11], -v[14:15]
	v_fma_f64 v[16:17], v[38:39], v[10:11], v[16:17]
	v_add_f64 v[3:4], v[3:4], v[14:15]
	v_add_f64 v[52:53], v[16:17], v[52:53]
	ds_read_b128 v[14:17], v30 offset:768
	s_waitcnt lgkmcnt(0)
	v_mul_f64 v[18:19], v[38:39], v[16:17]
	v_mul_f64 v[20:21], v[36:37], v[16:17]
	v_fma_f64 v[18:19], v[36:37], v[14:15], -v[18:19]
	v_fma_f64 v[20:21], v[38:39], v[14:15], v[20:21]
	v_add_f64 v[34:35], v[34:35], v[18:19]
	v_add_f64 v[32:33], v[20:21], v[32:33]
	ds_read_b128 v[18:21], v31 offset:2064
	s_waitcnt lgkmcnt(0)
	v_mul_f64 v[36:37], v[20:21], v[12:13]
	v_mul_f64 v[12:13], v[18:19], v[12:13]
	v_fma_f64 v[36:37], v[18:19], v[10:11], -v[36:37]
	v_fma_f64 v[10:11], v[20:21], v[10:11], v[12:13]
	v_mul_f64 v[12:13], v[18:19], v[16:17]
	v_add_f64 v[36:37], v[50:51], v[36:37]
	v_add_f64 v[38:39], v[10:11], v[48:49]
	v_mul_f64 v[10:11], v[20:21], v[16:17]
	v_fma_f64 v[12:13], v[20:21], v[14:15], v[12:13]
	v_fma_f64 v[10:11], v[18:19], v[14:15], -v[10:11]
	v_add_f64 v[24:25], v[12:13], v[24:25]
	v_add_f64 v[22:23], v[22:23], v[10:11]
	ds_read_b128 v[10:13], v30 offset:1024
	s_waitcnt lgkmcnt(0)
	v_mul_f64 v[14:15], v[42:43], v[12:13]
	v_mul_f64 v[16:17], v[40:41], v[12:13]
	v_fma_f64 v[14:15], v[40:41], v[10:11], -v[14:15]
	v_fma_f64 v[16:17], v[42:43], v[10:11], v[16:17]
	v_add_f64 v[3:4], v[3:4], v[14:15]
	v_add_f64 v[48:49], v[16:17], v[52:53]
	ds_read_b128 v[14:17], v30 offset:1280
	s_waitcnt lgkmcnt(0)
	v_mul_f64 v[18:19], v[42:43], v[16:17]
	v_mul_f64 v[20:21], v[40:41], v[16:17]
	v_fma_f64 v[18:19], v[40:41], v[14:15], -v[18:19]
	v_fma_f64 v[20:21], v[42:43], v[14:15], v[20:21]
	v_add_f64 v[34:35], v[34:35], v[18:19]
	v_add_f64 v[32:33], v[20:21], v[32:33]
	ds_read_b128 v[18:21], v31 offset:2080
	s_waitcnt lgkmcnt(0)
	v_mul_f64 v[40:41], v[20:21], v[12:13]
	v_mul_f64 v[12:13], v[18:19], v[12:13]
	v_fma_f64 v[40:41], v[18:19], v[10:11], -v[40:41]
	v_fma_f64 v[10:11], v[20:21], v[10:11], v[12:13]
	v_mul_f64 v[12:13], v[18:19], v[16:17]
	v_add_f64 v[36:37], v[36:37], v[40:41]
	v_add_f64 v[38:39], v[10:11], v[38:39]
	v_mul_f64 v[10:11], v[20:21], v[16:17]
	v_fma_f64 v[12:13], v[20:21], v[14:15], v[12:13]
	v_fma_f64 v[10:11], v[18:19], v[14:15], -v[10:11]
	v_add_f64 v[24:25], v[12:13], v[24:25]
	;; [unrolled: 30-line block ×3, first 2 shown]
	v_add_f64 v[22:23], v[22:23], v[10:11]
	ds_read_b128 v[10:13], v31 offset:64
	ds_read_b128 v[14:17], v30 offset:2048
	s_waitcnt lgkmcnt(0)
	v_mul_f64 v[18:19], v[12:13], v[16:17]
	v_mul_f64 v[20:21], v[10:11], v[16:17]
	v_fma_f64 v[18:19], v[10:11], v[14:15], -v[18:19]
	v_fma_f64 v[20:21], v[12:13], v[14:15], v[20:21]
	v_add_f64 v[3:4], v[3:4], v[18:19]
	v_add_f64 v[40:41], v[20:21], v[40:41]
	ds_read_b128 v[18:21], v30 offset:2304
	s_waitcnt lgkmcnt(0)
	v_mul_f64 v[42:43], v[12:13], v[20:21]
	v_fma_f64 v[42:43], v[10:11], v[18:19], -v[42:43]
	v_mul_f64 v[10:11], v[10:11], v[20:21]
	v_add_f64 v[34:35], v[34:35], v[42:43]
	v_fma_f64 v[10:11], v[12:13], v[18:19], v[10:11]
	v_add_f64 v[32:33], v[10:11], v[32:33]
	ds_read_b128 v[10:13], v31 offset:2112
	s_waitcnt lgkmcnt(0)
	v_mul_f64 v[42:43], v[12:13], v[16:17]
	v_mul_f64 v[16:17], v[10:11], v[16:17]
	v_fma_f64 v[42:43], v[10:11], v[14:15], -v[42:43]
	v_fma_f64 v[14:15], v[12:13], v[14:15], v[16:17]
	v_add_f64 v[36:37], v[36:37], v[42:43]
	v_add_f64 v[38:39], v[14:15], v[38:39]
	v_mul_f64 v[14:15], v[12:13], v[20:21]
	v_fma_f64 v[14:15], v[10:11], v[18:19], -v[14:15]
	v_mul_f64 v[10:11], v[10:11], v[20:21]
	v_add_f64 v[22:23], v[22:23], v[14:15]
	v_fma_f64 v[10:11], v[12:13], v[18:19], v[10:11]
	v_add_f64 v[24:25], v[10:11], v[24:25]
	ds_read_b128 v[10:13], v31 offset:80
	ds_read_b128 v[14:17], v30 offset:2560
	s_waitcnt lgkmcnt(0)
	v_mul_f64 v[18:19], v[12:13], v[16:17]
	v_mul_f64 v[20:21], v[10:11], v[16:17]
	v_fma_f64 v[18:19], v[10:11], v[14:15], -v[18:19]
	v_fma_f64 v[20:21], v[12:13], v[14:15], v[20:21]
	v_add_f64 v[3:4], v[3:4], v[18:19]
	v_add_f64 v[40:41], v[20:21], v[40:41]
	ds_read_b128 v[18:21], v30 offset:2816
	s_waitcnt lgkmcnt(0)
	v_mul_f64 v[42:43], v[12:13], v[20:21]
	v_fma_f64 v[42:43], v[10:11], v[18:19], -v[42:43]
	v_mul_f64 v[10:11], v[10:11], v[20:21]
	v_add_f64 v[34:35], v[34:35], v[42:43]
	v_fma_f64 v[10:11], v[12:13], v[18:19], v[10:11]
	v_add_f64 v[32:33], v[10:11], v[32:33]
	ds_read_b128 v[10:13], v31 offset:2128
	s_waitcnt lgkmcnt(0)
	v_mul_f64 v[42:43], v[12:13], v[16:17]
	v_mul_f64 v[16:17], v[10:11], v[16:17]
	v_fma_f64 v[42:43], v[10:11], v[14:15], -v[42:43]
	v_fma_f64 v[14:15], v[12:13], v[14:15], v[16:17]
	v_add_f64 v[36:37], v[36:37], v[42:43]
	v_add_f64 v[38:39], v[14:15], v[38:39]
	v_mul_f64 v[14:15], v[12:13], v[20:21]
	v_fma_f64 v[14:15], v[10:11], v[18:19], -v[14:15]
	v_mul_f64 v[10:11], v[10:11], v[20:21]
	v_add_f64 v[22:23], v[22:23], v[14:15]
	v_fma_f64 v[10:11], v[12:13], v[18:19], v[10:11]
	;; [unrolled: 31-line block ×3, first 2 shown]
	v_add_f64 v[44:45], v[10:11], v[24:25]
	ds_read_b128 v[10:13], v31 offset:112
	ds_read_b128 v[14:17], v30 offset:3584
	;; [unrolled: 1-line block ×3, first 2 shown]
	s_waitcnt lgkmcnt(1)
	v_mul_f64 v[18:19], v[12:13], v[16:17]
	v_mul_f64 v[20:21], v[10:11], v[16:17]
	v_fma_f64 v[18:19], v[10:11], v[14:15], -v[18:19]
	v_fma_f64 v[20:21], v[12:13], v[14:15], v[20:21]
	v_add_f64 v[18:19], v[3:4], v[18:19]
	s_waitcnt lgkmcnt(0)
	v_mul_f64 v[3:4], v[12:13], v[24:25]
	v_add_f64 v[20:21], v[20:21], v[40:41]
	v_fma_f64 v[3:4], v[10:11], v[22:23], -v[3:4]
	v_mul_f64 v[10:11], v[10:11], v[24:25]
	v_fma_f64 v[12:13], v[12:13], v[22:23], v[10:11]
	v_add_f64 v[10:11], v[34:35], v[3:4]
	v_add_f64 v[12:13], v[12:13], v[32:33]
	ds_read_b128 v[32:35], v31 offset:2160
	s_waitcnt lgkmcnt(0)
	s_barrier
	v_mul_f64 v[3:4], v[34:35], v[16:17]
	v_mul_f64 v[16:17], v[32:33], v[16:17]
	v_fma_f64 v[3:4], v[32:33], v[14:15], -v[3:4]
	v_fma_f64 v[16:17], v[34:35], v[14:15], v[16:17]
	v_add_f64 v[14:15], v[36:37], v[3:4]
	v_mul_f64 v[3:4], v[34:35], v[24:25]
	v_mul_f64 v[24:25], v[32:33], v[24:25]
	v_add_f64 v[16:17], v[16:17], v[38:39]
	v_fma_f64 v[3:4], v[32:33], v[22:23], -v[3:4]
	v_fma_f64 v[24:25], v[34:35], v[22:23], v[24:25]
	v_add_f64 v[22:23], v[42:43], v[3:4]
	v_add_f64 v[24:25], v[24:25], v[44:45]
	s_cbranch_scc1 .LBB302_12
.LBB302_3:                              ; =>This Inner Loop Header: Depth=1
	v_add_u32_e32 v3, s31, v27
	v_cmp_le_i32_e32 vcc, s11, v3
	s_or_b64 s[6:7], s[2:3], vcc
	s_and_saveexec_b64 s[12:13], s[6:7]
	s_xor_b64 s[6:7], exec, s[12:13]
; %bb.4:                                ;   in Loop: Header=BB302_3 Depth=1
	v_mov_b32_e32 v3, v2
	v_mov_b32_e32 v4, v2
	;; [unrolled: 1-line block ×3, first 2 shown]
	ds_write_b128 v28, v[2:5]
; %bb.5:                                ;   in Loop: Header=BB302_3 Depth=1
	s_andn2_saveexec_b64 s[6:7], s[6:7]
	s_cbranch_execz .LBB302_7
; %bb.6:                                ;   in Loop: Header=BB302_3 Depth=1
	global_load_dwordx4 v[32:35], v[6:7], off
	s_waitcnt vmcnt(0)
	ds_write2_b64 v28, v[32:33], v[34:35] offset1:1
.LBB302_7:                              ;   in Loop: Header=BB302_3 Depth=1
	s_or_b64 exec, exec, s[6:7]
	v_add_u32_e32 v3, s31, v26
	v_cmp_le_i32_e32 vcc, s11, v3
	s_or_b64 s[6:7], vcc, s[0:1]
	s_and_saveexec_b64 s[12:13], s[6:7]
	s_xor_b64 s[6:7], exec, s[12:13]
; %bb.8:                                ;   in Loop: Header=BB302_3 Depth=1
	v_mov_b32_e32 v3, v2
	v_mov_b32_e32 v4, v2
	;; [unrolled: 1-line block ×3, first 2 shown]
	ds_write_b128 v29, v[2:5]
; %bb.9:                                ;   in Loop: Header=BB302_3 Depth=1
	s_andn2_saveexec_b64 s[6:7], s[6:7]
	s_cbranch_execz .LBB302_2
; %bb.10:                               ;   in Loop: Header=BB302_3 Depth=1
	global_load_dwordx4 v[32:35], v[8:9], off
	s_waitcnt vmcnt(0)
	ds_write2_b64 v29, v[32:33], v[34:35] offset1:1
	s_branch .LBB302_2
.LBB302_11:
	v_mov_b32_e32 v18, 0
	v_mov_b32_e32 v20, 0
	;; [unrolled: 1-line block ×16, first 2 shown]
.LBB302_12:
	s_load_dwordx2 s[0:1], s[4:5], 0x68
	s_load_dword s6, s[4:5], 0x60
	v_add_u32_e32 v4, s30, v1
	v_add_u32_e32 v0, s9, v0
	v_cmp_gt_i32_e32 vcc, s10, v4
	s_waitcnt lgkmcnt(0)
	s_mul_i32 s1, s1, s8
	s_mul_hi_u32 s2, s0, s8
	s_add_i32 s1, s2, s1
	v_mad_i64_i32 v[1:2], s[2:3], v4, s6, 0
	s_mul_i32 s0, s0, s8
	s_lshl_b64 s[0:1], s[0:1], 4
	s_add_u32 s4, s18, s0
	v_lshlrev_b64 v[1:2], 4, v[1:2]
	s_addc_u32 s5, s19, s1
	v_mov_b32_e32 v3, s5
	v_add_co_u32_e64 v5, s[0:1], s4, v1
	v_addc_co_u32_e64 v6, s[0:1], v3, v2, s[0:1]
	v_cmp_le_i32_e64 s[0:1], v0, v4
	s_and_b64 s[0:1], vcc, s[0:1]
	s_and_saveexec_b64 s[2:3], s[0:1]
	s_cbranch_execz .LBB302_14
; %bb.13:
	v_ashrrev_i32_e32 v1, 31, v0
	v_lshlrev_b64 v[1:2], 4, v[0:1]
	v_mul_f64 v[7:8], s[22:23], v[20:21]
	v_add_co_u32_e64 v1, s[0:1], v5, v1
	v_addc_co_u32_e64 v2, s[0:1], v6, v2, s[0:1]
	global_load_dwordx4 v[26:29], v[1:2], off
	v_mul_f64 v[20:21], s[20:21], v[20:21]
	v_fma_f64 v[7:8], s[20:21], v[18:19], -v[7:8]
	v_fma_f64 v[20:21], s[22:23], v[18:19], v[20:21]
	s_waitcnt vmcnt(0)
	v_mul_f64 v[30:31], s[16:17], v[28:29]
	v_mul_f64 v[28:29], s[14:15], v[28:29]
	v_fma_f64 v[18:19], s[14:15], v[26:27], -v[30:31]
	v_fma_f64 v[26:27], s[16:17], v[26:27], v[28:29]
	v_add_f64 v[18:19], v[7:8], v[18:19]
	v_add_f64 v[20:21], v[20:21], v[26:27]
	global_store_dwordx4 v[1:2], v[18:21], off
.LBB302_14:
	s_or_b64 exec, exec, s[2:3]
	v_add_u32_e32 v2, 16, v0
	v_cmp_le_i32_e64 s[0:1], v2, v4
	s_and_b64 s[2:3], vcc, s[0:1]
	s_and_saveexec_b64 s[0:1], s[2:3]
	s_cbranch_execz .LBB302_16
; %bb.15:
	v_ashrrev_i32_e32 v3, 31, v2
	v_lshlrev_b64 v[7:8], 4, v[2:3]
	v_mul_f64 v[20:21], s[22:23], v[12:13]
	v_add_co_u32_e32 v18, vcc, v5, v7
	v_addc_co_u32_e32 v19, vcc, v6, v8, vcc
	global_load_dwordx4 v[5:8], v[18:19], off
	v_mul_f64 v[12:13], s[20:21], v[12:13]
	v_fma_f64 v[20:21], s[20:21], v[10:11], -v[20:21]
	v_fma_f64 v[9:10], s[22:23], v[10:11], v[12:13]
	s_waitcnt vmcnt(0)
	v_mul_f64 v[26:27], s[16:17], v[7:8]
	v_mul_f64 v[7:8], s[14:15], v[7:8]
	v_fma_f64 v[11:12], s[14:15], v[5:6], -v[26:27]
	v_fma_f64 v[7:8], s[16:17], v[5:6], v[7:8]
	v_add_f64 v[5:6], v[20:21], v[11:12]
	v_add_f64 v[7:8], v[9:10], v[7:8]
	global_store_dwordx4 v[18:19], v[5:8], off
.LBB302_16:
	s_or_b64 exec, exec, s[0:1]
	v_add_u32_e32 v3, 16, v4
	v_mad_i64_i32 v[4:5], s[0:1], v3, s6, 0
	v_mov_b32_e32 v1, s5
	v_cmp_gt_i32_e32 vcc, s10, v3
	v_lshlrev_b64 v[4:5], 4, v[4:5]
	v_add_co_u32_e64 v4, s[0:1], s4, v4
	v_addc_co_u32_e64 v5, s[0:1], v1, v5, s[0:1]
	v_cmp_le_i32_e64 s[0:1], v0, v3
	s_and_b64 s[0:1], vcc, s[0:1]
	s_and_saveexec_b64 s[2:3], s[0:1]
	s_cbranch_execz .LBB302_18
; %bb.17:
	v_ashrrev_i32_e32 v1, 31, v0
	v_lshlrev_b64 v[0:1], 4, v[0:1]
	v_mul_f64 v[10:11], s[22:23], v[16:17]
	v_add_co_u32_e64 v0, s[0:1], v4, v0
	v_addc_co_u32_e64 v1, s[0:1], v5, v1, s[0:1]
	global_load_dwordx4 v[6:9], v[0:1], off
	v_mul_f64 v[12:13], s[20:21], v[16:17]
	v_fma_f64 v[10:11], s[20:21], v[14:15], -v[10:11]
	v_fma_f64 v[12:13], s[22:23], v[14:15], v[12:13]
	s_waitcnt vmcnt(0)
	v_mul_f64 v[16:17], s[16:17], v[8:9]
	v_mul_f64 v[8:9], s[14:15], v[8:9]
	v_fma_f64 v[14:15], s[14:15], v[6:7], -v[16:17]
	v_fma_f64 v[8:9], s[16:17], v[6:7], v[8:9]
	v_add_f64 v[6:7], v[10:11], v[14:15]
	v_add_f64 v[8:9], v[12:13], v[8:9]
	global_store_dwordx4 v[0:1], v[6:9], off
.LBB302_18:
	s_or_b64 exec, exec, s[2:3]
	v_cmp_le_i32_e64 s[0:1], v2, v3
	s_and_b64 s[0:1], vcc, s[0:1]
	s_and_saveexec_b64 s[2:3], s[0:1]
	s_cbranch_execz .LBB302_20
; %bb.19:
	v_ashrrev_i32_e32 v3, 31, v2
	v_lshlrev_b64 v[0:1], 4, v[2:3]
	v_mul_f64 v[6:7], s[22:23], v[24:25]
	v_add_co_u32_e32 v4, vcc, v4, v0
	v_addc_co_u32_e32 v5, vcc, v5, v1, vcc
	global_load_dwordx4 v[0:3], v[4:5], off
	v_mul_f64 v[8:9], s[20:21], v[24:25]
	v_fma_f64 v[6:7], s[20:21], v[22:23], -v[6:7]
	v_fma_f64 v[8:9], s[22:23], v[22:23], v[8:9]
	s_waitcnt vmcnt(0)
	v_mul_f64 v[10:11], s[16:17], v[2:3]
	v_mul_f64 v[2:3], s[14:15], v[2:3]
	v_fma_f64 v[10:11], s[14:15], v[0:1], -v[10:11]
	v_fma_f64 v[2:3], s[16:17], v[0:1], v[2:3]
	v_add_f64 v[0:1], v[6:7], v[10:11]
	v_add_f64 v[2:3], v[8:9], v[2:3]
	global_store_dwordx4 v[4:5], v[0:3], off
.LBB302_20:
	s_endpgm
	.section	.rodata,"a",@progbits
	.p2align	6, 0x0
	.amdhsa_kernel _ZL34rocblas_syrkx_herkx_general_kernelIi19rocblas_complex_numIdELi16ELi32ELi8ELb0ELb0ELc84ELc85EKS1_S1_EviT_T0_PT8_S3_lS6_S3_lS4_PT9_S3_li
		.amdhsa_group_segment_fixed_size 8192
		.amdhsa_private_segment_fixed_size 0
		.amdhsa_kernarg_size 116
		.amdhsa_user_sgpr_count 6
		.amdhsa_user_sgpr_private_segment_buffer 1
		.amdhsa_user_sgpr_dispatch_ptr 0
		.amdhsa_user_sgpr_queue_ptr 0
		.amdhsa_user_sgpr_kernarg_segment_ptr 1
		.amdhsa_user_sgpr_dispatch_id 0
		.amdhsa_user_sgpr_flat_scratch_init 0
		.amdhsa_user_sgpr_private_segment_size 0
		.amdhsa_uses_dynamic_stack 0
		.amdhsa_system_sgpr_private_segment_wavefront_offset 0
		.amdhsa_system_sgpr_workgroup_id_x 1
		.amdhsa_system_sgpr_workgroup_id_y 1
		.amdhsa_system_sgpr_workgroup_id_z 1
		.amdhsa_system_sgpr_workgroup_info 0
		.amdhsa_system_vgpr_workitem_id 1
		.amdhsa_next_free_vgpr 56
		.amdhsa_next_free_sgpr 61
		.amdhsa_reserve_vcc 1
		.amdhsa_reserve_flat_scratch 0
		.amdhsa_float_round_mode_32 0
		.amdhsa_float_round_mode_16_64 0
		.amdhsa_float_denorm_mode_32 3
		.amdhsa_float_denorm_mode_16_64 3
		.amdhsa_dx10_clamp 1
		.amdhsa_ieee_mode 1
		.amdhsa_fp16_overflow 0
		.amdhsa_exception_fp_ieee_invalid_op 0
		.amdhsa_exception_fp_denorm_src 0
		.amdhsa_exception_fp_ieee_div_zero 0
		.amdhsa_exception_fp_ieee_overflow 0
		.amdhsa_exception_fp_ieee_underflow 0
		.amdhsa_exception_fp_ieee_inexact 0
		.amdhsa_exception_int_div_zero 0
	.end_amdhsa_kernel
	.section	.text._ZL34rocblas_syrkx_herkx_general_kernelIi19rocblas_complex_numIdELi16ELi32ELi8ELb0ELb0ELc84ELc85EKS1_S1_EviT_T0_PT8_S3_lS6_S3_lS4_PT9_S3_li,"axG",@progbits,_ZL34rocblas_syrkx_herkx_general_kernelIi19rocblas_complex_numIdELi16ELi32ELi8ELb0ELb0ELc84ELc85EKS1_S1_EviT_T0_PT8_S3_lS6_S3_lS4_PT9_S3_li,comdat
.Lfunc_end302:
	.size	_ZL34rocblas_syrkx_herkx_general_kernelIi19rocblas_complex_numIdELi16ELi32ELi8ELb0ELb0ELc84ELc85EKS1_S1_EviT_T0_PT8_S3_lS6_S3_lS4_PT9_S3_li, .Lfunc_end302-_ZL34rocblas_syrkx_herkx_general_kernelIi19rocblas_complex_numIdELi16ELi32ELi8ELb0ELb0ELc84ELc85EKS1_S1_EviT_T0_PT8_S3_lS6_S3_lS4_PT9_S3_li
                                        ; -- End function
	.set _ZL34rocblas_syrkx_herkx_general_kernelIi19rocblas_complex_numIdELi16ELi32ELi8ELb0ELb0ELc84ELc85EKS1_S1_EviT_T0_PT8_S3_lS6_S3_lS4_PT9_S3_li.num_vgpr, 56
	.set _ZL34rocblas_syrkx_herkx_general_kernelIi19rocblas_complex_numIdELi16ELi32ELi8ELb0ELb0ELc84ELc85EKS1_S1_EviT_T0_PT8_S3_lS6_S3_lS4_PT9_S3_li.num_agpr, 0
	.set _ZL34rocblas_syrkx_herkx_general_kernelIi19rocblas_complex_numIdELi16ELi32ELi8ELb0ELb0ELc84ELc85EKS1_S1_EviT_T0_PT8_S3_lS6_S3_lS4_PT9_S3_li.numbered_sgpr, 32
	.set _ZL34rocblas_syrkx_herkx_general_kernelIi19rocblas_complex_numIdELi16ELi32ELi8ELb0ELb0ELc84ELc85EKS1_S1_EviT_T0_PT8_S3_lS6_S3_lS4_PT9_S3_li.num_named_barrier, 0
	.set _ZL34rocblas_syrkx_herkx_general_kernelIi19rocblas_complex_numIdELi16ELi32ELi8ELb0ELb0ELc84ELc85EKS1_S1_EviT_T0_PT8_S3_lS6_S3_lS4_PT9_S3_li.private_seg_size, 0
	.set _ZL34rocblas_syrkx_herkx_general_kernelIi19rocblas_complex_numIdELi16ELi32ELi8ELb0ELb0ELc84ELc85EKS1_S1_EviT_T0_PT8_S3_lS6_S3_lS4_PT9_S3_li.uses_vcc, 1
	.set _ZL34rocblas_syrkx_herkx_general_kernelIi19rocblas_complex_numIdELi16ELi32ELi8ELb0ELb0ELc84ELc85EKS1_S1_EviT_T0_PT8_S3_lS6_S3_lS4_PT9_S3_li.uses_flat_scratch, 0
	.set _ZL34rocblas_syrkx_herkx_general_kernelIi19rocblas_complex_numIdELi16ELi32ELi8ELb0ELb0ELc84ELc85EKS1_S1_EviT_T0_PT8_S3_lS6_S3_lS4_PT9_S3_li.has_dyn_sized_stack, 0
	.set _ZL34rocblas_syrkx_herkx_general_kernelIi19rocblas_complex_numIdELi16ELi32ELi8ELb0ELb0ELc84ELc85EKS1_S1_EviT_T0_PT8_S3_lS6_S3_lS4_PT9_S3_li.has_recursion, 0
	.set _ZL34rocblas_syrkx_herkx_general_kernelIi19rocblas_complex_numIdELi16ELi32ELi8ELb0ELb0ELc84ELc85EKS1_S1_EviT_T0_PT8_S3_lS6_S3_lS4_PT9_S3_li.has_indirect_call, 0
	.section	.AMDGPU.csdata,"",@progbits
; Kernel info:
; codeLenInByte = 3336
; TotalNumSgprs: 36
; NumVgprs: 56
; ScratchSize: 0
; MemoryBound: 0
; FloatMode: 240
; IeeeMode: 1
; LDSByteSize: 8192 bytes/workgroup (compile time only)
; SGPRBlocks: 8
; VGPRBlocks: 13
; NumSGPRsForWavesPerEU: 65
; NumVGPRsForWavesPerEU: 56
; Occupancy: 4
; WaveLimiterHint : 0
; COMPUTE_PGM_RSRC2:SCRATCH_EN: 0
; COMPUTE_PGM_RSRC2:USER_SGPR: 6
; COMPUTE_PGM_RSRC2:TRAP_HANDLER: 0
; COMPUTE_PGM_RSRC2:TGID_X_EN: 1
; COMPUTE_PGM_RSRC2:TGID_Y_EN: 1
; COMPUTE_PGM_RSRC2:TGID_Z_EN: 1
; COMPUTE_PGM_RSRC2:TIDIG_COMP_CNT: 1
	.section	.text._ZL34rocblas_syrkx_herkx_general_kernelIi19rocblas_complex_numIdELi16ELi32ELi8ELb0ELb0ELc67ELc85EKS1_S1_EviT_T0_PT8_S3_lS6_S3_lS4_PT9_S3_li,"axG",@progbits,_ZL34rocblas_syrkx_herkx_general_kernelIi19rocblas_complex_numIdELi16ELi32ELi8ELb0ELb0ELc67ELc85EKS1_S1_EviT_T0_PT8_S3_lS6_S3_lS4_PT9_S3_li,comdat
	.globl	_ZL34rocblas_syrkx_herkx_general_kernelIi19rocblas_complex_numIdELi16ELi32ELi8ELb0ELb0ELc67ELc85EKS1_S1_EviT_T0_PT8_S3_lS6_S3_lS4_PT9_S3_li ; -- Begin function _ZL34rocblas_syrkx_herkx_general_kernelIi19rocblas_complex_numIdELi16ELi32ELi8ELb0ELb0ELc67ELc85EKS1_S1_EviT_T0_PT8_S3_lS6_S3_lS4_PT9_S3_li
	.p2align	8
	.type	_ZL34rocblas_syrkx_herkx_general_kernelIi19rocblas_complex_numIdELi16ELi32ELi8ELb0ELb0ELc67ELc85EKS1_S1_EviT_T0_PT8_S3_lS6_S3_lS4_PT9_S3_li,@function
_ZL34rocblas_syrkx_herkx_general_kernelIi19rocblas_complex_numIdELi16ELi32ELi8ELb0ELb0ELc67ELc85EKS1_S1_EviT_T0_PT8_S3_lS6_S3_lS4_PT9_S3_li: ; @_ZL34rocblas_syrkx_herkx_general_kernelIi19rocblas_complex_numIdELi16ELi32ELi8ELb0ELb0ELc67ELc85EKS1_S1_EviT_T0_PT8_S3_lS6_S3_lS4_PT9_S3_li
; %bb.0:
	s_load_dwordx2 s[10:11], s[4:5], 0x0
	s_load_dwordx4 s[20:23], s[4:5], 0x8
	s_load_dwordx2 s[28:29], s[4:5], 0x18
	s_load_dwordx8 s[12:19], s[4:5], 0x40
	s_lshl_b32 s9, s6, 5
	s_lshl_b32 s30, s7, 5
	s_waitcnt lgkmcnt(0)
	s_cmp_lt_i32 s11, 1
	s_mov_b32 s31, 0
	s_cbranch_scc1 .LBB303_9
; %bb.1:
	v_lshl_add_u32 v2, v1, 4, v0
	v_lshrrev_b32_e32 v28, 5, v2
	v_lshrrev_b32_e32 v3, 3, v2
	v_and_b32_e32 v2, 31, v2
	v_or_b32_e32 v5, s9, v2
	s_load_dword s2, s[4:5], 0x20
	s_load_dwordx4 s[24:27], s[4:5], 0x28
	s_load_dword s6, s[4:5], 0x38
	v_and_b32_e32 v27, 7, v0
	v_cmp_gt_i32_e64 s[0:1], s10, v5
	v_lshlrev_b32_e32 v5, 4, v2
	v_lshl_or_b32 v29, v28, 9, v5
	v_lshlrev_b32_e32 v5, 4, v27
	v_add_u32_e32 v4, s30, v3
	v_lshl_or_b32 v3, v3, 7, v5
	v_add_u32_e32 v2, s9, v2
	v_add_u32_e32 v30, 0x1000, v3
	s_waitcnt lgkmcnt(0)
	v_mad_i64_i32 v[2:3], s[2:3], s2, v2, 0
	s_mul_i32 s2, s25, s8
	s_mul_hi_u32 s3, s24, s8
	v_lshlrev_b64 v[2:3], 4, v[2:3]
	s_add_i32 s3, s3, s2
	s_mul_i32 s2, s24, s8
	v_mov_b32_e32 v6, 0x1000
	s_lshl_b64 s[2:3], s[2:3], 4
	v_lshl_add_u32 v32, v1, 7, v6
	v_mov_b32_e32 v6, s3
	v_add_co_u32_e64 v2, s[2:3], s2, v2
	v_addc_co_u32_e64 v3, s[2:3], v3, v6, s[2:3]
	v_lshlrev_b32_e32 v6, 4, v28
	v_add_co_u32_e64 v2, s[2:3], v2, v6
	v_addc_co_u32_e64 v3, s[2:3], 0, v3, s[2:3]
	v_mov_b32_e32 v6, s29
	v_add_co_u32_e64 v7, s[2:3], s28, v2
	v_addc_co_u32_e64 v6, s[2:3], v6, v3, s[2:3]
	v_mad_i64_i32 v[2:3], s[2:3], s6, v4, 0
	v_add_co_u32_e64 v7, s[2:3], 8, v7
	v_addc_co_u32_e64 v8, s[2:3], 0, v6, s[2:3]
	s_mul_i32 s2, s13, s8
	s_mul_hi_u32 s3, s12, s8
	v_lshlrev_b64 v[2:3], 4, v[2:3]
	s_add_i32 s3, s3, s2
	s_mul_i32 s2, s12, s8
	s_lshl_b64 s[2:3], s[2:3], 4
	v_cmp_gt_i32_e32 vcc, s10, v4
	v_mov_b32_e32 v4, s3
	v_add_co_u32_e64 v2, s[2:3], s2, v2
	v_addc_co_u32_e64 v3, s[2:3], v3, v4, s[2:3]
	v_add_co_u32_e64 v2, s[2:3], v2, v5
	v_addc_co_u32_e64 v3, s[2:3], 0, v3, s[2:3]
	v_mov_b32_e32 v4, s27
	v_add_co_u32_e64 v9, s[2:3], s26, v2
	v_addc_co_u32_e64 v10, s[2:3], v4, v3, s[2:3]
	v_mov_b32_e32 v25, 0
	v_mov_b32_e32 v23, 0
	;; [unrolled: 1-line block ×8, first 2 shown]
	v_lshlrev_b32_e32 v31, 4, v0
	v_mov_b32_e32 v26, 0
	s_xor_b64 s[2:3], vcc, -1
	v_mov_b32_e32 v24, 0
	v_mov_b32_e32 v18, 0
	;; [unrolled: 1-line block ×8, first 2 shown]
	s_branch .LBB303_3
.LBB303_2:                              ;   in Loop: Header=BB303_3 Depth=1
	s_or_b64 exec, exec, s[6:7]
	s_waitcnt lgkmcnt(0)
	s_barrier
	ds_read_b128 v[3:6], v32
	ds_read_b128 v[33:36], v32 offset:16
	ds_read_b128 v[37:40], v32 offset:32
	;; [unrolled: 1-line block ×3, first 2 shown]
	ds_read_b128 v[45:48], v31
	v_add_co_u32_e32 v7, vcc, 0x80, v7
	v_addc_co_u32_e32 v8, vcc, 0, v8, vcc
	s_waitcnt lgkmcnt(0)
	v_mul_f64 v[49:50], v[5:6], v[47:48]
	v_mul_f64 v[51:52], v[3:4], v[47:48]
	s_add_i32 s31, s31, 8
	v_add_co_u32_e32 v9, vcc, 0x80, v9
	v_addc_co_u32_e32 v10, vcc, 0, v10, vcc
	s_cmp_ge_i32 s31, s11
	v_fma_f64 v[49:50], v[3:4], v[45:46], -v[49:50]
	v_fma_f64 v[51:52], v[5:6], v[45:46], v[51:52]
	v_add_f64 v[49:50], v[19:20], v[49:50]
	v_add_f64 v[51:52], v[51:52], v[21:22]
	ds_read_b128 v[19:22], v31 offset:256
	s_waitcnt lgkmcnt(0)
	v_mul_f64 v[53:54], v[5:6], v[21:22]
	v_fma_f64 v[53:54], v[3:4], v[19:20], -v[53:54]
	v_mul_f64 v[3:4], v[3:4], v[21:22]
	v_add_f64 v[53:54], v[11:12], v[53:54]
	v_fma_f64 v[3:4], v[5:6], v[19:20], v[3:4]
	v_add_f64 v[55:56], v[3:4], v[13:14]
	ds_read_b128 v[3:6], v32 offset:2048
	s_waitcnt lgkmcnt(0)
	v_mul_f64 v[11:12], v[5:6], v[47:48]
	v_mul_f64 v[13:14], v[3:4], v[47:48]
	v_fma_f64 v[11:12], v[3:4], v[45:46], -v[11:12]
	v_fma_f64 v[13:14], v[5:6], v[45:46], v[13:14]
	v_add_f64 v[45:46], v[15:16], v[11:12]
	v_mul_f64 v[11:12], v[5:6], v[21:22]
	v_add_f64 v[47:48], v[13:14], v[17:18]
	v_fma_f64 v[11:12], v[3:4], v[19:20], -v[11:12]
	v_mul_f64 v[3:4], v[3:4], v[21:22]
	v_fma_f64 v[3:4], v[5:6], v[19:20], v[3:4]
	v_add_f64 v[19:20], v[23:24], v[11:12]
	v_add_f64 v[21:22], v[3:4], v[25:26]
	ds_read_b128 v[3:6], v31 offset:512
	s_waitcnt lgkmcnt(0)
	v_mul_f64 v[11:12], v[35:36], v[5:6]
	v_mul_f64 v[13:14], v[33:34], v[5:6]
	v_fma_f64 v[11:12], v[33:34], v[3:4], -v[11:12]
	v_fma_f64 v[13:14], v[35:36], v[3:4], v[13:14]
	v_add_f64 v[23:24], v[49:50], v[11:12]
	v_add_f64 v[25:26], v[13:14], v[51:52]
	ds_read_b128 v[11:14], v31 offset:768
	s_waitcnt lgkmcnt(0)
	v_mul_f64 v[15:16], v[35:36], v[13:14]
	v_mul_f64 v[17:18], v[33:34], v[13:14]
	v_fma_f64 v[15:16], v[33:34], v[11:12], -v[15:16]
	;; [unrolled: 8-line block ×3, first 2 shown]
	v_fma_f64 v[3:4], v[17:18], v[3:4], v[5:6]
	v_mul_f64 v[5:6], v[15:16], v[13:14]
	v_add_f64 v[45:46], v[45:46], v[49:50]
	v_add_f64 v[47:48], v[3:4], v[47:48]
	v_mul_f64 v[3:4], v[17:18], v[13:14]
	v_fma_f64 v[5:6], v[17:18], v[11:12], v[5:6]
	v_fma_f64 v[3:4], v[15:16], v[11:12], -v[3:4]
	v_add_f64 v[21:22], v[5:6], v[21:22]
	v_add_f64 v[19:20], v[19:20], v[3:4]
	ds_read_b128 v[3:6], v31 offset:1024
	s_waitcnt lgkmcnt(0)
	v_mul_f64 v[11:12], v[39:40], v[5:6]
	v_mul_f64 v[13:14], v[37:38], v[5:6]
	v_fma_f64 v[11:12], v[37:38], v[3:4], -v[11:12]
	v_fma_f64 v[13:14], v[39:40], v[3:4], v[13:14]
	v_add_f64 v[23:24], v[23:24], v[11:12]
	v_add_f64 v[25:26], v[13:14], v[25:26]
	ds_read_b128 v[11:14], v31 offset:1280
	s_waitcnt lgkmcnt(0)
	v_mul_f64 v[15:16], v[39:40], v[13:14]
	v_mul_f64 v[17:18], v[37:38], v[13:14]
	v_fma_f64 v[15:16], v[37:38], v[11:12], -v[15:16]
	v_fma_f64 v[17:18], v[39:40], v[11:12], v[17:18]
	;; [unrolled: 8-line block ×3, first 2 shown]
	v_mul_f64 v[5:6], v[15:16], v[13:14]
	v_add_f64 v[37:38], v[45:46], v[37:38]
	v_add_f64 v[39:40], v[3:4], v[47:48]
	v_mul_f64 v[3:4], v[17:18], v[13:14]
	v_fma_f64 v[5:6], v[17:18], v[11:12], v[5:6]
	v_fma_f64 v[3:4], v[15:16], v[11:12], -v[3:4]
	v_add_f64 v[21:22], v[5:6], v[21:22]
	v_add_f64 v[19:20], v[19:20], v[3:4]
	ds_read_b128 v[3:6], v31 offset:1536
	s_waitcnt lgkmcnt(0)
	v_mul_f64 v[11:12], v[43:44], v[5:6]
	v_mul_f64 v[13:14], v[41:42], v[5:6]
	v_fma_f64 v[11:12], v[41:42], v[3:4], -v[11:12]
	v_fma_f64 v[13:14], v[43:44], v[3:4], v[13:14]
	v_add_f64 v[23:24], v[23:24], v[11:12]
	v_add_f64 v[25:26], v[13:14], v[25:26]
	ds_read_b128 v[11:14], v31 offset:1792
	s_waitcnt lgkmcnt(0)
	v_mul_f64 v[15:16], v[43:44], v[13:14]
	v_mul_f64 v[17:18], v[41:42], v[13:14]
	v_fma_f64 v[15:16], v[41:42], v[11:12], -v[15:16]
	v_fma_f64 v[17:18], v[43:44], v[11:12], v[17:18]
	;; [unrolled: 8-line block ×3, first 2 shown]
	v_mul_f64 v[5:6], v[15:16], v[13:14]
	v_add_f64 v[37:38], v[37:38], v[41:42]
	v_add_f64 v[39:40], v[3:4], v[39:40]
	v_mul_f64 v[3:4], v[17:18], v[13:14]
	v_fma_f64 v[5:6], v[17:18], v[11:12], v[5:6]
	v_fma_f64 v[3:4], v[15:16], v[11:12], -v[3:4]
	v_add_f64 v[21:22], v[5:6], v[21:22]
	v_add_f64 v[19:20], v[19:20], v[3:4]
	ds_read_b128 v[3:6], v32 offset:64
	ds_read_b128 v[11:14], v31 offset:2048
	s_waitcnt lgkmcnt(0)
	v_mul_f64 v[15:16], v[5:6], v[13:14]
	v_mul_f64 v[17:18], v[3:4], v[13:14]
	v_fma_f64 v[15:16], v[3:4], v[11:12], -v[15:16]
	v_fma_f64 v[17:18], v[5:6], v[11:12], v[17:18]
	v_add_f64 v[23:24], v[23:24], v[15:16]
	v_add_f64 v[25:26], v[17:18], v[25:26]
	ds_read_b128 v[15:18], v31 offset:2304
	s_waitcnt lgkmcnt(0)
	v_mul_f64 v[41:42], v[5:6], v[17:18]
	v_fma_f64 v[41:42], v[3:4], v[15:16], -v[41:42]
	v_mul_f64 v[3:4], v[3:4], v[17:18]
	v_add_f64 v[33:34], v[33:34], v[41:42]
	v_fma_f64 v[3:4], v[5:6], v[15:16], v[3:4]
	v_add_f64 v[35:36], v[3:4], v[35:36]
	ds_read_b128 v[3:6], v32 offset:2112
	s_waitcnt lgkmcnt(0)
	v_mul_f64 v[41:42], v[5:6], v[13:14]
	v_mul_f64 v[13:14], v[3:4], v[13:14]
	v_fma_f64 v[41:42], v[3:4], v[11:12], -v[41:42]
	v_fma_f64 v[11:12], v[5:6], v[11:12], v[13:14]
	v_add_f64 v[37:38], v[37:38], v[41:42]
	v_add_f64 v[39:40], v[11:12], v[39:40]
	v_mul_f64 v[11:12], v[5:6], v[17:18]
	v_fma_f64 v[11:12], v[3:4], v[15:16], -v[11:12]
	v_mul_f64 v[3:4], v[3:4], v[17:18]
	v_add_f64 v[19:20], v[19:20], v[11:12]
	v_fma_f64 v[3:4], v[5:6], v[15:16], v[3:4]
	v_add_f64 v[21:22], v[3:4], v[21:22]
	ds_read_b128 v[3:6], v32 offset:80
	ds_read_b128 v[11:14], v31 offset:2560
	s_waitcnt lgkmcnt(0)
	v_mul_f64 v[15:16], v[5:6], v[13:14]
	v_mul_f64 v[17:18], v[3:4], v[13:14]
	v_fma_f64 v[15:16], v[3:4], v[11:12], -v[15:16]
	v_fma_f64 v[17:18], v[5:6], v[11:12], v[17:18]
	v_add_f64 v[23:24], v[23:24], v[15:16]
	v_add_f64 v[25:26], v[17:18], v[25:26]
	ds_read_b128 v[15:18], v31 offset:2816
	s_waitcnt lgkmcnt(0)
	v_mul_f64 v[41:42], v[5:6], v[17:18]
	v_fma_f64 v[41:42], v[3:4], v[15:16], -v[41:42]
	v_mul_f64 v[3:4], v[3:4], v[17:18]
	v_add_f64 v[33:34], v[33:34], v[41:42]
	v_fma_f64 v[3:4], v[5:6], v[15:16], v[3:4]
	v_add_f64 v[35:36], v[3:4], v[35:36]
	ds_read_b128 v[3:6], v32 offset:2128
	s_waitcnt lgkmcnt(0)
	v_mul_f64 v[41:42], v[5:6], v[13:14]
	v_mul_f64 v[13:14], v[3:4], v[13:14]
	v_fma_f64 v[41:42], v[3:4], v[11:12], -v[41:42]
	v_fma_f64 v[11:12], v[5:6], v[11:12], v[13:14]
	v_add_f64 v[37:38], v[37:38], v[41:42]
	v_add_f64 v[39:40], v[11:12], v[39:40]
	v_mul_f64 v[11:12], v[5:6], v[17:18]
	v_fma_f64 v[11:12], v[3:4], v[15:16], -v[11:12]
	v_mul_f64 v[3:4], v[3:4], v[17:18]
	v_add_f64 v[19:20], v[19:20], v[11:12]
	v_fma_f64 v[3:4], v[5:6], v[15:16], v[3:4]
	;; [unrolled: 31-line block ×3, first 2 shown]
	v_add_f64 v[43:44], v[3:4], v[21:22]
	ds_read_b128 v[3:6], v32 offset:112
	ds_read_b128 v[15:18], v31 offset:3584
	s_waitcnt lgkmcnt(0)
	v_mul_f64 v[11:12], v[5:6], v[17:18]
	v_mul_f64 v[13:14], v[3:4], v[17:18]
	v_fma_f64 v[11:12], v[3:4], v[15:16], -v[11:12]
	v_fma_f64 v[13:14], v[5:6], v[15:16], v[13:14]
	v_add_f64 v[19:20], v[23:24], v[11:12]
	v_add_f64 v[21:22], v[13:14], v[25:26]
	ds_read_b128 v[23:26], v31 offset:3840
	s_waitcnt lgkmcnt(0)
	v_mul_f64 v[11:12], v[5:6], v[25:26]
	v_fma_f64 v[11:12], v[3:4], v[23:24], -v[11:12]
	v_mul_f64 v[3:4], v[3:4], v[25:26]
	v_add_f64 v[11:12], v[33:34], v[11:12]
	v_fma_f64 v[3:4], v[5:6], v[23:24], v[3:4]
	v_add_f64 v[13:14], v[3:4], v[35:36]
	ds_read_b128 v[3:6], v32 offset:2160
	s_waitcnt lgkmcnt(0)
	s_barrier
	v_mul_f64 v[33:34], v[5:6], v[17:18]
	v_mul_f64 v[17:18], v[3:4], v[17:18]
	v_fma_f64 v[33:34], v[3:4], v[15:16], -v[33:34]
	v_fma_f64 v[17:18], v[5:6], v[15:16], v[17:18]
	v_add_f64 v[15:16], v[37:38], v[33:34]
	v_mul_f64 v[33:34], v[5:6], v[25:26]
	v_add_f64 v[17:18], v[17:18], v[39:40]
	v_fma_f64 v[33:34], v[3:4], v[23:24], -v[33:34]
	v_mul_f64 v[3:4], v[3:4], v[25:26]
	v_fma_f64 v[3:4], v[5:6], v[23:24], v[3:4]
	v_add_f64 v[23:24], v[41:42], v[33:34]
	v_add_f64 v[25:26], v[3:4], v[43:44]
	s_cbranch_scc1 .LBB303_10
.LBB303_3:                              ; =>This Inner Loop Header: Depth=1
	v_add_u32_e32 v3, s31, v28
	v_cmp_gt_i32_e32 vcc, s11, v3
	v_mov_b32_e32 v3, 0
	v_mov_b32_e32 v5, 0
	;; [unrolled: 1-line block ×4, first 2 shown]
	s_and_b64 s[12:13], s[0:1], vcc
	s_and_saveexec_b64 s[6:7], s[12:13]
	s_cbranch_execz .LBB303_5
; %bb.4:                                ;   in Loop: Header=BB303_3 Depth=1
	global_load_dwordx4 v[3:6], v[7:8], off offset:-8
.LBB303_5:                              ;   in Loop: Header=BB303_3 Depth=1
	s_or_b64 exec, exec, s[6:7]
	s_waitcnt vmcnt(0)
	ds_write_b128 v29, v[3:6]
	v_add_u32_e32 v3, s31, v27
	v_cmp_le_i32_e32 vcc, s11, v3
	s_or_b64 s[6:7], vcc, s[2:3]
	s_and_saveexec_b64 s[12:13], s[6:7]
	s_xor_b64 s[6:7], exec, s[12:13]
; %bb.6:                                ;   in Loop: Header=BB303_3 Depth=1
	v_mov_b32_e32 v3, v2
	v_mov_b32_e32 v4, v2
	;; [unrolled: 1-line block ×3, first 2 shown]
	ds_write_b128 v30, v[2:5]
; %bb.7:                                ;   in Loop: Header=BB303_3 Depth=1
	s_andn2_saveexec_b64 s[6:7], s[6:7]
	s_cbranch_execz .LBB303_2
; %bb.8:                                ;   in Loop: Header=BB303_3 Depth=1
	global_load_dwordx4 v[3:6], v[9:10], off
	s_waitcnt vmcnt(0)
	ds_write2_b64 v30, v[3:4], v[5:6] offset1:1
	s_branch .LBB303_2
.LBB303_9:
	v_mov_b32_e32 v19, 0
	v_mov_b32_e32 v21, 0
	;; [unrolled: 1-line block ×16, first 2 shown]
.LBB303_10:
	s_load_dwordx2 s[0:1], s[4:5], 0x68
	s_load_dword s6, s[4:5], 0x60
	v_add_u32_e32 v4, s30, v1
	v_add_u32_e32 v0, s9, v0
	v_cmp_gt_i32_e32 vcc, s10, v4
	s_waitcnt lgkmcnt(0)
	s_mul_i32 s1, s1, s8
	s_mul_hi_u32 s2, s0, s8
	s_add_i32 s1, s2, s1
	v_mad_i64_i32 v[1:2], s[2:3], v4, s6, 0
	s_mul_i32 s0, s0, s8
	s_lshl_b64 s[0:1], s[0:1], 4
	s_add_u32 s4, s18, s0
	v_lshlrev_b64 v[1:2], 4, v[1:2]
	s_addc_u32 s5, s19, s1
	v_mov_b32_e32 v3, s5
	v_add_co_u32_e64 v5, s[0:1], s4, v1
	v_addc_co_u32_e64 v6, s[0:1], v3, v2, s[0:1]
	v_cmp_le_i32_e64 s[0:1], v0, v4
	s_and_b64 s[0:1], vcc, s[0:1]
	s_and_saveexec_b64 s[2:3], s[0:1]
	s_cbranch_execz .LBB303_12
; %bb.11:
	v_ashrrev_i32_e32 v1, 31, v0
	v_lshlrev_b64 v[1:2], 4, v[0:1]
	v_mul_f64 v[27:28], s[22:23], v[21:22]
	v_add_co_u32_e64 v1, s[0:1], v5, v1
	v_addc_co_u32_e64 v2, s[0:1], v6, v2, s[0:1]
	global_load_dwordx4 v[7:10], v[1:2], off
	v_mul_f64 v[21:22], s[20:21], v[21:22]
	v_fma_f64 v[27:28], s[20:21], v[19:20], -v[27:28]
	v_fma_f64 v[19:20], s[22:23], v[19:20], v[21:22]
	s_waitcnt vmcnt(0)
	v_mul_f64 v[29:30], s[16:17], v[9:10]
	v_mul_f64 v[9:10], s[14:15], v[9:10]
	v_fma_f64 v[21:22], s[14:15], v[7:8], -v[29:30]
	v_fma_f64 v[9:10], s[16:17], v[7:8], v[9:10]
	v_add_f64 v[7:8], v[27:28], v[21:22]
	v_add_f64 v[9:10], v[19:20], v[9:10]
	global_store_dwordx4 v[1:2], v[7:10], off
.LBB303_12:
	s_or_b64 exec, exec, s[2:3]
	v_add_u32_e32 v2, 16, v0
	v_cmp_le_i32_e64 s[0:1], v2, v4
	s_and_b64 s[2:3], vcc, s[0:1]
	s_and_saveexec_b64 s[0:1], s[2:3]
	s_cbranch_execz .LBB303_14
; %bb.13:
	v_ashrrev_i32_e32 v3, 31, v2
	v_lshlrev_b64 v[7:8], 4, v[2:3]
	v_mul_f64 v[19:20], s[22:23], v[13:14]
	v_add_co_u32_e32 v9, vcc, v5, v7
	v_addc_co_u32_e32 v10, vcc, v6, v8, vcc
	global_load_dwordx4 v[5:8], v[9:10], off
	v_mul_f64 v[13:14], s[20:21], v[13:14]
	v_fma_f64 v[19:20], s[20:21], v[11:12], -v[19:20]
	v_fma_f64 v[11:12], s[22:23], v[11:12], v[13:14]
	s_waitcnt vmcnt(0)
	v_mul_f64 v[21:22], s[16:17], v[7:8]
	v_mul_f64 v[7:8], s[14:15], v[7:8]
	v_fma_f64 v[13:14], s[14:15], v[5:6], -v[21:22]
	v_fma_f64 v[7:8], s[16:17], v[5:6], v[7:8]
	v_add_f64 v[5:6], v[19:20], v[13:14]
	v_add_f64 v[7:8], v[11:12], v[7:8]
	global_store_dwordx4 v[9:10], v[5:8], off
.LBB303_14:
	s_or_b64 exec, exec, s[0:1]
	v_add_u32_e32 v3, 16, v4
	v_mad_i64_i32 v[4:5], s[0:1], v3, s6, 0
	v_mov_b32_e32 v1, s5
	v_cmp_gt_i32_e32 vcc, s10, v3
	v_lshlrev_b64 v[4:5], 4, v[4:5]
	v_add_co_u32_e64 v4, s[0:1], s4, v4
	v_addc_co_u32_e64 v5, s[0:1], v1, v5, s[0:1]
	v_cmp_le_i32_e64 s[0:1], v0, v3
	s_and_b64 s[0:1], vcc, s[0:1]
	s_and_saveexec_b64 s[2:3], s[0:1]
	s_cbranch_execz .LBB303_16
; %bb.15:
	v_ashrrev_i32_e32 v1, 31, v0
	v_lshlrev_b64 v[0:1], 4, v[0:1]
	v_mul_f64 v[10:11], s[22:23], v[17:18]
	v_add_co_u32_e64 v0, s[0:1], v4, v0
	v_addc_co_u32_e64 v1, s[0:1], v5, v1, s[0:1]
	global_load_dwordx4 v[6:9], v[0:1], off
	v_mul_f64 v[12:13], s[20:21], v[17:18]
	v_fma_f64 v[10:11], s[20:21], v[15:16], -v[10:11]
	v_fma_f64 v[12:13], s[22:23], v[15:16], v[12:13]
	s_waitcnt vmcnt(0)
	v_mul_f64 v[17:18], s[16:17], v[8:9]
	v_mul_f64 v[8:9], s[14:15], v[8:9]
	v_fma_f64 v[14:15], s[14:15], v[6:7], -v[17:18]
	v_fma_f64 v[8:9], s[16:17], v[6:7], v[8:9]
	v_add_f64 v[6:7], v[10:11], v[14:15]
	v_add_f64 v[8:9], v[12:13], v[8:9]
	global_store_dwordx4 v[0:1], v[6:9], off
.LBB303_16:
	s_or_b64 exec, exec, s[2:3]
	v_cmp_le_i32_e64 s[0:1], v2, v3
	s_and_b64 s[0:1], vcc, s[0:1]
	s_and_saveexec_b64 s[2:3], s[0:1]
	s_cbranch_execz .LBB303_18
; %bb.17:
	v_ashrrev_i32_e32 v3, 31, v2
	v_lshlrev_b64 v[0:1], 4, v[2:3]
	v_mul_f64 v[6:7], s[22:23], v[25:26]
	v_add_co_u32_e32 v4, vcc, v4, v0
	v_addc_co_u32_e32 v5, vcc, v5, v1, vcc
	global_load_dwordx4 v[0:3], v[4:5], off
	v_mul_f64 v[8:9], s[20:21], v[25:26]
	v_fma_f64 v[6:7], s[20:21], v[23:24], -v[6:7]
	v_fma_f64 v[8:9], s[22:23], v[23:24], v[8:9]
	s_waitcnt vmcnt(0)
	v_mul_f64 v[10:11], s[16:17], v[2:3]
	v_mul_f64 v[2:3], s[14:15], v[2:3]
	v_fma_f64 v[10:11], s[14:15], v[0:1], -v[10:11]
	v_fma_f64 v[2:3], s[16:17], v[0:1], v[2:3]
	v_add_f64 v[0:1], v[6:7], v[10:11]
	v_add_f64 v[2:3], v[8:9], v[2:3]
	global_store_dwordx4 v[4:5], v[0:3], off
.LBB303_18:
	s_endpgm
	.section	.rodata,"a",@progbits
	.p2align	6, 0x0
	.amdhsa_kernel _ZL34rocblas_syrkx_herkx_general_kernelIi19rocblas_complex_numIdELi16ELi32ELi8ELb0ELb0ELc67ELc85EKS1_S1_EviT_T0_PT8_S3_lS6_S3_lS4_PT9_S3_li
		.amdhsa_group_segment_fixed_size 8192
		.amdhsa_private_segment_fixed_size 0
		.amdhsa_kernarg_size 116
		.amdhsa_user_sgpr_count 6
		.amdhsa_user_sgpr_private_segment_buffer 1
		.amdhsa_user_sgpr_dispatch_ptr 0
		.amdhsa_user_sgpr_queue_ptr 0
		.amdhsa_user_sgpr_kernarg_segment_ptr 1
		.amdhsa_user_sgpr_dispatch_id 0
		.amdhsa_user_sgpr_flat_scratch_init 0
		.amdhsa_user_sgpr_private_segment_size 0
		.amdhsa_uses_dynamic_stack 0
		.amdhsa_system_sgpr_private_segment_wavefront_offset 0
		.amdhsa_system_sgpr_workgroup_id_x 1
		.amdhsa_system_sgpr_workgroup_id_y 1
		.amdhsa_system_sgpr_workgroup_id_z 1
		.amdhsa_system_sgpr_workgroup_info 0
		.amdhsa_system_vgpr_workitem_id 1
		.amdhsa_next_free_vgpr 57
		.amdhsa_next_free_sgpr 61
		.amdhsa_reserve_vcc 1
		.amdhsa_reserve_flat_scratch 0
		.amdhsa_float_round_mode_32 0
		.amdhsa_float_round_mode_16_64 0
		.amdhsa_float_denorm_mode_32 3
		.amdhsa_float_denorm_mode_16_64 3
		.amdhsa_dx10_clamp 1
		.amdhsa_ieee_mode 1
		.amdhsa_fp16_overflow 0
		.amdhsa_exception_fp_ieee_invalid_op 0
		.amdhsa_exception_fp_denorm_src 0
		.amdhsa_exception_fp_ieee_div_zero 0
		.amdhsa_exception_fp_ieee_overflow 0
		.amdhsa_exception_fp_ieee_underflow 0
		.amdhsa_exception_fp_ieee_inexact 0
		.amdhsa_exception_int_div_zero 0
	.end_amdhsa_kernel
	.section	.text._ZL34rocblas_syrkx_herkx_general_kernelIi19rocblas_complex_numIdELi16ELi32ELi8ELb0ELb0ELc67ELc85EKS1_S1_EviT_T0_PT8_S3_lS6_S3_lS4_PT9_S3_li,"axG",@progbits,_ZL34rocblas_syrkx_herkx_general_kernelIi19rocblas_complex_numIdELi16ELi32ELi8ELb0ELb0ELc67ELc85EKS1_S1_EviT_T0_PT8_S3_lS6_S3_lS4_PT9_S3_li,comdat
.Lfunc_end303:
	.size	_ZL34rocblas_syrkx_herkx_general_kernelIi19rocblas_complex_numIdELi16ELi32ELi8ELb0ELb0ELc67ELc85EKS1_S1_EviT_T0_PT8_S3_lS6_S3_lS4_PT9_S3_li, .Lfunc_end303-_ZL34rocblas_syrkx_herkx_general_kernelIi19rocblas_complex_numIdELi16ELi32ELi8ELb0ELb0ELc67ELc85EKS1_S1_EviT_T0_PT8_S3_lS6_S3_lS4_PT9_S3_li
                                        ; -- End function
	.set _ZL34rocblas_syrkx_herkx_general_kernelIi19rocblas_complex_numIdELi16ELi32ELi8ELb0ELb0ELc67ELc85EKS1_S1_EviT_T0_PT8_S3_lS6_S3_lS4_PT9_S3_li.num_vgpr, 57
	.set _ZL34rocblas_syrkx_herkx_general_kernelIi19rocblas_complex_numIdELi16ELi32ELi8ELb0ELb0ELc67ELc85EKS1_S1_EviT_T0_PT8_S3_lS6_S3_lS4_PT9_S3_li.num_agpr, 0
	.set _ZL34rocblas_syrkx_herkx_general_kernelIi19rocblas_complex_numIdELi16ELi32ELi8ELb0ELb0ELc67ELc85EKS1_S1_EviT_T0_PT8_S3_lS6_S3_lS4_PT9_S3_li.numbered_sgpr, 32
	.set _ZL34rocblas_syrkx_herkx_general_kernelIi19rocblas_complex_numIdELi16ELi32ELi8ELb0ELb0ELc67ELc85EKS1_S1_EviT_T0_PT8_S3_lS6_S3_lS4_PT9_S3_li.num_named_barrier, 0
	.set _ZL34rocblas_syrkx_herkx_general_kernelIi19rocblas_complex_numIdELi16ELi32ELi8ELb0ELb0ELc67ELc85EKS1_S1_EviT_T0_PT8_S3_lS6_S3_lS4_PT9_S3_li.private_seg_size, 0
	.set _ZL34rocblas_syrkx_herkx_general_kernelIi19rocblas_complex_numIdELi16ELi32ELi8ELb0ELb0ELc67ELc85EKS1_S1_EviT_T0_PT8_S3_lS6_S3_lS4_PT9_S3_li.uses_vcc, 1
	.set _ZL34rocblas_syrkx_herkx_general_kernelIi19rocblas_complex_numIdELi16ELi32ELi8ELb0ELb0ELc67ELc85EKS1_S1_EviT_T0_PT8_S3_lS6_S3_lS4_PT9_S3_li.uses_flat_scratch, 0
	.set _ZL34rocblas_syrkx_herkx_general_kernelIi19rocblas_complex_numIdELi16ELi32ELi8ELb0ELb0ELc67ELc85EKS1_S1_EviT_T0_PT8_S3_lS6_S3_lS4_PT9_S3_li.has_dyn_sized_stack, 0
	.set _ZL34rocblas_syrkx_herkx_general_kernelIi19rocblas_complex_numIdELi16ELi32ELi8ELb0ELb0ELc67ELc85EKS1_S1_EviT_T0_PT8_S3_lS6_S3_lS4_PT9_S3_li.has_recursion, 0
	.set _ZL34rocblas_syrkx_herkx_general_kernelIi19rocblas_complex_numIdELi16ELi32ELi8ELb0ELb0ELc67ELc85EKS1_S1_EviT_T0_PT8_S3_lS6_S3_lS4_PT9_S3_li.has_indirect_call, 0
	.section	.AMDGPU.csdata,"",@progbits
; Kernel info:
; codeLenInByte = 3336
; TotalNumSgprs: 36
; NumVgprs: 57
; ScratchSize: 0
; MemoryBound: 1
; FloatMode: 240
; IeeeMode: 1
; LDSByteSize: 8192 bytes/workgroup (compile time only)
; SGPRBlocks: 8
; VGPRBlocks: 14
; NumSGPRsForWavesPerEU: 65
; NumVGPRsForWavesPerEU: 57
; Occupancy: 4
; WaveLimiterHint : 0
; COMPUTE_PGM_RSRC2:SCRATCH_EN: 0
; COMPUTE_PGM_RSRC2:USER_SGPR: 6
; COMPUTE_PGM_RSRC2:TRAP_HANDLER: 0
; COMPUTE_PGM_RSRC2:TGID_X_EN: 1
; COMPUTE_PGM_RSRC2:TGID_Y_EN: 1
; COMPUTE_PGM_RSRC2:TGID_Z_EN: 1
; COMPUTE_PGM_RSRC2:TIDIG_COMP_CNT: 1
	.section	.text._ZL34rocblas_syrkx_herkx_general_kernelIi19rocblas_complex_numIdELi16ELi32ELi8ELb0ELb0ELc78ELc85EKS1_S1_EviT_T0_PT8_S3_lS6_S3_lS4_PT9_S3_li,"axG",@progbits,_ZL34rocblas_syrkx_herkx_general_kernelIi19rocblas_complex_numIdELi16ELi32ELi8ELb0ELb0ELc78ELc85EKS1_S1_EviT_T0_PT8_S3_lS6_S3_lS4_PT9_S3_li,comdat
	.globl	_ZL34rocblas_syrkx_herkx_general_kernelIi19rocblas_complex_numIdELi16ELi32ELi8ELb0ELb0ELc78ELc85EKS1_S1_EviT_T0_PT8_S3_lS6_S3_lS4_PT9_S3_li ; -- Begin function _ZL34rocblas_syrkx_herkx_general_kernelIi19rocblas_complex_numIdELi16ELi32ELi8ELb0ELb0ELc78ELc85EKS1_S1_EviT_T0_PT8_S3_lS6_S3_lS4_PT9_S3_li
	.p2align	8
	.type	_ZL34rocblas_syrkx_herkx_general_kernelIi19rocblas_complex_numIdELi16ELi32ELi8ELb0ELb0ELc78ELc85EKS1_S1_EviT_T0_PT8_S3_lS6_S3_lS4_PT9_S3_li,@function
_ZL34rocblas_syrkx_herkx_general_kernelIi19rocblas_complex_numIdELi16ELi32ELi8ELb0ELb0ELc78ELc85EKS1_S1_EviT_T0_PT8_S3_lS6_S3_lS4_PT9_S3_li: ; @_ZL34rocblas_syrkx_herkx_general_kernelIi19rocblas_complex_numIdELi16ELi32ELi8ELb0ELb0ELc78ELc85EKS1_S1_EviT_T0_PT8_S3_lS6_S3_lS4_PT9_S3_li
; %bb.0:
	s_load_dwordx2 s[10:11], s[4:5], 0x0
	s_load_dwordx4 s[20:23], s[4:5], 0x8
	s_load_dwordx2 s[28:29], s[4:5], 0x18
	s_load_dwordx8 s[12:19], s[4:5], 0x40
	s_lshl_b32 s9, s6, 5
	s_lshl_b32 s30, s7, 5
	s_waitcnt lgkmcnt(0)
	s_cmp_lt_i32 s11, 1
	s_mov_b32 s31, 0
	s_cbranch_scc1 .LBB304_9
; %bb.1:
	v_lshl_add_u32 v3, v1, 4, v0
	v_and_b32_e32 v6, 31, v3
	s_load_dword s6, s[4:5], 0x20
	s_load_dword s34, s[4:5], 0x38
	s_load_dwordx4 s[24:27], s[4:5], 0x28
	v_lshrrev_b32_e32 v28, 5, v3
	v_lshrrev_b32_e32 v4, 3, v3
	v_or_b32_e32 v3, s9, v6
	v_and_b32_e32 v27, 7, v0
	v_cmp_gt_i32_e64 s[0:1], s10, v3
	v_lshlrev_b32_e32 v3, 4, v6
	v_lshl_or_b32 v29, v28, 9, v3
	v_lshlrev_b32_e32 v3, 4, v27
	v_add_u32_e32 v2, s30, v4
	v_lshl_or_b32 v3, v4, 7, v3
	s_waitcnt lgkmcnt(0)
	v_mad_i64_i32 v[4:5], s[2:3], v28, s6, 0
	s_mul_i32 s2, s25, s8
	s_mul_hi_u32 s3, s24, s8
	v_lshlrev_b64 v[4:5], 4, v[4:5]
	s_add_i32 s3, s3, s2
	s_mul_i32 s2, s24, s8
	v_mov_b32_e32 v7, 0x1000
	s_lshl_b64 s[2:3], s[2:3], 4
	v_lshl_add_u32 v32, v1, 7, v7
	v_mov_b32_e32 v7, s3
	v_add_co_u32_e64 v8, s[2:3], s2, v4
	v_add_u32_e32 v4, s9, v6
	v_addc_co_u32_e64 v7, s[2:3], v5, v7, s[2:3]
	v_ashrrev_i32_e32 v5, 31, v4
	v_lshlrev_b64 v[4:5], 4, v[4:5]
	v_mov_b32_e32 v6, s29
	v_add_co_u32_e64 v4, s[2:3], v8, v4
	v_addc_co_u32_e64 v5, s[2:3], v7, v5, s[2:3]
	v_add_co_u32_e64 v7, s[2:3], s28, v4
	v_addc_co_u32_e64 v8, s[2:3], v6, v5, s[2:3]
	v_mad_i64_i32 v[4:5], s[2:3], s34, v27, 0
	s_mul_i32 s13, s13, s8
	s_mul_hi_u32 s24, s12, s8
	s_add_i32 s3, s24, s13
	s_mul_i32 s2, s12, s8
	v_lshlrev_b64 v[4:5], 4, v[4:5]
	v_add_u32_e32 v30, 0x1000, v3
	v_ashrrev_i32_e32 v3, 31, v2
	s_lshl_b64 s[2:3], s[2:3], 4
	v_cmp_gt_i32_e32 vcc, s10, v2
	v_mov_b32_e32 v6, s3
	v_add_co_u32_e64 v4, s[2:3], s2, v4
	v_lshlrev_b64 v[2:3], 4, v[2:3]
	v_addc_co_u32_e64 v5, s[2:3], v6, v5, s[2:3]
	v_add_co_u32_e64 v2, s[2:3], v4, v2
	v_addc_co_u32_e64 v3, s[2:3], v5, v3, s[2:3]
	v_mov_b32_e32 v4, s27
	v_add_co_u32_e64 v2, s[2:3], s26, v2
	v_addc_co_u32_e64 v3, s[2:3], v4, v3, s[2:3]
	v_add_co_u32_e64 v9, s[2:3], 8, v2
	s_ashr_i32 s7, s6, 31
	s_ashr_i32 s35, s34, 31
	v_addc_co_u32_e64 v10, s[2:3], 0, v3, s[2:3]
	s_lshl_b64 s[6:7], s[6:7], 7
	s_lshl_b64 s[2:3], s[34:35], 7
	v_mov_b32_e32 v25, 0
	v_mov_b32_e32 v23, 0
	;; [unrolled: 1-line block ×8, first 2 shown]
	v_lshlrev_b32_e32 v31, 4, v0
	v_mov_b32_e32 v26, 0
	s_xor_b64 s[12:13], s[0:1], -1
	v_mov_b32_e32 v33, s7
	v_mov_b32_e32 v34, s3
	;; [unrolled: 1-line block ×10, first 2 shown]
	s_branch .LBB304_3
.LBB304_2:                              ;   in Loop: Header=BB304_3 Depth=1
	s_or_b64 exec, exec, s[0:1]
	s_waitcnt vmcnt(0)
	ds_write_b128 v30, v[3:6]
	s_waitcnt lgkmcnt(0)
	s_barrier
	ds_read_b128 v[3:6], v32
	ds_read_b128 v[35:38], v32 offset:16
	ds_read_b128 v[39:42], v32 offset:32
	;; [unrolled: 1-line block ×3, first 2 shown]
	ds_read_b128 v[47:50], v31
	v_add_co_u32_e64 v7, s[0:1], s6, v7
	v_addc_co_u32_e64 v8, s[0:1], v8, v33, s[0:1]
	s_waitcnt lgkmcnt(0)
	v_mul_f64 v[51:52], v[5:6], v[49:50]
	v_mul_f64 v[53:54], v[3:4], v[49:50]
	s_add_i32 s31, s31, 8
	v_add_co_u32_e64 v9, s[0:1], s2, v9
	v_addc_co_u32_e64 v10, s[0:1], v10, v34, s[0:1]
	s_cmp_ge_i32 s31, s11
	v_fma_f64 v[51:52], v[3:4], v[47:48], -v[51:52]
	v_fma_f64 v[53:54], v[5:6], v[47:48], v[53:54]
	v_add_f64 v[51:52], v[19:20], v[51:52]
	v_add_f64 v[53:54], v[53:54], v[21:22]
	ds_read_b128 v[19:22], v31 offset:256
	s_waitcnt lgkmcnt(0)
	v_mul_f64 v[55:56], v[5:6], v[21:22]
	v_fma_f64 v[55:56], v[3:4], v[19:20], -v[55:56]
	v_mul_f64 v[3:4], v[3:4], v[21:22]
	v_add_f64 v[55:56], v[11:12], v[55:56]
	v_fma_f64 v[3:4], v[5:6], v[19:20], v[3:4]
	v_add_f64 v[57:58], v[3:4], v[13:14]
	ds_read_b128 v[3:6], v32 offset:2048
	s_waitcnt lgkmcnt(0)
	v_mul_f64 v[11:12], v[5:6], v[49:50]
	v_mul_f64 v[13:14], v[3:4], v[49:50]
	v_fma_f64 v[11:12], v[3:4], v[47:48], -v[11:12]
	v_fma_f64 v[13:14], v[5:6], v[47:48], v[13:14]
	v_add_f64 v[47:48], v[15:16], v[11:12]
	v_mul_f64 v[11:12], v[5:6], v[21:22]
	v_add_f64 v[49:50], v[13:14], v[17:18]
	v_fma_f64 v[11:12], v[3:4], v[19:20], -v[11:12]
	v_mul_f64 v[3:4], v[3:4], v[21:22]
	v_fma_f64 v[3:4], v[5:6], v[19:20], v[3:4]
	v_add_f64 v[19:20], v[23:24], v[11:12]
	v_add_f64 v[21:22], v[3:4], v[25:26]
	ds_read_b128 v[3:6], v31 offset:512
	s_waitcnt lgkmcnt(0)
	v_mul_f64 v[11:12], v[37:38], v[5:6]
	v_mul_f64 v[13:14], v[35:36], v[5:6]
	v_fma_f64 v[11:12], v[35:36], v[3:4], -v[11:12]
	v_fma_f64 v[13:14], v[37:38], v[3:4], v[13:14]
	v_add_f64 v[23:24], v[51:52], v[11:12]
	v_add_f64 v[25:26], v[13:14], v[53:54]
	ds_read_b128 v[11:14], v31 offset:768
	s_waitcnt lgkmcnt(0)
	v_mul_f64 v[15:16], v[37:38], v[13:14]
	v_mul_f64 v[17:18], v[35:36], v[13:14]
	v_fma_f64 v[15:16], v[35:36], v[11:12], -v[15:16]
	;; [unrolled: 8-line block ×3, first 2 shown]
	v_fma_f64 v[3:4], v[17:18], v[3:4], v[5:6]
	v_mul_f64 v[5:6], v[15:16], v[13:14]
	v_add_f64 v[47:48], v[47:48], v[51:52]
	v_add_f64 v[49:50], v[3:4], v[49:50]
	v_mul_f64 v[3:4], v[17:18], v[13:14]
	v_fma_f64 v[5:6], v[17:18], v[11:12], v[5:6]
	v_fma_f64 v[3:4], v[15:16], v[11:12], -v[3:4]
	v_add_f64 v[21:22], v[5:6], v[21:22]
	v_add_f64 v[19:20], v[19:20], v[3:4]
	ds_read_b128 v[3:6], v31 offset:1024
	s_waitcnt lgkmcnt(0)
	v_mul_f64 v[11:12], v[41:42], v[5:6]
	v_mul_f64 v[13:14], v[39:40], v[5:6]
	v_fma_f64 v[11:12], v[39:40], v[3:4], -v[11:12]
	v_fma_f64 v[13:14], v[41:42], v[3:4], v[13:14]
	v_add_f64 v[23:24], v[23:24], v[11:12]
	v_add_f64 v[25:26], v[13:14], v[25:26]
	ds_read_b128 v[11:14], v31 offset:1280
	s_waitcnt lgkmcnt(0)
	v_mul_f64 v[15:16], v[41:42], v[13:14]
	v_mul_f64 v[17:18], v[39:40], v[13:14]
	v_fma_f64 v[15:16], v[39:40], v[11:12], -v[15:16]
	v_fma_f64 v[17:18], v[41:42], v[11:12], v[17:18]
	;; [unrolled: 8-line block ×3, first 2 shown]
	v_mul_f64 v[5:6], v[15:16], v[13:14]
	v_add_f64 v[39:40], v[47:48], v[39:40]
	v_add_f64 v[41:42], v[3:4], v[49:50]
	v_mul_f64 v[3:4], v[17:18], v[13:14]
	v_fma_f64 v[5:6], v[17:18], v[11:12], v[5:6]
	v_fma_f64 v[3:4], v[15:16], v[11:12], -v[3:4]
	v_add_f64 v[21:22], v[5:6], v[21:22]
	v_add_f64 v[19:20], v[19:20], v[3:4]
	ds_read_b128 v[3:6], v31 offset:1536
	s_waitcnt lgkmcnt(0)
	v_mul_f64 v[11:12], v[45:46], v[5:6]
	v_mul_f64 v[13:14], v[43:44], v[5:6]
	v_fma_f64 v[11:12], v[43:44], v[3:4], -v[11:12]
	v_fma_f64 v[13:14], v[45:46], v[3:4], v[13:14]
	v_add_f64 v[23:24], v[23:24], v[11:12]
	v_add_f64 v[25:26], v[13:14], v[25:26]
	ds_read_b128 v[11:14], v31 offset:1792
	s_waitcnt lgkmcnt(0)
	v_mul_f64 v[15:16], v[45:46], v[13:14]
	v_mul_f64 v[17:18], v[43:44], v[13:14]
	v_fma_f64 v[15:16], v[43:44], v[11:12], -v[15:16]
	v_fma_f64 v[17:18], v[45:46], v[11:12], v[17:18]
	;; [unrolled: 8-line block ×3, first 2 shown]
	v_mul_f64 v[5:6], v[15:16], v[13:14]
	v_add_f64 v[39:40], v[39:40], v[43:44]
	v_add_f64 v[41:42], v[3:4], v[41:42]
	v_mul_f64 v[3:4], v[17:18], v[13:14]
	v_fma_f64 v[5:6], v[17:18], v[11:12], v[5:6]
	v_fma_f64 v[3:4], v[15:16], v[11:12], -v[3:4]
	v_add_f64 v[21:22], v[5:6], v[21:22]
	v_add_f64 v[19:20], v[19:20], v[3:4]
	ds_read_b128 v[3:6], v32 offset:64
	ds_read_b128 v[11:14], v31 offset:2048
	s_waitcnt lgkmcnt(0)
	v_mul_f64 v[15:16], v[5:6], v[13:14]
	v_mul_f64 v[17:18], v[3:4], v[13:14]
	v_fma_f64 v[15:16], v[3:4], v[11:12], -v[15:16]
	v_fma_f64 v[17:18], v[5:6], v[11:12], v[17:18]
	v_add_f64 v[23:24], v[23:24], v[15:16]
	v_add_f64 v[25:26], v[17:18], v[25:26]
	ds_read_b128 v[15:18], v31 offset:2304
	s_waitcnt lgkmcnt(0)
	v_mul_f64 v[43:44], v[5:6], v[17:18]
	v_fma_f64 v[43:44], v[3:4], v[15:16], -v[43:44]
	v_mul_f64 v[3:4], v[3:4], v[17:18]
	v_add_f64 v[35:36], v[35:36], v[43:44]
	v_fma_f64 v[3:4], v[5:6], v[15:16], v[3:4]
	v_add_f64 v[37:38], v[3:4], v[37:38]
	ds_read_b128 v[3:6], v32 offset:2112
	s_waitcnt lgkmcnt(0)
	v_mul_f64 v[43:44], v[5:6], v[13:14]
	v_mul_f64 v[13:14], v[3:4], v[13:14]
	v_fma_f64 v[43:44], v[3:4], v[11:12], -v[43:44]
	v_fma_f64 v[11:12], v[5:6], v[11:12], v[13:14]
	v_add_f64 v[39:40], v[39:40], v[43:44]
	v_add_f64 v[41:42], v[11:12], v[41:42]
	v_mul_f64 v[11:12], v[5:6], v[17:18]
	v_fma_f64 v[11:12], v[3:4], v[15:16], -v[11:12]
	v_mul_f64 v[3:4], v[3:4], v[17:18]
	v_add_f64 v[19:20], v[19:20], v[11:12]
	v_fma_f64 v[3:4], v[5:6], v[15:16], v[3:4]
	v_add_f64 v[21:22], v[3:4], v[21:22]
	ds_read_b128 v[3:6], v32 offset:80
	ds_read_b128 v[11:14], v31 offset:2560
	s_waitcnt lgkmcnt(0)
	v_mul_f64 v[15:16], v[5:6], v[13:14]
	v_mul_f64 v[17:18], v[3:4], v[13:14]
	v_fma_f64 v[15:16], v[3:4], v[11:12], -v[15:16]
	v_fma_f64 v[17:18], v[5:6], v[11:12], v[17:18]
	v_add_f64 v[23:24], v[23:24], v[15:16]
	v_add_f64 v[25:26], v[17:18], v[25:26]
	ds_read_b128 v[15:18], v31 offset:2816
	s_waitcnt lgkmcnt(0)
	v_mul_f64 v[43:44], v[5:6], v[17:18]
	v_fma_f64 v[43:44], v[3:4], v[15:16], -v[43:44]
	v_mul_f64 v[3:4], v[3:4], v[17:18]
	v_add_f64 v[35:36], v[35:36], v[43:44]
	v_fma_f64 v[3:4], v[5:6], v[15:16], v[3:4]
	v_add_f64 v[37:38], v[3:4], v[37:38]
	ds_read_b128 v[3:6], v32 offset:2128
	s_waitcnt lgkmcnt(0)
	v_mul_f64 v[43:44], v[5:6], v[13:14]
	v_mul_f64 v[13:14], v[3:4], v[13:14]
	v_fma_f64 v[43:44], v[3:4], v[11:12], -v[43:44]
	v_fma_f64 v[11:12], v[5:6], v[11:12], v[13:14]
	v_add_f64 v[39:40], v[39:40], v[43:44]
	v_add_f64 v[41:42], v[11:12], v[41:42]
	v_mul_f64 v[11:12], v[5:6], v[17:18]
	v_fma_f64 v[11:12], v[3:4], v[15:16], -v[11:12]
	v_mul_f64 v[3:4], v[3:4], v[17:18]
	v_add_f64 v[19:20], v[19:20], v[11:12]
	v_fma_f64 v[3:4], v[5:6], v[15:16], v[3:4]
	v_add_f64 v[21:22], v[3:4], v[21:22]
	ds_read_b128 v[3:6], v32 offset:96
	ds_read_b128 v[11:14], v31 offset:3072
	s_waitcnt lgkmcnt(0)
	v_mul_f64 v[15:16], v[5:6], v[13:14]
	v_mul_f64 v[17:18], v[3:4], v[13:14]
	v_fma_f64 v[15:16], v[3:4], v[11:12], -v[15:16]
	v_fma_f64 v[17:18], v[5:6], v[11:12], v[17:18]
	v_add_f64 v[23:24], v[23:24], v[15:16]
	v_add_f64 v[25:26], v[17:18], v[25:26]
	ds_read_b128 v[15:18], v31 offset:3328
	s_waitcnt lgkmcnt(0)
	v_mul_f64 v[43:44], v[5:6], v[17:18]
	v_fma_f64 v[43:44], v[3:4], v[15:16], -v[43:44]
	v_mul_f64 v[3:4], v[3:4], v[17:18]
	v_add_f64 v[35:36], v[35:36], v[43:44]
	v_fma_f64 v[3:4], v[5:6], v[15:16], v[3:4]
	v_add_f64 v[37:38], v[3:4], v[37:38]
	ds_read_b128 v[3:6], v32 offset:2144
	s_waitcnt lgkmcnt(0)
	v_mul_f64 v[43:44], v[5:6], v[13:14]
	v_mul_f64 v[13:14], v[3:4], v[13:14]
	v_fma_f64 v[43:44], v[3:4], v[11:12], -v[43:44]
	v_fma_f64 v[11:12], v[5:6], v[11:12], v[13:14]
	v_add_f64 v[39:40], v[39:40], v[43:44]
	v_add_f64 v[41:42], v[11:12], v[41:42]
	v_mul_f64 v[11:12], v[5:6], v[17:18]
	v_fma_f64 v[11:12], v[3:4], v[15:16], -v[11:12]
	v_mul_f64 v[3:4], v[3:4], v[17:18]
	v_add_f64 v[43:44], v[19:20], v[11:12]
	v_fma_f64 v[3:4], v[5:6], v[15:16], v[3:4]
	v_add_f64 v[45:46], v[3:4], v[21:22]
	ds_read_b128 v[3:6], v32 offset:112
	ds_read_b128 v[15:18], v31 offset:3584
	s_waitcnt lgkmcnt(0)
	v_mul_f64 v[11:12], v[5:6], v[17:18]
	v_mul_f64 v[13:14], v[3:4], v[17:18]
	v_fma_f64 v[11:12], v[3:4], v[15:16], -v[11:12]
	v_fma_f64 v[13:14], v[5:6], v[15:16], v[13:14]
	v_add_f64 v[19:20], v[23:24], v[11:12]
	v_add_f64 v[21:22], v[13:14], v[25:26]
	ds_read_b128 v[23:26], v31 offset:3840
	s_waitcnt lgkmcnt(0)
	v_mul_f64 v[11:12], v[5:6], v[25:26]
	v_fma_f64 v[11:12], v[3:4], v[23:24], -v[11:12]
	v_mul_f64 v[3:4], v[3:4], v[25:26]
	v_add_f64 v[11:12], v[35:36], v[11:12]
	v_fma_f64 v[3:4], v[5:6], v[23:24], v[3:4]
	v_add_f64 v[13:14], v[3:4], v[37:38]
	ds_read_b128 v[3:6], v32 offset:2160
	s_waitcnt lgkmcnt(0)
	s_barrier
	v_mul_f64 v[35:36], v[5:6], v[17:18]
	v_mul_f64 v[17:18], v[3:4], v[17:18]
	v_fma_f64 v[35:36], v[3:4], v[15:16], -v[35:36]
	v_fma_f64 v[17:18], v[5:6], v[15:16], v[17:18]
	v_add_f64 v[15:16], v[39:40], v[35:36]
	v_mul_f64 v[35:36], v[5:6], v[25:26]
	v_add_f64 v[17:18], v[17:18], v[41:42]
	v_fma_f64 v[35:36], v[3:4], v[23:24], -v[35:36]
	v_mul_f64 v[3:4], v[3:4], v[25:26]
	v_fma_f64 v[3:4], v[5:6], v[23:24], v[3:4]
	v_add_f64 v[23:24], v[43:44], v[35:36]
	v_add_f64 v[25:26], v[3:4], v[45:46]
	s_cbranch_scc1 .LBB304_10
.LBB304_3:                              ; =>This Inner Loop Header: Depth=1
	v_add_u32_e32 v3, s31, v28
	v_cmp_le_i32_e64 s[0:1], s11, v3
	s_or_b64 s[0:1], s[12:13], s[0:1]
	s_and_saveexec_b64 s[24:25], s[0:1]
	s_xor_b64 s[0:1], exec, s[24:25]
; %bb.4:                                ;   in Loop: Header=BB304_3 Depth=1
	v_mov_b32_e32 v3, v2
	v_mov_b32_e32 v4, v2
	;; [unrolled: 1-line block ×3, first 2 shown]
	ds_write_b128 v29, v[2:5]
; %bb.5:                                ;   in Loop: Header=BB304_3 Depth=1
	s_andn2_saveexec_b64 s[0:1], s[0:1]
	s_cbranch_execz .LBB304_7
; %bb.6:                                ;   in Loop: Header=BB304_3 Depth=1
	global_load_dwordx4 v[3:6], v[7:8], off
	s_waitcnt vmcnt(0)
	ds_write2_b64 v29, v[3:4], v[5:6] offset1:1
.LBB304_7:                              ;   in Loop: Header=BB304_3 Depth=1
	s_or_b64 exec, exec, s[0:1]
	v_add_u32_e32 v3, s31, v27
	v_cmp_gt_i32_e64 s[0:1], s11, v3
	v_mov_b32_e32 v3, 0
	v_mov_b32_e32 v5, 0
	;; [unrolled: 1-line block ×4, first 2 shown]
	s_and_b64 s[24:25], s[0:1], vcc
	s_and_saveexec_b64 s[0:1], s[24:25]
	s_cbranch_execz .LBB304_2
; %bb.8:                                ;   in Loop: Header=BB304_3 Depth=1
	global_load_dwordx4 v[3:6], v[9:10], off offset:-8
	s_branch .LBB304_2
.LBB304_9:
	v_mov_b32_e32 v19, 0
	v_mov_b32_e32 v21, 0
	;; [unrolled: 1-line block ×16, first 2 shown]
.LBB304_10:
	s_load_dwordx2 s[0:1], s[4:5], 0x68
	s_load_dword s6, s[4:5], 0x60
	v_add_u32_e32 v4, s30, v1
	v_add_u32_e32 v0, s9, v0
	v_cmp_gt_i32_e32 vcc, s10, v4
	s_waitcnt lgkmcnt(0)
	s_mul_i32 s1, s1, s8
	s_mul_hi_u32 s2, s0, s8
	s_add_i32 s1, s2, s1
	v_mad_i64_i32 v[1:2], s[2:3], v4, s6, 0
	s_mul_i32 s0, s0, s8
	s_lshl_b64 s[0:1], s[0:1], 4
	s_add_u32 s4, s18, s0
	v_lshlrev_b64 v[1:2], 4, v[1:2]
	s_addc_u32 s5, s19, s1
	v_mov_b32_e32 v3, s5
	v_add_co_u32_e64 v5, s[0:1], s4, v1
	v_addc_co_u32_e64 v6, s[0:1], v3, v2, s[0:1]
	v_cmp_le_i32_e64 s[0:1], v0, v4
	s_and_b64 s[0:1], vcc, s[0:1]
	s_and_saveexec_b64 s[2:3], s[0:1]
	s_cbranch_execz .LBB304_12
; %bb.11:
	v_ashrrev_i32_e32 v1, 31, v0
	v_lshlrev_b64 v[1:2], 4, v[0:1]
	v_mul_f64 v[27:28], s[22:23], v[21:22]
	v_add_co_u32_e64 v1, s[0:1], v5, v1
	v_addc_co_u32_e64 v2, s[0:1], v6, v2, s[0:1]
	global_load_dwordx4 v[7:10], v[1:2], off
	v_mul_f64 v[21:22], s[20:21], v[21:22]
	v_fma_f64 v[27:28], s[20:21], v[19:20], -v[27:28]
	v_fma_f64 v[19:20], s[22:23], v[19:20], v[21:22]
	s_waitcnt vmcnt(0)
	v_mul_f64 v[29:30], s[16:17], v[9:10]
	v_mul_f64 v[9:10], s[14:15], v[9:10]
	v_fma_f64 v[21:22], s[14:15], v[7:8], -v[29:30]
	v_fma_f64 v[9:10], s[16:17], v[7:8], v[9:10]
	v_add_f64 v[7:8], v[27:28], v[21:22]
	v_add_f64 v[9:10], v[19:20], v[9:10]
	global_store_dwordx4 v[1:2], v[7:10], off
.LBB304_12:
	s_or_b64 exec, exec, s[2:3]
	v_add_u32_e32 v2, 16, v0
	v_cmp_le_i32_e64 s[0:1], v2, v4
	s_and_b64 s[2:3], vcc, s[0:1]
	s_and_saveexec_b64 s[0:1], s[2:3]
	s_cbranch_execz .LBB304_14
; %bb.13:
	v_ashrrev_i32_e32 v3, 31, v2
	v_lshlrev_b64 v[7:8], 4, v[2:3]
	v_mul_f64 v[19:20], s[22:23], v[13:14]
	v_add_co_u32_e32 v9, vcc, v5, v7
	v_addc_co_u32_e32 v10, vcc, v6, v8, vcc
	global_load_dwordx4 v[5:8], v[9:10], off
	v_mul_f64 v[13:14], s[20:21], v[13:14]
	v_fma_f64 v[19:20], s[20:21], v[11:12], -v[19:20]
	v_fma_f64 v[11:12], s[22:23], v[11:12], v[13:14]
	s_waitcnt vmcnt(0)
	v_mul_f64 v[21:22], s[16:17], v[7:8]
	v_mul_f64 v[7:8], s[14:15], v[7:8]
	v_fma_f64 v[13:14], s[14:15], v[5:6], -v[21:22]
	v_fma_f64 v[7:8], s[16:17], v[5:6], v[7:8]
	v_add_f64 v[5:6], v[19:20], v[13:14]
	v_add_f64 v[7:8], v[11:12], v[7:8]
	global_store_dwordx4 v[9:10], v[5:8], off
.LBB304_14:
	s_or_b64 exec, exec, s[0:1]
	v_add_u32_e32 v3, 16, v4
	v_mad_i64_i32 v[4:5], s[0:1], v3, s6, 0
	v_mov_b32_e32 v1, s5
	v_cmp_gt_i32_e32 vcc, s10, v3
	v_lshlrev_b64 v[4:5], 4, v[4:5]
	v_add_co_u32_e64 v4, s[0:1], s4, v4
	v_addc_co_u32_e64 v5, s[0:1], v1, v5, s[0:1]
	v_cmp_le_i32_e64 s[0:1], v0, v3
	s_and_b64 s[0:1], vcc, s[0:1]
	s_and_saveexec_b64 s[2:3], s[0:1]
	s_cbranch_execz .LBB304_16
; %bb.15:
	v_ashrrev_i32_e32 v1, 31, v0
	v_lshlrev_b64 v[0:1], 4, v[0:1]
	v_mul_f64 v[10:11], s[22:23], v[17:18]
	v_add_co_u32_e64 v0, s[0:1], v4, v0
	v_addc_co_u32_e64 v1, s[0:1], v5, v1, s[0:1]
	global_load_dwordx4 v[6:9], v[0:1], off
	v_mul_f64 v[12:13], s[20:21], v[17:18]
	v_fma_f64 v[10:11], s[20:21], v[15:16], -v[10:11]
	v_fma_f64 v[12:13], s[22:23], v[15:16], v[12:13]
	s_waitcnt vmcnt(0)
	v_mul_f64 v[17:18], s[16:17], v[8:9]
	v_mul_f64 v[8:9], s[14:15], v[8:9]
	v_fma_f64 v[14:15], s[14:15], v[6:7], -v[17:18]
	v_fma_f64 v[8:9], s[16:17], v[6:7], v[8:9]
	v_add_f64 v[6:7], v[10:11], v[14:15]
	v_add_f64 v[8:9], v[12:13], v[8:9]
	global_store_dwordx4 v[0:1], v[6:9], off
.LBB304_16:
	s_or_b64 exec, exec, s[2:3]
	v_cmp_le_i32_e64 s[0:1], v2, v3
	s_and_b64 s[0:1], vcc, s[0:1]
	s_and_saveexec_b64 s[2:3], s[0:1]
	s_cbranch_execz .LBB304_18
; %bb.17:
	v_ashrrev_i32_e32 v3, 31, v2
	v_lshlrev_b64 v[0:1], 4, v[2:3]
	v_mul_f64 v[6:7], s[22:23], v[25:26]
	v_add_co_u32_e32 v4, vcc, v4, v0
	v_addc_co_u32_e32 v5, vcc, v5, v1, vcc
	global_load_dwordx4 v[0:3], v[4:5], off
	v_mul_f64 v[8:9], s[20:21], v[25:26]
	v_fma_f64 v[6:7], s[20:21], v[23:24], -v[6:7]
	v_fma_f64 v[8:9], s[22:23], v[23:24], v[8:9]
	s_waitcnt vmcnt(0)
	v_mul_f64 v[10:11], s[16:17], v[2:3]
	v_mul_f64 v[2:3], s[14:15], v[2:3]
	v_fma_f64 v[10:11], s[14:15], v[0:1], -v[10:11]
	v_fma_f64 v[2:3], s[16:17], v[0:1], v[2:3]
	v_add_f64 v[0:1], v[6:7], v[10:11]
	v_add_f64 v[2:3], v[8:9], v[2:3]
	global_store_dwordx4 v[4:5], v[0:3], off
.LBB304_18:
	s_endpgm
	.section	.rodata,"a",@progbits
	.p2align	6, 0x0
	.amdhsa_kernel _ZL34rocblas_syrkx_herkx_general_kernelIi19rocblas_complex_numIdELi16ELi32ELi8ELb0ELb0ELc78ELc85EKS1_S1_EviT_T0_PT8_S3_lS6_S3_lS4_PT9_S3_li
		.amdhsa_group_segment_fixed_size 8192
		.amdhsa_private_segment_fixed_size 0
		.amdhsa_kernarg_size 116
		.amdhsa_user_sgpr_count 6
		.amdhsa_user_sgpr_private_segment_buffer 1
		.amdhsa_user_sgpr_dispatch_ptr 0
		.amdhsa_user_sgpr_queue_ptr 0
		.amdhsa_user_sgpr_kernarg_segment_ptr 1
		.amdhsa_user_sgpr_dispatch_id 0
		.amdhsa_user_sgpr_flat_scratch_init 0
		.amdhsa_user_sgpr_private_segment_size 0
		.amdhsa_uses_dynamic_stack 0
		.amdhsa_system_sgpr_private_segment_wavefront_offset 0
		.amdhsa_system_sgpr_workgroup_id_x 1
		.amdhsa_system_sgpr_workgroup_id_y 1
		.amdhsa_system_sgpr_workgroup_id_z 1
		.amdhsa_system_sgpr_workgroup_info 0
		.amdhsa_system_vgpr_workitem_id 1
		.amdhsa_next_free_vgpr 59
		.amdhsa_next_free_sgpr 61
		.amdhsa_reserve_vcc 1
		.amdhsa_reserve_flat_scratch 0
		.amdhsa_float_round_mode_32 0
		.amdhsa_float_round_mode_16_64 0
		.amdhsa_float_denorm_mode_32 3
		.amdhsa_float_denorm_mode_16_64 3
		.amdhsa_dx10_clamp 1
		.amdhsa_ieee_mode 1
		.amdhsa_fp16_overflow 0
		.amdhsa_exception_fp_ieee_invalid_op 0
		.amdhsa_exception_fp_denorm_src 0
		.amdhsa_exception_fp_ieee_div_zero 0
		.amdhsa_exception_fp_ieee_overflow 0
		.amdhsa_exception_fp_ieee_underflow 0
		.amdhsa_exception_fp_ieee_inexact 0
		.amdhsa_exception_int_div_zero 0
	.end_amdhsa_kernel
	.section	.text._ZL34rocblas_syrkx_herkx_general_kernelIi19rocblas_complex_numIdELi16ELi32ELi8ELb0ELb0ELc78ELc85EKS1_S1_EviT_T0_PT8_S3_lS6_S3_lS4_PT9_S3_li,"axG",@progbits,_ZL34rocblas_syrkx_herkx_general_kernelIi19rocblas_complex_numIdELi16ELi32ELi8ELb0ELb0ELc78ELc85EKS1_S1_EviT_T0_PT8_S3_lS6_S3_lS4_PT9_S3_li,comdat
.Lfunc_end304:
	.size	_ZL34rocblas_syrkx_herkx_general_kernelIi19rocblas_complex_numIdELi16ELi32ELi8ELb0ELb0ELc78ELc85EKS1_S1_EviT_T0_PT8_S3_lS6_S3_lS4_PT9_S3_li, .Lfunc_end304-_ZL34rocblas_syrkx_herkx_general_kernelIi19rocblas_complex_numIdELi16ELi32ELi8ELb0ELb0ELc78ELc85EKS1_S1_EviT_T0_PT8_S3_lS6_S3_lS4_PT9_S3_li
                                        ; -- End function
	.set _ZL34rocblas_syrkx_herkx_general_kernelIi19rocblas_complex_numIdELi16ELi32ELi8ELb0ELb0ELc78ELc85EKS1_S1_EviT_T0_PT8_S3_lS6_S3_lS4_PT9_S3_li.num_vgpr, 59
	.set _ZL34rocblas_syrkx_herkx_general_kernelIi19rocblas_complex_numIdELi16ELi32ELi8ELb0ELb0ELc78ELc85EKS1_S1_EviT_T0_PT8_S3_lS6_S3_lS4_PT9_S3_li.num_agpr, 0
	.set _ZL34rocblas_syrkx_herkx_general_kernelIi19rocblas_complex_numIdELi16ELi32ELi8ELb0ELb0ELc78ELc85EKS1_S1_EviT_T0_PT8_S3_lS6_S3_lS4_PT9_S3_li.numbered_sgpr, 36
	.set _ZL34rocblas_syrkx_herkx_general_kernelIi19rocblas_complex_numIdELi16ELi32ELi8ELb0ELb0ELc78ELc85EKS1_S1_EviT_T0_PT8_S3_lS6_S3_lS4_PT9_S3_li.num_named_barrier, 0
	.set _ZL34rocblas_syrkx_herkx_general_kernelIi19rocblas_complex_numIdELi16ELi32ELi8ELb0ELb0ELc78ELc85EKS1_S1_EviT_T0_PT8_S3_lS6_S3_lS4_PT9_S3_li.private_seg_size, 0
	.set _ZL34rocblas_syrkx_herkx_general_kernelIi19rocblas_complex_numIdELi16ELi32ELi8ELb0ELb0ELc78ELc85EKS1_S1_EviT_T0_PT8_S3_lS6_S3_lS4_PT9_S3_li.uses_vcc, 1
	.set _ZL34rocblas_syrkx_herkx_general_kernelIi19rocblas_complex_numIdELi16ELi32ELi8ELb0ELb0ELc78ELc85EKS1_S1_EviT_T0_PT8_S3_lS6_S3_lS4_PT9_S3_li.uses_flat_scratch, 0
	.set _ZL34rocblas_syrkx_herkx_general_kernelIi19rocblas_complex_numIdELi16ELi32ELi8ELb0ELb0ELc78ELc85EKS1_S1_EviT_T0_PT8_S3_lS6_S3_lS4_PT9_S3_li.has_dyn_sized_stack, 0
	.set _ZL34rocblas_syrkx_herkx_general_kernelIi19rocblas_complex_numIdELi16ELi32ELi8ELb0ELb0ELc78ELc85EKS1_S1_EviT_T0_PT8_S3_lS6_S3_lS4_PT9_S3_li.has_recursion, 0
	.set _ZL34rocblas_syrkx_herkx_general_kernelIi19rocblas_complex_numIdELi16ELi32ELi8ELb0ELb0ELc78ELc85EKS1_S1_EviT_T0_PT8_S3_lS6_S3_lS4_PT9_S3_li.has_indirect_call, 0
	.section	.AMDGPU.csdata,"",@progbits
; Kernel info:
; codeLenInByte = 3396
; TotalNumSgprs: 40
; NumVgprs: 59
; ScratchSize: 0
; MemoryBound: 1
; FloatMode: 240
; IeeeMode: 1
; LDSByteSize: 8192 bytes/workgroup (compile time only)
; SGPRBlocks: 8
; VGPRBlocks: 14
; NumSGPRsForWavesPerEU: 65
; NumVGPRsForWavesPerEU: 59
; Occupancy: 4
; WaveLimiterHint : 0
; COMPUTE_PGM_RSRC2:SCRATCH_EN: 0
; COMPUTE_PGM_RSRC2:USER_SGPR: 6
; COMPUTE_PGM_RSRC2:TRAP_HANDLER: 0
; COMPUTE_PGM_RSRC2:TGID_X_EN: 1
; COMPUTE_PGM_RSRC2:TGID_Y_EN: 1
; COMPUTE_PGM_RSRC2:TGID_Z_EN: 1
; COMPUTE_PGM_RSRC2:TIDIG_COMP_CNT: 1
	.section	.text._ZL26rocblas_syr2k_scale_kernelIiLi128ELi8ELb0E19rocblas_complex_numIdES1_PS1_EvbiT_T3_T4_T5_S3_li,"axG",@progbits,_ZL26rocblas_syr2k_scale_kernelIiLi128ELi8ELb0E19rocblas_complex_numIdES1_PS1_EvbiT_T3_T4_T5_S3_li,comdat
	.globl	_ZL26rocblas_syr2k_scale_kernelIiLi128ELi8ELb0E19rocblas_complex_numIdES1_PS1_EvbiT_T3_T4_T5_S3_li ; -- Begin function _ZL26rocblas_syr2k_scale_kernelIiLi128ELi8ELb0E19rocblas_complex_numIdES1_PS1_EvbiT_T3_T4_T5_S3_li
	.p2align	8
	.type	_ZL26rocblas_syr2k_scale_kernelIiLi128ELi8ELb0E19rocblas_complex_numIdES1_PS1_EvbiT_T3_T4_T5_S3_li,@function
_ZL26rocblas_syr2k_scale_kernelIiLi128ELi8ELb0E19rocblas_complex_numIdES1_PS1_EvbiT_T3_T4_T5_S3_li: ; @_ZL26rocblas_syr2k_scale_kernelIiLi128ELi8ELb0E19rocblas_complex_numIdES1_PS1_EvbiT_T3_T4_T5_S3_li
; %bb.0:
	s_load_dwordx4 s[12:15], s[4:5], 0x20
	s_waitcnt lgkmcnt(0)
	v_cmp_eq_f64_e64 s[0:1], s[12:13], 1.0
	v_cmp_eq_f64_e64 s[2:3], s[14:15], 0
	s_and_b64 s[0:1], s[0:1], s[2:3]
	s_and_b64 vcc, exec, s[0:1]
	s_cbranch_vccnz .LBB305_5
; %bb.1:
	s_load_dwordx2 s[0:1], s[4:5], 0x0
	s_load_dword s2, s[4:5], 0x5c
	s_waitcnt lgkmcnt(0)
	s_bitcmp1_b32 s0, 0
	s_cselect_b64 vcc, -1, 0
	s_lshr_b32 s0, s2, 16
	s_and_b32 s2, s2, 0xffff
	s_mul_i32 s6, s6, s2
	s_mul_i32 s7, s7, s0
	v_add_u32_e32 v0, s6, v0
	v_add_u32_e32 v1, s7, v1
	v_cndmask_b32_e32 v2, v1, v0, vcc
	v_cndmask_b32_e32 v3, v0, v1, vcc
	v_max_u32_e32 v4, v0, v1
	v_cmp_gt_u32_e32 vcc, s1, v4
	v_cmp_le_i32_e64 s[0:1], v2, v3
	s_and_b64 s[0:1], vcc, s[0:1]
	s_and_saveexec_b64 s[2:3], s[0:1]
	s_cbranch_execz .LBB305_5
; %bb.2:
	s_load_dword s6, s[4:5], 0x38
	s_load_dwordx2 s[0:1], s[4:5], 0x40
	s_load_dwordx2 s[2:3], s[4:5], 0x30
	s_waitcnt lgkmcnt(0)
	v_mad_u64_u32 v[2:3], s[4:5], v1, s6, 0
	s_mul_i32 s1, s1, s8
	s_mul_hi_u32 s4, s0, s8
	s_ashr_i32 s7, s6, 31
	s_add_i32 s1, s4, s1
	s_mul_i32 s0, s0, s8
	v_mad_u64_u32 v[3:4], s[4:5], v1, s7, v[3:4]
	s_lshl_b64 s[0:1], s[0:1], 4
	s_add_u32 s4, s2, s0
	s_addc_u32 s5, s3, s1
	v_cmp_neq_f64_e64 s[0:1], s[12:13], 0
	v_cmp_neq_f64_e64 s[2:3], s[14:15], 0
	v_lshlrev_b64 v[2:3], 4, v[2:3]
	v_mov_b32_e32 v1, 0
	v_mov_b32_e32 v4, s5
	v_add_co_u32_e32 v6, vcc, s4, v2
	v_addc_co_u32_e32 v7, vcc, v4, v3, vcc
	v_lshlrev_b64 v[4:5], 4, v[0:1]
	s_or_b64 s[0:1], s[0:1], s[2:3]
	v_mov_b32_e32 v2, 0
	s_andn2_b64 vcc, exec, s[0:1]
	v_mov_b32_e32 v0, 0
	v_add_co_u32_e64 v4, s[0:1], v6, v4
	v_mov_b32_e32 v3, 0
	v_mov_b32_e32 v1, 0
	v_addc_co_u32_e64 v5, s[0:1], v7, v5, s[0:1]
	s_cbranch_vccnz .LBB305_4
; %bb.3:
	global_load_dwordx4 v[6:9], v[4:5], off
	s_waitcnt vmcnt(0)
	v_mul_f64 v[0:1], s[14:15], v[8:9]
	v_mul_f64 v[2:3], s[12:13], v[8:9]
	v_fma_f64 v[0:1], s[12:13], v[6:7], -v[0:1]
	v_fma_f64 v[2:3], s[14:15], v[6:7], v[2:3]
.LBB305_4:
	global_store_dwordx4 v[4:5], v[0:3], off
.LBB305_5:
	s_endpgm
	.section	.rodata,"a",@progbits
	.p2align	6, 0x0
	.amdhsa_kernel _ZL26rocblas_syr2k_scale_kernelIiLi128ELi8ELb0E19rocblas_complex_numIdES1_PS1_EvbiT_T3_T4_T5_S3_li
		.amdhsa_group_segment_fixed_size 0
		.amdhsa_private_segment_fixed_size 0
		.amdhsa_kernarg_size 336
		.amdhsa_user_sgpr_count 6
		.amdhsa_user_sgpr_private_segment_buffer 1
		.amdhsa_user_sgpr_dispatch_ptr 0
		.amdhsa_user_sgpr_queue_ptr 0
		.amdhsa_user_sgpr_kernarg_segment_ptr 1
		.amdhsa_user_sgpr_dispatch_id 0
		.amdhsa_user_sgpr_flat_scratch_init 0
		.amdhsa_user_sgpr_private_segment_size 0
		.amdhsa_uses_dynamic_stack 0
		.amdhsa_system_sgpr_private_segment_wavefront_offset 0
		.amdhsa_system_sgpr_workgroup_id_x 1
		.amdhsa_system_sgpr_workgroup_id_y 1
		.amdhsa_system_sgpr_workgroup_id_z 1
		.amdhsa_system_sgpr_workgroup_info 0
		.amdhsa_system_vgpr_workitem_id 1
		.amdhsa_next_free_vgpr 10
		.amdhsa_next_free_sgpr 16
		.amdhsa_reserve_vcc 1
		.amdhsa_reserve_flat_scratch 0
		.amdhsa_float_round_mode_32 0
		.amdhsa_float_round_mode_16_64 0
		.amdhsa_float_denorm_mode_32 3
		.amdhsa_float_denorm_mode_16_64 3
		.amdhsa_dx10_clamp 1
		.amdhsa_ieee_mode 1
		.amdhsa_fp16_overflow 0
		.amdhsa_exception_fp_ieee_invalid_op 0
		.amdhsa_exception_fp_denorm_src 0
		.amdhsa_exception_fp_ieee_div_zero 0
		.amdhsa_exception_fp_ieee_overflow 0
		.amdhsa_exception_fp_ieee_underflow 0
		.amdhsa_exception_fp_ieee_inexact 0
		.amdhsa_exception_int_div_zero 0
	.end_amdhsa_kernel
	.section	.text._ZL26rocblas_syr2k_scale_kernelIiLi128ELi8ELb0E19rocblas_complex_numIdES1_PS1_EvbiT_T3_T4_T5_S3_li,"axG",@progbits,_ZL26rocblas_syr2k_scale_kernelIiLi128ELi8ELb0E19rocblas_complex_numIdES1_PS1_EvbiT_T3_T4_T5_S3_li,comdat
.Lfunc_end305:
	.size	_ZL26rocblas_syr2k_scale_kernelIiLi128ELi8ELb0E19rocblas_complex_numIdES1_PS1_EvbiT_T3_T4_T5_S3_li, .Lfunc_end305-_ZL26rocblas_syr2k_scale_kernelIiLi128ELi8ELb0E19rocblas_complex_numIdES1_PS1_EvbiT_T3_T4_T5_S3_li
                                        ; -- End function
	.set _ZL26rocblas_syr2k_scale_kernelIiLi128ELi8ELb0E19rocblas_complex_numIdES1_PS1_EvbiT_T3_T4_T5_S3_li.num_vgpr, 10
	.set _ZL26rocblas_syr2k_scale_kernelIiLi128ELi8ELb0E19rocblas_complex_numIdES1_PS1_EvbiT_T3_T4_T5_S3_li.num_agpr, 0
	.set _ZL26rocblas_syr2k_scale_kernelIiLi128ELi8ELb0E19rocblas_complex_numIdES1_PS1_EvbiT_T3_T4_T5_S3_li.numbered_sgpr, 16
	.set _ZL26rocblas_syr2k_scale_kernelIiLi128ELi8ELb0E19rocblas_complex_numIdES1_PS1_EvbiT_T3_T4_T5_S3_li.num_named_barrier, 0
	.set _ZL26rocblas_syr2k_scale_kernelIiLi128ELi8ELb0E19rocblas_complex_numIdES1_PS1_EvbiT_T3_T4_T5_S3_li.private_seg_size, 0
	.set _ZL26rocblas_syr2k_scale_kernelIiLi128ELi8ELb0E19rocblas_complex_numIdES1_PS1_EvbiT_T3_T4_T5_S3_li.uses_vcc, 1
	.set _ZL26rocblas_syr2k_scale_kernelIiLi128ELi8ELb0E19rocblas_complex_numIdES1_PS1_EvbiT_T3_T4_T5_S3_li.uses_flat_scratch, 0
	.set _ZL26rocblas_syr2k_scale_kernelIiLi128ELi8ELb0E19rocblas_complex_numIdES1_PS1_EvbiT_T3_T4_T5_S3_li.has_dyn_sized_stack, 0
	.set _ZL26rocblas_syr2k_scale_kernelIiLi128ELi8ELb0E19rocblas_complex_numIdES1_PS1_EvbiT_T3_T4_T5_S3_li.has_recursion, 0
	.set _ZL26rocblas_syr2k_scale_kernelIiLi128ELi8ELb0E19rocblas_complex_numIdES1_PS1_EvbiT_T3_T4_T5_S3_li.has_indirect_call, 0
	.section	.AMDGPU.csdata,"",@progbits
; Kernel info:
; codeLenInByte = 356
; TotalNumSgprs: 20
; NumVgprs: 10
; ScratchSize: 0
; MemoryBound: 0
; FloatMode: 240
; IeeeMode: 1
; LDSByteSize: 0 bytes/workgroup (compile time only)
; SGPRBlocks: 2
; VGPRBlocks: 2
; NumSGPRsForWavesPerEU: 20
; NumVGPRsForWavesPerEU: 10
; Occupancy: 10
; WaveLimiterHint : 0
; COMPUTE_PGM_RSRC2:SCRATCH_EN: 0
; COMPUTE_PGM_RSRC2:USER_SGPR: 6
; COMPUTE_PGM_RSRC2:TRAP_HANDLER: 0
; COMPUTE_PGM_RSRC2:TGID_X_EN: 1
; COMPUTE_PGM_RSRC2:TGID_Y_EN: 1
; COMPUTE_PGM_RSRC2:TGID_Z_EN: 1
; COMPUTE_PGM_RSRC2:TIDIG_COMP_CNT: 1
	.section	.text._ZL26rocblas_syr2k_her2k_kernelIiLb0ELb0ELb0ELi32EPK19rocblas_complex_numIdES3_PS1_EvbiT_T4_T5_S5_lS7_S5_lT6_S5_li,"axG",@progbits,_ZL26rocblas_syr2k_her2k_kernelIiLb0ELb0ELb0ELi32EPK19rocblas_complex_numIdES3_PS1_EvbiT_T4_T5_S5_lS7_S5_lT6_S5_li,comdat
	.globl	_ZL26rocblas_syr2k_her2k_kernelIiLb0ELb0ELb0ELi32EPK19rocblas_complex_numIdES3_PS1_EvbiT_T4_T5_S5_lS7_S5_lT6_S5_li ; -- Begin function _ZL26rocblas_syr2k_her2k_kernelIiLb0ELb0ELb0ELi32EPK19rocblas_complex_numIdES3_PS1_EvbiT_T4_T5_S5_lS7_S5_lT6_S5_li
	.p2align	8
	.type	_ZL26rocblas_syr2k_her2k_kernelIiLb0ELb0ELb0ELi32EPK19rocblas_complex_numIdES3_PS1_EvbiT_T4_T5_S5_lS7_S5_lT6_S5_li,@function
_ZL26rocblas_syr2k_her2k_kernelIiLb0ELb0ELb0ELi32EPK19rocblas_complex_numIdES3_PS1_EvbiT_T4_T5_S5_lS7_S5_lT6_S5_li: ; @_ZL26rocblas_syr2k_her2k_kernelIiLb0ELb0ELb0ELi32EPK19rocblas_complex_numIdES3_PS1_EvbiT_T4_T5_S5_lS7_S5_lT6_S5_li
; %bb.0:
	s_load_dwordx4 s[0:3], s[4:5], 0x10
	s_waitcnt lgkmcnt(0)
	s_load_dwordx4 s[12:15], s[0:1], 0x0
	s_waitcnt lgkmcnt(0)
	v_cmp_eq_f64_e64 s[0:1], s[12:13], 0
	v_cmp_eq_f64_e64 s[10:11], s[14:15], 0
	s_and_b64 s[0:1], s[0:1], s[10:11]
	s_and_b64 vcc, exec, s[0:1]
	s_cbranch_vccnz .LBB306_11
; %bb.1:
	s_load_dwordx4 s[16:19], s[4:5], 0x0
	s_lshl_b32 s0, s7, 5
	s_lshl_b32 s1, s6, 5
	s_waitcnt lgkmcnt(0)
	s_and_b32 s6, 1, s16
	s_cmp_eq_u32 s6, 1
	s_cselect_b64 vcc, -1, 0
	s_and_b64 s[6:7], vcc, exec
	s_cselect_b32 s6, s1, s0
	s_cselect_b32 s7, s0, s1
	s_cmp_gt_i32 s6, s7
	s_cbranch_scc1 .LBB306_11
; %bb.2:
	s_cmp_lt_i32 s18, 1
	s_cbranch_scc1 .LBB306_11
; %bb.3:
	s_load_dword s9, s[4:5], 0x20
	s_load_dwordx4 s[20:23], s[4:5], 0x28
	s_load_dword s10, s[4:5], 0x38
	s_load_dwordx4 s[24:27], s[4:5], 0x40
	s_load_dword s11, s[4:5], 0x50
	s_load_dwordx2 s[6:7], s[4:5], 0x58
	s_waitcnt lgkmcnt(0)
	s_mul_i32 s4, s21, s8
	s_mul_hi_u32 s5, s20, s8
	s_add_i32 s5, s5, s4
	s_mul_i32 s4, s20, s8
	s_lshl_b64 s[4:5], s[4:5], 4
	s_add_u32 s4, s2, s4
	s_addc_u32 s5, s3, s5
	s_mul_i32 s2, s25, s8
	s_mul_hi_u32 s3, s24, s8
	v_add_u32_e32 v3, s1, v0
	s_add_i32 s3, s3, s2
	s_mul_i32 s2, s24, s8
	v_ashrrev_i32_e32 v4, 31, v3
	s_lshl_b64 s[2:3], s[2:3], 4
	v_lshlrev_b64 v[4:5], 4, v[3:4]
	s_add_u32 s16, s22, s2
	v_add_u32_e32 v2, s0, v1
	s_addc_u32 s19, s23, s3
	s_mul_i32 s2, s7, s8
	s_mul_hi_u32 s3, s6, s8
	v_cndmask_b32_e32 v8, v3, v2, vcc
	v_cndmask_b32_e32 v9, v2, v3, vcc
	v_cmp_gt_i32_e32 vcc, s17, v3
	v_mov_b32_e32 v3, s5
	v_add_co_u32_e64 v10, s[0:1], s4, v4
	s_add_i32 s3, s3, s2
	s_mul_i32 s2, s6, s8
	v_addc_co_u32_e64 v11, s[0:1], v3, v5, s[0:1]
	v_ashrrev_i32_e32 v3, 31, v2
	s_lshl_b64 s[2:3], s[2:3], 4
	v_lshlrev_b64 v[6:7], 4, v[2:3]
	s_add_u32 s6, s26, s2
	s_addc_u32 s7, s27, s3
	v_mov_b32_e32 v3, s19
	v_add_co_u32_e64 v14, s[2:3], s16, v6
	v_cmp_gt_i32_e64 s[0:1], s17, v2
	v_addc_co_u32_e64 v15, s[2:3], v3, v7, s[2:3]
	v_mad_i64_i32 v[2:3], s[2:3], s11, v2, 0
	v_cmp_le_i32_e64 s[2:3], v9, v8
	s_and_b64 s[4:5], s[0:1], vcc
	v_lshlrev_b64 v[2:3], 4, v[2:3]
	s_and_b64 s[4:5], s[4:5], s[2:3]
	v_mov_b32_e32 v6, s7
	v_add_co_u32_e64 v2, s[2:3], s6, v2
	v_lshlrev_b32_e32 v12, 9, v0
	v_lshlrev_b32_e32 v16, 4, v1
	v_addc_co_u32_e64 v3, s[2:3], v6, v3, s[2:3]
	v_add_u32_e32 v13, v12, v16
	v_or_b32_e32 v16, 0x4000, v16
	v_add_co_u32_e64 v8, s[2:3], v2, v4
	v_add_u32_e32 v17, v16, v12
	v_addc_co_u32_e64 v9, s[2:3], v3, v5, s[2:3]
	s_mov_b32 s8, 0
	s_branch .LBB306_5
.LBB306_4:                              ;   in Loop: Header=BB306_5 Depth=1
	s_or_b64 exec, exec, s[2:3]
	s_add_i32 s8, s8, 32
	s_cmp_lt_i32 s8, s18
	s_waitcnt vmcnt(0)
	s_barrier
	s_cbranch_scc0 .LBB306_11
.LBB306_5:                              ; =>This Inner Loop Header: Depth=1
	v_add_u32_e32 v18, s8, v1
	v_cmp_gt_i32_e64 s[2:3], s18, v18
	v_mov_b32_e32 v2, 0
	v_mov_b32_e32 v4, 0
	;; [unrolled: 1-line block ×6, first 2 shown]
	s_and_b64 s[2:3], vcc, s[2:3]
	s_and_saveexec_b64 s[6:7], s[2:3]
	s_cbranch_execz .LBB306_7
; %bb.6:                                ;   in Loop: Header=BB306_5 Depth=1
	v_mad_i64_i32 v[4:5], s[2:3], v18, s9, 0
	v_lshlrev_b64 v[4:5], 4, v[4:5]
	v_add_co_u32_e64 v4, s[2:3], v10, v4
	v_addc_co_u32_e64 v5, s[2:3], v11, v5, s[2:3]
	global_load_dwordx4 v[4:7], v[4:5], off
.LBB306_7:                              ;   in Loop: Header=BB306_5 Depth=1
	s_or_b64 exec, exec, s[6:7]
	s_waitcnt vmcnt(0)
	ds_write_b128 v13, v[4:7]
	v_add_u32_e32 v6, s8, v0
	v_cmp_gt_i32_e64 s[2:3], s18, v6
	v_mov_b32_e32 v4, 0
	v_mov_b32_e32 v5, 0
	s_and_b64 s[2:3], s[0:1], s[2:3]
	s_and_saveexec_b64 s[6:7], s[2:3]
	s_cbranch_execz .LBB306_9
; %bb.8:                                ;   in Loop: Header=BB306_5 Depth=1
	v_mad_i64_i32 v[2:3], s[2:3], v6, s10, 0
	v_lshlrev_b64 v[2:3], 4, v[2:3]
	v_add_co_u32_e64 v2, s[2:3], v14, v2
	v_addc_co_u32_e64 v3, s[2:3], v15, v3, s[2:3]
	global_load_dwordx4 v[2:5], v[2:3], off
.LBB306_9:                              ;   in Loop: Header=BB306_5 Depth=1
	s_or_b64 exec, exec, s[6:7]
	s_waitcnt vmcnt(0)
	ds_write_b128 v17, v[2:5]
	s_waitcnt lgkmcnt(0)
	s_barrier
	s_and_saveexec_b64 s[2:3], s[4:5]
	s_cbranch_execz .LBB306_4
; %bb.10:                               ;   in Loop: Header=BB306_5 Depth=1
	ds_read_b128 v[18:21], v16
	ds_read_b128 v[22:25], v12
	ds_read_b128 v[26:29], v12 offset:16
	ds_read_b128 v[30:33], v12 offset:32
	;; [unrolled: 1-line block ×3, first 2 shown]
	s_waitcnt lgkmcnt(3)
	v_mul_f64 v[6:7], v[20:21], v[24:25]
	v_fma_f64 v[6:7], v[18:19], v[22:23], -v[6:7]
	v_mul_f64 v[18:19], v[18:19], v[24:25]
	v_add_f64 v[6:7], v[6:7], 0
	v_fma_f64 v[18:19], v[20:21], v[22:23], v[18:19]
	v_add_f64 v[22:23], v[18:19], 0
	ds_read_b128 v[18:21], v16 offset:512
	s_waitcnt lgkmcnt(0)
	v_mul_f64 v[24:25], v[20:21], v[28:29]
	v_fma_f64 v[24:25], v[18:19], v[26:27], -v[24:25]
	v_mul_f64 v[18:19], v[18:19], v[28:29]
	v_add_f64 v[6:7], v[6:7], v[24:25]
	v_fma_f64 v[18:19], v[20:21], v[26:27], v[18:19]
	v_add_f64 v[22:23], v[22:23], v[18:19]
	ds_read_b128 v[18:21], v16 offset:1024
	;; [unrolled: 8-line block ×3, first 2 shown]
	s_waitcnt lgkmcnt(0)
	v_mul_f64 v[24:25], v[20:21], v[4:5]
	v_mul_f64 v[4:5], v[18:19], v[4:5]
	v_fma_f64 v[24:25], v[18:19], v[2:3], -v[24:25]
	v_fma_f64 v[2:3], v[20:21], v[2:3], v[4:5]
	v_add_f64 v[6:7], v[6:7], v[24:25]
	v_add_f64 v[22:23], v[22:23], v[2:3]
	ds_read_b128 v[2:5], v16 offset:2048
	ds_read_b128 v[18:21], v12 offset:64
	s_waitcnt lgkmcnt(0)
	v_mul_f64 v[24:25], v[4:5], v[20:21]
	v_fma_f64 v[24:25], v[2:3], v[18:19], -v[24:25]
	v_mul_f64 v[2:3], v[2:3], v[20:21]
	v_add_f64 v[6:7], v[6:7], v[24:25]
	v_fma_f64 v[2:3], v[4:5], v[18:19], v[2:3]
	v_add_f64 v[22:23], v[22:23], v[2:3]
	ds_read_b128 v[2:5], v16 offset:2560
	ds_read_b128 v[18:21], v12 offset:80
	s_waitcnt lgkmcnt(0)
	v_mul_f64 v[24:25], v[4:5], v[20:21]
	v_fma_f64 v[24:25], v[2:3], v[18:19], -v[24:25]
	v_mul_f64 v[2:3], v[2:3], v[20:21]
	v_add_f64 v[6:7], v[6:7], v[24:25]
	v_fma_f64 v[2:3], v[4:5], v[18:19], v[2:3]
	;; [unrolled: 9-line block ×27, first 2 shown]
	v_add_f64 v[22:23], v[22:23], v[2:3]
	ds_read_b128 v[2:5], v16 offset:15872
	ds_read_b128 v[18:21], v12 offset:496
	s_waitcnt lgkmcnt(0)
	v_mul_f64 v[24:25], v[4:5], v[20:21]
	v_fma_f64 v[24:25], v[2:3], v[18:19], -v[24:25]
	v_mul_f64 v[2:3], v[2:3], v[20:21]
	v_fma_f64 v[2:3], v[4:5], v[18:19], v[2:3]
	global_load_dwordx4 v[18:21], v[8:9], off
	v_add_f64 v[4:5], v[6:7], v[24:25]
	v_add_f64 v[6:7], v[22:23], v[2:3]
	v_mul_f64 v[2:3], s[14:15], v[6:7]
	v_fma_f64 v[2:3], s[12:13], v[4:5], -v[2:3]
	v_mul_f64 v[4:5], s[14:15], v[4:5]
	v_fma_f64 v[4:5], s[12:13], v[6:7], v[4:5]
	s_waitcnt vmcnt(0)
	v_add_f64 v[2:3], v[18:19], v[2:3]
	v_add_f64 v[4:5], v[20:21], v[4:5]
	global_store_dwordx4 v[8:9], v[2:5], off
	s_branch .LBB306_4
.LBB306_11:
	s_endpgm
	.section	.rodata,"a",@progbits
	.p2align	6, 0x0
	.amdhsa_kernel _ZL26rocblas_syr2k_her2k_kernelIiLb0ELb0ELb0ELi32EPK19rocblas_complex_numIdES3_PS1_EvbiT_T4_T5_S5_lS7_S5_lT6_S5_li
		.amdhsa_group_segment_fixed_size 32768
		.amdhsa_private_segment_fixed_size 0
		.amdhsa_kernarg_size 100
		.amdhsa_user_sgpr_count 6
		.amdhsa_user_sgpr_private_segment_buffer 1
		.amdhsa_user_sgpr_dispatch_ptr 0
		.amdhsa_user_sgpr_queue_ptr 0
		.amdhsa_user_sgpr_kernarg_segment_ptr 1
		.amdhsa_user_sgpr_dispatch_id 0
		.amdhsa_user_sgpr_flat_scratch_init 0
		.amdhsa_user_sgpr_private_segment_size 0
		.amdhsa_uses_dynamic_stack 0
		.amdhsa_system_sgpr_private_segment_wavefront_offset 0
		.amdhsa_system_sgpr_workgroup_id_x 1
		.amdhsa_system_sgpr_workgroup_id_y 1
		.amdhsa_system_sgpr_workgroup_id_z 1
		.amdhsa_system_sgpr_workgroup_info 0
		.amdhsa_system_vgpr_workitem_id 1
		.amdhsa_next_free_vgpr 34
		.amdhsa_next_free_sgpr 61
		.amdhsa_reserve_vcc 1
		.amdhsa_reserve_flat_scratch 0
		.amdhsa_float_round_mode_32 0
		.amdhsa_float_round_mode_16_64 0
		.amdhsa_float_denorm_mode_32 3
		.amdhsa_float_denorm_mode_16_64 3
		.amdhsa_dx10_clamp 1
		.amdhsa_ieee_mode 1
		.amdhsa_fp16_overflow 0
		.amdhsa_exception_fp_ieee_invalid_op 0
		.amdhsa_exception_fp_denorm_src 0
		.amdhsa_exception_fp_ieee_div_zero 0
		.amdhsa_exception_fp_ieee_overflow 0
		.amdhsa_exception_fp_ieee_underflow 0
		.amdhsa_exception_fp_ieee_inexact 0
		.amdhsa_exception_int_div_zero 0
	.end_amdhsa_kernel
	.section	.text._ZL26rocblas_syr2k_her2k_kernelIiLb0ELb0ELb0ELi32EPK19rocblas_complex_numIdES3_PS1_EvbiT_T4_T5_S5_lS7_S5_lT6_S5_li,"axG",@progbits,_ZL26rocblas_syr2k_her2k_kernelIiLb0ELb0ELb0ELi32EPK19rocblas_complex_numIdES3_PS1_EvbiT_T4_T5_S5_lS7_S5_lT6_S5_li,comdat
.Lfunc_end306:
	.size	_ZL26rocblas_syr2k_her2k_kernelIiLb0ELb0ELb0ELi32EPK19rocblas_complex_numIdES3_PS1_EvbiT_T4_T5_S5_lS7_S5_lT6_S5_li, .Lfunc_end306-_ZL26rocblas_syr2k_her2k_kernelIiLb0ELb0ELb0ELi32EPK19rocblas_complex_numIdES3_PS1_EvbiT_T4_T5_S5_lS7_S5_lT6_S5_li
                                        ; -- End function
	.set _ZL26rocblas_syr2k_her2k_kernelIiLb0ELb0ELb0ELi32EPK19rocblas_complex_numIdES3_PS1_EvbiT_T4_T5_S5_lS7_S5_lT6_S5_li.num_vgpr, 34
	.set _ZL26rocblas_syr2k_her2k_kernelIiLb0ELb0ELb0ELi32EPK19rocblas_complex_numIdES3_PS1_EvbiT_T4_T5_S5_lS7_S5_lT6_S5_li.num_agpr, 0
	.set _ZL26rocblas_syr2k_her2k_kernelIiLb0ELb0ELb0ELi32EPK19rocblas_complex_numIdES3_PS1_EvbiT_T4_T5_S5_lS7_S5_lT6_S5_li.numbered_sgpr, 28
	.set _ZL26rocblas_syr2k_her2k_kernelIiLb0ELb0ELb0ELi32EPK19rocblas_complex_numIdES3_PS1_EvbiT_T4_T5_S5_lS7_S5_lT6_S5_li.num_named_barrier, 0
	.set _ZL26rocblas_syr2k_her2k_kernelIiLb0ELb0ELb0ELi32EPK19rocblas_complex_numIdES3_PS1_EvbiT_T4_T5_S5_lS7_S5_lT6_S5_li.private_seg_size, 0
	.set _ZL26rocblas_syr2k_her2k_kernelIiLb0ELb0ELb0ELi32EPK19rocblas_complex_numIdES3_PS1_EvbiT_T4_T5_S5_lS7_S5_lT6_S5_li.uses_vcc, 1
	.set _ZL26rocblas_syr2k_her2k_kernelIiLb0ELb0ELb0ELi32EPK19rocblas_complex_numIdES3_PS1_EvbiT_T4_T5_S5_lS7_S5_lT6_S5_li.uses_flat_scratch, 0
	.set _ZL26rocblas_syr2k_her2k_kernelIiLb0ELb0ELb0ELi32EPK19rocblas_complex_numIdES3_PS1_EvbiT_T4_T5_S5_lS7_S5_lT6_S5_li.has_dyn_sized_stack, 0
	.set _ZL26rocblas_syr2k_her2k_kernelIiLb0ELb0ELb0ELi32EPK19rocblas_complex_numIdES3_PS1_EvbiT_T4_T5_S5_lS7_S5_lT6_S5_li.has_recursion, 0
	.set _ZL26rocblas_syr2k_her2k_kernelIiLb0ELb0ELb0ELi32EPK19rocblas_complex_numIdES3_PS1_EvbiT_T4_T5_S5_lS7_S5_lT6_S5_li.has_indirect_call, 0
	.section	.AMDGPU.csdata,"",@progbits
; Kernel info:
; codeLenInByte = 2924
; TotalNumSgprs: 32
; NumVgprs: 34
; ScratchSize: 0
; MemoryBound: 1
; FloatMode: 240
; IeeeMode: 1
; LDSByteSize: 32768 bytes/workgroup (compile time only)
; SGPRBlocks: 8
; VGPRBlocks: 8
; NumSGPRsForWavesPerEU: 65
; NumVGPRsForWavesPerEU: 34
; Occupancy: 7
; WaveLimiterHint : 0
; COMPUTE_PGM_RSRC2:SCRATCH_EN: 0
; COMPUTE_PGM_RSRC2:USER_SGPR: 6
; COMPUTE_PGM_RSRC2:TRAP_HANDLER: 0
; COMPUTE_PGM_RSRC2:TGID_X_EN: 1
; COMPUTE_PGM_RSRC2:TGID_Y_EN: 1
; COMPUTE_PGM_RSRC2:TGID_Z_EN: 1
; COMPUTE_PGM_RSRC2:TIDIG_COMP_CNT: 1
	.section	.text._ZL26rocblas_syr2k_her2k_kernelIiLb0ELb0ELb1ELi32EPK19rocblas_complex_numIdES3_PS1_EvbiT_T4_T5_S5_lS7_S5_lT6_S5_li,"axG",@progbits,_ZL26rocblas_syr2k_her2k_kernelIiLb0ELb0ELb1ELi32EPK19rocblas_complex_numIdES3_PS1_EvbiT_T4_T5_S5_lS7_S5_lT6_S5_li,comdat
	.globl	_ZL26rocblas_syr2k_her2k_kernelIiLb0ELb0ELb1ELi32EPK19rocblas_complex_numIdES3_PS1_EvbiT_T4_T5_S5_lS7_S5_lT6_S5_li ; -- Begin function _ZL26rocblas_syr2k_her2k_kernelIiLb0ELb0ELb1ELi32EPK19rocblas_complex_numIdES3_PS1_EvbiT_T4_T5_S5_lS7_S5_lT6_S5_li
	.p2align	8
	.type	_ZL26rocblas_syr2k_her2k_kernelIiLb0ELb0ELb1ELi32EPK19rocblas_complex_numIdES3_PS1_EvbiT_T4_T5_S5_lS7_S5_lT6_S5_li,@function
_ZL26rocblas_syr2k_her2k_kernelIiLb0ELb0ELb1ELi32EPK19rocblas_complex_numIdES3_PS1_EvbiT_T4_T5_S5_lS7_S5_lT6_S5_li: ; @_ZL26rocblas_syr2k_her2k_kernelIiLb0ELb0ELb1ELi32EPK19rocblas_complex_numIdES3_PS1_EvbiT_T4_T5_S5_lS7_S5_lT6_S5_li
; %bb.0:
	s_load_dwordx4 s[0:3], s[4:5], 0x10
	s_waitcnt lgkmcnt(0)
	s_load_dwordx4 s[12:15], s[0:1], 0x0
	s_waitcnt lgkmcnt(0)
	v_cmp_eq_f64_e64 s[0:1], s[12:13], 0
	v_cmp_eq_f64_e64 s[10:11], s[14:15], 0
	s_and_b64 s[0:1], s[0:1], s[10:11]
	s_and_b64 vcc, exec, s[0:1]
	s_cbranch_vccnz .LBB307_11
; %bb.1:
	s_load_dwordx4 s[16:19], s[4:5], 0x0
	s_lshl_b32 s0, s7, 5
	s_lshl_b32 s1, s6, 5
	s_waitcnt lgkmcnt(0)
	s_and_b32 s6, 1, s16
	s_cmp_eq_u32 s6, 1
	s_cselect_b64 vcc, -1, 0
	s_and_b64 s[6:7], vcc, exec
	s_cselect_b32 s6, s1, s0
	s_cselect_b32 s7, s0, s1
	s_cmp_gt_i32 s6, s7
	s_cbranch_scc1 .LBB307_11
; %bb.2:
	s_cmp_lt_i32 s18, 1
	s_cbranch_scc1 .LBB307_11
; %bb.3:
	v_add_u32_e32 v2, s1, v0
	s_load_dword s9, s[4:5], 0x20
	s_load_dwordx4 s[20:23], s[4:5], 0x28
	s_load_dword s10, s[4:5], 0x38
	s_load_dwordx4 s[24:27], s[4:5], 0x40
	s_load_dword s11, s[4:5], 0x50
	s_load_dwordx2 s[6:7], s[4:5], 0x58
	v_add_u32_e32 v6, s0, v1
	s_waitcnt lgkmcnt(0)
	v_mad_i64_i32 v[4:5], s[0:1], s9, v2, 0
	s_mul_i32 s4, s21, s8
	s_mul_hi_u32 s5, s20, s8
	s_add_i32 s5, s5, s4
	s_mul_i32 s4, s20, s8
	s_lshl_b64 s[4:5], s[4:5], 4
	s_add_u32 s4, s2, s4
	v_lshlrev_b64 v[4:5], 4, v[4:5]
	s_addc_u32 s5, s3, s5
	s_mul_i32 s2, s25, s8
	s_mul_hi_u32 s3, s24, s8
	s_add_i32 s3, s3, s2
	s_mul_i32 s2, s24, s8
	v_mov_b32_e32 v9, s5
	v_add_co_u32_e64 v12, s[0:1], s4, v4
	s_lshl_b64 s[2:3], s[2:3], 4
	v_addc_co_u32_e64 v13, s[0:1], v9, v5, s[0:1]
	v_mad_i64_i32 v[4:5], s[0:1], s10, v6, 0
	s_add_u32 s16, s22, s2
	s_addc_u32 s19, s23, s3
	s_mul_i32 s2, s7, s8
	s_mul_hi_u32 s3, s6, s8
	s_add_i32 s3, s3, s2
	s_mul_i32 s2, s6, s8
	s_lshl_b64 s[2:3], s[2:3], 4
	v_lshlrev_b64 v[4:5], 4, v[4:5]
	s_add_u32 s6, s26, s2
	s_addc_u32 s7, s27, s3
	v_mov_b32_e32 v10, s19
	v_add_co_u32_e64 v16, s[2:3], s16, v4
	v_addc_co_u32_e64 v17, s[2:3], v10, v5, s[2:3]
	v_mad_i64_i32 v[4:5], s[2:3], s11, v6, 0
	v_cndmask_b32_e32 v7, v2, v6, vcc
	v_cndmask_b32_e32 v8, v6, v2, vcc
	v_cmp_gt_i32_e32 vcc, s17, v2
	v_cmp_gt_i32_e64 s[0:1], s17, v6
	v_lshlrev_b64 v[4:5], 4, v[4:5]
	v_ashrrev_i32_e32 v3, 31, v2
	v_cmp_le_i32_e64 s[2:3], v8, v7
	s_and_b64 s[4:5], s[0:1], vcc
	s_and_b64 s[4:5], s[4:5], s[2:3]
	v_mov_b32_e32 v6, s7
	v_add_co_u32_e64 v4, s[2:3], s6, v4
	v_lshlrev_b64 v[2:3], 4, v[2:3]
	v_lshlrev_b32_e32 v9, 4, v1
	v_addc_co_u32_e64 v5, s[2:3], v6, v5, s[2:3]
	v_lshlrev_b32_e32 v14, 9, v0
	v_or_b32_e32 v18, 0x4000, v9
	v_add_co_u32_e64 v8, s[2:3], v4, v2
	v_add_u32_e32 v15, v14, v9
	v_add_u32_e32 v19, v18, v14
	v_addc_co_u32_e64 v9, s[2:3], v5, v3, s[2:3]
	s_mov_b32 s8, 0
	s_branch .LBB307_5
.LBB307_4:                              ;   in Loop: Header=BB307_5 Depth=1
	s_or_b64 exec, exec, s[2:3]
	s_add_i32 s8, s8, 32
	s_cmp_lt_i32 s8, s18
	s_waitcnt vmcnt(0)
	s_barrier
	s_cbranch_scc0 .LBB307_11
.LBB307_5:                              ; =>This Inner Loop Header: Depth=1
	v_add_u32_e32 v10, s8, v1
	v_cmp_gt_i32_e64 s[2:3], s18, v10
	v_mov_b32_e32 v2, 0
	v_mov_b32_e32 v4, 0
	;; [unrolled: 1-line block ×6, first 2 shown]
	s_and_b64 s[2:3], vcc, s[2:3]
	s_and_saveexec_b64 s[6:7], s[2:3]
	s_cbranch_execz .LBB307_7
; %bb.6:                                ;   in Loop: Header=BB307_5 Depth=1
	v_ashrrev_i32_e32 v11, 31, v10
	v_lshlrev_b64 v[4:5], 4, v[10:11]
	v_add_co_u32_e64 v4, s[2:3], v12, v4
	v_addc_co_u32_e64 v5, s[2:3], v13, v5, s[2:3]
	global_load_dwordx4 v[4:7], v[4:5], off
.LBB307_7:                              ;   in Loop: Header=BB307_5 Depth=1
	s_or_b64 exec, exec, s[6:7]
	s_waitcnt vmcnt(0)
	ds_write_b128 v15, v[4:7]
	v_add_u32_e32 v6, s8, v0
	v_cmp_gt_i32_e64 s[2:3], s18, v6
	v_mov_b32_e32 v4, 0
	v_mov_b32_e32 v5, 0
	s_and_b64 s[2:3], s[0:1], s[2:3]
	s_and_saveexec_b64 s[6:7], s[2:3]
	s_cbranch_execz .LBB307_9
; %bb.8:                                ;   in Loop: Header=BB307_5 Depth=1
	v_ashrrev_i32_e32 v7, 31, v6
	v_lshlrev_b64 v[2:3], 4, v[6:7]
	v_add_co_u32_e64 v2, s[2:3], v16, v2
	v_addc_co_u32_e64 v3, s[2:3], v17, v3, s[2:3]
	global_load_dwordx4 v[2:5], v[2:3], off
.LBB307_9:                              ;   in Loop: Header=BB307_5 Depth=1
	s_or_b64 exec, exec, s[6:7]
	s_waitcnt vmcnt(0)
	ds_write_b128 v19, v[2:5]
	s_waitcnt lgkmcnt(0)
	s_barrier
	s_and_saveexec_b64 s[2:3], s[4:5]
	s_cbranch_execz .LBB307_4
; %bb.10:                               ;   in Loop: Header=BB307_5 Depth=1
	ds_read_b128 v[20:23], v18
	ds_read_b128 v[24:27], v14
	ds_read_b128 v[28:31], v14 offset:16
	ds_read_b128 v[32:35], v14 offset:32
	;; [unrolled: 1-line block ×3, first 2 shown]
	s_waitcnt lgkmcnt(3)
	v_mul_f64 v[6:7], v[22:23], v[26:27]
	v_mul_f64 v[10:11], v[20:21], v[26:27]
	v_fma_f64 v[6:7], v[20:21], v[24:25], -v[6:7]
	v_fma_f64 v[10:11], v[22:23], v[24:25], v[10:11]
	ds_read_b128 v[20:23], v18 offset:512
	s_waitcnt lgkmcnt(0)
	v_mul_f64 v[24:25], v[22:23], v[30:31]
	v_add_f64 v[6:7], v[6:7], 0
	v_add_f64 v[10:11], v[10:11], 0
	v_fma_f64 v[24:25], v[20:21], v[28:29], -v[24:25]
	v_mul_f64 v[20:21], v[20:21], v[30:31]
	v_add_f64 v[6:7], v[6:7], v[24:25]
	v_fma_f64 v[20:21], v[22:23], v[28:29], v[20:21]
	v_add_f64 v[10:11], v[10:11], v[20:21]
	ds_read_b128 v[20:23], v18 offset:1024
	s_waitcnt lgkmcnt(0)
	v_mul_f64 v[24:25], v[22:23], v[34:35]
	v_fma_f64 v[24:25], v[20:21], v[32:33], -v[24:25]
	v_mul_f64 v[20:21], v[20:21], v[34:35]
	v_add_f64 v[6:7], v[6:7], v[24:25]
	v_fma_f64 v[20:21], v[22:23], v[32:33], v[20:21]
	v_add_f64 v[10:11], v[10:11], v[20:21]
	ds_read_b128 v[20:23], v18 offset:1536
	s_waitcnt lgkmcnt(0)
	v_mul_f64 v[24:25], v[22:23], v[4:5]
	v_mul_f64 v[4:5], v[20:21], v[4:5]
	v_fma_f64 v[24:25], v[20:21], v[2:3], -v[24:25]
	v_fma_f64 v[2:3], v[22:23], v[2:3], v[4:5]
	v_add_f64 v[6:7], v[6:7], v[24:25]
	v_add_f64 v[10:11], v[10:11], v[2:3]
	ds_read_b128 v[2:5], v18 offset:2048
	ds_read_b128 v[20:23], v14 offset:64
	s_waitcnt lgkmcnt(0)
	v_mul_f64 v[24:25], v[4:5], v[22:23]
	v_fma_f64 v[24:25], v[2:3], v[20:21], -v[24:25]
	v_mul_f64 v[2:3], v[2:3], v[22:23]
	v_add_f64 v[6:7], v[6:7], v[24:25]
	v_fma_f64 v[2:3], v[4:5], v[20:21], v[2:3]
	v_add_f64 v[10:11], v[10:11], v[2:3]
	ds_read_b128 v[2:5], v18 offset:2560
	ds_read_b128 v[20:23], v14 offset:80
	s_waitcnt lgkmcnt(0)
	v_mul_f64 v[24:25], v[4:5], v[22:23]
	v_fma_f64 v[24:25], v[2:3], v[20:21], -v[24:25]
	v_mul_f64 v[2:3], v[2:3], v[22:23]
	v_add_f64 v[6:7], v[6:7], v[24:25]
	v_fma_f64 v[2:3], v[4:5], v[20:21], v[2:3]
	;; [unrolled: 9-line block ×27, first 2 shown]
	v_add_f64 v[10:11], v[10:11], v[2:3]
	ds_read_b128 v[2:5], v18 offset:15872
	ds_read_b128 v[20:23], v14 offset:496
	s_waitcnt lgkmcnt(0)
	v_mul_f64 v[24:25], v[4:5], v[22:23]
	v_fma_f64 v[24:25], v[2:3], v[20:21], -v[24:25]
	v_mul_f64 v[2:3], v[2:3], v[22:23]
	v_fma_f64 v[2:3], v[4:5], v[20:21], v[2:3]
	global_load_dwordx4 v[20:23], v[8:9], off
	v_add_f64 v[4:5], v[6:7], v[24:25]
	v_add_f64 v[6:7], v[10:11], v[2:3]
	v_mul_f64 v[2:3], s[14:15], v[6:7]
	v_fma_f64 v[2:3], s[12:13], v[4:5], -v[2:3]
	v_mul_f64 v[4:5], s[14:15], v[4:5]
	v_fma_f64 v[4:5], s[12:13], v[6:7], v[4:5]
	s_waitcnt vmcnt(0)
	v_add_f64 v[2:3], v[20:21], v[2:3]
	v_add_f64 v[4:5], v[22:23], v[4:5]
	global_store_dwordx4 v[8:9], v[2:5], off
	s_branch .LBB307_4
.LBB307_11:
	s_endpgm
	.section	.rodata,"a",@progbits
	.p2align	6, 0x0
	.amdhsa_kernel _ZL26rocblas_syr2k_her2k_kernelIiLb0ELb0ELb1ELi32EPK19rocblas_complex_numIdES3_PS1_EvbiT_T4_T5_S5_lS7_S5_lT6_S5_li
		.amdhsa_group_segment_fixed_size 32768
		.amdhsa_private_segment_fixed_size 0
		.amdhsa_kernarg_size 100
		.amdhsa_user_sgpr_count 6
		.amdhsa_user_sgpr_private_segment_buffer 1
		.amdhsa_user_sgpr_dispatch_ptr 0
		.amdhsa_user_sgpr_queue_ptr 0
		.amdhsa_user_sgpr_kernarg_segment_ptr 1
		.amdhsa_user_sgpr_dispatch_id 0
		.amdhsa_user_sgpr_flat_scratch_init 0
		.amdhsa_user_sgpr_private_segment_size 0
		.amdhsa_uses_dynamic_stack 0
		.amdhsa_system_sgpr_private_segment_wavefront_offset 0
		.amdhsa_system_sgpr_workgroup_id_x 1
		.amdhsa_system_sgpr_workgroup_id_y 1
		.amdhsa_system_sgpr_workgroup_id_z 1
		.amdhsa_system_sgpr_workgroup_info 0
		.amdhsa_system_vgpr_workitem_id 1
		.amdhsa_next_free_vgpr 36
		.amdhsa_next_free_sgpr 61
		.amdhsa_reserve_vcc 1
		.amdhsa_reserve_flat_scratch 0
		.amdhsa_float_round_mode_32 0
		.amdhsa_float_round_mode_16_64 0
		.amdhsa_float_denorm_mode_32 3
		.amdhsa_float_denorm_mode_16_64 3
		.amdhsa_dx10_clamp 1
		.amdhsa_ieee_mode 1
		.amdhsa_fp16_overflow 0
		.amdhsa_exception_fp_ieee_invalid_op 0
		.amdhsa_exception_fp_denorm_src 0
		.amdhsa_exception_fp_ieee_div_zero 0
		.amdhsa_exception_fp_ieee_overflow 0
		.amdhsa_exception_fp_ieee_underflow 0
		.amdhsa_exception_fp_ieee_inexact 0
		.amdhsa_exception_int_div_zero 0
	.end_amdhsa_kernel
	.section	.text._ZL26rocblas_syr2k_her2k_kernelIiLb0ELb0ELb1ELi32EPK19rocblas_complex_numIdES3_PS1_EvbiT_T4_T5_S5_lS7_S5_lT6_S5_li,"axG",@progbits,_ZL26rocblas_syr2k_her2k_kernelIiLb0ELb0ELb1ELi32EPK19rocblas_complex_numIdES3_PS1_EvbiT_T4_T5_S5_lS7_S5_lT6_S5_li,comdat
.Lfunc_end307:
	.size	_ZL26rocblas_syr2k_her2k_kernelIiLb0ELb0ELb1ELi32EPK19rocblas_complex_numIdES3_PS1_EvbiT_T4_T5_S5_lS7_S5_lT6_S5_li, .Lfunc_end307-_ZL26rocblas_syr2k_her2k_kernelIiLb0ELb0ELb1ELi32EPK19rocblas_complex_numIdES3_PS1_EvbiT_T4_T5_S5_lS7_S5_lT6_S5_li
                                        ; -- End function
	.set _ZL26rocblas_syr2k_her2k_kernelIiLb0ELb0ELb1ELi32EPK19rocblas_complex_numIdES3_PS1_EvbiT_T4_T5_S5_lS7_S5_lT6_S5_li.num_vgpr, 36
	.set _ZL26rocblas_syr2k_her2k_kernelIiLb0ELb0ELb1ELi32EPK19rocblas_complex_numIdES3_PS1_EvbiT_T4_T5_S5_lS7_S5_lT6_S5_li.num_agpr, 0
	.set _ZL26rocblas_syr2k_her2k_kernelIiLb0ELb0ELb1ELi32EPK19rocblas_complex_numIdES3_PS1_EvbiT_T4_T5_S5_lS7_S5_lT6_S5_li.numbered_sgpr, 28
	.set _ZL26rocblas_syr2k_her2k_kernelIiLb0ELb0ELb1ELi32EPK19rocblas_complex_numIdES3_PS1_EvbiT_T4_T5_S5_lS7_S5_lT6_S5_li.num_named_barrier, 0
	.set _ZL26rocblas_syr2k_her2k_kernelIiLb0ELb0ELb1ELi32EPK19rocblas_complex_numIdES3_PS1_EvbiT_T4_T5_S5_lS7_S5_lT6_S5_li.private_seg_size, 0
	.set _ZL26rocblas_syr2k_her2k_kernelIiLb0ELb0ELb1ELi32EPK19rocblas_complex_numIdES3_PS1_EvbiT_T4_T5_S5_lS7_S5_lT6_S5_li.uses_vcc, 1
	.set _ZL26rocblas_syr2k_her2k_kernelIiLb0ELb0ELb1ELi32EPK19rocblas_complex_numIdES3_PS1_EvbiT_T4_T5_S5_lS7_S5_lT6_S5_li.uses_flat_scratch, 0
	.set _ZL26rocblas_syr2k_her2k_kernelIiLb0ELb0ELb1ELi32EPK19rocblas_complex_numIdES3_PS1_EvbiT_T4_T5_S5_lS7_S5_lT6_S5_li.has_dyn_sized_stack, 0
	.set _ZL26rocblas_syr2k_her2k_kernelIiLb0ELb0ELb1ELi32EPK19rocblas_complex_numIdES3_PS1_EvbiT_T4_T5_S5_lS7_S5_lT6_S5_li.has_recursion, 0
	.set _ZL26rocblas_syr2k_her2k_kernelIiLb0ELb0ELb1ELi32EPK19rocblas_complex_numIdES3_PS1_EvbiT_T4_T5_S5_lS7_S5_lT6_S5_li.has_indirect_call, 0
	.section	.AMDGPU.csdata,"",@progbits
; Kernel info:
; codeLenInByte = 2936
; TotalNumSgprs: 32
; NumVgprs: 36
; ScratchSize: 0
; MemoryBound: 1
; FloatMode: 240
; IeeeMode: 1
; LDSByteSize: 32768 bytes/workgroup (compile time only)
; SGPRBlocks: 8
; VGPRBlocks: 8
; NumSGPRsForWavesPerEU: 65
; NumVGPRsForWavesPerEU: 36
; Occupancy: 7
; WaveLimiterHint : 0
; COMPUTE_PGM_RSRC2:SCRATCH_EN: 0
; COMPUTE_PGM_RSRC2:USER_SGPR: 6
; COMPUTE_PGM_RSRC2:TRAP_HANDLER: 0
; COMPUTE_PGM_RSRC2:TGID_X_EN: 1
; COMPUTE_PGM_RSRC2:TGID_Y_EN: 1
; COMPUTE_PGM_RSRC2:TGID_Z_EN: 1
; COMPUTE_PGM_RSRC2:TIDIG_COMP_CNT: 1
	.section	.text._ZL26rocblas_syr2k_her2k_kernelIiLb0ELb1ELb0ELi32E19rocblas_complex_numIfEPKS1_PS1_EvbiT_T4_T5_S5_lS7_S5_lT6_S5_li,"axG",@progbits,_ZL26rocblas_syr2k_her2k_kernelIiLb0ELb1ELb0ELi32E19rocblas_complex_numIfEPKS1_PS1_EvbiT_T4_T5_S5_lS7_S5_lT6_S5_li,comdat
	.globl	_ZL26rocblas_syr2k_her2k_kernelIiLb0ELb1ELb0ELi32E19rocblas_complex_numIfEPKS1_PS1_EvbiT_T4_T5_S5_lS7_S5_lT6_S5_li ; -- Begin function _ZL26rocblas_syr2k_her2k_kernelIiLb0ELb1ELb0ELi32E19rocblas_complex_numIfEPKS1_PS1_EvbiT_T4_T5_S5_lS7_S5_lT6_S5_li
	.p2align	8
	.type	_ZL26rocblas_syr2k_her2k_kernelIiLb0ELb1ELb0ELi32E19rocblas_complex_numIfEPKS1_PS1_EvbiT_T4_T5_S5_lS7_S5_lT6_S5_li,@function
_ZL26rocblas_syr2k_her2k_kernelIiLb0ELb1ELb0ELi32E19rocblas_complex_numIfEPKS1_PS1_EvbiT_T4_T5_S5_lS7_S5_lT6_S5_li: ; @_ZL26rocblas_syr2k_her2k_kernelIiLb0ELb1ELb0ELi32E19rocblas_complex_numIfEPKS1_PS1_EvbiT_T4_T5_S5_lS7_S5_lT6_S5_li
; %bb.0:
	s_load_dwordx4 s[12:15], s[4:5], 0x0
	s_load_dword s9, s[4:5], 0x10
	s_waitcnt lgkmcnt(0)
	v_cmp_eq_f32_e64 s[0:1], s15, 0
	v_cmp_eq_f32_e64 s[2:3], s9, 0
	s_and_b64 s[0:1], s[0:1], s[2:3]
	s_and_b64 vcc, exec, s[0:1]
	s_cbranch_vccnz .LBB308_13
; %bb.1:
	s_and_b32 s0, 1, s12
	s_lshl_b32 s2, s7, 5
	s_lshl_b32 s3, s6, 5
	s_cmp_eq_u32 s0, 1
	s_cselect_b64 s[0:1], -1, 0
	s_and_b64 s[6:7], s[0:1], exec
	s_cselect_b32 s6, s3, s2
	s_cselect_b32 s7, s2, s3
	s_cmp_gt_i32 s6, s7
	s_cbranch_scc1 .LBB308_13
; %bb.2:
	s_load_dwordx2 s[6:7], s[4:5], 0x58
	s_load_dwordx4 s[16:19], s[4:5], 0x40
	s_load_dword s10, s[4:5], 0x50
	v_add_u32_e32 v10, s3, v0
	v_add_u32_e32 v12, s2, v1
	s_waitcnt lgkmcnt(0)
	s_mul_i32 s7, s7, s8
	s_mul_hi_u32 s11, s6, s8
	s_mul_i32 s6, s6, s8
	s_add_i32 s7, s11, s7
	s_lshl_b64 s[6:7], s[6:7], 3
	s_add_u32 s11, s18, s6
	s_addc_u32 s12, s19, s7
	s_cmp_lt_i32 s14, 1
	v_cmp_gt_i32_e32 vcc, s13, v10
	v_ashrrev_i32_e32 v11, 31, v10
	s_cbranch_scc1 .LBB308_11
; %bb.3:
	s_load_dwordx4 s[24:27], s[4:5], 0x28
	s_load_dwordx2 s[2:3], s[4:5], 0x18
	s_load_dword s19, s[4:5], 0x20
	s_load_dword s20, s[4:5], 0x38
	v_lshlrev_b64 v[2:3], 3, v[10:11]
	v_cndmask_b32_e64 v6, v10, v12, s[0:1]
	v_cndmask_b32_e64 v7, v12, v10, s[0:1]
	s_waitcnt lgkmcnt(0)
	s_mul_i32 s4, s25, s8
	s_mul_hi_u32 s5, s24, s8
	s_add_i32 s5, s5, s4
	s_mul_i32 s4, s24, s8
	s_lshl_b64 s[4:5], s[4:5], 3
	s_add_u32 s4, s2, s4
	s_addc_u32 s5, s3, s5
	s_mul_i32 s2, s17, s8
	s_mul_hi_u32 s3, s16, s8
	s_add_i32 s3, s3, s2
	s_mul_i32 s2, s16, s8
	s_lshl_b64 s[2:3], s[2:3], 3
	v_mov_b32_e32 v4, s5
	v_add_co_u32_e64 v15, s[0:1], s4, v2
	v_ashrrev_i32_e32 v13, 31, v12
	s_add_u32 s2, s26, s2
	v_addc_co_u32_e64 v16, s[0:1], v4, v3, s[0:1]
	v_lshlrev_b64 v[4:5], 3, v[12:13]
	s_addc_u32 s3, s27, s3
	v_mov_b32_e32 v9, s3
	v_add_co_u32_e64 v19, s[2:3], s2, v4
	v_addc_co_u32_e64 v20, s[2:3], v9, v5, s[2:3]
	v_mad_i64_i32 v[4:5], s[2:3], s10, v12, 0
	v_cmp_gt_i32_e64 s[0:1], s13, v12
	v_cmp_le_i32_e64 s[2:3], v7, v6
	v_lshlrev_b64 v[4:5], 3, v[4:5]
	s_and_b64 s[4:5], s[0:1], vcc
	s_and_b64 s[4:5], s[4:5], s[2:3]
	v_mov_b32_e32 v6, s12
	v_add_co_u32_e64 v4, s[2:3], s11, v4
	v_lshlrev_b32_e32 v8, 3, v1
	v_addc_co_u32_e64 v5, s[2:3], v6, v5, s[2:3]
	v_lshlrev_b32_e32 v17, 8, v0
	v_or_b32_e32 v21, 0x2000, v8
	v_add_co_u32_e64 v13, s[2:3], v4, v2
	s_mov_b32 s18, 0
	v_add_u32_e32 v18, v17, v8
	v_addc_co_u32_e64 v14, s[2:3], v5, v3, s[2:3]
	v_add_u32_e32 v22, 0x800, v21
	v_add_u32_e32 v23, 0x1000, v21
	;; [unrolled: 1-line block ×3, first 2 shown]
	s_branch .LBB308_5
.LBB308_4:                              ;   in Loop: Header=BB308_5 Depth=1
	s_or_b64 exec, exec, s[2:3]
	s_add_i32 s18, s18, 32
	s_cmp_ge_i32 s18, s14
	s_waitcnt vmcnt(0)
	s_barrier
	s_cbranch_scc1 .LBB308_11
.LBB308_5:                              ; =>This Inner Loop Header: Depth=1
	v_add_u32_e32 v5, s18, v1
	v_cmp_gt_i32_e64 s[2:3], s14, v5
	s_and_b64 s[2:3], vcc, s[2:3]
	v_mov_b32_e32 v2, 0
	v_mov_b32_e32 v3, 0
	;; [unrolled: 1-line block ×3, first 2 shown]
	s_and_saveexec_b64 s[6:7], s[2:3]
	s_cbranch_execz .LBB308_7
; %bb.6:                                ;   in Loop: Header=BB308_5 Depth=1
	v_mad_i64_i32 v[3:4], s[2:3], v5, s19, 0
	v_lshlrev_b64 v[3:4], 3, v[3:4]
	v_add_co_u32_e64 v3, s[2:3], v15, v3
	v_addc_co_u32_e64 v4, s[2:3], v16, v4, s[2:3]
	global_load_dwordx2 v[3:4], v[3:4], off
.LBB308_7:                              ;   in Loop: Header=BB308_5 Depth=1
	s_or_b64 exec, exec, s[6:7]
	s_waitcnt vmcnt(0)
	ds_write_b64 v18, v[3:4]
	v_add_u32_e32 v4, s18, v0
	v_cmp_gt_i32_e64 s[2:3], s14, v4
	s_and_b64 s[2:3], s[0:1], s[2:3]
	v_mov_b32_e32 v3, 0
	s_and_saveexec_b64 s[6:7], s[2:3]
	s_cbranch_execz .LBB308_9
; %bb.8:                                ;   in Loop: Header=BB308_5 Depth=1
	v_mad_i64_i32 v[2:3], s[2:3], v4, s20, 0
	v_lshlrev_b64 v[2:3], 3, v[2:3]
	v_add_co_u32_e64 v2, s[2:3], v19, v2
	v_addc_co_u32_e64 v3, s[2:3], v20, v3, s[2:3]
	global_load_dwordx2 v[2:3], v[2:3], off
	s_waitcnt vmcnt(0)
	v_xor_b32_e32 v3, 0x80000000, v3
.LBB308_9:                              ;   in Loop: Header=BB308_5 Depth=1
	s_or_b64 exec, exec, s[6:7]
	v_add_u32_e32 v4, v21, v17
	ds_write_b64 v4, v[2:3]
	s_waitcnt lgkmcnt(0)
	s_barrier
	s_and_saveexec_b64 s[2:3], s[4:5]
	s_cbranch_execz .LBB308_4
; %bb.10:                               ;   in Loop: Header=BB308_5 Depth=1
	ds_read2_b64 v[2:5], v21 offset1:32
	ds_read_b128 v[6:9], v17
	ds_read_b128 v[25:28], v17 offset:16
	s_waitcnt lgkmcnt(1)
	v_mul_f32_e32 v29, v3, v7
	v_fma_f32 v34, v2, v6, -v29
	ds_read2_b64 v[29:32], v21 offset0:64 offset1:96
	v_mul_f32_e32 v33, v2, v7
	v_mul_f32_e32 v2, v5, v9
	v_fma_f32 v35, v4, v8, -v2
	v_fmac_f32_e32 v33, v3, v6
	s_waitcnt lgkmcnt(0)
	v_mul_f32_e32 v2, v30, v26
	v_mul_f32_e32 v36, v4, v9
	v_fma_f32 v37, v29, v25, -v2
	v_mul_f32_e32 v29, v29, v26
	v_mul_f32_e32 v2, v32, v28
	v_fmac_f32_e32 v36, v5, v8
	v_fmac_f32_e32 v29, v30, v25
	v_fma_f32 v30, v31, v27, -v2
	v_mul_f32_e32 v31, v31, v28
	v_add_f32_e32 v25, 0, v34
	v_add_f32_e32 v26, 0, v33
	v_fmac_f32_e32 v31, v32, v27
	ds_read_b128 v[2:5], v17 offset:32
	ds_read_b128 v[6:9], v17 offset:48
	v_add_f32_e32 v32, v25, v35
	v_add_f32_e32 v33, v26, v36
	ds_read2_b64 v[25:28], v21 offset0:128 offset1:160
	v_add_f32_e32 v29, v33, v29
	v_add_f32_e32 v29, v29, v31
	;; [unrolled: 1-line block ×4, first 2 shown]
	s_waitcnt lgkmcnt(0)
	v_mul_f32_e32 v31, v26, v3
	v_fma_f32 v31, v25, v2, -v31
	v_mul_f32_e32 v25, v25, v3
	v_fmac_f32_e32 v25, v26, v2
	v_mul_f32_e32 v2, v28, v5
	v_fma_f32 v26, v27, v4, -v2
	v_mul_f32_e32 v27, v27, v5
	v_fmac_f32_e32 v27, v28, v4
	ds_read2_b64 v[2:5], v21 offset0:192 offset1:224
	v_add_f32_e32 v25, v29, v25
	v_add_f32_e32 v28, v30, v31
	v_add_f32_e32 v29, v25, v27
	v_add_f32_e32 v26, v28, v26
	s_waitcnt lgkmcnt(0)
	v_mul_f32_e32 v25, v3, v7
	v_fma_f32 v25, v2, v6, -v25
	v_mul_f32_e32 v7, v2, v7
	v_mul_f32_e32 v2, v5, v9
	;; [unrolled: 1-line block ×3, first 2 shown]
	v_fmac_f32_e32 v7, v3, v6
	v_add_f32_e32 v6, v26, v25
	v_fma_f32 v30, v4, v8, -v2
	ds_read_b128 v[25:28], v17 offset:64
	v_fmac_f32_e32 v9, v5, v8
	ds_read2_b64 v[2:5], v22 offset1:32
	v_add_f32_e32 v7, v29, v7
	v_add_f32_e32 v29, v6, v30
	;; [unrolled: 1-line block ×3, first 2 shown]
	ds_read_b128 v[6:9], v17 offset:80
	s_waitcnt lgkmcnt(1)
	v_mul_f32_e32 v31, v3, v26
	v_fma_f32 v31, v2, v25, -v31
	v_mul_f32_e32 v26, v2, v26
	v_mul_f32_e32 v2, v5, v28
	;; [unrolled: 1-line block ×3, first 2 shown]
	v_fmac_f32_e32 v26, v3, v25
	v_fma_f32 v25, v4, v27, -v2
	v_fmac_f32_e32 v28, v5, v27
	ds_read2_b64 v[2:5], v22 offset0:64 offset1:96
	v_add_f32_e32 v26, v30, v26
	v_add_f32_e32 v27, v29, v31
	;; [unrolled: 1-line block ×4, first 2 shown]
	s_waitcnt lgkmcnt(0)
	v_mul_f32_e32 v26, v3, v7
	v_fma_f32 v26, v2, v6, -v26
	v_mul_f32_e32 v7, v2, v7
	v_mul_f32_e32 v2, v5, v9
	v_mul_f32_e32 v9, v4, v9
	v_fmac_f32_e32 v7, v3, v6
	v_add_f32_e32 v6, v25, v26
	v_fma_f32 v30, v4, v8, -v2
	ds_read_b128 v[25:28], v17 offset:96
	v_fmac_f32_e32 v9, v5, v8
	ds_read2_b64 v[2:5], v22 offset0:128 offset1:160
	v_add_f32_e32 v7, v29, v7
	v_add_f32_e32 v29, v6, v30
	v_add_f32_e32 v30, v7, v9
	ds_read_b128 v[6:9], v17 offset:112
	s_waitcnt lgkmcnt(1)
	v_mul_f32_e32 v31, v3, v26
	v_fma_f32 v31, v2, v25, -v31
	v_mul_f32_e32 v26, v2, v26
	v_mul_f32_e32 v2, v5, v28
	;; [unrolled: 1-line block ×3, first 2 shown]
	v_fmac_f32_e32 v26, v3, v25
	v_fma_f32 v25, v4, v27, -v2
	v_fmac_f32_e32 v28, v5, v27
	ds_read2_b64 v[2:5], v22 offset0:192 offset1:224
	v_add_f32_e32 v26, v30, v26
	v_add_f32_e32 v27, v29, v31
	;; [unrolled: 1-line block ×4, first 2 shown]
	s_waitcnt lgkmcnt(0)
	v_mul_f32_e32 v26, v3, v7
	v_fma_f32 v26, v2, v6, -v26
	v_mul_f32_e32 v7, v2, v7
	v_mul_f32_e32 v2, v5, v9
	;; [unrolled: 1-line block ×3, first 2 shown]
	v_fmac_f32_e32 v7, v3, v6
	v_add_f32_e32 v6, v25, v26
	v_fma_f32 v30, v4, v8, -v2
	ds_read_b128 v[25:28], v17 offset:128
	v_fmac_f32_e32 v9, v5, v8
	ds_read2_b64 v[2:5], v23 offset1:32
	v_add_f32_e32 v7, v29, v7
	v_add_f32_e32 v29, v6, v30
	;; [unrolled: 1-line block ×3, first 2 shown]
	ds_read_b128 v[6:9], v17 offset:144
	s_waitcnt lgkmcnt(1)
	v_mul_f32_e32 v31, v3, v26
	v_fma_f32 v31, v2, v25, -v31
	v_mul_f32_e32 v2, v2, v26
	v_fmac_f32_e32 v2, v3, v25
	v_mul_f32_e32 v3, v5, v28
	v_fma_f32 v3, v4, v27, -v3
	v_mul_f32_e32 v4, v4, v28
	v_fmac_f32_e32 v4, v5, v27
	ds_read2_b64 v[25:28], v23 offset0:64 offset1:96
	v_add_f32_e32 v2, v30, v2
	v_add_f32_e32 v30, v2, v4
	;; [unrolled: 1-line block ×4, first 2 shown]
	s_waitcnt lgkmcnt(0)
	v_mul_f32_e32 v2, v26, v7
	v_fma_f32 v31, v25, v6, -v2
	v_mul_f32_e32 v25, v25, v7
	v_mul_f32_e32 v2, v28, v9
	v_fmac_f32_e32 v25, v26, v6
	v_fma_f32 v26, v27, v8, -v2
	v_mul_f32_e32 v27, v27, v9
	ds_read_b128 v[2:5], v17 offset:160
	v_fmac_f32_e32 v27, v28, v8
	ds_read2_b64 v[6:9], v23 offset0:128 offset1:160
	v_add_f32_e32 v28, v29, v31
	v_add_f32_e32 v29, v30, v25
	v_add_f32_e32 v25, v28, v26
	v_add_f32_e32 v26, v29, v27
	ds_read_b128 v[27:30], v17 offset:176
	s_waitcnt lgkmcnt(1)
	v_mul_f32_e32 v31, v7, v3
	v_fma_f32 v33, v6, v2, -v31
	global_load_dwordx2 v[31:32], v[13:14], off
	v_mul_f32_e32 v6, v6, v3
	v_fmac_f32_e32 v6, v7, v2
	v_mul_f32_e32 v2, v9, v5
	v_fma_f32 v7, v8, v4, -v2
	v_mul_f32_e32 v8, v8, v5
	v_fmac_f32_e32 v8, v9, v4
	ds_read2_b64 v[2:5], v23 offset0:192 offset1:224
	v_add_f32_e32 v6, v26, v6
	v_add_f32_e32 v26, v6, v8
	;; [unrolled: 1-line block ×4, first 2 shown]
	s_waitcnt lgkmcnt(0)
	v_mul_f32_e32 v6, v3, v28
	v_fma_f32 v33, v2, v27, -v6
	v_mul_f32_e32 v28, v2, v28
	v_mul_f32_e32 v2, v5, v30
	;; [unrolled: 1-line block ×3, first 2 shown]
	v_fmac_f32_e32 v28, v3, v27
	v_fma_f32 v27, v4, v29, -v2
	v_fmac_f32_e32 v30, v5, v29
	ds_read_b128 v[2:5], v17 offset:192
	ds_read2_b64 v[6:9], v24 offset1:32
	v_add_f32_e32 v25, v25, v33
	v_add_f32_e32 v26, v26, v28
	;; [unrolled: 1-line block ×4, first 2 shown]
	s_waitcnt lgkmcnt(0)
	v_mul_f32_e32 v33, v7, v3
	v_fma_f32 v33, v6, v2, -v33
	v_mul_f32_e32 v6, v6, v3
	v_fmac_f32_e32 v6, v7, v2
	v_mul_f32_e32 v2, v9, v5
	v_fma_f32 v7, v8, v4, -v2
	v_mul_f32_e32 v8, v8, v5
	ds_read_b128 v[25:28], v17 offset:208
	v_fmac_f32_e32 v8, v9, v4
	ds_read2_b64 v[2:5], v24 offset0:64 offset1:96
	v_add_f32_e32 v6, v30, v6
	v_add_f32_e32 v30, v6, v8
	;; [unrolled: 1-line block ×4, first 2 shown]
	s_waitcnt lgkmcnt(0)
	v_mul_f32_e32 v6, v3, v26
	v_fma_f32 v33, v2, v25, -v6
	v_mul_f32_e32 v26, v2, v26
	v_mul_f32_e32 v2, v5, v28
	;; [unrolled: 1-line block ×3, first 2 shown]
	v_fmac_f32_e32 v26, v3, v25
	v_fma_f32 v25, v4, v27, -v2
	v_fmac_f32_e32 v28, v5, v27
	ds_read_b128 v[2:5], v17 offset:224
	ds_read2_b64 v[6:9], v24 offset0:128 offset1:160
	v_add_f32_e32 v27, v29, v33
	v_add_f32_e32 v26, v30, v26
	;; [unrolled: 1-line block ×4, first 2 shown]
	s_waitcnt lgkmcnt(0)
	v_mul_f32_e32 v33, v7, v3
	v_fma_f32 v33, v6, v2, -v33
	v_mul_f32_e32 v6, v6, v3
	v_fmac_f32_e32 v6, v7, v2
	v_mul_f32_e32 v2, v9, v5
	v_fma_f32 v7, v8, v4, -v2
	v_mul_f32_e32 v8, v8, v5
	ds_read_b128 v[25:28], v17 offset:240
	v_fmac_f32_e32 v8, v9, v4
	ds_read2_b64 v[2:5], v24 offset0:192 offset1:224
	v_add_f32_e32 v6, v30, v6
	v_add_f32_e32 v6, v6, v8
	v_add_f32_e32 v9, v29, v33
	v_add_f32_e32 v7, v9, v7
	s_waitcnt lgkmcnt(0)
	v_mul_f32_e32 v8, v3, v26
	v_fma_f32 v8, v2, v25, -v8
	v_mul_f32_e32 v2, v2, v26
	v_fmac_f32_e32 v2, v3, v25
	v_add_f32_e32 v2, v6, v2
	v_mul_f32_e32 v6, v5, v28
	v_fma_f32 v6, v4, v27, -v6
	v_mul_f32_e32 v4, v4, v28
	v_fmac_f32_e32 v4, v5, v27
	v_add_f32_e32 v3, v7, v8
	v_add_f32_e32 v2, v2, v4
	v_add_f32_e32 v3, v3, v6
	v_mul_f32_e32 v4, s9, v2
	v_mul_f32_e32 v5, s15, v2
	v_fma_f32 v4, s15, v3, -v4
	v_fmac_f32_e32 v5, s9, v3
	s_waitcnt vmcnt(0)
	v_add_f32_e32 v2, v31, v4
	v_add_f32_e32 v3, v32, v5
	global_store_dwordx2 v[13:14], v[2:3], off
	s_branch .LBB308_4
.LBB308_11:
	v_cmp_eq_u32_e32 vcc, v10, v12
	v_cmp_gt_i32_e64 s[0:1], s13, v10
	s_and_b64 s[0:1], vcc, s[0:1]
	s_and_saveexec_b64 s[2:3], s[0:1]
	s_cbranch_execz .LBB308_13
; %bb.12:
	v_mad_i64_i32 v[0:1], s[0:1], s10, v10, 0
	v_mov_b32_e32 v2, s12
	v_lshlrev_b64 v[0:1], 3, v[0:1]
	v_add_co_u32_e32 v3, vcc, s11, v0
	v_addc_co_u32_e32 v2, vcc, v2, v1, vcc
	v_lshlrev_b64 v[0:1], 3, v[10:11]
	v_add_co_u32_e32 v0, vcc, v3, v0
	v_addc_co_u32_e32 v1, vcc, v2, v1, vcc
	v_mov_b32_e32 v2, 0
	global_store_dword v[0:1], v2, off offset:4
.LBB308_13:
	s_endpgm
	.section	.rodata,"a",@progbits
	.p2align	6, 0x0
	.amdhsa_kernel _ZL26rocblas_syr2k_her2k_kernelIiLb0ELb1ELb0ELi32E19rocblas_complex_numIfEPKS1_PS1_EvbiT_T4_T5_S5_lS7_S5_lT6_S5_li
		.amdhsa_group_segment_fixed_size 16384
		.amdhsa_private_segment_fixed_size 0
		.amdhsa_kernarg_size 100
		.amdhsa_user_sgpr_count 6
		.amdhsa_user_sgpr_private_segment_buffer 1
		.amdhsa_user_sgpr_dispatch_ptr 0
		.amdhsa_user_sgpr_queue_ptr 0
		.amdhsa_user_sgpr_kernarg_segment_ptr 1
		.amdhsa_user_sgpr_dispatch_id 0
		.amdhsa_user_sgpr_flat_scratch_init 0
		.amdhsa_user_sgpr_private_segment_size 0
		.amdhsa_uses_dynamic_stack 0
		.amdhsa_system_sgpr_private_segment_wavefront_offset 0
		.amdhsa_system_sgpr_workgroup_id_x 1
		.amdhsa_system_sgpr_workgroup_id_y 1
		.amdhsa_system_sgpr_workgroup_id_z 1
		.amdhsa_system_sgpr_workgroup_info 0
		.amdhsa_system_vgpr_workitem_id 1
		.amdhsa_next_free_vgpr 38
		.amdhsa_next_free_sgpr 61
		.amdhsa_reserve_vcc 1
		.amdhsa_reserve_flat_scratch 0
		.amdhsa_float_round_mode_32 0
		.amdhsa_float_round_mode_16_64 0
		.amdhsa_float_denorm_mode_32 3
		.amdhsa_float_denorm_mode_16_64 3
		.amdhsa_dx10_clamp 1
		.amdhsa_ieee_mode 1
		.amdhsa_fp16_overflow 0
		.amdhsa_exception_fp_ieee_invalid_op 0
		.amdhsa_exception_fp_denorm_src 0
		.amdhsa_exception_fp_ieee_div_zero 0
		.amdhsa_exception_fp_ieee_overflow 0
		.amdhsa_exception_fp_ieee_underflow 0
		.amdhsa_exception_fp_ieee_inexact 0
		.amdhsa_exception_int_div_zero 0
	.end_amdhsa_kernel
	.section	.text._ZL26rocblas_syr2k_her2k_kernelIiLb0ELb1ELb0ELi32E19rocblas_complex_numIfEPKS1_PS1_EvbiT_T4_T5_S5_lS7_S5_lT6_S5_li,"axG",@progbits,_ZL26rocblas_syr2k_her2k_kernelIiLb0ELb1ELb0ELi32E19rocblas_complex_numIfEPKS1_PS1_EvbiT_T4_T5_S5_lS7_S5_lT6_S5_li,comdat
.Lfunc_end308:
	.size	_ZL26rocblas_syr2k_her2k_kernelIiLb0ELb1ELb0ELi32E19rocblas_complex_numIfEPKS1_PS1_EvbiT_T4_T5_S5_lS7_S5_lT6_S5_li, .Lfunc_end308-_ZL26rocblas_syr2k_her2k_kernelIiLb0ELb1ELb0ELi32E19rocblas_complex_numIfEPKS1_PS1_EvbiT_T4_T5_S5_lS7_S5_lT6_S5_li
                                        ; -- End function
	.set _ZL26rocblas_syr2k_her2k_kernelIiLb0ELb1ELb0ELi32E19rocblas_complex_numIfEPKS1_PS1_EvbiT_T4_T5_S5_lS7_S5_lT6_S5_li.num_vgpr, 38
	.set _ZL26rocblas_syr2k_her2k_kernelIiLb0ELb1ELb0ELi32E19rocblas_complex_numIfEPKS1_PS1_EvbiT_T4_T5_S5_lS7_S5_lT6_S5_li.num_agpr, 0
	.set _ZL26rocblas_syr2k_her2k_kernelIiLb0ELb1ELb0ELi32E19rocblas_complex_numIfEPKS1_PS1_EvbiT_T4_T5_S5_lS7_S5_lT6_S5_li.numbered_sgpr, 28
	.set _ZL26rocblas_syr2k_her2k_kernelIiLb0ELb1ELb0ELi32E19rocblas_complex_numIfEPKS1_PS1_EvbiT_T4_T5_S5_lS7_S5_lT6_S5_li.num_named_barrier, 0
	.set _ZL26rocblas_syr2k_her2k_kernelIiLb0ELb1ELb0ELi32E19rocblas_complex_numIfEPKS1_PS1_EvbiT_T4_T5_S5_lS7_S5_lT6_S5_li.private_seg_size, 0
	.set _ZL26rocblas_syr2k_her2k_kernelIiLb0ELb1ELb0ELi32E19rocblas_complex_numIfEPKS1_PS1_EvbiT_T4_T5_S5_lS7_S5_lT6_S5_li.uses_vcc, 1
	.set _ZL26rocblas_syr2k_her2k_kernelIiLb0ELb1ELb0ELi32E19rocblas_complex_numIfEPKS1_PS1_EvbiT_T4_T5_S5_lS7_S5_lT6_S5_li.uses_flat_scratch, 0
	.set _ZL26rocblas_syr2k_her2k_kernelIiLb0ELb1ELb0ELi32E19rocblas_complex_numIfEPKS1_PS1_EvbiT_T4_T5_S5_lS7_S5_lT6_S5_li.has_dyn_sized_stack, 0
	.set _ZL26rocblas_syr2k_her2k_kernelIiLb0ELb1ELb0ELi32E19rocblas_complex_numIfEPKS1_PS1_EvbiT_T4_T5_S5_lS7_S5_lT6_S5_li.has_recursion, 0
	.set _ZL26rocblas_syr2k_her2k_kernelIiLb0ELb1ELb0ELi32E19rocblas_complex_numIfEPKS1_PS1_EvbiT_T4_T5_S5_lS7_S5_lT6_S5_li.has_indirect_call, 0
	.section	.AMDGPU.csdata,"",@progbits
; Kernel info:
; codeLenInByte = 2044
; TotalNumSgprs: 32
; NumVgprs: 38
; ScratchSize: 0
; MemoryBound: 0
; FloatMode: 240
; IeeeMode: 1
; LDSByteSize: 16384 bytes/workgroup (compile time only)
; SGPRBlocks: 8
; VGPRBlocks: 9
; NumSGPRsForWavesPerEU: 65
; NumVGPRsForWavesPerEU: 38
; Occupancy: 6
; WaveLimiterHint : 0
; COMPUTE_PGM_RSRC2:SCRATCH_EN: 0
; COMPUTE_PGM_RSRC2:USER_SGPR: 6
; COMPUTE_PGM_RSRC2:TRAP_HANDLER: 0
; COMPUTE_PGM_RSRC2:TGID_X_EN: 1
; COMPUTE_PGM_RSRC2:TGID_Y_EN: 1
; COMPUTE_PGM_RSRC2:TGID_Z_EN: 1
; COMPUTE_PGM_RSRC2:TIDIG_COMP_CNT: 1
	.section	.text._ZL26rocblas_syr2k_her2k_kernelIiLb0ELb1ELb1ELi32E19rocblas_complex_numIfEPKS1_PS1_EvbiT_T4_T5_S5_lS7_S5_lT6_S5_li,"axG",@progbits,_ZL26rocblas_syr2k_her2k_kernelIiLb0ELb1ELb1ELi32E19rocblas_complex_numIfEPKS1_PS1_EvbiT_T4_T5_S5_lS7_S5_lT6_S5_li,comdat
	.globl	_ZL26rocblas_syr2k_her2k_kernelIiLb0ELb1ELb1ELi32E19rocblas_complex_numIfEPKS1_PS1_EvbiT_T4_T5_S5_lS7_S5_lT6_S5_li ; -- Begin function _ZL26rocblas_syr2k_her2k_kernelIiLb0ELb1ELb1ELi32E19rocblas_complex_numIfEPKS1_PS1_EvbiT_T4_T5_S5_lS7_S5_lT6_S5_li
	.p2align	8
	.type	_ZL26rocblas_syr2k_her2k_kernelIiLb0ELb1ELb1ELi32E19rocblas_complex_numIfEPKS1_PS1_EvbiT_T4_T5_S5_lS7_S5_lT6_S5_li,@function
_ZL26rocblas_syr2k_her2k_kernelIiLb0ELb1ELb1ELi32E19rocblas_complex_numIfEPKS1_PS1_EvbiT_T4_T5_S5_lS7_S5_lT6_S5_li: ; @_ZL26rocblas_syr2k_her2k_kernelIiLb0ELb1ELb1ELi32E19rocblas_complex_numIfEPKS1_PS1_EvbiT_T4_T5_S5_lS7_S5_lT6_S5_li
; %bb.0:
	s_load_dwordx4 s[12:15], s[4:5], 0x0
	s_load_dword s9, s[4:5], 0x10
	s_waitcnt lgkmcnt(0)
	v_cmp_eq_f32_e64 s[0:1], s15, 0
	v_cmp_eq_f32_e64 s[2:3], s9, 0
	s_and_b64 s[0:1], s[0:1], s[2:3]
	s_and_b64 vcc, exec, s[0:1]
	s_cbranch_vccnz .LBB309_13
; %bb.1:
	s_and_b32 s0, 1, s12
	s_lshl_b32 s2, s7, 5
	s_lshl_b32 s3, s6, 5
	s_cmp_eq_u32 s0, 1
	s_cselect_b64 s[0:1], -1, 0
	s_and_b64 s[6:7], s[0:1], exec
	s_cselect_b32 s6, s3, s2
	s_cselect_b32 s7, s2, s3
	s_cmp_gt_i32 s6, s7
	s_cbranch_scc1 .LBB309_13
; %bb.2:
	s_load_dwordx2 s[6:7], s[4:5], 0x58
	s_load_dwordx4 s[16:19], s[4:5], 0x40
	s_load_dword s10, s[4:5], 0x50
	v_add_u32_e32 v10, s3, v0
	v_add_u32_e32 v14, s2, v1
	s_waitcnt lgkmcnt(0)
	s_mul_i32 s7, s7, s8
	s_mul_hi_u32 s11, s6, s8
	s_mul_i32 s6, s6, s8
	s_add_i32 s7, s11, s7
	s_lshl_b64 s[6:7], s[6:7], 3
	s_add_u32 s11, s18, s6
	s_addc_u32 s12, s19, s7
	s_cmp_lt_i32 s14, 1
	v_cmp_gt_i32_e32 vcc, s13, v10
	v_ashrrev_i32_e32 v11, 31, v10
	s_cbranch_scc1 .LBB309_11
; %bb.3:
	s_load_dwordx4 s[20:23], s[4:5], 0x28
	s_load_dwordx2 s[2:3], s[4:5], 0x18
	s_load_dword s6, s[4:5], 0x20
	s_load_dword s7, s[4:5], 0x38
	v_cndmask_b32_e64 v4, v10, v14, s[0:1]
	v_cndmask_b32_e64 v5, v14, v10, s[0:1]
	v_lshlrev_b32_e32 v17, 8, v0
	s_waitcnt lgkmcnt(0)
	s_mul_i32 s4, s21, s8
	s_mul_hi_u32 s5, s20, s8
	s_add_i32 s5, s5, s4
	s_mul_i32 s4, s20, s8
	s_lshl_b64 s[4:5], s[4:5], 3
	s_add_u32 s19, s2, s4
	s_addc_u32 s20, s3, s5
	v_mad_i64_i32 v[2:3], s[4:5], s6, v10, 0
	v_mov_b32_e32 v6, s20
	s_mul_i32 s2, s17, s8
	v_lshlrev_b64 v[2:3], 3, v[2:3]
	s_mul_hi_u32 s3, s16, s8
	v_add_co_u32_e64 v15, s[0:1], s19, v2
	v_addc_co_u32_e64 v16, s[0:1], v6, v3, s[0:1]
	v_mad_i64_i32 v[2:3], s[0:1], s7, v14, 0
	s_add_i32 s3, s3, s2
	s_mul_i32 s2, s16, s8
	s_lshl_b64 s[2:3], s[2:3], 3
	s_add_u32 s2, s22, s2
	v_lshlrev_b64 v[2:3], 3, v[2:3]
	s_addc_u32 s3, s23, s3
	v_mov_b32_e32 v7, s3
	v_add_co_u32_e64 v19, s[2:3], s2, v2
	v_addc_co_u32_e64 v20, s[2:3], v7, v3, s[2:3]
	v_mad_i64_i32 v[2:3], s[2:3], s10, v14, 0
	v_cmp_gt_i32_e64 s[0:1], s13, v14
	v_cmp_le_i32_e64 s[2:3], v5, v4
	v_lshlrev_b64 v[2:3], 3, v[2:3]
	s_and_b64 s[4:5], s[0:1], vcc
	s_and_b64 s[4:5], s[4:5], s[2:3]
	v_mov_b32_e32 v4, s12
	v_add_co_u32_e64 v5, s[2:3], s11, v2
	v_addc_co_u32_e64 v4, s[2:3], v4, v3, s[2:3]
	v_lshlrev_b64 v[2:3], 3, v[10:11]
	v_lshlrev_b32_e32 v6, 3, v1
	v_or_b32_e32 v21, 0x2000, v6
	v_add_co_u32_e64 v12, s[2:3], v5, v2
	s_mov_b32 s18, 0
	v_add_u32_e32 v18, v17, v6
	v_addc_co_u32_e64 v13, s[2:3], v4, v3, s[2:3]
	v_add_u32_e32 v22, 0x800, v21
	v_add_u32_e32 v23, 0x1000, v21
	;; [unrolled: 1-line block ×3, first 2 shown]
	s_branch .LBB309_5
.LBB309_4:                              ;   in Loop: Header=BB309_5 Depth=1
	s_or_b64 exec, exec, s[2:3]
	s_add_i32 s18, s18, 32
	s_cmp_ge_i32 s18, s14
	s_waitcnt vmcnt(0)
	s_barrier
	s_cbranch_scc1 .LBB309_11
.LBB309_5:                              ; =>This Inner Loop Header: Depth=1
	v_add_u32_e32 v5, s18, v1
	v_cmp_gt_i32_e64 s[2:3], s14, v5
	s_and_b64 s[2:3], vcc, s[2:3]
	v_mov_b32_e32 v4, 0
	v_mov_b32_e32 v2, 0
	;; [unrolled: 1-line block ×3, first 2 shown]
	s_and_saveexec_b64 s[6:7], s[2:3]
	s_cbranch_execz .LBB309_7
; %bb.6:                                ;   in Loop: Header=BB309_5 Depth=1
	v_ashrrev_i32_e32 v6, 31, v5
	v_lshlrev_b64 v[3:4], 3, v[5:6]
	v_add_co_u32_e64 v3, s[2:3], v15, v3
	v_addc_co_u32_e64 v4, s[2:3], v16, v4, s[2:3]
	global_load_dwordx2 v[3:4], v[3:4], off
	s_waitcnt vmcnt(0)
	v_xor_b32_e32 v4, 0x80000000, v4
.LBB309_7:                              ;   in Loop: Header=BB309_5 Depth=1
	s_or_b64 exec, exec, s[6:7]
	ds_write_b64 v18, v[3:4]
	v_add_u32_e32 v4, s18, v0
	v_cmp_gt_i32_e64 s[2:3], s14, v4
	s_and_b64 s[2:3], s[0:1], s[2:3]
	v_mov_b32_e32 v3, 0
	s_and_saveexec_b64 s[6:7], s[2:3]
	s_cbranch_execz .LBB309_9
; %bb.8:                                ;   in Loop: Header=BB309_5 Depth=1
	v_ashrrev_i32_e32 v5, 31, v4
	v_lshlrev_b64 v[2:3], 3, v[4:5]
	v_add_co_u32_e64 v2, s[2:3], v19, v2
	v_addc_co_u32_e64 v3, s[2:3], v20, v3, s[2:3]
	global_load_dwordx2 v[2:3], v[2:3], off
.LBB309_9:                              ;   in Loop: Header=BB309_5 Depth=1
	s_or_b64 exec, exec, s[6:7]
	v_add_u32_e32 v4, v21, v17
	s_waitcnt vmcnt(0)
	ds_write_b64 v4, v[2:3]
	s_waitcnt lgkmcnt(0)
	s_barrier
	s_and_saveexec_b64 s[2:3], s[4:5]
	s_cbranch_execz .LBB309_4
; %bb.10:                               ;   in Loop: Header=BB309_5 Depth=1
	ds_read2_b64 v[2:5], v21 offset1:32
	ds_read_b128 v[6:9], v17
	ds_read_b128 v[25:28], v17 offset:16
	s_waitcnt lgkmcnt(1)
	v_mul_f32_e32 v29, v3, v7
	v_fma_f32 v34, v2, v6, -v29
	ds_read2_b64 v[29:32], v21 offset0:64 offset1:96
	v_mul_f32_e32 v33, v2, v7
	v_mul_f32_e32 v2, v5, v9
	v_fma_f32 v35, v4, v8, -v2
	v_fmac_f32_e32 v33, v3, v6
	s_waitcnt lgkmcnt(0)
	v_mul_f32_e32 v2, v30, v26
	v_mul_f32_e32 v36, v4, v9
	v_fma_f32 v37, v29, v25, -v2
	v_mul_f32_e32 v29, v29, v26
	v_mul_f32_e32 v2, v32, v28
	v_fmac_f32_e32 v36, v5, v8
	v_fmac_f32_e32 v29, v30, v25
	v_fma_f32 v30, v31, v27, -v2
	v_mul_f32_e32 v31, v31, v28
	v_add_f32_e32 v25, 0, v34
	v_add_f32_e32 v26, 0, v33
	v_fmac_f32_e32 v31, v32, v27
	ds_read_b128 v[2:5], v17 offset:32
	ds_read_b128 v[6:9], v17 offset:48
	v_add_f32_e32 v32, v25, v35
	v_add_f32_e32 v33, v26, v36
	ds_read2_b64 v[25:28], v21 offset0:128 offset1:160
	v_add_f32_e32 v29, v33, v29
	v_add_f32_e32 v29, v29, v31
	;; [unrolled: 1-line block ×4, first 2 shown]
	s_waitcnt lgkmcnt(0)
	v_mul_f32_e32 v31, v26, v3
	v_fma_f32 v31, v25, v2, -v31
	v_mul_f32_e32 v25, v25, v3
	v_fmac_f32_e32 v25, v26, v2
	v_mul_f32_e32 v2, v28, v5
	v_fma_f32 v26, v27, v4, -v2
	v_mul_f32_e32 v27, v27, v5
	v_fmac_f32_e32 v27, v28, v4
	ds_read2_b64 v[2:5], v21 offset0:192 offset1:224
	v_add_f32_e32 v25, v29, v25
	v_add_f32_e32 v28, v30, v31
	;; [unrolled: 1-line block ×4, first 2 shown]
	s_waitcnt lgkmcnt(0)
	v_mul_f32_e32 v25, v3, v7
	v_fma_f32 v25, v2, v6, -v25
	v_mul_f32_e32 v7, v2, v7
	v_mul_f32_e32 v2, v5, v9
	;; [unrolled: 1-line block ×3, first 2 shown]
	v_fmac_f32_e32 v7, v3, v6
	v_add_f32_e32 v6, v26, v25
	v_fma_f32 v30, v4, v8, -v2
	ds_read_b128 v[25:28], v17 offset:64
	v_fmac_f32_e32 v9, v5, v8
	ds_read2_b64 v[2:5], v22 offset1:32
	v_add_f32_e32 v7, v29, v7
	v_add_f32_e32 v29, v6, v30
	v_add_f32_e32 v30, v7, v9
	ds_read_b128 v[6:9], v17 offset:80
	s_waitcnt lgkmcnt(1)
	v_mul_f32_e32 v31, v3, v26
	v_fma_f32 v31, v2, v25, -v31
	v_mul_f32_e32 v26, v2, v26
	v_mul_f32_e32 v2, v5, v28
	;; [unrolled: 1-line block ×3, first 2 shown]
	v_fmac_f32_e32 v26, v3, v25
	v_fma_f32 v25, v4, v27, -v2
	v_fmac_f32_e32 v28, v5, v27
	ds_read2_b64 v[2:5], v22 offset0:64 offset1:96
	v_add_f32_e32 v26, v30, v26
	v_add_f32_e32 v27, v29, v31
	;; [unrolled: 1-line block ×4, first 2 shown]
	s_waitcnt lgkmcnt(0)
	v_mul_f32_e32 v26, v3, v7
	v_fma_f32 v26, v2, v6, -v26
	v_mul_f32_e32 v7, v2, v7
	v_mul_f32_e32 v2, v5, v9
	;; [unrolled: 1-line block ×3, first 2 shown]
	v_fmac_f32_e32 v7, v3, v6
	v_add_f32_e32 v6, v25, v26
	v_fma_f32 v30, v4, v8, -v2
	ds_read_b128 v[25:28], v17 offset:96
	v_fmac_f32_e32 v9, v5, v8
	ds_read2_b64 v[2:5], v22 offset0:128 offset1:160
	v_add_f32_e32 v7, v29, v7
	v_add_f32_e32 v29, v6, v30
	;; [unrolled: 1-line block ×3, first 2 shown]
	ds_read_b128 v[6:9], v17 offset:112
	s_waitcnt lgkmcnt(1)
	v_mul_f32_e32 v31, v3, v26
	v_fma_f32 v31, v2, v25, -v31
	v_mul_f32_e32 v26, v2, v26
	v_mul_f32_e32 v2, v5, v28
	;; [unrolled: 1-line block ×3, first 2 shown]
	v_fmac_f32_e32 v26, v3, v25
	v_fma_f32 v25, v4, v27, -v2
	v_fmac_f32_e32 v28, v5, v27
	ds_read2_b64 v[2:5], v22 offset0:192 offset1:224
	v_add_f32_e32 v26, v30, v26
	v_add_f32_e32 v27, v29, v31
	;; [unrolled: 1-line block ×4, first 2 shown]
	s_waitcnt lgkmcnt(0)
	v_mul_f32_e32 v26, v3, v7
	v_fma_f32 v26, v2, v6, -v26
	v_mul_f32_e32 v7, v2, v7
	v_mul_f32_e32 v2, v5, v9
	;; [unrolled: 1-line block ×3, first 2 shown]
	v_fmac_f32_e32 v7, v3, v6
	v_add_f32_e32 v6, v25, v26
	v_fma_f32 v30, v4, v8, -v2
	ds_read_b128 v[25:28], v17 offset:128
	v_fmac_f32_e32 v9, v5, v8
	ds_read2_b64 v[2:5], v23 offset1:32
	v_add_f32_e32 v7, v29, v7
	v_add_f32_e32 v29, v6, v30
	;; [unrolled: 1-line block ×3, first 2 shown]
	ds_read_b128 v[6:9], v17 offset:144
	s_waitcnt lgkmcnt(1)
	v_mul_f32_e32 v31, v3, v26
	v_fma_f32 v31, v2, v25, -v31
	v_mul_f32_e32 v2, v2, v26
	v_fmac_f32_e32 v2, v3, v25
	v_mul_f32_e32 v3, v5, v28
	v_fma_f32 v3, v4, v27, -v3
	v_mul_f32_e32 v4, v4, v28
	v_fmac_f32_e32 v4, v5, v27
	ds_read2_b64 v[25:28], v23 offset0:64 offset1:96
	v_add_f32_e32 v2, v30, v2
	v_add_f32_e32 v30, v2, v4
	;; [unrolled: 1-line block ×4, first 2 shown]
	s_waitcnt lgkmcnt(0)
	v_mul_f32_e32 v2, v26, v7
	v_fma_f32 v31, v25, v6, -v2
	v_mul_f32_e32 v25, v25, v7
	v_mul_f32_e32 v2, v28, v9
	v_fmac_f32_e32 v25, v26, v6
	v_fma_f32 v26, v27, v8, -v2
	v_mul_f32_e32 v27, v27, v9
	ds_read_b128 v[2:5], v17 offset:160
	v_fmac_f32_e32 v27, v28, v8
	ds_read2_b64 v[6:9], v23 offset0:128 offset1:160
	v_add_f32_e32 v28, v29, v31
	v_add_f32_e32 v29, v30, v25
	;; [unrolled: 1-line block ×4, first 2 shown]
	ds_read_b128 v[27:30], v17 offset:176
	s_waitcnt lgkmcnt(1)
	v_mul_f32_e32 v31, v7, v3
	v_fma_f32 v33, v6, v2, -v31
	global_load_dwordx2 v[31:32], v[12:13], off
	v_mul_f32_e32 v6, v6, v3
	v_fmac_f32_e32 v6, v7, v2
	v_mul_f32_e32 v2, v9, v5
	v_fma_f32 v7, v8, v4, -v2
	v_mul_f32_e32 v8, v8, v5
	v_fmac_f32_e32 v8, v9, v4
	ds_read2_b64 v[2:5], v23 offset0:192 offset1:224
	v_add_f32_e32 v6, v26, v6
	v_add_f32_e32 v26, v6, v8
	;; [unrolled: 1-line block ×4, first 2 shown]
	s_waitcnt lgkmcnt(0)
	v_mul_f32_e32 v6, v3, v28
	v_fma_f32 v33, v2, v27, -v6
	v_mul_f32_e32 v28, v2, v28
	v_mul_f32_e32 v2, v5, v30
	;; [unrolled: 1-line block ×3, first 2 shown]
	v_fmac_f32_e32 v28, v3, v27
	v_fma_f32 v27, v4, v29, -v2
	v_fmac_f32_e32 v30, v5, v29
	ds_read_b128 v[2:5], v17 offset:192
	ds_read2_b64 v[6:9], v24 offset1:32
	v_add_f32_e32 v25, v25, v33
	v_add_f32_e32 v26, v26, v28
	;; [unrolled: 1-line block ×4, first 2 shown]
	s_waitcnt lgkmcnt(0)
	v_mul_f32_e32 v33, v7, v3
	v_fma_f32 v33, v6, v2, -v33
	v_mul_f32_e32 v6, v6, v3
	v_fmac_f32_e32 v6, v7, v2
	v_mul_f32_e32 v2, v9, v5
	v_fma_f32 v7, v8, v4, -v2
	v_mul_f32_e32 v8, v8, v5
	ds_read_b128 v[25:28], v17 offset:208
	v_fmac_f32_e32 v8, v9, v4
	ds_read2_b64 v[2:5], v24 offset0:64 offset1:96
	v_add_f32_e32 v6, v30, v6
	v_add_f32_e32 v30, v6, v8
	;; [unrolled: 1-line block ×4, first 2 shown]
	s_waitcnt lgkmcnt(0)
	v_mul_f32_e32 v6, v3, v26
	v_fma_f32 v33, v2, v25, -v6
	v_mul_f32_e32 v26, v2, v26
	v_mul_f32_e32 v2, v5, v28
	;; [unrolled: 1-line block ×3, first 2 shown]
	v_fmac_f32_e32 v26, v3, v25
	v_fma_f32 v25, v4, v27, -v2
	v_fmac_f32_e32 v28, v5, v27
	ds_read_b128 v[2:5], v17 offset:224
	ds_read2_b64 v[6:9], v24 offset0:128 offset1:160
	v_add_f32_e32 v27, v29, v33
	v_add_f32_e32 v26, v30, v26
	;; [unrolled: 1-line block ×4, first 2 shown]
	s_waitcnt lgkmcnt(0)
	v_mul_f32_e32 v33, v7, v3
	v_fma_f32 v33, v6, v2, -v33
	v_mul_f32_e32 v6, v6, v3
	v_fmac_f32_e32 v6, v7, v2
	v_mul_f32_e32 v2, v9, v5
	v_fma_f32 v7, v8, v4, -v2
	v_mul_f32_e32 v8, v8, v5
	ds_read_b128 v[25:28], v17 offset:240
	v_fmac_f32_e32 v8, v9, v4
	ds_read2_b64 v[2:5], v24 offset0:192 offset1:224
	v_add_f32_e32 v6, v30, v6
	v_add_f32_e32 v6, v6, v8
	;; [unrolled: 1-line block ×4, first 2 shown]
	s_waitcnt lgkmcnt(0)
	v_mul_f32_e32 v8, v3, v26
	v_fma_f32 v8, v2, v25, -v8
	v_mul_f32_e32 v2, v2, v26
	v_fmac_f32_e32 v2, v3, v25
	v_add_f32_e32 v2, v6, v2
	v_mul_f32_e32 v6, v5, v28
	v_fma_f32 v6, v4, v27, -v6
	v_mul_f32_e32 v4, v4, v28
	v_fmac_f32_e32 v4, v5, v27
	v_add_f32_e32 v3, v7, v8
	v_add_f32_e32 v2, v2, v4
	;; [unrolled: 1-line block ×3, first 2 shown]
	v_mul_f32_e32 v4, s9, v2
	v_mul_f32_e32 v5, s15, v2
	v_fma_f32 v4, s15, v3, -v4
	v_fmac_f32_e32 v5, s9, v3
	s_waitcnt vmcnt(0)
	v_add_f32_e32 v2, v31, v4
	v_add_f32_e32 v3, v32, v5
	global_store_dwordx2 v[12:13], v[2:3], off
	s_branch .LBB309_4
.LBB309_11:
	v_cmp_eq_u32_e32 vcc, v10, v14
	v_cmp_gt_i32_e64 s[0:1], s13, v10
	s_and_b64 s[0:1], vcc, s[0:1]
	s_and_saveexec_b64 s[2:3], s[0:1]
	s_cbranch_execz .LBB309_13
; %bb.12:
	v_mad_i64_i32 v[0:1], s[0:1], s10, v10, 0
	v_mov_b32_e32 v2, s12
	v_lshlrev_b64 v[0:1], 3, v[0:1]
	v_add_co_u32_e32 v3, vcc, s11, v0
	v_addc_co_u32_e32 v2, vcc, v2, v1, vcc
	v_lshlrev_b64 v[0:1], 3, v[10:11]
	v_add_co_u32_e32 v0, vcc, v3, v0
	v_addc_co_u32_e32 v1, vcc, v2, v1, vcc
	v_mov_b32_e32 v2, 0
	global_store_dword v[0:1], v2, off offset:4
.LBB309_13:
	s_endpgm
	.section	.rodata,"a",@progbits
	.p2align	6, 0x0
	.amdhsa_kernel _ZL26rocblas_syr2k_her2k_kernelIiLb0ELb1ELb1ELi32E19rocblas_complex_numIfEPKS1_PS1_EvbiT_T4_T5_S5_lS7_S5_lT6_S5_li
		.amdhsa_group_segment_fixed_size 16384
		.amdhsa_private_segment_fixed_size 0
		.amdhsa_kernarg_size 100
		.amdhsa_user_sgpr_count 6
		.amdhsa_user_sgpr_private_segment_buffer 1
		.amdhsa_user_sgpr_dispatch_ptr 0
		.amdhsa_user_sgpr_queue_ptr 0
		.amdhsa_user_sgpr_kernarg_segment_ptr 1
		.amdhsa_user_sgpr_dispatch_id 0
		.amdhsa_user_sgpr_flat_scratch_init 0
		.amdhsa_user_sgpr_private_segment_size 0
		.amdhsa_uses_dynamic_stack 0
		.amdhsa_system_sgpr_private_segment_wavefront_offset 0
		.amdhsa_system_sgpr_workgroup_id_x 1
		.amdhsa_system_sgpr_workgroup_id_y 1
		.amdhsa_system_sgpr_workgroup_id_z 1
		.amdhsa_system_sgpr_workgroup_info 0
		.amdhsa_system_vgpr_workitem_id 1
		.amdhsa_next_free_vgpr 38
		.amdhsa_next_free_sgpr 61
		.amdhsa_reserve_vcc 1
		.amdhsa_reserve_flat_scratch 0
		.amdhsa_float_round_mode_32 0
		.amdhsa_float_round_mode_16_64 0
		.amdhsa_float_denorm_mode_32 3
		.amdhsa_float_denorm_mode_16_64 3
		.amdhsa_dx10_clamp 1
		.amdhsa_ieee_mode 1
		.amdhsa_fp16_overflow 0
		.amdhsa_exception_fp_ieee_invalid_op 0
		.amdhsa_exception_fp_denorm_src 0
		.amdhsa_exception_fp_ieee_div_zero 0
		.amdhsa_exception_fp_ieee_overflow 0
		.amdhsa_exception_fp_ieee_underflow 0
		.amdhsa_exception_fp_ieee_inexact 0
		.amdhsa_exception_int_div_zero 0
	.end_amdhsa_kernel
	.section	.text._ZL26rocblas_syr2k_her2k_kernelIiLb0ELb1ELb1ELi32E19rocblas_complex_numIfEPKS1_PS1_EvbiT_T4_T5_S5_lS7_S5_lT6_S5_li,"axG",@progbits,_ZL26rocblas_syr2k_her2k_kernelIiLb0ELb1ELb1ELi32E19rocblas_complex_numIfEPKS1_PS1_EvbiT_T4_T5_S5_lS7_S5_lT6_S5_li,comdat
.Lfunc_end309:
	.size	_ZL26rocblas_syr2k_her2k_kernelIiLb0ELb1ELb1ELi32E19rocblas_complex_numIfEPKS1_PS1_EvbiT_T4_T5_S5_lS7_S5_lT6_S5_li, .Lfunc_end309-_ZL26rocblas_syr2k_her2k_kernelIiLb0ELb1ELb1ELi32E19rocblas_complex_numIfEPKS1_PS1_EvbiT_T4_T5_S5_lS7_S5_lT6_S5_li
                                        ; -- End function
	.set _ZL26rocblas_syr2k_her2k_kernelIiLb0ELb1ELb1ELi32E19rocblas_complex_numIfEPKS1_PS1_EvbiT_T4_T5_S5_lS7_S5_lT6_S5_li.num_vgpr, 38
	.set _ZL26rocblas_syr2k_her2k_kernelIiLb0ELb1ELb1ELi32E19rocblas_complex_numIfEPKS1_PS1_EvbiT_T4_T5_S5_lS7_S5_lT6_S5_li.num_agpr, 0
	.set _ZL26rocblas_syr2k_her2k_kernelIiLb0ELb1ELb1ELi32E19rocblas_complex_numIfEPKS1_PS1_EvbiT_T4_T5_S5_lS7_S5_lT6_S5_li.numbered_sgpr, 24
	.set _ZL26rocblas_syr2k_her2k_kernelIiLb0ELb1ELb1ELi32E19rocblas_complex_numIfEPKS1_PS1_EvbiT_T4_T5_S5_lS7_S5_lT6_S5_li.num_named_barrier, 0
	.set _ZL26rocblas_syr2k_her2k_kernelIiLb0ELb1ELb1ELi32E19rocblas_complex_numIfEPKS1_PS1_EvbiT_T4_T5_S5_lS7_S5_lT6_S5_li.private_seg_size, 0
	.set _ZL26rocblas_syr2k_her2k_kernelIiLb0ELb1ELb1ELi32E19rocblas_complex_numIfEPKS1_PS1_EvbiT_T4_T5_S5_lS7_S5_lT6_S5_li.uses_vcc, 1
	.set _ZL26rocblas_syr2k_her2k_kernelIiLb0ELb1ELb1ELi32E19rocblas_complex_numIfEPKS1_PS1_EvbiT_T4_T5_S5_lS7_S5_lT6_S5_li.uses_flat_scratch, 0
	.set _ZL26rocblas_syr2k_her2k_kernelIiLb0ELb1ELb1ELi32E19rocblas_complex_numIfEPKS1_PS1_EvbiT_T4_T5_S5_lS7_S5_lT6_S5_li.has_dyn_sized_stack, 0
	.set _ZL26rocblas_syr2k_her2k_kernelIiLb0ELb1ELb1ELi32E19rocblas_complex_numIfEPKS1_PS1_EvbiT_T4_T5_S5_lS7_S5_lT6_S5_li.has_recursion, 0
	.set _ZL26rocblas_syr2k_her2k_kernelIiLb0ELb1ELb1ELi32E19rocblas_complex_numIfEPKS1_PS1_EvbiT_T4_T5_S5_lS7_S5_lT6_S5_li.has_indirect_call, 0
	.section	.AMDGPU.csdata,"",@progbits
; Kernel info:
; codeLenInByte = 2056
; TotalNumSgprs: 28
; NumVgprs: 38
; ScratchSize: 0
; MemoryBound: 0
; FloatMode: 240
; IeeeMode: 1
; LDSByteSize: 16384 bytes/workgroup (compile time only)
; SGPRBlocks: 8
; VGPRBlocks: 9
; NumSGPRsForWavesPerEU: 65
; NumVGPRsForWavesPerEU: 38
; Occupancy: 6
; WaveLimiterHint : 0
; COMPUTE_PGM_RSRC2:SCRATCH_EN: 0
; COMPUTE_PGM_RSRC2:USER_SGPR: 6
; COMPUTE_PGM_RSRC2:TRAP_HANDLER: 0
; COMPUTE_PGM_RSRC2:TGID_X_EN: 1
; COMPUTE_PGM_RSRC2:TGID_Y_EN: 1
; COMPUTE_PGM_RSRC2:TGID_Z_EN: 1
; COMPUTE_PGM_RSRC2:TIDIG_COMP_CNT: 1
	.section	.text._ZL37rocblas_syrkx_herkx_restricted_kernelIi19rocblas_complex_numIfELi16ELi32ELi8ELi1ELi1ELb1ELc84ELc76EKS1_S1_EviT_PT9_S3_lS5_S3_lPT10_S3_li,"axG",@progbits,_ZL37rocblas_syrkx_herkx_restricted_kernelIi19rocblas_complex_numIfELi16ELi32ELi8ELi1ELi1ELb1ELc84ELc76EKS1_S1_EviT_PT9_S3_lS5_S3_lPT10_S3_li,comdat
	.globl	_ZL37rocblas_syrkx_herkx_restricted_kernelIi19rocblas_complex_numIfELi16ELi32ELi8ELi1ELi1ELb1ELc84ELc76EKS1_S1_EviT_PT9_S3_lS5_S3_lPT10_S3_li ; -- Begin function _ZL37rocblas_syrkx_herkx_restricted_kernelIi19rocblas_complex_numIfELi16ELi32ELi8ELi1ELi1ELb1ELc84ELc76EKS1_S1_EviT_PT9_S3_lS5_S3_lPT10_S3_li
	.p2align	8
	.type	_ZL37rocblas_syrkx_herkx_restricted_kernelIi19rocblas_complex_numIfELi16ELi32ELi8ELi1ELi1ELb1ELc84ELc76EKS1_S1_EviT_PT9_S3_lS5_S3_lPT10_S3_li,@function
_ZL37rocblas_syrkx_herkx_restricted_kernelIi19rocblas_complex_numIfELi16ELi32ELi8ELi1ELi1ELb1ELc84ELc76EKS1_S1_EviT_PT9_S3_lS5_S3_lPT10_S3_li: ; @_ZL37rocblas_syrkx_herkx_restricted_kernelIi19rocblas_complex_numIfELi16ELi32ELi8ELi1ELi1ELb1ELc84ELc76EKS1_S1_EviT_PT9_S3_lS5_S3_lPT10_S3_li
; %bb.0:
	s_load_dwordx2 s[10:11], s[4:5], 0x0
	s_load_dwordx4 s[0:3], s[4:5], 0x30
	s_lshl_b32 s6, s6, 5
	s_lshl_b32 s7, s7, 5
	s_mov_b32 s9, 0
	s_waitcnt lgkmcnt(0)
	s_cmp_lt_i32 s11, 1
	s_cbranch_scc1 .LBB310_3
; %bb.1:
	v_lshl_add_u32 v4, v1, 4, v0
	v_and_b32_e32 v7, 31, v4
	s_load_dwordx2 s[16:17], s[4:5], 0x8
	s_load_dword s20, s[4:5], 0x10
	s_load_dwordx4 s[12:15], s[4:5], 0x18
	s_load_dword s18, s[4:5], 0x28
	v_lshrrev_b32_e32 v6, 3, v4
	v_and_b32_e32 v9, 7, v0
	v_lshrrev_b32_e32 v4, 5, v4
	v_lshlrev_b32_e32 v8, 3, v7
	v_lshl_or_b32 v11, v4, 8, v8
	v_lshlrev_b32_e32 v8, 3, v9
	v_add_u32_e32 v2, s7, v6
	v_lshl_or_b32 v6, v6, 6, v8
	v_mov_b32_e32 v10, 0
	v_add_u32_e32 v12, 0x800, v6
	v_mov_b32_e32 v6, 0x800
	v_mov_b32_e32 v5, v10
	v_lshl_add_u32 v14, v1, 6, v6
	v_add_u32_e32 v6, s6, v7
	s_waitcnt lgkmcnt(0)
	v_mad_i64_i32 v[2:3], s[18:19], s18, v2, v[9:10]
	v_mad_i64_i32 v[4:5], s[18:19], s20, v6, v[4:5]
	s_mul_i32 s13, s13, s8
	s_mul_hi_u32 s21, s12, s8
	s_add_i32 s13, s21, s13
	s_mul_i32 s12, s12, s8
	s_lshl_b64 s[12:13], s[12:13], 3
	v_lshlrev_b64 v[4:5], 3, v[4:5]
	s_add_u32 s12, s16, s12
	s_addc_u32 s13, s17, s13
	v_add_co_u32_e32 v4, vcc, s12, v4
	s_mul_i32 s1, s1, s8
	s_mul_hi_u32 s12, s0, s8
	v_mov_b32_e32 v6, s13
	s_add_i32 s1, s12, s1
	s_mul_i32 s0, s0, s8
	v_addc_co_u32_e32 v5, vcc, v6, v5, vcc
	s_lshl_b64 s[0:1], s[0:1], 3
	v_add_co_u32_e32 v6, vcc, 4, v4
	v_lshlrev_b64 v[2:3], 3, v[2:3]
	s_add_u32 s0, s14, s0
	v_addc_co_u32_e32 v7, vcc, 0, v5, vcc
	s_addc_u32 s1, s15, s1
	v_mov_b32_e32 v4, s1
	v_add_co_u32_e32 v2, vcc, s0, v2
	v_addc_co_u32_e32 v3, vcc, v4, v3, vcc
	v_add_co_u32_e32 v8, vcc, 4, v2
	v_lshlrev_b32_e32 v13, 3, v0
	v_addc_co_u32_e32 v9, vcc, 0, v3, vcc
	v_mov_b32_e32 v15, v10
	v_mov_b32_e32 v16, v10
	;; [unrolled: 1-line block ×7, first 2 shown]
.LBB310_2:                              ; =>This Inner Loop Header: Depth=1
	global_load_dwordx2 v[2:3], v[6:7], off offset:-4
	v_add_co_u32_e32 v6, vcc, 64, v6
	v_addc_co_u32_e32 v7, vcc, 0, v7, vcc
	s_add_i32 s9, s9, 8
	s_cmp_ge_i32 s9, s11
	s_waitcnt vmcnt(0)
	ds_write_b64 v11, v[2:3]
	global_load_dwordx2 v[2:3], v[8:9], off offset:-4
	v_add_co_u32_e32 v8, vcc, 64, v8
	v_addc_co_u32_e32 v9, vcc, 0, v9, vcc
	s_waitcnt vmcnt(0)
	ds_write_b64 v12, v[2:3]
	s_waitcnt lgkmcnt(0)
	s_barrier
	ds_read_b128 v[22:25], v14
	ds_read_b128 v[26:29], v14 offset:16
	ds_read_b128 v[30:33], v14 offset:32
	;; [unrolled: 1-line block ×3, first 2 shown]
	ds_read2_b64 v[34:37], v13 offset1:16
	s_waitcnt lgkmcnt(0)
	v_mul_f32_e32 v38, v23, v35
	v_mul_f32_e32 v39, v22, v35
	v_fma_f32 v38, v22, v34, -v38
	v_fmac_f32_e32 v39, v23, v34
	v_add_f32_e32 v38, v20, v38
	v_add_f32_e32 v39, v21, v39
	v_mul_f32_e32 v20, v23, v37
	v_mul_f32_e32 v21, v22, v37
	v_fma_f32 v20, v22, v36, -v20
	v_fmac_f32_e32 v21, v23, v36
	v_add_f32_e32 v22, v19, v20
	v_add_f32_e32 v23, v18, v21
	ds_read_b128 v[18:21], v14 offset:1024
	s_waitcnt lgkmcnt(0)
	v_mul_f32_e32 v40, v19, v35
	v_mul_f32_e32 v35, v18, v35
	v_fma_f32 v40, v18, v34, -v40
	v_fmac_f32_e32 v35, v19, v34
	v_add_f32_e32 v34, v17, v40
	v_add_f32_e32 v35, v16, v35
	v_mul_f32_e32 v16, v19, v37
	v_mul_f32_e32 v17, v18, v37
	v_fma_f32 v16, v18, v36, -v16
	v_fmac_f32_e32 v17, v19, v36
	v_add_f32_e32 v19, v15, v16
	v_add_f32_e32 v10, v10, v17
	ds_read2_b64 v[15:18], v13 offset0:32 offset1:48
	s_waitcnt lgkmcnt(0)
	v_mul_f32_e32 v36, v25, v16
	v_fma_f32 v36, v24, v15, -v36
	v_add_f32_e32 v36, v38, v36
	v_mul_f32_e32 v38, v25, v18
	v_mul_f32_e32 v37, v24, v16
	v_fma_f32 v38, v24, v17, -v38
	v_mul_f32_e32 v24, v24, v18
	v_fmac_f32_e32 v24, v25, v17
	v_add_f32_e32 v23, v23, v24
	v_mul_f32_e32 v24, v21, v16
	v_mul_f32_e32 v16, v20, v16
	v_fmac_f32_e32 v16, v21, v15
	v_fmac_f32_e32 v37, v25, v15
	v_fma_f32 v24, v20, v15, -v24
	v_add_f32_e32 v25, v35, v16
	v_mul_f32_e32 v15, v21, v18
	v_mul_f32_e32 v16, v20, v18
	v_fma_f32 v15, v20, v17, -v15
	v_fmac_f32_e32 v16, v21, v17
	v_add_f32_e32 v24, v34, v24
	v_add_f32_e32 v34, v19, v15
	;; [unrolled: 1-line block ×3, first 2 shown]
	ds_read2_b64 v[15:18], v13 offset0:64 offset1:80
	v_add_f32_e32 v37, v39, v37
	v_add_f32_e32 v22, v22, v38
	s_waitcnt lgkmcnt(0)
	v_mul_f32_e32 v19, v27, v16
	v_mul_f32_e32 v20, v26, v16
	v_fma_f32 v19, v26, v15, -v19
	v_fmac_f32_e32 v20, v27, v15
	v_add_f32_e32 v35, v36, v19
	v_add_f32_e32 v36, v37, v20
	v_mul_f32_e32 v19, v27, v18
	v_mul_f32_e32 v20, v26, v18
	v_fma_f32 v19, v26, v17, -v19
	v_fmac_f32_e32 v20, v27, v17
	v_add_f32_e32 v26, v22, v19
	v_add_f32_e32 v23, v23, v20
	ds_read_b128 v[19:22], v14 offset:1040
	s_waitcnt lgkmcnt(0)
	v_mul_f32_e32 v27, v20, v16
	v_mul_f32_e32 v16, v19, v16
	v_fmac_f32_e32 v16, v20, v15
	v_fma_f32 v27, v19, v15, -v27
	v_add_f32_e32 v25, v25, v16
	v_mul_f32_e32 v15, v20, v18
	v_mul_f32_e32 v16, v19, v18
	v_fma_f32 v15, v19, v17, -v15
	v_fmac_f32_e32 v16, v20, v17
	v_add_f32_e32 v19, v34, v15
	v_add_f32_e32 v10, v10, v16
	ds_read2_b64 v[15:18], v13 offset0:96 offset1:112
	v_add_f32_e32 v24, v24, v27
	s_waitcnt lgkmcnt(0)
	v_mul_f32_e32 v20, v29, v16
	v_mul_f32_e32 v34, v29, v18
	v_fma_f32 v20, v28, v15, -v20
	v_mul_f32_e32 v27, v28, v16
	v_fma_f32 v34, v28, v17, -v34
	v_mul_f32_e32 v28, v28, v18
	v_fmac_f32_e32 v28, v29, v17
	v_add_f32_e32 v23, v23, v28
	v_mul_f32_e32 v28, v22, v16
	v_mul_f32_e32 v16, v21, v16
	v_fmac_f32_e32 v16, v22, v15
	v_fmac_f32_e32 v27, v29, v15
	v_fma_f32 v28, v21, v15, -v28
	v_add_f32_e32 v25, v25, v16
	v_mul_f32_e32 v15, v22, v18
	v_mul_f32_e32 v16, v21, v18
	v_fma_f32 v15, v21, v17, -v15
	v_fmac_f32_e32 v16, v22, v17
	v_add_f32_e32 v24, v24, v28
	v_add_f32_e32 v28, v19, v15
	;; [unrolled: 1-line block ×3, first 2 shown]
	ds_read2_b64 v[15:18], v13 offset0:128 offset1:144
	v_add_f32_e32 v20, v35, v20
	v_add_f32_e32 v27, v36, v27
	;; [unrolled: 1-line block ×3, first 2 shown]
	s_waitcnt lgkmcnt(0)
	v_mul_f32_e32 v19, v31, v16
	v_fma_f32 v19, v30, v15, -v19
	v_mul_f32_e32 v21, v30, v16
	v_add_f32_e32 v29, v20, v19
	v_mul_f32_e32 v19, v31, v18
	v_mul_f32_e32 v20, v30, v18
	v_fmac_f32_e32 v21, v31, v15
	v_fma_f32 v19, v30, v17, -v19
	v_fmac_f32_e32 v20, v31, v17
	v_add_f32_e32 v27, v27, v21
	v_add_f32_e32 v26, v26, v19
	;; [unrolled: 1-line block ×3, first 2 shown]
	ds_read_b128 v[19:22], v14 offset:1056
	s_waitcnt lgkmcnt(0)
	v_mul_f32_e32 v30, v20, v16
	v_mul_f32_e32 v16, v19, v16
	v_fmac_f32_e32 v16, v20, v15
	v_fma_f32 v30, v19, v15, -v30
	v_add_f32_e32 v25, v25, v16
	v_mul_f32_e32 v15, v20, v18
	v_mul_f32_e32 v16, v19, v18
	v_fma_f32 v15, v19, v17, -v15
	v_fmac_f32_e32 v16, v20, v17
	v_add_f32_e32 v19, v28, v15
	v_add_f32_e32 v10, v10, v16
	ds_read2_b64 v[15:18], v13 offset0:160 offset1:176
	v_add_f32_e32 v24, v24, v30
	s_waitcnt lgkmcnt(0)
	v_mul_f32_e32 v28, v32, v16
	v_fmac_f32_e32 v28, v33, v15
	v_add_f32_e32 v27, v27, v28
	v_mul_f32_e32 v28, v33, v18
	v_fma_f32 v28, v32, v17, -v28
	v_mul_f32_e32 v20, v33, v16
	v_add_f32_e32 v26, v26, v28
	v_mul_f32_e32 v28, v22, v16
	v_mul_f32_e32 v16, v21, v16
	v_fmac_f32_e32 v16, v22, v15
	v_fma_f32 v20, v32, v15, -v20
	v_fma_f32 v28, v21, v15, -v28
	v_add_f32_e32 v25, v25, v16
	v_mul_f32_e32 v15, v22, v18
	v_mul_f32_e32 v16, v21, v18
	v_add_f32_e32 v20, v29, v20
	v_mul_f32_e32 v29, v32, v18
	v_fma_f32 v15, v21, v17, -v15
	v_fmac_f32_e32 v16, v22, v17
	v_fmac_f32_e32 v29, v33, v17
	v_add_f32_e32 v19, v19, v15
	v_add_f32_e32 v10, v10, v16
	ds_read2_b64 v[15:18], v13 offset0:192 offset1:208
	v_add_f32_e32 v24, v24, v28
	v_add_f32_e32 v23, v23, v29
	s_waitcnt lgkmcnt(0)
	v_mul_f32_e32 v21, v3, v16
	v_fma_f32 v21, v2, v15, -v21
	v_add_f32_e32 v28, v20, v21
	v_mul_f32_e32 v20, v3, v18
	v_mul_f32_e32 v22, v2, v16
	v_fma_f32 v20, v2, v17, -v20
	v_mul_f32_e32 v2, v2, v18
	v_fmac_f32_e32 v22, v3, v15
	v_fmac_f32_e32 v2, v3, v17
	v_add_f32_e32 v29, v27, v22
	v_add_f32_e32 v3, v26, v20
	v_add_f32_e32 v2, v23, v2
	ds_read_b128 v[20:23], v14 offset:1072
	s_waitcnt lgkmcnt(0)
	v_mul_f32_e32 v26, v21, v16
	v_fma_f32 v26, v20, v15, -v26
	v_mul_f32_e32 v16, v20, v16
	v_fmac_f32_e32 v16, v21, v15
	v_add_f32_e32 v15, v24, v26
	v_mul_f32_e32 v24, v21, v18
	v_fma_f32 v24, v20, v17, -v24
	v_add_f32_e32 v16, v25, v16
	v_add_f32_e32 v30, v19, v24
	ds_read2_b64 v[24:27], v13 offset0:224 offset1:240
	v_mul_f32_e32 v18, v20, v18
	v_fmac_f32_e32 v18, v21, v17
	v_add_f32_e32 v10, v10, v18
	s_waitcnt lgkmcnt(0)
	v_mul_f32_e32 v17, v5, v25
	v_fma_f32 v17, v4, v24, -v17
	v_add_f32_e32 v20, v28, v17
	v_mul_f32_e32 v17, v5, v27
	v_mul_f32_e32 v18, v4, v25
	v_fma_f32 v17, v4, v26, -v17
	v_mul_f32_e32 v4, v4, v27
	v_fmac_f32_e32 v18, v5, v24
	v_fmac_f32_e32 v4, v5, v26
	v_add_f32_e32 v21, v29, v18
	v_add_f32_e32 v19, v3, v17
	;; [unrolled: 1-line block ×3, first 2 shown]
	v_mul_f32_e32 v2, v23, v25
	v_mul_f32_e32 v3, v22, v25
	v_fma_f32 v2, v22, v24, -v2
	v_fmac_f32_e32 v3, v23, v24
	v_add_f32_e32 v17, v15, v2
	v_add_f32_e32 v16, v16, v3
	v_mul_f32_e32 v2, v23, v27
	v_mul_f32_e32 v3, v22, v27
	v_fma_f32 v2, v22, v26, -v2
	v_fmac_f32_e32 v3, v23, v26
	v_add_f32_e32 v15, v30, v2
	v_add_f32_e32 v10, v10, v3
	s_barrier
	s_cbranch_scc0 .LBB310_2
	s_branch .LBB310_4
.LBB310_3:
	v_mov_b32_e32 v20, 0
	v_mov_b32_e32 v21, 0
	;; [unrolled: 1-line block ×8, first 2 shown]
.LBB310_4:
	s_load_dwordx2 s[0:1], s[4:5], 0x48
	s_load_dword s9, s[4:5], 0x40
	v_add_u32_e32 v5, s7, v1
	v_add_u32_e32 v0, s6, v0
	s_waitcnt lgkmcnt(0)
	s_mul_i32 s1, s1, s8
	s_mul_hi_u32 s4, s0, s8
	s_add_i32 s1, s4, s1
	v_mad_i64_i32 v[1:2], s[4:5], v5, s9, 0
	s_mul_i32 s0, s0, s8
	s_lshl_b64 s[0:1], s[0:1], 3
	s_add_u32 s7, s2, s0
	v_lshlrev_b64 v[1:2], 3, v[1:2]
	s_addc_u32 s8, s3, s1
	v_mov_b32_e32 v3, s8
	v_add_co_u32_e32 v4, vcc, s7, v1
	v_addc_co_u32_e32 v6, vcc, v3, v2, vcc
	v_cmp_le_i32_e64 s[0:1], v5, v0
	v_cmp_gt_i32_e32 vcc, s10, v0
	s_and_b64 s[0:1], s[0:1], vcc
	s_and_saveexec_b64 s[2:3], s[0:1]
	s_cbranch_execz .LBB310_7
; %bb.5:
	v_ashrrev_i32_e32 v1, 31, v0
	v_lshlrev_b64 v[1:2], 3, v[0:1]
	v_add_co_u32_e64 v1, s[0:1], v4, v1
	v_addc_co_u32_e64 v2, s[0:1], v6, v2, s[0:1]
	global_load_dwordx2 v[7:8], v[1:2], off
	v_cmp_eq_u32_e64 s[0:1], v5, v0
	s_waitcnt vmcnt(0)
	v_add_f32_e32 v7, v20, v7
	v_add_f32_e32 v8, v21, v8
	global_store_dwordx2 v[1:2], v[7:8], off
	s_and_b64 exec, exec, s[0:1]
	s_cbranch_execz .LBB310_7
; %bb.6:
	v_mov_b32_e32 v3, 0
	global_store_dword v[1:2], v3, off offset:4
.LBB310_7:
	s_or_b64 exec, exec, s[2:3]
	v_add_u32_e32 v2, 16, v0
	v_cmp_le_i32_e64 s[2:3], v5, v2
	v_cmp_gt_i32_e64 s[0:1], s10, v2
	s_and_b64 s[2:3], s[2:3], s[0:1]
	s_and_saveexec_b64 s[4:5], s[2:3]
	s_cbranch_execz .LBB310_10
; %bb.8:
	v_ashrrev_i32_e32 v3, 31, v2
	v_lshlrev_b64 v[7:8], 3, v[2:3]
	v_add_co_u32_e64 v3, s[2:3], v4, v7
	v_addc_co_u32_e64 v4, s[2:3], v6, v8, s[2:3]
	global_load_dwordx2 v[6:7], v[3:4], off
	v_cmp_eq_u32_e64 s[2:3], v5, v2
	s_waitcnt vmcnt(0)
	v_add_f32_e32 v6, v19, v6
	v_add_f32_e32 v7, v18, v7
	global_store_dwordx2 v[3:4], v[6:7], off
	s_and_b64 exec, exec, s[2:3]
	s_cbranch_execz .LBB310_10
; %bb.9:
	v_mov_b32_e32 v1, 0
	global_store_dword v[3:4], v1, off offset:4
.LBB310_10:
	s_or_b64 exec, exec, s[4:5]
	v_add_u32_e32 v8, 16, v5
	v_mad_i64_i32 v[3:4], s[2:3], v8, s9, 0
	v_mov_b32_e32 v1, s8
	v_lshlrev_b64 v[3:4], 3, v[3:4]
	v_add_co_u32_e64 v6, s[2:3], s7, v3
	v_addc_co_u32_e64 v7, s[2:3], v1, v4, s[2:3]
	v_cmp_le_i32_e64 s[2:3], v8, v0
	s_and_b64 s[4:5], s[2:3], vcc
	s_and_saveexec_b64 s[2:3], s[4:5]
	s_cbranch_execz .LBB310_13
; %bb.11:
	v_ashrrev_i32_e32 v1, 31, v0
	v_lshlrev_b64 v[3:4], 3, v[0:1]
	v_add_co_u32_e32 v3, vcc, v6, v3
	v_addc_co_u32_e32 v4, vcc, v7, v4, vcc
	global_load_dwordx2 v[11:12], v[3:4], off
	v_cmp_eq_u32_e32 vcc, v8, v0
	s_waitcnt vmcnt(0)
	v_add_f32_e32 v11, v17, v11
	v_add_f32_e32 v12, v16, v12
	global_store_dwordx2 v[3:4], v[11:12], off
	s_and_b64 exec, exec, vcc
	s_cbranch_execz .LBB310_13
; %bb.12:
	v_mov_b32_e32 v1, 0
	global_store_dword v[3:4], v1, off offset:4
.LBB310_13:
	s_or_b64 exec, exec, s[2:3]
	v_cmp_le_i32_e32 vcc, v8, v2
	s_and_b64 s[0:1], vcc, s[0:1]
	s_and_saveexec_b64 s[2:3], s[0:1]
	s_cbranch_execz .LBB310_16
; %bb.14:
	v_ashrrev_i32_e32 v3, 31, v2
	v_lshlrev_b64 v[1:2], 3, v[2:3]
	v_add_co_u32_e32 v1, vcc, v6, v1
	v_addc_co_u32_e32 v2, vcc, v7, v2, vcc
	global_load_dwordx2 v[3:4], v[1:2], off
	v_cmp_eq_u32_e32 vcc, v5, v0
	s_waitcnt vmcnt(0)
	v_add_f32_e32 v3, v15, v3
	v_add_f32_e32 v4, v10, v4
	global_store_dwordx2 v[1:2], v[3:4], off
	s_and_b64 exec, exec, vcc
	s_cbranch_execz .LBB310_16
; %bb.15:
	v_mov_b32_e32 v0, 0
	global_store_dword v[1:2], v0, off offset:4
.LBB310_16:
	s_endpgm
	.section	.rodata,"a",@progbits
	.p2align	6, 0x0
	.amdhsa_kernel _ZL37rocblas_syrkx_herkx_restricted_kernelIi19rocblas_complex_numIfELi16ELi32ELi8ELi1ELi1ELb1ELc84ELc76EKS1_S1_EviT_PT9_S3_lS5_S3_lPT10_S3_li
		.amdhsa_group_segment_fixed_size 4096
		.amdhsa_private_segment_fixed_size 0
		.amdhsa_kernarg_size 84
		.amdhsa_user_sgpr_count 6
		.amdhsa_user_sgpr_private_segment_buffer 1
		.amdhsa_user_sgpr_dispatch_ptr 0
		.amdhsa_user_sgpr_queue_ptr 0
		.amdhsa_user_sgpr_kernarg_segment_ptr 1
		.amdhsa_user_sgpr_dispatch_id 0
		.amdhsa_user_sgpr_flat_scratch_init 0
		.amdhsa_user_sgpr_private_segment_size 0
		.amdhsa_uses_dynamic_stack 0
		.amdhsa_system_sgpr_private_segment_wavefront_offset 0
		.amdhsa_system_sgpr_workgroup_id_x 1
		.amdhsa_system_sgpr_workgroup_id_y 1
		.amdhsa_system_sgpr_workgroup_id_z 1
		.amdhsa_system_sgpr_workgroup_info 0
		.amdhsa_system_vgpr_workitem_id 1
		.amdhsa_next_free_vgpr 41
		.amdhsa_next_free_sgpr 22
		.amdhsa_reserve_vcc 1
		.amdhsa_reserve_flat_scratch 0
		.amdhsa_float_round_mode_32 0
		.amdhsa_float_round_mode_16_64 0
		.amdhsa_float_denorm_mode_32 3
		.amdhsa_float_denorm_mode_16_64 3
		.amdhsa_dx10_clamp 1
		.amdhsa_ieee_mode 1
		.amdhsa_fp16_overflow 0
		.amdhsa_exception_fp_ieee_invalid_op 0
		.amdhsa_exception_fp_denorm_src 0
		.amdhsa_exception_fp_ieee_div_zero 0
		.amdhsa_exception_fp_ieee_overflow 0
		.amdhsa_exception_fp_ieee_underflow 0
		.amdhsa_exception_fp_ieee_inexact 0
		.amdhsa_exception_int_div_zero 0
	.end_amdhsa_kernel
	.section	.text._ZL37rocblas_syrkx_herkx_restricted_kernelIi19rocblas_complex_numIfELi16ELi32ELi8ELi1ELi1ELb1ELc84ELc76EKS1_S1_EviT_PT9_S3_lS5_S3_lPT10_S3_li,"axG",@progbits,_ZL37rocblas_syrkx_herkx_restricted_kernelIi19rocblas_complex_numIfELi16ELi32ELi8ELi1ELi1ELb1ELc84ELc76EKS1_S1_EviT_PT9_S3_lS5_S3_lPT10_S3_li,comdat
.Lfunc_end310:
	.size	_ZL37rocblas_syrkx_herkx_restricted_kernelIi19rocblas_complex_numIfELi16ELi32ELi8ELi1ELi1ELb1ELc84ELc76EKS1_S1_EviT_PT9_S3_lS5_S3_lPT10_S3_li, .Lfunc_end310-_ZL37rocblas_syrkx_herkx_restricted_kernelIi19rocblas_complex_numIfELi16ELi32ELi8ELi1ELi1ELb1ELc84ELc76EKS1_S1_EviT_PT9_S3_lS5_S3_lPT10_S3_li
                                        ; -- End function
	.set _ZL37rocblas_syrkx_herkx_restricted_kernelIi19rocblas_complex_numIfELi16ELi32ELi8ELi1ELi1ELb1ELc84ELc76EKS1_S1_EviT_PT9_S3_lS5_S3_lPT10_S3_li.num_vgpr, 41
	.set _ZL37rocblas_syrkx_herkx_restricted_kernelIi19rocblas_complex_numIfELi16ELi32ELi8ELi1ELi1ELb1ELc84ELc76EKS1_S1_EviT_PT9_S3_lS5_S3_lPT10_S3_li.num_agpr, 0
	.set _ZL37rocblas_syrkx_herkx_restricted_kernelIi19rocblas_complex_numIfELi16ELi32ELi8ELi1ELi1ELb1ELc84ELc76EKS1_S1_EviT_PT9_S3_lS5_S3_lPT10_S3_li.numbered_sgpr, 22
	.set _ZL37rocblas_syrkx_herkx_restricted_kernelIi19rocblas_complex_numIfELi16ELi32ELi8ELi1ELi1ELb1ELc84ELc76EKS1_S1_EviT_PT9_S3_lS5_S3_lPT10_S3_li.num_named_barrier, 0
	.set _ZL37rocblas_syrkx_herkx_restricted_kernelIi19rocblas_complex_numIfELi16ELi32ELi8ELi1ELi1ELb1ELc84ELc76EKS1_S1_EviT_PT9_S3_lS5_S3_lPT10_S3_li.private_seg_size, 0
	.set _ZL37rocblas_syrkx_herkx_restricted_kernelIi19rocblas_complex_numIfELi16ELi32ELi8ELi1ELi1ELb1ELc84ELc76EKS1_S1_EviT_PT9_S3_lS5_S3_lPT10_S3_li.uses_vcc, 1
	.set _ZL37rocblas_syrkx_herkx_restricted_kernelIi19rocblas_complex_numIfELi16ELi32ELi8ELi1ELi1ELb1ELc84ELc76EKS1_S1_EviT_PT9_S3_lS5_S3_lPT10_S3_li.uses_flat_scratch, 0
	.set _ZL37rocblas_syrkx_herkx_restricted_kernelIi19rocblas_complex_numIfELi16ELi32ELi8ELi1ELi1ELb1ELc84ELc76EKS1_S1_EviT_PT9_S3_lS5_S3_lPT10_S3_li.has_dyn_sized_stack, 0
	.set _ZL37rocblas_syrkx_herkx_restricted_kernelIi19rocblas_complex_numIfELi16ELi32ELi8ELi1ELi1ELb1ELc84ELc76EKS1_S1_EviT_PT9_S3_lS5_S3_lPT10_S3_li.has_recursion, 0
	.set _ZL37rocblas_syrkx_herkx_restricted_kernelIi19rocblas_complex_numIfELi16ELi32ELi8ELi1ELi1ELb1ELc84ELc76EKS1_S1_EviT_PT9_S3_lS5_S3_lPT10_S3_li.has_indirect_call, 0
	.section	.AMDGPU.csdata,"",@progbits
; Kernel info:
; codeLenInByte = 2056
; TotalNumSgprs: 26
; NumVgprs: 41
; ScratchSize: 0
; MemoryBound: 0
; FloatMode: 240
; IeeeMode: 1
; LDSByteSize: 4096 bytes/workgroup (compile time only)
; SGPRBlocks: 3
; VGPRBlocks: 10
; NumSGPRsForWavesPerEU: 26
; NumVGPRsForWavesPerEU: 41
; Occupancy: 5
; WaveLimiterHint : 0
; COMPUTE_PGM_RSRC2:SCRATCH_EN: 0
; COMPUTE_PGM_RSRC2:USER_SGPR: 6
; COMPUTE_PGM_RSRC2:TRAP_HANDLER: 0
; COMPUTE_PGM_RSRC2:TGID_X_EN: 1
; COMPUTE_PGM_RSRC2:TGID_Y_EN: 1
; COMPUTE_PGM_RSRC2:TGID_Z_EN: 1
; COMPUTE_PGM_RSRC2:TIDIG_COMP_CNT: 1
	.section	.text._ZL37rocblas_syrkx_herkx_restricted_kernelIi19rocblas_complex_numIfELi16ELi32ELi8ELi1ELi1ELb1ELc67ELc76EKS1_S1_EviT_PT9_S3_lS5_S3_lPT10_S3_li,"axG",@progbits,_ZL37rocblas_syrkx_herkx_restricted_kernelIi19rocblas_complex_numIfELi16ELi32ELi8ELi1ELi1ELb1ELc67ELc76EKS1_S1_EviT_PT9_S3_lS5_S3_lPT10_S3_li,comdat
	.globl	_ZL37rocblas_syrkx_herkx_restricted_kernelIi19rocblas_complex_numIfELi16ELi32ELi8ELi1ELi1ELb1ELc67ELc76EKS1_S1_EviT_PT9_S3_lS5_S3_lPT10_S3_li ; -- Begin function _ZL37rocblas_syrkx_herkx_restricted_kernelIi19rocblas_complex_numIfELi16ELi32ELi8ELi1ELi1ELb1ELc67ELc76EKS1_S1_EviT_PT9_S3_lS5_S3_lPT10_S3_li
	.p2align	8
	.type	_ZL37rocblas_syrkx_herkx_restricted_kernelIi19rocblas_complex_numIfELi16ELi32ELi8ELi1ELi1ELb1ELc67ELc76EKS1_S1_EviT_PT9_S3_lS5_S3_lPT10_S3_li,@function
_ZL37rocblas_syrkx_herkx_restricted_kernelIi19rocblas_complex_numIfELi16ELi32ELi8ELi1ELi1ELb1ELc67ELc76EKS1_S1_EviT_PT9_S3_lS5_S3_lPT10_S3_li: ; @_ZL37rocblas_syrkx_herkx_restricted_kernelIi19rocblas_complex_numIfELi16ELi32ELi8ELi1ELi1ELb1ELc67ELc76EKS1_S1_EviT_PT9_S3_lS5_S3_lPT10_S3_li
; %bb.0:
	s_load_dwordx2 s[10:11], s[4:5], 0x0
	s_load_dwordx4 s[0:3], s[4:5], 0x30
	s_lshl_b32 s6, s6, 5
	s_lshl_b32 s7, s7, 5
	s_mov_b32 s9, 0
	s_waitcnt lgkmcnt(0)
	s_cmp_lt_i32 s11, 1
	s_cbranch_scc1 .LBB311_3
; %bb.1:
	v_lshl_add_u32 v4, v1, 4, v0
	v_and_b32_e32 v7, 31, v4
	s_load_dwordx2 s[16:17], s[4:5], 0x8
	s_load_dword s20, s[4:5], 0x10
	s_load_dwordx4 s[12:15], s[4:5], 0x18
	s_load_dword s18, s[4:5], 0x28
	v_lshrrev_b32_e32 v6, 3, v4
	v_and_b32_e32 v9, 7, v0
	v_lshrrev_b32_e32 v4, 5, v4
	v_lshlrev_b32_e32 v8, 3, v7
	v_lshl_or_b32 v11, v4, 8, v8
	v_lshlrev_b32_e32 v8, 3, v9
	v_add_u32_e32 v2, s7, v6
	v_lshl_or_b32 v6, v6, 6, v8
	v_mov_b32_e32 v10, 0
	v_add_u32_e32 v12, 0x800, v6
	v_mov_b32_e32 v6, 0x800
	v_mov_b32_e32 v5, v10
	v_lshl_add_u32 v14, v1, 6, v6
	v_add_u32_e32 v6, s6, v7
	s_waitcnt lgkmcnt(0)
	v_mad_i64_i32 v[2:3], s[18:19], s18, v2, v[9:10]
	v_mad_i64_i32 v[4:5], s[18:19], s20, v6, v[4:5]
	s_mul_i32 s13, s13, s8
	s_mul_hi_u32 s21, s12, s8
	s_add_i32 s13, s21, s13
	s_mul_i32 s12, s12, s8
	s_lshl_b64 s[12:13], s[12:13], 3
	v_lshlrev_b64 v[4:5], 3, v[4:5]
	s_add_u32 s12, s16, s12
	s_addc_u32 s13, s17, s13
	v_add_co_u32_e32 v4, vcc, s12, v4
	s_mul_i32 s1, s1, s8
	s_mul_hi_u32 s12, s0, s8
	v_mov_b32_e32 v6, s13
	s_add_i32 s1, s12, s1
	s_mul_i32 s0, s0, s8
	v_addc_co_u32_e32 v5, vcc, v6, v5, vcc
	s_lshl_b64 s[0:1], s[0:1], 3
	v_add_co_u32_e32 v6, vcc, 4, v4
	v_lshlrev_b64 v[2:3], 3, v[2:3]
	s_add_u32 s0, s14, s0
	v_addc_co_u32_e32 v7, vcc, 0, v5, vcc
	s_addc_u32 s1, s15, s1
	v_mov_b32_e32 v4, s1
	v_add_co_u32_e32 v2, vcc, s0, v2
	v_addc_co_u32_e32 v3, vcc, v4, v3, vcc
	v_add_co_u32_e32 v8, vcc, 4, v2
	v_lshlrev_b32_e32 v13, 3, v0
	v_addc_co_u32_e32 v9, vcc, 0, v3, vcc
	v_mov_b32_e32 v15, v10
	v_mov_b32_e32 v16, v10
	;; [unrolled: 1-line block ×7, first 2 shown]
.LBB311_2:                              ; =>This Inner Loop Header: Depth=1
	global_load_dwordx2 v[2:3], v[6:7], off offset:-4
	v_add_co_u32_e32 v6, vcc, 64, v6
	v_addc_co_u32_e32 v7, vcc, 0, v7, vcc
	s_add_i32 s9, s9, 8
	s_cmp_ge_i32 s9, s11
	s_waitcnt vmcnt(0)
	v_xor_b32_e32 v3, 0x80000000, v3
	ds_write_b64 v11, v[2:3]
	global_load_dwordx2 v[2:3], v[8:9], off offset:-4
	v_add_co_u32_e32 v8, vcc, 64, v8
	v_addc_co_u32_e32 v9, vcc, 0, v9, vcc
	s_waitcnt vmcnt(0)
	ds_write_b64 v12, v[2:3]
	s_waitcnt lgkmcnt(0)
	s_barrier
	ds_read_b128 v[22:25], v14
	ds_read_b128 v[26:29], v14 offset:16
	ds_read_b128 v[30:33], v14 offset:32
	;; [unrolled: 1-line block ×3, first 2 shown]
	ds_read2_b64 v[34:37], v13 offset1:16
	s_waitcnt lgkmcnt(0)
	v_mul_f32_e32 v38, v23, v35
	v_mul_f32_e32 v39, v22, v35
	v_fma_f32 v38, v22, v34, -v38
	v_fmac_f32_e32 v39, v23, v34
	v_add_f32_e32 v38, v20, v38
	v_add_f32_e32 v39, v21, v39
	v_mul_f32_e32 v20, v23, v37
	v_mul_f32_e32 v21, v22, v37
	v_fma_f32 v20, v22, v36, -v20
	v_fmac_f32_e32 v21, v23, v36
	v_add_f32_e32 v22, v19, v20
	v_add_f32_e32 v23, v18, v21
	ds_read_b128 v[18:21], v14 offset:1024
	s_waitcnt lgkmcnt(0)
	v_mul_f32_e32 v40, v19, v35
	v_mul_f32_e32 v35, v18, v35
	v_fma_f32 v40, v18, v34, -v40
	v_fmac_f32_e32 v35, v19, v34
	v_add_f32_e32 v34, v17, v40
	v_add_f32_e32 v35, v16, v35
	v_mul_f32_e32 v16, v19, v37
	v_mul_f32_e32 v17, v18, v37
	v_fma_f32 v16, v18, v36, -v16
	v_fmac_f32_e32 v17, v19, v36
	v_add_f32_e32 v19, v15, v16
	v_add_f32_e32 v10, v10, v17
	ds_read2_b64 v[15:18], v13 offset0:32 offset1:48
	s_waitcnt lgkmcnt(0)
	v_mul_f32_e32 v36, v25, v16
	v_fma_f32 v36, v24, v15, -v36
	v_add_f32_e32 v36, v38, v36
	v_mul_f32_e32 v38, v25, v18
	v_mul_f32_e32 v37, v24, v16
	v_fma_f32 v38, v24, v17, -v38
	v_mul_f32_e32 v24, v24, v18
	v_fmac_f32_e32 v24, v25, v17
	v_add_f32_e32 v23, v23, v24
	v_mul_f32_e32 v24, v21, v16
	v_mul_f32_e32 v16, v20, v16
	v_fmac_f32_e32 v16, v21, v15
	v_fmac_f32_e32 v37, v25, v15
	v_fma_f32 v24, v20, v15, -v24
	v_add_f32_e32 v25, v35, v16
	v_mul_f32_e32 v15, v21, v18
	v_mul_f32_e32 v16, v20, v18
	v_fma_f32 v15, v20, v17, -v15
	v_fmac_f32_e32 v16, v21, v17
	v_add_f32_e32 v24, v34, v24
	v_add_f32_e32 v34, v19, v15
	;; [unrolled: 1-line block ×3, first 2 shown]
	ds_read2_b64 v[15:18], v13 offset0:64 offset1:80
	v_add_f32_e32 v37, v39, v37
	v_add_f32_e32 v22, v22, v38
	s_waitcnt lgkmcnt(0)
	v_mul_f32_e32 v19, v27, v16
	v_mul_f32_e32 v20, v26, v16
	v_fma_f32 v19, v26, v15, -v19
	v_fmac_f32_e32 v20, v27, v15
	v_add_f32_e32 v35, v36, v19
	v_add_f32_e32 v36, v37, v20
	v_mul_f32_e32 v19, v27, v18
	v_mul_f32_e32 v20, v26, v18
	v_fma_f32 v19, v26, v17, -v19
	v_fmac_f32_e32 v20, v27, v17
	v_add_f32_e32 v26, v22, v19
	v_add_f32_e32 v23, v23, v20
	ds_read_b128 v[19:22], v14 offset:1040
	s_waitcnt lgkmcnt(0)
	v_mul_f32_e32 v27, v20, v16
	v_mul_f32_e32 v16, v19, v16
	v_fmac_f32_e32 v16, v20, v15
	v_fma_f32 v27, v19, v15, -v27
	v_add_f32_e32 v25, v25, v16
	v_mul_f32_e32 v15, v20, v18
	v_mul_f32_e32 v16, v19, v18
	v_fma_f32 v15, v19, v17, -v15
	v_fmac_f32_e32 v16, v20, v17
	v_add_f32_e32 v19, v34, v15
	v_add_f32_e32 v10, v10, v16
	ds_read2_b64 v[15:18], v13 offset0:96 offset1:112
	v_add_f32_e32 v24, v24, v27
	s_waitcnt lgkmcnt(0)
	v_mul_f32_e32 v20, v29, v16
	v_mul_f32_e32 v34, v29, v18
	v_fma_f32 v20, v28, v15, -v20
	v_mul_f32_e32 v27, v28, v16
	v_fma_f32 v34, v28, v17, -v34
	v_mul_f32_e32 v28, v28, v18
	v_fmac_f32_e32 v28, v29, v17
	v_add_f32_e32 v23, v23, v28
	v_mul_f32_e32 v28, v22, v16
	v_mul_f32_e32 v16, v21, v16
	v_fmac_f32_e32 v16, v22, v15
	v_fmac_f32_e32 v27, v29, v15
	v_fma_f32 v28, v21, v15, -v28
	v_add_f32_e32 v25, v25, v16
	v_mul_f32_e32 v15, v22, v18
	v_mul_f32_e32 v16, v21, v18
	v_fma_f32 v15, v21, v17, -v15
	v_fmac_f32_e32 v16, v22, v17
	v_add_f32_e32 v24, v24, v28
	v_add_f32_e32 v28, v19, v15
	;; [unrolled: 1-line block ×3, first 2 shown]
	ds_read2_b64 v[15:18], v13 offset0:128 offset1:144
	v_add_f32_e32 v20, v35, v20
	v_add_f32_e32 v27, v36, v27
	;; [unrolled: 1-line block ×3, first 2 shown]
	s_waitcnt lgkmcnt(0)
	v_mul_f32_e32 v19, v31, v16
	v_fma_f32 v19, v30, v15, -v19
	v_mul_f32_e32 v21, v30, v16
	v_add_f32_e32 v29, v20, v19
	v_mul_f32_e32 v19, v31, v18
	v_mul_f32_e32 v20, v30, v18
	v_fmac_f32_e32 v21, v31, v15
	v_fma_f32 v19, v30, v17, -v19
	v_fmac_f32_e32 v20, v31, v17
	v_add_f32_e32 v27, v27, v21
	v_add_f32_e32 v26, v26, v19
	;; [unrolled: 1-line block ×3, first 2 shown]
	ds_read_b128 v[19:22], v14 offset:1056
	s_waitcnt lgkmcnt(0)
	v_mul_f32_e32 v30, v20, v16
	v_mul_f32_e32 v16, v19, v16
	v_fmac_f32_e32 v16, v20, v15
	v_fma_f32 v30, v19, v15, -v30
	v_add_f32_e32 v25, v25, v16
	v_mul_f32_e32 v15, v20, v18
	v_mul_f32_e32 v16, v19, v18
	v_fma_f32 v15, v19, v17, -v15
	v_fmac_f32_e32 v16, v20, v17
	v_add_f32_e32 v19, v28, v15
	v_add_f32_e32 v10, v10, v16
	ds_read2_b64 v[15:18], v13 offset0:160 offset1:176
	v_add_f32_e32 v24, v24, v30
	s_waitcnt lgkmcnt(0)
	v_mul_f32_e32 v28, v32, v16
	v_fmac_f32_e32 v28, v33, v15
	v_add_f32_e32 v27, v27, v28
	v_mul_f32_e32 v28, v33, v18
	v_fma_f32 v28, v32, v17, -v28
	v_mul_f32_e32 v20, v33, v16
	v_add_f32_e32 v26, v26, v28
	v_mul_f32_e32 v28, v22, v16
	v_mul_f32_e32 v16, v21, v16
	v_fmac_f32_e32 v16, v22, v15
	v_fma_f32 v20, v32, v15, -v20
	v_fma_f32 v28, v21, v15, -v28
	v_add_f32_e32 v25, v25, v16
	v_mul_f32_e32 v15, v22, v18
	v_mul_f32_e32 v16, v21, v18
	v_add_f32_e32 v20, v29, v20
	v_mul_f32_e32 v29, v32, v18
	v_fma_f32 v15, v21, v17, -v15
	v_fmac_f32_e32 v16, v22, v17
	v_fmac_f32_e32 v29, v33, v17
	v_add_f32_e32 v19, v19, v15
	v_add_f32_e32 v10, v10, v16
	ds_read2_b64 v[15:18], v13 offset0:192 offset1:208
	v_add_f32_e32 v24, v24, v28
	v_add_f32_e32 v23, v23, v29
	s_waitcnt lgkmcnt(0)
	v_mul_f32_e32 v21, v3, v16
	v_fma_f32 v21, v2, v15, -v21
	v_add_f32_e32 v28, v20, v21
	v_mul_f32_e32 v20, v3, v18
	v_mul_f32_e32 v22, v2, v16
	v_fma_f32 v20, v2, v17, -v20
	v_mul_f32_e32 v2, v2, v18
	v_fmac_f32_e32 v22, v3, v15
	v_fmac_f32_e32 v2, v3, v17
	v_add_f32_e32 v29, v27, v22
	v_add_f32_e32 v3, v26, v20
	;; [unrolled: 1-line block ×3, first 2 shown]
	ds_read_b128 v[20:23], v14 offset:1072
	s_waitcnt lgkmcnt(0)
	v_mul_f32_e32 v26, v21, v16
	v_fma_f32 v26, v20, v15, -v26
	v_mul_f32_e32 v16, v20, v16
	v_fmac_f32_e32 v16, v21, v15
	v_add_f32_e32 v15, v24, v26
	v_mul_f32_e32 v24, v21, v18
	v_fma_f32 v24, v20, v17, -v24
	v_add_f32_e32 v16, v25, v16
	v_add_f32_e32 v30, v19, v24
	ds_read2_b64 v[24:27], v13 offset0:224 offset1:240
	v_mul_f32_e32 v18, v20, v18
	v_fmac_f32_e32 v18, v21, v17
	v_add_f32_e32 v10, v10, v18
	s_waitcnt lgkmcnt(0)
	v_mul_f32_e32 v17, v5, v25
	v_fma_f32 v17, v4, v24, -v17
	v_add_f32_e32 v20, v28, v17
	v_mul_f32_e32 v17, v5, v27
	v_mul_f32_e32 v18, v4, v25
	v_fma_f32 v17, v4, v26, -v17
	v_mul_f32_e32 v4, v4, v27
	v_fmac_f32_e32 v18, v5, v24
	v_fmac_f32_e32 v4, v5, v26
	v_add_f32_e32 v21, v29, v18
	v_add_f32_e32 v19, v3, v17
	;; [unrolled: 1-line block ×3, first 2 shown]
	v_mul_f32_e32 v2, v23, v25
	v_mul_f32_e32 v3, v22, v25
	v_fma_f32 v2, v22, v24, -v2
	v_fmac_f32_e32 v3, v23, v24
	v_add_f32_e32 v17, v15, v2
	v_add_f32_e32 v16, v16, v3
	v_mul_f32_e32 v2, v23, v27
	v_mul_f32_e32 v3, v22, v27
	v_fma_f32 v2, v22, v26, -v2
	v_fmac_f32_e32 v3, v23, v26
	v_add_f32_e32 v15, v30, v2
	v_add_f32_e32 v10, v10, v3
	s_barrier
	s_cbranch_scc0 .LBB311_2
	s_branch .LBB311_4
.LBB311_3:
	v_mov_b32_e32 v20, 0
	v_mov_b32_e32 v21, 0
	;; [unrolled: 1-line block ×8, first 2 shown]
.LBB311_4:
	s_load_dwordx2 s[0:1], s[4:5], 0x48
	s_load_dword s9, s[4:5], 0x40
	v_add_u32_e32 v5, s7, v1
	v_add_u32_e32 v0, s6, v0
	s_waitcnt lgkmcnt(0)
	s_mul_i32 s1, s1, s8
	s_mul_hi_u32 s4, s0, s8
	s_add_i32 s1, s4, s1
	v_mad_i64_i32 v[1:2], s[4:5], v5, s9, 0
	s_mul_i32 s0, s0, s8
	s_lshl_b64 s[0:1], s[0:1], 3
	s_add_u32 s7, s2, s0
	v_lshlrev_b64 v[1:2], 3, v[1:2]
	s_addc_u32 s8, s3, s1
	v_mov_b32_e32 v3, s8
	v_add_co_u32_e32 v4, vcc, s7, v1
	v_addc_co_u32_e32 v6, vcc, v3, v2, vcc
	v_cmp_le_i32_e64 s[0:1], v5, v0
	v_cmp_gt_i32_e32 vcc, s10, v0
	s_and_b64 s[0:1], s[0:1], vcc
	s_and_saveexec_b64 s[2:3], s[0:1]
	s_cbranch_execz .LBB311_7
; %bb.5:
	v_ashrrev_i32_e32 v1, 31, v0
	v_lshlrev_b64 v[1:2], 3, v[0:1]
	v_add_co_u32_e64 v1, s[0:1], v4, v1
	v_addc_co_u32_e64 v2, s[0:1], v6, v2, s[0:1]
	global_load_dwordx2 v[7:8], v[1:2], off
	v_cmp_eq_u32_e64 s[0:1], v5, v0
	s_waitcnt vmcnt(0)
	v_add_f32_e32 v7, v20, v7
	v_add_f32_e32 v8, v21, v8
	global_store_dwordx2 v[1:2], v[7:8], off
	s_and_b64 exec, exec, s[0:1]
	s_cbranch_execz .LBB311_7
; %bb.6:
	v_mov_b32_e32 v3, 0
	global_store_dword v[1:2], v3, off offset:4
.LBB311_7:
	s_or_b64 exec, exec, s[2:3]
	v_add_u32_e32 v2, 16, v0
	v_cmp_le_i32_e64 s[2:3], v5, v2
	v_cmp_gt_i32_e64 s[0:1], s10, v2
	s_and_b64 s[2:3], s[2:3], s[0:1]
	s_and_saveexec_b64 s[4:5], s[2:3]
	s_cbranch_execz .LBB311_10
; %bb.8:
	v_ashrrev_i32_e32 v3, 31, v2
	v_lshlrev_b64 v[7:8], 3, v[2:3]
	v_add_co_u32_e64 v3, s[2:3], v4, v7
	v_addc_co_u32_e64 v4, s[2:3], v6, v8, s[2:3]
	global_load_dwordx2 v[6:7], v[3:4], off
	v_cmp_eq_u32_e64 s[2:3], v5, v2
	s_waitcnt vmcnt(0)
	v_add_f32_e32 v6, v19, v6
	v_add_f32_e32 v7, v18, v7
	global_store_dwordx2 v[3:4], v[6:7], off
	s_and_b64 exec, exec, s[2:3]
	s_cbranch_execz .LBB311_10
; %bb.9:
	v_mov_b32_e32 v1, 0
	global_store_dword v[3:4], v1, off offset:4
.LBB311_10:
	s_or_b64 exec, exec, s[4:5]
	v_add_u32_e32 v8, 16, v5
	v_mad_i64_i32 v[3:4], s[2:3], v8, s9, 0
	v_mov_b32_e32 v1, s8
	v_lshlrev_b64 v[3:4], 3, v[3:4]
	v_add_co_u32_e64 v6, s[2:3], s7, v3
	v_addc_co_u32_e64 v7, s[2:3], v1, v4, s[2:3]
	v_cmp_le_i32_e64 s[2:3], v8, v0
	s_and_b64 s[4:5], s[2:3], vcc
	s_and_saveexec_b64 s[2:3], s[4:5]
	s_cbranch_execz .LBB311_13
; %bb.11:
	v_ashrrev_i32_e32 v1, 31, v0
	v_lshlrev_b64 v[3:4], 3, v[0:1]
	v_add_co_u32_e32 v3, vcc, v6, v3
	v_addc_co_u32_e32 v4, vcc, v7, v4, vcc
	global_load_dwordx2 v[11:12], v[3:4], off
	v_cmp_eq_u32_e32 vcc, v8, v0
	s_waitcnt vmcnt(0)
	v_add_f32_e32 v11, v17, v11
	v_add_f32_e32 v12, v16, v12
	global_store_dwordx2 v[3:4], v[11:12], off
	s_and_b64 exec, exec, vcc
	s_cbranch_execz .LBB311_13
; %bb.12:
	v_mov_b32_e32 v1, 0
	global_store_dword v[3:4], v1, off offset:4
.LBB311_13:
	s_or_b64 exec, exec, s[2:3]
	v_cmp_le_i32_e32 vcc, v8, v2
	s_and_b64 s[0:1], vcc, s[0:1]
	s_and_saveexec_b64 s[2:3], s[0:1]
	s_cbranch_execz .LBB311_16
; %bb.14:
	v_ashrrev_i32_e32 v3, 31, v2
	v_lshlrev_b64 v[1:2], 3, v[2:3]
	v_add_co_u32_e32 v1, vcc, v6, v1
	v_addc_co_u32_e32 v2, vcc, v7, v2, vcc
	global_load_dwordx2 v[3:4], v[1:2], off
	v_cmp_eq_u32_e32 vcc, v5, v0
	s_waitcnt vmcnt(0)
	v_add_f32_e32 v3, v15, v3
	v_add_f32_e32 v4, v10, v4
	global_store_dwordx2 v[1:2], v[3:4], off
	s_and_b64 exec, exec, vcc
	s_cbranch_execz .LBB311_16
; %bb.15:
	v_mov_b32_e32 v0, 0
	global_store_dword v[1:2], v0, off offset:4
.LBB311_16:
	s_endpgm
	.section	.rodata,"a",@progbits
	.p2align	6, 0x0
	.amdhsa_kernel _ZL37rocblas_syrkx_herkx_restricted_kernelIi19rocblas_complex_numIfELi16ELi32ELi8ELi1ELi1ELb1ELc67ELc76EKS1_S1_EviT_PT9_S3_lS5_S3_lPT10_S3_li
		.amdhsa_group_segment_fixed_size 4096
		.amdhsa_private_segment_fixed_size 0
		.amdhsa_kernarg_size 84
		.amdhsa_user_sgpr_count 6
		.amdhsa_user_sgpr_private_segment_buffer 1
		.amdhsa_user_sgpr_dispatch_ptr 0
		.amdhsa_user_sgpr_queue_ptr 0
		.amdhsa_user_sgpr_kernarg_segment_ptr 1
		.amdhsa_user_sgpr_dispatch_id 0
		.amdhsa_user_sgpr_flat_scratch_init 0
		.amdhsa_user_sgpr_private_segment_size 0
		.amdhsa_uses_dynamic_stack 0
		.amdhsa_system_sgpr_private_segment_wavefront_offset 0
		.amdhsa_system_sgpr_workgroup_id_x 1
		.amdhsa_system_sgpr_workgroup_id_y 1
		.amdhsa_system_sgpr_workgroup_id_z 1
		.amdhsa_system_sgpr_workgroup_info 0
		.amdhsa_system_vgpr_workitem_id 1
		.amdhsa_next_free_vgpr 41
		.amdhsa_next_free_sgpr 22
		.amdhsa_reserve_vcc 1
		.amdhsa_reserve_flat_scratch 0
		.amdhsa_float_round_mode_32 0
		.amdhsa_float_round_mode_16_64 0
		.amdhsa_float_denorm_mode_32 3
		.amdhsa_float_denorm_mode_16_64 3
		.amdhsa_dx10_clamp 1
		.amdhsa_ieee_mode 1
		.amdhsa_fp16_overflow 0
		.amdhsa_exception_fp_ieee_invalid_op 0
		.amdhsa_exception_fp_denorm_src 0
		.amdhsa_exception_fp_ieee_div_zero 0
		.amdhsa_exception_fp_ieee_overflow 0
		.amdhsa_exception_fp_ieee_underflow 0
		.amdhsa_exception_fp_ieee_inexact 0
		.amdhsa_exception_int_div_zero 0
	.end_amdhsa_kernel
	.section	.text._ZL37rocblas_syrkx_herkx_restricted_kernelIi19rocblas_complex_numIfELi16ELi32ELi8ELi1ELi1ELb1ELc67ELc76EKS1_S1_EviT_PT9_S3_lS5_S3_lPT10_S3_li,"axG",@progbits,_ZL37rocblas_syrkx_herkx_restricted_kernelIi19rocblas_complex_numIfELi16ELi32ELi8ELi1ELi1ELb1ELc67ELc76EKS1_S1_EviT_PT9_S3_lS5_S3_lPT10_S3_li,comdat
.Lfunc_end311:
	.size	_ZL37rocblas_syrkx_herkx_restricted_kernelIi19rocblas_complex_numIfELi16ELi32ELi8ELi1ELi1ELb1ELc67ELc76EKS1_S1_EviT_PT9_S3_lS5_S3_lPT10_S3_li, .Lfunc_end311-_ZL37rocblas_syrkx_herkx_restricted_kernelIi19rocblas_complex_numIfELi16ELi32ELi8ELi1ELi1ELb1ELc67ELc76EKS1_S1_EviT_PT9_S3_lS5_S3_lPT10_S3_li
                                        ; -- End function
	.set _ZL37rocblas_syrkx_herkx_restricted_kernelIi19rocblas_complex_numIfELi16ELi32ELi8ELi1ELi1ELb1ELc67ELc76EKS1_S1_EviT_PT9_S3_lS5_S3_lPT10_S3_li.num_vgpr, 41
	.set _ZL37rocblas_syrkx_herkx_restricted_kernelIi19rocblas_complex_numIfELi16ELi32ELi8ELi1ELi1ELb1ELc67ELc76EKS1_S1_EviT_PT9_S3_lS5_S3_lPT10_S3_li.num_agpr, 0
	.set _ZL37rocblas_syrkx_herkx_restricted_kernelIi19rocblas_complex_numIfELi16ELi32ELi8ELi1ELi1ELb1ELc67ELc76EKS1_S1_EviT_PT9_S3_lS5_S3_lPT10_S3_li.numbered_sgpr, 22
	.set _ZL37rocblas_syrkx_herkx_restricted_kernelIi19rocblas_complex_numIfELi16ELi32ELi8ELi1ELi1ELb1ELc67ELc76EKS1_S1_EviT_PT9_S3_lS5_S3_lPT10_S3_li.num_named_barrier, 0
	.set _ZL37rocblas_syrkx_herkx_restricted_kernelIi19rocblas_complex_numIfELi16ELi32ELi8ELi1ELi1ELb1ELc67ELc76EKS1_S1_EviT_PT9_S3_lS5_S3_lPT10_S3_li.private_seg_size, 0
	.set _ZL37rocblas_syrkx_herkx_restricted_kernelIi19rocblas_complex_numIfELi16ELi32ELi8ELi1ELi1ELb1ELc67ELc76EKS1_S1_EviT_PT9_S3_lS5_S3_lPT10_S3_li.uses_vcc, 1
	.set _ZL37rocblas_syrkx_herkx_restricted_kernelIi19rocblas_complex_numIfELi16ELi32ELi8ELi1ELi1ELb1ELc67ELc76EKS1_S1_EviT_PT9_S3_lS5_S3_lPT10_S3_li.uses_flat_scratch, 0
	.set _ZL37rocblas_syrkx_herkx_restricted_kernelIi19rocblas_complex_numIfELi16ELi32ELi8ELi1ELi1ELb1ELc67ELc76EKS1_S1_EviT_PT9_S3_lS5_S3_lPT10_S3_li.has_dyn_sized_stack, 0
	.set _ZL37rocblas_syrkx_herkx_restricted_kernelIi19rocblas_complex_numIfELi16ELi32ELi8ELi1ELi1ELb1ELc67ELc76EKS1_S1_EviT_PT9_S3_lS5_S3_lPT10_S3_li.has_recursion, 0
	.set _ZL37rocblas_syrkx_herkx_restricted_kernelIi19rocblas_complex_numIfELi16ELi32ELi8ELi1ELi1ELb1ELc67ELc76EKS1_S1_EviT_PT9_S3_lS5_S3_lPT10_S3_li.has_indirect_call, 0
	.section	.AMDGPU.csdata,"",@progbits
; Kernel info:
; codeLenInByte = 2064
; TotalNumSgprs: 26
; NumVgprs: 41
; ScratchSize: 0
; MemoryBound: 0
; FloatMode: 240
; IeeeMode: 1
; LDSByteSize: 4096 bytes/workgroup (compile time only)
; SGPRBlocks: 3
; VGPRBlocks: 10
; NumSGPRsForWavesPerEU: 26
; NumVGPRsForWavesPerEU: 41
; Occupancy: 5
; WaveLimiterHint : 0
; COMPUTE_PGM_RSRC2:SCRATCH_EN: 0
; COMPUTE_PGM_RSRC2:USER_SGPR: 6
; COMPUTE_PGM_RSRC2:TRAP_HANDLER: 0
; COMPUTE_PGM_RSRC2:TGID_X_EN: 1
; COMPUTE_PGM_RSRC2:TGID_Y_EN: 1
; COMPUTE_PGM_RSRC2:TGID_Z_EN: 1
; COMPUTE_PGM_RSRC2:TIDIG_COMP_CNT: 1
	.section	.text._ZL37rocblas_syrkx_herkx_restricted_kernelIi19rocblas_complex_numIfELi16ELi32ELi8ELi1ELi1ELb1ELc78ELc76EKS1_S1_EviT_PT9_S3_lS5_S3_lPT10_S3_li,"axG",@progbits,_ZL37rocblas_syrkx_herkx_restricted_kernelIi19rocblas_complex_numIfELi16ELi32ELi8ELi1ELi1ELb1ELc78ELc76EKS1_S1_EviT_PT9_S3_lS5_S3_lPT10_S3_li,comdat
	.globl	_ZL37rocblas_syrkx_herkx_restricted_kernelIi19rocblas_complex_numIfELi16ELi32ELi8ELi1ELi1ELb1ELc78ELc76EKS1_S1_EviT_PT9_S3_lS5_S3_lPT10_S3_li ; -- Begin function _ZL37rocblas_syrkx_herkx_restricted_kernelIi19rocblas_complex_numIfELi16ELi32ELi8ELi1ELi1ELb1ELc78ELc76EKS1_S1_EviT_PT9_S3_lS5_S3_lPT10_S3_li
	.p2align	8
	.type	_ZL37rocblas_syrkx_herkx_restricted_kernelIi19rocblas_complex_numIfELi16ELi32ELi8ELi1ELi1ELb1ELc78ELc76EKS1_S1_EviT_PT9_S3_lS5_S3_lPT10_S3_li,@function
_ZL37rocblas_syrkx_herkx_restricted_kernelIi19rocblas_complex_numIfELi16ELi32ELi8ELi1ELi1ELb1ELc78ELc76EKS1_S1_EviT_PT9_S3_lS5_S3_lPT10_S3_li: ; @_ZL37rocblas_syrkx_herkx_restricted_kernelIi19rocblas_complex_numIfELi16ELi32ELi8ELi1ELi1ELb1ELc78ELc76EKS1_S1_EviT_PT9_S3_lS5_S3_lPT10_S3_li
; %bb.0:
	s_load_dwordx2 s[10:11], s[4:5], 0x0
	s_load_dwordx4 s[0:3], s[4:5], 0x30
	s_lshl_b32 s9, s6, 5
	s_lshl_b32 s16, s7, 5
	s_mov_b32 s17, 0
	s_waitcnt lgkmcnt(0)
	s_cmp_lt_i32 s11, 1
	s_cbranch_scc1 .LBB312_3
; %bb.1:
	v_lshl_add_u32 v5, v1, 4, v0
	s_load_dword s6, s[4:5], 0x10
	s_load_dword s18, s[4:5], 0x28
	s_load_dwordx2 s[20:21], s[4:5], 0x8
	s_load_dwordx4 s[12:15], s[4:5], 0x18
	v_lshrrev_b32_e32 v6, 3, v5
	v_add_u32_e32 v2, s16, v6
	v_and_b32_e32 v4, 7, v0
	v_ashrrev_i32_e32 v3, 31, v2
	s_waitcnt lgkmcnt(0)
	v_mad_i64_i32 v[2:3], s[22:23], s18, v4, v[2:3]
	v_lshlrev_b32_e32 v4, 3, v4
	v_lshl_or_b32 v4, v6, 6, v4
	v_lshrrev_b32_e32 v7, 5, v5
	v_and_b32_e32 v5, 31, v5
	v_add_u32_e32 v11, 0x800, v4
	v_mov_b32_e32 v4, 0x800
	v_lshl_add_u32 v13, v1, 6, v4
	v_add_u32_e32 v4, s9, v5
	v_lshlrev_b32_e32 v8, 3, v5
	v_ashrrev_i32_e32 v5, 31, v4
	v_mad_i64_i32 v[4:5], s[22:23], s6, v7, v[4:5]
	s_mul_i32 s13, s13, s8
	s_mul_hi_u32 s24, s12, s8
	s_add_i32 s13, s24, s13
	s_mul_i32 s12, s12, s8
	s_ashr_i32 s7, s6, 31
	s_ashr_i32 s19, s18, 31
	s_lshl_b64 s[12:13], s[12:13], 3
	v_lshlrev_b64 v[4:5], 3, v[4:5]
	s_add_u32 s12, s20, s12
	s_addc_u32 s13, s21, s13
	v_add_co_u32_e32 v4, vcc, s12, v4
	s_mul_i32 s1, s1, s8
	s_mul_hi_u32 s12, s0, s8
	v_mov_b32_e32 v6, s13
	s_add_i32 s1, s12, s1
	s_mul_i32 s0, s0, s8
	v_addc_co_u32_e32 v5, vcc, v6, v5, vcc
	s_lshl_b64 s[6:7], s[6:7], 6
	s_lshl_b64 s[0:1], s[0:1], 3
	v_add_co_u32_e32 v6, vcc, 4, v4
	v_lshlrev_b64 v[2:3], 3, v[2:3]
	s_add_u32 s0, s14, s0
	v_lshl_or_b32 v10, v7, 8, v8
	v_addc_co_u32_e32 v7, vcc, 0, v5, vcc
	s_addc_u32 s1, s15, s1
	v_mov_b32_e32 v4, s1
	v_add_co_u32_e32 v2, vcc, s0, v2
	v_addc_co_u32_e32 v3, vcc, v4, v3, vcc
	v_add_co_u32_e32 v8, vcc, 4, v2
	s_lshl_b64 s[0:1], s[18:19], 6
	v_lshlrev_b32_e32 v12, 3, v0
	v_addc_co_u32_e32 v9, vcc, 0, v3, vcc
	v_mov_b32_e32 v16, 0
	v_mov_b32_e32 v14, s7
	v_mov_b32_e32 v15, s1
	v_mov_b32_e32 v17, 0
	v_mov_b32_e32 v18, 0
	v_mov_b32_e32 v19, 0
	v_mov_b32_e32 v20, 0
	v_mov_b32_e32 v21, 0
	v_mov_b32_e32 v23, 0
	v_mov_b32_e32 v22, 0
.LBB312_2:                              ; =>This Inner Loop Header: Depth=1
	global_load_dwordx2 v[2:3], v[6:7], off offset:-4
	v_add_co_u32_e32 v6, vcc, s6, v6
	v_addc_co_u32_e32 v7, vcc, v7, v14, vcc
	s_add_i32 s17, s17, 8
	s_cmp_ge_i32 s17, s11
	s_waitcnt vmcnt(0)
	ds_write_b64 v10, v[2:3]
	global_load_dwordx2 v[2:3], v[8:9], off offset:-4
	v_add_co_u32_e32 v8, vcc, s0, v8
	v_addc_co_u32_e32 v9, vcc, v9, v15, vcc
	s_waitcnt vmcnt(0)
	v_xor_b32_e32 v3, 0x80000000, v3
	ds_write_b64 v11, v[2:3]
	s_waitcnt lgkmcnt(0)
	s_barrier
	ds_read_b128 v[24:27], v13
	ds_read_b128 v[28:31], v13 offset:16
	ds_read_b128 v[32:35], v13 offset:32
	;; [unrolled: 1-line block ×3, first 2 shown]
	ds_read2_b64 v[36:39], v12 offset1:16
	s_waitcnt lgkmcnt(0)
	v_mul_f32_e32 v40, v25, v37
	v_mul_f32_e32 v41, v24, v37
	v_fma_f32 v40, v24, v36, -v40
	v_fmac_f32_e32 v41, v25, v36
	v_add_f32_e32 v40, v22, v40
	v_add_f32_e32 v41, v23, v41
	v_mul_f32_e32 v22, v25, v39
	v_mul_f32_e32 v23, v24, v39
	v_fma_f32 v22, v24, v38, -v22
	v_fmac_f32_e32 v23, v25, v38
	v_add_f32_e32 v24, v21, v22
	v_add_f32_e32 v25, v20, v23
	ds_read_b128 v[20:23], v13 offset:1024
	s_waitcnt lgkmcnt(0)
	v_mul_f32_e32 v42, v21, v37
	v_mul_f32_e32 v37, v20, v37
	v_fma_f32 v42, v20, v36, -v42
	v_fmac_f32_e32 v37, v21, v36
	v_add_f32_e32 v36, v19, v42
	v_add_f32_e32 v37, v18, v37
	v_mul_f32_e32 v18, v21, v39
	v_mul_f32_e32 v19, v20, v39
	v_fma_f32 v18, v20, v38, -v18
	v_fmac_f32_e32 v19, v21, v38
	v_add_f32_e32 v20, v17, v18
	v_add_f32_e32 v21, v16, v19
	ds_read2_b64 v[16:19], v12 offset0:32 offset1:48
	s_waitcnt lgkmcnt(0)
	v_mul_f32_e32 v38, v27, v17
	v_fma_f32 v38, v26, v16, -v38
	v_add_f32_e32 v38, v40, v38
	v_mul_f32_e32 v40, v27, v19
	v_mul_f32_e32 v39, v26, v17
	v_fma_f32 v40, v26, v18, -v40
	v_mul_f32_e32 v26, v26, v19
	v_fmac_f32_e32 v26, v27, v18
	v_add_f32_e32 v25, v25, v26
	v_mul_f32_e32 v26, v23, v17
	v_mul_f32_e32 v17, v22, v17
	v_fmac_f32_e32 v17, v23, v16
	v_fmac_f32_e32 v39, v27, v16
	v_fma_f32 v26, v22, v16, -v26
	v_add_f32_e32 v27, v37, v17
	v_mul_f32_e32 v16, v23, v19
	v_mul_f32_e32 v17, v22, v19
	v_fma_f32 v16, v22, v18, -v16
	v_fmac_f32_e32 v17, v23, v18
	v_add_f32_e32 v26, v36, v26
	v_add_f32_e32 v36, v20, v16
	;; [unrolled: 1-line block ×3, first 2 shown]
	ds_read2_b64 v[16:19], v12 offset0:64 offset1:80
	v_add_f32_e32 v39, v41, v39
	v_add_f32_e32 v24, v24, v40
	s_waitcnt lgkmcnt(0)
	v_mul_f32_e32 v20, v29, v17
	v_mul_f32_e32 v21, v28, v17
	v_fma_f32 v20, v28, v16, -v20
	v_fmac_f32_e32 v21, v29, v16
	v_add_f32_e32 v38, v38, v20
	v_add_f32_e32 v39, v39, v21
	v_mul_f32_e32 v20, v29, v19
	v_mul_f32_e32 v21, v28, v19
	v_fma_f32 v20, v28, v18, -v20
	v_fmac_f32_e32 v21, v29, v18
	v_add_f32_e32 v24, v24, v20
	v_add_f32_e32 v25, v25, v21
	ds_read_b128 v[20:23], v13 offset:1040
	s_waitcnt lgkmcnt(0)
	v_mul_f32_e32 v28, v21, v17
	v_mul_f32_e32 v17, v20, v17
	v_fmac_f32_e32 v17, v21, v16
	v_fma_f32 v28, v20, v16, -v28
	v_add_f32_e32 v27, v27, v17
	v_mul_f32_e32 v16, v21, v19
	v_mul_f32_e32 v17, v20, v19
	v_fma_f32 v16, v20, v18, -v16
	v_fmac_f32_e32 v17, v21, v18
	v_add_f32_e32 v20, v36, v16
	v_add_f32_e32 v21, v37, v17
	ds_read2_b64 v[16:19], v12 offset0:96 offset1:112
	v_add_f32_e32 v26, v26, v28
	s_waitcnt lgkmcnt(0)
	v_mul_f32_e32 v28, v31, v17
	v_mul_f32_e32 v36, v31, v19
	v_fma_f32 v28, v30, v16, -v28
	v_mul_f32_e32 v29, v30, v17
	v_fma_f32 v36, v30, v18, -v36
	v_mul_f32_e32 v30, v30, v19
	v_fmac_f32_e32 v30, v31, v18
	v_add_f32_e32 v25, v25, v30
	v_mul_f32_e32 v30, v23, v17
	v_mul_f32_e32 v17, v22, v17
	v_fmac_f32_e32 v17, v23, v16
	v_fmac_f32_e32 v29, v31, v16
	v_fma_f32 v30, v22, v16, -v30
	v_add_f32_e32 v27, v27, v17
	v_mul_f32_e32 v16, v23, v19
	v_mul_f32_e32 v17, v22, v19
	v_fma_f32 v16, v22, v18, -v16
	v_fmac_f32_e32 v17, v23, v18
	v_add_f32_e32 v26, v26, v30
	v_add_f32_e32 v30, v20, v16
	;; [unrolled: 1-line block ×3, first 2 shown]
	ds_read2_b64 v[16:19], v12 offset0:128 offset1:144
	v_add_f32_e32 v28, v38, v28
	v_add_f32_e32 v29, v39, v29
	;; [unrolled: 1-line block ×3, first 2 shown]
	s_waitcnt lgkmcnt(0)
	v_mul_f32_e32 v20, v33, v17
	v_mul_f32_e32 v21, v32, v17
	v_fma_f32 v20, v32, v16, -v20
	v_fmac_f32_e32 v21, v33, v16
	v_add_f32_e32 v28, v28, v20
	v_add_f32_e32 v29, v29, v21
	v_mul_f32_e32 v20, v33, v19
	v_mul_f32_e32 v21, v32, v19
	v_fma_f32 v20, v32, v18, -v20
	v_fmac_f32_e32 v21, v33, v18
	v_add_f32_e32 v24, v24, v20
	v_add_f32_e32 v25, v25, v21
	ds_read_b128 v[20:23], v13 offset:1056
	s_waitcnt lgkmcnt(0)
	v_mul_f32_e32 v32, v21, v17
	v_mul_f32_e32 v17, v20, v17
	v_fmac_f32_e32 v17, v21, v16
	v_fma_f32 v32, v20, v16, -v32
	v_add_f32_e32 v27, v27, v17
	v_mul_f32_e32 v16, v21, v19
	v_mul_f32_e32 v17, v20, v19
	v_fma_f32 v16, v20, v18, -v16
	v_fmac_f32_e32 v17, v21, v18
	v_add_f32_e32 v20, v30, v16
	v_add_f32_e32 v21, v31, v17
	ds_read2_b64 v[16:19], v12 offset0:160 offset1:176
	v_add_f32_e32 v26, v26, v32
	s_waitcnt lgkmcnt(0)
	v_mul_f32_e32 v30, v35, v17
	v_fma_f32 v30, v34, v16, -v30
	v_add_f32_e32 v28, v28, v30
	v_mul_f32_e32 v30, v35, v19
	v_fma_f32 v30, v34, v18, -v30
	v_mul_f32_e32 v31, v34, v17
	v_add_f32_e32 v24, v24, v30
	v_mul_f32_e32 v30, v23, v17
	v_mul_f32_e32 v17, v22, v17
	v_fmac_f32_e32 v17, v23, v16
	v_fmac_f32_e32 v31, v35, v16
	v_fma_f32 v30, v22, v16, -v30
	v_add_f32_e32 v27, v27, v17
	v_mul_f32_e32 v16, v23, v19
	v_mul_f32_e32 v17, v22, v19
	v_add_f32_e32 v29, v29, v31
	v_mul_f32_e32 v31, v34, v19
	v_fma_f32 v16, v22, v18, -v16
	v_fmac_f32_e32 v17, v23, v18
	v_fmac_f32_e32 v31, v35, v18
	v_add_f32_e32 v20, v20, v16
	v_add_f32_e32 v21, v21, v17
	ds_read2_b64 v[16:19], v12 offset0:192 offset1:208
	v_add_f32_e32 v26, v26, v30
	v_add_f32_e32 v25, v25, v31
	s_waitcnt lgkmcnt(0)
	v_mul_f32_e32 v22, v3, v17
	v_fma_f32 v22, v2, v16, -v22
	v_add_f32_e32 v30, v28, v22
	v_mul_f32_e32 v22, v3, v19
	v_mul_f32_e32 v23, v2, v17
	v_fma_f32 v22, v2, v18, -v22
	v_mul_f32_e32 v2, v2, v19
	v_fmac_f32_e32 v23, v3, v16
	v_fmac_f32_e32 v2, v3, v18
	v_add_f32_e32 v31, v29, v23
	v_add_f32_e32 v3, v24, v22
	;; [unrolled: 1-line block ×3, first 2 shown]
	ds_read_b128 v[22:25], v13 offset:1072
	s_waitcnt lgkmcnt(0)
	v_mul_f32_e32 v28, v23, v17
	v_fma_f32 v28, v22, v16, -v28
	v_mul_f32_e32 v17, v22, v17
	v_fmac_f32_e32 v17, v23, v16
	v_add_f32_e32 v16, v26, v28
	v_mul_f32_e32 v26, v23, v19
	v_fma_f32 v26, v22, v18, -v26
	v_add_f32_e32 v17, v27, v17
	v_add_f32_e32 v32, v20, v26
	ds_read2_b64 v[26:29], v12 offset0:224 offset1:240
	v_mul_f32_e32 v19, v22, v19
	v_fmac_f32_e32 v19, v23, v18
	v_add_f32_e32 v33, v21, v19
	s_waitcnt lgkmcnt(0)
	v_mul_f32_e32 v18, v5, v27
	v_fma_f32 v18, v4, v26, -v18
	v_add_f32_e32 v22, v30, v18
	v_mul_f32_e32 v18, v5, v29
	v_mul_f32_e32 v19, v4, v27
	v_fma_f32 v18, v4, v28, -v18
	v_mul_f32_e32 v4, v4, v29
	v_fmac_f32_e32 v4, v5, v28
	v_add_f32_e32 v21, v3, v18
	v_add_f32_e32 v20, v2, v4
	v_mul_f32_e32 v2, v25, v27
	v_mul_f32_e32 v3, v24, v27
	v_fmac_f32_e32 v19, v5, v26
	v_fma_f32 v2, v24, v26, -v2
	v_fmac_f32_e32 v3, v25, v26
	v_add_f32_e32 v23, v31, v19
	v_add_f32_e32 v19, v16, v2
	;; [unrolled: 1-line block ×3, first 2 shown]
	v_mul_f32_e32 v2, v25, v29
	v_mul_f32_e32 v3, v24, v29
	v_fma_f32 v2, v24, v28, -v2
	v_fmac_f32_e32 v3, v25, v28
	v_add_f32_e32 v17, v32, v2
	v_add_f32_e32 v16, v33, v3
	s_barrier
	s_cbranch_scc0 .LBB312_2
	s_branch .LBB312_4
.LBB312_3:
	v_mov_b32_e32 v22, 0
	v_mov_b32_e32 v23, 0
	;; [unrolled: 1-line block ×8, first 2 shown]
.LBB312_4:
	s_load_dwordx2 s[0:1], s[4:5], 0x48
	s_load_dword s6, s[4:5], 0x40
	v_add_u32_e32 v5, s16, v1
	v_add_u32_e32 v0, s9, v0
	s_waitcnt lgkmcnt(0)
	s_mul_i32 s1, s1, s8
	s_mul_hi_u32 s4, s0, s8
	s_add_i32 s1, s4, s1
	v_mad_i64_i32 v[1:2], s[4:5], v5, s6, 0
	s_mul_i32 s0, s0, s8
	s_lshl_b64 s[0:1], s[0:1], 3
	s_add_u32 s7, s2, s0
	v_lshlrev_b64 v[1:2], 3, v[1:2]
	s_addc_u32 s8, s3, s1
	v_mov_b32_e32 v3, s8
	v_add_co_u32_e32 v4, vcc, s7, v1
	v_addc_co_u32_e32 v6, vcc, v3, v2, vcc
	v_cmp_le_i32_e64 s[0:1], v5, v0
	v_cmp_gt_i32_e32 vcc, s10, v0
	s_and_b64 s[0:1], s[0:1], vcc
	s_and_saveexec_b64 s[2:3], s[0:1]
	s_cbranch_execz .LBB312_7
; %bb.5:
	v_ashrrev_i32_e32 v1, 31, v0
	v_lshlrev_b64 v[1:2], 3, v[0:1]
	v_add_co_u32_e64 v1, s[0:1], v4, v1
	v_addc_co_u32_e64 v2, s[0:1], v6, v2, s[0:1]
	global_load_dwordx2 v[7:8], v[1:2], off
	v_cmp_eq_u32_e64 s[0:1], v5, v0
	s_waitcnt vmcnt(0)
	v_add_f32_e32 v7, v22, v7
	v_add_f32_e32 v8, v23, v8
	global_store_dwordx2 v[1:2], v[7:8], off
	s_and_b64 exec, exec, s[0:1]
	s_cbranch_execz .LBB312_7
; %bb.6:
	v_mov_b32_e32 v3, 0
	global_store_dword v[1:2], v3, off offset:4
.LBB312_7:
	s_or_b64 exec, exec, s[2:3]
	v_add_u32_e32 v2, 16, v0
	v_cmp_le_i32_e64 s[2:3], v5, v2
	v_cmp_gt_i32_e64 s[0:1], s10, v2
	s_and_b64 s[2:3], s[2:3], s[0:1]
	s_and_saveexec_b64 s[4:5], s[2:3]
	s_cbranch_execz .LBB312_10
; %bb.8:
	v_ashrrev_i32_e32 v3, 31, v2
	v_lshlrev_b64 v[7:8], 3, v[2:3]
	v_add_co_u32_e64 v3, s[2:3], v4, v7
	v_addc_co_u32_e64 v4, s[2:3], v6, v8, s[2:3]
	global_load_dwordx2 v[6:7], v[3:4], off
	v_cmp_eq_u32_e64 s[2:3], v5, v2
	s_waitcnt vmcnt(0)
	v_add_f32_e32 v6, v21, v6
	v_add_f32_e32 v7, v20, v7
	global_store_dwordx2 v[3:4], v[6:7], off
	s_and_b64 exec, exec, s[2:3]
	s_cbranch_execz .LBB312_10
; %bb.9:
	v_mov_b32_e32 v1, 0
	global_store_dword v[3:4], v1, off offset:4
.LBB312_10:
	s_or_b64 exec, exec, s[4:5]
	v_add_u32_e32 v8, 16, v5
	v_mad_i64_i32 v[3:4], s[2:3], v8, s6, 0
	v_mov_b32_e32 v1, s8
	v_lshlrev_b64 v[3:4], 3, v[3:4]
	v_add_co_u32_e64 v6, s[2:3], s7, v3
	v_addc_co_u32_e64 v7, s[2:3], v1, v4, s[2:3]
	v_cmp_le_i32_e64 s[2:3], v8, v0
	s_and_b64 s[4:5], s[2:3], vcc
	s_and_saveexec_b64 s[2:3], s[4:5]
	s_cbranch_execz .LBB312_13
; %bb.11:
	v_ashrrev_i32_e32 v1, 31, v0
	v_lshlrev_b64 v[3:4], 3, v[0:1]
	v_add_co_u32_e32 v3, vcc, v6, v3
	v_addc_co_u32_e32 v4, vcc, v7, v4, vcc
	global_load_dwordx2 v[9:10], v[3:4], off
	v_cmp_eq_u32_e32 vcc, v8, v0
	s_waitcnt vmcnt(0)
	v_add_f32_e32 v9, v19, v9
	v_add_f32_e32 v10, v18, v10
	global_store_dwordx2 v[3:4], v[9:10], off
	s_and_b64 exec, exec, vcc
	s_cbranch_execz .LBB312_13
; %bb.12:
	v_mov_b32_e32 v1, 0
	global_store_dword v[3:4], v1, off offset:4
.LBB312_13:
	s_or_b64 exec, exec, s[2:3]
	v_cmp_le_i32_e32 vcc, v8, v2
	s_and_b64 s[0:1], vcc, s[0:1]
	s_and_saveexec_b64 s[2:3], s[0:1]
	s_cbranch_execz .LBB312_16
; %bb.14:
	v_ashrrev_i32_e32 v3, 31, v2
	v_lshlrev_b64 v[1:2], 3, v[2:3]
	v_add_co_u32_e32 v1, vcc, v6, v1
	v_addc_co_u32_e32 v2, vcc, v7, v2, vcc
	global_load_dwordx2 v[3:4], v[1:2], off
	v_cmp_eq_u32_e32 vcc, v5, v0
	s_waitcnt vmcnt(0)
	v_add_f32_e32 v3, v17, v3
	v_add_f32_e32 v4, v16, v4
	global_store_dwordx2 v[1:2], v[3:4], off
	s_and_b64 exec, exec, vcc
	s_cbranch_execz .LBB312_16
; %bb.15:
	v_mov_b32_e32 v0, 0
	global_store_dword v[1:2], v0, off offset:4
.LBB312_16:
	s_endpgm
	.section	.rodata,"a",@progbits
	.p2align	6, 0x0
	.amdhsa_kernel _ZL37rocblas_syrkx_herkx_restricted_kernelIi19rocblas_complex_numIfELi16ELi32ELi8ELi1ELi1ELb1ELc78ELc76EKS1_S1_EviT_PT9_S3_lS5_S3_lPT10_S3_li
		.amdhsa_group_segment_fixed_size 4096
		.amdhsa_private_segment_fixed_size 0
		.amdhsa_kernarg_size 84
		.amdhsa_user_sgpr_count 6
		.amdhsa_user_sgpr_private_segment_buffer 1
		.amdhsa_user_sgpr_dispatch_ptr 0
		.amdhsa_user_sgpr_queue_ptr 0
		.amdhsa_user_sgpr_kernarg_segment_ptr 1
		.amdhsa_user_sgpr_dispatch_id 0
		.amdhsa_user_sgpr_flat_scratch_init 0
		.amdhsa_user_sgpr_private_segment_size 0
		.amdhsa_uses_dynamic_stack 0
		.amdhsa_system_sgpr_private_segment_wavefront_offset 0
		.amdhsa_system_sgpr_workgroup_id_x 1
		.amdhsa_system_sgpr_workgroup_id_y 1
		.amdhsa_system_sgpr_workgroup_id_z 1
		.amdhsa_system_sgpr_workgroup_info 0
		.amdhsa_system_vgpr_workitem_id 1
		.amdhsa_next_free_vgpr 43
		.amdhsa_next_free_sgpr 25
		.amdhsa_reserve_vcc 1
		.amdhsa_reserve_flat_scratch 0
		.amdhsa_float_round_mode_32 0
		.amdhsa_float_round_mode_16_64 0
		.amdhsa_float_denorm_mode_32 3
		.amdhsa_float_denorm_mode_16_64 3
		.amdhsa_dx10_clamp 1
		.amdhsa_ieee_mode 1
		.amdhsa_fp16_overflow 0
		.amdhsa_exception_fp_ieee_invalid_op 0
		.amdhsa_exception_fp_denorm_src 0
		.amdhsa_exception_fp_ieee_div_zero 0
		.amdhsa_exception_fp_ieee_overflow 0
		.amdhsa_exception_fp_ieee_underflow 0
		.amdhsa_exception_fp_ieee_inexact 0
		.amdhsa_exception_int_div_zero 0
	.end_amdhsa_kernel
	.section	.text._ZL37rocblas_syrkx_herkx_restricted_kernelIi19rocblas_complex_numIfELi16ELi32ELi8ELi1ELi1ELb1ELc78ELc76EKS1_S1_EviT_PT9_S3_lS5_S3_lPT10_S3_li,"axG",@progbits,_ZL37rocblas_syrkx_herkx_restricted_kernelIi19rocblas_complex_numIfELi16ELi32ELi8ELi1ELi1ELb1ELc78ELc76EKS1_S1_EviT_PT9_S3_lS5_S3_lPT10_S3_li,comdat
.Lfunc_end312:
	.size	_ZL37rocblas_syrkx_herkx_restricted_kernelIi19rocblas_complex_numIfELi16ELi32ELi8ELi1ELi1ELb1ELc78ELc76EKS1_S1_EviT_PT9_S3_lS5_S3_lPT10_S3_li, .Lfunc_end312-_ZL37rocblas_syrkx_herkx_restricted_kernelIi19rocblas_complex_numIfELi16ELi32ELi8ELi1ELi1ELb1ELc78ELc76EKS1_S1_EviT_PT9_S3_lS5_S3_lPT10_S3_li
                                        ; -- End function
	.set _ZL37rocblas_syrkx_herkx_restricted_kernelIi19rocblas_complex_numIfELi16ELi32ELi8ELi1ELi1ELb1ELc78ELc76EKS1_S1_EviT_PT9_S3_lS5_S3_lPT10_S3_li.num_vgpr, 43
	.set _ZL37rocblas_syrkx_herkx_restricted_kernelIi19rocblas_complex_numIfELi16ELi32ELi8ELi1ELi1ELb1ELc78ELc76EKS1_S1_EviT_PT9_S3_lS5_S3_lPT10_S3_li.num_agpr, 0
	.set _ZL37rocblas_syrkx_herkx_restricted_kernelIi19rocblas_complex_numIfELi16ELi32ELi8ELi1ELi1ELb1ELc78ELc76EKS1_S1_EviT_PT9_S3_lS5_S3_lPT10_S3_li.numbered_sgpr, 25
	.set _ZL37rocblas_syrkx_herkx_restricted_kernelIi19rocblas_complex_numIfELi16ELi32ELi8ELi1ELi1ELb1ELc78ELc76EKS1_S1_EviT_PT9_S3_lS5_S3_lPT10_S3_li.num_named_barrier, 0
	.set _ZL37rocblas_syrkx_herkx_restricted_kernelIi19rocblas_complex_numIfELi16ELi32ELi8ELi1ELi1ELb1ELc78ELc76EKS1_S1_EviT_PT9_S3_lS5_S3_lPT10_S3_li.private_seg_size, 0
	.set _ZL37rocblas_syrkx_herkx_restricted_kernelIi19rocblas_complex_numIfELi16ELi32ELi8ELi1ELi1ELb1ELc78ELc76EKS1_S1_EviT_PT9_S3_lS5_S3_lPT10_S3_li.uses_vcc, 1
	.set _ZL37rocblas_syrkx_herkx_restricted_kernelIi19rocblas_complex_numIfELi16ELi32ELi8ELi1ELi1ELb1ELc78ELc76EKS1_S1_EviT_PT9_S3_lS5_S3_lPT10_S3_li.uses_flat_scratch, 0
	.set _ZL37rocblas_syrkx_herkx_restricted_kernelIi19rocblas_complex_numIfELi16ELi32ELi8ELi1ELi1ELb1ELc78ELc76EKS1_S1_EviT_PT9_S3_lS5_S3_lPT10_S3_li.has_dyn_sized_stack, 0
	.set _ZL37rocblas_syrkx_herkx_restricted_kernelIi19rocblas_complex_numIfELi16ELi32ELi8ELi1ELi1ELb1ELc78ELc76EKS1_S1_EviT_PT9_S3_lS5_S3_lPT10_S3_li.has_recursion, 0
	.set _ZL37rocblas_syrkx_herkx_restricted_kernelIi19rocblas_complex_numIfELi16ELi32ELi8ELi1ELi1ELb1ELc78ELc76EKS1_S1_EviT_PT9_S3_lS5_S3_lPT10_S3_li.has_indirect_call, 0
	.section	.AMDGPU.csdata,"",@progbits
; Kernel info:
; codeLenInByte = 2092
; TotalNumSgprs: 29
; NumVgprs: 43
; ScratchSize: 0
; MemoryBound: 0
; FloatMode: 240
; IeeeMode: 1
; LDSByteSize: 4096 bytes/workgroup (compile time only)
; SGPRBlocks: 3
; VGPRBlocks: 10
; NumSGPRsForWavesPerEU: 29
; NumVGPRsForWavesPerEU: 43
; Occupancy: 5
; WaveLimiterHint : 0
; COMPUTE_PGM_RSRC2:SCRATCH_EN: 0
; COMPUTE_PGM_RSRC2:USER_SGPR: 6
; COMPUTE_PGM_RSRC2:TRAP_HANDLER: 0
; COMPUTE_PGM_RSRC2:TGID_X_EN: 1
; COMPUTE_PGM_RSRC2:TGID_Y_EN: 1
; COMPUTE_PGM_RSRC2:TGID_Z_EN: 1
; COMPUTE_PGM_RSRC2:TIDIG_COMP_CNT: 1
	.section	.text._ZL37rocblas_syrkx_herkx_restricted_kernelIi19rocblas_complex_numIfELi16ELi32ELi8ELi1ELi1ELb1ELc84ELc85EKS1_S1_EviT_PT9_S3_lS5_S3_lPT10_S3_li,"axG",@progbits,_ZL37rocblas_syrkx_herkx_restricted_kernelIi19rocblas_complex_numIfELi16ELi32ELi8ELi1ELi1ELb1ELc84ELc85EKS1_S1_EviT_PT9_S3_lS5_S3_lPT10_S3_li,comdat
	.globl	_ZL37rocblas_syrkx_herkx_restricted_kernelIi19rocblas_complex_numIfELi16ELi32ELi8ELi1ELi1ELb1ELc84ELc85EKS1_S1_EviT_PT9_S3_lS5_S3_lPT10_S3_li ; -- Begin function _ZL37rocblas_syrkx_herkx_restricted_kernelIi19rocblas_complex_numIfELi16ELi32ELi8ELi1ELi1ELb1ELc84ELc85EKS1_S1_EviT_PT9_S3_lS5_S3_lPT10_S3_li
	.p2align	8
	.type	_ZL37rocblas_syrkx_herkx_restricted_kernelIi19rocblas_complex_numIfELi16ELi32ELi8ELi1ELi1ELb1ELc84ELc85EKS1_S1_EviT_PT9_S3_lS5_S3_lPT10_S3_li,@function
_ZL37rocblas_syrkx_herkx_restricted_kernelIi19rocblas_complex_numIfELi16ELi32ELi8ELi1ELi1ELb1ELc84ELc85EKS1_S1_EviT_PT9_S3_lS5_S3_lPT10_S3_li: ; @_ZL37rocblas_syrkx_herkx_restricted_kernelIi19rocblas_complex_numIfELi16ELi32ELi8ELi1ELi1ELb1ELc84ELc85EKS1_S1_EviT_PT9_S3_lS5_S3_lPT10_S3_li
; %bb.0:
	s_load_dwordx2 s[10:11], s[4:5], 0x0
	s_load_dwordx4 s[0:3], s[4:5], 0x30
	s_lshl_b32 s6, s6, 5
	s_lshl_b32 s7, s7, 5
	s_mov_b32 s9, 0
	s_waitcnt lgkmcnt(0)
	s_cmp_lt_i32 s11, 1
	s_cbranch_scc1 .LBB313_3
; %bb.1:
	v_lshl_add_u32 v4, v1, 4, v0
	v_and_b32_e32 v7, 31, v4
	s_load_dwordx2 s[16:17], s[4:5], 0x8
	s_load_dword s20, s[4:5], 0x10
	s_load_dwordx4 s[12:15], s[4:5], 0x18
	s_load_dword s18, s[4:5], 0x28
	v_lshrrev_b32_e32 v6, 3, v4
	v_and_b32_e32 v9, 7, v0
	v_lshrrev_b32_e32 v4, 5, v4
	v_lshlrev_b32_e32 v8, 3, v7
	v_lshl_or_b32 v11, v4, 8, v8
	v_lshlrev_b32_e32 v8, 3, v9
	v_add_u32_e32 v2, s7, v6
	v_lshl_or_b32 v6, v6, 6, v8
	v_mov_b32_e32 v10, 0
	v_add_u32_e32 v12, 0x800, v6
	v_mov_b32_e32 v6, 0x800
	v_mov_b32_e32 v5, v10
	v_lshl_add_u32 v14, v1, 6, v6
	v_add_u32_e32 v6, s6, v7
	s_waitcnt lgkmcnt(0)
	v_mad_i64_i32 v[2:3], s[18:19], s18, v2, v[9:10]
	v_mad_i64_i32 v[4:5], s[18:19], s20, v6, v[4:5]
	s_mul_i32 s13, s13, s8
	s_mul_hi_u32 s21, s12, s8
	s_add_i32 s13, s21, s13
	s_mul_i32 s12, s12, s8
	s_lshl_b64 s[12:13], s[12:13], 3
	v_lshlrev_b64 v[4:5], 3, v[4:5]
	s_add_u32 s12, s16, s12
	s_addc_u32 s13, s17, s13
	v_add_co_u32_e32 v4, vcc, s12, v4
	s_mul_i32 s1, s1, s8
	s_mul_hi_u32 s12, s0, s8
	v_mov_b32_e32 v6, s13
	s_add_i32 s1, s12, s1
	s_mul_i32 s0, s0, s8
	v_addc_co_u32_e32 v5, vcc, v6, v5, vcc
	s_lshl_b64 s[0:1], s[0:1], 3
	v_add_co_u32_e32 v6, vcc, 4, v4
	v_lshlrev_b64 v[2:3], 3, v[2:3]
	s_add_u32 s0, s14, s0
	v_addc_co_u32_e32 v7, vcc, 0, v5, vcc
	s_addc_u32 s1, s15, s1
	v_mov_b32_e32 v4, s1
	v_add_co_u32_e32 v2, vcc, s0, v2
	v_addc_co_u32_e32 v3, vcc, v4, v3, vcc
	v_add_co_u32_e32 v8, vcc, 4, v2
	v_lshlrev_b32_e32 v13, 3, v0
	v_addc_co_u32_e32 v9, vcc, 0, v3, vcc
	v_mov_b32_e32 v15, v10
	v_mov_b32_e32 v16, v10
	;; [unrolled: 1-line block ×7, first 2 shown]
.LBB313_2:                              ; =>This Inner Loop Header: Depth=1
	global_load_dwordx2 v[2:3], v[6:7], off offset:-4
	v_add_co_u32_e32 v6, vcc, 64, v6
	v_addc_co_u32_e32 v7, vcc, 0, v7, vcc
	s_add_i32 s9, s9, 8
	s_cmp_ge_i32 s9, s11
	s_waitcnt vmcnt(0)
	ds_write_b64 v11, v[2:3]
	global_load_dwordx2 v[2:3], v[8:9], off offset:-4
	v_add_co_u32_e32 v8, vcc, 64, v8
	v_addc_co_u32_e32 v9, vcc, 0, v9, vcc
	s_waitcnt vmcnt(0)
	ds_write_b64 v12, v[2:3]
	s_waitcnt lgkmcnt(0)
	s_barrier
	ds_read_b128 v[22:25], v14
	ds_read_b128 v[26:29], v14 offset:16
	ds_read_b128 v[30:33], v14 offset:32
	;; [unrolled: 1-line block ×3, first 2 shown]
	ds_read2_b64 v[34:37], v13 offset1:16
	s_waitcnt lgkmcnt(0)
	v_mul_f32_e32 v38, v23, v35
	v_mul_f32_e32 v39, v22, v35
	v_fma_f32 v38, v22, v34, -v38
	v_fmac_f32_e32 v39, v23, v34
	v_add_f32_e32 v38, v20, v38
	v_add_f32_e32 v39, v21, v39
	v_mul_f32_e32 v20, v23, v37
	v_mul_f32_e32 v21, v22, v37
	v_fma_f32 v20, v22, v36, -v20
	v_fmac_f32_e32 v21, v23, v36
	v_add_f32_e32 v22, v19, v20
	v_add_f32_e32 v23, v18, v21
	ds_read_b128 v[18:21], v14 offset:1024
	s_waitcnt lgkmcnt(0)
	v_mul_f32_e32 v40, v19, v35
	v_mul_f32_e32 v35, v18, v35
	v_fma_f32 v40, v18, v34, -v40
	v_fmac_f32_e32 v35, v19, v34
	v_add_f32_e32 v34, v17, v40
	v_add_f32_e32 v35, v16, v35
	v_mul_f32_e32 v16, v19, v37
	v_mul_f32_e32 v17, v18, v37
	v_fma_f32 v16, v18, v36, -v16
	v_fmac_f32_e32 v17, v19, v36
	v_add_f32_e32 v19, v15, v16
	v_add_f32_e32 v10, v10, v17
	ds_read2_b64 v[15:18], v13 offset0:32 offset1:48
	s_waitcnt lgkmcnt(0)
	v_mul_f32_e32 v36, v25, v16
	v_fma_f32 v36, v24, v15, -v36
	v_add_f32_e32 v36, v38, v36
	v_mul_f32_e32 v38, v25, v18
	v_mul_f32_e32 v37, v24, v16
	v_fma_f32 v38, v24, v17, -v38
	v_mul_f32_e32 v24, v24, v18
	v_fmac_f32_e32 v24, v25, v17
	v_add_f32_e32 v23, v23, v24
	v_mul_f32_e32 v24, v21, v16
	v_mul_f32_e32 v16, v20, v16
	v_fmac_f32_e32 v16, v21, v15
	v_fmac_f32_e32 v37, v25, v15
	v_fma_f32 v24, v20, v15, -v24
	v_add_f32_e32 v25, v35, v16
	v_mul_f32_e32 v15, v21, v18
	v_mul_f32_e32 v16, v20, v18
	v_fma_f32 v15, v20, v17, -v15
	v_fmac_f32_e32 v16, v21, v17
	v_add_f32_e32 v24, v34, v24
	v_add_f32_e32 v34, v19, v15
	;; [unrolled: 1-line block ×3, first 2 shown]
	ds_read2_b64 v[15:18], v13 offset0:64 offset1:80
	v_add_f32_e32 v37, v39, v37
	v_add_f32_e32 v22, v22, v38
	s_waitcnt lgkmcnt(0)
	v_mul_f32_e32 v19, v27, v16
	v_mul_f32_e32 v20, v26, v16
	v_fma_f32 v19, v26, v15, -v19
	v_fmac_f32_e32 v20, v27, v15
	v_add_f32_e32 v35, v36, v19
	v_add_f32_e32 v36, v37, v20
	v_mul_f32_e32 v19, v27, v18
	v_mul_f32_e32 v20, v26, v18
	v_fma_f32 v19, v26, v17, -v19
	v_fmac_f32_e32 v20, v27, v17
	v_add_f32_e32 v26, v22, v19
	v_add_f32_e32 v23, v23, v20
	ds_read_b128 v[19:22], v14 offset:1040
	s_waitcnt lgkmcnt(0)
	v_mul_f32_e32 v27, v20, v16
	v_mul_f32_e32 v16, v19, v16
	v_fmac_f32_e32 v16, v20, v15
	v_fma_f32 v27, v19, v15, -v27
	v_add_f32_e32 v25, v25, v16
	v_mul_f32_e32 v15, v20, v18
	v_mul_f32_e32 v16, v19, v18
	v_fma_f32 v15, v19, v17, -v15
	v_fmac_f32_e32 v16, v20, v17
	v_add_f32_e32 v19, v34, v15
	v_add_f32_e32 v10, v10, v16
	ds_read2_b64 v[15:18], v13 offset0:96 offset1:112
	v_add_f32_e32 v24, v24, v27
	s_waitcnt lgkmcnt(0)
	v_mul_f32_e32 v20, v29, v16
	v_mul_f32_e32 v34, v29, v18
	v_fma_f32 v20, v28, v15, -v20
	v_mul_f32_e32 v27, v28, v16
	v_fma_f32 v34, v28, v17, -v34
	v_mul_f32_e32 v28, v28, v18
	v_fmac_f32_e32 v28, v29, v17
	v_add_f32_e32 v23, v23, v28
	v_mul_f32_e32 v28, v22, v16
	v_mul_f32_e32 v16, v21, v16
	v_fmac_f32_e32 v16, v22, v15
	v_fmac_f32_e32 v27, v29, v15
	v_fma_f32 v28, v21, v15, -v28
	v_add_f32_e32 v25, v25, v16
	v_mul_f32_e32 v15, v22, v18
	v_mul_f32_e32 v16, v21, v18
	v_fma_f32 v15, v21, v17, -v15
	v_fmac_f32_e32 v16, v22, v17
	v_add_f32_e32 v24, v24, v28
	v_add_f32_e32 v28, v19, v15
	;; [unrolled: 1-line block ×3, first 2 shown]
	ds_read2_b64 v[15:18], v13 offset0:128 offset1:144
	v_add_f32_e32 v20, v35, v20
	v_add_f32_e32 v27, v36, v27
	;; [unrolled: 1-line block ×3, first 2 shown]
	s_waitcnt lgkmcnt(0)
	v_mul_f32_e32 v19, v31, v16
	v_fma_f32 v19, v30, v15, -v19
	v_mul_f32_e32 v21, v30, v16
	v_add_f32_e32 v29, v20, v19
	v_mul_f32_e32 v19, v31, v18
	v_mul_f32_e32 v20, v30, v18
	v_fmac_f32_e32 v21, v31, v15
	v_fma_f32 v19, v30, v17, -v19
	v_fmac_f32_e32 v20, v31, v17
	v_add_f32_e32 v27, v27, v21
	v_add_f32_e32 v26, v26, v19
	;; [unrolled: 1-line block ×3, first 2 shown]
	ds_read_b128 v[19:22], v14 offset:1056
	s_waitcnt lgkmcnt(0)
	v_mul_f32_e32 v30, v20, v16
	v_mul_f32_e32 v16, v19, v16
	v_fmac_f32_e32 v16, v20, v15
	v_fma_f32 v30, v19, v15, -v30
	v_add_f32_e32 v25, v25, v16
	v_mul_f32_e32 v15, v20, v18
	v_mul_f32_e32 v16, v19, v18
	v_fma_f32 v15, v19, v17, -v15
	v_fmac_f32_e32 v16, v20, v17
	v_add_f32_e32 v19, v28, v15
	v_add_f32_e32 v10, v10, v16
	ds_read2_b64 v[15:18], v13 offset0:160 offset1:176
	v_add_f32_e32 v24, v24, v30
	s_waitcnt lgkmcnt(0)
	v_mul_f32_e32 v28, v32, v16
	v_fmac_f32_e32 v28, v33, v15
	v_add_f32_e32 v27, v27, v28
	v_mul_f32_e32 v28, v33, v18
	v_fma_f32 v28, v32, v17, -v28
	v_mul_f32_e32 v20, v33, v16
	v_add_f32_e32 v26, v26, v28
	v_mul_f32_e32 v28, v22, v16
	v_mul_f32_e32 v16, v21, v16
	v_fmac_f32_e32 v16, v22, v15
	v_fma_f32 v20, v32, v15, -v20
	v_fma_f32 v28, v21, v15, -v28
	v_add_f32_e32 v25, v25, v16
	v_mul_f32_e32 v15, v22, v18
	v_mul_f32_e32 v16, v21, v18
	v_add_f32_e32 v20, v29, v20
	v_mul_f32_e32 v29, v32, v18
	v_fma_f32 v15, v21, v17, -v15
	v_fmac_f32_e32 v16, v22, v17
	v_fmac_f32_e32 v29, v33, v17
	v_add_f32_e32 v19, v19, v15
	v_add_f32_e32 v10, v10, v16
	ds_read2_b64 v[15:18], v13 offset0:192 offset1:208
	v_add_f32_e32 v24, v24, v28
	v_add_f32_e32 v23, v23, v29
	s_waitcnt lgkmcnt(0)
	v_mul_f32_e32 v21, v3, v16
	v_fma_f32 v21, v2, v15, -v21
	v_add_f32_e32 v28, v20, v21
	v_mul_f32_e32 v20, v3, v18
	v_mul_f32_e32 v22, v2, v16
	v_fma_f32 v20, v2, v17, -v20
	v_mul_f32_e32 v2, v2, v18
	v_fmac_f32_e32 v22, v3, v15
	v_fmac_f32_e32 v2, v3, v17
	v_add_f32_e32 v29, v27, v22
	v_add_f32_e32 v3, v26, v20
	;; [unrolled: 1-line block ×3, first 2 shown]
	ds_read_b128 v[20:23], v14 offset:1072
	s_waitcnt lgkmcnt(0)
	v_mul_f32_e32 v26, v21, v16
	v_fma_f32 v26, v20, v15, -v26
	v_mul_f32_e32 v16, v20, v16
	v_fmac_f32_e32 v16, v21, v15
	v_add_f32_e32 v15, v24, v26
	v_mul_f32_e32 v24, v21, v18
	v_fma_f32 v24, v20, v17, -v24
	v_add_f32_e32 v16, v25, v16
	v_add_f32_e32 v30, v19, v24
	ds_read2_b64 v[24:27], v13 offset0:224 offset1:240
	v_mul_f32_e32 v18, v20, v18
	v_fmac_f32_e32 v18, v21, v17
	v_add_f32_e32 v10, v10, v18
	s_waitcnt lgkmcnt(0)
	v_mul_f32_e32 v17, v5, v25
	v_fma_f32 v17, v4, v24, -v17
	v_add_f32_e32 v20, v28, v17
	v_mul_f32_e32 v17, v5, v27
	v_mul_f32_e32 v18, v4, v25
	v_fma_f32 v17, v4, v26, -v17
	v_mul_f32_e32 v4, v4, v27
	v_fmac_f32_e32 v18, v5, v24
	v_fmac_f32_e32 v4, v5, v26
	v_add_f32_e32 v21, v29, v18
	v_add_f32_e32 v19, v3, v17
	;; [unrolled: 1-line block ×3, first 2 shown]
	v_mul_f32_e32 v2, v23, v25
	v_mul_f32_e32 v3, v22, v25
	v_fma_f32 v2, v22, v24, -v2
	v_fmac_f32_e32 v3, v23, v24
	v_add_f32_e32 v17, v15, v2
	v_add_f32_e32 v16, v16, v3
	v_mul_f32_e32 v2, v23, v27
	v_mul_f32_e32 v3, v22, v27
	v_fma_f32 v2, v22, v26, -v2
	v_fmac_f32_e32 v3, v23, v26
	v_add_f32_e32 v15, v30, v2
	v_add_f32_e32 v10, v10, v3
	s_barrier
	s_cbranch_scc0 .LBB313_2
	s_branch .LBB313_4
.LBB313_3:
	v_mov_b32_e32 v20, 0
	v_mov_b32_e32 v21, 0
	;; [unrolled: 1-line block ×8, first 2 shown]
.LBB313_4:
	s_load_dwordx2 s[0:1], s[4:5], 0x48
	s_load_dword s9, s[4:5], 0x40
	v_add_u32_e32 v5, s7, v1
	v_add_u32_e32 v0, s6, v0
	v_cmp_gt_i32_e32 vcc, s10, v5
	s_waitcnt lgkmcnt(0)
	s_mul_i32 s1, s1, s8
	v_mad_i64_i32 v[1:2], s[12:13], v5, s9, 0
	s_mul_hi_u32 s4, s0, s8
	s_mul_i32 s0, s0, s8
	s_add_i32 s1, s4, s1
	s_lshl_b64 s[0:1], s[0:1], 3
	s_add_u32 s4, s2, s0
	v_lshlrev_b64 v[1:2], 3, v[1:2]
	s_addc_u32 s5, s3, s1
	v_mov_b32_e32 v3, s5
	v_add_co_u32_e64 v4, s[0:1], s4, v1
	v_addc_co_u32_e64 v6, s[0:1], v3, v2, s[0:1]
	v_cmp_le_i32_e64 s[0:1], v0, v5
	s_and_b64 s[0:1], vcc, s[0:1]
	s_and_saveexec_b64 s[2:3], s[0:1]
	s_cbranch_execz .LBB313_7
; %bb.5:
	v_ashrrev_i32_e32 v1, 31, v0
	v_lshlrev_b64 v[1:2], 3, v[0:1]
	v_add_co_u32_e64 v1, s[0:1], v4, v1
	v_addc_co_u32_e64 v2, s[0:1], v6, v2, s[0:1]
	global_load_dwordx2 v[7:8], v[1:2], off
	v_cmp_eq_u32_e64 s[0:1], v5, v0
	s_waitcnt vmcnt(0)
	v_add_f32_e32 v7, v20, v7
	v_add_f32_e32 v8, v21, v8
	global_store_dwordx2 v[1:2], v[7:8], off
	s_and_b64 exec, exec, s[0:1]
	s_cbranch_execz .LBB313_7
; %bb.6:
	v_mov_b32_e32 v3, 0
	global_store_dword v[1:2], v3, off offset:4
.LBB313_7:
	s_or_b64 exec, exec, s[2:3]
	v_add_u32_e32 v2, 16, v0
	v_cmp_le_i32_e64 s[0:1], v2, v5
	s_and_b64 s[2:3], vcc, s[0:1]
	s_and_saveexec_b64 s[0:1], s[2:3]
	s_cbranch_execz .LBB313_10
; %bb.8:
	v_ashrrev_i32_e32 v3, 31, v2
	v_lshlrev_b64 v[7:8], 3, v[2:3]
	v_add_co_u32_e32 v3, vcc, v4, v7
	v_addc_co_u32_e32 v4, vcc, v6, v8, vcc
	global_load_dwordx2 v[6:7], v[3:4], off
	v_cmp_eq_u32_e32 vcc, v5, v2
	s_waitcnt vmcnt(0)
	v_add_f32_e32 v6, v19, v6
	v_add_f32_e32 v7, v18, v7
	global_store_dwordx2 v[3:4], v[6:7], off
	s_and_b64 exec, exec, vcc
	s_cbranch_execz .LBB313_10
; %bb.9:
	v_mov_b32_e32 v1, 0
	global_store_dword v[3:4], v1, off offset:4
.LBB313_10:
	s_or_b64 exec, exec, s[0:1]
	v_add_u32_e32 v8, 16, v5
	v_mad_i64_i32 v[3:4], s[0:1], v8, s9, 0
	v_mov_b32_e32 v1, s5
	v_cmp_gt_i32_e32 vcc, s10, v8
	v_lshlrev_b64 v[3:4], 3, v[3:4]
	v_add_co_u32_e64 v6, s[0:1], s4, v3
	v_addc_co_u32_e64 v7, s[0:1], v1, v4, s[0:1]
	v_cmp_le_i32_e64 s[0:1], v0, v8
	s_and_b64 s[0:1], vcc, s[0:1]
	s_and_saveexec_b64 s[2:3], s[0:1]
	s_cbranch_execz .LBB313_13
; %bb.11:
	v_ashrrev_i32_e32 v1, 31, v0
	v_lshlrev_b64 v[3:4], 3, v[0:1]
	v_add_co_u32_e64 v3, s[0:1], v6, v3
	v_addc_co_u32_e64 v4, s[0:1], v7, v4, s[0:1]
	global_load_dwordx2 v[11:12], v[3:4], off
	v_cmp_eq_u32_e64 s[0:1], v8, v0
	s_waitcnt vmcnt(0)
	v_add_f32_e32 v11, v17, v11
	v_add_f32_e32 v12, v16, v12
	global_store_dwordx2 v[3:4], v[11:12], off
	s_and_b64 exec, exec, s[0:1]
	s_cbranch_execz .LBB313_13
; %bb.12:
	v_mov_b32_e32 v1, 0
	global_store_dword v[3:4], v1, off offset:4
.LBB313_13:
	s_or_b64 exec, exec, s[2:3]
	v_cmp_le_i32_e64 s[0:1], v2, v8
	s_and_b64 s[0:1], vcc, s[0:1]
	s_and_saveexec_b64 s[2:3], s[0:1]
	s_cbranch_execz .LBB313_16
; %bb.14:
	v_ashrrev_i32_e32 v3, 31, v2
	v_lshlrev_b64 v[1:2], 3, v[2:3]
	v_add_co_u32_e32 v1, vcc, v6, v1
	v_addc_co_u32_e32 v2, vcc, v7, v2, vcc
	global_load_dwordx2 v[3:4], v[1:2], off
	v_cmp_eq_u32_e32 vcc, v5, v0
	s_waitcnt vmcnt(0)
	v_add_f32_e32 v3, v15, v3
	v_add_f32_e32 v4, v10, v4
	global_store_dwordx2 v[1:2], v[3:4], off
	s_and_b64 exec, exec, vcc
	s_cbranch_execz .LBB313_16
; %bb.15:
	v_mov_b32_e32 v0, 0
	global_store_dword v[1:2], v0, off offset:4
.LBB313_16:
	s_endpgm
	.section	.rodata,"a",@progbits
	.p2align	6, 0x0
	.amdhsa_kernel _ZL37rocblas_syrkx_herkx_restricted_kernelIi19rocblas_complex_numIfELi16ELi32ELi8ELi1ELi1ELb1ELc84ELc85EKS1_S1_EviT_PT9_S3_lS5_S3_lPT10_S3_li
		.amdhsa_group_segment_fixed_size 4096
		.amdhsa_private_segment_fixed_size 0
		.amdhsa_kernarg_size 84
		.amdhsa_user_sgpr_count 6
		.amdhsa_user_sgpr_private_segment_buffer 1
		.amdhsa_user_sgpr_dispatch_ptr 0
		.amdhsa_user_sgpr_queue_ptr 0
		.amdhsa_user_sgpr_kernarg_segment_ptr 1
		.amdhsa_user_sgpr_dispatch_id 0
		.amdhsa_user_sgpr_flat_scratch_init 0
		.amdhsa_user_sgpr_private_segment_size 0
		.amdhsa_uses_dynamic_stack 0
		.amdhsa_system_sgpr_private_segment_wavefront_offset 0
		.amdhsa_system_sgpr_workgroup_id_x 1
		.amdhsa_system_sgpr_workgroup_id_y 1
		.amdhsa_system_sgpr_workgroup_id_z 1
		.amdhsa_system_sgpr_workgroup_info 0
		.amdhsa_system_vgpr_workitem_id 1
		.amdhsa_next_free_vgpr 41
		.amdhsa_next_free_sgpr 22
		.amdhsa_reserve_vcc 1
		.amdhsa_reserve_flat_scratch 0
		.amdhsa_float_round_mode_32 0
		.amdhsa_float_round_mode_16_64 0
		.amdhsa_float_denorm_mode_32 3
		.amdhsa_float_denorm_mode_16_64 3
		.amdhsa_dx10_clamp 1
		.amdhsa_ieee_mode 1
		.amdhsa_fp16_overflow 0
		.amdhsa_exception_fp_ieee_invalid_op 0
		.amdhsa_exception_fp_denorm_src 0
		.amdhsa_exception_fp_ieee_div_zero 0
		.amdhsa_exception_fp_ieee_overflow 0
		.amdhsa_exception_fp_ieee_underflow 0
		.amdhsa_exception_fp_ieee_inexact 0
		.amdhsa_exception_int_div_zero 0
	.end_amdhsa_kernel
	.section	.text._ZL37rocblas_syrkx_herkx_restricted_kernelIi19rocblas_complex_numIfELi16ELi32ELi8ELi1ELi1ELb1ELc84ELc85EKS1_S1_EviT_PT9_S3_lS5_S3_lPT10_S3_li,"axG",@progbits,_ZL37rocblas_syrkx_herkx_restricted_kernelIi19rocblas_complex_numIfELi16ELi32ELi8ELi1ELi1ELb1ELc84ELc85EKS1_S1_EviT_PT9_S3_lS5_S3_lPT10_S3_li,comdat
.Lfunc_end313:
	.size	_ZL37rocblas_syrkx_herkx_restricted_kernelIi19rocblas_complex_numIfELi16ELi32ELi8ELi1ELi1ELb1ELc84ELc85EKS1_S1_EviT_PT9_S3_lS5_S3_lPT10_S3_li, .Lfunc_end313-_ZL37rocblas_syrkx_herkx_restricted_kernelIi19rocblas_complex_numIfELi16ELi32ELi8ELi1ELi1ELb1ELc84ELc85EKS1_S1_EviT_PT9_S3_lS5_S3_lPT10_S3_li
                                        ; -- End function
	.set _ZL37rocblas_syrkx_herkx_restricted_kernelIi19rocblas_complex_numIfELi16ELi32ELi8ELi1ELi1ELb1ELc84ELc85EKS1_S1_EviT_PT9_S3_lS5_S3_lPT10_S3_li.num_vgpr, 41
	.set _ZL37rocblas_syrkx_herkx_restricted_kernelIi19rocblas_complex_numIfELi16ELi32ELi8ELi1ELi1ELb1ELc84ELc85EKS1_S1_EviT_PT9_S3_lS5_S3_lPT10_S3_li.num_agpr, 0
	.set _ZL37rocblas_syrkx_herkx_restricted_kernelIi19rocblas_complex_numIfELi16ELi32ELi8ELi1ELi1ELb1ELc84ELc85EKS1_S1_EviT_PT9_S3_lS5_S3_lPT10_S3_li.numbered_sgpr, 22
	.set _ZL37rocblas_syrkx_herkx_restricted_kernelIi19rocblas_complex_numIfELi16ELi32ELi8ELi1ELi1ELb1ELc84ELc85EKS1_S1_EviT_PT9_S3_lS5_S3_lPT10_S3_li.num_named_barrier, 0
	.set _ZL37rocblas_syrkx_herkx_restricted_kernelIi19rocblas_complex_numIfELi16ELi32ELi8ELi1ELi1ELb1ELc84ELc85EKS1_S1_EviT_PT9_S3_lS5_S3_lPT10_S3_li.private_seg_size, 0
	.set _ZL37rocblas_syrkx_herkx_restricted_kernelIi19rocblas_complex_numIfELi16ELi32ELi8ELi1ELi1ELb1ELc84ELc85EKS1_S1_EviT_PT9_S3_lS5_S3_lPT10_S3_li.uses_vcc, 1
	.set _ZL37rocblas_syrkx_herkx_restricted_kernelIi19rocblas_complex_numIfELi16ELi32ELi8ELi1ELi1ELb1ELc84ELc85EKS1_S1_EviT_PT9_S3_lS5_S3_lPT10_S3_li.uses_flat_scratch, 0
	.set _ZL37rocblas_syrkx_herkx_restricted_kernelIi19rocblas_complex_numIfELi16ELi32ELi8ELi1ELi1ELb1ELc84ELc85EKS1_S1_EviT_PT9_S3_lS5_S3_lPT10_S3_li.has_dyn_sized_stack, 0
	.set _ZL37rocblas_syrkx_herkx_restricted_kernelIi19rocblas_complex_numIfELi16ELi32ELi8ELi1ELi1ELb1ELc84ELc85EKS1_S1_EviT_PT9_S3_lS5_S3_lPT10_S3_li.has_recursion, 0
	.set _ZL37rocblas_syrkx_herkx_restricted_kernelIi19rocblas_complex_numIfELi16ELi32ELi8ELi1ELi1ELb1ELc84ELc85EKS1_S1_EviT_PT9_S3_lS5_S3_lPT10_S3_li.has_indirect_call, 0
	.section	.AMDGPU.csdata,"",@progbits
; Kernel info:
; codeLenInByte = 2064
; TotalNumSgprs: 26
; NumVgprs: 41
; ScratchSize: 0
; MemoryBound: 0
; FloatMode: 240
; IeeeMode: 1
; LDSByteSize: 4096 bytes/workgroup (compile time only)
; SGPRBlocks: 3
; VGPRBlocks: 10
; NumSGPRsForWavesPerEU: 26
; NumVGPRsForWavesPerEU: 41
; Occupancy: 5
; WaveLimiterHint : 0
; COMPUTE_PGM_RSRC2:SCRATCH_EN: 0
; COMPUTE_PGM_RSRC2:USER_SGPR: 6
; COMPUTE_PGM_RSRC2:TRAP_HANDLER: 0
; COMPUTE_PGM_RSRC2:TGID_X_EN: 1
; COMPUTE_PGM_RSRC2:TGID_Y_EN: 1
; COMPUTE_PGM_RSRC2:TGID_Z_EN: 1
; COMPUTE_PGM_RSRC2:TIDIG_COMP_CNT: 1
	.section	.text._ZL37rocblas_syrkx_herkx_restricted_kernelIi19rocblas_complex_numIfELi16ELi32ELi8ELi1ELi1ELb1ELc67ELc85EKS1_S1_EviT_PT9_S3_lS5_S3_lPT10_S3_li,"axG",@progbits,_ZL37rocblas_syrkx_herkx_restricted_kernelIi19rocblas_complex_numIfELi16ELi32ELi8ELi1ELi1ELb1ELc67ELc85EKS1_S1_EviT_PT9_S3_lS5_S3_lPT10_S3_li,comdat
	.globl	_ZL37rocblas_syrkx_herkx_restricted_kernelIi19rocblas_complex_numIfELi16ELi32ELi8ELi1ELi1ELb1ELc67ELc85EKS1_S1_EviT_PT9_S3_lS5_S3_lPT10_S3_li ; -- Begin function _ZL37rocblas_syrkx_herkx_restricted_kernelIi19rocblas_complex_numIfELi16ELi32ELi8ELi1ELi1ELb1ELc67ELc85EKS1_S1_EviT_PT9_S3_lS5_S3_lPT10_S3_li
	.p2align	8
	.type	_ZL37rocblas_syrkx_herkx_restricted_kernelIi19rocblas_complex_numIfELi16ELi32ELi8ELi1ELi1ELb1ELc67ELc85EKS1_S1_EviT_PT9_S3_lS5_S3_lPT10_S3_li,@function
_ZL37rocblas_syrkx_herkx_restricted_kernelIi19rocblas_complex_numIfELi16ELi32ELi8ELi1ELi1ELb1ELc67ELc85EKS1_S1_EviT_PT9_S3_lS5_S3_lPT10_S3_li: ; @_ZL37rocblas_syrkx_herkx_restricted_kernelIi19rocblas_complex_numIfELi16ELi32ELi8ELi1ELi1ELb1ELc67ELc85EKS1_S1_EviT_PT9_S3_lS5_S3_lPT10_S3_li
; %bb.0:
	s_load_dwordx2 s[10:11], s[4:5], 0x0
	s_load_dwordx4 s[0:3], s[4:5], 0x30
	s_lshl_b32 s6, s6, 5
	s_lshl_b32 s7, s7, 5
	s_mov_b32 s9, 0
	s_waitcnt lgkmcnt(0)
	s_cmp_lt_i32 s11, 1
	s_cbranch_scc1 .LBB314_3
; %bb.1:
	v_lshl_add_u32 v4, v1, 4, v0
	v_and_b32_e32 v7, 31, v4
	s_load_dwordx2 s[16:17], s[4:5], 0x8
	s_load_dword s20, s[4:5], 0x10
	s_load_dwordx4 s[12:15], s[4:5], 0x18
	s_load_dword s18, s[4:5], 0x28
	v_lshrrev_b32_e32 v6, 3, v4
	v_and_b32_e32 v9, 7, v0
	v_lshrrev_b32_e32 v4, 5, v4
	v_lshlrev_b32_e32 v8, 3, v7
	v_lshl_or_b32 v11, v4, 8, v8
	v_lshlrev_b32_e32 v8, 3, v9
	v_add_u32_e32 v2, s7, v6
	v_lshl_or_b32 v6, v6, 6, v8
	v_mov_b32_e32 v10, 0
	v_add_u32_e32 v12, 0x800, v6
	v_mov_b32_e32 v6, 0x800
	v_mov_b32_e32 v5, v10
	v_lshl_add_u32 v14, v1, 6, v6
	v_add_u32_e32 v6, s6, v7
	s_waitcnt lgkmcnt(0)
	v_mad_i64_i32 v[2:3], s[18:19], s18, v2, v[9:10]
	v_mad_i64_i32 v[4:5], s[18:19], s20, v6, v[4:5]
	s_mul_i32 s13, s13, s8
	s_mul_hi_u32 s21, s12, s8
	s_add_i32 s13, s21, s13
	s_mul_i32 s12, s12, s8
	s_lshl_b64 s[12:13], s[12:13], 3
	v_lshlrev_b64 v[4:5], 3, v[4:5]
	s_add_u32 s12, s16, s12
	s_addc_u32 s13, s17, s13
	v_add_co_u32_e32 v4, vcc, s12, v4
	s_mul_i32 s1, s1, s8
	s_mul_hi_u32 s12, s0, s8
	v_mov_b32_e32 v6, s13
	s_add_i32 s1, s12, s1
	s_mul_i32 s0, s0, s8
	v_addc_co_u32_e32 v5, vcc, v6, v5, vcc
	s_lshl_b64 s[0:1], s[0:1], 3
	v_add_co_u32_e32 v6, vcc, 4, v4
	v_lshlrev_b64 v[2:3], 3, v[2:3]
	s_add_u32 s0, s14, s0
	v_addc_co_u32_e32 v7, vcc, 0, v5, vcc
	s_addc_u32 s1, s15, s1
	v_mov_b32_e32 v4, s1
	v_add_co_u32_e32 v2, vcc, s0, v2
	v_addc_co_u32_e32 v3, vcc, v4, v3, vcc
	v_add_co_u32_e32 v8, vcc, 4, v2
	v_lshlrev_b32_e32 v13, 3, v0
	v_addc_co_u32_e32 v9, vcc, 0, v3, vcc
	v_mov_b32_e32 v15, v10
	v_mov_b32_e32 v16, v10
	;; [unrolled: 1-line block ×7, first 2 shown]
.LBB314_2:                              ; =>This Inner Loop Header: Depth=1
	global_load_dwordx2 v[2:3], v[6:7], off offset:-4
	v_add_co_u32_e32 v6, vcc, 64, v6
	v_addc_co_u32_e32 v7, vcc, 0, v7, vcc
	s_add_i32 s9, s9, 8
	s_cmp_ge_i32 s9, s11
	s_waitcnt vmcnt(0)
	v_xor_b32_e32 v3, 0x80000000, v3
	ds_write_b64 v11, v[2:3]
	global_load_dwordx2 v[2:3], v[8:9], off offset:-4
	v_add_co_u32_e32 v8, vcc, 64, v8
	v_addc_co_u32_e32 v9, vcc, 0, v9, vcc
	s_waitcnt vmcnt(0)
	ds_write_b64 v12, v[2:3]
	s_waitcnt lgkmcnt(0)
	s_barrier
	ds_read_b128 v[22:25], v14
	ds_read_b128 v[26:29], v14 offset:16
	ds_read_b128 v[30:33], v14 offset:32
	;; [unrolled: 1-line block ×3, first 2 shown]
	ds_read2_b64 v[34:37], v13 offset1:16
	s_waitcnt lgkmcnt(0)
	v_mul_f32_e32 v38, v23, v35
	v_mul_f32_e32 v39, v22, v35
	v_fma_f32 v38, v22, v34, -v38
	v_fmac_f32_e32 v39, v23, v34
	v_add_f32_e32 v38, v20, v38
	v_add_f32_e32 v39, v21, v39
	v_mul_f32_e32 v20, v23, v37
	v_mul_f32_e32 v21, v22, v37
	v_fma_f32 v20, v22, v36, -v20
	v_fmac_f32_e32 v21, v23, v36
	v_add_f32_e32 v22, v19, v20
	v_add_f32_e32 v23, v18, v21
	ds_read_b128 v[18:21], v14 offset:1024
	s_waitcnt lgkmcnt(0)
	v_mul_f32_e32 v40, v19, v35
	v_mul_f32_e32 v35, v18, v35
	v_fma_f32 v40, v18, v34, -v40
	v_fmac_f32_e32 v35, v19, v34
	v_add_f32_e32 v34, v17, v40
	v_add_f32_e32 v35, v16, v35
	v_mul_f32_e32 v16, v19, v37
	v_mul_f32_e32 v17, v18, v37
	v_fma_f32 v16, v18, v36, -v16
	v_fmac_f32_e32 v17, v19, v36
	v_add_f32_e32 v19, v15, v16
	v_add_f32_e32 v10, v10, v17
	ds_read2_b64 v[15:18], v13 offset0:32 offset1:48
	s_waitcnt lgkmcnt(0)
	v_mul_f32_e32 v36, v25, v16
	v_fma_f32 v36, v24, v15, -v36
	v_add_f32_e32 v36, v38, v36
	v_mul_f32_e32 v38, v25, v18
	v_mul_f32_e32 v37, v24, v16
	v_fma_f32 v38, v24, v17, -v38
	v_mul_f32_e32 v24, v24, v18
	v_fmac_f32_e32 v24, v25, v17
	v_add_f32_e32 v23, v23, v24
	v_mul_f32_e32 v24, v21, v16
	v_mul_f32_e32 v16, v20, v16
	v_fmac_f32_e32 v16, v21, v15
	v_fmac_f32_e32 v37, v25, v15
	v_fma_f32 v24, v20, v15, -v24
	v_add_f32_e32 v25, v35, v16
	v_mul_f32_e32 v15, v21, v18
	v_mul_f32_e32 v16, v20, v18
	v_fma_f32 v15, v20, v17, -v15
	v_fmac_f32_e32 v16, v21, v17
	v_add_f32_e32 v24, v34, v24
	v_add_f32_e32 v34, v19, v15
	;; [unrolled: 1-line block ×3, first 2 shown]
	ds_read2_b64 v[15:18], v13 offset0:64 offset1:80
	v_add_f32_e32 v37, v39, v37
	v_add_f32_e32 v22, v22, v38
	s_waitcnt lgkmcnt(0)
	v_mul_f32_e32 v19, v27, v16
	v_mul_f32_e32 v20, v26, v16
	v_fma_f32 v19, v26, v15, -v19
	v_fmac_f32_e32 v20, v27, v15
	v_add_f32_e32 v35, v36, v19
	v_add_f32_e32 v36, v37, v20
	v_mul_f32_e32 v19, v27, v18
	v_mul_f32_e32 v20, v26, v18
	v_fma_f32 v19, v26, v17, -v19
	v_fmac_f32_e32 v20, v27, v17
	v_add_f32_e32 v26, v22, v19
	v_add_f32_e32 v23, v23, v20
	ds_read_b128 v[19:22], v14 offset:1040
	s_waitcnt lgkmcnt(0)
	v_mul_f32_e32 v27, v20, v16
	v_mul_f32_e32 v16, v19, v16
	v_fmac_f32_e32 v16, v20, v15
	v_fma_f32 v27, v19, v15, -v27
	v_add_f32_e32 v25, v25, v16
	v_mul_f32_e32 v15, v20, v18
	v_mul_f32_e32 v16, v19, v18
	v_fma_f32 v15, v19, v17, -v15
	v_fmac_f32_e32 v16, v20, v17
	v_add_f32_e32 v19, v34, v15
	v_add_f32_e32 v10, v10, v16
	ds_read2_b64 v[15:18], v13 offset0:96 offset1:112
	v_add_f32_e32 v24, v24, v27
	s_waitcnt lgkmcnt(0)
	v_mul_f32_e32 v20, v29, v16
	v_mul_f32_e32 v34, v29, v18
	v_fma_f32 v20, v28, v15, -v20
	v_mul_f32_e32 v27, v28, v16
	v_fma_f32 v34, v28, v17, -v34
	v_mul_f32_e32 v28, v28, v18
	v_fmac_f32_e32 v28, v29, v17
	v_add_f32_e32 v23, v23, v28
	v_mul_f32_e32 v28, v22, v16
	v_mul_f32_e32 v16, v21, v16
	v_fmac_f32_e32 v16, v22, v15
	v_fmac_f32_e32 v27, v29, v15
	v_fma_f32 v28, v21, v15, -v28
	v_add_f32_e32 v25, v25, v16
	v_mul_f32_e32 v15, v22, v18
	v_mul_f32_e32 v16, v21, v18
	v_fma_f32 v15, v21, v17, -v15
	v_fmac_f32_e32 v16, v22, v17
	v_add_f32_e32 v24, v24, v28
	v_add_f32_e32 v28, v19, v15
	;; [unrolled: 1-line block ×3, first 2 shown]
	ds_read2_b64 v[15:18], v13 offset0:128 offset1:144
	v_add_f32_e32 v20, v35, v20
	v_add_f32_e32 v27, v36, v27
	;; [unrolled: 1-line block ×3, first 2 shown]
	s_waitcnt lgkmcnt(0)
	v_mul_f32_e32 v19, v31, v16
	v_fma_f32 v19, v30, v15, -v19
	v_mul_f32_e32 v21, v30, v16
	v_add_f32_e32 v29, v20, v19
	v_mul_f32_e32 v19, v31, v18
	v_mul_f32_e32 v20, v30, v18
	v_fmac_f32_e32 v21, v31, v15
	v_fma_f32 v19, v30, v17, -v19
	v_fmac_f32_e32 v20, v31, v17
	v_add_f32_e32 v27, v27, v21
	v_add_f32_e32 v26, v26, v19
	;; [unrolled: 1-line block ×3, first 2 shown]
	ds_read_b128 v[19:22], v14 offset:1056
	s_waitcnt lgkmcnt(0)
	v_mul_f32_e32 v30, v20, v16
	v_mul_f32_e32 v16, v19, v16
	v_fmac_f32_e32 v16, v20, v15
	v_fma_f32 v30, v19, v15, -v30
	v_add_f32_e32 v25, v25, v16
	v_mul_f32_e32 v15, v20, v18
	v_mul_f32_e32 v16, v19, v18
	v_fma_f32 v15, v19, v17, -v15
	v_fmac_f32_e32 v16, v20, v17
	v_add_f32_e32 v19, v28, v15
	v_add_f32_e32 v10, v10, v16
	ds_read2_b64 v[15:18], v13 offset0:160 offset1:176
	v_add_f32_e32 v24, v24, v30
	s_waitcnt lgkmcnt(0)
	v_mul_f32_e32 v28, v32, v16
	v_fmac_f32_e32 v28, v33, v15
	v_add_f32_e32 v27, v27, v28
	v_mul_f32_e32 v28, v33, v18
	v_fma_f32 v28, v32, v17, -v28
	v_mul_f32_e32 v20, v33, v16
	v_add_f32_e32 v26, v26, v28
	v_mul_f32_e32 v28, v22, v16
	v_mul_f32_e32 v16, v21, v16
	v_fmac_f32_e32 v16, v22, v15
	v_fma_f32 v20, v32, v15, -v20
	v_fma_f32 v28, v21, v15, -v28
	v_add_f32_e32 v25, v25, v16
	v_mul_f32_e32 v15, v22, v18
	v_mul_f32_e32 v16, v21, v18
	v_add_f32_e32 v20, v29, v20
	v_mul_f32_e32 v29, v32, v18
	v_fma_f32 v15, v21, v17, -v15
	v_fmac_f32_e32 v16, v22, v17
	v_fmac_f32_e32 v29, v33, v17
	v_add_f32_e32 v19, v19, v15
	v_add_f32_e32 v10, v10, v16
	ds_read2_b64 v[15:18], v13 offset0:192 offset1:208
	v_add_f32_e32 v24, v24, v28
	v_add_f32_e32 v23, v23, v29
	s_waitcnt lgkmcnt(0)
	v_mul_f32_e32 v21, v3, v16
	v_fma_f32 v21, v2, v15, -v21
	v_add_f32_e32 v28, v20, v21
	v_mul_f32_e32 v20, v3, v18
	v_mul_f32_e32 v22, v2, v16
	v_fma_f32 v20, v2, v17, -v20
	v_mul_f32_e32 v2, v2, v18
	v_fmac_f32_e32 v22, v3, v15
	v_fmac_f32_e32 v2, v3, v17
	v_add_f32_e32 v29, v27, v22
	v_add_f32_e32 v3, v26, v20
	v_add_f32_e32 v2, v23, v2
	ds_read_b128 v[20:23], v14 offset:1072
	s_waitcnt lgkmcnt(0)
	v_mul_f32_e32 v26, v21, v16
	v_fma_f32 v26, v20, v15, -v26
	v_mul_f32_e32 v16, v20, v16
	v_fmac_f32_e32 v16, v21, v15
	v_add_f32_e32 v15, v24, v26
	v_mul_f32_e32 v24, v21, v18
	v_fma_f32 v24, v20, v17, -v24
	v_add_f32_e32 v16, v25, v16
	v_add_f32_e32 v30, v19, v24
	ds_read2_b64 v[24:27], v13 offset0:224 offset1:240
	v_mul_f32_e32 v18, v20, v18
	v_fmac_f32_e32 v18, v21, v17
	v_add_f32_e32 v10, v10, v18
	s_waitcnt lgkmcnt(0)
	v_mul_f32_e32 v17, v5, v25
	v_fma_f32 v17, v4, v24, -v17
	v_add_f32_e32 v20, v28, v17
	v_mul_f32_e32 v17, v5, v27
	v_mul_f32_e32 v18, v4, v25
	v_fma_f32 v17, v4, v26, -v17
	v_mul_f32_e32 v4, v4, v27
	v_fmac_f32_e32 v18, v5, v24
	v_fmac_f32_e32 v4, v5, v26
	v_add_f32_e32 v21, v29, v18
	v_add_f32_e32 v19, v3, v17
	;; [unrolled: 1-line block ×3, first 2 shown]
	v_mul_f32_e32 v2, v23, v25
	v_mul_f32_e32 v3, v22, v25
	v_fma_f32 v2, v22, v24, -v2
	v_fmac_f32_e32 v3, v23, v24
	v_add_f32_e32 v17, v15, v2
	v_add_f32_e32 v16, v16, v3
	v_mul_f32_e32 v2, v23, v27
	v_mul_f32_e32 v3, v22, v27
	v_fma_f32 v2, v22, v26, -v2
	v_fmac_f32_e32 v3, v23, v26
	v_add_f32_e32 v15, v30, v2
	v_add_f32_e32 v10, v10, v3
	s_barrier
	s_cbranch_scc0 .LBB314_2
	s_branch .LBB314_4
.LBB314_3:
	v_mov_b32_e32 v20, 0
	v_mov_b32_e32 v21, 0
	;; [unrolled: 1-line block ×8, first 2 shown]
.LBB314_4:
	s_load_dwordx2 s[0:1], s[4:5], 0x48
	s_load_dword s9, s[4:5], 0x40
	v_add_u32_e32 v5, s7, v1
	v_add_u32_e32 v0, s6, v0
	v_cmp_gt_i32_e32 vcc, s10, v5
	s_waitcnt lgkmcnt(0)
	s_mul_i32 s1, s1, s8
	v_mad_i64_i32 v[1:2], s[12:13], v5, s9, 0
	s_mul_hi_u32 s4, s0, s8
	s_mul_i32 s0, s0, s8
	s_add_i32 s1, s4, s1
	s_lshl_b64 s[0:1], s[0:1], 3
	s_add_u32 s4, s2, s0
	v_lshlrev_b64 v[1:2], 3, v[1:2]
	s_addc_u32 s5, s3, s1
	v_mov_b32_e32 v3, s5
	v_add_co_u32_e64 v4, s[0:1], s4, v1
	v_addc_co_u32_e64 v6, s[0:1], v3, v2, s[0:1]
	v_cmp_le_i32_e64 s[0:1], v0, v5
	s_and_b64 s[0:1], vcc, s[0:1]
	s_and_saveexec_b64 s[2:3], s[0:1]
	s_cbranch_execz .LBB314_7
; %bb.5:
	v_ashrrev_i32_e32 v1, 31, v0
	v_lshlrev_b64 v[1:2], 3, v[0:1]
	v_add_co_u32_e64 v1, s[0:1], v4, v1
	v_addc_co_u32_e64 v2, s[0:1], v6, v2, s[0:1]
	global_load_dwordx2 v[7:8], v[1:2], off
	v_cmp_eq_u32_e64 s[0:1], v5, v0
	s_waitcnt vmcnt(0)
	v_add_f32_e32 v7, v20, v7
	v_add_f32_e32 v8, v21, v8
	global_store_dwordx2 v[1:2], v[7:8], off
	s_and_b64 exec, exec, s[0:1]
	s_cbranch_execz .LBB314_7
; %bb.6:
	v_mov_b32_e32 v3, 0
	global_store_dword v[1:2], v3, off offset:4
.LBB314_7:
	s_or_b64 exec, exec, s[2:3]
	v_add_u32_e32 v2, 16, v0
	v_cmp_le_i32_e64 s[0:1], v2, v5
	s_and_b64 s[2:3], vcc, s[0:1]
	s_and_saveexec_b64 s[0:1], s[2:3]
	s_cbranch_execz .LBB314_10
; %bb.8:
	v_ashrrev_i32_e32 v3, 31, v2
	v_lshlrev_b64 v[7:8], 3, v[2:3]
	v_add_co_u32_e32 v3, vcc, v4, v7
	v_addc_co_u32_e32 v4, vcc, v6, v8, vcc
	global_load_dwordx2 v[6:7], v[3:4], off
	v_cmp_eq_u32_e32 vcc, v5, v2
	s_waitcnt vmcnt(0)
	v_add_f32_e32 v6, v19, v6
	v_add_f32_e32 v7, v18, v7
	global_store_dwordx2 v[3:4], v[6:7], off
	s_and_b64 exec, exec, vcc
	s_cbranch_execz .LBB314_10
; %bb.9:
	v_mov_b32_e32 v1, 0
	global_store_dword v[3:4], v1, off offset:4
.LBB314_10:
	s_or_b64 exec, exec, s[0:1]
	v_add_u32_e32 v8, 16, v5
	v_mad_i64_i32 v[3:4], s[0:1], v8, s9, 0
	v_mov_b32_e32 v1, s5
	v_cmp_gt_i32_e32 vcc, s10, v8
	v_lshlrev_b64 v[3:4], 3, v[3:4]
	v_add_co_u32_e64 v6, s[0:1], s4, v3
	v_addc_co_u32_e64 v7, s[0:1], v1, v4, s[0:1]
	v_cmp_le_i32_e64 s[0:1], v0, v8
	s_and_b64 s[0:1], vcc, s[0:1]
	s_and_saveexec_b64 s[2:3], s[0:1]
	s_cbranch_execz .LBB314_13
; %bb.11:
	v_ashrrev_i32_e32 v1, 31, v0
	v_lshlrev_b64 v[3:4], 3, v[0:1]
	v_add_co_u32_e64 v3, s[0:1], v6, v3
	v_addc_co_u32_e64 v4, s[0:1], v7, v4, s[0:1]
	global_load_dwordx2 v[11:12], v[3:4], off
	v_cmp_eq_u32_e64 s[0:1], v8, v0
	s_waitcnt vmcnt(0)
	v_add_f32_e32 v11, v17, v11
	v_add_f32_e32 v12, v16, v12
	global_store_dwordx2 v[3:4], v[11:12], off
	s_and_b64 exec, exec, s[0:1]
	s_cbranch_execz .LBB314_13
; %bb.12:
	v_mov_b32_e32 v1, 0
	global_store_dword v[3:4], v1, off offset:4
.LBB314_13:
	s_or_b64 exec, exec, s[2:3]
	v_cmp_le_i32_e64 s[0:1], v2, v8
	s_and_b64 s[0:1], vcc, s[0:1]
	s_and_saveexec_b64 s[2:3], s[0:1]
	s_cbranch_execz .LBB314_16
; %bb.14:
	v_ashrrev_i32_e32 v3, 31, v2
	v_lshlrev_b64 v[1:2], 3, v[2:3]
	v_add_co_u32_e32 v1, vcc, v6, v1
	v_addc_co_u32_e32 v2, vcc, v7, v2, vcc
	global_load_dwordx2 v[3:4], v[1:2], off
	v_cmp_eq_u32_e32 vcc, v5, v0
	s_waitcnt vmcnt(0)
	v_add_f32_e32 v3, v15, v3
	v_add_f32_e32 v4, v10, v4
	global_store_dwordx2 v[1:2], v[3:4], off
	s_and_b64 exec, exec, vcc
	s_cbranch_execz .LBB314_16
; %bb.15:
	v_mov_b32_e32 v0, 0
	global_store_dword v[1:2], v0, off offset:4
.LBB314_16:
	s_endpgm
	.section	.rodata,"a",@progbits
	.p2align	6, 0x0
	.amdhsa_kernel _ZL37rocblas_syrkx_herkx_restricted_kernelIi19rocblas_complex_numIfELi16ELi32ELi8ELi1ELi1ELb1ELc67ELc85EKS1_S1_EviT_PT9_S3_lS5_S3_lPT10_S3_li
		.amdhsa_group_segment_fixed_size 4096
		.amdhsa_private_segment_fixed_size 0
		.amdhsa_kernarg_size 84
		.amdhsa_user_sgpr_count 6
		.amdhsa_user_sgpr_private_segment_buffer 1
		.amdhsa_user_sgpr_dispatch_ptr 0
		.amdhsa_user_sgpr_queue_ptr 0
		.amdhsa_user_sgpr_kernarg_segment_ptr 1
		.amdhsa_user_sgpr_dispatch_id 0
		.amdhsa_user_sgpr_flat_scratch_init 0
		.amdhsa_user_sgpr_private_segment_size 0
		.amdhsa_uses_dynamic_stack 0
		.amdhsa_system_sgpr_private_segment_wavefront_offset 0
		.amdhsa_system_sgpr_workgroup_id_x 1
		.amdhsa_system_sgpr_workgroup_id_y 1
		.amdhsa_system_sgpr_workgroup_id_z 1
		.amdhsa_system_sgpr_workgroup_info 0
		.amdhsa_system_vgpr_workitem_id 1
		.amdhsa_next_free_vgpr 41
		.amdhsa_next_free_sgpr 22
		.amdhsa_reserve_vcc 1
		.amdhsa_reserve_flat_scratch 0
		.amdhsa_float_round_mode_32 0
		.amdhsa_float_round_mode_16_64 0
		.amdhsa_float_denorm_mode_32 3
		.amdhsa_float_denorm_mode_16_64 3
		.amdhsa_dx10_clamp 1
		.amdhsa_ieee_mode 1
		.amdhsa_fp16_overflow 0
		.amdhsa_exception_fp_ieee_invalid_op 0
		.amdhsa_exception_fp_denorm_src 0
		.amdhsa_exception_fp_ieee_div_zero 0
		.amdhsa_exception_fp_ieee_overflow 0
		.amdhsa_exception_fp_ieee_underflow 0
		.amdhsa_exception_fp_ieee_inexact 0
		.amdhsa_exception_int_div_zero 0
	.end_amdhsa_kernel
	.section	.text._ZL37rocblas_syrkx_herkx_restricted_kernelIi19rocblas_complex_numIfELi16ELi32ELi8ELi1ELi1ELb1ELc67ELc85EKS1_S1_EviT_PT9_S3_lS5_S3_lPT10_S3_li,"axG",@progbits,_ZL37rocblas_syrkx_herkx_restricted_kernelIi19rocblas_complex_numIfELi16ELi32ELi8ELi1ELi1ELb1ELc67ELc85EKS1_S1_EviT_PT9_S3_lS5_S3_lPT10_S3_li,comdat
.Lfunc_end314:
	.size	_ZL37rocblas_syrkx_herkx_restricted_kernelIi19rocblas_complex_numIfELi16ELi32ELi8ELi1ELi1ELb1ELc67ELc85EKS1_S1_EviT_PT9_S3_lS5_S3_lPT10_S3_li, .Lfunc_end314-_ZL37rocblas_syrkx_herkx_restricted_kernelIi19rocblas_complex_numIfELi16ELi32ELi8ELi1ELi1ELb1ELc67ELc85EKS1_S1_EviT_PT9_S3_lS5_S3_lPT10_S3_li
                                        ; -- End function
	.set _ZL37rocblas_syrkx_herkx_restricted_kernelIi19rocblas_complex_numIfELi16ELi32ELi8ELi1ELi1ELb1ELc67ELc85EKS1_S1_EviT_PT9_S3_lS5_S3_lPT10_S3_li.num_vgpr, 41
	.set _ZL37rocblas_syrkx_herkx_restricted_kernelIi19rocblas_complex_numIfELi16ELi32ELi8ELi1ELi1ELb1ELc67ELc85EKS1_S1_EviT_PT9_S3_lS5_S3_lPT10_S3_li.num_agpr, 0
	.set _ZL37rocblas_syrkx_herkx_restricted_kernelIi19rocblas_complex_numIfELi16ELi32ELi8ELi1ELi1ELb1ELc67ELc85EKS1_S1_EviT_PT9_S3_lS5_S3_lPT10_S3_li.numbered_sgpr, 22
	.set _ZL37rocblas_syrkx_herkx_restricted_kernelIi19rocblas_complex_numIfELi16ELi32ELi8ELi1ELi1ELb1ELc67ELc85EKS1_S1_EviT_PT9_S3_lS5_S3_lPT10_S3_li.num_named_barrier, 0
	.set _ZL37rocblas_syrkx_herkx_restricted_kernelIi19rocblas_complex_numIfELi16ELi32ELi8ELi1ELi1ELb1ELc67ELc85EKS1_S1_EviT_PT9_S3_lS5_S3_lPT10_S3_li.private_seg_size, 0
	.set _ZL37rocblas_syrkx_herkx_restricted_kernelIi19rocblas_complex_numIfELi16ELi32ELi8ELi1ELi1ELb1ELc67ELc85EKS1_S1_EviT_PT9_S3_lS5_S3_lPT10_S3_li.uses_vcc, 1
	.set _ZL37rocblas_syrkx_herkx_restricted_kernelIi19rocblas_complex_numIfELi16ELi32ELi8ELi1ELi1ELb1ELc67ELc85EKS1_S1_EviT_PT9_S3_lS5_S3_lPT10_S3_li.uses_flat_scratch, 0
	.set _ZL37rocblas_syrkx_herkx_restricted_kernelIi19rocblas_complex_numIfELi16ELi32ELi8ELi1ELi1ELb1ELc67ELc85EKS1_S1_EviT_PT9_S3_lS5_S3_lPT10_S3_li.has_dyn_sized_stack, 0
	.set _ZL37rocblas_syrkx_herkx_restricted_kernelIi19rocblas_complex_numIfELi16ELi32ELi8ELi1ELi1ELb1ELc67ELc85EKS1_S1_EviT_PT9_S3_lS5_S3_lPT10_S3_li.has_recursion, 0
	.set _ZL37rocblas_syrkx_herkx_restricted_kernelIi19rocblas_complex_numIfELi16ELi32ELi8ELi1ELi1ELb1ELc67ELc85EKS1_S1_EviT_PT9_S3_lS5_S3_lPT10_S3_li.has_indirect_call, 0
	.section	.AMDGPU.csdata,"",@progbits
; Kernel info:
; codeLenInByte = 2072
; TotalNumSgprs: 26
; NumVgprs: 41
; ScratchSize: 0
; MemoryBound: 0
; FloatMode: 240
; IeeeMode: 1
; LDSByteSize: 4096 bytes/workgroup (compile time only)
; SGPRBlocks: 3
; VGPRBlocks: 10
; NumSGPRsForWavesPerEU: 26
; NumVGPRsForWavesPerEU: 41
; Occupancy: 5
; WaveLimiterHint : 0
; COMPUTE_PGM_RSRC2:SCRATCH_EN: 0
; COMPUTE_PGM_RSRC2:USER_SGPR: 6
; COMPUTE_PGM_RSRC2:TRAP_HANDLER: 0
; COMPUTE_PGM_RSRC2:TGID_X_EN: 1
; COMPUTE_PGM_RSRC2:TGID_Y_EN: 1
; COMPUTE_PGM_RSRC2:TGID_Z_EN: 1
; COMPUTE_PGM_RSRC2:TIDIG_COMP_CNT: 1
	.section	.text._ZL37rocblas_syrkx_herkx_restricted_kernelIi19rocblas_complex_numIfELi16ELi32ELi8ELi1ELi1ELb1ELc78ELc85EKS1_S1_EviT_PT9_S3_lS5_S3_lPT10_S3_li,"axG",@progbits,_ZL37rocblas_syrkx_herkx_restricted_kernelIi19rocblas_complex_numIfELi16ELi32ELi8ELi1ELi1ELb1ELc78ELc85EKS1_S1_EviT_PT9_S3_lS5_S3_lPT10_S3_li,comdat
	.globl	_ZL37rocblas_syrkx_herkx_restricted_kernelIi19rocblas_complex_numIfELi16ELi32ELi8ELi1ELi1ELb1ELc78ELc85EKS1_S1_EviT_PT9_S3_lS5_S3_lPT10_S3_li ; -- Begin function _ZL37rocblas_syrkx_herkx_restricted_kernelIi19rocblas_complex_numIfELi16ELi32ELi8ELi1ELi1ELb1ELc78ELc85EKS1_S1_EviT_PT9_S3_lS5_S3_lPT10_S3_li
	.p2align	8
	.type	_ZL37rocblas_syrkx_herkx_restricted_kernelIi19rocblas_complex_numIfELi16ELi32ELi8ELi1ELi1ELb1ELc78ELc85EKS1_S1_EviT_PT9_S3_lS5_S3_lPT10_S3_li,@function
_ZL37rocblas_syrkx_herkx_restricted_kernelIi19rocblas_complex_numIfELi16ELi32ELi8ELi1ELi1ELb1ELc78ELc85EKS1_S1_EviT_PT9_S3_lS5_S3_lPT10_S3_li: ; @_ZL37rocblas_syrkx_herkx_restricted_kernelIi19rocblas_complex_numIfELi16ELi32ELi8ELi1ELi1ELb1ELc78ELc85EKS1_S1_EviT_PT9_S3_lS5_S3_lPT10_S3_li
; %bb.0:
	s_load_dwordx2 s[10:11], s[4:5], 0x0
	s_load_dwordx4 s[0:3], s[4:5], 0x30
	s_lshl_b32 s9, s6, 5
	s_lshl_b32 s16, s7, 5
	s_mov_b32 s17, 0
	s_waitcnt lgkmcnt(0)
	s_cmp_lt_i32 s11, 1
	s_cbranch_scc1 .LBB315_3
; %bb.1:
	v_lshl_add_u32 v5, v1, 4, v0
	s_load_dword s6, s[4:5], 0x10
	s_load_dword s18, s[4:5], 0x28
	s_load_dwordx2 s[20:21], s[4:5], 0x8
	s_load_dwordx4 s[12:15], s[4:5], 0x18
	v_lshrrev_b32_e32 v6, 3, v5
	v_add_u32_e32 v2, s16, v6
	v_and_b32_e32 v4, 7, v0
	v_ashrrev_i32_e32 v3, 31, v2
	s_waitcnt lgkmcnt(0)
	v_mad_i64_i32 v[2:3], s[22:23], s18, v4, v[2:3]
	v_lshlrev_b32_e32 v4, 3, v4
	v_lshl_or_b32 v4, v6, 6, v4
	v_lshrrev_b32_e32 v7, 5, v5
	v_and_b32_e32 v5, 31, v5
	v_add_u32_e32 v11, 0x800, v4
	v_mov_b32_e32 v4, 0x800
	v_lshl_add_u32 v13, v1, 6, v4
	v_add_u32_e32 v4, s9, v5
	v_lshlrev_b32_e32 v8, 3, v5
	v_ashrrev_i32_e32 v5, 31, v4
	v_mad_i64_i32 v[4:5], s[22:23], s6, v7, v[4:5]
	s_mul_i32 s13, s13, s8
	s_mul_hi_u32 s24, s12, s8
	s_add_i32 s13, s24, s13
	s_mul_i32 s12, s12, s8
	s_ashr_i32 s7, s6, 31
	s_ashr_i32 s19, s18, 31
	s_lshl_b64 s[12:13], s[12:13], 3
	v_lshlrev_b64 v[4:5], 3, v[4:5]
	s_add_u32 s12, s20, s12
	s_addc_u32 s13, s21, s13
	v_add_co_u32_e32 v4, vcc, s12, v4
	s_mul_i32 s1, s1, s8
	s_mul_hi_u32 s12, s0, s8
	v_mov_b32_e32 v6, s13
	s_add_i32 s1, s12, s1
	s_mul_i32 s0, s0, s8
	v_addc_co_u32_e32 v5, vcc, v6, v5, vcc
	s_lshl_b64 s[6:7], s[6:7], 6
	s_lshl_b64 s[0:1], s[0:1], 3
	v_add_co_u32_e32 v6, vcc, 4, v4
	v_lshlrev_b64 v[2:3], 3, v[2:3]
	s_add_u32 s0, s14, s0
	v_lshl_or_b32 v10, v7, 8, v8
	v_addc_co_u32_e32 v7, vcc, 0, v5, vcc
	s_addc_u32 s1, s15, s1
	v_mov_b32_e32 v4, s1
	v_add_co_u32_e32 v2, vcc, s0, v2
	v_addc_co_u32_e32 v3, vcc, v4, v3, vcc
	v_add_co_u32_e32 v8, vcc, 4, v2
	s_lshl_b64 s[0:1], s[18:19], 6
	v_lshlrev_b32_e32 v12, 3, v0
	v_addc_co_u32_e32 v9, vcc, 0, v3, vcc
	v_mov_b32_e32 v16, 0
	v_mov_b32_e32 v14, s7
	;; [unrolled: 1-line block ×10, first 2 shown]
.LBB315_2:                              ; =>This Inner Loop Header: Depth=1
	global_load_dwordx2 v[2:3], v[6:7], off offset:-4
	v_add_co_u32_e32 v6, vcc, s6, v6
	v_addc_co_u32_e32 v7, vcc, v7, v14, vcc
	s_add_i32 s17, s17, 8
	s_cmp_ge_i32 s17, s11
	s_waitcnt vmcnt(0)
	ds_write_b64 v10, v[2:3]
	global_load_dwordx2 v[2:3], v[8:9], off offset:-4
	v_add_co_u32_e32 v8, vcc, s0, v8
	v_addc_co_u32_e32 v9, vcc, v9, v15, vcc
	s_waitcnt vmcnt(0)
	v_xor_b32_e32 v3, 0x80000000, v3
	ds_write_b64 v11, v[2:3]
	s_waitcnt lgkmcnt(0)
	s_barrier
	ds_read_b128 v[24:27], v13
	ds_read_b128 v[28:31], v13 offset:16
	ds_read_b128 v[32:35], v13 offset:32
	;; [unrolled: 1-line block ×3, first 2 shown]
	ds_read2_b64 v[36:39], v12 offset1:16
	s_waitcnt lgkmcnt(0)
	v_mul_f32_e32 v40, v25, v37
	v_mul_f32_e32 v41, v24, v37
	v_fma_f32 v40, v24, v36, -v40
	v_fmac_f32_e32 v41, v25, v36
	v_add_f32_e32 v40, v22, v40
	v_add_f32_e32 v41, v23, v41
	v_mul_f32_e32 v22, v25, v39
	v_mul_f32_e32 v23, v24, v39
	v_fma_f32 v22, v24, v38, -v22
	v_fmac_f32_e32 v23, v25, v38
	v_add_f32_e32 v24, v21, v22
	v_add_f32_e32 v25, v20, v23
	ds_read_b128 v[20:23], v13 offset:1024
	s_waitcnt lgkmcnt(0)
	v_mul_f32_e32 v42, v21, v37
	v_mul_f32_e32 v37, v20, v37
	v_fma_f32 v42, v20, v36, -v42
	v_fmac_f32_e32 v37, v21, v36
	v_add_f32_e32 v36, v19, v42
	v_add_f32_e32 v37, v18, v37
	v_mul_f32_e32 v18, v21, v39
	v_mul_f32_e32 v19, v20, v39
	v_fma_f32 v18, v20, v38, -v18
	v_fmac_f32_e32 v19, v21, v38
	v_add_f32_e32 v20, v17, v18
	v_add_f32_e32 v21, v16, v19
	ds_read2_b64 v[16:19], v12 offset0:32 offset1:48
	s_waitcnt lgkmcnt(0)
	v_mul_f32_e32 v38, v27, v17
	v_fma_f32 v38, v26, v16, -v38
	v_add_f32_e32 v38, v40, v38
	v_mul_f32_e32 v40, v27, v19
	v_mul_f32_e32 v39, v26, v17
	v_fma_f32 v40, v26, v18, -v40
	v_mul_f32_e32 v26, v26, v19
	v_fmac_f32_e32 v26, v27, v18
	v_add_f32_e32 v25, v25, v26
	v_mul_f32_e32 v26, v23, v17
	v_mul_f32_e32 v17, v22, v17
	v_fmac_f32_e32 v17, v23, v16
	v_fmac_f32_e32 v39, v27, v16
	v_fma_f32 v26, v22, v16, -v26
	v_add_f32_e32 v27, v37, v17
	v_mul_f32_e32 v16, v23, v19
	v_mul_f32_e32 v17, v22, v19
	v_fma_f32 v16, v22, v18, -v16
	v_fmac_f32_e32 v17, v23, v18
	v_add_f32_e32 v26, v36, v26
	v_add_f32_e32 v36, v20, v16
	;; [unrolled: 1-line block ×3, first 2 shown]
	ds_read2_b64 v[16:19], v12 offset0:64 offset1:80
	v_add_f32_e32 v39, v41, v39
	v_add_f32_e32 v24, v24, v40
	s_waitcnt lgkmcnt(0)
	v_mul_f32_e32 v20, v29, v17
	v_mul_f32_e32 v21, v28, v17
	v_fma_f32 v20, v28, v16, -v20
	v_fmac_f32_e32 v21, v29, v16
	v_add_f32_e32 v38, v38, v20
	v_add_f32_e32 v39, v39, v21
	v_mul_f32_e32 v20, v29, v19
	v_mul_f32_e32 v21, v28, v19
	v_fma_f32 v20, v28, v18, -v20
	v_fmac_f32_e32 v21, v29, v18
	v_add_f32_e32 v24, v24, v20
	v_add_f32_e32 v25, v25, v21
	ds_read_b128 v[20:23], v13 offset:1040
	s_waitcnt lgkmcnt(0)
	v_mul_f32_e32 v28, v21, v17
	v_mul_f32_e32 v17, v20, v17
	v_fmac_f32_e32 v17, v21, v16
	v_fma_f32 v28, v20, v16, -v28
	v_add_f32_e32 v27, v27, v17
	v_mul_f32_e32 v16, v21, v19
	v_mul_f32_e32 v17, v20, v19
	v_fma_f32 v16, v20, v18, -v16
	v_fmac_f32_e32 v17, v21, v18
	v_add_f32_e32 v20, v36, v16
	v_add_f32_e32 v21, v37, v17
	ds_read2_b64 v[16:19], v12 offset0:96 offset1:112
	v_add_f32_e32 v26, v26, v28
	s_waitcnt lgkmcnt(0)
	v_mul_f32_e32 v28, v31, v17
	v_mul_f32_e32 v36, v31, v19
	v_fma_f32 v28, v30, v16, -v28
	v_mul_f32_e32 v29, v30, v17
	v_fma_f32 v36, v30, v18, -v36
	v_mul_f32_e32 v30, v30, v19
	v_fmac_f32_e32 v30, v31, v18
	v_add_f32_e32 v25, v25, v30
	v_mul_f32_e32 v30, v23, v17
	v_mul_f32_e32 v17, v22, v17
	v_fmac_f32_e32 v17, v23, v16
	v_fmac_f32_e32 v29, v31, v16
	v_fma_f32 v30, v22, v16, -v30
	v_add_f32_e32 v27, v27, v17
	v_mul_f32_e32 v16, v23, v19
	v_mul_f32_e32 v17, v22, v19
	v_fma_f32 v16, v22, v18, -v16
	v_fmac_f32_e32 v17, v23, v18
	v_add_f32_e32 v26, v26, v30
	v_add_f32_e32 v30, v20, v16
	;; [unrolled: 1-line block ×3, first 2 shown]
	ds_read2_b64 v[16:19], v12 offset0:128 offset1:144
	v_add_f32_e32 v28, v38, v28
	v_add_f32_e32 v29, v39, v29
	;; [unrolled: 1-line block ×3, first 2 shown]
	s_waitcnt lgkmcnt(0)
	v_mul_f32_e32 v20, v33, v17
	v_mul_f32_e32 v21, v32, v17
	v_fma_f32 v20, v32, v16, -v20
	v_fmac_f32_e32 v21, v33, v16
	v_add_f32_e32 v28, v28, v20
	v_add_f32_e32 v29, v29, v21
	v_mul_f32_e32 v20, v33, v19
	v_mul_f32_e32 v21, v32, v19
	v_fma_f32 v20, v32, v18, -v20
	v_fmac_f32_e32 v21, v33, v18
	v_add_f32_e32 v24, v24, v20
	v_add_f32_e32 v25, v25, v21
	ds_read_b128 v[20:23], v13 offset:1056
	s_waitcnt lgkmcnt(0)
	v_mul_f32_e32 v32, v21, v17
	v_mul_f32_e32 v17, v20, v17
	v_fmac_f32_e32 v17, v21, v16
	v_fma_f32 v32, v20, v16, -v32
	v_add_f32_e32 v27, v27, v17
	v_mul_f32_e32 v16, v21, v19
	v_mul_f32_e32 v17, v20, v19
	v_fma_f32 v16, v20, v18, -v16
	v_fmac_f32_e32 v17, v21, v18
	v_add_f32_e32 v20, v30, v16
	v_add_f32_e32 v21, v31, v17
	ds_read2_b64 v[16:19], v12 offset0:160 offset1:176
	v_add_f32_e32 v26, v26, v32
	s_waitcnt lgkmcnt(0)
	v_mul_f32_e32 v30, v35, v17
	v_fma_f32 v30, v34, v16, -v30
	v_add_f32_e32 v28, v28, v30
	v_mul_f32_e32 v30, v35, v19
	v_fma_f32 v30, v34, v18, -v30
	v_mul_f32_e32 v31, v34, v17
	v_add_f32_e32 v24, v24, v30
	v_mul_f32_e32 v30, v23, v17
	v_mul_f32_e32 v17, v22, v17
	v_fmac_f32_e32 v17, v23, v16
	v_fmac_f32_e32 v31, v35, v16
	v_fma_f32 v30, v22, v16, -v30
	v_add_f32_e32 v27, v27, v17
	v_mul_f32_e32 v16, v23, v19
	v_mul_f32_e32 v17, v22, v19
	v_add_f32_e32 v29, v29, v31
	v_mul_f32_e32 v31, v34, v19
	v_fma_f32 v16, v22, v18, -v16
	v_fmac_f32_e32 v17, v23, v18
	v_fmac_f32_e32 v31, v35, v18
	v_add_f32_e32 v20, v20, v16
	v_add_f32_e32 v21, v21, v17
	ds_read2_b64 v[16:19], v12 offset0:192 offset1:208
	v_add_f32_e32 v26, v26, v30
	v_add_f32_e32 v25, v25, v31
	s_waitcnt lgkmcnt(0)
	v_mul_f32_e32 v22, v3, v17
	v_fma_f32 v22, v2, v16, -v22
	v_add_f32_e32 v30, v28, v22
	v_mul_f32_e32 v22, v3, v19
	v_mul_f32_e32 v23, v2, v17
	v_fma_f32 v22, v2, v18, -v22
	v_mul_f32_e32 v2, v2, v19
	v_fmac_f32_e32 v23, v3, v16
	v_fmac_f32_e32 v2, v3, v18
	v_add_f32_e32 v31, v29, v23
	v_add_f32_e32 v3, v24, v22
	;; [unrolled: 1-line block ×3, first 2 shown]
	ds_read_b128 v[22:25], v13 offset:1072
	s_waitcnt lgkmcnt(0)
	v_mul_f32_e32 v28, v23, v17
	v_fma_f32 v28, v22, v16, -v28
	v_mul_f32_e32 v17, v22, v17
	v_fmac_f32_e32 v17, v23, v16
	v_add_f32_e32 v16, v26, v28
	v_mul_f32_e32 v26, v23, v19
	v_fma_f32 v26, v22, v18, -v26
	v_add_f32_e32 v17, v27, v17
	v_add_f32_e32 v32, v20, v26
	ds_read2_b64 v[26:29], v12 offset0:224 offset1:240
	v_mul_f32_e32 v19, v22, v19
	v_fmac_f32_e32 v19, v23, v18
	v_add_f32_e32 v33, v21, v19
	s_waitcnt lgkmcnt(0)
	v_mul_f32_e32 v18, v5, v27
	v_fma_f32 v18, v4, v26, -v18
	v_add_f32_e32 v22, v30, v18
	v_mul_f32_e32 v18, v5, v29
	v_mul_f32_e32 v19, v4, v27
	v_fma_f32 v18, v4, v28, -v18
	v_mul_f32_e32 v4, v4, v29
	v_fmac_f32_e32 v4, v5, v28
	v_add_f32_e32 v21, v3, v18
	v_add_f32_e32 v20, v2, v4
	v_mul_f32_e32 v2, v25, v27
	v_mul_f32_e32 v3, v24, v27
	v_fmac_f32_e32 v19, v5, v26
	v_fma_f32 v2, v24, v26, -v2
	v_fmac_f32_e32 v3, v25, v26
	v_add_f32_e32 v23, v31, v19
	v_add_f32_e32 v19, v16, v2
	;; [unrolled: 1-line block ×3, first 2 shown]
	v_mul_f32_e32 v2, v25, v29
	v_mul_f32_e32 v3, v24, v29
	v_fma_f32 v2, v24, v28, -v2
	v_fmac_f32_e32 v3, v25, v28
	v_add_f32_e32 v17, v32, v2
	v_add_f32_e32 v16, v33, v3
	s_barrier
	s_cbranch_scc0 .LBB315_2
	s_branch .LBB315_4
.LBB315_3:
	v_mov_b32_e32 v22, 0
	v_mov_b32_e32 v23, 0
	;; [unrolled: 1-line block ×8, first 2 shown]
.LBB315_4:
	s_load_dwordx2 s[0:1], s[4:5], 0x48
	s_load_dword s6, s[4:5], 0x40
	v_add_u32_e32 v5, s16, v1
	v_add_u32_e32 v0, s9, v0
	v_cmp_gt_i32_e32 vcc, s10, v5
	s_waitcnt lgkmcnt(0)
	s_mul_i32 s1, s1, s8
	v_mad_i64_i32 v[1:2], s[12:13], v5, s6, 0
	s_mul_hi_u32 s4, s0, s8
	s_mul_i32 s0, s0, s8
	s_add_i32 s1, s4, s1
	s_lshl_b64 s[0:1], s[0:1], 3
	s_add_u32 s4, s2, s0
	v_lshlrev_b64 v[1:2], 3, v[1:2]
	s_addc_u32 s5, s3, s1
	v_mov_b32_e32 v3, s5
	v_add_co_u32_e64 v4, s[0:1], s4, v1
	v_addc_co_u32_e64 v6, s[0:1], v3, v2, s[0:1]
	v_cmp_le_i32_e64 s[0:1], v0, v5
	s_and_b64 s[0:1], vcc, s[0:1]
	s_and_saveexec_b64 s[2:3], s[0:1]
	s_cbranch_execz .LBB315_7
; %bb.5:
	v_ashrrev_i32_e32 v1, 31, v0
	v_lshlrev_b64 v[1:2], 3, v[0:1]
	v_add_co_u32_e64 v1, s[0:1], v4, v1
	v_addc_co_u32_e64 v2, s[0:1], v6, v2, s[0:1]
	global_load_dwordx2 v[7:8], v[1:2], off
	v_cmp_eq_u32_e64 s[0:1], v5, v0
	s_waitcnt vmcnt(0)
	v_add_f32_e32 v7, v22, v7
	v_add_f32_e32 v8, v23, v8
	global_store_dwordx2 v[1:2], v[7:8], off
	s_and_b64 exec, exec, s[0:1]
	s_cbranch_execz .LBB315_7
; %bb.6:
	v_mov_b32_e32 v3, 0
	global_store_dword v[1:2], v3, off offset:4
.LBB315_7:
	s_or_b64 exec, exec, s[2:3]
	v_add_u32_e32 v2, 16, v0
	v_cmp_le_i32_e64 s[0:1], v2, v5
	s_and_b64 s[2:3], vcc, s[0:1]
	s_and_saveexec_b64 s[0:1], s[2:3]
	s_cbranch_execz .LBB315_10
; %bb.8:
	v_ashrrev_i32_e32 v3, 31, v2
	v_lshlrev_b64 v[7:8], 3, v[2:3]
	v_add_co_u32_e32 v3, vcc, v4, v7
	v_addc_co_u32_e32 v4, vcc, v6, v8, vcc
	global_load_dwordx2 v[6:7], v[3:4], off
	v_cmp_eq_u32_e32 vcc, v5, v2
	s_waitcnt vmcnt(0)
	v_add_f32_e32 v6, v21, v6
	v_add_f32_e32 v7, v20, v7
	global_store_dwordx2 v[3:4], v[6:7], off
	s_and_b64 exec, exec, vcc
	s_cbranch_execz .LBB315_10
; %bb.9:
	v_mov_b32_e32 v1, 0
	global_store_dword v[3:4], v1, off offset:4
.LBB315_10:
	s_or_b64 exec, exec, s[0:1]
	v_add_u32_e32 v8, 16, v5
	v_mad_i64_i32 v[3:4], s[0:1], v8, s6, 0
	v_mov_b32_e32 v1, s5
	v_cmp_gt_i32_e32 vcc, s10, v8
	v_lshlrev_b64 v[3:4], 3, v[3:4]
	v_add_co_u32_e64 v6, s[0:1], s4, v3
	v_addc_co_u32_e64 v7, s[0:1], v1, v4, s[0:1]
	v_cmp_le_i32_e64 s[0:1], v0, v8
	s_and_b64 s[0:1], vcc, s[0:1]
	s_and_saveexec_b64 s[2:3], s[0:1]
	s_cbranch_execz .LBB315_13
; %bb.11:
	v_ashrrev_i32_e32 v1, 31, v0
	v_lshlrev_b64 v[3:4], 3, v[0:1]
	v_add_co_u32_e64 v3, s[0:1], v6, v3
	v_addc_co_u32_e64 v4, s[0:1], v7, v4, s[0:1]
	global_load_dwordx2 v[9:10], v[3:4], off
	v_cmp_eq_u32_e64 s[0:1], v8, v0
	s_waitcnt vmcnt(0)
	v_add_f32_e32 v9, v19, v9
	v_add_f32_e32 v10, v18, v10
	global_store_dwordx2 v[3:4], v[9:10], off
	s_and_b64 exec, exec, s[0:1]
	s_cbranch_execz .LBB315_13
; %bb.12:
	v_mov_b32_e32 v1, 0
	global_store_dword v[3:4], v1, off offset:4
.LBB315_13:
	s_or_b64 exec, exec, s[2:3]
	v_cmp_le_i32_e64 s[0:1], v2, v8
	s_and_b64 s[0:1], vcc, s[0:1]
	s_and_saveexec_b64 s[2:3], s[0:1]
	s_cbranch_execz .LBB315_16
; %bb.14:
	v_ashrrev_i32_e32 v3, 31, v2
	v_lshlrev_b64 v[1:2], 3, v[2:3]
	v_add_co_u32_e32 v1, vcc, v6, v1
	v_addc_co_u32_e32 v2, vcc, v7, v2, vcc
	global_load_dwordx2 v[3:4], v[1:2], off
	v_cmp_eq_u32_e32 vcc, v5, v0
	s_waitcnt vmcnt(0)
	v_add_f32_e32 v3, v17, v3
	v_add_f32_e32 v4, v16, v4
	global_store_dwordx2 v[1:2], v[3:4], off
	s_and_b64 exec, exec, vcc
	s_cbranch_execz .LBB315_16
; %bb.15:
	v_mov_b32_e32 v0, 0
	global_store_dword v[1:2], v0, off offset:4
.LBB315_16:
	s_endpgm
	.section	.rodata,"a",@progbits
	.p2align	6, 0x0
	.amdhsa_kernel _ZL37rocblas_syrkx_herkx_restricted_kernelIi19rocblas_complex_numIfELi16ELi32ELi8ELi1ELi1ELb1ELc78ELc85EKS1_S1_EviT_PT9_S3_lS5_S3_lPT10_S3_li
		.amdhsa_group_segment_fixed_size 4096
		.amdhsa_private_segment_fixed_size 0
		.amdhsa_kernarg_size 84
		.amdhsa_user_sgpr_count 6
		.amdhsa_user_sgpr_private_segment_buffer 1
		.amdhsa_user_sgpr_dispatch_ptr 0
		.amdhsa_user_sgpr_queue_ptr 0
		.amdhsa_user_sgpr_kernarg_segment_ptr 1
		.amdhsa_user_sgpr_dispatch_id 0
		.amdhsa_user_sgpr_flat_scratch_init 0
		.amdhsa_user_sgpr_private_segment_size 0
		.amdhsa_uses_dynamic_stack 0
		.amdhsa_system_sgpr_private_segment_wavefront_offset 0
		.amdhsa_system_sgpr_workgroup_id_x 1
		.amdhsa_system_sgpr_workgroup_id_y 1
		.amdhsa_system_sgpr_workgroup_id_z 1
		.amdhsa_system_sgpr_workgroup_info 0
		.amdhsa_system_vgpr_workitem_id 1
		.amdhsa_next_free_vgpr 43
		.amdhsa_next_free_sgpr 25
		.amdhsa_reserve_vcc 1
		.amdhsa_reserve_flat_scratch 0
		.amdhsa_float_round_mode_32 0
		.amdhsa_float_round_mode_16_64 0
		.amdhsa_float_denorm_mode_32 3
		.amdhsa_float_denorm_mode_16_64 3
		.amdhsa_dx10_clamp 1
		.amdhsa_ieee_mode 1
		.amdhsa_fp16_overflow 0
		.amdhsa_exception_fp_ieee_invalid_op 0
		.amdhsa_exception_fp_denorm_src 0
		.amdhsa_exception_fp_ieee_div_zero 0
		.amdhsa_exception_fp_ieee_overflow 0
		.amdhsa_exception_fp_ieee_underflow 0
		.amdhsa_exception_fp_ieee_inexact 0
		.amdhsa_exception_int_div_zero 0
	.end_amdhsa_kernel
	.section	.text._ZL37rocblas_syrkx_herkx_restricted_kernelIi19rocblas_complex_numIfELi16ELi32ELi8ELi1ELi1ELb1ELc78ELc85EKS1_S1_EviT_PT9_S3_lS5_S3_lPT10_S3_li,"axG",@progbits,_ZL37rocblas_syrkx_herkx_restricted_kernelIi19rocblas_complex_numIfELi16ELi32ELi8ELi1ELi1ELb1ELc78ELc85EKS1_S1_EviT_PT9_S3_lS5_S3_lPT10_S3_li,comdat
.Lfunc_end315:
	.size	_ZL37rocblas_syrkx_herkx_restricted_kernelIi19rocblas_complex_numIfELi16ELi32ELi8ELi1ELi1ELb1ELc78ELc85EKS1_S1_EviT_PT9_S3_lS5_S3_lPT10_S3_li, .Lfunc_end315-_ZL37rocblas_syrkx_herkx_restricted_kernelIi19rocblas_complex_numIfELi16ELi32ELi8ELi1ELi1ELb1ELc78ELc85EKS1_S1_EviT_PT9_S3_lS5_S3_lPT10_S3_li
                                        ; -- End function
	.set _ZL37rocblas_syrkx_herkx_restricted_kernelIi19rocblas_complex_numIfELi16ELi32ELi8ELi1ELi1ELb1ELc78ELc85EKS1_S1_EviT_PT9_S3_lS5_S3_lPT10_S3_li.num_vgpr, 43
	.set _ZL37rocblas_syrkx_herkx_restricted_kernelIi19rocblas_complex_numIfELi16ELi32ELi8ELi1ELi1ELb1ELc78ELc85EKS1_S1_EviT_PT9_S3_lS5_S3_lPT10_S3_li.num_agpr, 0
	.set _ZL37rocblas_syrkx_herkx_restricted_kernelIi19rocblas_complex_numIfELi16ELi32ELi8ELi1ELi1ELb1ELc78ELc85EKS1_S1_EviT_PT9_S3_lS5_S3_lPT10_S3_li.numbered_sgpr, 25
	.set _ZL37rocblas_syrkx_herkx_restricted_kernelIi19rocblas_complex_numIfELi16ELi32ELi8ELi1ELi1ELb1ELc78ELc85EKS1_S1_EviT_PT9_S3_lS5_S3_lPT10_S3_li.num_named_barrier, 0
	.set _ZL37rocblas_syrkx_herkx_restricted_kernelIi19rocblas_complex_numIfELi16ELi32ELi8ELi1ELi1ELb1ELc78ELc85EKS1_S1_EviT_PT9_S3_lS5_S3_lPT10_S3_li.private_seg_size, 0
	.set _ZL37rocblas_syrkx_herkx_restricted_kernelIi19rocblas_complex_numIfELi16ELi32ELi8ELi1ELi1ELb1ELc78ELc85EKS1_S1_EviT_PT9_S3_lS5_S3_lPT10_S3_li.uses_vcc, 1
	.set _ZL37rocblas_syrkx_herkx_restricted_kernelIi19rocblas_complex_numIfELi16ELi32ELi8ELi1ELi1ELb1ELc78ELc85EKS1_S1_EviT_PT9_S3_lS5_S3_lPT10_S3_li.uses_flat_scratch, 0
	.set _ZL37rocblas_syrkx_herkx_restricted_kernelIi19rocblas_complex_numIfELi16ELi32ELi8ELi1ELi1ELb1ELc78ELc85EKS1_S1_EviT_PT9_S3_lS5_S3_lPT10_S3_li.has_dyn_sized_stack, 0
	.set _ZL37rocblas_syrkx_herkx_restricted_kernelIi19rocblas_complex_numIfELi16ELi32ELi8ELi1ELi1ELb1ELc78ELc85EKS1_S1_EviT_PT9_S3_lS5_S3_lPT10_S3_li.has_recursion, 0
	.set _ZL37rocblas_syrkx_herkx_restricted_kernelIi19rocblas_complex_numIfELi16ELi32ELi8ELi1ELi1ELb1ELc78ELc85EKS1_S1_EviT_PT9_S3_lS5_S3_lPT10_S3_li.has_indirect_call, 0
	.section	.AMDGPU.csdata,"",@progbits
; Kernel info:
; codeLenInByte = 2100
; TotalNumSgprs: 29
; NumVgprs: 43
; ScratchSize: 0
; MemoryBound: 0
; FloatMode: 240
; IeeeMode: 1
; LDSByteSize: 4096 bytes/workgroup (compile time only)
; SGPRBlocks: 3
; VGPRBlocks: 10
; NumSGPRsForWavesPerEU: 29
; NumVGPRsForWavesPerEU: 43
; Occupancy: 5
; WaveLimiterHint : 0
; COMPUTE_PGM_RSRC2:SCRATCH_EN: 0
; COMPUTE_PGM_RSRC2:USER_SGPR: 6
; COMPUTE_PGM_RSRC2:TRAP_HANDLER: 0
; COMPUTE_PGM_RSRC2:TGID_X_EN: 1
; COMPUTE_PGM_RSRC2:TGID_Y_EN: 1
; COMPUTE_PGM_RSRC2:TGID_Z_EN: 1
; COMPUTE_PGM_RSRC2:TIDIG_COMP_CNT: 1
	.section	.text._ZL37rocblas_syrkx_herkx_restricted_kernelIi19rocblas_complex_numIfELi16ELi32ELi8ELi1ELin1ELb1ELc84ELc76EKS1_S1_EviT_PT9_S3_lS5_S3_lPT10_S3_li,"axG",@progbits,_ZL37rocblas_syrkx_herkx_restricted_kernelIi19rocblas_complex_numIfELi16ELi32ELi8ELi1ELin1ELb1ELc84ELc76EKS1_S1_EviT_PT9_S3_lS5_S3_lPT10_S3_li,comdat
	.globl	_ZL37rocblas_syrkx_herkx_restricted_kernelIi19rocblas_complex_numIfELi16ELi32ELi8ELi1ELin1ELb1ELc84ELc76EKS1_S1_EviT_PT9_S3_lS5_S3_lPT10_S3_li ; -- Begin function _ZL37rocblas_syrkx_herkx_restricted_kernelIi19rocblas_complex_numIfELi16ELi32ELi8ELi1ELin1ELb1ELc84ELc76EKS1_S1_EviT_PT9_S3_lS5_S3_lPT10_S3_li
	.p2align	8
	.type	_ZL37rocblas_syrkx_herkx_restricted_kernelIi19rocblas_complex_numIfELi16ELi32ELi8ELi1ELin1ELb1ELc84ELc76EKS1_S1_EviT_PT9_S3_lS5_S3_lPT10_S3_li,@function
_ZL37rocblas_syrkx_herkx_restricted_kernelIi19rocblas_complex_numIfELi16ELi32ELi8ELi1ELin1ELb1ELc84ELc76EKS1_S1_EviT_PT9_S3_lS5_S3_lPT10_S3_li: ; @_ZL37rocblas_syrkx_herkx_restricted_kernelIi19rocblas_complex_numIfELi16ELi32ELi8ELi1ELin1ELb1ELc84ELc76EKS1_S1_EviT_PT9_S3_lS5_S3_lPT10_S3_li
; %bb.0:
	s_load_dwordx2 s[10:11], s[4:5], 0x0
	s_load_dwordx4 s[0:3], s[4:5], 0x30
	s_lshl_b32 s6, s6, 5
	s_lshl_b32 s7, s7, 5
	s_mov_b32 s9, 0
	s_waitcnt lgkmcnt(0)
	s_cmp_lt_i32 s11, 1
	s_cbranch_scc1 .LBB316_3
; %bb.1:
	v_lshl_add_u32 v4, v1, 4, v0
	v_and_b32_e32 v7, 31, v4
	s_load_dwordx2 s[16:17], s[4:5], 0x8
	s_load_dword s20, s[4:5], 0x10
	s_load_dwordx4 s[12:15], s[4:5], 0x18
	s_load_dword s18, s[4:5], 0x28
	v_lshrrev_b32_e32 v6, 3, v4
	v_and_b32_e32 v9, 7, v0
	v_lshrrev_b32_e32 v4, 5, v4
	v_lshlrev_b32_e32 v8, 3, v7
	v_lshl_or_b32 v11, v4, 8, v8
	v_lshlrev_b32_e32 v8, 3, v9
	v_add_u32_e32 v2, s7, v6
	v_lshl_or_b32 v6, v6, 6, v8
	v_mov_b32_e32 v10, 0
	v_add_u32_e32 v12, 0x800, v6
	v_mov_b32_e32 v6, 0x800
	v_mov_b32_e32 v5, v10
	v_lshl_add_u32 v14, v1, 6, v6
	v_add_u32_e32 v6, s6, v7
	s_waitcnt lgkmcnt(0)
	v_mad_i64_i32 v[2:3], s[18:19], s18, v2, v[9:10]
	v_mad_i64_i32 v[4:5], s[18:19], s20, v6, v[4:5]
	s_mul_i32 s13, s13, s8
	s_mul_hi_u32 s21, s12, s8
	s_add_i32 s13, s21, s13
	s_mul_i32 s12, s12, s8
	s_lshl_b64 s[12:13], s[12:13], 3
	v_lshlrev_b64 v[4:5], 3, v[4:5]
	s_add_u32 s12, s16, s12
	s_addc_u32 s13, s17, s13
	v_add_co_u32_e32 v4, vcc, s12, v4
	s_mul_i32 s1, s1, s8
	s_mul_hi_u32 s12, s0, s8
	v_mov_b32_e32 v6, s13
	s_add_i32 s1, s12, s1
	s_mul_i32 s0, s0, s8
	v_addc_co_u32_e32 v5, vcc, v6, v5, vcc
	s_lshl_b64 s[0:1], s[0:1], 3
	v_add_co_u32_e32 v6, vcc, 4, v4
	v_lshlrev_b64 v[2:3], 3, v[2:3]
	s_add_u32 s0, s14, s0
	v_addc_co_u32_e32 v7, vcc, 0, v5, vcc
	s_addc_u32 s1, s15, s1
	v_mov_b32_e32 v4, s1
	v_add_co_u32_e32 v2, vcc, s0, v2
	v_addc_co_u32_e32 v3, vcc, v4, v3, vcc
	v_add_co_u32_e32 v8, vcc, 4, v2
	v_lshlrev_b32_e32 v13, 3, v0
	v_addc_co_u32_e32 v9, vcc, 0, v3, vcc
	v_mov_b32_e32 v15, v10
	v_mov_b32_e32 v16, v10
	;; [unrolled: 1-line block ×7, first 2 shown]
.LBB316_2:                              ; =>This Inner Loop Header: Depth=1
	global_load_dwordx2 v[2:3], v[6:7], off offset:-4
	v_add_co_u32_e32 v6, vcc, 64, v6
	v_addc_co_u32_e32 v7, vcc, 0, v7, vcc
	s_add_i32 s9, s9, 8
	s_cmp_ge_i32 s9, s11
	s_waitcnt vmcnt(0)
	ds_write_b64 v11, v[2:3]
	global_load_dwordx2 v[2:3], v[8:9], off offset:-4
	v_add_co_u32_e32 v8, vcc, 64, v8
	v_addc_co_u32_e32 v9, vcc, 0, v9, vcc
	s_waitcnt vmcnt(0)
	ds_write_b64 v12, v[2:3]
	s_waitcnt lgkmcnt(0)
	s_barrier
	ds_read_b128 v[22:25], v14
	ds_read_b128 v[26:29], v14 offset:16
	ds_read_b128 v[30:33], v14 offset:32
	ds_read_b128 v[2:5], v14 offset:48
	ds_read2_b64 v[34:37], v13 offset1:16
	s_waitcnt lgkmcnt(0)
	v_mul_f32_e32 v38, v23, v35
	v_mul_f32_e32 v39, v22, v35
	v_fma_f32 v38, v22, v34, -v38
	v_fmac_f32_e32 v39, v23, v34
	v_add_f32_e32 v38, v20, v38
	v_add_f32_e32 v39, v21, v39
	v_mul_f32_e32 v20, v23, v37
	v_mul_f32_e32 v21, v22, v37
	v_fma_f32 v20, v22, v36, -v20
	v_fmac_f32_e32 v21, v23, v36
	v_add_f32_e32 v22, v19, v20
	v_add_f32_e32 v23, v18, v21
	ds_read_b128 v[18:21], v14 offset:1024
	s_waitcnt lgkmcnt(0)
	v_mul_f32_e32 v40, v19, v35
	v_mul_f32_e32 v35, v18, v35
	v_fma_f32 v40, v18, v34, -v40
	v_fmac_f32_e32 v35, v19, v34
	v_add_f32_e32 v34, v17, v40
	v_add_f32_e32 v35, v16, v35
	v_mul_f32_e32 v16, v19, v37
	v_mul_f32_e32 v17, v18, v37
	v_fma_f32 v16, v18, v36, -v16
	v_fmac_f32_e32 v17, v19, v36
	v_add_f32_e32 v19, v15, v16
	v_add_f32_e32 v10, v10, v17
	ds_read2_b64 v[15:18], v13 offset0:32 offset1:48
	s_waitcnt lgkmcnt(0)
	v_mul_f32_e32 v36, v25, v16
	v_fma_f32 v36, v24, v15, -v36
	v_add_f32_e32 v36, v38, v36
	v_mul_f32_e32 v38, v25, v18
	v_mul_f32_e32 v37, v24, v16
	v_fma_f32 v38, v24, v17, -v38
	v_mul_f32_e32 v24, v24, v18
	v_fmac_f32_e32 v24, v25, v17
	v_add_f32_e32 v23, v23, v24
	v_mul_f32_e32 v24, v21, v16
	v_mul_f32_e32 v16, v20, v16
	v_fmac_f32_e32 v16, v21, v15
	v_fmac_f32_e32 v37, v25, v15
	v_fma_f32 v24, v20, v15, -v24
	v_add_f32_e32 v25, v35, v16
	v_mul_f32_e32 v15, v21, v18
	v_mul_f32_e32 v16, v20, v18
	v_fma_f32 v15, v20, v17, -v15
	v_fmac_f32_e32 v16, v21, v17
	v_add_f32_e32 v24, v34, v24
	v_add_f32_e32 v34, v19, v15
	;; [unrolled: 1-line block ×3, first 2 shown]
	ds_read2_b64 v[15:18], v13 offset0:64 offset1:80
	v_add_f32_e32 v37, v39, v37
	v_add_f32_e32 v22, v22, v38
	s_waitcnt lgkmcnt(0)
	v_mul_f32_e32 v19, v27, v16
	v_mul_f32_e32 v20, v26, v16
	v_fma_f32 v19, v26, v15, -v19
	v_fmac_f32_e32 v20, v27, v15
	v_add_f32_e32 v35, v36, v19
	v_add_f32_e32 v36, v37, v20
	v_mul_f32_e32 v19, v27, v18
	v_mul_f32_e32 v20, v26, v18
	v_fma_f32 v19, v26, v17, -v19
	v_fmac_f32_e32 v20, v27, v17
	v_add_f32_e32 v26, v22, v19
	v_add_f32_e32 v23, v23, v20
	ds_read_b128 v[19:22], v14 offset:1040
	s_waitcnt lgkmcnt(0)
	v_mul_f32_e32 v27, v20, v16
	v_mul_f32_e32 v16, v19, v16
	v_fmac_f32_e32 v16, v20, v15
	v_fma_f32 v27, v19, v15, -v27
	v_add_f32_e32 v25, v25, v16
	v_mul_f32_e32 v15, v20, v18
	v_mul_f32_e32 v16, v19, v18
	v_fma_f32 v15, v19, v17, -v15
	v_fmac_f32_e32 v16, v20, v17
	v_add_f32_e32 v19, v34, v15
	v_add_f32_e32 v10, v10, v16
	ds_read2_b64 v[15:18], v13 offset0:96 offset1:112
	v_add_f32_e32 v24, v24, v27
	s_waitcnt lgkmcnt(0)
	v_mul_f32_e32 v20, v29, v16
	v_mul_f32_e32 v34, v29, v18
	v_fma_f32 v20, v28, v15, -v20
	v_mul_f32_e32 v27, v28, v16
	v_fma_f32 v34, v28, v17, -v34
	v_mul_f32_e32 v28, v28, v18
	v_fmac_f32_e32 v28, v29, v17
	v_add_f32_e32 v23, v23, v28
	v_mul_f32_e32 v28, v22, v16
	v_mul_f32_e32 v16, v21, v16
	v_fmac_f32_e32 v16, v22, v15
	v_fmac_f32_e32 v27, v29, v15
	v_fma_f32 v28, v21, v15, -v28
	v_add_f32_e32 v25, v25, v16
	v_mul_f32_e32 v15, v22, v18
	v_mul_f32_e32 v16, v21, v18
	v_fma_f32 v15, v21, v17, -v15
	v_fmac_f32_e32 v16, v22, v17
	v_add_f32_e32 v24, v24, v28
	v_add_f32_e32 v28, v19, v15
	;; [unrolled: 1-line block ×3, first 2 shown]
	ds_read2_b64 v[15:18], v13 offset0:128 offset1:144
	v_add_f32_e32 v20, v35, v20
	v_add_f32_e32 v27, v36, v27
	v_add_f32_e32 v26, v26, v34
	s_waitcnt lgkmcnt(0)
	v_mul_f32_e32 v19, v31, v16
	v_fma_f32 v19, v30, v15, -v19
	v_mul_f32_e32 v21, v30, v16
	v_add_f32_e32 v29, v20, v19
	v_mul_f32_e32 v19, v31, v18
	v_mul_f32_e32 v20, v30, v18
	v_fmac_f32_e32 v21, v31, v15
	v_fma_f32 v19, v30, v17, -v19
	v_fmac_f32_e32 v20, v31, v17
	v_add_f32_e32 v27, v27, v21
	v_add_f32_e32 v26, v26, v19
	;; [unrolled: 1-line block ×3, first 2 shown]
	ds_read_b128 v[19:22], v14 offset:1056
	s_waitcnt lgkmcnt(0)
	v_mul_f32_e32 v30, v20, v16
	v_mul_f32_e32 v16, v19, v16
	v_fmac_f32_e32 v16, v20, v15
	v_fma_f32 v30, v19, v15, -v30
	v_add_f32_e32 v25, v25, v16
	v_mul_f32_e32 v15, v20, v18
	v_mul_f32_e32 v16, v19, v18
	v_fma_f32 v15, v19, v17, -v15
	v_fmac_f32_e32 v16, v20, v17
	v_add_f32_e32 v19, v28, v15
	v_add_f32_e32 v10, v10, v16
	ds_read2_b64 v[15:18], v13 offset0:160 offset1:176
	v_add_f32_e32 v24, v24, v30
	s_waitcnt lgkmcnt(0)
	v_mul_f32_e32 v28, v32, v16
	v_fmac_f32_e32 v28, v33, v15
	v_add_f32_e32 v27, v27, v28
	v_mul_f32_e32 v28, v33, v18
	v_fma_f32 v28, v32, v17, -v28
	v_mul_f32_e32 v20, v33, v16
	v_add_f32_e32 v26, v26, v28
	v_mul_f32_e32 v28, v22, v16
	v_mul_f32_e32 v16, v21, v16
	v_fmac_f32_e32 v16, v22, v15
	v_fma_f32 v20, v32, v15, -v20
	v_fma_f32 v28, v21, v15, -v28
	v_add_f32_e32 v25, v25, v16
	v_mul_f32_e32 v15, v22, v18
	v_mul_f32_e32 v16, v21, v18
	v_add_f32_e32 v20, v29, v20
	v_mul_f32_e32 v29, v32, v18
	v_fma_f32 v15, v21, v17, -v15
	v_fmac_f32_e32 v16, v22, v17
	v_fmac_f32_e32 v29, v33, v17
	v_add_f32_e32 v19, v19, v15
	v_add_f32_e32 v10, v10, v16
	ds_read2_b64 v[15:18], v13 offset0:192 offset1:208
	v_add_f32_e32 v24, v24, v28
	v_add_f32_e32 v23, v23, v29
	s_waitcnt lgkmcnt(0)
	v_mul_f32_e32 v21, v3, v16
	v_fma_f32 v21, v2, v15, -v21
	v_add_f32_e32 v28, v20, v21
	v_mul_f32_e32 v20, v3, v18
	v_mul_f32_e32 v22, v2, v16
	v_fma_f32 v20, v2, v17, -v20
	v_mul_f32_e32 v2, v2, v18
	v_fmac_f32_e32 v22, v3, v15
	v_fmac_f32_e32 v2, v3, v17
	v_add_f32_e32 v29, v27, v22
	v_add_f32_e32 v3, v26, v20
	;; [unrolled: 1-line block ×3, first 2 shown]
	ds_read_b128 v[20:23], v14 offset:1072
	s_waitcnt lgkmcnt(0)
	v_mul_f32_e32 v26, v21, v16
	v_fma_f32 v26, v20, v15, -v26
	v_mul_f32_e32 v16, v20, v16
	v_fmac_f32_e32 v16, v21, v15
	v_add_f32_e32 v15, v24, v26
	v_mul_f32_e32 v24, v21, v18
	v_fma_f32 v24, v20, v17, -v24
	v_add_f32_e32 v16, v25, v16
	v_add_f32_e32 v30, v19, v24
	ds_read2_b64 v[24:27], v13 offset0:224 offset1:240
	v_mul_f32_e32 v18, v20, v18
	v_fmac_f32_e32 v18, v21, v17
	v_add_f32_e32 v10, v10, v18
	s_waitcnt lgkmcnt(0)
	v_mul_f32_e32 v17, v5, v25
	v_fma_f32 v17, v4, v24, -v17
	v_add_f32_e32 v20, v28, v17
	v_mul_f32_e32 v17, v5, v27
	v_mul_f32_e32 v18, v4, v25
	v_fma_f32 v17, v4, v26, -v17
	v_mul_f32_e32 v4, v4, v27
	v_fmac_f32_e32 v18, v5, v24
	v_fmac_f32_e32 v4, v5, v26
	v_add_f32_e32 v21, v29, v18
	v_add_f32_e32 v19, v3, v17
	;; [unrolled: 1-line block ×3, first 2 shown]
	v_mul_f32_e32 v2, v23, v25
	v_mul_f32_e32 v3, v22, v25
	v_fma_f32 v2, v22, v24, -v2
	v_fmac_f32_e32 v3, v23, v24
	v_add_f32_e32 v17, v15, v2
	v_add_f32_e32 v16, v16, v3
	v_mul_f32_e32 v2, v23, v27
	v_mul_f32_e32 v3, v22, v27
	v_fma_f32 v2, v22, v26, -v2
	v_fmac_f32_e32 v3, v23, v26
	v_add_f32_e32 v15, v30, v2
	v_add_f32_e32 v10, v10, v3
	s_barrier
	s_cbranch_scc0 .LBB316_2
	s_branch .LBB316_4
.LBB316_3:
	v_mov_b32_e32 v20, 0
	v_mov_b32_e32 v21, 0
	;; [unrolled: 1-line block ×8, first 2 shown]
.LBB316_4:
	s_load_dwordx2 s[0:1], s[4:5], 0x48
	s_load_dword s9, s[4:5], 0x40
	v_add_u32_e32 v5, s7, v1
	v_add_u32_e32 v0, s6, v0
	s_waitcnt lgkmcnt(0)
	s_mul_i32 s1, s1, s8
	s_mul_hi_u32 s4, s0, s8
	s_add_i32 s1, s4, s1
	v_mad_i64_i32 v[1:2], s[4:5], v5, s9, 0
	s_mul_i32 s0, s0, s8
	s_lshl_b64 s[0:1], s[0:1], 3
	s_add_u32 s7, s2, s0
	v_lshlrev_b64 v[1:2], 3, v[1:2]
	s_addc_u32 s8, s3, s1
	v_mov_b32_e32 v3, s8
	v_add_co_u32_e32 v4, vcc, s7, v1
	v_addc_co_u32_e32 v6, vcc, v3, v2, vcc
	v_cmp_le_i32_e64 s[0:1], v5, v0
	v_cmp_gt_i32_e32 vcc, s10, v0
	s_and_b64 s[0:1], s[0:1], vcc
	s_and_saveexec_b64 s[2:3], s[0:1]
	s_cbranch_execz .LBB316_7
; %bb.5:
	v_ashrrev_i32_e32 v1, 31, v0
	v_lshlrev_b64 v[1:2], 3, v[0:1]
	v_add_co_u32_e64 v1, s[0:1], v4, v1
	v_addc_co_u32_e64 v2, s[0:1], v6, v2, s[0:1]
	global_load_dwordx2 v[7:8], v[1:2], off
	v_cmp_eq_u32_e64 s[0:1], v5, v0
	s_waitcnt vmcnt(0)
	v_sub_f32_e32 v7, v20, v7
	v_sub_f32_e32 v8, v21, v8
	global_store_dwordx2 v[1:2], v[7:8], off
	s_and_b64 exec, exec, s[0:1]
	s_cbranch_execz .LBB316_7
; %bb.6:
	v_mov_b32_e32 v3, 0
	global_store_dword v[1:2], v3, off offset:4
.LBB316_7:
	s_or_b64 exec, exec, s[2:3]
	v_add_u32_e32 v2, 16, v0
	v_cmp_le_i32_e64 s[2:3], v5, v2
	v_cmp_gt_i32_e64 s[0:1], s10, v2
	s_and_b64 s[2:3], s[2:3], s[0:1]
	s_and_saveexec_b64 s[4:5], s[2:3]
	s_cbranch_execz .LBB316_10
; %bb.8:
	v_ashrrev_i32_e32 v3, 31, v2
	v_lshlrev_b64 v[7:8], 3, v[2:3]
	v_add_co_u32_e64 v3, s[2:3], v4, v7
	v_addc_co_u32_e64 v4, s[2:3], v6, v8, s[2:3]
	global_load_dwordx2 v[6:7], v[3:4], off
	v_cmp_eq_u32_e64 s[2:3], v5, v2
	s_waitcnt vmcnt(0)
	v_sub_f32_e32 v6, v19, v6
	v_sub_f32_e32 v7, v18, v7
	global_store_dwordx2 v[3:4], v[6:7], off
	s_and_b64 exec, exec, s[2:3]
	s_cbranch_execz .LBB316_10
; %bb.9:
	v_mov_b32_e32 v1, 0
	global_store_dword v[3:4], v1, off offset:4
.LBB316_10:
	s_or_b64 exec, exec, s[4:5]
	v_add_u32_e32 v8, 16, v5
	v_mad_i64_i32 v[3:4], s[2:3], v8, s9, 0
	v_mov_b32_e32 v1, s8
	v_lshlrev_b64 v[3:4], 3, v[3:4]
	v_add_co_u32_e64 v6, s[2:3], s7, v3
	v_addc_co_u32_e64 v7, s[2:3], v1, v4, s[2:3]
	v_cmp_le_i32_e64 s[2:3], v8, v0
	s_and_b64 s[4:5], s[2:3], vcc
	s_and_saveexec_b64 s[2:3], s[4:5]
	s_cbranch_execz .LBB316_13
; %bb.11:
	v_ashrrev_i32_e32 v1, 31, v0
	v_lshlrev_b64 v[3:4], 3, v[0:1]
	v_add_co_u32_e32 v3, vcc, v6, v3
	v_addc_co_u32_e32 v4, vcc, v7, v4, vcc
	global_load_dwordx2 v[11:12], v[3:4], off
	v_cmp_eq_u32_e32 vcc, v8, v0
	s_waitcnt vmcnt(0)
	v_sub_f32_e32 v11, v17, v11
	v_sub_f32_e32 v12, v16, v12
	global_store_dwordx2 v[3:4], v[11:12], off
	s_and_b64 exec, exec, vcc
	s_cbranch_execz .LBB316_13
; %bb.12:
	v_mov_b32_e32 v1, 0
	global_store_dword v[3:4], v1, off offset:4
.LBB316_13:
	s_or_b64 exec, exec, s[2:3]
	v_cmp_le_i32_e32 vcc, v8, v2
	s_and_b64 s[0:1], vcc, s[0:1]
	s_and_saveexec_b64 s[2:3], s[0:1]
	s_cbranch_execz .LBB316_16
; %bb.14:
	v_ashrrev_i32_e32 v3, 31, v2
	v_lshlrev_b64 v[1:2], 3, v[2:3]
	v_add_co_u32_e32 v1, vcc, v6, v1
	v_addc_co_u32_e32 v2, vcc, v7, v2, vcc
	global_load_dwordx2 v[3:4], v[1:2], off
	v_cmp_eq_u32_e32 vcc, v5, v0
	s_waitcnt vmcnt(0)
	v_sub_f32_e32 v3, v15, v3
	v_sub_f32_e32 v4, v10, v4
	global_store_dwordx2 v[1:2], v[3:4], off
	s_and_b64 exec, exec, vcc
	s_cbranch_execz .LBB316_16
; %bb.15:
	v_mov_b32_e32 v0, 0
	global_store_dword v[1:2], v0, off offset:4
.LBB316_16:
	s_endpgm
	.section	.rodata,"a",@progbits
	.p2align	6, 0x0
	.amdhsa_kernel _ZL37rocblas_syrkx_herkx_restricted_kernelIi19rocblas_complex_numIfELi16ELi32ELi8ELi1ELin1ELb1ELc84ELc76EKS1_S1_EviT_PT9_S3_lS5_S3_lPT10_S3_li
		.amdhsa_group_segment_fixed_size 4096
		.amdhsa_private_segment_fixed_size 0
		.amdhsa_kernarg_size 84
		.amdhsa_user_sgpr_count 6
		.amdhsa_user_sgpr_private_segment_buffer 1
		.amdhsa_user_sgpr_dispatch_ptr 0
		.amdhsa_user_sgpr_queue_ptr 0
		.amdhsa_user_sgpr_kernarg_segment_ptr 1
		.amdhsa_user_sgpr_dispatch_id 0
		.amdhsa_user_sgpr_flat_scratch_init 0
		.amdhsa_user_sgpr_private_segment_size 0
		.amdhsa_uses_dynamic_stack 0
		.amdhsa_system_sgpr_private_segment_wavefront_offset 0
		.amdhsa_system_sgpr_workgroup_id_x 1
		.amdhsa_system_sgpr_workgroup_id_y 1
		.amdhsa_system_sgpr_workgroup_id_z 1
		.amdhsa_system_sgpr_workgroup_info 0
		.amdhsa_system_vgpr_workitem_id 1
		.amdhsa_next_free_vgpr 41
		.amdhsa_next_free_sgpr 22
		.amdhsa_reserve_vcc 1
		.amdhsa_reserve_flat_scratch 0
		.amdhsa_float_round_mode_32 0
		.amdhsa_float_round_mode_16_64 0
		.amdhsa_float_denorm_mode_32 3
		.amdhsa_float_denorm_mode_16_64 3
		.amdhsa_dx10_clamp 1
		.amdhsa_ieee_mode 1
		.amdhsa_fp16_overflow 0
		.amdhsa_exception_fp_ieee_invalid_op 0
		.amdhsa_exception_fp_denorm_src 0
		.amdhsa_exception_fp_ieee_div_zero 0
		.amdhsa_exception_fp_ieee_overflow 0
		.amdhsa_exception_fp_ieee_underflow 0
		.amdhsa_exception_fp_ieee_inexact 0
		.amdhsa_exception_int_div_zero 0
	.end_amdhsa_kernel
	.section	.text._ZL37rocblas_syrkx_herkx_restricted_kernelIi19rocblas_complex_numIfELi16ELi32ELi8ELi1ELin1ELb1ELc84ELc76EKS1_S1_EviT_PT9_S3_lS5_S3_lPT10_S3_li,"axG",@progbits,_ZL37rocblas_syrkx_herkx_restricted_kernelIi19rocblas_complex_numIfELi16ELi32ELi8ELi1ELin1ELb1ELc84ELc76EKS1_S1_EviT_PT9_S3_lS5_S3_lPT10_S3_li,comdat
.Lfunc_end316:
	.size	_ZL37rocblas_syrkx_herkx_restricted_kernelIi19rocblas_complex_numIfELi16ELi32ELi8ELi1ELin1ELb1ELc84ELc76EKS1_S1_EviT_PT9_S3_lS5_S3_lPT10_S3_li, .Lfunc_end316-_ZL37rocblas_syrkx_herkx_restricted_kernelIi19rocblas_complex_numIfELi16ELi32ELi8ELi1ELin1ELb1ELc84ELc76EKS1_S1_EviT_PT9_S3_lS5_S3_lPT10_S3_li
                                        ; -- End function
	.set _ZL37rocblas_syrkx_herkx_restricted_kernelIi19rocblas_complex_numIfELi16ELi32ELi8ELi1ELin1ELb1ELc84ELc76EKS1_S1_EviT_PT9_S3_lS5_S3_lPT10_S3_li.num_vgpr, 41
	.set _ZL37rocblas_syrkx_herkx_restricted_kernelIi19rocblas_complex_numIfELi16ELi32ELi8ELi1ELin1ELb1ELc84ELc76EKS1_S1_EviT_PT9_S3_lS5_S3_lPT10_S3_li.num_agpr, 0
	.set _ZL37rocblas_syrkx_herkx_restricted_kernelIi19rocblas_complex_numIfELi16ELi32ELi8ELi1ELin1ELb1ELc84ELc76EKS1_S1_EviT_PT9_S3_lS5_S3_lPT10_S3_li.numbered_sgpr, 22
	.set _ZL37rocblas_syrkx_herkx_restricted_kernelIi19rocblas_complex_numIfELi16ELi32ELi8ELi1ELin1ELb1ELc84ELc76EKS1_S1_EviT_PT9_S3_lS5_S3_lPT10_S3_li.num_named_barrier, 0
	.set _ZL37rocblas_syrkx_herkx_restricted_kernelIi19rocblas_complex_numIfELi16ELi32ELi8ELi1ELin1ELb1ELc84ELc76EKS1_S1_EviT_PT9_S3_lS5_S3_lPT10_S3_li.private_seg_size, 0
	.set _ZL37rocblas_syrkx_herkx_restricted_kernelIi19rocblas_complex_numIfELi16ELi32ELi8ELi1ELin1ELb1ELc84ELc76EKS1_S1_EviT_PT9_S3_lS5_S3_lPT10_S3_li.uses_vcc, 1
	.set _ZL37rocblas_syrkx_herkx_restricted_kernelIi19rocblas_complex_numIfELi16ELi32ELi8ELi1ELin1ELb1ELc84ELc76EKS1_S1_EviT_PT9_S3_lS5_S3_lPT10_S3_li.uses_flat_scratch, 0
	.set _ZL37rocblas_syrkx_herkx_restricted_kernelIi19rocblas_complex_numIfELi16ELi32ELi8ELi1ELin1ELb1ELc84ELc76EKS1_S1_EviT_PT9_S3_lS5_S3_lPT10_S3_li.has_dyn_sized_stack, 0
	.set _ZL37rocblas_syrkx_herkx_restricted_kernelIi19rocblas_complex_numIfELi16ELi32ELi8ELi1ELin1ELb1ELc84ELc76EKS1_S1_EviT_PT9_S3_lS5_S3_lPT10_S3_li.has_recursion, 0
	.set _ZL37rocblas_syrkx_herkx_restricted_kernelIi19rocblas_complex_numIfELi16ELi32ELi8ELi1ELin1ELb1ELc84ELc76EKS1_S1_EviT_PT9_S3_lS5_S3_lPT10_S3_li.has_indirect_call, 0
	.section	.AMDGPU.csdata,"",@progbits
; Kernel info:
; codeLenInByte = 2056
; TotalNumSgprs: 26
; NumVgprs: 41
; ScratchSize: 0
; MemoryBound: 0
; FloatMode: 240
; IeeeMode: 1
; LDSByteSize: 4096 bytes/workgroup (compile time only)
; SGPRBlocks: 3
; VGPRBlocks: 10
; NumSGPRsForWavesPerEU: 26
; NumVGPRsForWavesPerEU: 41
; Occupancy: 5
; WaveLimiterHint : 0
; COMPUTE_PGM_RSRC2:SCRATCH_EN: 0
; COMPUTE_PGM_RSRC2:USER_SGPR: 6
; COMPUTE_PGM_RSRC2:TRAP_HANDLER: 0
; COMPUTE_PGM_RSRC2:TGID_X_EN: 1
; COMPUTE_PGM_RSRC2:TGID_Y_EN: 1
; COMPUTE_PGM_RSRC2:TGID_Z_EN: 1
; COMPUTE_PGM_RSRC2:TIDIG_COMP_CNT: 1
	.section	.text._ZL37rocblas_syrkx_herkx_restricted_kernelIi19rocblas_complex_numIfELi16ELi32ELi8ELi1ELin1ELb1ELc67ELc76EKS1_S1_EviT_PT9_S3_lS5_S3_lPT10_S3_li,"axG",@progbits,_ZL37rocblas_syrkx_herkx_restricted_kernelIi19rocblas_complex_numIfELi16ELi32ELi8ELi1ELin1ELb1ELc67ELc76EKS1_S1_EviT_PT9_S3_lS5_S3_lPT10_S3_li,comdat
	.globl	_ZL37rocblas_syrkx_herkx_restricted_kernelIi19rocblas_complex_numIfELi16ELi32ELi8ELi1ELin1ELb1ELc67ELc76EKS1_S1_EviT_PT9_S3_lS5_S3_lPT10_S3_li ; -- Begin function _ZL37rocblas_syrkx_herkx_restricted_kernelIi19rocblas_complex_numIfELi16ELi32ELi8ELi1ELin1ELb1ELc67ELc76EKS1_S1_EviT_PT9_S3_lS5_S3_lPT10_S3_li
	.p2align	8
	.type	_ZL37rocblas_syrkx_herkx_restricted_kernelIi19rocblas_complex_numIfELi16ELi32ELi8ELi1ELin1ELb1ELc67ELc76EKS1_S1_EviT_PT9_S3_lS5_S3_lPT10_S3_li,@function
_ZL37rocblas_syrkx_herkx_restricted_kernelIi19rocblas_complex_numIfELi16ELi32ELi8ELi1ELin1ELb1ELc67ELc76EKS1_S1_EviT_PT9_S3_lS5_S3_lPT10_S3_li: ; @_ZL37rocblas_syrkx_herkx_restricted_kernelIi19rocblas_complex_numIfELi16ELi32ELi8ELi1ELin1ELb1ELc67ELc76EKS1_S1_EviT_PT9_S3_lS5_S3_lPT10_S3_li
; %bb.0:
	s_load_dwordx2 s[10:11], s[4:5], 0x0
	s_load_dwordx4 s[0:3], s[4:5], 0x30
	s_lshl_b32 s6, s6, 5
	s_lshl_b32 s7, s7, 5
	s_mov_b32 s9, 0
	s_waitcnt lgkmcnt(0)
	s_cmp_lt_i32 s11, 1
	s_cbranch_scc1 .LBB317_3
; %bb.1:
	v_lshl_add_u32 v4, v1, 4, v0
	v_and_b32_e32 v7, 31, v4
	s_load_dwordx2 s[16:17], s[4:5], 0x8
	s_load_dword s20, s[4:5], 0x10
	s_load_dwordx4 s[12:15], s[4:5], 0x18
	s_load_dword s18, s[4:5], 0x28
	v_lshrrev_b32_e32 v6, 3, v4
	v_and_b32_e32 v9, 7, v0
	v_lshrrev_b32_e32 v4, 5, v4
	v_lshlrev_b32_e32 v8, 3, v7
	v_lshl_or_b32 v11, v4, 8, v8
	v_lshlrev_b32_e32 v8, 3, v9
	v_add_u32_e32 v2, s7, v6
	v_lshl_or_b32 v6, v6, 6, v8
	v_mov_b32_e32 v10, 0
	v_add_u32_e32 v12, 0x800, v6
	v_mov_b32_e32 v6, 0x800
	v_mov_b32_e32 v5, v10
	v_lshl_add_u32 v14, v1, 6, v6
	v_add_u32_e32 v6, s6, v7
	s_waitcnt lgkmcnt(0)
	v_mad_i64_i32 v[2:3], s[18:19], s18, v2, v[9:10]
	v_mad_i64_i32 v[4:5], s[18:19], s20, v6, v[4:5]
	s_mul_i32 s13, s13, s8
	s_mul_hi_u32 s21, s12, s8
	s_add_i32 s13, s21, s13
	s_mul_i32 s12, s12, s8
	s_lshl_b64 s[12:13], s[12:13], 3
	v_lshlrev_b64 v[4:5], 3, v[4:5]
	s_add_u32 s12, s16, s12
	s_addc_u32 s13, s17, s13
	v_add_co_u32_e32 v4, vcc, s12, v4
	s_mul_i32 s1, s1, s8
	s_mul_hi_u32 s12, s0, s8
	v_mov_b32_e32 v6, s13
	s_add_i32 s1, s12, s1
	s_mul_i32 s0, s0, s8
	v_addc_co_u32_e32 v5, vcc, v6, v5, vcc
	s_lshl_b64 s[0:1], s[0:1], 3
	v_add_co_u32_e32 v6, vcc, 4, v4
	v_lshlrev_b64 v[2:3], 3, v[2:3]
	s_add_u32 s0, s14, s0
	v_addc_co_u32_e32 v7, vcc, 0, v5, vcc
	s_addc_u32 s1, s15, s1
	v_mov_b32_e32 v4, s1
	v_add_co_u32_e32 v2, vcc, s0, v2
	v_addc_co_u32_e32 v3, vcc, v4, v3, vcc
	v_add_co_u32_e32 v8, vcc, 4, v2
	v_lshlrev_b32_e32 v13, 3, v0
	v_addc_co_u32_e32 v9, vcc, 0, v3, vcc
	v_mov_b32_e32 v15, v10
	v_mov_b32_e32 v16, v10
	;; [unrolled: 1-line block ×7, first 2 shown]
.LBB317_2:                              ; =>This Inner Loop Header: Depth=1
	global_load_dwordx2 v[2:3], v[6:7], off offset:-4
	v_add_co_u32_e32 v6, vcc, 64, v6
	v_addc_co_u32_e32 v7, vcc, 0, v7, vcc
	s_add_i32 s9, s9, 8
	s_cmp_ge_i32 s9, s11
	s_waitcnt vmcnt(0)
	v_xor_b32_e32 v3, 0x80000000, v3
	ds_write_b64 v11, v[2:3]
	global_load_dwordx2 v[2:3], v[8:9], off offset:-4
	v_add_co_u32_e32 v8, vcc, 64, v8
	v_addc_co_u32_e32 v9, vcc, 0, v9, vcc
	s_waitcnt vmcnt(0)
	ds_write_b64 v12, v[2:3]
	s_waitcnt lgkmcnt(0)
	s_barrier
	ds_read_b128 v[22:25], v14
	ds_read_b128 v[26:29], v14 offset:16
	ds_read_b128 v[30:33], v14 offset:32
	;; [unrolled: 1-line block ×3, first 2 shown]
	ds_read2_b64 v[34:37], v13 offset1:16
	s_waitcnt lgkmcnt(0)
	v_mul_f32_e32 v38, v23, v35
	v_mul_f32_e32 v39, v22, v35
	v_fma_f32 v38, v22, v34, -v38
	v_fmac_f32_e32 v39, v23, v34
	v_add_f32_e32 v38, v20, v38
	v_add_f32_e32 v39, v21, v39
	v_mul_f32_e32 v20, v23, v37
	v_mul_f32_e32 v21, v22, v37
	v_fma_f32 v20, v22, v36, -v20
	v_fmac_f32_e32 v21, v23, v36
	v_add_f32_e32 v22, v19, v20
	v_add_f32_e32 v23, v18, v21
	ds_read_b128 v[18:21], v14 offset:1024
	s_waitcnt lgkmcnt(0)
	v_mul_f32_e32 v40, v19, v35
	v_mul_f32_e32 v35, v18, v35
	v_fma_f32 v40, v18, v34, -v40
	v_fmac_f32_e32 v35, v19, v34
	v_add_f32_e32 v34, v17, v40
	v_add_f32_e32 v35, v16, v35
	v_mul_f32_e32 v16, v19, v37
	v_mul_f32_e32 v17, v18, v37
	v_fma_f32 v16, v18, v36, -v16
	v_fmac_f32_e32 v17, v19, v36
	v_add_f32_e32 v19, v15, v16
	v_add_f32_e32 v10, v10, v17
	ds_read2_b64 v[15:18], v13 offset0:32 offset1:48
	s_waitcnt lgkmcnt(0)
	v_mul_f32_e32 v36, v25, v16
	v_fma_f32 v36, v24, v15, -v36
	v_add_f32_e32 v36, v38, v36
	v_mul_f32_e32 v38, v25, v18
	v_mul_f32_e32 v37, v24, v16
	v_fma_f32 v38, v24, v17, -v38
	v_mul_f32_e32 v24, v24, v18
	v_fmac_f32_e32 v24, v25, v17
	v_add_f32_e32 v23, v23, v24
	v_mul_f32_e32 v24, v21, v16
	v_mul_f32_e32 v16, v20, v16
	v_fmac_f32_e32 v16, v21, v15
	v_fmac_f32_e32 v37, v25, v15
	v_fma_f32 v24, v20, v15, -v24
	v_add_f32_e32 v25, v35, v16
	v_mul_f32_e32 v15, v21, v18
	v_mul_f32_e32 v16, v20, v18
	v_fma_f32 v15, v20, v17, -v15
	v_fmac_f32_e32 v16, v21, v17
	v_add_f32_e32 v24, v34, v24
	v_add_f32_e32 v34, v19, v15
	;; [unrolled: 1-line block ×3, first 2 shown]
	ds_read2_b64 v[15:18], v13 offset0:64 offset1:80
	v_add_f32_e32 v37, v39, v37
	v_add_f32_e32 v22, v22, v38
	s_waitcnt lgkmcnt(0)
	v_mul_f32_e32 v19, v27, v16
	v_mul_f32_e32 v20, v26, v16
	v_fma_f32 v19, v26, v15, -v19
	v_fmac_f32_e32 v20, v27, v15
	v_add_f32_e32 v35, v36, v19
	v_add_f32_e32 v36, v37, v20
	v_mul_f32_e32 v19, v27, v18
	v_mul_f32_e32 v20, v26, v18
	v_fma_f32 v19, v26, v17, -v19
	v_fmac_f32_e32 v20, v27, v17
	v_add_f32_e32 v26, v22, v19
	v_add_f32_e32 v23, v23, v20
	ds_read_b128 v[19:22], v14 offset:1040
	s_waitcnt lgkmcnt(0)
	v_mul_f32_e32 v27, v20, v16
	v_mul_f32_e32 v16, v19, v16
	v_fmac_f32_e32 v16, v20, v15
	v_fma_f32 v27, v19, v15, -v27
	v_add_f32_e32 v25, v25, v16
	v_mul_f32_e32 v15, v20, v18
	v_mul_f32_e32 v16, v19, v18
	v_fma_f32 v15, v19, v17, -v15
	v_fmac_f32_e32 v16, v20, v17
	v_add_f32_e32 v19, v34, v15
	v_add_f32_e32 v10, v10, v16
	ds_read2_b64 v[15:18], v13 offset0:96 offset1:112
	v_add_f32_e32 v24, v24, v27
	s_waitcnt lgkmcnt(0)
	v_mul_f32_e32 v20, v29, v16
	v_mul_f32_e32 v34, v29, v18
	v_fma_f32 v20, v28, v15, -v20
	v_mul_f32_e32 v27, v28, v16
	v_fma_f32 v34, v28, v17, -v34
	v_mul_f32_e32 v28, v28, v18
	v_fmac_f32_e32 v28, v29, v17
	v_add_f32_e32 v23, v23, v28
	v_mul_f32_e32 v28, v22, v16
	v_mul_f32_e32 v16, v21, v16
	v_fmac_f32_e32 v16, v22, v15
	v_fmac_f32_e32 v27, v29, v15
	v_fma_f32 v28, v21, v15, -v28
	v_add_f32_e32 v25, v25, v16
	v_mul_f32_e32 v15, v22, v18
	v_mul_f32_e32 v16, v21, v18
	v_fma_f32 v15, v21, v17, -v15
	v_fmac_f32_e32 v16, v22, v17
	v_add_f32_e32 v24, v24, v28
	v_add_f32_e32 v28, v19, v15
	;; [unrolled: 1-line block ×3, first 2 shown]
	ds_read2_b64 v[15:18], v13 offset0:128 offset1:144
	v_add_f32_e32 v20, v35, v20
	v_add_f32_e32 v27, v36, v27
	;; [unrolled: 1-line block ×3, first 2 shown]
	s_waitcnt lgkmcnt(0)
	v_mul_f32_e32 v19, v31, v16
	v_fma_f32 v19, v30, v15, -v19
	v_mul_f32_e32 v21, v30, v16
	v_add_f32_e32 v29, v20, v19
	v_mul_f32_e32 v19, v31, v18
	v_mul_f32_e32 v20, v30, v18
	v_fmac_f32_e32 v21, v31, v15
	v_fma_f32 v19, v30, v17, -v19
	v_fmac_f32_e32 v20, v31, v17
	v_add_f32_e32 v27, v27, v21
	v_add_f32_e32 v26, v26, v19
	;; [unrolled: 1-line block ×3, first 2 shown]
	ds_read_b128 v[19:22], v14 offset:1056
	s_waitcnt lgkmcnt(0)
	v_mul_f32_e32 v30, v20, v16
	v_mul_f32_e32 v16, v19, v16
	v_fmac_f32_e32 v16, v20, v15
	v_fma_f32 v30, v19, v15, -v30
	v_add_f32_e32 v25, v25, v16
	v_mul_f32_e32 v15, v20, v18
	v_mul_f32_e32 v16, v19, v18
	v_fma_f32 v15, v19, v17, -v15
	v_fmac_f32_e32 v16, v20, v17
	v_add_f32_e32 v19, v28, v15
	v_add_f32_e32 v10, v10, v16
	ds_read2_b64 v[15:18], v13 offset0:160 offset1:176
	v_add_f32_e32 v24, v24, v30
	s_waitcnt lgkmcnt(0)
	v_mul_f32_e32 v28, v32, v16
	v_fmac_f32_e32 v28, v33, v15
	v_add_f32_e32 v27, v27, v28
	v_mul_f32_e32 v28, v33, v18
	v_fma_f32 v28, v32, v17, -v28
	v_mul_f32_e32 v20, v33, v16
	v_add_f32_e32 v26, v26, v28
	v_mul_f32_e32 v28, v22, v16
	v_mul_f32_e32 v16, v21, v16
	v_fmac_f32_e32 v16, v22, v15
	v_fma_f32 v20, v32, v15, -v20
	v_fma_f32 v28, v21, v15, -v28
	v_add_f32_e32 v25, v25, v16
	v_mul_f32_e32 v15, v22, v18
	v_mul_f32_e32 v16, v21, v18
	v_add_f32_e32 v20, v29, v20
	v_mul_f32_e32 v29, v32, v18
	v_fma_f32 v15, v21, v17, -v15
	v_fmac_f32_e32 v16, v22, v17
	v_fmac_f32_e32 v29, v33, v17
	v_add_f32_e32 v19, v19, v15
	v_add_f32_e32 v10, v10, v16
	ds_read2_b64 v[15:18], v13 offset0:192 offset1:208
	v_add_f32_e32 v24, v24, v28
	v_add_f32_e32 v23, v23, v29
	s_waitcnt lgkmcnt(0)
	v_mul_f32_e32 v21, v3, v16
	v_fma_f32 v21, v2, v15, -v21
	v_add_f32_e32 v28, v20, v21
	v_mul_f32_e32 v20, v3, v18
	v_mul_f32_e32 v22, v2, v16
	v_fma_f32 v20, v2, v17, -v20
	v_mul_f32_e32 v2, v2, v18
	v_fmac_f32_e32 v22, v3, v15
	v_fmac_f32_e32 v2, v3, v17
	v_add_f32_e32 v29, v27, v22
	v_add_f32_e32 v3, v26, v20
	;; [unrolled: 1-line block ×3, first 2 shown]
	ds_read_b128 v[20:23], v14 offset:1072
	s_waitcnt lgkmcnt(0)
	v_mul_f32_e32 v26, v21, v16
	v_fma_f32 v26, v20, v15, -v26
	v_mul_f32_e32 v16, v20, v16
	v_fmac_f32_e32 v16, v21, v15
	v_add_f32_e32 v15, v24, v26
	v_mul_f32_e32 v24, v21, v18
	v_fma_f32 v24, v20, v17, -v24
	v_add_f32_e32 v16, v25, v16
	v_add_f32_e32 v30, v19, v24
	ds_read2_b64 v[24:27], v13 offset0:224 offset1:240
	v_mul_f32_e32 v18, v20, v18
	v_fmac_f32_e32 v18, v21, v17
	v_add_f32_e32 v10, v10, v18
	s_waitcnt lgkmcnt(0)
	v_mul_f32_e32 v17, v5, v25
	v_fma_f32 v17, v4, v24, -v17
	v_add_f32_e32 v20, v28, v17
	v_mul_f32_e32 v17, v5, v27
	v_mul_f32_e32 v18, v4, v25
	v_fma_f32 v17, v4, v26, -v17
	v_mul_f32_e32 v4, v4, v27
	v_fmac_f32_e32 v18, v5, v24
	v_fmac_f32_e32 v4, v5, v26
	v_add_f32_e32 v21, v29, v18
	v_add_f32_e32 v19, v3, v17
	;; [unrolled: 1-line block ×3, first 2 shown]
	v_mul_f32_e32 v2, v23, v25
	v_mul_f32_e32 v3, v22, v25
	v_fma_f32 v2, v22, v24, -v2
	v_fmac_f32_e32 v3, v23, v24
	v_add_f32_e32 v17, v15, v2
	v_add_f32_e32 v16, v16, v3
	v_mul_f32_e32 v2, v23, v27
	v_mul_f32_e32 v3, v22, v27
	v_fma_f32 v2, v22, v26, -v2
	v_fmac_f32_e32 v3, v23, v26
	v_add_f32_e32 v15, v30, v2
	v_add_f32_e32 v10, v10, v3
	s_barrier
	s_cbranch_scc0 .LBB317_2
	s_branch .LBB317_4
.LBB317_3:
	v_mov_b32_e32 v20, 0
	v_mov_b32_e32 v21, 0
	;; [unrolled: 1-line block ×8, first 2 shown]
.LBB317_4:
	s_load_dwordx2 s[0:1], s[4:5], 0x48
	s_load_dword s9, s[4:5], 0x40
	v_add_u32_e32 v5, s7, v1
	v_add_u32_e32 v0, s6, v0
	s_waitcnt lgkmcnt(0)
	s_mul_i32 s1, s1, s8
	s_mul_hi_u32 s4, s0, s8
	s_add_i32 s1, s4, s1
	v_mad_i64_i32 v[1:2], s[4:5], v5, s9, 0
	s_mul_i32 s0, s0, s8
	s_lshl_b64 s[0:1], s[0:1], 3
	s_add_u32 s7, s2, s0
	v_lshlrev_b64 v[1:2], 3, v[1:2]
	s_addc_u32 s8, s3, s1
	v_mov_b32_e32 v3, s8
	v_add_co_u32_e32 v4, vcc, s7, v1
	v_addc_co_u32_e32 v6, vcc, v3, v2, vcc
	v_cmp_le_i32_e64 s[0:1], v5, v0
	v_cmp_gt_i32_e32 vcc, s10, v0
	s_and_b64 s[0:1], s[0:1], vcc
	s_and_saveexec_b64 s[2:3], s[0:1]
	s_cbranch_execz .LBB317_7
; %bb.5:
	v_ashrrev_i32_e32 v1, 31, v0
	v_lshlrev_b64 v[1:2], 3, v[0:1]
	v_add_co_u32_e64 v1, s[0:1], v4, v1
	v_addc_co_u32_e64 v2, s[0:1], v6, v2, s[0:1]
	global_load_dwordx2 v[7:8], v[1:2], off
	v_cmp_eq_u32_e64 s[0:1], v5, v0
	s_waitcnt vmcnt(0)
	v_sub_f32_e32 v7, v20, v7
	v_sub_f32_e32 v8, v21, v8
	global_store_dwordx2 v[1:2], v[7:8], off
	s_and_b64 exec, exec, s[0:1]
	s_cbranch_execz .LBB317_7
; %bb.6:
	v_mov_b32_e32 v3, 0
	global_store_dword v[1:2], v3, off offset:4
.LBB317_7:
	s_or_b64 exec, exec, s[2:3]
	v_add_u32_e32 v2, 16, v0
	v_cmp_le_i32_e64 s[2:3], v5, v2
	v_cmp_gt_i32_e64 s[0:1], s10, v2
	s_and_b64 s[2:3], s[2:3], s[0:1]
	s_and_saveexec_b64 s[4:5], s[2:3]
	s_cbranch_execz .LBB317_10
; %bb.8:
	v_ashrrev_i32_e32 v3, 31, v2
	v_lshlrev_b64 v[7:8], 3, v[2:3]
	v_add_co_u32_e64 v3, s[2:3], v4, v7
	v_addc_co_u32_e64 v4, s[2:3], v6, v8, s[2:3]
	global_load_dwordx2 v[6:7], v[3:4], off
	v_cmp_eq_u32_e64 s[2:3], v5, v2
	s_waitcnt vmcnt(0)
	v_sub_f32_e32 v6, v19, v6
	v_sub_f32_e32 v7, v18, v7
	global_store_dwordx2 v[3:4], v[6:7], off
	s_and_b64 exec, exec, s[2:3]
	s_cbranch_execz .LBB317_10
; %bb.9:
	v_mov_b32_e32 v1, 0
	global_store_dword v[3:4], v1, off offset:4
.LBB317_10:
	s_or_b64 exec, exec, s[4:5]
	v_add_u32_e32 v8, 16, v5
	v_mad_i64_i32 v[3:4], s[2:3], v8, s9, 0
	v_mov_b32_e32 v1, s8
	v_lshlrev_b64 v[3:4], 3, v[3:4]
	v_add_co_u32_e64 v6, s[2:3], s7, v3
	v_addc_co_u32_e64 v7, s[2:3], v1, v4, s[2:3]
	v_cmp_le_i32_e64 s[2:3], v8, v0
	s_and_b64 s[4:5], s[2:3], vcc
	s_and_saveexec_b64 s[2:3], s[4:5]
	s_cbranch_execz .LBB317_13
; %bb.11:
	v_ashrrev_i32_e32 v1, 31, v0
	v_lshlrev_b64 v[3:4], 3, v[0:1]
	v_add_co_u32_e32 v3, vcc, v6, v3
	v_addc_co_u32_e32 v4, vcc, v7, v4, vcc
	global_load_dwordx2 v[11:12], v[3:4], off
	v_cmp_eq_u32_e32 vcc, v8, v0
	s_waitcnt vmcnt(0)
	v_sub_f32_e32 v11, v17, v11
	v_sub_f32_e32 v12, v16, v12
	global_store_dwordx2 v[3:4], v[11:12], off
	s_and_b64 exec, exec, vcc
	s_cbranch_execz .LBB317_13
; %bb.12:
	v_mov_b32_e32 v1, 0
	global_store_dword v[3:4], v1, off offset:4
.LBB317_13:
	s_or_b64 exec, exec, s[2:3]
	v_cmp_le_i32_e32 vcc, v8, v2
	s_and_b64 s[0:1], vcc, s[0:1]
	s_and_saveexec_b64 s[2:3], s[0:1]
	s_cbranch_execz .LBB317_16
; %bb.14:
	v_ashrrev_i32_e32 v3, 31, v2
	v_lshlrev_b64 v[1:2], 3, v[2:3]
	v_add_co_u32_e32 v1, vcc, v6, v1
	v_addc_co_u32_e32 v2, vcc, v7, v2, vcc
	global_load_dwordx2 v[3:4], v[1:2], off
	v_cmp_eq_u32_e32 vcc, v5, v0
	s_waitcnt vmcnt(0)
	v_sub_f32_e32 v3, v15, v3
	v_sub_f32_e32 v4, v10, v4
	global_store_dwordx2 v[1:2], v[3:4], off
	s_and_b64 exec, exec, vcc
	s_cbranch_execz .LBB317_16
; %bb.15:
	v_mov_b32_e32 v0, 0
	global_store_dword v[1:2], v0, off offset:4
.LBB317_16:
	s_endpgm
	.section	.rodata,"a",@progbits
	.p2align	6, 0x0
	.amdhsa_kernel _ZL37rocblas_syrkx_herkx_restricted_kernelIi19rocblas_complex_numIfELi16ELi32ELi8ELi1ELin1ELb1ELc67ELc76EKS1_S1_EviT_PT9_S3_lS5_S3_lPT10_S3_li
		.amdhsa_group_segment_fixed_size 4096
		.amdhsa_private_segment_fixed_size 0
		.amdhsa_kernarg_size 84
		.amdhsa_user_sgpr_count 6
		.amdhsa_user_sgpr_private_segment_buffer 1
		.amdhsa_user_sgpr_dispatch_ptr 0
		.amdhsa_user_sgpr_queue_ptr 0
		.amdhsa_user_sgpr_kernarg_segment_ptr 1
		.amdhsa_user_sgpr_dispatch_id 0
		.amdhsa_user_sgpr_flat_scratch_init 0
		.amdhsa_user_sgpr_private_segment_size 0
		.amdhsa_uses_dynamic_stack 0
		.amdhsa_system_sgpr_private_segment_wavefront_offset 0
		.amdhsa_system_sgpr_workgroup_id_x 1
		.amdhsa_system_sgpr_workgroup_id_y 1
		.amdhsa_system_sgpr_workgroup_id_z 1
		.amdhsa_system_sgpr_workgroup_info 0
		.amdhsa_system_vgpr_workitem_id 1
		.amdhsa_next_free_vgpr 41
		.amdhsa_next_free_sgpr 22
		.amdhsa_reserve_vcc 1
		.amdhsa_reserve_flat_scratch 0
		.amdhsa_float_round_mode_32 0
		.amdhsa_float_round_mode_16_64 0
		.amdhsa_float_denorm_mode_32 3
		.amdhsa_float_denorm_mode_16_64 3
		.amdhsa_dx10_clamp 1
		.amdhsa_ieee_mode 1
		.amdhsa_fp16_overflow 0
		.amdhsa_exception_fp_ieee_invalid_op 0
		.amdhsa_exception_fp_denorm_src 0
		.amdhsa_exception_fp_ieee_div_zero 0
		.amdhsa_exception_fp_ieee_overflow 0
		.amdhsa_exception_fp_ieee_underflow 0
		.amdhsa_exception_fp_ieee_inexact 0
		.amdhsa_exception_int_div_zero 0
	.end_amdhsa_kernel
	.section	.text._ZL37rocblas_syrkx_herkx_restricted_kernelIi19rocblas_complex_numIfELi16ELi32ELi8ELi1ELin1ELb1ELc67ELc76EKS1_S1_EviT_PT9_S3_lS5_S3_lPT10_S3_li,"axG",@progbits,_ZL37rocblas_syrkx_herkx_restricted_kernelIi19rocblas_complex_numIfELi16ELi32ELi8ELi1ELin1ELb1ELc67ELc76EKS1_S1_EviT_PT9_S3_lS5_S3_lPT10_S3_li,comdat
.Lfunc_end317:
	.size	_ZL37rocblas_syrkx_herkx_restricted_kernelIi19rocblas_complex_numIfELi16ELi32ELi8ELi1ELin1ELb1ELc67ELc76EKS1_S1_EviT_PT9_S3_lS5_S3_lPT10_S3_li, .Lfunc_end317-_ZL37rocblas_syrkx_herkx_restricted_kernelIi19rocblas_complex_numIfELi16ELi32ELi8ELi1ELin1ELb1ELc67ELc76EKS1_S1_EviT_PT9_S3_lS5_S3_lPT10_S3_li
                                        ; -- End function
	.set _ZL37rocblas_syrkx_herkx_restricted_kernelIi19rocblas_complex_numIfELi16ELi32ELi8ELi1ELin1ELb1ELc67ELc76EKS1_S1_EviT_PT9_S3_lS5_S3_lPT10_S3_li.num_vgpr, 41
	.set _ZL37rocblas_syrkx_herkx_restricted_kernelIi19rocblas_complex_numIfELi16ELi32ELi8ELi1ELin1ELb1ELc67ELc76EKS1_S1_EviT_PT9_S3_lS5_S3_lPT10_S3_li.num_agpr, 0
	.set _ZL37rocblas_syrkx_herkx_restricted_kernelIi19rocblas_complex_numIfELi16ELi32ELi8ELi1ELin1ELb1ELc67ELc76EKS1_S1_EviT_PT9_S3_lS5_S3_lPT10_S3_li.numbered_sgpr, 22
	.set _ZL37rocblas_syrkx_herkx_restricted_kernelIi19rocblas_complex_numIfELi16ELi32ELi8ELi1ELin1ELb1ELc67ELc76EKS1_S1_EviT_PT9_S3_lS5_S3_lPT10_S3_li.num_named_barrier, 0
	.set _ZL37rocblas_syrkx_herkx_restricted_kernelIi19rocblas_complex_numIfELi16ELi32ELi8ELi1ELin1ELb1ELc67ELc76EKS1_S1_EviT_PT9_S3_lS5_S3_lPT10_S3_li.private_seg_size, 0
	.set _ZL37rocblas_syrkx_herkx_restricted_kernelIi19rocblas_complex_numIfELi16ELi32ELi8ELi1ELin1ELb1ELc67ELc76EKS1_S1_EviT_PT9_S3_lS5_S3_lPT10_S3_li.uses_vcc, 1
	.set _ZL37rocblas_syrkx_herkx_restricted_kernelIi19rocblas_complex_numIfELi16ELi32ELi8ELi1ELin1ELb1ELc67ELc76EKS1_S1_EviT_PT9_S3_lS5_S3_lPT10_S3_li.uses_flat_scratch, 0
	.set _ZL37rocblas_syrkx_herkx_restricted_kernelIi19rocblas_complex_numIfELi16ELi32ELi8ELi1ELin1ELb1ELc67ELc76EKS1_S1_EviT_PT9_S3_lS5_S3_lPT10_S3_li.has_dyn_sized_stack, 0
	.set _ZL37rocblas_syrkx_herkx_restricted_kernelIi19rocblas_complex_numIfELi16ELi32ELi8ELi1ELin1ELb1ELc67ELc76EKS1_S1_EviT_PT9_S3_lS5_S3_lPT10_S3_li.has_recursion, 0
	.set _ZL37rocblas_syrkx_herkx_restricted_kernelIi19rocblas_complex_numIfELi16ELi32ELi8ELi1ELin1ELb1ELc67ELc76EKS1_S1_EviT_PT9_S3_lS5_S3_lPT10_S3_li.has_indirect_call, 0
	.section	.AMDGPU.csdata,"",@progbits
; Kernel info:
; codeLenInByte = 2064
; TotalNumSgprs: 26
; NumVgprs: 41
; ScratchSize: 0
; MemoryBound: 0
; FloatMode: 240
; IeeeMode: 1
; LDSByteSize: 4096 bytes/workgroup (compile time only)
; SGPRBlocks: 3
; VGPRBlocks: 10
; NumSGPRsForWavesPerEU: 26
; NumVGPRsForWavesPerEU: 41
; Occupancy: 5
; WaveLimiterHint : 0
; COMPUTE_PGM_RSRC2:SCRATCH_EN: 0
; COMPUTE_PGM_RSRC2:USER_SGPR: 6
; COMPUTE_PGM_RSRC2:TRAP_HANDLER: 0
; COMPUTE_PGM_RSRC2:TGID_X_EN: 1
; COMPUTE_PGM_RSRC2:TGID_Y_EN: 1
; COMPUTE_PGM_RSRC2:TGID_Z_EN: 1
; COMPUTE_PGM_RSRC2:TIDIG_COMP_CNT: 1
	.section	.text._ZL37rocblas_syrkx_herkx_restricted_kernelIi19rocblas_complex_numIfELi16ELi32ELi8ELi1ELin1ELb1ELc78ELc76EKS1_S1_EviT_PT9_S3_lS5_S3_lPT10_S3_li,"axG",@progbits,_ZL37rocblas_syrkx_herkx_restricted_kernelIi19rocblas_complex_numIfELi16ELi32ELi8ELi1ELin1ELb1ELc78ELc76EKS1_S1_EviT_PT9_S3_lS5_S3_lPT10_S3_li,comdat
	.globl	_ZL37rocblas_syrkx_herkx_restricted_kernelIi19rocblas_complex_numIfELi16ELi32ELi8ELi1ELin1ELb1ELc78ELc76EKS1_S1_EviT_PT9_S3_lS5_S3_lPT10_S3_li ; -- Begin function _ZL37rocblas_syrkx_herkx_restricted_kernelIi19rocblas_complex_numIfELi16ELi32ELi8ELi1ELin1ELb1ELc78ELc76EKS1_S1_EviT_PT9_S3_lS5_S3_lPT10_S3_li
	.p2align	8
	.type	_ZL37rocblas_syrkx_herkx_restricted_kernelIi19rocblas_complex_numIfELi16ELi32ELi8ELi1ELin1ELb1ELc78ELc76EKS1_S1_EviT_PT9_S3_lS5_S3_lPT10_S3_li,@function
_ZL37rocblas_syrkx_herkx_restricted_kernelIi19rocblas_complex_numIfELi16ELi32ELi8ELi1ELin1ELb1ELc78ELc76EKS1_S1_EviT_PT9_S3_lS5_S3_lPT10_S3_li: ; @_ZL37rocblas_syrkx_herkx_restricted_kernelIi19rocblas_complex_numIfELi16ELi32ELi8ELi1ELin1ELb1ELc78ELc76EKS1_S1_EviT_PT9_S3_lS5_S3_lPT10_S3_li
; %bb.0:
	s_load_dwordx2 s[10:11], s[4:5], 0x0
	s_load_dwordx4 s[0:3], s[4:5], 0x30
	s_lshl_b32 s9, s6, 5
	s_lshl_b32 s16, s7, 5
	s_mov_b32 s17, 0
	s_waitcnt lgkmcnt(0)
	s_cmp_lt_i32 s11, 1
	s_cbranch_scc1 .LBB318_3
; %bb.1:
	v_lshl_add_u32 v5, v1, 4, v0
	s_load_dword s6, s[4:5], 0x10
	s_load_dword s18, s[4:5], 0x28
	s_load_dwordx2 s[20:21], s[4:5], 0x8
	s_load_dwordx4 s[12:15], s[4:5], 0x18
	v_lshrrev_b32_e32 v6, 3, v5
	v_add_u32_e32 v2, s16, v6
	v_and_b32_e32 v4, 7, v0
	v_ashrrev_i32_e32 v3, 31, v2
	s_waitcnt lgkmcnt(0)
	v_mad_i64_i32 v[2:3], s[22:23], s18, v4, v[2:3]
	v_lshlrev_b32_e32 v4, 3, v4
	v_lshl_or_b32 v4, v6, 6, v4
	v_lshrrev_b32_e32 v7, 5, v5
	v_and_b32_e32 v5, 31, v5
	v_add_u32_e32 v11, 0x800, v4
	v_mov_b32_e32 v4, 0x800
	v_lshl_add_u32 v13, v1, 6, v4
	v_add_u32_e32 v4, s9, v5
	v_lshlrev_b32_e32 v8, 3, v5
	v_ashrrev_i32_e32 v5, 31, v4
	v_mad_i64_i32 v[4:5], s[22:23], s6, v7, v[4:5]
	s_mul_i32 s13, s13, s8
	s_mul_hi_u32 s24, s12, s8
	s_add_i32 s13, s24, s13
	s_mul_i32 s12, s12, s8
	s_ashr_i32 s7, s6, 31
	s_ashr_i32 s19, s18, 31
	s_lshl_b64 s[12:13], s[12:13], 3
	v_lshlrev_b64 v[4:5], 3, v[4:5]
	s_add_u32 s12, s20, s12
	s_addc_u32 s13, s21, s13
	v_add_co_u32_e32 v4, vcc, s12, v4
	s_mul_i32 s1, s1, s8
	s_mul_hi_u32 s12, s0, s8
	v_mov_b32_e32 v6, s13
	s_add_i32 s1, s12, s1
	s_mul_i32 s0, s0, s8
	v_addc_co_u32_e32 v5, vcc, v6, v5, vcc
	s_lshl_b64 s[6:7], s[6:7], 6
	s_lshl_b64 s[0:1], s[0:1], 3
	v_add_co_u32_e32 v6, vcc, 4, v4
	v_lshlrev_b64 v[2:3], 3, v[2:3]
	s_add_u32 s0, s14, s0
	v_lshl_or_b32 v10, v7, 8, v8
	v_addc_co_u32_e32 v7, vcc, 0, v5, vcc
	s_addc_u32 s1, s15, s1
	v_mov_b32_e32 v4, s1
	v_add_co_u32_e32 v2, vcc, s0, v2
	v_addc_co_u32_e32 v3, vcc, v4, v3, vcc
	v_add_co_u32_e32 v8, vcc, 4, v2
	s_lshl_b64 s[0:1], s[18:19], 6
	v_lshlrev_b32_e32 v12, 3, v0
	v_addc_co_u32_e32 v9, vcc, 0, v3, vcc
	v_mov_b32_e32 v16, 0
	v_mov_b32_e32 v14, s7
	;; [unrolled: 1-line block ×10, first 2 shown]
.LBB318_2:                              ; =>This Inner Loop Header: Depth=1
	global_load_dwordx2 v[2:3], v[6:7], off offset:-4
	v_add_co_u32_e32 v6, vcc, s6, v6
	v_addc_co_u32_e32 v7, vcc, v7, v14, vcc
	s_add_i32 s17, s17, 8
	s_cmp_ge_i32 s17, s11
	s_waitcnt vmcnt(0)
	ds_write_b64 v10, v[2:3]
	global_load_dwordx2 v[2:3], v[8:9], off offset:-4
	v_add_co_u32_e32 v8, vcc, s0, v8
	v_addc_co_u32_e32 v9, vcc, v9, v15, vcc
	s_waitcnt vmcnt(0)
	v_xor_b32_e32 v3, 0x80000000, v3
	ds_write_b64 v11, v[2:3]
	s_waitcnt lgkmcnt(0)
	s_barrier
	ds_read_b128 v[24:27], v13
	ds_read_b128 v[28:31], v13 offset:16
	ds_read_b128 v[32:35], v13 offset:32
	;; [unrolled: 1-line block ×3, first 2 shown]
	ds_read2_b64 v[36:39], v12 offset1:16
	s_waitcnt lgkmcnt(0)
	v_mul_f32_e32 v40, v25, v37
	v_mul_f32_e32 v41, v24, v37
	v_fma_f32 v40, v24, v36, -v40
	v_fmac_f32_e32 v41, v25, v36
	v_add_f32_e32 v40, v22, v40
	v_add_f32_e32 v41, v23, v41
	v_mul_f32_e32 v22, v25, v39
	v_mul_f32_e32 v23, v24, v39
	v_fma_f32 v22, v24, v38, -v22
	v_fmac_f32_e32 v23, v25, v38
	v_add_f32_e32 v24, v21, v22
	v_add_f32_e32 v25, v20, v23
	ds_read_b128 v[20:23], v13 offset:1024
	s_waitcnt lgkmcnt(0)
	v_mul_f32_e32 v42, v21, v37
	v_mul_f32_e32 v37, v20, v37
	v_fma_f32 v42, v20, v36, -v42
	v_fmac_f32_e32 v37, v21, v36
	v_add_f32_e32 v36, v19, v42
	v_add_f32_e32 v37, v18, v37
	v_mul_f32_e32 v18, v21, v39
	v_mul_f32_e32 v19, v20, v39
	v_fma_f32 v18, v20, v38, -v18
	v_fmac_f32_e32 v19, v21, v38
	v_add_f32_e32 v20, v17, v18
	v_add_f32_e32 v21, v16, v19
	ds_read2_b64 v[16:19], v12 offset0:32 offset1:48
	s_waitcnt lgkmcnt(0)
	v_mul_f32_e32 v38, v27, v17
	v_fma_f32 v38, v26, v16, -v38
	v_add_f32_e32 v38, v40, v38
	v_mul_f32_e32 v40, v27, v19
	v_mul_f32_e32 v39, v26, v17
	v_fma_f32 v40, v26, v18, -v40
	v_mul_f32_e32 v26, v26, v19
	v_fmac_f32_e32 v26, v27, v18
	v_add_f32_e32 v25, v25, v26
	v_mul_f32_e32 v26, v23, v17
	v_mul_f32_e32 v17, v22, v17
	v_fmac_f32_e32 v17, v23, v16
	v_fmac_f32_e32 v39, v27, v16
	v_fma_f32 v26, v22, v16, -v26
	v_add_f32_e32 v27, v37, v17
	v_mul_f32_e32 v16, v23, v19
	v_mul_f32_e32 v17, v22, v19
	v_fma_f32 v16, v22, v18, -v16
	v_fmac_f32_e32 v17, v23, v18
	v_add_f32_e32 v26, v36, v26
	v_add_f32_e32 v36, v20, v16
	;; [unrolled: 1-line block ×3, first 2 shown]
	ds_read2_b64 v[16:19], v12 offset0:64 offset1:80
	v_add_f32_e32 v39, v41, v39
	v_add_f32_e32 v24, v24, v40
	s_waitcnt lgkmcnt(0)
	v_mul_f32_e32 v20, v29, v17
	v_mul_f32_e32 v21, v28, v17
	v_fma_f32 v20, v28, v16, -v20
	v_fmac_f32_e32 v21, v29, v16
	v_add_f32_e32 v38, v38, v20
	v_add_f32_e32 v39, v39, v21
	v_mul_f32_e32 v20, v29, v19
	v_mul_f32_e32 v21, v28, v19
	v_fma_f32 v20, v28, v18, -v20
	v_fmac_f32_e32 v21, v29, v18
	v_add_f32_e32 v24, v24, v20
	v_add_f32_e32 v25, v25, v21
	ds_read_b128 v[20:23], v13 offset:1040
	s_waitcnt lgkmcnt(0)
	v_mul_f32_e32 v28, v21, v17
	v_mul_f32_e32 v17, v20, v17
	v_fmac_f32_e32 v17, v21, v16
	v_fma_f32 v28, v20, v16, -v28
	v_add_f32_e32 v27, v27, v17
	v_mul_f32_e32 v16, v21, v19
	v_mul_f32_e32 v17, v20, v19
	v_fma_f32 v16, v20, v18, -v16
	v_fmac_f32_e32 v17, v21, v18
	v_add_f32_e32 v20, v36, v16
	v_add_f32_e32 v21, v37, v17
	ds_read2_b64 v[16:19], v12 offset0:96 offset1:112
	v_add_f32_e32 v26, v26, v28
	s_waitcnt lgkmcnt(0)
	v_mul_f32_e32 v28, v31, v17
	v_mul_f32_e32 v36, v31, v19
	v_fma_f32 v28, v30, v16, -v28
	v_mul_f32_e32 v29, v30, v17
	v_fma_f32 v36, v30, v18, -v36
	v_mul_f32_e32 v30, v30, v19
	v_fmac_f32_e32 v30, v31, v18
	v_add_f32_e32 v25, v25, v30
	v_mul_f32_e32 v30, v23, v17
	v_mul_f32_e32 v17, v22, v17
	v_fmac_f32_e32 v17, v23, v16
	v_fmac_f32_e32 v29, v31, v16
	v_fma_f32 v30, v22, v16, -v30
	v_add_f32_e32 v27, v27, v17
	v_mul_f32_e32 v16, v23, v19
	v_mul_f32_e32 v17, v22, v19
	v_fma_f32 v16, v22, v18, -v16
	v_fmac_f32_e32 v17, v23, v18
	v_add_f32_e32 v26, v26, v30
	v_add_f32_e32 v30, v20, v16
	v_add_f32_e32 v31, v21, v17
	ds_read2_b64 v[16:19], v12 offset0:128 offset1:144
	v_add_f32_e32 v28, v38, v28
	v_add_f32_e32 v29, v39, v29
	v_add_f32_e32 v24, v24, v36
	s_waitcnt lgkmcnt(0)
	v_mul_f32_e32 v20, v33, v17
	v_mul_f32_e32 v21, v32, v17
	v_fma_f32 v20, v32, v16, -v20
	v_fmac_f32_e32 v21, v33, v16
	v_add_f32_e32 v28, v28, v20
	v_add_f32_e32 v29, v29, v21
	v_mul_f32_e32 v20, v33, v19
	v_mul_f32_e32 v21, v32, v19
	v_fma_f32 v20, v32, v18, -v20
	v_fmac_f32_e32 v21, v33, v18
	v_add_f32_e32 v24, v24, v20
	v_add_f32_e32 v25, v25, v21
	ds_read_b128 v[20:23], v13 offset:1056
	s_waitcnt lgkmcnt(0)
	v_mul_f32_e32 v32, v21, v17
	v_mul_f32_e32 v17, v20, v17
	v_fmac_f32_e32 v17, v21, v16
	v_fma_f32 v32, v20, v16, -v32
	v_add_f32_e32 v27, v27, v17
	v_mul_f32_e32 v16, v21, v19
	v_mul_f32_e32 v17, v20, v19
	v_fma_f32 v16, v20, v18, -v16
	v_fmac_f32_e32 v17, v21, v18
	v_add_f32_e32 v20, v30, v16
	v_add_f32_e32 v21, v31, v17
	ds_read2_b64 v[16:19], v12 offset0:160 offset1:176
	v_add_f32_e32 v26, v26, v32
	s_waitcnt lgkmcnt(0)
	v_mul_f32_e32 v30, v35, v17
	v_fma_f32 v30, v34, v16, -v30
	v_add_f32_e32 v28, v28, v30
	v_mul_f32_e32 v30, v35, v19
	v_fma_f32 v30, v34, v18, -v30
	v_mul_f32_e32 v31, v34, v17
	v_add_f32_e32 v24, v24, v30
	v_mul_f32_e32 v30, v23, v17
	v_mul_f32_e32 v17, v22, v17
	v_fmac_f32_e32 v17, v23, v16
	v_fmac_f32_e32 v31, v35, v16
	v_fma_f32 v30, v22, v16, -v30
	v_add_f32_e32 v27, v27, v17
	v_mul_f32_e32 v16, v23, v19
	v_mul_f32_e32 v17, v22, v19
	v_add_f32_e32 v29, v29, v31
	v_mul_f32_e32 v31, v34, v19
	v_fma_f32 v16, v22, v18, -v16
	v_fmac_f32_e32 v17, v23, v18
	v_fmac_f32_e32 v31, v35, v18
	v_add_f32_e32 v20, v20, v16
	v_add_f32_e32 v21, v21, v17
	ds_read2_b64 v[16:19], v12 offset0:192 offset1:208
	v_add_f32_e32 v26, v26, v30
	v_add_f32_e32 v25, v25, v31
	s_waitcnt lgkmcnt(0)
	v_mul_f32_e32 v22, v3, v17
	v_fma_f32 v22, v2, v16, -v22
	v_add_f32_e32 v30, v28, v22
	v_mul_f32_e32 v22, v3, v19
	v_mul_f32_e32 v23, v2, v17
	v_fma_f32 v22, v2, v18, -v22
	v_mul_f32_e32 v2, v2, v19
	v_fmac_f32_e32 v23, v3, v16
	v_fmac_f32_e32 v2, v3, v18
	v_add_f32_e32 v31, v29, v23
	v_add_f32_e32 v3, v24, v22
	v_add_f32_e32 v2, v25, v2
	ds_read_b128 v[22:25], v13 offset:1072
	s_waitcnt lgkmcnt(0)
	v_mul_f32_e32 v28, v23, v17
	v_fma_f32 v28, v22, v16, -v28
	v_mul_f32_e32 v17, v22, v17
	v_fmac_f32_e32 v17, v23, v16
	v_add_f32_e32 v16, v26, v28
	v_mul_f32_e32 v26, v23, v19
	v_fma_f32 v26, v22, v18, -v26
	v_add_f32_e32 v17, v27, v17
	v_add_f32_e32 v32, v20, v26
	ds_read2_b64 v[26:29], v12 offset0:224 offset1:240
	v_mul_f32_e32 v19, v22, v19
	v_fmac_f32_e32 v19, v23, v18
	v_add_f32_e32 v33, v21, v19
	s_waitcnt lgkmcnt(0)
	v_mul_f32_e32 v18, v5, v27
	v_fma_f32 v18, v4, v26, -v18
	v_add_f32_e32 v22, v30, v18
	v_mul_f32_e32 v18, v5, v29
	v_mul_f32_e32 v19, v4, v27
	v_fma_f32 v18, v4, v28, -v18
	v_mul_f32_e32 v4, v4, v29
	v_fmac_f32_e32 v4, v5, v28
	v_add_f32_e32 v21, v3, v18
	v_add_f32_e32 v20, v2, v4
	v_mul_f32_e32 v2, v25, v27
	v_mul_f32_e32 v3, v24, v27
	v_fmac_f32_e32 v19, v5, v26
	v_fma_f32 v2, v24, v26, -v2
	v_fmac_f32_e32 v3, v25, v26
	v_add_f32_e32 v23, v31, v19
	v_add_f32_e32 v19, v16, v2
	;; [unrolled: 1-line block ×3, first 2 shown]
	v_mul_f32_e32 v2, v25, v29
	v_mul_f32_e32 v3, v24, v29
	v_fma_f32 v2, v24, v28, -v2
	v_fmac_f32_e32 v3, v25, v28
	v_add_f32_e32 v17, v32, v2
	v_add_f32_e32 v16, v33, v3
	s_barrier
	s_cbranch_scc0 .LBB318_2
	s_branch .LBB318_4
.LBB318_3:
	v_mov_b32_e32 v22, 0
	v_mov_b32_e32 v23, 0
	;; [unrolled: 1-line block ×8, first 2 shown]
.LBB318_4:
	s_load_dwordx2 s[0:1], s[4:5], 0x48
	s_load_dword s6, s[4:5], 0x40
	v_add_u32_e32 v5, s16, v1
	v_add_u32_e32 v0, s9, v0
	s_waitcnt lgkmcnt(0)
	s_mul_i32 s1, s1, s8
	s_mul_hi_u32 s4, s0, s8
	s_add_i32 s1, s4, s1
	v_mad_i64_i32 v[1:2], s[4:5], v5, s6, 0
	s_mul_i32 s0, s0, s8
	s_lshl_b64 s[0:1], s[0:1], 3
	s_add_u32 s7, s2, s0
	v_lshlrev_b64 v[1:2], 3, v[1:2]
	s_addc_u32 s8, s3, s1
	v_mov_b32_e32 v3, s8
	v_add_co_u32_e32 v4, vcc, s7, v1
	v_addc_co_u32_e32 v6, vcc, v3, v2, vcc
	v_cmp_le_i32_e64 s[0:1], v5, v0
	v_cmp_gt_i32_e32 vcc, s10, v0
	s_and_b64 s[0:1], s[0:1], vcc
	s_and_saveexec_b64 s[2:3], s[0:1]
	s_cbranch_execz .LBB318_7
; %bb.5:
	v_ashrrev_i32_e32 v1, 31, v0
	v_lshlrev_b64 v[1:2], 3, v[0:1]
	v_add_co_u32_e64 v1, s[0:1], v4, v1
	v_addc_co_u32_e64 v2, s[0:1], v6, v2, s[0:1]
	global_load_dwordx2 v[7:8], v[1:2], off
	v_cmp_eq_u32_e64 s[0:1], v5, v0
	s_waitcnt vmcnt(0)
	v_sub_f32_e32 v7, v22, v7
	v_sub_f32_e32 v8, v23, v8
	global_store_dwordx2 v[1:2], v[7:8], off
	s_and_b64 exec, exec, s[0:1]
	s_cbranch_execz .LBB318_7
; %bb.6:
	v_mov_b32_e32 v3, 0
	global_store_dword v[1:2], v3, off offset:4
.LBB318_7:
	s_or_b64 exec, exec, s[2:3]
	v_add_u32_e32 v2, 16, v0
	v_cmp_le_i32_e64 s[2:3], v5, v2
	v_cmp_gt_i32_e64 s[0:1], s10, v2
	s_and_b64 s[2:3], s[2:3], s[0:1]
	s_and_saveexec_b64 s[4:5], s[2:3]
	s_cbranch_execz .LBB318_10
; %bb.8:
	v_ashrrev_i32_e32 v3, 31, v2
	v_lshlrev_b64 v[7:8], 3, v[2:3]
	v_add_co_u32_e64 v3, s[2:3], v4, v7
	v_addc_co_u32_e64 v4, s[2:3], v6, v8, s[2:3]
	global_load_dwordx2 v[6:7], v[3:4], off
	v_cmp_eq_u32_e64 s[2:3], v5, v2
	s_waitcnt vmcnt(0)
	v_sub_f32_e32 v6, v21, v6
	v_sub_f32_e32 v7, v20, v7
	global_store_dwordx2 v[3:4], v[6:7], off
	s_and_b64 exec, exec, s[2:3]
	s_cbranch_execz .LBB318_10
; %bb.9:
	v_mov_b32_e32 v1, 0
	global_store_dword v[3:4], v1, off offset:4
.LBB318_10:
	s_or_b64 exec, exec, s[4:5]
	v_add_u32_e32 v8, 16, v5
	v_mad_i64_i32 v[3:4], s[2:3], v8, s6, 0
	v_mov_b32_e32 v1, s8
	v_lshlrev_b64 v[3:4], 3, v[3:4]
	v_add_co_u32_e64 v6, s[2:3], s7, v3
	v_addc_co_u32_e64 v7, s[2:3], v1, v4, s[2:3]
	v_cmp_le_i32_e64 s[2:3], v8, v0
	s_and_b64 s[4:5], s[2:3], vcc
	s_and_saveexec_b64 s[2:3], s[4:5]
	s_cbranch_execz .LBB318_13
; %bb.11:
	v_ashrrev_i32_e32 v1, 31, v0
	v_lshlrev_b64 v[3:4], 3, v[0:1]
	v_add_co_u32_e32 v3, vcc, v6, v3
	v_addc_co_u32_e32 v4, vcc, v7, v4, vcc
	global_load_dwordx2 v[9:10], v[3:4], off
	v_cmp_eq_u32_e32 vcc, v8, v0
	s_waitcnt vmcnt(0)
	v_sub_f32_e32 v9, v19, v9
	v_sub_f32_e32 v10, v18, v10
	global_store_dwordx2 v[3:4], v[9:10], off
	s_and_b64 exec, exec, vcc
	s_cbranch_execz .LBB318_13
; %bb.12:
	v_mov_b32_e32 v1, 0
	global_store_dword v[3:4], v1, off offset:4
.LBB318_13:
	s_or_b64 exec, exec, s[2:3]
	v_cmp_le_i32_e32 vcc, v8, v2
	s_and_b64 s[0:1], vcc, s[0:1]
	s_and_saveexec_b64 s[2:3], s[0:1]
	s_cbranch_execz .LBB318_16
; %bb.14:
	v_ashrrev_i32_e32 v3, 31, v2
	v_lshlrev_b64 v[1:2], 3, v[2:3]
	v_add_co_u32_e32 v1, vcc, v6, v1
	v_addc_co_u32_e32 v2, vcc, v7, v2, vcc
	global_load_dwordx2 v[3:4], v[1:2], off
	v_cmp_eq_u32_e32 vcc, v5, v0
	s_waitcnt vmcnt(0)
	v_sub_f32_e32 v3, v17, v3
	v_sub_f32_e32 v4, v16, v4
	global_store_dwordx2 v[1:2], v[3:4], off
	s_and_b64 exec, exec, vcc
	s_cbranch_execz .LBB318_16
; %bb.15:
	v_mov_b32_e32 v0, 0
	global_store_dword v[1:2], v0, off offset:4
.LBB318_16:
	s_endpgm
	.section	.rodata,"a",@progbits
	.p2align	6, 0x0
	.amdhsa_kernel _ZL37rocblas_syrkx_herkx_restricted_kernelIi19rocblas_complex_numIfELi16ELi32ELi8ELi1ELin1ELb1ELc78ELc76EKS1_S1_EviT_PT9_S3_lS5_S3_lPT10_S3_li
		.amdhsa_group_segment_fixed_size 4096
		.amdhsa_private_segment_fixed_size 0
		.amdhsa_kernarg_size 84
		.amdhsa_user_sgpr_count 6
		.amdhsa_user_sgpr_private_segment_buffer 1
		.amdhsa_user_sgpr_dispatch_ptr 0
		.amdhsa_user_sgpr_queue_ptr 0
		.amdhsa_user_sgpr_kernarg_segment_ptr 1
		.amdhsa_user_sgpr_dispatch_id 0
		.amdhsa_user_sgpr_flat_scratch_init 0
		.amdhsa_user_sgpr_private_segment_size 0
		.amdhsa_uses_dynamic_stack 0
		.amdhsa_system_sgpr_private_segment_wavefront_offset 0
		.amdhsa_system_sgpr_workgroup_id_x 1
		.amdhsa_system_sgpr_workgroup_id_y 1
		.amdhsa_system_sgpr_workgroup_id_z 1
		.amdhsa_system_sgpr_workgroup_info 0
		.amdhsa_system_vgpr_workitem_id 1
		.amdhsa_next_free_vgpr 43
		.amdhsa_next_free_sgpr 25
		.amdhsa_reserve_vcc 1
		.amdhsa_reserve_flat_scratch 0
		.amdhsa_float_round_mode_32 0
		.amdhsa_float_round_mode_16_64 0
		.amdhsa_float_denorm_mode_32 3
		.amdhsa_float_denorm_mode_16_64 3
		.amdhsa_dx10_clamp 1
		.amdhsa_ieee_mode 1
		.amdhsa_fp16_overflow 0
		.amdhsa_exception_fp_ieee_invalid_op 0
		.amdhsa_exception_fp_denorm_src 0
		.amdhsa_exception_fp_ieee_div_zero 0
		.amdhsa_exception_fp_ieee_overflow 0
		.amdhsa_exception_fp_ieee_underflow 0
		.amdhsa_exception_fp_ieee_inexact 0
		.amdhsa_exception_int_div_zero 0
	.end_amdhsa_kernel
	.section	.text._ZL37rocblas_syrkx_herkx_restricted_kernelIi19rocblas_complex_numIfELi16ELi32ELi8ELi1ELin1ELb1ELc78ELc76EKS1_S1_EviT_PT9_S3_lS5_S3_lPT10_S3_li,"axG",@progbits,_ZL37rocblas_syrkx_herkx_restricted_kernelIi19rocblas_complex_numIfELi16ELi32ELi8ELi1ELin1ELb1ELc78ELc76EKS1_S1_EviT_PT9_S3_lS5_S3_lPT10_S3_li,comdat
.Lfunc_end318:
	.size	_ZL37rocblas_syrkx_herkx_restricted_kernelIi19rocblas_complex_numIfELi16ELi32ELi8ELi1ELin1ELb1ELc78ELc76EKS1_S1_EviT_PT9_S3_lS5_S3_lPT10_S3_li, .Lfunc_end318-_ZL37rocblas_syrkx_herkx_restricted_kernelIi19rocblas_complex_numIfELi16ELi32ELi8ELi1ELin1ELb1ELc78ELc76EKS1_S1_EviT_PT9_S3_lS5_S3_lPT10_S3_li
                                        ; -- End function
	.set _ZL37rocblas_syrkx_herkx_restricted_kernelIi19rocblas_complex_numIfELi16ELi32ELi8ELi1ELin1ELb1ELc78ELc76EKS1_S1_EviT_PT9_S3_lS5_S3_lPT10_S3_li.num_vgpr, 43
	.set _ZL37rocblas_syrkx_herkx_restricted_kernelIi19rocblas_complex_numIfELi16ELi32ELi8ELi1ELin1ELb1ELc78ELc76EKS1_S1_EviT_PT9_S3_lS5_S3_lPT10_S3_li.num_agpr, 0
	.set _ZL37rocblas_syrkx_herkx_restricted_kernelIi19rocblas_complex_numIfELi16ELi32ELi8ELi1ELin1ELb1ELc78ELc76EKS1_S1_EviT_PT9_S3_lS5_S3_lPT10_S3_li.numbered_sgpr, 25
	.set _ZL37rocblas_syrkx_herkx_restricted_kernelIi19rocblas_complex_numIfELi16ELi32ELi8ELi1ELin1ELb1ELc78ELc76EKS1_S1_EviT_PT9_S3_lS5_S3_lPT10_S3_li.num_named_barrier, 0
	.set _ZL37rocblas_syrkx_herkx_restricted_kernelIi19rocblas_complex_numIfELi16ELi32ELi8ELi1ELin1ELb1ELc78ELc76EKS1_S1_EviT_PT9_S3_lS5_S3_lPT10_S3_li.private_seg_size, 0
	.set _ZL37rocblas_syrkx_herkx_restricted_kernelIi19rocblas_complex_numIfELi16ELi32ELi8ELi1ELin1ELb1ELc78ELc76EKS1_S1_EviT_PT9_S3_lS5_S3_lPT10_S3_li.uses_vcc, 1
	.set _ZL37rocblas_syrkx_herkx_restricted_kernelIi19rocblas_complex_numIfELi16ELi32ELi8ELi1ELin1ELb1ELc78ELc76EKS1_S1_EviT_PT9_S3_lS5_S3_lPT10_S3_li.uses_flat_scratch, 0
	.set _ZL37rocblas_syrkx_herkx_restricted_kernelIi19rocblas_complex_numIfELi16ELi32ELi8ELi1ELin1ELb1ELc78ELc76EKS1_S1_EviT_PT9_S3_lS5_S3_lPT10_S3_li.has_dyn_sized_stack, 0
	.set _ZL37rocblas_syrkx_herkx_restricted_kernelIi19rocblas_complex_numIfELi16ELi32ELi8ELi1ELin1ELb1ELc78ELc76EKS1_S1_EviT_PT9_S3_lS5_S3_lPT10_S3_li.has_recursion, 0
	.set _ZL37rocblas_syrkx_herkx_restricted_kernelIi19rocblas_complex_numIfELi16ELi32ELi8ELi1ELin1ELb1ELc78ELc76EKS1_S1_EviT_PT9_S3_lS5_S3_lPT10_S3_li.has_indirect_call, 0
	.section	.AMDGPU.csdata,"",@progbits
; Kernel info:
; codeLenInByte = 2092
; TotalNumSgprs: 29
; NumVgprs: 43
; ScratchSize: 0
; MemoryBound: 0
; FloatMode: 240
; IeeeMode: 1
; LDSByteSize: 4096 bytes/workgroup (compile time only)
; SGPRBlocks: 3
; VGPRBlocks: 10
; NumSGPRsForWavesPerEU: 29
; NumVGPRsForWavesPerEU: 43
; Occupancy: 5
; WaveLimiterHint : 0
; COMPUTE_PGM_RSRC2:SCRATCH_EN: 0
; COMPUTE_PGM_RSRC2:USER_SGPR: 6
; COMPUTE_PGM_RSRC2:TRAP_HANDLER: 0
; COMPUTE_PGM_RSRC2:TGID_X_EN: 1
; COMPUTE_PGM_RSRC2:TGID_Y_EN: 1
; COMPUTE_PGM_RSRC2:TGID_Z_EN: 1
; COMPUTE_PGM_RSRC2:TIDIG_COMP_CNT: 1
	.section	.text._ZL37rocblas_syrkx_herkx_restricted_kernelIi19rocblas_complex_numIfELi16ELi32ELi8ELi1ELin1ELb1ELc84ELc85EKS1_S1_EviT_PT9_S3_lS5_S3_lPT10_S3_li,"axG",@progbits,_ZL37rocblas_syrkx_herkx_restricted_kernelIi19rocblas_complex_numIfELi16ELi32ELi8ELi1ELin1ELb1ELc84ELc85EKS1_S1_EviT_PT9_S3_lS5_S3_lPT10_S3_li,comdat
	.globl	_ZL37rocblas_syrkx_herkx_restricted_kernelIi19rocblas_complex_numIfELi16ELi32ELi8ELi1ELin1ELb1ELc84ELc85EKS1_S1_EviT_PT9_S3_lS5_S3_lPT10_S3_li ; -- Begin function _ZL37rocblas_syrkx_herkx_restricted_kernelIi19rocblas_complex_numIfELi16ELi32ELi8ELi1ELin1ELb1ELc84ELc85EKS1_S1_EviT_PT9_S3_lS5_S3_lPT10_S3_li
	.p2align	8
	.type	_ZL37rocblas_syrkx_herkx_restricted_kernelIi19rocblas_complex_numIfELi16ELi32ELi8ELi1ELin1ELb1ELc84ELc85EKS1_S1_EviT_PT9_S3_lS5_S3_lPT10_S3_li,@function
_ZL37rocblas_syrkx_herkx_restricted_kernelIi19rocblas_complex_numIfELi16ELi32ELi8ELi1ELin1ELb1ELc84ELc85EKS1_S1_EviT_PT9_S3_lS5_S3_lPT10_S3_li: ; @_ZL37rocblas_syrkx_herkx_restricted_kernelIi19rocblas_complex_numIfELi16ELi32ELi8ELi1ELin1ELb1ELc84ELc85EKS1_S1_EviT_PT9_S3_lS5_S3_lPT10_S3_li
; %bb.0:
	s_load_dwordx2 s[10:11], s[4:5], 0x0
	s_load_dwordx4 s[0:3], s[4:5], 0x30
	s_lshl_b32 s6, s6, 5
	s_lshl_b32 s7, s7, 5
	s_mov_b32 s9, 0
	s_waitcnt lgkmcnt(0)
	s_cmp_lt_i32 s11, 1
	s_cbranch_scc1 .LBB319_3
; %bb.1:
	v_lshl_add_u32 v4, v1, 4, v0
	v_and_b32_e32 v7, 31, v4
	s_load_dwordx2 s[16:17], s[4:5], 0x8
	s_load_dword s20, s[4:5], 0x10
	s_load_dwordx4 s[12:15], s[4:5], 0x18
	s_load_dword s18, s[4:5], 0x28
	v_lshrrev_b32_e32 v6, 3, v4
	v_and_b32_e32 v9, 7, v0
	v_lshrrev_b32_e32 v4, 5, v4
	v_lshlrev_b32_e32 v8, 3, v7
	v_lshl_or_b32 v11, v4, 8, v8
	v_lshlrev_b32_e32 v8, 3, v9
	v_add_u32_e32 v2, s7, v6
	v_lshl_or_b32 v6, v6, 6, v8
	v_mov_b32_e32 v10, 0
	v_add_u32_e32 v12, 0x800, v6
	v_mov_b32_e32 v6, 0x800
	v_mov_b32_e32 v5, v10
	v_lshl_add_u32 v14, v1, 6, v6
	v_add_u32_e32 v6, s6, v7
	s_waitcnt lgkmcnt(0)
	v_mad_i64_i32 v[2:3], s[18:19], s18, v2, v[9:10]
	v_mad_i64_i32 v[4:5], s[18:19], s20, v6, v[4:5]
	s_mul_i32 s13, s13, s8
	s_mul_hi_u32 s21, s12, s8
	s_add_i32 s13, s21, s13
	s_mul_i32 s12, s12, s8
	s_lshl_b64 s[12:13], s[12:13], 3
	v_lshlrev_b64 v[4:5], 3, v[4:5]
	s_add_u32 s12, s16, s12
	s_addc_u32 s13, s17, s13
	v_add_co_u32_e32 v4, vcc, s12, v4
	s_mul_i32 s1, s1, s8
	s_mul_hi_u32 s12, s0, s8
	v_mov_b32_e32 v6, s13
	s_add_i32 s1, s12, s1
	s_mul_i32 s0, s0, s8
	v_addc_co_u32_e32 v5, vcc, v6, v5, vcc
	s_lshl_b64 s[0:1], s[0:1], 3
	v_add_co_u32_e32 v6, vcc, 4, v4
	v_lshlrev_b64 v[2:3], 3, v[2:3]
	s_add_u32 s0, s14, s0
	v_addc_co_u32_e32 v7, vcc, 0, v5, vcc
	s_addc_u32 s1, s15, s1
	v_mov_b32_e32 v4, s1
	v_add_co_u32_e32 v2, vcc, s0, v2
	v_addc_co_u32_e32 v3, vcc, v4, v3, vcc
	v_add_co_u32_e32 v8, vcc, 4, v2
	v_lshlrev_b32_e32 v13, 3, v0
	v_addc_co_u32_e32 v9, vcc, 0, v3, vcc
	v_mov_b32_e32 v15, v10
	v_mov_b32_e32 v16, v10
	v_mov_b32_e32 v17, v10
	v_mov_b32_e32 v18, v10
	v_mov_b32_e32 v19, v10
	v_mov_b32_e32 v21, v10
	v_mov_b32_e32 v20, v10
.LBB319_2:                              ; =>This Inner Loop Header: Depth=1
	global_load_dwordx2 v[2:3], v[6:7], off offset:-4
	v_add_co_u32_e32 v6, vcc, 64, v6
	v_addc_co_u32_e32 v7, vcc, 0, v7, vcc
	s_add_i32 s9, s9, 8
	s_cmp_ge_i32 s9, s11
	s_waitcnt vmcnt(0)
	ds_write_b64 v11, v[2:3]
	global_load_dwordx2 v[2:3], v[8:9], off offset:-4
	v_add_co_u32_e32 v8, vcc, 64, v8
	v_addc_co_u32_e32 v9, vcc, 0, v9, vcc
	s_waitcnt vmcnt(0)
	ds_write_b64 v12, v[2:3]
	s_waitcnt lgkmcnt(0)
	s_barrier
	ds_read_b128 v[22:25], v14
	ds_read_b128 v[26:29], v14 offset:16
	ds_read_b128 v[30:33], v14 offset:32
	;; [unrolled: 1-line block ×3, first 2 shown]
	ds_read2_b64 v[34:37], v13 offset1:16
	s_waitcnt lgkmcnt(0)
	v_mul_f32_e32 v38, v23, v35
	v_mul_f32_e32 v39, v22, v35
	v_fma_f32 v38, v22, v34, -v38
	v_fmac_f32_e32 v39, v23, v34
	v_add_f32_e32 v38, v20, v38
	v_add_f32_e32 v39, v21, v39
	v_mul_f32_e32 v20, v23, v37
	v_mul_f32_e32 v21, v22, v37
	v_fma_f32 v20, v22, v36, -v20
	v_fmac_f32_e32 v21, v23, v36
	v_add_f32_e32 v22, v19, v20
	v_add_f32_e32 v23, v18, v21
	ds_read_b128 v[18:21], v14 offset:1024
	s_waitcnt lgkmcnt(0)
	v_mul_f32_e32 v40, v19, v35
	v_mul_f32_e32 v35, v18, v35
	v_fma_f32 v40, v18, v34, -v40
	v_fmac_f32_e32 v35, v19, v34
	v_add_f32_e32 v34, v17, v40
	v_add_f32_e32 v35, v16, v35
	v_mul_f32_e32 v16, v19, v37
	v_mul_f32_e32 v17, v18, v37
	v_fma_f32 v16, v18, v36, -v16
	v_fmac_f32_e32 v17, v19, v36
	v_add_f32_e32 v19, v15, v16
	v_add_f32_e32 v10, v10, v17
	ds_read2_b64 v[15:18], v13 offset0:32 offset1:48
	s_waitcnt lgkmcnt(0)
	v_mul_f32_e32 v36, v25, v16
	v_fma_f32 v36, v24, v15, -v36
	v_add_f32_e32 v36, v38, v36
	v_mul_f32_e32 v38, v25, v18
	v_mul_f32_e32 v37, v24, v16
	v_fma_f32 v38, v24, v17, -v38
	v_mul_f32_e32 v24, v24, v18
	v_fmac_f32_e32 v24, v25, v17
	v_add_f32_e32 v23, v23, v24
	v_mul_f32_e32 v24, v21, v16
	v_mul_f32_e32 v16, v20, v16
	v_fmac_f32_e32 v16, v21, v15
	v_fmac_f32_e32 v37, v25, v15
	v_fma_f32 v24, v20, v15, -v24
	v_add_f32_e32 v25, v35, v16
	v_mul_f32_e32 v15, v21, v18
	v_mul_f32_e32 v16, v20, v18
	v_fma_f32 v15, v20, v17, -v15
	v_fmac_f32_e32 v16, v21, v17
	v_add_f32_e32 v24, v34, v24
	v_add_f32_e32 v34, v19, v15
	v_add_f32_e32 v10, v10, v16
	ds_read2_b64 v[15:18], v13 offset0:64 offset1:80
	v_add_f32_e32 v37, v39, v37
	v_add_f32_e32 v22, v22, v38
	s_waitcnt lgkmcnt(0)
	v_mul_f32_e32 v19, v27, v16
	v_mul_f32_e32 v20, v26, v16
	v_fma_f32 v19, v26, v15, -v19
	v_fmac_f32_e32 v20, v27, v15
	v_add_f32_e32 v35, v36, v19
	v_add_f32_e32 v36, v37, v20
	v_mul_f32_e32 v19, v27, v18
	v_mul_f32_e32 v20, v26, v18
	v_fma_f32 v19, v26, v17, -v19
	v_fmac_f32_e32 v20, v27, v17
	v_add_f32_e32 v26, v22, v19
	v_add_f32_e32 v23, v23, v20
	ds_read_b128 v[19:22], v14 offset:1040
	s_waitcnt lgkmcnt(0)
	v_mul_f32_e32 v27, v20, v16
	v_mul_f32_e32 v16, v19, v16
	v_fmac_f32_e32 v16, v20, v15
	v_fma_f32 v27, v19, v15, -v27
	v_add_f32_e32 v25, v25, v16
	v_mul_f32_e32 v15, v20, v18
	v_mul_f32_e32 v16, v19, v18
	v_fma_f32 v15, v19, v17, -v15
	v_fmac_f32_e32 v16, v20, v17
	v_add_f32_e32 v19, v34, v15
	v_add_f32_e32 v10, v10, v16
	ds_read2_b64 v[15:18], v13 offset0:96 offset1:112
	v_add_f32_e32 v24, v24, v27
	s_waitcnt lgkmcnt(0)
	v_mul_f32_e32 v20, v29, v16
	v_mul_f32_e32 v34, v29, v18
	v_fma_f32 v20, v28, v15, -v20
	v_mul_f32_e32 v27, v28, v16
	v_fma_f32 v34, v28, v17, -v34
	v_mul_f32_e32 v28, v28, v18
	v_fmac_f32_e32 v28, v29, v17
	v_add_f32_e32 v23, v23, v28
	v_mul_f32_e32 v28, v22, v16
	v_mul_f32_e32 v16, v21, v16
	v_fmac_f32_e32 v16, v22, v15
	v_fmac_f32_e32 v27, v29, v15
	v_fma_f32 v28, v21, v15, -v28
	v_add_f32_e32 v25, v25, v16
	v_mul_f32_e32 v15, v22, v18
	v_mul_f32_e32 v16, v21, v18
	v_fma_f32 v15, v21, v17, -v15
	v_fmac_f32_e32 v16, v22, v17
	v_add_f32_e32 v24, v24, v28
	v_add_f32_e32 v28, v19, v15
	;; [unrolled: 1-line block ×3, first 2 shown]
	ds_read2_b64 v[15:18], v13 offset0:128 offset1:144
	v_add_f32_e32 v20, v35, v20
	v_add_f32_e32 v27, v36, v27
	;; [unrolled: 1-line block ×3, first 2 shown]
	s_waitcnt lgkmcnt(0)
	v_mul_f32_e32 v19, v31, v16
	v_fma_f32 v19, v30, v15, -v19
	v_mul_f32_e32 v21, v30, v16
	v_add_f32_e32 v29, v20, v19
	v_mul_f32_e32 v19, v31, v18
	v_mul_f32_e32 v20, v30, v18
	v_fmac_f32_e32 v21, v31, v15
	v_fma_f32 v19, v30, v17, -v19
	v_fmac_f32_e32 v20, v31, v17
	v_add_f32_e32 v27, v27, v21
	v_add_f32_e32 v26, v26, v19
	;; [unrolled: 1-line block ×3, first 2 shown]
	ds_read_b128 v[19:22], v14 offset:1056
	s_waitcnt lgkmcnt(0)
	v_mul_f32_e32 v30, v20, v16
	v_mul_f32_e32 v16, v19, v16
	v_fmac_f32_e32 v16, v20, v15
	v_fma_f32 v30, v19, v15, -v30
	v_add_f32_e32 v25, v25, v16
	v_mul_f32_e32 v15, v20, v18
	v_mul_f32_e32 v16, v19, v18
	v_fma_f32 v15, v19, v17, -v15
	v_fmac_f32_e32 v16, v20, v17
	v_add_f32_e32 v19, v28, v15
	v_add_f32_e32 v10, v10, v16
	ds_read2_b64 v[15:18], v13 offset0:160 offset1:176
	v_add_f32_e32 v24, v24, v30
	s_waitcnt lgkmcnt(0)
	v_mul_f32_e32 v28, v32, v16
	v_fmac_f32_e32 v28, v33, v15
	v_add_f32_e32 v27, v27, v28
	v_mul_f32_e32 v28, v33, v18
	v_fma_f32 v28, v32, v17, -v28
	v_mul_f32_e32 v20, v33, v16
	v_add_f32_e32 v26, v26, v28
	v_mul_f32_e32 v28, v22, v16
	v_mul_f32_e32 v16, v21, v16
	v_fmac_f32_e32 v16, v22, v15
	v_fma_f32 v20, v32, v15, -v20
	v_fma_f32 v28, v21, v15, -v28
	v_add_f32_e32 v25, v25, v16
	v_mul_f32_e32 v15, v22, v18
	v_mul_f32_e32 v16, v21, v18
	v_add_f32_e32 v20, v29, v20
	v_mul_f32_e32 v29, v32, v18
	v_fma_f32 v15, v21, v17, -v15
	v_fmac_f32_e32 v16, v22, v17
	v_fmac_f32_e32 v29, v33, v17
	v_add_f32_e32 v19, v19, v15
	v_add_f32_e32 v10, v10, v16
	ds_read2_b64 v[15:18], v13 offset0:192 offset1:208
	v_add_f32_e32 v24, v24, v28
	v_add_f32_e32 v23, v23, v29
	s_waitcnt lgkmcnt(0)
	v_mul_f32_e32 v21, v3, v16
	v_fma_f32 v21, v2, v15, -v21
	v_add_f32_e32 v28, v20, v21
	v_mul_f32_e32 v20, v3, v18
	v_mul_f32_e32 v22, v2, v16
	v_fma_f32 v20, v2, v17, -v20
	v_mul_f32_e32 v2, v2, v18
	v_fmac_f32_e32 v22, v3, v15
	v_fmac_f32_e32 v2, v3, v17
	v_add_f32_e32 v29, v27, v22
	v_add_f32_e32 v3, v26, v20
	;; [unrolled: 1-line block ×3, first 2 shown]
	ds_read_b128 v[20:23], v14 offset:1072
	s_waitcnt lgkmcnt(0)
	v_mul_f32_e32 v26, v21, v16
	v_fma_f32 v26, v20, v15, -v26
	v_mul_f32_e32 v16, v20, v16
	v_fmac_f32_e32 v16, v21, v15
	v_add_f32_e32 v15, v24, v26
	v_mul_f32_e32 v24, v21, v18
	v_fma_f32 v24, v20, v17, -v24
	v_add_f32_e32 v16, v25, v16
	v_add_f32_e32 v30, v19, v24
	ds_read2_b64 v[24:27], v13 offset0:224 offset1:240
	v_mul_f32_e32 v18, v20, v18
	v_fmac_f32_e32 v18, v21, v17
	v_add_f32_e32 v10, v10, v18
	s_waitcnt lgkmcnt(0)
	v_mul_f32_e32 v17, v5, v25
	v_fma_f32 v17, v4, v24, -v17
	v_add_f32_e32 v20, v28, v17
	v_mul_f32_e32 v17, v5, v27
	v_mul_f32_e32 v18, v4, v25
	v_fma_f32 v17, v4, v26, -v17
	v_mul_f32_e32 v4, v4, v27
	v_fmac_f32_e32 v18, v5, v24
	v_fmac_f32_e32 v4, v5, v26
	v_add_f32_e32 v21, v29, v18
	v_add_f32_e32 v19, v3, v17
	;; [unrolled: 1-line block ×3, first 2 shown]
	v_mul_f32_e32 v2, v23, v25
	v_mul_f32_e32 v3, v22, v25
	v_fma_f32 v2, v22, v24, -v2
	v_fmac_f32_e32 v3, v23, v24
	v_add_f32_e32 v17, v15, v2
	v_add_f32_e32 v16, v16, v3
	v_mul_f32_e32 v2, v23, v27
	v_mul_f32_e32 v3, v22, v27
	v_fma_f32 v2, v22, v26, -v2
	v_fmac_f32_e32 v3, v23, v26
	v_add_f32_e32 v15, v30, v2
	v_add_f32_e32 v10, v10, v3
	s_barrier
	s_cbranch_scc0 .LBB319_2
	s_branch .LBB319_4
.LBB319_3:
	v_mov_b32_e32 v20, 0
	v_mov_b32_e32 v21, 0
	;; [unrolled: 1-line block ×8, first 2 shown]
.LBB319_4:
	s_load_dwordx2 s[0:1], s[4:5], 0x48
	s_load_dword s9, s[4:5], 0x40
	v_add_u32_e32 v5, s7, v1
	v_add_u32_e32 v0, s6, v0
	v_cmp_gt_i32_e32 vcc, s10, v5
	s_waitcnt lgkmcnt(0)
	s_mul_i32 s1, s1, s8
	v_mad_i64_i32 v[1:2], s[12:13], v5, s9, 0
	s_mul_hi_u32 s4, s0, s8
	s_mul_i32 s0, s0, s8
	s_add_i32 s1, s4, s1
	s_lshl_b64 s[0:1], s[0:1], 3
	s_add_u32 s4, s2, s0
	v_lshlrev_b64 v[1:2], 3, v[1:2]
	s_addc_u32 s5, s3, s1
	v_mov_b32_e32 v3, s5
	v_add_co_u32_e64 v4, s[0:1], s4, v1
	v_addc_co_u32_e64 v6, s[0:1], v3, v2, s[0:1]
	v_cmp_le_i32_e64 s[0:1], v0, v5
	s_and_b64 s[0:1], vcc, s[0:1]
	s_and_saveexec_b64 s[2:3], s[0:1]
	s_cbranch_execz .LBB319_7
; %bb.5:
	v_ashrrev_i32_e32 v1, 31, v0
	v_lshlrev_b64 v[1:2], 3, v[0:1]
	v_add_co_u32_e64 v1, s[0:1], v4, v1
	v_addc_co_u32_e64 v2, s[0:1], v6, v2, s[0:1]
	global_load_dwordx2 v[7:8], v[1:2], off
	v_cmp_eq_u32_e64 s[0:1], v5, v0
	s_waitcnt vmcnt(0)
	v_sub_f32_e32 v7, v20, v7
	v_sub_f32_e32 v8, v21, v8
	global_store_dwordx2 v[1:2], v[7:8], off
	s_and_b64 exec, exec, s[0:1]
	s_cbranch_execz .LBB319_7
; %bb.6:
	v_mov_b32_e32 v3, 0
	global_store_dword v[1:2], v3, off offset:4
.LBB319_7:
	s_or_b64 exec, exec, s[2:3]
	v_add_u32_e32 v2, 16, v0
	v_cmp_le_i32_e64 s[0:1], v2, v5
	s_and_b64 s[2:3], vcc, s[0:1]
	s_and_saveexec_b64 s[0:1], s[2:3]
	s_cbranch_execz .LBB319_10
; %bb.8:
	v_ashrrev_i32_e32 v3, 31, v2
	v_lshlrev_b64 v[7:8], 3, v[2:3]
	v_add_co_u32_e32 v3, vcc, v4, v7
	v_addc_co_u32_e32 v4, vcc, v6, v8, vcc
	global_load_dwordx2 v[6:7], v[3:4], off
	v_cmp_eq_u32_e32 vcc, v5, v2
	s_waitcnt vmcnt(0)
	v_sub_f32_e32 v6, v19, v6
	v_sub_f32_e32 v7, v18, v7
	global_store_dwordx2 v[3:4], v[6:7], off
	s_and_b64 exec, exec, vcc
	s_cbranch_execz .LBB319_10
; %bb.9:
	v_mov_b32_e32 v1, 0
	global_store_dword v[3:4], v1, off offset:4
.LBB319_10:
	s_or_b64 exec, exec, s[0:1]
	v_add_u32_e32 v8, 16, v5
	v_mad_i64_i32 v[3:4], s[0:1], v8, s9, 0
	v_mov_b32_e32 v1, s5
	v_cmp_gt_i32_e32 vcc, s10, v8
	v_lshlrev_b64 v[3:4], 3, v[3:4]
	v_add_co_u32_e64 v6, s[0:1], s4, v3
	v_addc_co_u32_e64 v7, s[0:1], v1, v4, s[0:1]
	v_cmp_le_i32_e64 s[0:1], v0, v8
	s_and_b64 s[0:1], vcc, s[0:1]
	s_and_saveexec_b64 s[2:3], s[0:1]
	s_cbranch_execz .LBB319_13
; %bb.11:
	v_ashrrev_i32_e32 v1, 31, v0
	v_lshlrev_b64 v[3:4], 3, v[0:1]
	v_add_co_u32_e64 v3, s[0:1], v6, v3
	v_addc_co_u32_e64 v4, s[0:1], v7, v4, s[0:1]
	global_load_dwordx2 v[11:12], v[3:4], off
	v_cmp_eq_u32_e64 s[0:1], v8, v0
	s_waitcnt vmcnt(0)
	v_sub_f32_e32 v11, v17, v11
	v_sub_f32_e32 v12, v16, v12
	global_store_dwordx2 v[3:4], v[11:12], off
	s_and_b64 exec, exec, s[0:1]
	s_cbranch_execz .LBB319_13
; %bb.12:
	v_mov_b32_e32 v1, 0
	global_store_dword v[3:4], v1, off offset:4
.LBB319_13:
	s_or_b64 exec, exec, s[2:3]
	v_cmp_le_i32_e64 s[0:1], v2, v8
	s_and_b64 s[0:1], vcc, s[0:1]
	s_and_saveexec_b64 s[2:3], s[0:1]
	s_cbranch_execz .LBB319_16
; %bb.14:
	v_ashrrev_i32_e32 v3, 31, v2
	v_lshlrev_b64 v[1:2], 3, v[2:3]
	v_add_co_u32_e32 v1, vcc, v6, v1
	v_addc_co_u32_e32 v2, vcc, v7, v2, vcc
	global_load_dwordx2 v[3:4], v[1:2], off
	v_cmp_eq_u32_e32 vcc, v5, v0
	s_waitcnt vmcnt(0)
	v_sub_f32_e32 v3, v15, v3
	v_sub_f32_e32 v4, v10, v4
	global_store_dwordx2 v[1:2], v[3:4], off
	s_and_b64 exec, exec, vcc
	s_cbranch_execz .LBB319_16
; %bb.15:
	v_mov_b32_e32 v0, 0
	global_store_dword v[1:2], v0, off offset:4
.LBB319_16:
	s_endpgm
	.section	.rodata,"a",@progbits
	.p2align	6, 0x0
	.amdhsa_kernel _ZL37rocblas_syrkx_herkx_restricted_kernelIi19rocblas_complex_numIfELi16ELi32ELi8ELi1ELin1ELb1ELc84ELc85EKS1_S1_EviT_PT9_S3_lS5_S3_lPT10_S3_li
		.amdhsa_group_segment_fixed_size 4096
		.amdhsa_private_segment_fixed_size 0
		.amdhsa_kernarg_size 84
		.amdhsa_user_sgpr_count 6
		.amdhsa_user_sgpr_private_segment_buffer 1
		.amdhsa_user_sgpr_dispatch_ptr 0
		.amdhsa_user_sgpr_queue_ptr 0
		.amdhsa_user_sgpr_kernarg_segment_ptr 1
		.amdhsa_user_sgpr_dispatch_id 0
		.amdhsa_user_sgpr_flat_scratch_init 0
		.amdhsa_user_sgpr_private_segment_size 0
		.amdhsa_uses_dynamic_stack 0
		.amdhsa_system_sgpr_private_segment_wavefront_offset 0
		.amdhsa_system_sgpr_workgroup_id_x 1
		.amdhsa_system_sgpr_workgroup_id_y 1
		.amdhsa_system_sgpr_workgroup_id_z 1
		.amdhsa_system_sgpr_workgroup_info 0
		.amdhsa_system_vgpr_workitem_id 1
		.amdhsa_next_free_vgpr 41
		.amdhsa_next_free_sgpr 22
		.amdhsa_reserve_vcc 1
		.amdhsa_reserve_flat_scratch 0
		.amdhsa_float_round_mode_32 0
		.amdhsa_float_round_mode_16_64 0
		.amdhsa_float_denorm_mode_32 3
		.amdhsa_float_denorm_mode_16_64 3
		.amdhsa_dx10_clamp 1
		.amdhsa_ieee_mode 1
		.amdhsa_fp16_overflow 0
		.amdhsa_exception_fp_ieee_invalid_op 0
		.amdhsa_exception_fp_denorm_src 0
		.amdhsa_exception_fp_ieee_div_zero 0
		.amdhsa_exception_fp_ieee_overflow 0
		.amdhsa_exception_fp_ieee_underflow 0
		.amdhsa_exception_fp_ieee_inexact 0
		.amdhsa_exception_int_div_zero 0
	.end_amdhsa_kernel
	.section	.text._ZL37rocblas_syrkx_herkx_restricted_kernelIi19rocblas_complex_numIfELi16ELi32ELi8ELi1ELin1ELb1ELc84ELc85EKS1_S1_EviT_PT9_S3_lS5_S3_lPT10_S3_li,"axG",@progbits,_ZL37rocblas_syrkx_herkx_restricted_kernelIi19rocblas_complex_numIfELi16ELi32ELi8ELi1ELin1ELb1ELc84ELc85EKS1_S1_EviT_PT9_S3_lS5_S3_lPT10_S3_li,comdat
.Lfunc_end319:
	.size	_ZL37rocblas_syrkx_herkx_restricted_kernelIi19rocblas_complex_numIfELi16ELi32ELi8ELi1ELin1ELb1ELc84ELc85EKS1_S1_EviT_PT9_S3_lS5_S3_lPT10_S3_li, .Lfunc_end319-_ZL37rocblas_syrkx_herkx_restricted_kernelIi19rocblas_complex_numIfELi16ELi32ELi8ELi1ELin1ELb1ELc84ELc85EKS1_S1_EviT_PT9_S3_lS5_S3_lPT10_S3_li
                                        ; -- End function
	.set _ZL37rocblas_syrkx_herkx_restricted_kernelIi19rocblas_complex_numIfELi16ELi32ELi8ELi1ELin1ELb1ELc84ELc85EKS1_S1_EviT_PT9_S3_lS5_S3_lPT10_S3_li.num_vgpr, 41
	.set _ZL37rocblas_syrkx_herkx_restricted_kernelIi19rocblas_complex_numIfELi16ELi32ELi8ELi1ELin1ELb1ELc84ELc85EKS1_S1_EviT_PT9_S3_lS5_S3_lPT10_S3_li.num_agpr, 0
	.set _ZL37rocblas_syrkx_herkx_restricted_kernelIi19rocblas_complex_numIfELi16ELi32ELi8ELi1ELin1ELb1ELc84ELc85EKS1_S1_EviT_PT9_S3_lS5_S3_lPT10_S3_li.numbered_sgpr, 22
	.set _ZL37rocblas_syrkx_herkx_restricted_kernelIi19rocblas_complex_numIfELi16ELi32ELi8ELi1ELin1ELb1ELc84ELc85EKS1_S1_EviT_PT9_S3_lS5_S3_lPT10_S3_li.num_named_barrier, 0
	.set _ZL37rocblas_syrkx_herkx_restricted_kernelIi19rocblas_complex_numIfELi16ELi32ELi8ELi1ELin1ELb1ELc84ELc85EKS1_S1_EviT_PT9_S3_lS5_S3_lPT10_S3_li.private_seg_size, 0
	.set _ZL37rocblas_syrkx_herkx_restricted_kernelIi19rocblas_complex_numIfELi16ELi32ELi8ELi1ELin1ELb1ELc84ELc85EKS1_S1_EviT_PT9_S3_lS5_S3_lPT10_S3_li.uses_vcc, 1
	.set _ZL37rocblas_syrkx_herkx_restricted_kernelIi19rocblas_complex_numIfELi16ELi32ELi8ELi1ELin1ELb1ELc84ELc85EKS1_S1_EviT_PT9_S3_lS5_S3_lPT10_S3_li.uses_flat_scratch, 0
	.set _ZL37rocblas_syrkx_herkx_restricted_kernelIi19rocblas_complex_numIfELi16ELi32ELi8ELi1ELin1ELb1ELc84ELc85EKS1_S1_EviT_PT9_S3_lS5_S3_lPT10_S3_li.has_dyn_sized_stack, 0
	.set _ZL37rocblas_syrkx_herkx_restricted_kernelIi19rocblas_complex_numIfELi16ELi32ELi8ELi1ELin1ELb1ELc84ELc85EKS1_S1_EviT_PT9_S3_lS5_S3_lPT10_S3_li.has_recursion, 0
	.set _ZL37rocblas_syrkx_herkx_restricted_kernelIi19rocblas_complex_numIfELi16ELi32ELi8ELi1ELin1ELb1ELc84ELc85EKS1_S1_EviT_PT9_S3_lS5_S3_lPT10_S3_li.has_indirect_call, 0
	.section	.AMDGPU.csdata,"",@progbits
; Kernel info:
; codeLenInByte = 2064
; TotalNumSgprs: 26
; NumVgprs: 41
; ScratchSize: 0
; MemoryBound: 0
; FloatMode: 240
; IeeeMode: 1
; LDSByteSize: 4096 bytes/workgroup (compile time only)
; SGPRBlocks: 3
; VGPRBlocks: 10
; NumSGPRsForWavesPerEU: 26
; NumVGPRsForWavesPerEU: 41
; Occupancy: 5
; WaveLimiterHint : 0
; COMPUTE_PGM_RSRC2:SCRATCH_EN: 0
; COMPUTE_PGM_RSRC2:USER_SGPR: 6
; COMPUTE_PGM_RSRC2:TRAP_HANDLER: 0
; COMPUTE_PGM_RSRC2:TGID_X_EN: 1
; COMPUTE_PGM_RSRC2:TGID_Y_EN: 1
; COMPUTE_PGM_RSRC2:TGID_Z_EN: 1
; COMPUTE_PGM_RSRC2:TIDIG_COMP_CNT: 1
	.section	.text._ZL37rocblas_syrkx_herkx_restricted_kernelIi19rocblas_complex_numIfELi16ELi32ELi8ELi1ELin1ELb1ELc67ELc85EKS1_S1_EviT_PT9_S3_lS5_S3_lPT10_S3_li,"axG",@progbits,_ZL37rocblas_syrkx_herkx_restricted_kernelIi19rocblas_complex_numIfELi16ELi32ELi8ELi1ELin1ELb1ELc67ELc85EKS1_S1_EviT_PT9_S3_lS5_S3_lPT10_S3_li,comdat
	.globl	_ZL37rocblas_syrkx_herkx_restricted_kernelIi19rocblas_complex_numIfELi16ELi32ELi8ELi1ELin1ELb1ELc67ELc85EKS1_S1_EviT_PT9_S3_lS5_S3_lPT10_S3_li ; -- Begin function _ZL37rocblas_syrkx_herkx_restricted_kernelIi19rocblas_complex_numIfELi16ELi32ELi8ELi1ELin1ELb1ELc67ELc85EKS1_S1_EviT_PT9_S3_lS5_S3_lPT10_S3_li
	.p2align	8
	.type	_ZL37rocblas_syrkx_herkx_restricted_kernelIi19rocblas_complex_numIfELi16ELi32ELi8ELi1ELin1ELb1ELc67ELc85EKS1_S1_EviT_PT9_S3_lS5_S3_lPT10_S3_li,@function
_ZL37rocblas_syrkx_herkx_restricted_kernelIi19rocblas_complex_numIfELi16ELi32ELi8ELi1ELin1ELb1ELc67ELc85EKS1_S1_EviT_PT9_S3_lS5_S3_lPT10_S3_li: ; @_ZL37rocblas_syrkx_herkx_restricted_kernelIi19rocblas_complex_numIfELi16ELi32ELi8ELi1ELin1ELb1ELc67ELc85EKS1_S1_EviT_PT9_S3_lS5_S3_lPT10_S3_li
; %bb.0:
	s_load_dwordx2 s[10:11], s[4:5], 0x0
	s_load_dwordx4 s[0:3], s[4:5], 0x30
	s_lshl_b32 s6, s6, 5
	s_lshl_b32 s7, s7, 5
	s_mov_b32 s9, 0
	s_waitcnt lgkmcnt(0)
	s_cmp_lt_i32 s11, 1
	s_cbranch_scc1 .LBB320_3
; %bb.1:
	v_lshl_add_u32 v4, v1, 4, v0
	v_and_b32_e32 v7, 31, v4
	s_load_dwordx2 s[16:17], s[4:5], 0x8
	s_load_dword s20, s[4:5], 0x10
	s_load_dwordx4 s[12:15], s[4:5], 0x18
	s_load_dword s18, s[4:5], 0x28
	v_lshrrev_b32_e32 v6, 3, v4
	v_and_b32_e32 v9, 7, v0
	v_lshrrev_b32_e32 v4, 5, v4
	v_lshlrev_b32_e32 v8, 3, v7
	v_lshl_or_b32 v11, v4, 8, v8
	v_lshlrev_b32_e32 v8, 3, v9
	v_add_u32_e32 v2, s7, v6
	v_lshl_or_b32 v6, v6, 6, v8
	v_mov_b32_e32 v10, 0
	v_add_u32_e32 v12, 0x800, v6
	v_mov_b32_e32 v6, 0x800
	v_mov_b32_e32 v5, v10
	v_lshl_add_u32 v14, v1, 6, v6
	v_add_u32_e32 v6, s6, v7
	s_waitcnt lgkmcnt(0)
	v_mad_i64_i32 v[2:3], s[18:19], s18, v2, v[9:10]
	v_mad_i64_i32 v[4:5], s[18:19], s20, v6, v[4:5]
	s_mul_i32 s13, s13, s8
	s_mul_hi_u32 s21, s12, s8
	s_add_i32 s13, s21, s13
	s_mul_i32 s12, s12, s8
	s_lshl_b64 s[12:13], s[12:13], 3
	v_lshlrev_b64 v[4:5], 3, v[4:5]
	s_add_u32 s12, s16, s12
	s_addc_u32 s13, s17, s13
	v_add_co_u32_e32 v4, vcc, s12, v4
	s_mul_i32 s1, s1, s8
	s_mul_hi_u32 s12, s0, s8
	v_mov_b32_e32 v6, s13
	s_add_i32 s1, s12, s1
	s_mul_i32 s0, s0, s8
	v_addc_co_u32_e32 v5, vcc, v6, v5, vcc
	s_lshl_b64 s[0:1], s[0:1], 3
	v_add_co_u32_e32 v6, vcc, 4, v4
	v_lshlrev_b64 v[2:3], 3, v[2:3]
	s_add_u32 s0, s14, s0
	v_addc_co_u32_e32 v7, vcc, 0, v5, vcc
	s_addc_u32 s1, s15, s1
	v_mov_b32_e32 v4, s1
	v_add_co_u32_e32 v2, vcc, s0, v2
	v_addc_co_u32_e32 v3, vcc, v4, v3, vcc
	v_add_co_u32_e32 v8, vcc, 4, v2
	v_lshlrev_b32_e32 v13, 3, v0
	v_addc_co_u32_e32 v9, vcc, 0, v3, vcc
	v_mov_b32_e32 v15, v10
	v_mov_b32_e32 v16, v10
	;; [unrolled: 1-line block ×7, first 2 shown]
.LBB320_2:                              ; =>This Inner Loop Header: Depth=1
	global_load_dwordx2 v[2:3], v[6:7], off offset:-4
	v_add_co_u32_e32 v6, vcc, 64, v6
	v_addc_co_u32_e32 v7, vcc, 0, v7, vcc
	s_add_i32 s9, s9, 8
	s_cmp_ge_i32 s9, s11
	s_waitcnt vmcnt(0)
	v_xor_b32_e32 v3, 0x80000000, v3
	ds_write_b64 v11, v[2:3]
	global_load_dwordx2 v[2:3], v[8:9], off offset:-4
	v_add_co_u32_e32 v8, vcc, 64, v8
	v_addc_co_u32_e32 v9, vcc, 0, v9, vcc
	s_waitcnt vmcnt(0)
	ds_write_b64 v12, v[2:3]
	s_waitcnt lgkmcnt(0)
	s_barrier
	ds_read_b128 v[22:25], v14
	ds_read_b128 v[26:29], v14 offset:16
	ds_read_b128 v[30:33], v14 offset:32
	;; [unrolled: 1-line block ×3, first 2 shown]
	ds_read2_b64 v[34:37], v13 offset1:16
	s_waitcnt lgkmcnt(0)
	v_mul_f32_e32 v38, v23, v35
	v_mul_f32_e32 v39, v22, v35
	v_fma_f32 v38, v22, v34, -v38
	v_fmac_f32_e32 v39, v23, v34
	v_add_f32_e32 v38, v20, v38
	v_add_f32_e32 v39, v21, v39
	v_mul_f32_e32 v20, v23, v37
	v_mul_f32_e32 v21, v22, v37
	v_fma_f32 v20, v22, v36, -v20
	v_fmac_f32_e32 v21, v23, v36
	v_add_f32_e32 v22, v19, v20
	v_add_f32_e32 v23, v18, v21
	ds_read_b128 v[18:21], v14 offset:1024
	s_waitcnt lgkmcnt(0)
	v_mul_f32_e32 v40, v19, v35
	v_mul_f32_e32 v35, v18, v35
	v_fma_f32 v40, v18, v34, -v40
	v_fmac_f32_e32 v35, v19, v34
	v_add_f32_e32 v34, v17, v40
	v_add_f32_e32 v35, v16, v35
	v_mul_f32_e32 v16, v19, v37
	v_mul_f32_e32 v17, v18, v37
	v_fma_f32 v16, v18, v36, -v16
	v_fmac_f32_e32 v17, v19, v36
	v_add_f32_e32 v19, v15, v16
	v_add_f32_e32 v10, v10, v17
	ds_read2_b64 v[15:18], v13 offset0:32 offset1:48
	s_waitcnt lgkmcnt(0)
	v_mul_f32_e32 v36, v25, v16
	v_fma_f32 v36, v24, v15, -v36
	v_add_f32_e32 v36, v38, v36
	v_mul_f32_e32 v38, v25, v18
	v_mul_f32_e32 v37, v24, v16
	v_fma_f32 v38, v24, v17, -v38
	v_mul_f32_e32 v24, v24, v18
	v_fmac_f32_e32 v24, v25, v17
	v_add_f32_e32 v23, v23, v24
	v_mul_f32_e32 v24, v21, v16
	v_mul_f32_e32 v16, v20, v16
	v_fmac_f32_e32 v16, v21, v15
	v_fmac_f32_e32 v37, v25, v15
	v_fma_f32 v24, v20, v15, -v24
	v_add_f32_e32 v25, v35, v16
	v_mul_f32_e32 v15, v21, v18
	v_mul_f32_e32 v16, v20, v18
	v_fma_f32 v15, v20, v17, -v15
	v_fmac_f32_e32 v16, v21, v17
	v_add_f32_e32 v24, v34, v24
	v_add_f32_e32 v34, v19, v15
	;; [unrolled: 1-line block ×3, first 2 shown]
	ds_read2_b64 v[15:18], v13 offset0:64 offset1:80
	v_add_f32_e32 v37, v39, v37
	v_add_f32_e32 v22, v22, v38
	s_waitcnt lgkmcnt(0)
	v_mul_f32_e32 v19, v27, v16
	v_mul_f32_e32 v20, v26, v16
	v_fma_f32 v19, v26, v15, -v19
	v_fmac_f32_e32 v20, v27, v15
	v_add_f32_e32 v35, v36, v19
	v_add_f32_e32 v36, v37, v20
	v_mul_f32_e32 v19, v27, v18
	v_mul_f32_e32 v20, v26, v18
	v_fma_f32 v19, v26, v17, -v19
	v_fmac_f32_e32 v20, v27, v17
	v_add_f32_e32 v26, v22, v19
	v_add_f32_e32 v23, v23, v20
	ds_read_b128 v[19:22], v14 offset:1040
	s_waitcnt lgkmcnt(0)
	v_mul_f32_e32 v27, v20, v16
	v_mul_f32_e32 v16, v19, v16
	v_fmac_f32_e32 v16, v20, v15
	v_fma_f32 v27, v19, v15, -v27
	v_add_f32_e32 v25, v25, v16
	v_mul_f32_e32 v15, v20, v18
	v_mul_f32_e32 v16, v19, v18
	v_fma_f32 v15, v19, v17, -v15
	v_fmac_f32_e32 v16, v20, v17
	v_add_f32_e32 v19, v34, v15
	v_add_f32_e32 v10, v10, v16
	ds_read2_b64 v[15:18], v13 offset0:96 offset1:112
	v_add_f32_e32 v24, v24, v27
	s_waitcnt lgkmcnt(0)
	v_mul_f32_e32 v20, v29, v16
	v_mul_f32_e32 v34, v29, v18
	v_fma_f32 v20, v28, v15, -v20
	v_mul_f32_e32 v27, v28, v16
	v_fma_f32 v34, v28, v17, -v34
	v_mul_f32_e32 v28, v28, v18
	v_fmac_f32_e32 v28, v29, v17
	v_add_f32_e32 v23, v23, v28
	v_mul_f32_e32 v28, v22, v16
	v_mul_f32_e32 v16, v21, v16
	v_fmac_f32_e32 v16, v22, v15
	v_fmac_f32_e32 v27, v29, v15
	v_fma_f32 v28, v21, v15, -v28
	v_add_f32_e32 v25, v25, v16
	v_mul_f32_e32 v15, v22, v18
	v_mul_f32_e32 v16, v21, v18
	v_fma_f32 v15, v21, v17, -v15
	v_fmac_f32_e32 v16, v22, v17
	v_add_f32_e32 v24, v24, v28
	v_add_f32_e32 v28, v19, v15
	;; [unrolled: 1-line block ×3, first 2 shown]
	ds_read2_b64 v[15:18], v13 offset0:128 offset1:144
	v_add_f32_e32 v20, v35, v20
	v_add_f32_e32 v27, v36, v27
	;; [unrolled: 1-line block ×3, first 2 shown]
	s_waitcnt lgkmcnt(0)
	v_mul_f32_e32 v19, v31, v16
	v_fma_f32 v19, v30, v15, -v19
	v_mul_f32_e32 v21, v30, v16
	v_add_f32_e32 v29, v20, v19
	v_mul_f32_e32 v19, v31, v18
	v_mul_f32_e32 v20, v30, v18
	v_fmac_f32_e32 v21, v31, v15
	v_fma_f32 v19, v30, v17, -v19
	v_fmac_f32_e32 v20, v31, v17
	v_add_f32_e32 v27, v27, v21
	v_add_f32_e32 v26, v26, v19
	;; [unrolled: 1-line block ×3, first 2 shown]
	ds_read_b128 v[19:22], v14 offset:1056
	s_waitcnt lgkmcnt(0)
	v_mul_f32_e32 v30, v20, v16
	v_mul_f32_e32 v16, v19, v16
	v_fmac_f32_e32 v16, v20, v15
	v_fma_f32 v30, v19, v15, -v30
	v_add_f32_e32 v25, v25, v16
	v_mul_f32_e32 v15, v20, v18
	v_mul_f32_e32 v16, v19, v18
	v_fma_f32 v15, v19, v17, -v15
	v_fmac_f32_e32 v16, v20, v17
	v_add_f32_e32 v19, v28, v15
	v_add_f32_e32 v10, v10, v16
	ds_read2_b64 v[15:18], v13 offset0:160 offset1:176
	v_add_f32_e32 v24, v24, v30
	s_waitcnt lgkmcnt(0)
	v_mul_f32_e32 v28, v32, v16
	v_fmac_f32_e32 v28, v33, v15
	v_add_f32_e32 v27, v27, v28
	v_mul_f32_e32 v28, v33, v18
	v_fma_f32 v28, v32, v17, -v28
	v_mul_f32_e32 v20, v33, v16
	v_add_f32_e32 v26, v26, v28
	v_mul_f32_e32 v28, v22, v16
	v_mul_f32_e32 v16, v21, v16
	v_fmac_f32_e32 v16, v22, v15
	v_fma_f32 v20, v32, v15, -v20
	v_fma_f32 v28, v21, v15, -v28
	v_add_f32_e32 v25, v25, v16
	v_mul_f32_e32 v15, v22, v18
	v_mul_f32_e32 v16, v21, v18
	v_add_f32_e32 v20, v29, v20
	v_mul_f32_e32 v29, v32, v18
	v_fma_f32 v15, v21, v17, -v15
	v_fmac_f32_e32 v16, v22, v17
	v_fmac_f32_e32 v29, v33, v17
	v_add_f32_e32 v19, v19, v15
	v_add_f32_e32 v10, v10, v16
	ds_read2_b64 v[15:18], v13 offset0:192 offset1:208
	v_add_f32_e32 v24, v24, v28
	v_add_f32_e32 v23, v23, v29
	s_waitcnt lgkmcnt(0)
	v_mul_f32_e32 v21, v3, v16
	v_fma_f32 v21, v2, v15, -v21
	v_add_f32_e32 v28, v20, v21
	v_mul_f32_e32 v20, v3, v18
	v_mul_f32_e32 v22, v2, v16
	v_fma_f32 v20, v2, v17, -v20
	v_mul_f32_e32 v2, v2, v18
	v_fmac_f32_e32 v22, v3, v15
	v_fmac_f32_e32 v2, v3, v17
	v_add_f32_e32 v29, v27, v22
	v_add_f32_e32 v3, v26, v20
	;; [unrolled: 1-line block ×3, first 2 shown]
	ds_read_b128 v[20:23], v14 offset:1072
	s_waitcnt lgkmcnt(0)
	v_mul_f32_e32 v26, v21, v16
	v_fma_f32 v26, v20, v15, -v26
	v_mul_f32_e32 v16, v20, v16
	v_fmac_f32_e32 v16, v21, v15
	v_add_f32_e32 v15, v24, v26
	v_mul_f32_e32 v24, v21, v18
	v_fma_f32 v24, v20, v17, -v24
	v_add_f32_e32 v16, v25, v16
	v_add_f32_e32 v30, v19, v24
	ds_read2_b64 v[24:27], v13 offset0:224 offset1:240
	v_mul_f32_e32 v18, v20, v18
	v_fmac_f32_e32 v18, v21, v17
	v_add_f32_e32 v10, v10, v18
	s_waitcnt lgkmcnt(0)
	v_mul_f32_e32 v17, v5, v25
	v_fma_f32 v17, v4, v24, -v17
	v_add_f32_e32 v20, v28, v17
	v_mul_f32_e32 v17, v5, v27
	v_mul_f32_e32 v18, v4, v25
	v_fma_f32 v17, v4, v26, -v17
	v_mul_f32_e32 v4, v4, v27
	v_fmac_f32_e32 v18, v5, v24
	v_fmac_f32_e32 v4, v5, v26
	v_add_f32_e32 v21, v29, v18
	v_add_f32_e32 v19, v3, v17
	;; [unrolled: 1-line block ×3, first 2 shown]
	v_mul_f32_e32 v2, v23, v25
	v_mul_f32_e32 v3, v22, v25
	v_fma_f32 v2, v22, v24, -v2
	v_fmac_f32_e32 v3, v23, v24
	v_add_f32_e32 v17, v15, v2
	v_add_f32_e32 v16, v16, v3
	v_mul_f32_e32 v2, v23, v27
	v_mul_f32_e32 v3, v22, v27
	v_fma_f32 v2, v22, v26, -v2
	v_fmac_f32_e32 v3, v23, v26
	v_add_f32_e32 v15, v30, v2
	v_add_f32_e32 v10, v10, v3
	s_barrier
	s_cbranch_scc0 .LBB320_2
	s_branch .LBB320_4
.LBB320_3:
	v_mov_b32_e32 v20, 0
	v_mov_b32_e32 v21, 0
	;; [unrolled: 1-line block ×8, first 2 shown]
.LBB320_4:
	s_load_dwordx2 s[0:1], s[4:5], 0x48
	s_load_dword s9, s[4:5], 0x40
	v_add_u32_e32 v5, s7, v1
	v_add_u32_e32 v0, s6, v0
	v_cmp_gt_i32_e32 vcc, s10, v5
	s_waitcnt lgkmcnt(0)
	s_mul_i32 s1, s1, s8
	v_mad_i64_i32 v[1:2], s[12:13], v5, s9, 0
	s_mul_hi_u32 s4, s0, s8
	s_mul_i32 s0, s0, s8
	s_add_i32 s1, s4, s1
	s_lshl_b64 s[0:1], s[0:1], 3
	s_add_u32 s4, s2, s0
	v_lshlrev_b64 v[1:2], 3, v[1:2]
	s_addc_u32 s5, s3, s1
	v_mov_b32_e32 v3, s5
	v_add_co_u32_e64 v4, s[0:1], s4, v1
	v_addc_co_u32_e64 v6, s[0:1], v3, v2, s[0:1]
	v_cmp_le_i32_e64 s[0:1], v0, v5
	s_and_b64 s[0:1], vcc, s[0:1]
	s_and_saveexec_b64 s[2:3], s[0:1]
	s_cbranch_execz .LBB320_7
; %bb.5:
	v_ashrrev_i32_e32 v1, 31, v0
	v_lshlrev_b64 v[1:2], 3, v[0:1]
	v_add_co_u32_e64 v1, s[0:1], v4, v1
	v_addc_co_u32_e64 v2, s[0:1], v6, v2, s[0:1]
	global_load_dwordx2 v[7:8], v[1:2], off
	v_cmp_eq_u32_e64 s[0:1], v5, v0
	s_waitcnt vmcnt(0)
	v_sub_f32_e32 v7, v20, v7
	v_sub_f32_e32 v8, v21, v8
	global_store_dwordx2 v[1:2], v[7:8], off
	s_and_b64 exec, exec, s[0:1]
	s_cbranch_execz .LBB320_7
; %bb.6:
	v_mov_b32_e32 v3, 0
	global_store_dword v[1:2], v3, off offset:4
.LBB320_7:
	s_or_b64 exec, exec, s[2:3]
	v_add_u32_e32 v2, 16, v0
	v_cmp_le_i32_e64 s[0:1], v2, v5
	s_and_b64 s[2:3], vcc, s[0:1]
	s_and_saveexec_b64 s[0:1], s[2:3]
	s_cbranch_execz .LBB320_10
; %bb.8:
	v_ashrrev_i32_e32 v3, 31, v2
	v_lshlrev_b64 v[7:8], 3, v[2:3]
	v_add_co_u32_e32 v3, vcc, v4, v7
	v_addc_co_u32_e32 v4, vcc, v6, v8, vcc
	global_load_dwordx2 v[6:7], v[3:4], off
	v_cmp_eq_u32_e32 vcc, v5, v2
	s_waitcnt vmcnt(0)
	v_sub_f32_e32 v6, v19, v6
	v_sub_f32_e32 v7, v18, v7
	global_store_dwordx2 v[3:4], v[6:7], off
	s_and_b64 exec, exec, vcc
	s_cbranch_execz .LBB320_10
; %bb.9:
	v_mov_b32_e32 v1, 0
	global_store_dword v[3:4], v1, off offset:4
.LBB320_10:
	s_or_b64 exec, exec, s[0:1]
	v_add_u32_e32 v8, 16, v5
	v_mad_i64_i32 v[3:4], s[0:1], v8, s9, 0
	v_mov_b32_e32 v1, s5
	v_cmp_gt_i32_e32 vcc, s10, v8
	v_lshlrev_b64 v[3:4], 3, v[3:4]
	v_add_co_u32_e64 v6, s[0:1], s4, v3
	v_addc_co_u32_e64 v7, s[0:1], v1, v4, s[0:1]
	v_cmp_le_i32_e64 s[0:1], v0, v8
	s_and_b64 s[0:1], vcc, s[0:1]
	s_and_saveexec_b64 s[2:3], s[0:1]
	s_cbranch_execz .LBB320_13
; %bb.11:
	v_ashrrev_i32_e32 v1, 31, v0
	v_lshlrev_b64 v[3:4], 3, v[0:1]
	v_add_co_u32_e64 v3, s[0:1], v6, v3
	v_addc_co_u32_e64 v4, s[0:1], v7, v4, s[0:1]
	global_load_dwordx2 v[11:12], v[3:4], off
	v_cmp_eq_u32_e64 s[0:1], v8, v0
	s_waitcnt vmcnt(0)
	v_sub_f32_e32 v11, v17, v11
	v_sub_f32_e32 v12, v16, v12
	global_store_dwordx2 v[3:4], v[11:12], off
	s_and_b64 exec, exec, s[0:1]
	s_cbranch_execz .LBB320_13
; %bb.12:
	v_mov_b32_e32 v1, 0
	global_store_dword v[3:4], v1, off offset:4
.LBB320_13:
	s_or_b64 exec, exec, s[2:3]
	v_cmp_le_i32_e64 s[0:1], v2, v8
	s_and_b64 s[0:1], vcc, s[0:1]
	s_and_saveexec_b64 s[2:3], s[0:1]
	s_cbranch_execz .LBB320_16
; %bb.14:
	v_ashrrev_i32_e32 v3, 31, v2
	v_lshlrev_b64 v[1:2], 3, v[2:3]
	v_add_co_u32_e32 v1, vcc, v6, v1
	v_addc_co_u32_e32 v2, vcc, v7, v2, vcc
	global_load_dwordx2 v[3:4], v[1:2], off
	v_cmp_eq_u32_e32 vcc, v5, v0
	s_waitcnt vmcnt(0)
	v_sub_f32_e32 v3, v15, v3
	v_sub_f32_e32 v4, v10, v4
	global_store_dwordx2 v[1:2], v[3:4], off
	s_and_b64 exec, exec, vcc
	s_cbranch_execz .LBB320_16
; %bb.15:
	v_mov_b32_e32 v0, 0
	global_store_dword v[1:2], v0, off offset:4
.LBB320_16:
	s_endpgm
	.section	.rodata,"a",@progbits
	.p2align	6, 0x0
	.amdhsa_kernel _ZL37rocblas_syrkx_herkx_restricted_kernelIi19rocblas_complex_numIfELi16ELi32ELi8ELi1ELin1ELb1ELc67ELc85EKS1_S1_EviT_PT9_S3_lS5_S3_lPT10_S3_li
		.amdhsa_group_segment_fixed_size 4096
		.amdhsa_private_segment_fixed_size 0
		.amdhsa_kernarg_size 84
		.amdhsa_user_sgpr_count 6
		.amdhsa_user_sgpr_private_segment_buffer 1
		.amdhsa_user_sgpr_dispatch_ptr 0
		.amdhsa_user_sgpr_queue_ptr 0
		.amdhsa_user_sgpr_kernarg_segment_ptr 1
		.amdhsa_user_sgpr_dispatch_id 0
		.amdhsa_user_sgpr_flat_scratch_init 0
		.amdhsa_user_sgpr_private_segment_size 0
		.amdhsa_uses_dynamic_stack 0
		.amdhsa_system_sgpr_private_segment_wavefront_offset 0
		.amdhsa_system_sgpr_workgroup_id_x 1
		.amdhsa_system_sgpr_workgroup_id_y 1
		.amdhsa_system_sgpr_workgroup_id_z 1
		.amdhsa_system_sgpr_workgroup_info 0
		.amdhsa_system_vgpr_workitem_id 1
		.amdhsa_next_free_vgpr 41
		.amdhsa_next_free_sgpr 22
		.amdhsa_reserve_vcc 1
		.amdhsa_reserve_flat_scratch 0
		.amdhsa_float_round_mode_32 0
		.amdhsa_float_round_mode_16_64 0
		.amdhsa_float_denorm_mode_32 3
		.amdhsa_float_denorm_mode_16_64 3
		.amdhsa_dx10_clamp 1
		.amdhsa_ieee_mode 1
		.amdhsa_fp16_overflow 0
		.amdhsa_exception_fp_ieee_invalid_op 0
		.amdhsa_exception_fp_denorm_src 0
		.amdhsa_exception_fp_ieee_div_zero 0
		.amdhsa_exception_fp_ieee_overflow 0
		.amdhsa_exception_fp_ieee_underflow 0
		.amdhsa_exception_fp_ieee_inexact 0
		.amdhsa_exception_int_div_zero 0
	.end_amdhsa_kernel
	.section	.text._ZL37rocblas_syrkx_herkx_restricted_kernelIi19rocblas_complex_numIfELi16ELi32ELi8ELi1ELin1ELb1ELc67ELc85EKS1_S1_EviT_PT9_S3_lS5_S3_lPT10_S3_li,"axG",@progbits,_ZL37rocblas_syrkx_herkx_restricted_kernelIi19rocblas_complex_numIfELi16ELi32ELi8ELi1ELin1ELb1ELc67ELc85EKS1_S1_EviT_PT9_S3_lS5_S3_lPT10_S3_li,comdat
.Lfunc_end320:
	.size	_ZL37rocblas_syrkx_herkx_restricted_kernelIi19rocblas_complex_numIfELi16ELi32ELi8ELi1ELin1ELb1ELc67ELc85EKS1_S1_EviT_PT9_S3_lS5_S3_lPT10_S3_li, .Lfunc_end320-_ZL37rocblas_syrkx_herkx_restricted_kernelIi19rocblas_complex_numIfELi16ELi32ELi8ELi1ELin1ELb1ELc67ELc85EKS1_S1_EviT_PT9_S3_lS5_S3_lPT10_S3_li
                                        ; -- End function
	.set _ZL37rocblas_syrkx_herkx_restricted_kernelIi19rocblas_complex_numIfELi16ELi32ELi8ELi1ELin1ELb1ELc67ELc85EKS1_S1_EviT_PT9_S3_lS5_S3_lPT10_S3_li.num_vgpr, 41
	.set _ZL37rocblas_syrkx_herkx_restricted_kernelIi19rocblas_complex_numIfELi16ELi32ELi8ELi1ELin1ELb1ELc67ELc85EKS1_S1_EviT_PT9_S3_lS5_S3_lPT10_S3_li.num_agpr, 0
	.set _ZL37rocblas_syrkx_herkx_restricted_kernelIi19rocblas_complex_numIfELi16ELi32ELi8ELi1ELin1ELb1ELc67ELc85EKS1_S1_EviT_PT9_S3_lS5_S3_lPT10_S3_li.numbered_sgpr, 22
	.set _ZL37rocblas_syrkx_herkx_restricted_kernelIi19rocblas_complex_numIfELi16ELi32ELi8ELi1ELin1ELb1ELc67ELc85EKS1_S1_EviT_PT9_S3_lS5_S3_lPT10_S3_li.num_named_barrier, 0
	.set _ZL37rocblas_syrkx_herkx_restricted_kernelIi19rocblas_complex_numIfELi16ELi32ELi8ELi1ELin1ELb1ELc67ELc85EKS1_S1_EviT_PT9_S3_lS5_S3_lPT10_S3_li.private_seg_size, 0
	.set _ZL37rocblas_syrkx_herkx_restricted_kernelIi19rocblas_complex_numIfELi16ELi32ELi8ELi1ELin1ELb1ELc67ELc85EKS1_S1_EviT_PT9_S3_lS5_S3_lPT10_S3_li.uses_vcc, 1
	.set _ZL37rocblas_syrkx_herkx_restricted_kernelIi19rocblas_complex_numIfELi16ELi32ELi8ELi1ELin1ELb1ELc67ELc85EKS1_S1_EviT_PT9_S3_lS5_S3_lPT10_S3_li.uses_flat_scratch, 0
	.set _ZL37rocblas_syrkx_herkx_restricted_kernelIi19rocblas_complex_numIfELi16ELi32ELi8ELi1ELin1ELb1ELc67ELc85EKS1_S1_EviT_PT9_S3_lS5_S3_lPT10_S3_li.has_dyn_sized_stack, 0
	.set _ZL37rocblas_syrkx_herkx_restricted_kernelIi19rocblas_complex_numIfELi16ELi32ELi8ELi1ELin1ELb1ELc67ELc85EKS1_S1_EviT_PT9_S3_lS5_S3_lPT10_S3_li.has_recursion, 0
	.set _ZL37rocblas_syrkx_herkx_restricted_kernelIi19rocblas_complex_numIfELi16ELi32ELi8ELi1ELin1ELb1ELc67ELc85EKS1_S1_EviT_PT9_S3_lS5_S3_lPT10_S3_li.has_indirect_call, 0
	.section	.AMDGPU.csdata,"",@progbits
; Kernel info:
; codeLenInByte = 2072
; TotalNumSgprs: 26
; NumVgprs: 41
; ScratchSize: 0
; MemoryBound: 0
; FloatMode: 240
; IeeeMode: 1
; LDSByteSize: 4096 bytes/workgroup (compile time only)
; SGPRBlocks: 3
; VGPRBlocks: 10
; NumSGPRsForWavesPerEU: 26
; NumVGPRsForWavesPerEU: 41
; Occupancy: 5
; WaveLimiterHint : 0
; COMPUTE_PGM_RSRC2:SCRATCH_EN: 0
; COMPUTE_PGM_RSRC2:USER_SGPR: 6
; COMPUTE_PGM_RSRC2:TRAP_HANDLER: 0
; COMPUTE_PGM_RSRC2:TGID_X_EN: 1
; COMPUTE_PGM_RSRC2:TGID_Y_EN: 1
; COMPUTE_PGM_RSRC2:TGID_Z_EN: 1
; COMPUTE_PGM_RSRC2:TIDIG_COMP_CNT: 1
	.section	.text._ZL37rocblas_syrkx_herkx_restricted_kernelIi19rocblas_complex_numIfELi16ELi32ELi8ELi1ELin1ELb1ELc78ELc85EKS1_S1_EviT_PT9_S3_lS5_S3_lPT10_S3_li,"axG",@progbits,_ZL37rocblas_syrkx_herkx_restricted_kernelIi19rocblas_complex_numIfELi16ELi32ELi8ELi1ELin1ELb1ELc78ELc85EKS1_S1_EviT_PT9_S3_lS5_S3_lPT10_S3_li,comdat
	.globl	_ZL37rocblas_syrkx_herkx_restricted_kernelIi19rocblas_complex_numIfELi16ELi32ELi8ELi1ELin1ELb1ELc78ELc85EKS1_S1_EviT_PT9_S3_lS5_S3_lPT10_S3_li ; -- Begin function _ZL37rocblas_syrkx_herkx_restricted_kernelIi19rocblas_complex_numIfELi16ELi32ELi8ELi1ELin1ELb1ELc78ELc85EKS1_S1_EviT_PT9_S3_lS5_S3_lPT10_S3_li
	.p2align	8
	.type	_ZL37rocblas_syrkx_herkx_restricted_kernelIi19rocblas_complex_numIfELi16ELi32ELi8ELi1ELin1ELb1ELc78ELc85EKS1_S1_EviT_PT9_S3_lS5_S3_lPT10_S3_li,@function
_ZL37rocblas_syrkx_herkx_restricted_kernelIi19rocblas_complex_numIfELi16ELi32ELi8ELi1ELin1ELb1ELc78ELc85EKS1_S1_EviT_PT9_S3_lS5_S3_lPT10_S3_li: ; @_ZL37rocblas_syrkx_herkx_restricted_kernelIi19rocblas_complex_numIfELi16ELi32ELi8ELi1ELin1ELb1ELc78ELc85EKS1_S1_EviT_PT9_S3_lS5_S3_lPT10_S3_li
; %bb.0:
	s_load_dwordx2 s[10:11], s[4:5], 0x0
	s_load_dwordx4 s[0:3], s[4:5], 0x30
	s_lshl_b32 s9, s6, 5
	s_lshl_b32 s16, s7, 5
	s_mov_b32 s17, 0
	s_waitcnt lgkmcnt(0)
	s_cmp_lt_i32 s11, 1
	s_cbranch_scc1 .LBB321_3
; %bb.1:
	v_lshl_add_u32 v5, v1, 4, v0
	s_load_dword s6, s[4:5], 0x10
	s_load_dword s18, s[4:5], 0x28
	s_load_dwordx2 s[20:21], s[4:5], 0x8
	s_load_dwordx4 s[12:15], s[4:5], 0x18
	v_lshrrev_b32_e32 v6, 3, v5
	v_add_u32_e32 v2, s16, v6
	v_and_b32_e32 v4, 7, v0
	v_ashrrev_i32_e32 v3, 31, v2
	s_waitcnt lgkmcnt(0)
	v_mad_i64_i32 v[2:3], s[22:23], s18, v4, v[2:3]
	v_lshlrev_b32_e32 v4, 3, v4
	v_lshl_or_b32 v4, v6, 6, v4
	v_lshrrev_b32_e32 v7, 5, v5
	v_and_b32_e32 v5, 31, v5
	v_add_u32_e32 v11, 0x800, v4
	v_mov_b32_e32 v4, 0x800
	v_lshl_add_u32 v13, v1, 6, v4
	v_add_u32_e32 v4, s9, v5
	v_lshlrev_b32_e32 v8, 3, v5
	v_ashrrev_i32_e32 v5, 31, v4
	v_mad_i64_i32 v[4:5], s[22:23], s6, v7, v[4:5]
	s_mul_i32 s13, s13, s8
	s_mul_hi_u32 s24, s12, s8
	s_add_i32 s13, s24, s13
	s_mul_i32 s12, s12, s8
	s_ashr_i32 s7, s6, 31
	s_ashr_i32 s19, s18, 31
	s_lshl_b64 s[12:13], s[12:13], 3
	v_lshlrev_b64 v[4:5], 3, v[4:5]
	s_add_u32 s12, s20, s12
	s_addc_u32 s13, s21, s13
	v_add_co_u32_e32 v4, vcc, s12, v4
	s_mul_i32 s1, s1, s8
	s_mul_hi_u32 s12, s0, s8
	v_mov_b32_e32 v6, s13
	s_add_i32 s1, s12, s1
	s_mul_i32 s0, s0, s8
	v_addc_co_u32_e32 v5, vcc, v6, v5, vcc
	s_lshl_b64 s[6:7], s[6:7], 6
	s_lshl_b64 s[0:1], s[0:1], 3
	v_add_co_u32_e32 v6, vcc, 4, v4
	v_lshlrev_b64 v[2:3], 3, v[2:3]
	s_add_u32 s0, s14, s0
	v_lshl_or_b32 v10, v7, 8, v8
	v_addc_co_u32_e32 v7, vcc, 0, v5, vcc
	s_addc_u32 s1, s15, s1
	v_mov_b32_e32 v4, s1
	v_add_co_u32_e32 v2, vcc, s0, v2
	v_addc_co_u32_e32 v3, vcc, v4, v3, vcc
	v_add_co_u32_e32 v8, vcc, 4, v2
	s_lshl_b64 s[0:1], s[18:19], 6
	v_lshlrev_b32_e32 v12, 3, v0
	v_addc_co_u32_e32 v9, vcc, 0, v3, vcc
	v_mov_b32_e32 v16, 0
	v_mov_b32_e32 v14, s7
	;; [unrolled: 1-line block ×10, first 2 shown]
.LBB321_2:                              ; =>This Inner Loop Header: Depth=1
	global_load_dwordx2 v[2:3], v[6:7], off offset:-4
	v_add_co_u32_e32 v6, vcc, s6, v6
	v_addc_co_u32_e32 v7, vcc, v7, v14, vcc
	s_add_i32 s17, s17, 8
	s_cmp_ge_i32 s17, s11
	s_waitcnt vmcnt(0)
	ds_write_b64 v10, v[2:3]
	global_load_dwordx2 v[2:3], v[8:9], off offset:-4
	v_add_co_u32_e32 v8, vcc, s0, v8
	v_addc_co_u32_e32 v9, vcc, v9, v15, vcc
	s_waitcnt vmcnt(0)
	v_xor_b32_e32 v3, 0x80000000, v3
	ds_write_b64 v11, v[2:3]
	s_waitcnt lgkmcnt(0)
	s_barrier
	ds_read_b128 v[24:27], v13
	ds_read_b128 v[28:31], v13 offset:16
	ds_read_b128 v[32:35], v13 offset:32
	;; [unrolled: 1-line block ×3, first 2 shown]
	ds_read2_b64 v[36:39], v12 offset1:16
	s_waitcnt lgkmcnt(0)
	v_mul_f32_e32 v40, v25, v37
	v_mul_f32_e32 v41, v24, v37
	v_fma_f32 v40, v24, v36, -v40
	v_fmac_f32_e32 v41, v25, v36
	v_add_f32_e32 v40, v22, v40
	v_add_f32_e32 v41, v23, v41
	v_mul_f32_e32 v22, v25, v39
	v_mul_f32_e32 v23, v24, v39
	v_fma_f32 v22, v24, v38, -v22
	v_fmac_f32_e32 v23, v25, v38
	v_add_f32_e32 v24, v21, v22
	v_add_f32_e32 v25, v20, v23
	ds_read_b128 v[20:23], v13 offset:1024
	s_waitcnt lgkmcnt(0)
	v_mul_f32_e32 v42, v21, v37
	v_mul_f32_e32 v37, v20, v37
	v_fma_f32 v42, v20, v36, -v42
	v_fmac_f32_e32 v37, v21, v36
	v_add_f32_e32 v36, v19, v42
	v_add_f32_e32 v37, v18, v37
	v_mul_f32_e32 v18, v21, v39
	v_mul_f32_e32 v19, v20, v39
	v_fma_f32 v18, v20, v38, -v18
	v_fmac_f32_e32 v19, v21, v38
	v_add_f32_e32 v20, v17, v18
	v_add_f32_e32 v21, v16, v19
	ds_read2_b64 v[16:19], v12 offset0:32 offset1:48
	s_waitcnt lgkmcnt(0)
	v_mul_f32_e32 v38, v27, v17
	v_fma_f32 v38, v26, v16, -v38
	v_add_f32_e32 v38, v40, v38
	v_mul_f32_e32 v40, v27, v19
	v_mul_f32_e32 v39, v26, v17
	v_fma_f32 v40, v26, v18, -v40
	v_mul_f32_e32 v26, v26, v19
	v_fmac_f32_e32 v26, v27, v18
	v_add_f32_e32 v25, v25, v26
	v_mul_f32_e32 v26, v23, v17
	v_mul_f32_e32 v17, v22, v17
	v_fmac_f32_e32 v17, v23, v16
	v_fmac_f32_e32 v39, v27, v16
	v_fma_f32 v26, v22, v16, -v26
	v_add_f32_e32 v27, v37, v17
	v_mul_f32_e32 v16, v23, v19
	v_mul_f32_e32 v17, v22, v19
	v_fma_f32 v16, v22, v18, -v16
	v_fmac_f32_e32 v17, v23, v18
	v_add_f32_e32 v26, v36, v26
	v_add_f32_e32 v36, v20, v16
	;; [unrolled: 1-line block ×3, first 2 shown]
	ds_read2_b64 v[16:19], v12 offset0:64 offset1:80
	v_add_f32_e32 v39, v41, v39
	v_add_f32_e32 v24, v24, v40
	s_waitcnt lgkmcnt(0)
	v_mul_f32_e32 v20, v29, v17
	v_mul_f32_e32 v21, v28, v17
	v_fma_f32 v20, v28, v16, -v20
	v_fmac_f32_e32 v21, v29, v16
	v_add_f32_e32 v38, v38, v20
	v_add_f32_e32 v39, v39, v21
	v_mul_f32_e32 v20, v29, v19
	v_mul_f32_e32 v21, v28, v19
	v_fma_f32 v20, v28, v18, -v20
	v_fmac_f32_e32 v21, v29, v18
	v_add_f32_e32 v24, v24, v20
	v_add_f32_e32 v25, v25, v21
	ds_read_b128 v[20:23], v13 offset:1040
	s_waitcnt lgkmcnt(0)
	v_mul_f32_e32 v28, v21, v17
	v_mul_f32_e32 v17, v20, v17
	v_fmac_f32_e32 v17, v21, v16
	v_fma_f32 v28, v20, v16, -v28
	v_add_f32_e32 v27, v27, v17
	v_mul_f32_e32 v16, v21, v19
	v_mul_f32_e32 v17, v20, v19
	v_fma_f32 v16, v20, v18, -v16
	v_fmac_f32_e32 v17, v21, v18
	v_add_f32_e32 v20, v36, v16
	v_add_f32_e32 v21, v37, v17
	ds_read2_b64 v[16:19], v12 offset0:96 offset1:112
	v_add_f32_e32 v26, v26, v28
	s_waitcnt lgkmcnt(0)
	v_mul_f32_e32 v28, v31, v17
	v_mul_f32_e32 v36, v31, v19
	v_fma_f32 v28, v30, v16, -v28
	v_mul_f32_e32 v29, v30, v17
	v_fma_f32 v36, v30, v18, -v36
	v_mul_f32_e32 v30, v30, v19
	v_fmac_f32_e32 v30, v31, v18
	v_add_f32_e32 v25, v25, v30
	v_mul_f32_e32 v30, v23, v17
	v_mul_f32_e32 v17, v22, v17
	v_fmac_f32_e32 v17, v23, v16
	v_fmac_f32_e32 v29, v31, v16
	v_fma_f32 v30, v22, v16, -v30
	v_add_f32_e32 v27, v27, v17
	v_mul_f32_e32 v16, v23, v19
	v_mul_f32_e32 v17, v22, v19
	v_fma_f32 v16, v22, v18, -v16
	v_fmac_f32_e32 v17, v23, v18
	v_add_f32_e32 v26, v26, v30
	v_add_f32_e32 v30, v20, v16
	;; [unrolled: 1-line block ×3, first 2 shown]
	ds_read2_b64 v[16:19], v12 offset0:128 offset1:144
	v_add_f32_e32 v28, v38, v28
	v_add_f32_e32 v29, v39, v29
	;; [unrolled: 1-line block ×3, first 2 shown]
	s_waitcnt lgkmcnt(0)
	v_mul_f32_e32 v20, v33, v17
	v_mul_f32_e32 v21, v32, v17
	v_fma_f32 v20, v32, v16, -v20
	v_fmac_f32_e32 v21, v33, v16
	v_add_f32_e32 v28, v28, v20
	v_add_f32_e32 v29, v29, v21
	v_mul_f32_e32 v20, v33, v19
	v_mul_f32_e32 v21, v32, v19
	v_fma_f32 v20, v32, v18, -v20
	v_fmac_f32_e32 v21, v33, v18
	v_add_f32_e32 v24, v24, v20
	v_add_f32_e32 v25, v25, v21
	ds_read_b128 v[20:23], v13 offset:1056
	s_waitcnt lgkmcnt(0)
	v_mul_f32_e32 v32, v21, v17
	v_mul_f32_e32 v17, v20, v17
	v_fmac_f32_e32 v17, v21, v16
	v_fma_f32 v32, v20, v16, -v32
	v_add_f32_e32 v27, v27, v17
	v_mul_f32_e32 v16, v21, v19
	v_mul_f32_e32 v17, v20, v19
	v_fma_f32 v16, v20, v18, -v16
	v_fmac_f32_e32 v17, v21, v18
	v_add_f32_e32 v20, v30, v16
	v_add_f32_e32 v21, v31, v17
	ds_read2_b64 v[16:19], v12 offset0:160 offset1:176
	v_add_f32_e32 v26, v26, v32
	s_waitcnt lgkmcnt(0)
	v_mul_f32_e32 v30, v35, v17
	v_fma_f32 v30, v34, v16, -v30
	v_add_f32_e32 v28, v28, v30
	v_mul_f32_e32 v30, v35, v19
	v_fma_f32 v30, v34, v18, -v30
	v_mul_f32_e32 v31, v34, v17
	v_add_f32_e32 v24, v24, v30
	v_mul_f32_e32 v30, v23, v17
	v_mul_f32_e32 v17, v22, v17
	v_fmac_f32_e32 v17, v23, v16
	v_fmac_f32_e32 v31, v35, v16
	v_fma_f32 v30, v22, v16, -v30
	v_add_f32_e32 v27, v27, v17
	v_mul_f32_e32 v16, v23, v19
	v_mul_f32_e32 v17, v22, v19
	v_add_f32_e32 v29, v29, v31
	v_mul_f32_e32 v31, v34, v19
	v_fma_f32 v16, v22, v18, -v16
	v_fmac_f32_e32 v17, v23, v18
	v_fmac_f32_e32 v31, v35, v18
	v_add_f32_e32 v20, v20, v16
	v_add_f32_e32 v21, v21, v17
	ds_read2_b64 v[16:19], v12 offset0:192 offset1:208
	v_add_f32_e32 v26, v26, v30
	v_add_f32_e32 v25, v25, v31
	s_waitcnt lgkmcnt(0)
	v_mul_f32_e32 v22, v3, v17
	v_fma_f32 v22, v2, v16, -v22
	v_add_f32_e32 v30, v28, v22
	v_mul_f32_e32 v22, v3, v19
	v_mul_f32_e32 v23, v2, v17
	v_fma_f32 v22, v2, v18, -v22
	v_mul_f32_e32 v2, v2, v19
	v_fmac_f32_e32 v23, v3, v16
	v_fmac_f32_e32 v2, v3, v18
	v_add_f32_e32 v31, v29, v23
	v_add_f32_e32 v3, v24, v22
	;; [unrolled: 1-line block ×3, first 2 shown]
	ds_read_b128 v[22:25], v13 offset:1072
	s_waitcnt lgkmcnt(0)
	v_mul_f32_e32 v28, v23, v17
	v_fma_f32 v28, v22, v16, -v28
	v_mul_f32_e32 v17, v22, v17
	v_fmac_f32_e32 v17, v23, v16
	v_add_f32_e32 v16, v26, v28
	v_mul_f32_e32 v26, v23, v19
	v_fma_f32 v26, v22, v18, -v26
	v_add_f32_e32 v17, v27, v17
	v_add_f32_e32 v32, v20, v26
	ds_read2_b64 v[26:29], v12 offset0:224 offset1:240
	v_mul_f32_e32 v19, v22, v19
	v_fmac_f32_e32 v19, v23, v18
	v_add_f32_e32 v33, v21, v19
	s_waitcnt lgkmcnt(0)
	v_mul_f32_e32 v18, v5, v27
	v_fma_f32 v18, v4, v26, -v18
	v_add_f32_e32 v22, v30, v18
	v_mul_f32_e32 v18, v5, v29
	v_mul_f32_e32 v19, v4, v27
	v_fma_f32 v18, v4, v28, -v18
	v_mul_f32_e32 v4, v4, v29
	v_fmac_f32_e32 v4, v5, v28
	v_add_f32_e32 v21, v3, v18
	v_add_f32_e32 v20, v2, v4
	v_mul_f32_e32 v2, v25, v27
	v_mul_f32_e32 v3, v24, v27
	v_fmac_f32_e32 v19, v5, v26
	v_fma_f32 v2, v24, v26, -v2
	v_fmac_f32_e32 v3, v25, v26
	v_add_f32_e32 v23, v31, v19
	v_add_f32_e32 v19, v16, v2
	;; [unrolled: 1-line block ×3, first 2 shown]
	v_mul_f32_e32 v2, v25, v29
	v_mul_f32_e32 v3, v24, v29
	v_fma_f32 v2, v24, v28, -v2
	v_fmac_f32_e32 v3, v25, v28
	v_add_f32_e32 v17, v32, v2
	v_add_f32_e32 v16, v33, v3
	s_barrier
	s_cbranch_scc0 .LBB321_2
	s_branch .LBB321_4
.LBB321_3:
	v_mov_b32_e32 v22, 0
	v_mov_b32_e32 v23, 0
	;; [unrolled: 1-line block ×8, first 2 shown]
.LBB321_4:
	s_load_dwordx2 s[0:1], s[4:5], 0x48
	s_load_dword s6, s[4:5], 0x40
	v_add_u32_e32 v5, s16, v1
	v_add_u32_e32 v0, s9, v0
	v_cmp_gt_i32_e32 vcc, s10, v5
	s_waitcnt lgkmcnt(0)
	s_mul_i32 s1, s1, s8
	v_mad_i64_i32 v[1:2], s[12:13], v5, s6, 0
	s_mul_hi_u32 s4, s0, s8
	s_mul_i32 s0, s0, s8
	s_add_i32 s1, s4, s1
	s_lshl_b64 s[0:1], s[0:1], 3
	s_add_u32 s4, s2, s0
	v_lshlrev_b64 v[1:2], 3, v[1:2]
	s_addc_u32 s5, s3, s1
	v_mov_b32_e32 v3, s5
	v_add_co_u32_e64 v4, s[0:1], s4, v1
	v_addc_co_u32_e64 v6, s[0:1], v3, v2, s[0:1]
	v_cmp_le_i32_e64 s[0:1], v0, v5
	s_and_b64 s[0:1], vcc, s[0:1]
	s_and_saveexec_b64 s[2:3], s[0:1]
	s_cbranch_execz .LBB321_7
; %bb.5:
	v_ashrrev_i32_e32 v1, 31, v0
	v_lshlrev_b64 v[1:2], 3, v[0:1]
	v_add_co_u32_e64 v1, s[0:1], v4, v1
	v_addc_co_u32_e64 v2, s[0:1], v6, v2, s[0:1]
	global_load_dwordx2 v[7:8], v[1:2], off
	v_cmp_eq_u32_e64 s[0:1], v5, v0
	s_waitcnt vmcnt(0)
	v_sub_f32_e32 v7, v22, v7
	v_sub_f32_e32 v8, v23, v8
	global_store_dwordx2 v[1:2], v[7:8], off
	s_and_b64 exec, exec, s[0:1]
	s_cbranch_execz .LBB321_7
; %bb.6:
	v_mov_b32_e32 v3, 0
	global_store_dword v[1:2], v3, off offset:4
.LBB321_7:
	s_or_b64 exec, exec, s[2:3]
	v_add_u32_e32 v2, 16, v0
	v_cmp_le_i32_e64 s[0:1], v2, v5
	s_and_b64 s[2:3], vcc, s[0:1]
	s_and_saveexec_b64 s[0:1], s[2:3]
	s_cbranch_execz .LBB321_10
; %bb.8:
	v_ashrrev_i32_e32 v3, 31, v2
	v_lshlrev_b64 v[7:8], 3, v[2:3]
	v_add_co_u32_e32 v3, vcc, v4, v7
	v_addc_co_u32_e32 v4, vcc, v6, v8, vcc
	global_load_dwordx2 v[6:7], v[3:4], off
	v_cmp_eq_u32_e32 vcc, v5, v2
	s_waitcnt vmcnt(0)
	v_sub_f32_e32 v6, v21, v6
	v_sub_f32_e32 v7, v20, v7
	global_store_dwordx2 v[3:4], v[6:7], off
	s_and_b64 exec, exec, vcc
	s_cbranch_execz .LBB321_10
; %bb.9:
	v_mov_b32_e32 v1, 0
	global_store_dword v[3:4], v1, off offset:4
.LBB321_10:
	s_or_b64 exec, exec, s[0:1]
	v_add_u32_e32 v8, 16, v5
	v_mad_i64_i32 v[3:4], s[0:1], v8, s6, 0
	v_mov_b32_e32 v1, s5
	v_cmp_gt_i32_e32 vcc, s10, v8
	v_lshlrev_b64 v[3:4], 3, v[3:4]
	v_add_co_u32_e64 v6, s[0:1], s4, v3
	v_addc_co_u32_e64 v7, s[0:1], v1, v4, s[0:1]
	v_cmp_le_i32_e64 s[0:1], v0, v8
	s_and_b64 s[0:1], vcc, s[0:1]
	s_and_saveexec_b64 s[2:3], s[0:1]
	s_cbranch_execz .LBB321_13
; %bb.11:
	v_ashrrev_i32_e32 v1, 31, v0
	v_lshlrev_b64 v[3:4], 3, v[0:1]
	v_add_co_u32_e64 v3, s[0:1], v6, v3
	v_addc_co_u32_e64 v4, s[0:1], v7, v4, s[0:1]
	global_load_dwordx2 v[9:10], v[3:4], off
	v_cmp_eq_u32_e64 s[0:1], v8, v0
	s_waitcnt vmcnt(0)
	v_sub_f32_e32 v9, v19, v9
	v_sub_f32_e32 v10, v18, v10
	global_store_dwordx2 v[3:4], v[9:10], off
	s_and_b64 exec, exec, s[0:1]
	s_cbranch_execz .LBB321_13
; %bb.12:
	v_mov_b32_e32 v1, 0
	global_store_dword v[3:4], v1, off offset:4
.LBB321_13:
	s_or_b64 exec, exec, s[2:3]
	v_cmp_le_i32_e64 s[0:1], v2, v8
	s_and_b64 s[0:1], vcc, s[0:1]
	s_and_saveexec_b64 s[2:3], s[0:1]
	s_cbranch_execz .LBB321_16
; %bb.14:
	v_ashrrev_i32_e32 v3, 31, v2
	v_lshlrev_b64 v[1:2], 3, v[2:3]
	v_add_co_u32_e32 v1, vcc, v6, v1
	v_addc_co_u32_e32 v2, vcc, v7, v2, vcc
	global_load_dwordx2 v[3:4], v[1:2], off
	v_cmp_eq_u32_e32 vcc, v5, v0
	s_waitcnt vmcnt(0)
	v_sub_f32_e32 v3, v17, v3
	v_sub_f32_e32 v4, v16, v4
	global_store_dwordx2 v[1:2], v[3:4], off
	s_and_b64 exec, exec, vcc
	s_cbranch_execz .LBB321_16
; %bb.15:
	v_mov_b32_e32 v0, 0
	global_store_dword v[1:2], v0, off offset:4
.LBB321_16:
	s_endpgm
	.section	.rodata,"a",@progbits
	.p2align	6, 0x0
	.amdhsa_kernel _ZL37rocblas_syrkx_herkx_restricted_kernelIi19rocblas_complex_numIfELi16ELi32ELi8ELi1ELin1ELb1ELc78ELc85EKS1_S1_EviT_PT9_S3_lS5_S3_lPT10_S3_li
		.amdhsa_group_segment_fixed_size 4096
		.amdhsa_private_segment_fixed_size 0
		.amdhsa_kernarg_size 84
		.amdhsa_user_sgpr_count 6
		.amdhsa_user_sgpr_private_segment_buffer 1
		.amdhsa_user_sgpr_dispatch_ptr 0
		.amdhsa_user_sgpr_queue_ptr 0
		.amdhsa_user_sgpr_kernarg_segment_ptr 1
		.amdhsa_user_sgpr_dispatch_id 0
		.amdhsa_user_sgpr_flat_scratch_init 0
		.amdhsa_user_sgpr_private_segment_size 0
		.amdhsa_uses_dynamic_stack 0
		.amdhsa_system_sgpr_private_segment_wavefront_offset 0
		.amdhsa_system_sgpr_workgroup_id_x 1
		.amdhsa_system_sgpr_workgroup_id_y 1
		.amdhsa_system_sgpr_workgroup_id_z 1
		.amdhsa_system_sgpr_workgroup_info 0
		.amdhsa_system_vgpr_workitem_id 1
		.amdhsa_next_free_vgpr 43
		.amdhsa_next_free_sgpr 25
		.amdhsa_reserve_vcc 1
		.amdhsa_reserve_flat_scratch 0
		.amdhsa_float_round_mode_32 0
		.amdhsa_float_round_mode_16_64 0
		.amdhsa_float_denorm_mode_32 3
		.amdhsa_float_denorm_mode_16_64 3
		.amdhsa_dx10_clamp 1
		.amdhsa_ieee_mode 1
		.amdhsa_fp16_overflow 0
		.amdhsa_exception_fp_ieee_invalid_op 0
		.amdhsa_exception_fp_denorm_src 0
		.amdhsa_exception_fp_ieee_div_zero 0
		.amdhsa_exception_fp_ieee_overflow 0
		.amdhsa_exception_fp_ieee_underflow 0
		.amdhsa_exception_fp_ieee_inexact 0
		.amdhsa_exception_int_div_zero 0
	.end_amdhsa_kernel
	.section	.text._ZL37rocblas_syrkx_herkx_restricted_kernelIi19rocblas_complex_numIfELi16ELi32ELi8ELi1ELin1ELb1ELc78ELc85EKS1_S1_EviT_PT9_S3_lS5_S3_lPT10_S3_li,"axG",@progbits,_ZL37rocblas_syrkx_herkx_restricted_kernelIi19rocblas_complex_numIfELi16ELi32ELi8ELi1ELin1ELb1ELc78ELc85EKS1_S1_EviT_PT9_S3_lS5_S3_lPT10_S3_li,comdat
.Lfunc_end321:
	.size	_ZL37rocblas_syrkx_herkx_restricted_kernelIi19rocblas_complex_numIfELi16ELi32ELi8ELi1ELin1ELb1ELc78ELc85EKS1_S1_EviT_PT9_S3_lS5_S3_lPT10_S3_li, .Lfunc_end321-_ZL37rocblas_syrkx_herkx_restricted_kernelIi19rocblas_complex_numIfELi16ELi32ELi8ELi1ELin1ELb1ELc78ELc85EKS1_S1_EviT_PT9_S3_lS5_S3_lPT10_S3_li
                                        ; -- End function
	.set _ZL37rocblas_syrkx_herkx_restricted_kernelIi19rocblas_complex_numIfELi16ELi32ELi8ELi1ELin1ELb1ELc78ELc85EKS1_S1_EviT_PT9_S3_lS5_S3_lPT10_S3_li.num_vgpr, 43
	.set _ZL37rocblas_syrkx_herkx_restricted_kernelIi19rocblas_complex_numIfELi16ELi32ELi8ELi1ELin1ELb1ELc78ELc85EKS1_S1_EviT_PT9_S3_lS5_S3_lPT10_S3_li.num_agpr, 0
	.set _ZL37rocblas_syrkx_herkx_restricted_kernelIi19rocblas_complex_numIfELi16ELi32ELi8ELi1ELin1ELb1ELc78ELc85EKS1_S1_EviT_PT9_S3_lS5_S3_lPT10_S3_li.numbered_sgpr, 25
	.set _ZL37rocblas_syrkx_herkx_restricted_kernelIi19rocblas_complex_numIfELi16ELi32ELi8ELi1ELin1ELb1ELc78ELc85EKS1_S1_EviT_PT9_S3_lS5_S3_lPT10_S3_li.num_named_barrier, 0
	.set _ZL37rocblas_syrkx_herkx_restricted_kernelIi19rocblas_complex_numIfELi16ELi32ELi8ELi1ELin1ELb1ELc78ELc85EKS1_S1_EviT_PT9_S3_lS5_S3_lPT10_S3_li.private_seg_size, 0
	.set _ZL37rocblas_syrkx_herkx_restricted_kernelIi19rocblas_complex_numIfELi16ELi32ELi8ELi1ELin1ELb1ELc78ELc85EKS1_S1_EviT_PT9_S3_lS5_S3_lPT10_S3_li.uses_vcc, 1
	.set _ZL37rocblas_syrkx_herkx_restricted_kernelIi19rocblas_complex_numIfELi16ELi32ELi8ELi1ELin1ELb1ELc78ELc85EKS1_S1_EviT_PT9_S3_lS5_S3_lPT10_S3_li.uses_flat_scratch, 0
	.set _ZL37rocblas_syrkx_herkx_restricted_kernelIi19rocblas_complex_numIfELi16ELi32ELi8ELi1ELin1ELb1ELc78ELc85EKS1_S1_EviT_PT9_S3_lS5_S3_lPT10_S3_li.has_dyn_sized_stack, 0
	.set _ZL37rocblas_syrkx_herkx_restricted_kernelIi19rocblas_complex_numIfELi16ELi32ELi8ELi1ELin1ELb1ELc78ELc85EKS1_S1_EviT_PT9_S3_lS5_S3_lPT10_S3_li.has_recursion, 0
	.set _ZL37rocblas_syrkx_herkx_restricted_kernelIi19rocblas_complex_numIfELi16ELi32ELi8ELi1ELin1ELb1ELc78ELc85EKS1_S1_EviT_PT9_S3_lS5_S3_lPT10_S3_li.has_indirect_call, 0
	.section	.AMDGPU.csdata,"",@progbits
; Kernel info:
; codeLenInByte = 2100
; TotalNumSgprs: 29
; NumVgprs: 43
; ScratchSize: 0
; MemoryBound: 0
; FloatMode: 240
; IeeeMode: 1
; LDSByteSize: 4096 bytes/workgroup (compile time only)
; SGPRBlocks: 3
; VGPRBlocks: 10
; NumSGPRsForWavesPerEU: 29
; NumVGPRsForWavesPerEU: 43
; Occupancy: 5
; WaveLimiterHint : 0
; COMPUTE_PGM_RSRC2:SCRATCH_EN: 0
; COMPUTE_PGM_RSRC2:USER_SGPR: 6
; COMPUTE_PGM_RSRC2:TRAP_HANDLER: 0
; COMPUTE_PGM_RSRC2:TGID_X_EN: 1
; COMPUTE_PGM_RSRC2:TGID_Y_EN: 1
; COMPUTE_PGM_RSRC2:TGID_Z_EN: 1
; COMPUTE_PGM_RSRC2:TIDIG_COMP_CNT: 1
	.section	.text._ZL37rocblas_syrkx_herkx_restricted_kernelIi19rocblas_complex_numIfELi16ELi32ELi8ELi1ELi0ELb1ELc84ELc76EKS1_S1_EviT_PT9_S3_lS5_S3_lPT10_S3_li,"axG",@progbits,_ZL37rocblas_syrkx_herkx_restricted_kernelIi19rocblas_complex_numIfELi16ELi32ELi8ELi1ELi0ELb1ELc84ELc76EKS1_S1_EviT_PT9_S3_lS5_S3_lPT10_S3_li,comdat
	.globl	_ZL37rocblas_syrkx_herkx_restricted_kernelIi19rocblas_complex_numIfELi16ELi32ELi8ELi1ELi0ELb1ELc84ELc76EKS1_S1_EviT_PT9_S3_lS5_S3_lPT10_S3_li ; -- Begin function _ZL37rocblas_syrkx_herkx_restricted_kernelIi19rocblas_complex_numIfELi16ELi32ELi8ELi1ELi0ELb1ELc84ELc76EKS1_S1_EviT_PT9_S3_lS5_S3_lPT10_S3_li
	.p2align	8
	.type	_ZL37rocblas_syrkx_herkx_restricted_kernelIi19rocblas_complex_numIfELi16ELi32ELi8ELi1ELi0ELb1ELc84ELc76EKS1_S1_EviT_PT9_S3_lS5_S3_lPT10_S3_li,@function
_ZL37rocblas_syrkx_herkx_restricted_kernelIi19rocblas_complex_numIfELi16ELi32ELi8ELi1ELi0ELb1ELc84ELc76EKS1_S1_EviT_PT9_S3_lS5_S3_lPT10_S3_li: ; @_ZL37rocblas_syrkx_herkx_restricted_kernelIi19rocblas_complex_numIfELi16ELi32ELi8ELi1ELi0ELb1ELc84ELc76EKS1_S1_EviT_PT9_S3_lS5_S3_lPT10_S3_li
; %bb.0:
	s_load_dwordx2 s[10:11], s[4:5], 0x0
	s_load_dwordx4 s[0:3], s[4:5], 0x30
	s_lshl_b32 s6, s6, 5
	s_lshl_b32 s7, s7, 5
	s_mov_b32 s9, 0
	s_waitcnt lgkmcnt(0)
	s_cmp_lt_i32 s11, 1
	s_cbranch_scc1 .LBB322_3
; %bb.1:
	v_lshl_add_u32 v4, v1, 4, v0
	v_and_b32_e32 v7, 31, v4
	s_load_dwordx2 s[16:17], s[4:5], 0x8
	s_load_dword s20, s[4:5], 0x10
	s_load_dwordx4 s[12:15], s[4:5], 0x18
	s_load_dword s18, s[4:5], 0x28
	v_lshrrev_b32_e32 v6, 3, v4
	v_and_b32_e32 v9, 7, v0
	v_lshrrev_b32_e32 v4, 5, v4
	v_lshlrev_b32_e32 v8, 3, v7
	v_lshl_or_b32 v15, v4, 8, v8
	v_lshlrev_b32_e32 v8, 3, v9
	v_add_u32_e32 v2, s7, v6
	v_lshl_or_b32 v6, v6, 6, v8
	v_mov_b32_e32 v10, 0
	v_add_u32_e32 v16, 0x800, v6
	v_mov_b32_e32 v6, 0x800
	v_mov_b32_e32 v5, v10
	v_lshl_add_u32 v18, v1, 6, v6
	v_add_u32_e32 v6, s6, v7
	s_waitcnt lgkmcnt(0)
	v_mad_i64_i32 v[2:3], s[18:19], s18, v2, v[9:10]
	v_mad_i64_i32 v[4:5], s[18:19], s20, v6, v[4:5]
	s_mul_i32 s13, s13, s8
	s_mul_hi_u32 s21, s12, s8
	s_add_i32 s13, s21, s13
	s_mul_i32 s12, s12, s8
	s_lshl_b64 s[12:13], s[12:13], 3
	v_lshlrev_b64 v[4:5], 3, v[4:5]
	s_add_u32 s12, s16, s12
	s_addc_u32 s13, s17, s13
	v_add_co_u32_e32 v4, vcc, s12, v4
	s_mul_i32 s1, s1, s8
	s_mul_hi_u32 s12, s0, s8
	v_mov_b32_e32 v6, s13
	s_add_i32 s1, s12, s1
	s_mul_i32 s0, s0, s8
	v_addc_co_u32_e32 v5, vcc, v6, v5, vcc
	s_lshl_b64 s[0:1], s[0:1], 3
	v_add_co_u32_e32 v6, vcc, 4, v4
	v_lshlrev_b64 v[2:3], 3, v[2:3]
	s_add_u32 s0, s14, s0
	v_addc_co_u32_e32 v7, vcc, 0, v5, vcc
	s_addc_u32 s1, s15, s1
	v_mov_b32_e32 v4, s1
	v_add_co_u32_e32 v2, vcc, s0, v2
	v_addc_co_u32_e32 v3, vcc, v4, v3, vcc
	v_add_co_u32_e32 v8, vcc, 4, v2
	v_lshlrev_b32_e32 v17, 3, v0
	v_addc_co_u32_e32 v9, vcc, 0, v3, vcc
	v_mov_b32_e32 v11, v10
	v_mov_b32_e32 v19, v10
	;; [unrolled: 1-line block ×7, first 2 shown]
.LBB322_2:                              ; =>This Inner Loop Header: Depth=1
	global_load_dwordx2 v[2:3], v[6:7], off offset:-4
	v_add_co_u32_e32 v6, vcc, 64, v6
	v_addc_co_u32_e32 v7, vcc, 0, v7, vcc
	s_add_i32 s9, s9, 8
	s_cmp_ge_i32 s9, s11
	s_waitcnt vmcnt(0)
	ds_write_b64 v15, v[2:3]
	global_load_dwordx2 v[2:3], v[8:9], off offset:-4
	v_add_co_u32_e32 v8, vcc, 64, v8
	v_addc_co_u32_e32 v9, vcc, 0, v9, vcc
	s_waitcnt vmcnt(0)
	ds_write_b64 v16, v[2:3]
	s_waitcnt lgkmcnt(0)
	s_barrier
	ds_read_b128 v[22:25], v18
	ds_read_b128 v[26:29], v18 offset:16
	ds_read_b128 v[30:33], v18 offset:32
	;; [unrolled: 1-line block ×3, first 2 shown]
	ds_read2_b64 v[34:37], v17 offset1:16
	s_waitcnt lgkmcnt(0)
	v_mul_f32_e32 v38, v23, v35
	v_mul_f32_e32 v39, v22, v35
	v_fma_f32 v38, v22, v34, -v38
	v_fmac_f32_e32 v39, v23, v34
	v_add_f32_e32 v14, v14, v38
	v_add_f32_e32 v38, v21, v39
	v_mul_f32_e32 v21, v23, v37
	v_fma_f32 v21, v22, v36, -v21
	v_mul_f32_e32 v22, v22, v37
	v_fmac_f32_e32 v22, v23, v36
	v_add_f32_e32 v39, v13, v21
	v_add_f32_e32 v40, v20, v22
	ds_read_b128 v[20:23], v18 offset:1024
	s_waitcnt lgkmcnt(0)
	v_mul_f32_e32 v13, v21, v35
	v_fma_f32 v13, v20, v34, -v13
	v_mul_f32_e32 v35, v20, v35
	v_fmac_f32_e32 v35, v21, v34
	v_add_f32_e32 v34, v12, v13
	v_mul_f32_e32 v12, v21, v37
	v_mul_f32_e32 v13, v20, v37
	v_fma_f32 v12, v20, v36, -v12
	v_fmac_f32_e32 v13, v21, v36
	v_add_f32_e32 v20, v11, v12
	v_add_f32_e32 v21, v10, v13
	ds_read2_b64 v[10:13], v17 offset0:32 offset1:48
	v_add_f32_e32 v19, v19, v35
	s_waitcnt lgkmcnt(0)
	v_mul_f32_e32 v35, v25, v11
	v_mul_f32_e32 v36, v24, v11
	v_fma_f32 v35, v24, v10, -v35
	v_fmac_f32_e32 v36, v25, v10
	v_add_f32_e32 v14, v14, v35
	v_add_f32_e32 v35, v38, v36
	v_mul_f32_e32 v36, v25, v13
	v_fma_f32 v36, v24, v12, -v36
	v_mul_f32_e32 v24, v24, v13
	v_fmac_f32_e32 v24, v25, v12
	v_add_f32_e32 v25, v39, v36
	v_mul_f32_e32 v36, v23, v11
	v_mul_f32_e32 v11, v22, v11
	v_fma_f32 v36, v22, v10, -v36
	v_fmac_f32_e32 v11, v23, v10
	v_add_f32_e32 v34, v34, v36
	v_add_f32_e32 v36, v19, v11
	v_mul_f32_e32 v10, v23, v13
	v_mul_f32_e32 v11, v22, v13
	v_fma_f32 v10, v22, v12, -v10
	v_fmac_f32_e32 v11, v23, v12
	v_add_f32_e32 v23, v20, v10
	v_add_f32_e32 v37, v21, v11
	ds_read2_b64 v[10:13], v17 offset0:64 offset1:80
	v_add_f32_e32 v24, v40, v24
	s_waitcnt lgkmcnt(0)
	v_mul_f32_e32 v19, v27, v11
	v_mul_f32_e32 v20, v26, v11
	v_fma_f32 v19, v26, v10, -v19
	v_fmac_f32_e32 v20, v27, v10
	v_add_f32_e32 v14, v14, v19
	v_add_f32_e32 v35, v35, v20
	v_mul_f32_e32 v19, v27, v13
	v_mul_f32_e32 v20, v26, v13
	v_fma_f32 v19, v26, v12, -v19
	v_fmac_f32_e32 v20, v27, v12
	v_add_f32_e32 v25, v25, v19
	v_add_f32_e32 v24, v24, v20
	ds_read_b128 v[19:22], v18 offset:1040
	s_waitcnt lgkmcnt(0)
	v_mul_f32_e32 v26, v20, v11
	v_mul_f32_e32 v11, v19, v11
	v_fmac_f32_e32 v11, v20, v10
	v_fma_f32 v26, v19, v10, -v26
	v_add_f32_e32 v27, v36, v11
	v_mul_f32_e32 v10, v20, v13
	v_mul_f32_e32 v11, v19, v13
	v_fma_f32 v10, v19, v12, -v10
	v_fmac_f32_e32 v11, v20, v12
	v_add_f32_e32 v19, v23, v10
	v_add_f32_e32 v20, v37, v11
	ds_read2_b64 v[10:13], v17 offset0:96 offset1:112
	v_add_f32_e32 v26, v34, v26
	s_waitcnt lgkmcnt(0)
	v_mul_f32_e32 v23, v29, v11
	v_mul_f32_e32 v34, v28, v11
	v_fma_f32 v23, v28, v10, -v23
	v_fmac_f32_e32 v34, v29, v10
	v_add_f32_e32 v14, v14, v23
	v_add_f32_e32 v23, v35, v34
	v_mul_f32_e32 v34, v29, v13
	v_fma_f32 v34, v28, v12, -v34
	v_mul_f32_e32 v28, v28, v13
	v_fmac_f32_e32 v28, v29, v12
	v_add_f32_e32 v24, v24, v28
	v_mul_f32_e32 v28, v22, v11
	v_mul_f32_e32 v11, v21, v11
	v_fmac_f32_e32 v11, v22, v10
	v_fma_f32 v28, v21, v10, -v28
	v_add_f32_e32 v27, v27, v11
	v_mul_f32_e32 v10, v22, v13
	v_mul_f32_e32 v11, v21, v13
	v_fma_f32 v10, v21, v12, -v10
	v_fmac_f32_e32 v11, v22, v12
	v_add_f32_e32 v26, v26, v28
	v_add_f32_e32 v28, v19, v10
	;; [unrolled: 1-line block ×3, first 2 shown]
	ds_read2_b64 v[10:13], v17 offset0:128 offset1:144
	v_add_f32_e32 v25, v25, v34
	s_waitcnt lgkmcnt(0)
	v_mul_f32_e32 v19, v31, v11
	v_mul_f32_e32 v20, v30, v11
	v_fma_f32 v19, v30, v10, -v19
	v_fmac_f32_e32 v20, v31, v10
	v_add_f32_e32 v14, v14, v19
	v_add_f32_e32 v23, v23, v20
	v_mul_f32_e32 v19, v31, v13
	v_mul_f32_e32 v20, v30, v13
	v_fma_f32 v19, v30, v12, -v19
	v_fmac_f32_e32 v20, v31, v12
	v_add_f32_e32 v25, v25, v19
	v_add_f32_e32 v24, v24, v20
	ds_read_b128 v[19:22], v18 offset:1056
	s_waitcnt lgkmcnt(0)
	v_mul_f32_e32 v30, v20, v11
	v_mul_f32_e32 v11, v19, v11
	v_fmac_f32_e32 v11, v20, v10
	v_fma_f32 v30, v19, v10, -v30
	v_add_f32_e32 v27, v27, v11
	v_mul_f32_e32 v10, v20, v13
	v_mul_f32_e32 v11, v19, v13
	v_fma_f32 v10, v19, v12, -v10
	v_fmac_f32_e32 v11, v20, v12
	v_add_f32_e32 v19, v28, v10
	v_add_f32_e32 v20, v29, v11
	ds_read2_b64 v[10:13], v17 offset0:160 offset1:176
	v_add_f32_e32 v26, v26, v30
	s_waitcnt lgkmcnt(0)
	v_mul_f32_e32 v28, v33, v11
	v_fma_f32 v28, v32, v10, -v28
	v_add_f32_e32 v14, v14, v28
	v_mul_f32_e32 v28, v33, v13
	v_fma_f32 v28, v32, v12, -v28
	v_mul_f32_e32 v29, v32, v11
	v_add_f32_e32 v25, v25, v28
	v_mul_f32_e32 v28, v22, v11
	v_mul_f32_e32 v11, v21, v11
	v_fmac_f32_e32 v11, v22, v10
	v_fmac_f32_e32 v29, v33, v10
	v_fma_f32 v28, v21, v10, -v28
	v_add_f32_e32 v27, v27, v11
	v_mul_f32_e32 v10, v22, v13
	v_mul_f32_e32 v11, v21, v13
	v_add_f32_e32 v23, v23, v29
	v_mul_f32_e32 v29, v32, v13
	v_fma_f32 v10, v21, v12, -v10
	v_fmac_f32_e32 v11, v22, v12
	v_fmac_f32_e32 v29, v33, v12
	v_add_f32_e32 v26, v26, v28
	v_add_f32_e32 v19, v19, v10
	;; [unrolled: 1-line block ×3, first 2 shown]
	ds_read2_b64 v[10:13], v17 offset0:192 offset1:208
	v_add_f32_e32 v24, v24, v29
	s_waitcnt lgkmcnt(0)
	v_mul_f32_e32 v20, v3, v11
	v_fma_f32 v20, v2, v10, -v20
	v_mul_f32_e32 v21, v2, v11
	v_add_f32_e32 v14, v14, v20
	v_mul_f32_e32 v20, v3, v13
	v_fmac_f32_e32 v21, v3, v10
	v_fma_f32 v20, v2, v12, -v20
	v_mul_f32_e32 v2, v2, v13
	v_add_f32_e32 v29, v23, v21
	v_fmac_f32_e32 v2, v3, v12
	v_add_f32_e32 v3, v25, v20
	ds_read_b128 v[20:23], v18 offset:1072
	v_add_f32_e32 v2, v24, v2
	s_waitcnt lgkmcnt(0)
	v_mul_f32_e32 v24, v21, v11
	v_fma_f32 v24, v20, v10, -v24
	v_mul_f32_e32 v11, v20, v11
	v_fmac_f32_e32 v11, v21, v10
	v_add_f32_e32 v10, v26, v24
	v_mul_f32_e32 v24, v21, v13
	v_fma_f32 v24, v20, v12, -v24
	v_add_f32_e32 v11, v27, v11
	v_add_f32_e32 v30, v19, v24
	ds_read2_b64 v[24:27], v17 offset0:224 offset1:240
	v_mul_f32_e32 v13, v20, v13
	v_fmac_f32_e32 v13, v21, v12
	v_add_f32_e32 v28, v28, v13
	s_waitcnt lgkmcnt(0)
	v_mul_f32_e32 v12, v5, v25
	v_fma_f32 v12, v4, v24, -v12
	v_add_f32_e32 v14, v14, v12
	v_mul_f32_e32 v12, v5, v27
	v_mul_f32_e32 v13, v4, v25
	v_fma_f32 v12, v4, v26, -v12
	v_mul_f32_e32 v4, v4, v27
	v_fmac_f32_e32 v13, v5, v24
	v_fmac_f32_e32 v4, v5, v26
	v_add_f32_e32 v21, v29, v13
	v_add_f32_e32 v13, v3, v12
	;; [unrolled: 1-line block ×3, first 2 shown]
	v_mul_f32_e32 v2, v23, v25
	v_mul_f32_e32 v3, v22, v25
	v_fma_f32 v2, v22, v24, -v2
	v_fmac_f32_e32 v3, v23, v24
	v_add_f32_e32 v12, v10, v2
	v_add_f32_e32 v19, v11, v3
	v_mul_f32_e32 v2, v23, v27
	v_mul_f32_e32 v3, v22, v27
	v_fma_f32 v2, v22, v26, -v2
	v_fmac_f32_e32 v3, v23, v26
	v_add_f32_e32 v11, v30, v2
	v_add_f32_e32 v10, v28, v3
	s_barrier
	s_cbranch_scc0 .LBB322_2
	s_branch .LBB322_4
.LBB322_3:
	v_mov_b32_e32 v21, 0
	v_mov_b32_e32 v14, 0
	;; [unrolled: 1-line block ×8, first 2 shown]
.LBB322_4:
	s_load_dwordx2 s[0:1], s[4:5], 0x48
	s_load_dword s9, s[4:5], 0x40
	v_add_u32_e32 v4, s7, v1
	v_add_u32_e32 v0, s6, v0
	s_waitcnt lgkmcnt(0)
	s_mul_i32 s1, s1, s8
	s_mul_hi_u32 s4, s0, s8
	s_add_i32 s1, s4, s1
	v_mad_i64_i32 v[1:2], s[4:5], v4, s9, 0
	s_mul_i32 s0, s0, s8
	s_lshl_b64 s[0:1], s[0:1], 3
	s_add_u32 s7, s2, s0
	v_lshlrev_b64 v[1:2], 3, v[1:2]
	s_addc_u32 s8, s3, s1
	v_mov_b32_e32 v3, s8
	v_add_co_u32_e32 v5, vcc, s7, v1
	v_addc_co_u32_e32 v6, vcc, v3, v2, vcc
	v_cmp_le_i32_e64 s[0:1], v4, v0
	v_cmp_gt_i32_e32 vcc, s10, v0
	s_and_b64 s[0:1], s[0:1], vcc
	s_and_saveexec_b64 s[2:3], s[0:1]
	s_cbranch_execz .LBB322_6
; %bb.5:
	v_ashrrev_i32_e32 v1, 31, v0
	v_lshlrev_b64 v[1:2], 3, v[0:1]
	v_add_co_u32_e64 v1, s[0:1], v5, v1
	v_addc_co_u32_e64 v2, s[0:1], v6, v2, s[0:1]
	v_cmp_ne_u32_e64 s[0:1], v4, v0
	v_cndmask_b32_e64 v15, 0, v21, s[0:1]
	global_store_dwordx2 v[1:2], v[14:15], off
.LBB322_6:
	s_or_b64 exec, exec, s[2:3]
	v_add_u32_e32 v2, 16, v0
	v_cmp_le_i32_e64 s[2:3], v4, v2
	v_cmp_gt_i32_e64 s[0:1], s10, v2
	s_and_b64 s[2:3], s[2:3], s[0:1]
	s_and_saveexec_b64 s[4:5], s[2:3]
	s_cbranch_execz .LBB322_8
; %bb.7:
	v_ashrrev_i32_e32 v3, 31, v2
	v_lshlrev_b64 v[7:8], 3, v[2:3]
	v_add_co_u32_e64 v5, s[2:3], v5, v7
	v_addc_co_u32_e64 v6, s[2:3], v6, v8, s[2:3]
	v_cmp_ne_u32_e64 s[2:3], v4, v2
	v_cndmask_b32_e64 v14, 0, v20, s[2:3]
	global_store_dwordx2 v[5:6], v[13:14], off
.LBB322_8:
	s_or_b64 exec, exec, s[4:5]
	v_add_u32_e32 v3, 16, v4
	v_mad_i64_i32 v[5:6], s[2:3], v3, s9, 0
	v_mov_b32_e32 v1, s8
	v_lshlrev_b64 v[5:6], 3, v[5:6]
	v_add_co_u32_e64 v5, s[2:3], s7, v5
	v_addc_co_u32_e64 v6, s[2:3], v1, v6, s[2:3]
	v_cmp_le_i32_e64 s[2:3], v3, v0
	s_and_b64 s[4:5], s[2:3], vcc
	s_and_saveexec_b64 s[2:3], s[4:5]
	s_cbranch_execz .LBB322_10
; %bb.9:
	v_ashrrev_i32_e32 v1, 31, v0
	v_lshlrev_b64 v[7:8], 3, v[0:1]
	v_add_co_u32_e32 v7, vcc, v5, v7
	v_addc_co_u32_e32 v8, vcc, v6, v8, vcc
	v_cmp_ne_u32_e32 vcc, v3, v0
	v_cndmask_b32_e32 v13, 0, v19, vcc
	global_store_dwordx2 v[7:8], v[12:13], off
.LBB322_10:
	s_or_b64 exec, exec, s[2:3]
	v_cmp_le_i32_e32 vcc, v3, v2
	s_and_b64 s[0:1], vcc, s[0:1]
	s_and_saveexec_b64 s[2:3], s[0:1]
	s_cbranch_execz .LBB322_12
; %bb.11:
	v_ashrrev_i32_e32 v3, 31, v2
	v_lshlrev_b64 v[1:2], 3, v[2:3]
	v_add_co_u32_e32 v1, vcc, v5, v1
	v_addc_co_u32_e32 v2, vcc, v6, v2, vcc
	v_cmp_ne_u32_e32 vcc, v4, v0
	v_cndmask_b32_e32 v12, 0, v10, vcc
	global_store_dwordx2 v[1:2], v[11:12], off
.LBB322_12:
	s_endpgm
	.section	.rodata,"a",@progbits
	.p2align	6, 0x0
	.amdhsa_kernel _ZL37rocblas_syrkx_herkx_restricted_kernelIi19rocblas_complex_numIfELi16ELi32ELi8ELi1ELi0ELb1ELc84ELc76EKS1_S1_EviT_PT9_S3_lS5_S3_lPT10_S3_li
		.amdhsa_group_segment_fixed_size 4096
		.amdhsa_private_segment_fixed_size 0
		.amdhsa_kernarg_size 84
		.amdhsa_user_sgpr_count 6
		.amdhsa_user_sgpr_private_segment_buffer 1
		.amdhsa_user_sgpr_dispatch_ptr 0
		.amdhsa_user_sgpr_queue_ptr 0
		.amdhsa_user_sgpr_kernarg_segment_ptr 1
		.amdhsa_user_sgpr_dispatch_id 0
		.amdhsa_user_sgpr_flat_scratch_init 0
		.amdhsa_user_sgpr_private_segment_size 0
		.amdhsa_uses_dynamic_stack 0
		.amdhsa_system_sgpr_private_segment_wavefront_offset 0
		.amdhsa_system_sgpr_workgroup_id_x 1
		.amdhsa_system_sgpr_workgroup_id_y 1
		.amdhsa_system_sgpr_workgroup_id_z 1
		.amdhsa_system_sgpr_workgroup_info 0
		.amdhsa_system_vgpr_workitem_id 1
		.amdhsa_next_free_vgpr 41
		.amdhsa_next_free_sgpr 22
		.amdhsa_reserve_vcc 1
		.amdhsa_reserve_flat_scratch 0
		.amdhsa_float_round_mode_32 0
		.amdhsa_float_round_mode_16_64 0
		.amdhsa_float_denorm_mode_32 3
		.amdhsa_float_denorm_mode_16_64 3
		.amdhsa_dx10_clamp 1
		.amdhsa_ieee_mode 1
		.amdhsa_fp16_overflow 0
		.amdhsa_exception_fp_ieee_invalid_op 0
		.amdhsa_exception_fp_denorm_src 0
		.amdhsa_exception_fp_ieee_div_zero 0
		.amdhsa_exception_fp_ieee_overflow 0
		.amdhsa_exception_fp_ieee_underflow 0
		.amdhsa_exception_fp_ieee_inexact 0
		.amdhsa_exception_int_div_zero 0
	.end_amdhsa_kernel
	.section	.text._ZL37rocblas_syrkx_herkx_restricted_kernelIi19rocblas_complex_numIfELi16ELi32ELi8ELi1ELi0ELb1ELc84ELc76EKS1_S1_EviT_PT9_S3_lS5_S3_lPT10_S3_li,"axG",@progbits,_ZL37rocblas_syrkx_herkx_restricted_kernelIi19rocblas_complex_numIfELi16ELi32ELi8ELi1ELi0ELb1ELc84ELc76EKS1_S1_EviT_PT9_S3_lS5_S3_lPT10_S3_li,comdat
.Lfunc_end322:
	.size	_ZL37rocblas_syrkx_herkx_restricted_kernelIi19rocblas_complex_numIfELi16ELi32ELi8ELi1ELi0ELb1ELc84ELc76EKS1_S1_EviT_PT9_S3_lS5_S3_lPT10_S3_li, .Lfunc_end322-_ZL37rocblas_syrkx_herkx_restricted_kernelIi19rocblas_complex_numIfELi16ELi32ELi8ELi1ELi0ELb1ELc84ELc76EKS1_S1_EviT_PT9_S3_lS5_S3_lPT10_S3_li
                                        ; -- End function
	.set _ZL37rocblas_syrkx_herkx_restricted_kernelIi19rocblas_complex_numIfELi16ELi32ELi8ELi1ELi0ELb1ELc84ELc76EKS1_S1_EviT_PT9_S3_lS5_S3_lPT10_S3_li.num_vgpr, 41
	.set _ZL37rocblas_syrkx_herkx_restricted_kernelIi19rocblas_complex_numIfELi16ELi32ELi8ELi1ELi0ELb1ELc84ELc76EKS1_S1_EviT_PT9_S3_lS5_S3_lPT10_S3_li.num_agpr, 0
	.set _ZL37rocblas_syrkx_herkx_restricted_kernelIi19rocblas_complex_numIfELi16ELi32ELi8ELi1ELi0ELb1ELc84ELc76EKS1_S1_EviT_PT9_S3_lS5_S3_lPT10_S3_li.numbered_sgpr, 22
	.set _ZL37rocblas_syrkx_herkx_restricted_kernelIi19rocblas_complex_numIfELi16ELi32ELi8ELi1ELi0ELb1ELc84ELc76EKS1_S1_EviT_PT9_S3_lS5_S3_lPT10_S3_li.num_named_barrier, 0
	.set _ZL37rocblas_syrkx_herkx_restricted_kernelIi19rocblas_complex_numIfELi16ELi32ELi8ELi1ELi0ELb1ELc84ELc76EKS1_S1_EviT_PT9_S3_lS5_S3_lPT10_S3_li.private_seg_size, 0
	.set _ZL37rocblas_syrkx_herkx_restricted_kernelIi19rocblas_complex_numIfELi16ELi32ELi8ELi1ELi0ELb1ELc84ELc76EKS1_S1_EviT_PT9_S3_lS5_S3_lPT10_S3_li.uses_vcc, 1
	.set _ZL37rocblas_syrkx_herkx_restricted_kernelIi19rocblas_complex_numIfELi16ELi32ELi8ELi1ELi0ELb1ELc84ELc76EKS1_S1_EviT_PT9_S3_lS5_S3_lPT10_S3_li.uses_flat_scratch, 0
	.set _ZL37rocblas_syrkx_herkx_restricted_kernelIi19rocblas_complex_numIfELi16ELi32ELi8ELi1ELi0ELb1ELc84ELc76EKS1_S1_EviT_PT9_S3_lS5_S3_lPT10_S3_li.has_dyn_sized_stack, 0
	.set _ZL37rocblas_syrkx_herkx_restricted_kernelIi19rocblas_complex_numIfELi16ELi32ELi8ELi1ELi0ELb1ELc84ELc76EKS1_S1_EviT_PT9_S3_lS5_S3_lPT10_S3_li.has_recursion, 0
	.set _ZL37rocblas_syrkx_herkx_restricted_kernelIi19rocblas_complex_numIfELi16ELi32ELi8ELi1ELi0ELb1ELc84ELc76EKS1_S1_EviT_PT9_S3_lS5_S3_lPT10_S3_li.has_indirect_call, 0
	.section	.AMDGPU.csdata,"",@progbits
; Kernel info:
; codeLenInByte = 1920
; TotalNumSgprs: 26
; NumVgprs: 41
; ScratchSize: 0
; MemoryBound: 0
; FloatMode: 240
; IeeeMode: 1
; LDSByteSize: 4096 bytes/workgroup (compile time only)
; SGPRBlocks: 3
; VGPRBlocks: 10
; NumSGPRsForWavesPerEU: 26
; NumVGPRsForWavesPerEU: 41
; Occupancy: 5
; WaveLimiterHint : 0
; COMPUTE_PGM_RSRC2:SCRATCH_EN: 0
; COMPUTE_PGM_RSRC2:USER_SGPR: 6
; COMPUTE_PGM_RSRC2:TRAP_HANDLER: 0
; COMPUTE_PGM_RSRC2:TGID_X_EN: 1
; COMPUTE_PGM_RSRC2:TGID_Y_EN: 1
; COMPUTE_PGM_RSRC2:TGID_Z_EN: 1
; COMPUTE_PGM_RSRC2:TIDIG_COMP_CNT: 1
	.section	.text._ZL37rocblas_syrkx_herkx_restricted_kernelIi19rocblas_complex_numIfELi16ELi32ELi8ELi1ELi0ELb1ELc67ELc76EKS1_S1_EviT_PT9_S3_lS5_S3_lPT10_S3_li,"axG",@progbits,_ZL37rocblas_syrkx_herkx_restricted_kernelIi19rocblas_complex_numIfELi16ELi32ELi8ELi1ELi0ELb1ELc67ELc76EKS1_S1_EviT_PT9_S3_lS5_S3_lPT10_S3_li,comdat
	.globl	_ZL37rocblas_syrkx_herkx_restricted_kernelIi19rocblas_complex_numIfELi16ELi32ELi8ELi1ELi0ELb1ELc67ELc76EKS1_S1_EviT_PT9_S3_lS5_S3_lPT10_S3_li ; -- Begin function _ZL37rocblas_syrkx_herkx_restricted_kernelIi19rocblas_complex_numIfELi16ELi32ELi8ELi1ELi0ELb1ELc67ELc76EKS1_S1_EviT_PT9_S3_lS5_S3_lPT10_S3_li
	.p2align	8
	.type	_ZL37rocblas_syrkx_herkx_restricted_kernelIi19rocblas_complex_numIfELi16ELi32ELi8ELi1ELi0ELb1ELc67ELc76EKS1_S1_EviT_PT9_S3_lS5_S3_lPT10_S3_li,@function
_ZL37rocblas_syrkx_herkx_restricted_kernelIi19rocblas_complex_numIfELi16ELi32ELi8ELi1ELi0ELb1ELc67ELc76EKS1_S1_EviT_PT9_S3_lS5_S3_lPT10_S3_li: ; @_ZL37rocblas_syrkx_herkx_restricted_kernelIi19rocblas_complex_numIfELi16ELi32ELi8ELi1ELi0ELb1ELc67ELc76EKS1_S1_EviT_PT9_S3_lS5_S3_lPT10_S3_li
; %bb.0:
	s_load_dwordx2 s[10:11], s[4:5], 0x0
	s_load_dwordx4 s[0:3], s[4:5], 0x30
	s_lshl_b32 s6, s6, 5
	s_lshl_b32 s7, s7, 5
	s_mov_b32 s9, 0
	s_waitcnt lgkmcnt(0)
	s_cmp_lt_i32 s11, 1
	s_cbranch_scc1 .LBB323_3
; %bb.1:
	v_lshl_add_u32 v4, v1, 4, v0
	v_and_b32_e32 v7, 31, v4
	s_load_dwordx2 s[16:17], s[4:5], 0x8
	s_load_dword s20, s[4:5], 0x10
	s_load_dwordx4 s[12:15], s[4:5], 0x18
	s_load_dword s18, s[4:5], 0x28
	v_lshrrev_b32_e32 v6, 3, v4
	v_and_b32_e32 v9, 7, v0
	v_lshrrev_b32_e32 v4, 5, v4
	v_lshlrev_b32_e32 v8, 3, v7
	v_lshl_or_b32 v15, v4, 8, v8
	v_lshlrev_b32_e32 v8, 3, v9
	v_add_u32_e32 v2, s7, v6
	v_lshl_or_b32 v6, v6, 6, v8
	v_mov_b32_e32 v10, 0
	v_add_u32_e32 v16, 0x800, v6
	v_mov_b32_e32 v6, 0x800
	v_mov_b32_e32 v5, v10
	v_lshl_add_u32 v18, v1, 6, v6
	v_add_u32_e32 v6, s6, v7
	s_waitcnt lgkmcnt(0)
	v_mad_i64_i32 v[2:3], s[18:19], s18, v2, v[9:10]
	v_mad_i64_i32 v[4:5], s[18:19], s20, v6, v[4:5]
	s_mul_i32 s13, s13, s8
	s_mul_hi_u32 s21, s12, s8
	s_add_i32 s13, s21, s13
	s_mul_i32 s12, s12, s8
	s_lshl_b64 s[12:13], s[12:13], 3
	v_lshlrev_b64 v[4:5], 3, v[4:5]
	s_add_u32 s12, s16, s12
	s_addc_u32 s13, s17, s13
	v_add_co_u32_e32 v4, vcc, s12, v4
	s_mul_i32 s1, s1, s8
	s_mul_hi_u32 s12, s0, s8
	v_mov_b32_e32 v6, s13
	s_add_i32 s1, s12, s1
	s_mul_i32 s0, s0, s8
	v_addc_co_u32_e32 v5, vcc, v6, v5, vcc
	s_lshl_b64 s[0:1], s[0:1], 3
	v_add_co_u32_e32 v6, vcc, 4, v4
	v_lshlrev_b64 v[2:3], 3, v[2:3]
	s_add_u32 s0, s14, s0
	v_addc_co_u32_e32 v7, vcc, 0, v5, vcc
	s_addc_u32 s1, s15, s1
	v_mov_b32_e32 v4, s1
	v_add_co_u32_e32 v2, vcc, s0, v2
	v_addc_co_u32_e32 v3, vcc, v4, v3, vcc
	v_add_co_u32_e32 v8, vcc, 4, v2
	v_lshlrev_b32_e32 v17, 3, v0
	v_addc_co_u32_e32 v9, vcc, 0, v3, vcc
	v_mov_b32_e32 v11, v10
	v_mov_b32_e32 v19, v10
	v_mov_b32_e32 v12, v10
	v_mov_b32_e32 v20, v10
	v_mov_b32_e32 v13, v10
	v_mov_b32_e32 v21, v10
	v_mov_b32_e32 v14, v10
.LBB323_2:                              ; =>This Inner Loop Header: Depth=1
	global_load_dwordx2 v[2:3], v[6:7], off offset:-4
	v_add_co_u32_e32 v6, vcc, 64, v6
	v_addc_co_u32_e32 v7, vcc, 0, v7, vcc
	s_add_i32 s9, s9, 8
	s_cmp_ge_i32 s9, s11
	s_waitcnt vmcnt(0)
	v_xor_b32_e32 v3, 0x80000000, v3
	ds_write_b64 v15, v[2:3]
	global_load_dwordx2 v[2:3], v[8:9], off offset:-4
	v_add_co_u32_e32 v8, vcc, 64, v8
	v_addc_co_u32_e32 v9, vcc, 0, v9, vcc
	s_waitcnt vmcnt(0)
	ds_write_b64 v16, v[2:3]
	s_waitcnt lgkmcnt(0)
	s_barrier
	ds_read_b128 v[22:25], v18
	ds_read_b128 v[26:29], v18 offset:16
	ds_read_b128 v[30:33], v18 offset:32
	;; [unrolled: 1-line block ×3, first 2 shown]
	ds_read2_b64 v[34:37], v17 offset1:16
	s_waitcnt lgkmcnt(0)
	v_mul_f32_e32 v38, v23, v35
	v_mul_f32_e32 v39, v22, v35
	v_fma_f32 v38, v22, v34, -v38
	v_fmac_f32_e32 v39, v23, v34
	v_add_f32_e32 v14, v14, v38
	v_add_f32_e32 v38, v21, v39
	v_mul_f32_e32 v21, v23, v37
	v_fma_f32 v21, v22, v36, -v21
	v_mul_f32_e32 v22, v22, v37
	v_fmac_f32_e32 v22, v23, v36
	v_add_f32_e32 v39, v13, v21
	v_add_f32_e32 v40, v20, v22
	ds_read_b128 v[20:23], v18 offset:1024
	s_waitcnt lgkmcnt(0)
	v_mul_f32_e32 v13, v21, v35
	v_fma_f32 v13, v20, v34, -v13
	v_mul_f32_e32 v35, v20, v35
	v_fmac_f32_e32 v35, v21, v34
	v_add_f32_e32 v34, v12, v13
	v_mul_f32_e32 v12, v21, v37
	v_mul_f32_e32 v13, v20, v37
	v_fma_f32 v12, v20, v36, -v12
	v_fmac_f32_e32 v13, v21, v36
	v_add_f32_e32 v20, v11, v12
	v_add_f32_e32 v21, v10, v13
	ds_read2_b64 v[10:13], v17 offset0:32 offset1:48
	v_add_f32_e32 v19, v19, v35
	s_waitcnt lgkmcnt(0)
	v_mul_f32_e32 v35, v25, v11
	v_mul_f32_e32 v36, v24, v11
	v_fma_f32 v35, v24, v10, -v35
	v_fmac_f32_e32 v36, v25, v10
	v_add_f32_e32 v14, v14, v35
	v_add_f32_e32 v35, v38, v36
	v_mul_f32_e32 v36, v25, v13
	v_fma_f32 v36, v24, v12, -v36
	v_mul_f32_e32 v24, v24, v13
	v_fmac_f32_e32 v24, v25, v12
	v_add_f32_e32 v25, v39, v36
	v_mul_f32_e32 v36, v23, v11
	v_mul_f32_e32 v11, v22, v11
	v_fma_f32 v36, v22, v10, -v36
	v_fmac_f32_e32 v11, v23, v10
	v_add_f32_e32 v34, v34, v36
	v_add_f32_e32 v36, v19, v11
	v_mul_f32_e32 v10, v23, v13
	v_mul_f32_e32 v11, v22, v13
	v_fma_f32 v10, v22, v12, -v10
	v_fmac_f32_e32 v11, v23, v12
	v_add_f32_e32 v23, v20, v10
	v_add_f32_e32 v37, v21, v11
	ds_read2_b64 v[10:13], v17 offset0:64 offset1:80
	v_add_f32_e32 v24, v40, v24
	s_waitcnt lgkmcnt(0)
	v_mul_f32_e32 v19, v27, v11
	v_mul_f32_e32 v20, v26, v11
	v_fma_f32 v19, v26, v10, -v19
	v_fmac_f32_e32 v20, v27, v10
	v_add_f32_e32 v14, v14, v19
	v_add_f32_e32 v35, v35, v20
	v_mul_f32_e32 v19, v27, v13
	v_mul_f32_e32 v20, v26, v13
	v_fma_f32 v19, v26, v12, -v19
	v_fmac_f32_e32 v20, v27, v12
	v_add_f32_e32 v25, v25, v19
	v_add_f32_e32 v24, v24, v20
	ds_read_b128 v[19:22], v18 offset:1040
	s_waitcnt lgkmcnt(0)
	v_mul_f32_e32 v26, v20, v11
	v_mul_f32_e32 v11, v19, v11
	v_fmac_f32_e32 v11, v20, v10
	v_fma_f32 v26, v19, v10, -v26
	v_add_f32_e32 v27, v36, v11
	v_mul_f32_e32 v10, v20, v13
	v_mul_f32_e32 v11, v19, v13
	v_fma_f32 v10, v19, v12, -v10
	v_fmac_f32_e32 v11, v20, v12
	v_add_f32_e32 v19, v23, v10
	v_add_f32_e32 v20, v37, v11
	ds_read2_b64 v[10:13], v17 offset0:96 offset1:112
	v_add_f32_e32 v26, v34, v26
	s_waitcnt lgkmcnt(0)
	v_mul_f32_e32 v23, v29, v11
	v_mul_f32_e32 v34, v28, v11
	v_fma_f32 v23, v28, v10, -v23
	v_fmac_f32_e32 v34, v29, v10
	v_add_f32_e32 v14, v14, v23
	v_add_f32_e32 v23, v35, v34
	v_mul_f32_e32 v34, v29, v13
	v_fma_f32 v34, v28, v12, -v34
	v_mul_f32_e32 v28, v28, v13
	v_fmac_f32_e32 v28, v29, v12
	v_add_f32_e32 v24, v24, v28
	v_mul_f32_e32 v28, v22, v11
	v_mul_f32_e32 v11, v21, v11
	v_fmac_f32_e32 v11, v22, v10
	v_fma_f32 v28, v21, v10, -v28
	v_add_f32_e32 v27, v27, v11
	v_mul_f32_e32 v10, v22, v13
	v_mul_f32_e32 v11, v21, v13
	v_fma_f32 v10, v21, v12, -v10
	v_fmac_f32_e32 v11, v22, v12
	v_add_f32_e32 v26, v26, v28
	v_add_f32_e32 v28, v19, v10
	;; [unrolled: 1-line block ×3, first 2 shown]
	ds_read2_b64 v[10:13], v17 offset0:128 offset1:144
	v_add_f32_e32 v25, v25, v34
	s_waitcnt lgkmcnt(0)
	v_mul_f32_e32 v19, v31, v11
	v_mul_f32_e32 v20, v30, v11
	v_fma_f32 v19, v30, v10, -v19
	v_fmac_f32_e32 v20, v31, v10
	v_add_f32_e32 v14, v14, v19
	v_add_f32_e32 v23, v23, v20
	v_mul_f32_e32 v19, v31, v13
	v_mul_f32_e32 v20, v30, v13
	v_fma_f32 v19, v30, v12, -v19
	v_fmac_f32_e32 v20, v31, v12
	v_add_f32_e32 v25, v25, v19
	v_add_f32_e32 v24, v24, v20
	ds_read_b128 v[19:22], v18 offset:1056
	s_waitcnt lgkmcnt(0)
	v_mul_f32_e32 v30, v20, v11
	v_mul_f32_e32 v11, v19, v11
	v_fmac_f32_e32 v11, v20, v10
	v_fma_f32 v30, v19, v10, -v30
	v_add_f32_e32 v27, v27, v11
	v_mul_f32_e32 v10, v20, v13
	v_mul_f32_e32 v11, v19, v13
	v_fma_f32 v10, v19, v12, -v10
	v_fmac_f32_e32 v11, v20, v12
	v_add_f32_e32 v19, v28, v10
	v_add_f32_e32 v20, v29, v11
	ds_read2_b64 v[10:13], v17 offset0:160 offset1:176
	v_add_f32_e32 v26, v26, v30
	s_waitcnt lgkmcnt(0)
	v_mul_f32_e32 v28, v33, v11
	v_fma_f32 v28, v32, v10, -v28
	v_add_f32_e32 v14, v14, v28
	v_mul_f32_e32 v28, v33, v13
	v_fma_f32 v28, v32, v12, -v28
	v_mul_f32_e32 v29, v32, v11
	v_add_f32_e32 v25, v25, v28
	v_mul_f32_e32 v28, v22, v11
	v_mul_f32_e32 v11, v21, v11
	v_fmac_f32_e32 v11, v22, v10
	v_fmac_f32_e32 v29, v33, v10
	v_fma_f32 v28, v21, v10, -v28
	v_add_f32_e32 v27, v27, v11
	v_mul_f32_e32 v10, v22, v13
	v_mul_f32_e32 v11, v21, v13
	v_add_f32_e32 v23, v23, v29
	v_mul_f32_e32 v29, v32, v13
	v_fma_f32 v10, v21, v12, -v10
	v_fmac_f32_e32 v11, v22, v12
	v_fmac_f32_e32 v29, v33, v12
	v_add_f32_e32 v26, v26, v28
	v_add_f32_e32 v19, v19, v10
	;; [unrolled: 1-line block ×3, first 2 shown]
	ds_read2_b64 v[10:13], v17 offset0:192 offset1:208
	v_add_f32_e32 v24, v24, v29
	s_waitcnt lgkmcnt(0)
	v_mul_f32_e32 v20, v3, v11
	v_fma_f32 v20, v2, v10, -v20
	v_mul_f32_e32 v21, v2, v11
	v_add_f32_e32 v14, v14, v20
	v_mul_f32_e32 v20, v3, v13
	v_fmac_f32_e32 v21, v3, v10
	v_fma_f32 v20, v2, v12, -v20
	v_mul_f32_e32 v2, v2, v13
	v_add_f32_e32 v29, v23, v21
	v_fmac_f32_e32 v2, v3, v12
	v_add_f32_e32 v3, v25, v20
	ds_read_b128 v[20:23], v18 offset:1072
	v_add_f32_e32 v2, v24, v2
	s_waitcnt lgkmcnt(0)
	v_mul_f32_e32 v24, v21, v11
	v_fma_f32 v24, v20, v10, -v24
	v_mul_f32_e32 v11, v20, v11
	v_fmac_f32_e32 v11, v21, v10
	v_add_f32_e32 v10, v26, v24
	v_mul_f32_e32 v24, v21, v13
	v_fma_f32 v24, v20, v12, -v24
	v_add_f32_e32 v11, v27, v11
	v_add_f32_e32 v30, v19, v24
	ds_read2_b64 v[24:27], v17 offset0:224 offset1:240
	v_mul_f32_e32 v13, v20, v13
	v_fmac_f32_e32 v13, v21, v12
	v_add_f32_e32 v28, v28, v13
	s_waitcnt lgkmcnt(0)
	v_mul_f32_e32 v12, v5, v25
	v_fma_f32 v12, v4, v24, -v12
	v_add_f32_e32 v14, v14, v12
	v_mul_f32_e32 v12, v5, v27
	v_mul_f32_e32 v13, v4, v25
	v_fma_f32 v12, v4, v26, -v12
	v_mul_f32_e32 v4, v4, v27
	v_fmac_f32_e32 v13, v5, v24
	v_fmac_f32_e32 v4, v5, v26
	v_add_f32_e32 v21, v29, v13
	v_add_f32_e32 v13, v3, v12
	;; [unrolled: 1-line block ×3, first 2 shown]
	v_mul_f32_e32 v2, v23, v25
	v_mul_f32_e32 v3, v22, v25
	v_fma_f32 v2, v22, v24, -v2
	v_fmac_f32_e32 v3, v23, v24
	v_add_f32_e32 v12, v10, v2
	v_add_f32_e32 v19, v11, v3
	v_mul_f32_e32 v2, v23, v27
	v_mul_f32_e32 v3, v22, v27
	v_fma_f32 v2, v22, v26, -v2
	v_fmac_f32_e32 v3, v23, v26
	v_add_f32_e32 v11, v30, v2
	v_add_f32_e32 v10, v28, v3
	s_barrier
	s_cbranch_scc0 .LBB323_2
	s_branch .LBB323_4
.LBB323_3:
	v_mov_b32_e32 v21, 0
	v_mov_b32_e32 v14, 0
	;; [unrolled: 1-line block ×8, first 2 shown]
.LBB323_4:
	s_load_dwordx2 s[0:1], s[4:5], 0x48
	s_load_dword s9, s[4:5], 0x40
	v_add_u32_e32 v4, s7, v1
	v_add_u32_e32 v0, s6, v0
	s_waitcnt lgkmcnt(0)
	s_mul_i32 s1, s1, s8
	s_mul_hi_u32 s4, s0, s8
	s_add_i32 s1, s4, s1
	v_mad_i64_i32 v[1:2], s[4:5], v4, s9, 0
	s_mul_i32 s0, s0, s8
	s_lshl_b64 s[0:1], s[0:1], 3
	s_add_u32 s7, s2, s0
	v_lshlrev_b64 v[1:2], 3, v[1:2]
	s_addc_u32 s8, s3, s1
	v_mov_b32_e32 v3, s8
	v_add_co_u32_e32 v5, vcc, s7, v1
	v_addc_co_u32_e32 v6, vcc, v3, v2, vcc
	v_cmp_le_i32_e64 s[0:1], v4, v0
	v_cmp_gt_i32_e32 vcc, s10, v0
	s_and_b64 s[0:1], s[0:1], vcc
	s_and_saveexec_b64 s[2:3], s[0:1]
	s_cbranch_execz .LBB323_6
; %bb.5:
	v_ashrrev_i32_e32 v1, 31, v0
	v_lshlrev_b64 v[1:2], 3, v[0:1]
	v_add_co_u32_e64 v1, s[0:1], v5, v1
	v_addc_co_u32_e64 v2, s[0:1], v6, v2, s[0:1]
	v_cmp_ne_u32_e64 s[0:1], v4, v0
	v_cndmask_b32_e64 v15, 0, v21, s[0:1]
	global_store_dwordx2 v[1:2], v[14:15], off
.LBB323_6:
	s_or_b64 exec, exec, s[2:3]
	v_add_u32_e32 v2, 16, v0
	v_cmp_le_i32_e64 s[2:3], v4, v2
	v_cmp_gt_i32_e64 s[0:1], s10, v2
	s_and_b64 s[2:3], s[2:3], s[0:1]
	s_and_saveexec_b64 s[4:5], s[2:3]
	s_cbranch_execz .LBB323_8
; %bb.7:
	v_ashrrev_i32_e32 v3, 31, v2
	v_lshlrev_b64 v[7:8], 3, v[2:3]
	v_add_co_u32_e64 v5, s[2:3], v5, v7
	v_addc_co_u32_e64 v6, s[2:3], v6, v8, s[2:3]
	v_cmp_ne_u32_e64 s[2:3], v4, v2
	v_cndmask_b32_e64 v14, 0, v20, s[2:3]
	global_store_dwordx2 v[5:6], v[13:14], off
.LBB323_8:
	s_or_b64 exec, exec, s[4:5]
	v_add_u32_e32 v3, 16, v4
	v_mad_i64_i32 v[5:6], s[2:3], v3, s9, 0
	v_mov_b32_e32 v1, s8
	v_lshlrev_b64 v[5:6], 3, v[5:6]
	v_add_co_u32_e64 v5, s[2:3], s7, v5
	v_addc_co_u32_e64 v6, s[2:3], v1, v6, s[2:3]
	v_cmp_le_i32_e64 s[2:3], v3, v0
	s_and_b64 s[4:5], s[2:3], vcc
	s_and_saveexec_b64 s[2:3], s[4:5]
	s_cbranch_execz .LBB323_10
; %bb.9:
	v_ashrrev_i32_e32 v1, 31, v0
	v_lshlrev_b64 v[7:8], 3, v[0:1]
	v_add_co_u32_e32 v7, vcc, v5, v7
	v_addc_co_u32_e32 v8, vcc, v6, v8, vcc
	v_cmp_ne_u32_e32 vcc, v3, v0
	v_cndmask_b32_e32 v13, 0, v19, vcc
	global_store_dwordx2 v[7:8], v[12:13], off
.LBB323_10:
	s_or_b64 exec, exec, s[2:3]
	v_cmp_le_i32_e32 vcc, v3, v2
	s_and_b64 s[0:1], vcc, s[0:1]
	s_and_saveexec_b64 s[2:3], s[0:1]
	s_cbranch_execz .LBB323_12
; %bb.11:
	v_ashrrev_i32_e32 v3, 31, v2
	v_lshlrev_b64 v[1:2], 3, v[2:3]
	v_add_co_u32_e32 v1, vcc, v5, v1
	v_addc_co_u32_e32 v2, vcc, v6, v2, vcc
	v_cmp_ne_u32_e32 vcc, v4, v0
	v_cndmask_b32_e32 v12, 0, v10, vcc
	global_store_dwordx2 v[1:2], v[11:12], off
.LBB323_12:
	s_endpgm
	.section	.rodata,"a",@progbits
	.p2align	6, 0x0
	.amdhsa_kernel _ZL37rocblas_syrkx_herkx_restricted_kernelIi19rocblas_complex_numIfELi16ELi32ELi8ELi1ELi0ELb1ELc67ELc76EKS1_S1_EviT_PT9_S3_lS5_S3_lPT10_S3_li
		.amdhsa_group_segment_fixed_size 4096
		.amdhsa_private_segment_fixed_size 0
		.amdhsa_kernarg_size 84
		.amdhsa_user_sgpr_count 6
		.amdhsa_user_sgpr_private_segment_buffer 1
		.amdhsa_user_sgpr_dispatch_ptr 0
		.amdhsa_user_sgpr_queue_ptr 0
		.amdhsa_user_sgpr_kernarg_segment_ptr 1
		.amdhsa_user_sgpr_dispatch_id 0
		.amdhsa_user_sgpr_flat_scratch_init 0
		.amdhsa_user_sgpr_private_segment_size 0
		.amdhsa_uses_dynamic_stack 0
		.amdhsa_system_sgpr_private_segment_wavefront_offset 0
		.amdhsa_system_sgpr_workgroup_id_x 1
		.amdhsa_system_sgpr_workgroup_id_y 1
		.amdhsa_system_sgpr_workgroup_id_z 1
		.amdhsa_system_sgpr_workgroup_info 0
		.amdhsa_system_vgpr_workitem_id 1
		.amdhsa_next_free_vgpr 41
		.amdhsa_next_free_sgpr 22
		.amdhsa_reserve_vcc 1
		.amdhsa_reserve_flat_scratch 0
		.amdhsa_float_round_mode_32 0
		.amdhsa_float_round_mode_16_64 0
		.amdhsa_float_denorm_mode_32 3
		.amdhsa_float_denorm_mode_16_64 3
		.amdhsa_dx10_clamp 1
		.amdhsa_ieee_mode 1
		.amdhsa_fp16_overflow 0
		.amdhsa_exception_fp_ieee_invalid_op 0
		.amdhsa_exception_fp_denorm_src 0
		.amdhsa_exception_fp_ieee_div_zero 0
		.amdhsa_exception_fp_ieee_overflow 0
		.amdhsa_exception_fp_ieee_underflow 0
		.amdhsa_exception_fp_ieee_inexact 0
		.amdhsa_exception_int_div_zero 0
	.end_amdhsa_kernel
	.section	.text._ZL37rocblas_syrkx_herkx_restricted_kernelIi19rocblas_complex_numIfELi16ELi32ELi8ELi1ELi0ELb1ELc67ELc76EKS1_S1_EviT_PT9_S3_lS5_S3_lPT10_S3_li,"axG",@progbits,_ZL37rocblas_syrkx_herkx_restricted_kernelIi19rocblas_complex_numIfELi16ELi32ELi8ELi1ELi0ELb1ELc67ELc76EKS1_S1_EviT_PT9_S3_lS5_S3_lPT10_S3_li,comdat
.Lfunc_end323:
	.size	_ZL37rocblas_syrkx_herkx_restricted_kernelIi19rocblas_complex_numIfELi16ELi32ELi8ELi1ELi0ELb1ELc67ELc76EKS1_S1_EviT_PT9_S3_lS5_S3_lPT10_S3_li, .Lfunc_end323-_ZL37rocblas_syrkx_herkx_restricted_kernelIi19rocblas_complex_numIfELi16ELi32ELi8ELi1ELi0ELb1ELc67ELc76EKS1_S1_EviT_PT9_S3_lS5_S3_lPT10_S3_li
                                        ; -- End function
	.set _ZL37rocblas_syrkx_herkx_restricted_kernelIi19rocblas_complex_numIfELi16ELi32ELi8ELi1ELi0ELb1ELc67ELc76EKS1_S1_EviT_PT9_S3_lS5_S3_lPT10_S3_li.num_vgpr, 41
	.set _ZL37rocblas_syrkx_herkx_restricted_kernelIi19rocblas_complex_numIfELi16ELi32ELi8ELi1ELi0ELb1ELc67ELc76EKS1_S1_EviT_PT9_S3_lS5_S3_lPT10_S3_li.num_agpr, 0
	.set _ZL37rocblas_syrkx_herkx_restricted_kernelIi19rocblas_complex_numIfELi16ELi32ELi8ELi1ELi0ELb1ELc67ELc76EKS1_S1_EviT_PT9_S3_lS5_S3_lPT10_S3_li.numbered_sgpr, 22
	.set _ZL37rocblas_syrkx_herkx_restricted_kernelIi19rocblas_complex_numIfELi16ELi32ELi8ELi1ELi0ELb1ELc67ELc76EKS1_S1_EviT_PT9_S3_lS5_S3_lPT10_S3_li.num_named_barrier, 0
	.set _ZL37rocblas_syrkx_herkx_restricted_kernelIi19rocblas_complex_numIfELi16ELi32ELi8ELi1ELi0ELb1ELc67ELc76EKS1_S1_EviT_PT9_S3_lS5_S3_lPT10_S3_li.private_seg_size, 0
	.set _ZL37rocblas_syrkx_herkx_restricted_kernelIi19rocblas_complex_numIfELi16ELi32ELi8ELi1ELi0ELb1ELc67ELc76EKS1_S1_EviT_PT9_S3_lS5_S3_lPT10_S3_li.uses_vcc, 1
	.set _ZL37rocblas_syrkx_herkx_restricted_kernelIi19rocblas_complex_numIfELi16ELi32ELi8ELi1ELi0ELb1ELc67ELc76EKS1_S1_EviT_PT9_S3_lS5_S3_lPT10_S3_li.uses_flat_scratch, 0
	.set _ZL37rocblas_syrkx_herkx_restricted_kernelIi19rocblas_complex_numIfELi16ELi32ELi8ELi1ELi0ELb1ELc67ELc76EKS1_S1_EviT_PT9_S3_lS5_S3_lPT10_S3_li.has_dyn_sized_stack, 0
	.set _ZL37rocblas_syrkx_herkx_restricted_kernelIi19rocblas_complex_numIfELi16ELi32ELi8ELi1ELi0ELb1ELc67ELc76EKS1_S1_EviT_PT9_S3_lS5_S3_lPT10_S3_li.has_recursion, 0
	.set _ZL37rocblas_syrkx_herkx_restricted_kernelIi19rocblas_complex_numIfELi16ELi32ELi8ELi1ELi0ELb1ELc67ELc76EKS1_S1_EviT_PT9_S3_lS5_S3_lPT10_S3_li.has_indirect_call, 0
	.section	.AMDGPU.csdata,"",@progbits
; Kernel info:
; codeLenInByte = 1928
; TotalNumSgprs: 26
; NumVgprs: 41
; ScratchSize: 0
; MemoryBound: 0
; FloatMode: 240
; IeeeMode: 1
; LDSByteSize: 4096 bytes/workgroup (compile time only)
; SGPRBlocks: 3
; VGPRBlocks: 10
; NumSGPRsForWavesPerEU: 26
; NumVGPRsForWavesPerEU: 41
; Occupancy: 5
; WaveLimiterHint : 0
; COMPUTE_PGM_RSRC2:SCRATCH_EN: 0
; COMPUTE_PGM_RSRC2:USER_SGPR: 6
; COMPUTE_PGM_RSRC2:TRAP_HANDLER: 0
; COMPUTE_PGM_RSRC2:TGID_X_EN: 1
; COMPUTE_PGM_RSRC2:TGID_Y_EN: 1
; COMPUTE_PGM_RSRC2:TGID_Z_EN: 1
; COMPUTE_PGM_RSRC2:TIDIG_COMP_CNT: 1
	.section	.text._ZL37rocblas_syrkx_herkx_restricted_kernelIi19rocblas_complex_numIfELi16ELi32ELi8ELi1ELi0ELb1ELc78ELc76EKS1_S1_EviT_PT9_S3_lS5_S3_lPT10_S3_li,"axG",@progbits,_ZL37rocblas_syrkx_herkx_restricted_kernelIi19rocblas_complex_numIfELi16ELi32ELi8ELi1ELi0ELb1ELc78ELc76EKS1_S1_EviT_PT9_S3_lS5_S3_lPT10_S3_li,comdat
	.globl	_ZL37rocblas_syrkx_herkx_restricted_kernelIi19rocblas_complex_numIfELi16ELi32ELi8ELi1ELi0ELb1ELc78ELc76EKS1_S1_EviT_PT9_S3_lS5_S3_lPT10_S3_li ; -- Begin function _ZL37rocblas_syrkx_herkx_restricted_kernelIi19rocblas_complex_numIfELi16ELi32ELi8ELi1ELi0ELb1ELc78ELc76EKS1_S1_EviT_PT9_S3_lS5_S3_lPT10_S3_li
	.p2align	8
	.type	_ZL37rocblas_syrkx_herkx_restricted_kernelIi19rocblas_complex_numIfELi16ELi32ELi8ELi1ELi0ELb1ELc78ELc76EKS1_S1_EviT_PT9_S3_lS5_S3_lPT10_S3_li,@function
_ZL37rocblas_syrkx_herkx_restricted_kernelIi19rocblas_complex_numIfELi16ELi32ELi8ELi1ELi0ELb1ELc78ELc76EKS1_S1_EviT_PT9_S3_lS5_S3_lPT10_S3_li: ; @_ZL37rocblas_syrkx_herkx_restricted_kernelIi19rocblas_complex_numIfELi16ELi32ELi8ELi1ELi0ELb1ELc78ELc76EKS1_S1_EviT_PT9_S3_lS5_S3_lPT10_S3_li
; %bb.0:
	s_load_dwordx2 s[10:11], s[4:5], 0x0
	s_load_dwordx4 s[0:3], s[4:5], 0x30
	s_lshl_b32 s9, s6, 5
	s_lshl_b32 s16, s7, 5
	s_mov_b32 s17, 0
	s_waitcnt lgkmcnt(0)
	s_cmp_lt_i32 s11, 1
	s_cbranch_scc1 .LBB324_3
; %bb.1:
	v_lshl_add_u32 v5, v1, 4, v0
	s_load_dword s6, s[4:5], 0x10
	s_load_dword s18, s[4:5], 0x28
	s_load_dwordx2 s[20:21], s[4:5], 0x8
	s_load_dwordx4 s[12:15], s[4:5], 0x18
	v_lshrrev_b32_e32 v6, 3, v5
	v_add_u32_e32 v2, s16, v6
	v_and_b32_e32 v4, 7, v0
	v_ashrrev_i32_e32 v3, 31, v2
	s_waitcnt lgkmcnt(0)
	v_mad_i64_i32 v[2:3], s[22:23], s18, v4, v[2:3]
	v_lshlrev_b32_e32 v4, 3, v4
	v_lshl_or_b32 v4, v6, 6, v4
	v_lshrrev_b32_e32 v7, 5, v5
	v_and_b32_e32 v5, 31, v5
	v_add_u32_e32 v15, 0x800, v4
	v_mov_b32_e32 v4, 0x800
	v_lshl_add_u32 v17, v1, 6, v4
	v_add_u32_e32 v4, s9, v5
	v_lshlrev_b32_e32 v8, 3, v5
	v_ashrrev_i32_e32 v5, 31, v4
	v_mad_i64_i32 v[4:5], s[22:23], s6, v7, v[4:5]
	s_mul_i32 s13, s13, s8
	s_mul_hi_u32 s24, s12, s8
	s_add_i32 s13, s24, s13
	s_mul_i32 s12, s12, s8
	s_ashr_i32 s7, s6, 31
	s_ashr_i32 s19, s18, 31
	s_lshl_b64 s[12:13], s[12:13], 3
	v_lshlrev_b64 v[4:5], 3, v[4:5]
	s_add_u32 s12, s20, s12
	s_addc_u32 s13, s21, s13
	v_add_co_u32_e32 v4, vcc, s12, v4
	s_mul_i32 s1, s1, s8
	s_mul_hi_u32 s12, s0, s8
	v_mov_b32_e32 v6, s13
	s_add_i32 s1, s12, s1
	s_mul_i32 s0, s0, s8
	v_addc_co_u32_e32 v5, vcc, v6, v5, vcc
	s_lshl_b64 s[6:7], s[6:7], 6
	s_lshl_b64 s[0:1], s[0:1], 3
	v_add_co_u32_e32 v6, vcc, 4, v4
	v_lshlrev_b64 v[2:3], 3, v[2:3]
	s_add_u32 s0, s14, s0
	v_lshl_or_b32 v14, v7, 8, v8
	v_addc_co_u32_e32 v7, vcc, 0, v5, vcc
	s_addc_u32 s1, s15, s1
	v_mov_b32_e32 v4, s1
	v_add_co_u32_e32 v2, vcc, s0, v2
	v_addc_co_u32_e32 v3, vcc, v4, v3, vcc
	v_add_co_u32_e32 v8, vcc, 4, v2
	s_lshl_b64 s[0:1], s[18:19], 6
	v_lshlrev_b32_e32 v16, 3, v0
	v_addc_co_u32_e32 v9, vcc, 0, v3, vcc
	v_mov_b32_e32 v20, 0
	v_mov_b32_e32 v18, s7
	;; [unrolled: 1-line block ×10, first 2 shown]
.LBB324_2:                              ; =>This Inner Loop Header: Depth=1
	global_load_dwordx2 v[2:3], v[6:7], off offset:-4
	v_add_co_u32_e32 v6, vcc, s6, v6
	v_addc_co_u32_e32 v7, vcc, v7, v18, vcc
	s_add_i32 s17, s17, 8
	s_cmp_ge_i32 s17, s11
	s_waitcnt vmcnt(0)
	ds_write_b64 v14, v[2:3]
	global_load_dwordx2 v[2:3], v[8:9], off offset:-4
	v_add_co_u32_e32 v8, vcc, s0, v8
	v_addc_co_u32_e32 v9, vcc, v9, v19, vcc
	s_waitcnt vmcnt(0)
	v_xor_b32_e32 v3, 0x80000000, v3
	ds_write_b64 v15, v[2:3]
	s_waitcnt lgkmcnt(0)
	s_barrier
	ds_read_b128 v[24:27], v17
	ds_read_b128 v[28:31], v17 offset:16
	ds_read_b128 v[32:35], v17 offset:32
	;; [unrolled: 1-line block ×3, first 2 shown]
	ds_read2_b64 v[36:39], v16 offset1:16
	s_waitcnt lgkmcnt(0)
	v_mul_f32_e32 v41, v24, v37
	v_mul_f32_e32 v40, v25, v37
	v_fmac_f32_e32 v41, v25, v36
	v_fma_f32 v40, v24, v36, -v40
	v_add_f32_e32 v41, v23, v41
	v_mul_f32_e32 v23, v24, v39
	v_add_f32_e32 v40, v13, v40
	v_mul_f32_e32 v13, v25, v39
	v_fmac_f32_e32 v23, v25, v38
	v_fma_f32 v13, v24, v38, -v13
	v_add_f32_e32 v43, v22, v23
	ds_read_b128 v[22:25], v17 offset:1024
	v_add_f32_e32 v42, v12, v13
	s_waitcnt lgkmcnt(0)
	v_mul_f32_e32 v12, v23, v37
	v_fma_f32 v12, v22, v36, -v12
	v_mul_f32_e32 v13, v22, v37
	v_fmac_f32_e32 v13, v23, v36
	v_add_f32_e32 v36, v11, v12
	v_mul_f32_e32 v11, v23, v39
	v_mul_f32_e32 v12, v22, v39
	v_fma_f32 v11, v22, v38, -v11
	v_fmac_f32_e32 v12, v23, v38
	v_add_f32_e32 v21, v21, v13
	v_add_f32_e32 v22, v10, v11
	;; [unrolled: 1-line block ×3, first 2 shown]
	ds_read2_b64 v[10:13], v16 offset0:32 offset1:48
	s_waitcnt lgkmcnt(0)
	v_mul_f32_e32 v23, v27, v11
	v_mul_f32_e32 v38, v27, v13
	v_fma_f32 v23, v26, v10, -v23
	v_mul_f32_e32 v37, v26, v11
	v_fma_f32 v38, v26, v12, -v38
	v_mul_f32_e32 v26, v26, v13
	v_fmac_f32_e32 v37, v27, v10
	v_fmac_f32_e32 v26, v27, v12
	v_add_f32_e32 v27, v42, v38
	v_mul_f32_e32 v38, v25, v11
	v_mul_f32_e32 v11, v24, v11
	v_fma_f32 v38, v24, v10, -v38
	v_fmac_f32_e32 v11, v25, v10
	v_add_f32_e32 v36, v36, v38
	v_add_f32_e32 v38, v21, v11
	v_mul_f32_e32 v10, v25, v13
	v_mul_f32_e32 v11, v24, v13
	v_fma_f32 v10, v24, v12, -v10
	v_fmac_f32_e32 v11, v25, v12
	v_add_f32_e32 v24, v22, v10
	v_add_f32_e32 v25, v20, v11
	ds_read2_b64 v[10:13], v16 offset0:64 offset1:80
	v_add_f32_e32 v23, v40, v23
	v_add_f32_e32 v37, v41, v37
	;; [unrolled: 1-line block ×3, first 2 shown]
	s_waitcnt lgkmcnt(0)
	v_mul_f32_e32 v20, v29, v11
	v_mul_f32_e32 v21, v28, v11
	v_fma_f32 v20, v28, v10, -v20
	v_fmac_f32_e32 v21, v29, v10
	v_add_f32_e32 v39, v23, v20
	v_add_f32_e32 v37, v37, v21
	v_mul_f32_e32 v20, v29, v13
	v_mul_f32_e32 v21, v28, v13
	v_fma_f32 v20, v28, v12, -v20
	v_fmac_f32_e32 v21, v29, v12
	v_add_f32_e32 v27, v27, v20
	v_add_f32_e32 v26, v26, v21
	ds_read_b128 v[20:23], v17 offset:1040
	s_waitcnt lgkmcnt(0)
	v_mul_f32_e32 v28, v21, v11
	v_mul_f32_e32 v11, v20, v11
	v_fmac_f32_e32 v11, v21, v10
	v_fma_f32 v28, v20, v10, -v28
	v_add_f32_e32 v29, v38, v11
	v_mul_f32_e32 v10, v21, v13
	v_mul_f32_e32 v11, v20, v13
	v_fma_f32 v10, v20, v12, -v10
	v_fmac_f32_e32 v11, v21, v12
	v_add_f32_e32 v20, v24, v10
	v_add_f32_e32 v21, v25, v11
	ds_read2_b64 v[10:13], v16 offset0:96 offset1:112
	v_add_f32_e32 v28, v36, v28
	s_waitcnt lgkmcnt(0)
	v_mul_f32_e32 v24, v31, v11
	v_mul_f32_e32 v36, v31, v13
	v_fma_f32 v24, v30, v10, -v24
	v_mul_f32_e32 v25, v30, v11
	v_fma_f32 v36, v30, v12, -v36
	v_mul_f32_e32 v30, v30, v13
	v_fmac_f32_e32 v30, v31, v12
	v_add_f32_e32 v26, v26, v30
	v_mul_f32_e32 v30, v23, v11
	v_mul_f32_e32 v11, v22, v11
	v_fmac_f32_e32 v11, v23, v10
	v_fmac_f32_e32 v25, v31, v10
	v_fma_f32 v30, v22, v10, -v30
	v_add_f32_e32 v29, v29, v11
	v_mul_f32_e32 v10, v23, v13
	v_mul_f32_e32 v11, v22, v13
	v_fma_f32 v10, v22, v12, -v10
	v_fmac_f32_e32 v11, v23, v12
	v_add_f32_e32 v28, v28, v30
	v_add_f32_e32 v30, v20, v10
	;; [unrolled: 1-line block ×3, first 2 shown]
	ds_read2_b64 v[10:13], v16 offset0:128 offset1:144
	v_add_f32_e32 v24, v39, v24
	v_add_f32_e32 v25, v37, v25
	;; [unrolled: 1-line block ×3, first 2 shown]
	s_waitcnt lgkmcnt(0)
	v_mul_f32_e32 v20, v33, v11
	v_mul_f32_e32 v21, v32, v11
	v_fma_f32 v20, v32, v10, -v20
	v_fmac_f32_e32 v21, v33, v10
	v_add_f32_e32 v24, v24, v20
	v_add_f32_e32 v25, v25, v21
	v_mul_f32_e32 v20, v33, v13
	v_mul_f32_e32 v21, v32, v13
	v_fma_f32 v20, v32, v12, -v20
	v_fmac_f32_e32 v21, v33, v12
	v_add_f32_e32 v27, v27, v20
	v_add_f32_e32 v26, v26, v21
	ds_read_b128 v[20:23], v17 offset:1056
	s_waitcnt lgkmcnt(0)
	v_mul_f32_e32 v32, v21, v11
	v_mul_f32_e32 v11, v20, v11
	v_fmac_f32_e32 v11, v21, v10
	v_fma_f32 v32, v20, v10, -v32
	v_add_f32_e32 v29, v29, v11
	v_mul_f32_e32 v10, v21, v13
	v_mul_f32_e32 v11, v20, v13
	v_fma_f32 v10, v20, v12, -v10
	v_fmac_f32_e32 v11, v21, v12
	v_add_f32_e32 v20, v30, v10
	v_add_f32_e32 v21, v31, v11
	ds_read2_b64 v[10:13], v16 offset0:160 offset1:176
	v_add_f32_e32 v28, v28, v32
	s_waitcnt lgkmcnt(0)
	v_mul_f32_e32 v30, v35, v11
	v_fma_f32 v30, v34, v10, -v30
	v_add_f32_e32 v24, v24, v30
	v_mul_f32_e32 v30, v35, v13
	v_fma_f32 v30, v34, v12, -v30
	v_mul_f32_e32 v31, v34, v11
	v_add_f32_e32 v27, v27, v30
	v_mul_f32_e32 v30, v23, v11
	v_mul_f32_e32 v11, v22, v11
	v_fmac_f32_e32 v11, v23, v10
	v_fmac_f32_e32 v31, v35, v10
	v_fma_f32 v30, v22, v10, -v30
	v_add_f32_e32 v29, v29, v11
	v_mul_f32_e32 v10, v23, v13
	v_mul_f32_e32 v11, v22, v13
	v_add_f32_e32 v25, v25, v31
	v_mul_f32_e32 v31, v34, v13
	v_fma_f32 v10, v22, v12, -v10
	v_fmac_f32_e32 v11, v23, v12
	v_fmac_f32_e32 v31, v35, v12
	v_add_f32_e32 v20, v20, v10
	v_add_f32_e32 v21, v21, v11
	ds_read2_b64 v[10:13], v16 offset0:192 offset1:208
	v_add_f32_e32 v28, v28, v30
	v_add_f32_e32 v26, v26, v31
	s_waitcnt lgkmcnt(0)
	v_mul_f32_e32 v22, v3, v11
	v_fma_f32 v22, v2, v10, -v22
	v_mul_f32_e32 v23, v2, v11
	v_add_f32_e32 v30, v24, v22
	v_mul_f32_e32 v22, v3, v13
	v_fmac_f32_e32 v23, v3, v10
	v_fma_f32 v22, v2, v12, -v22
	v_mul_f32_e32 v2, v2, v13
	v_add_f32_e32 v31, v25, v23
	v_fmac_f32_e32 v2, v3, v12
	v_add_f32_e32 v3, v27, v22
	ds_read_b128 v[22:25], v17 offset:1072
	v_add_f32_e32 v2, v26, v2
	s_waitcnt lgkmcnt(0)
	v_mul_f32_e32 v26, v23, v11
	v_mul_f32_e32 v11, v22, v11
	v_fma_f32 v26, v22, v10, -v26
	v_fmac_f32_e32 v11, v23, v10
	v_add_f32_e32 v10, v28, v26
	v_add_f32_e32 v32, v29, v11
	ds_read2_b64 v[26:29], v16 offset0:224 offset1:240
	v_mul_f32_e32 v11, v23, v13
	v_fma_f32 v11, v22, v12, -v11
	v_mul_f32_e32 v13, v22, v13
	v_add_f32_e32 v20, v20, v11
	s_waitcnt lgkmcnt(0)
	v_mul_f32_e32 v11, v5, v27
	v_fmac_f32_e32 v13, v23, v12
	v_fma_f32 v11, v4, v26, -v11
	v_add_f32_e32 v33, v21, v13
	v_add_f32_e32 v13, v30, v11
	v_mul_f32_e32 v11, v5, v29
	v_mul_f32_e32 v12, v4, v27
	v_fma_f32 v11, v4, v28, -v11
	v_mul_f32_e32 v4, v4, v29
	v_fmac_f32_e32 v12, v5, v26
	v_fmac_f32_e32 v4, v5, v28
	v_add_f32_e32 v23, v31, v12
	v_add_f32_e32 v12, v3, v11
	;; [unrolled: 1-line block ×3, first 2 shown]
	v_mul_f32_e32 v2, v25, v27
	v_mul_f32_e32 v3, v24, v27
	v_fma_f32 v2, v24, v26, -v2
	v_fmac_f32_e32 v3, v25, v26
	v_add_f32_e32 v11, v10, v2
	v_add_f32_e32 v21, v32, v3
	v_mul_f32_e32 v2, v25, v29
	v_mul_f32_e32 v3, v24, v29
	v_fma_f32 v2, v24, v28, -v2
	v_fmac_f32_e32 v3, v25, v28
	v_add_f32_e32 v10, v20, v2
	v_add_f32_e32 v20, v33, v3
	s_barrier
	s_cbranch_scc0 .LBB324_2
	s_branch .LBB324_4
.LBB324_3:
	v_mov_b32_e32 v23, 0
	v_mov_b32_e32 v13, 0
	;; [unrolled: 1-line block ×8, first 2 shown]
.LBB324_4:
	s_load_dwordx2 s[0:1], s[4:5], 0x48
	s_load_dword s6, s[4:5], 0x40
	v_add_u32_e32 v4, s16, v1
	v_add_u32_e32 v0, s9, v0
	s_waitcnt lgkmcnt(0)
	s_mul_i32 s1, s1, s8
	s_mul_hi_u32 s4, s0, s8
	s_add_i32 s1, s4, s1
	v_mad_i64_i32 v[1:2], s[4:5], v4, s6, 0
	s_mul_i32 s0, s0, s8
	s_lshl_b64 s[0:1], s[0:1], 3
	s_add_u32 s7, s2, s0
	v_lshlrev_b64 v[1:2], 3, v[1:2]
	s_addc_u32 s8, s3, s1
	v_mov_b32_e32 v3, s8
	v_add_co_u32_e32 v5, vcc, s7, v1
	v_addc_co_u32_e32 v6, vcc, v3, v2, vcc
	v_cmp_le_i32_e64 s[0:1], v4, v0
	v_cmp_gt_i32_e32 vcc, s10, v0
	s_and_b64 s[0:1], s[0:1], vcc
	s_and_saveexec_b64 s[2:3], s[0:1]
	s_cbranch_execz .LBB324_6
; %bb.5:
	v_ashrrev_i32_e32 v1, 31, v0
	v_lshlrev_b64 v[1:2], 3, v[0:1]
	v_add_co_u32_e64 v1, s[0:1], v5, v1
	v_addc_co_u32_e64 v2, s[0:1], v6, v2, s[0:1]
	v_cmp_ne_u32_e64 s[0:1], v4, v0
	v_cndmask_b32_e64 v14, 0, v23, s[0:1]
	global_store_dwordx2 v[1:2], v[13:14], off
.LBB324_6:
	s_or_b64 exec, exec, s[2:3]
	v_add_u32_e32 v2, 16, v0
	v_cmp_le_i32_e64 s[2:3], v4, v2
	v_cmp_gt_i32_e64 s[0:1], s10, v2
	s_and_b64 s[2:3], s[2:3], s[0:1]
	s_and_saveexec_b64 s[4:5], s[2:3]
	s_cbranch_execz .LBB324_8
; %bb.7:
	v_ashrrev_i32_e32 v3, 31, v2
	v_lshlrev_b64 v[7:8], 3, v[2:3]
	v_add_co_u32_e64 v5, s[2:3], v5, v7
	v_addc_co_u32_e64 v6, s[2:3], v6, v8, s[2:3]
	v_cmp_ne_u32_e64 s[2:3], v4, v2
	v_cndmask_b32_e64 v13, 0, v22, s[2:3]
	global_store_dwordx2 v[5:6], v[12:13], off
.LBB324_8:
	s_or_b64 exec, exec, s[4:5]
	v_add_u32_e32 v3, 16, v4
	v_mad_i64_i32 v[5:6], s[2:3], v3, s6, 0
	v_mov_b32_e32 v1, s8
	v_lshlrev_b64 v[5:6], 3, v[5:6]
	v_add_co_u32_e64 v5, s[2:3], s7, v5
	v_addc_co_u32_e64 v6, s[2:3], v1, v6, s[2:3]
	v_cmp_le_i32_e64 s[2:3], v3, v0
	s_and_b64 s[4:5], s[2:3], vcc
	s_and_saveexec_b64 s[2:3], s[4:5]
	s_cbranch_execz .LBB324_10
; %bb.9:
	v_ashrrev_i32_e32 v1, 31, v0
	v_lshlrev_b64 v[7:8], 3, v[0:1]
	v_add_co_u32_e32 v7, vcc, v5, v7
	v_addc_co_u32_e32 v8, vcc, v6, v8, vcc
	v_cmp_ne_u32_e32 vcc, v3, v0
	v_cndmask_b32_e32 v12, 0, v21, vcc
	global_store_dwordx2 v[7:8], v[11:12], off
.LBB324_10:
	s_or_b64 exec, exec, s[2:3]
	v_cmp_le_i32_e32 vcc, v3, v2
	s_and_b64 s[0:1], vcc, s[0:1]
	s_and_saveexec_b64 s[2:3], s[0:1]
	s_cbranch_execz .LBB324_12
; %bb.11:
	v_ashrrev_i32_e32 v3, 31, v2
	v_lshlrev_b64 v[1:2], 3, v[2:3]
	v_add_co_u32_e32 v1, vcc, v5, v1
	v_addc_co_u32_e32 v2, vcc, v6, v2, vcc
	v_cmp_ne_u32_e32 vcc, v4, v0
	v_cndmask_b32_e32 v11, 0, v20, vcc
	global_store_dwordx2 v[1:2], v[10:11], off
.LBB324_12:
	s_endpgm
	.section	.rodata,"a",@progbits
	.p2align	6, 0x0
	.amdhsa_kernel _ZL37rocblas_syrkx_herkx_restricted_kernelIi19rocblas_complex_numIfELi16ELi32ELi8ELi1ELi0ELb1ELc78ELc76EKS1_S1_EviT_PT9_S3_lS5_S3_lPT10_S3_li
		.amdhsa_group_segment_fixed_size 4096
		.amdhsa_private_segment_fixed_size 0
		.amdhsa_kernarg_size 84
		.amdhsa_user_sgpr_count 6
		.amdhsa_user_sgpr_private_segment_buffer 1
		.amdhsa_user_sgpr_dispatch_ptr 0
		.amdhsa_user_sgpr_queue_ptr 0
		.amdhsa_user_sgpr_kernarg_segment_ptr 1
		.amdhsa_user_sgpr_dispatch_id 0
		.amdhsa_user_sgpr_flat_scratch_init 0
		.amdhsa_user_sgpr_private_segment_size 0
		.amdhsa_uses_dynamic_stack 0
		.amdhsa_system_sgpr_private_segment_wavefront_offset 0
		.amdhsa_system_sgpr_workgroup_id_x 1
		.amdhsa_system_sgpr_workgroup_id_y 1
		.amdhsa_system_sgpr_workgroup_id_z 1
		.amdhsa_system_sgpr_workgroup_info 0
		.amdhsa_system_vgpr_workitem_id 1
		.amdhsa_next_free_vgpr 44
		.amdhsa_next_free_sgpr 25
		.amdhsa_reserve_vcc 1
		.amdhsa_reserve_flat_scratch 0
		.amdhsa_float_round_mode_32 0
		.amdhsa_float_round_mode_16_64 0
		.amdhsa_float_denorm_mode_32 3
		.amdhsa_float_denorm_mode_16_64 3
		.amdhsa_dx10_clamp 1
		.amdhsa_ieee_mode 1
		.amdhsa_fp16_overflow 0
		.amdhsa_exception_fp_ieee_invalid_op 0
		.amdhsa_exception_fp_denorm_src 0
		.amdhsa_exception_fp_ieee_div_zero 0
		.amdhsa_exception_fp_ieee_overflow 0
		.amdhsa_exception_fp_ieee_underflow 0
		.amdhsa_exception_fp_ieee_inexact 0
		.amdhsa_exception_int_div_zero 0
	.end_amdhsa_kernel
	.section	.text._ZL37rocblas_syrkx_herkx_restricted_kernelIi19rocblas_complex_numIfELi16ELi32ELi8ELi1ELi0ELb1ELc78ELc76EKS1_S1_EviT_PT9_S3_lS5_S3_lPT10_S3_li,"axG",@progbits,_ZL37rocblas_syrkx_herkx_restricted_kernelIi19rocblas_complex_numIfELi16ELi32ELi8ELi1ELi0ELb1ELc78ELc76EKS1_S1_EviT_PT9_S3_lS5_S3_lPT10_S3_li,comdat
.Lfunc_end324:
	.size	_ZL37rocblas_syrkx_herkx_restricted_kernelIi19rocblas_complex_numIfELi16ELi32ELi8ELi1ELi0ELb1ELc78ELc76EKS1_S1_EviT_PT9_S3_lS5_S3_lPT10_S3_li, .Lfunc_end324-_ZL37rocblas_syrkx_herkx_restricted_kernelIi19rocblas_complex_numIfELi16ELi32ELi8ELi1ELi0ELb1ELc78ELc76EKS1_S1_EviT_PT9_S3_lS5_S3_lPT10_S3_li
                                        ; -- End function
	.set _ZL37rocblas_syrkx_herkx_restricted_kernelIi19rocblas_complex_numIfELi16ELi32ELi8ELi1ELi0ELb1ELc78ELc76EKS1_S1_EviT_PT9_S3_lS5_S3_lPT10_S3_li.num_vgpr, 44
	.set _ZL37rocblas_syrkx_herkx_restricted_kernelIi19rocblas_complex_numIfELi16ELi32ELi8ELi1ELi0ELb1ELc78ELc76EKS1_S1_EviT_PT9_S3_lS5_S3_lPT10_S3_li.num_agpr, 0
	.set _ZL37rocblas_syrkx_herkx_restricted_kernelIi19rocblas_complex_numIfELi16ELi32ELi8ELi1ELi0ELb1ELc78ELc76EKS1_S1_EviT_PT9_S3_lS5_S3_lPT10_S3_li.numbered_sgpr, 25
	.set _ZL37rocblas_syrkx_herkx_restricted_kernelIi19rocblas_complex_numIfELi16ELi32ELi8ELi1ELi0ELb1ELc78ELc76EKS1_S1_EviT_PT9_S3_lS5_S3_lPT10_S3_li.num_named_barrier, 0
	.set _ZL37rocblas_syrkx_herkx_restricted_kernelIi19rocblas_complex_numIfELi16ELi32ELi8ELi1ELi0ELb1ELc78ELc76EKS1_S1_EviT_PT9_S3_lS5_S3_lPT10_S3_li.private_seg_size, 0
	.set _ZL37rocblas_syrkx_herkx_restricted_kernelIi19rocblas_complex_numIfELi16ELi32ELi8ELi1ELi0ELb1ELc78ELc76EKS1_S1_EviT_PT9_S3_lS5_S3_lPT10_S3_li.uses_vcc, 1
	.set _ZL37rocblas_syrkx_herkx_restricted_kernelIi19rocblas_complex_numIfELi16ELi32ELi8ELi1ELi0ELb1ELc78ELc76EKS1_S1_EviT_PT9_S3_lS5_S3_lPT10_S3_li.uses_flat_scratch, 0
	.set _ZL37rocblas_syrkx_herkx_restricted_kernelIi19rocblas_complex_numIfELi16ELi32ELi8ELi1ELi0ELb1ELc78ELc76EKS1_S1_EviT_PT9_S3_lS5_S3_lPT10_S3_li.has_dyn_sized_stack, 0
	.set _ZL37rocblas_syrkx_herkx_restricted_kernelIi19rocblas_complex_numIfELi16ELi32ELi8ELi1ELi0ELb1ELc78ELc76EKS1_S1_EviT_PT9_S3_lS5_S3_lPT10_S3_li.has_recursion, 0
	.set _ZL37rocblas_syrkx_herkx_restricted_kernelIi19rocblas_complex_numIfELi16ELi32ELi8ELi1ELi0ELb1ELc78ELc76EKS1_S1_EviT_PT9_S3_lS5_S3_lPT10_S3_li.has_indirect_call, 0
	.section	.AMDGPU.csdata,"",@progbits
; Kernel info:
; codeLenInByte = 1956
; TotalNumSgprs: 29
; NumVgprs: 44
; ScratchSize: 0
; MemoryBound: 0
; FloatMode: 240
; IeeeMode: 1
; LDSByteSize: 4096 bytes/workgroup (compile time only)
; SGPRBlocks: 3
; VGPRBlocks: 10
; NumSGPRsForWavesPerEU: 29
; NumVGPRsForWavesPerEU: 44
; Occupancy: 5
; WaveLimiterHint : 0
; COMPUTE_PGM_RSRC2:SCRATCH_EN: 0
; COMPUTE_PGM_RSRC2:USER_SGPR: 6
; COMPUTE_PGM_RSRC2:TRAP_HANDLER: 0
; COMPUTE_PGM_RSRC2:TGID_X_EN: 1
; COMPUTE_PGM_RSRC2:TGID_Y_EN: 1
; COMPUTE_PGM_RSRC2:TGID_Z_EN: 1
; COMPUTE_PGM_RSRC2:TIDIG_COMP_CNT: 1
	.section	.text._ZL37rocblas_syrkx_herkx_restricted_kernelIi19rocblas_complex_numIfELi16ELi32ELi8ELi1ELi0ELb1ELc84ELc85EKS1_S1_EviT_PT9_S3_lS5_S3_lPT10_S3_li,"axG",@progbits,_ZL37rocblas_syrkx_herkx_restricted_kernelIi19rocblas_complex_numIfELi16ELi32ELi8ELi1ELi0ELb1ELc84ELc85EKS1_S1_EviT_PT9_S3_lS5_S3_lPT10_S3_li,comdat
	.globl	_ZL37rocblas_syrkx_herkx_restricted_kernelIi19rocblas_complex_numIfELi16ELi32ELi8ELi1ELi0ELb1ELc84ELc85EKS1_S1_EviT_PT9_S3_lS5_S3_lPT10_S3_li ; -- Begin function _ZL37rocblas_syrkx_herkx_restricted_kernelIi19rocblas_complex_numIfELi16ELi32ELi8ELi1ELi0ELb1ELc84ELc85EKS1_S1_EviT_PT9_S3_lS5_S3_lPT10_S3_li
	.p2align	8
	.type	_ZL37rocblas_syrkx_herkx_restricted_kernelIi19rocblas_complex_numIfELi16ELi32ELi8ELi1ELi0ELb1ELc84ELc85EKS1_S1_EviT_PT9_S3_lS5_S3_lPT10_S3_li,@function
_ZL37rocblas_syrkx_herkx_restricted_kernelIi19rocblas_complex_numIfELi16ELi32ELi8ELi1ELi0ELb1ELc84ELc85EKS1_S1_EviT_PT9_S3_lS5_S3_lPT10_S3_li: ; @_ZL37rocblas_syrkx_herkx_restricted_kernelIi19rocblas_complex_numIfELi16ELi32ELi8ELi1ELi0ELb1ELc84ELc85EKS1_S1_EviT_PT9_S3_lS5_S3_lPT10_S3_li
; %bb.0:
	s_load_dwordx2 s[10:11], s[4:5], 0x0
	s_load_dwordx4 s[0:3], s[4:5], 0x30
	s_lshl_b32 s6, s6, 5
	s_lshl_b32 s7, s7, 5
	s_mov_b32 s9, 0
	s_waitcnt lgkmcnt(0)
	s_cmp_lt_i32 s11, 1
	s_cbranch_scc1 .LBB325_3
; %bb.1:
	v_lshl_add_u32 v4, v1, 4, v0
	v_and_b32_e32 v7, 31, v4
	s_load_dwordx2 s[16:17], s[4:5], 0x8
	s_load_dword s20, s[4:5], 0x10
	s_load_dwordx4 s[12:15], s[4:5], 0x18
	s_load_dword s18, s[4:5], 0x28
	v_lshrrev_b32_e32 v6, 3, v4
	v_and_b32_e32 v9, 7, v0
	v_lshrrev_b32_e32 v4, 5, v4
	v_lshlrev_b32_e32 v8, 3, v7
	v_lshl_or_b32 v15, v4, 8, v8
	v_lshlrev_b32_e32 v8, 3, v9
	v_add_u32_e32 v2, s7, v6
	v_lshl_or_b32 v6, v6, 6, v8
	v_mov_b32_e32 v10, 0
	v_add_u32_e32 v16, 0x800, v6
	v_mov_b32_e32 v6, 0x800
	v_mov_b32_e32 v5, v10
	v_lshl_add_u32 v18, v1, 6, v6
	v_add_u32_e32 v6, s6, v7
	s_waitcnt lgkmcnt(0)
	v_mad_i64_i32 v[2:3], s[18:19], s18, v2, v[9:10]
	v_mad_i64_i32 v[4:5], s[18:19], s20, v6, v[4:5]
	s_mul_i32 s13, s13, s8
	s_mul_hi_u32 s21, s12, s8
	s_add_i32 s13, s21, s13
	s_mul_i32 s12, s12, s8
	s_lshl_b64 s[12:13], s[12:13], 3
	v_lshlrev_b64 v[4:5], 3, v[4:5]
	s_add_u32 s12, s16, s12
	s_addc_u32 s13, s17, s13
	v_add_co_u32_e32 v4, vcc, s12, v4
	s_mul_i32 s1, s1, s8
	s_mul_hi_u32 s12, s0, s8
	v_mov_b32_e32 v6, s13
	s_add_i32 s1, s12, s1
	s_mul_i32 s0, s0, s8
	v_addc_co_u32_e32 v5, vcc, v6, v5, vcc
	s_lshl_b64 s[0:1], s[0:1], 3
	v_add_co_u32_e32 v6, vcc, 4, v4
	v_lshlrev_b64 v[2:3], 3, v[2:3]
	s_add_u32 s0, s14, s0
	v_addc_co_u32_e32 v7, vcc, 0, v5, vcc
	s_addc_u32 s1, s15, s1
	v_mov_b32_e32 v4, s1
	v_add_co_u32_e32 v2, vcc, s0, v2
	v_addc_co_u32_e32 v3, vcc, v4, v3, vcc
	v_add_co_u32_e32 v8, vcc, 4, v2
	v_lshlrev_b32_e32 v17, 3, v0
	v_addc_co_u32_e32 v9, vcc, 0, v3, vcc
	v_mov_b32_e32 v11, v10
	v_mov_b32_e32 v19, v10
	;; [unrolled: 1-line block ×7, first 2 shown]
.LBB325_2:                              ; =>This Inner Loop Header: Depth=1
	global_load_dwordx2 v[2:3], v[6:7], off offset:-4
	v_add_co_u32_e32 v6, vcc, 64, v6
	v_addc_co_u32_e32 v7, vcc, 0, v7, vcc
	s_add_i32 s9, s9, 8
	s_cmp_ge_i32 s9, s11
	s_waitcnt vmcnt(0)
	ds_write_b64 v15, v[2:3]
	global_load_dwordx2 v[2:3], v[8:9], off offset:-4
	v_add_co_u32_e32 v8, vcc, 64, v8
	v_addc_co_u32_e32 v9, vcc, 0, v9, vcc
	s_waitcnt vmcnt(0)
	ds_write_b64 v16, v[2:3]
	s_waitcnt lgkmcnt(0)
	s_barrier
	ds_read_b128 v[22:25], v18
	ds_read_b128 v[26:29], v18 offset:16
	ds_read_b128 v[30:33], v18 offset:32
	;; [unrolled: 1-line block ×3, first 2 shown]
	ds_read2_b64 v[34:37], v17 offset1:16
	s_waitcnt lgkmcnt(0)
	v_mul_f32_e32 v38, v23, v35
	v_mul_f32_e32 v39, v22, v35
	v_fma_f32 v38, v22, v34, -v38
	v_fmac_f32_e32 v39, v23, v34
	v_add_f32_e32 v14, v14, v38
	v_add_f32_e32 v38, v21, v39
	v_mul_f32_e32 v21, v23, v37
	v_fma_f32 v21, v22, v36, -v21
	v_mul_f32_e32 v22, v22, v37
	v_fmac_f32_e32 v22, v23, v36
	v_add_f32_e32 v39, v13, v21
	v_add_f32_e32 v40, v20, v22
	ds_read_b128 v[20:23], v18 offset:1024
	s_waitcnt lgkmcnt(0)
	v_mul_f32_e32 v13, v21, v35
	v_fma_f32 v13, v20, v34, -v13
	v_mul_f32_e32 v35, v20, v35
	v_fmac_f32_e32 v35, v21, v34
	v_add_f32_e32 v34, v12, v13
	v_mul_f32_e32 v12, v21, v37
	v_mul_f32_e32 v13, v20, v37
	v_fma_f32 v12, v20, v36, -v12
	v_fmac_f32_e32 v13, v21, v36
	v_add_f32_e32 v20, v11, v12
	v_add_f32_e32 v21, v10, v13
	ds_read2_b64 v[10:13], v17 offset0:32 offset1:48
	v_add_f32_e32 v19, v19, v35
	s_waitcnt lgkmcnt(0)
	v_mul_f32_e32 v35, v25, v11
	v_mul_f32_e32 v36, v24, v11
	v_fma_f32 v35, v24, v10, -v35
	v_fmac_f32_e32 v36, v25, v10
	v_add_f32_e32 v14, v14, v35
	v_add_f32_e32 v35, v38, v36
	v_mul_f32_e32 v36, v25, v13
	v_fma_f32 v36, v24, v12, -v36
	v_mul_f32_e32 v24, v24, v13
	v_fmac_f32_e32 v24, v25, v12
	v_add_f32_e32 v25, v39, v36
	v_mul_f32_e32 v36, v23, v11
	v_mul_f32_e32 v11, v22, v11
	v_fma_f32 v36, v22, v10, -v36
	v_fmac_f32_e32 v11, v23, v10
	v_add_f32_e32 v34, v34, v36
	v_add_f32_e32 v36, v19, v11
	v_mul_f32_e32 v10, v23, v13
	v_mul_f32_e32 v11, v22, v13
	v_fma_f32 v10, v22, v12, -v10
	v_fmac_f32_e32 v11, v23, v12
	v_add_f32_e32 v23, v20, v10
	v_add_f32_e32 v37, v21, v11
	ds_read2_b64 v[10:13], v17 offset0:64 offset1:80
	v_add_f32_e32 v24, v40, v24
	s_waitcnt lgkmcnt(0)
	v_mul_f32_e32 v19, v27, v11
	v_mul_f32_e32 v20, v26, v11
	v_fma_f32 v19, v26, v10, -v19
	v_fmac_f32_e32 v20, v27, v10
	v_add_f32_e32 v14, v14, v19
	v_add_f32_e32 v35, v35, v20
	v_mul_f32_e32 v19, v27, v13
	v_mul_f32_e32 v20, v26, v13
	v_fma_f32 v19, v26, v12, -v19
	v_fmac_f32_e32 v20, v27, v12
	v_add_f32_e32 v25, v25, v19
	v_add_f32_e32 v24, v24, v20
	ds_read_b128 v[19:22], v18 offset:1040
	s_waitcnt lgkmcnt(0)
	v_mul_f32_e32 v26, v20, v11
	v_mul_f32_e32 v11, v19, v11
	v_fmac_f32_e32 v11, v20, v10
	v_fma_f32 v26, v19, v10, -v26
	v_add_f32_e32 v27, v36, v11
	v_mul_f32_e32 v10, v20, v13
	v_mul_f32_e32 v11, v19, v13
	v_fma_f32 v10, v19, v12, -v10
	v_fmac_f32_e32 v11, v20, v12
	v_add_f32_e32 v19, v23, v10
	v_add_f32_e32 v20, v37, v11
	ds_read2_b64 v[10:13], v17 offset0:96 offset1:112
	v_add_f32_e32 v26, v34, v26
	s_waitcnt lgkmcnt(0)
	v_mul_f32_e32 v23, v29, v11
	v_mul_f32_e32 v34, v28, v11
	v_fma_f32 v23, v28, v10, -v23
	v_fmac_f32_e32 v34, v29, v10
	v_add_f32_e32 v14, v14, v23
	v_add_f32_e32 v23, v35, v34
	v_mul_f32_e32 v34, v29, v13
	v_fma_f32 v34, v28, v12, -v34
	v_mul_f32_e32 v28, v28, v13
	v_fmac_f32_e32 v28, v29, v12
	v_add_f32_e32 v24, v24, v28
	v_mul_f32_e32 v28, v22, v11
	v_mul_f32_e32 v11, v21, v11
	v_fmac_f32_e32 v11, v22, v10
	v_fma_f32 v28, v21, v10, -v28
	v_add_f32_e32 v27, v27, v11
	v_mul_f32_e32 v10, v22, v13
	v_mul_f32_e32 v11, v21, v13
	v_fma_f32 v10, v21, v12, -v10
	v_fmac_f32_e32 v11, v22, v12
	v_add_f32_e32 v26, v26, v28
	v_add_f32_e32 v28, v19, v10
	;; [unrolled: 1-line block ×3, first 2 shown]
	ds_read2_b64 v[10:13], v17 offset0:128 offset1:144
	v_add_f32_e32 v25, v25, v34
	s_waitcnt lgkmcnt(0)
	v_mul_f32_e32 v19, v31, v11
	v_mul_f32_e32 v20, v30, v11
	v_fma_f32 v19, v30, v10, -v19
	v_fmac_f32_e32 v20, v31, v10
	v_add_f32_e32 v14, v14, v19
	v_add_f32_e32 v23, v23, v20
	v_mul_f32_e32 v19, v31, v13
	v_mul_f32_e32 v20, v30, v13
	v_fma_f32 v19, v30, v12, -v19
	v_fmac_f32_e32 v20, v31, v12
	v_add_f32_e32 v25, v25, v19
	v_add_f32_e32 v24, v24, v20
	ds_read_b128 v[19:22], v18 offset:1056
	s_waitcnt lgkmcnt(0)
	v_mul_f32_e32 v30, v20, v11
	v_mul_f32_e32 v11, v19, v11
	v_fmac_f32_e32 v11, v20, v10
	v_fma_f32 v30, v19, v10, -v30
	v_add_f32_e32 v27, v27, v11
	v_mul_f32_e32 v10, v20, v13
	v_mul_f32_e32 v11, v19, v13
	v_fma_f32 v10, v19, v12, -v10
	v_fmac_f32_e32 v11, v20, v12
	v_add_f32_e32 v19, v28, v10
	v_add_f32_e32 v20, v29, v11
	ds_read2_b64 v[10:13], v17 offset0:160 offset1:176
	v_add_f32_e32 v26, v26, v30
	s_waitcnt lgkmcnt(0)
	v_mul_f32_e32 v28, v33, v11
	v_fma_f32 v28, v32, v10, -v28
	v_add_f32_e32 v14, v14, v28
	v_mul_f32_e32 v28, v33, v13
	v_fma_f32 v28, v32, v12, -v28
	v_mul_f32_e32 v29, v32, v11
	v_add_f32_e32 v25, v25, v28
	v_mul_f32_e32 v28, v22, v11
	v_mul_f32_e32 v11, v21, v11
	v_fmac_f32_e32 v11, v22, v10
	v_fmac_f32_e32 v29, v33, v10
	v_fma_f32 v28, v21, v10, -v28
	v_add_f32_e32 v27, v27, v11
	v_mul_f32_e32 v10, v22, v13
	v_mul_f32_e32 v11, v21, v13
	v_add_f32_e32 v23, v23, v29
	v_mul_f32_e32 v29, v32, v13
	v_fma_f32 v10, v21, v12, -v10
	v_fmac_f32_e32 v11, v22, v12
	v_fmac_f32_e32 v29, v33, v12
	v_add_f32_e32 v26, v26, v28
	v_add_f32_e32 v19, v19, v10
	v_add_f32_e32 v28, v20, v11
	ds_read2_b64 v[10:13], v17 offset0:192 offset1:208
	v_add_f32_e32 v24, v24, v29
	s_waitcnt lgkmcnt(0)
	v_mul_f32_e32 v20, v3, v11
	v_fma_f32 v20, v2, v10, -v20
	v_mul_f32_e32 v21, v2, v11
	v_add_f32_e32 v14, v14, v20
	v_mul_f32_e32 v20, v3, v13
	v_fmac_f32_e32 v21, v3, v10
	v_fma_f32 v20, v2, v12, -v20
	v_mul_f32_e32 v2, v2, v13
	v_add_f32_e32 v29, v23, v21
	v_fmac_f32_e32 v2, v3, v12
	v_add_f32_e32 v3, v25, v20
	ds_read_b128 v[20:23], v18 offset:1072
	v_add_f32_e32 v2, v24, v2
	s_waitcnt lgkmcnt(0)
	v_mul_f32_e32 v24, v21, v11
	v_fma_f32 v24, v20, v10, -v24
	v_mul_f32_e32 v11, v20, v11
	v_fmac_f32_e32 v11, v21, v10
	v_add_f32_e32 v10, v26, v24
	v_mul_f32_e32 v24, v21, v13
	v_fma_f32 v24, v20, v12, -v24
	v_add_f32_e32 v11, v27, v11
	v_add_f32_e32 v30, v19, v24
	ds_read2_b64 v[24:27], v17 offset0:224 offset1:240
	v_mul_f32_e32 v13, v20, v13
	v_fmac_f32_e32 v13, v21, v12
	v_add_f32_e32 v28, v28, v13
	s_waitcnt lgkmcnt(0)
	v_mul_f32_e32 v12, v5, v25
	v_fma_f32 v12, v4, v24, -v12
	v_add_f32_e32 v14, v14, v12
	v_mul_f32_e32 v12, v5, v27
	v_mul_f32_e32 v13, v4, v25
	v_fma_f32 v12, v4, v26, -v12
	v_mul_f32_e32 v4, v4, v27
	v_fmac_f32_e32 v13, v5, v24
	v_fmac_f32_e32 v4, v5, v26
	v_add_f32_e32 v21, v29, v13
	v_add_f32_e32 v13, v3, v12
	;; [unrolled: 1-line block ×3, first 2 shown]
	v_mul_f32_e32 v2, v23, v25
	v_mul_f32_e32 v3, v22, v25
	v_fma_f32 v2, v22, v24, -v2
	v_fmac_f32_e32 v3, v23, v24
	v_add_f32_e32 v12, v10, v2
	v_add_f32_e32 v19, v11, v3
	v_mul_f32_e32 v2, v23, v27
	v_mul_f32_e32 v3, v22, v27
	v_fma_f32 v2, v22, v26, -v2
	v_fmac_f32_e32 v3, v23, v26
	v_add_f32_e32 v11, v30, v2
	v_add_f32_e32 v10, v28, v3
	s_barrier
	s_cbranch_scc0 .LBB325_2
	s_branch .LBB325_4
.LBB325_3:
	v_mov_b32_e32 v21, 0
	v_mov_b32_e32 v14, 0
	v_mov_b32_e32 v13, 0
	v_mov_b32_e32 v20, 0
	v_mov_b32_e32 v12, 0
	v_mov_b32_e32 v19, 0
	v_mov_b32_e32 v11, 0
	v_mov_b32_e32 v10, 0
.LBB325_4:
	s_load_dwordx2 s[0:1], s[4:5], 0x48
	s_load_dword s9, s[4:5], 0x40
	v_add_u32_e32 v4, s7, v1
	v_add_u32_e32 v0, s6, v0
	v_cmp_gt_i32_e32 vcc, s10, v4
	s_waitcnt lgkmcnt(0)
	s_mul_i32 s1, s1, s8
	v_mad_i64_i32 v[1:2], s[12:13], v4, s9, 0
	s_mul_hi_u32 s4, s0, s8
	s_mul_i32 s0, s0, s8
	s_add_i32 s1, s4, s1
	s_lshl_b64 s[0:1], s[0:1], 3
	s_add_u32 s4, s2, s0
	v_lshlrev_b64 v[1:2], 3, v[1:2]
	s_addc_u32 s5, s3, s1
	v_mov_b32_e32 v3, s5
	v_add_co_u32_e64 v5, s[0:1], s4, v1
	v_addc_co_u32_e64 v6, s[0:1], v3, v2, s[0:1]
	v_cmp_le_i32_e64 s[0:1], v0, v4
	s_and_b64 s[0:1], vcc, s[0:1]
	s_and_saveexec_b64 s[2:3], s[0:1]
	s_cbranch_execz .LBB325_6
; %bb.5:
	v_ashrrev_i32_e32 v1, 31, v0
	v_lshlrev_b64 v[1:2], 3, v[0:1]
	v_add_co_u32_e64 v1, s[0:1], v5, v1
	v_addc_co_u32_e64 v2, s[0:1], v6, v2, s[0:1]
	v_cmp_ne_u32_e64 s[0:1], v4, v0
	v_cndmask_b32_e64 v15, 0, v21, s[0:1]
	global_store_dwordx2 v[1:2], v[14:15], off
.LBB325_6:
	s_or_b64 exec, exec, s[2:3]
	v_add_u32_e32 v2, 16, v0
	v_cmp_le_i32_e64 s[0:1], v2, v4
	s_and_b64 s[2:3], vcc, s[0:1]
	s_and_saveexec_b64 s[0:1], s[2:3]
	s_cbranch_execz .LBB325_8
; %bb.7:
	v_ashrrev_i32_e32 v3, 31, v2
	v_lshlrev_b64 v[7:8], 3, v[2:3]
	v_add_co_u32_e32 v5, vcc, v5, v7
	v_addc_co_u32_e32 v6, vcc, v6, v8, vcc
	v_cmp_ne_u32_e32 vcc, v4, v2
	v_cndmask_b32_e32 v14, 0, v20, vcc
	global_store_dwordx2 v[5:6], v[13:14], off
.LBB325_8:
	s_or_b64 exec, exec, s[0:1]
	v_add_u32_e32 v3, 16, v4
	v_mad_i64_i32 v[5:6], s[0:1], v3, s9, 0
	v_mov_b32_e32 v1, s5
	v_cmp_gt_i32_e32 vcc, s10, v3
	v_lshlrev_b64 v[5:6], 3, v[5:6]
	v_add_co_u32_e64 v5, s[0:1], s4, v5
	v_addc_co_u32_e64 v6, s[0:1], v1, v6, s[0:1]
	v_cmp_le_i32_e64 s[0:1], v0, v3
	s_and_b64 s[0:1], vcc, s[0:1]
	s_and_saveexec_b64 s[2:3], s[0:1]
	s_cbranch_execz .LBB325_10
; %bb.9:
	v_ashrrev_i32_e32 v1, 31, v0
	v_lshlrev_b64 v[7:8], 3, v[0:1]
	v_add_co_u32_e64 v7, s[0:1], v5, v7
	v_addc_co_u32_e64 v8, s[0:1], v6, v8, s[0:1]
	v_cmp_ne_u32_e64 s[0:1], v3, v0
	v_cndmask_b32_e64 v13, 0, v19, s[0:1]
	global_store_dwordx2 v[7:8], v[12:13], off
.LBB325_10:
	s_or_b64 exec, exec, s[2:3]
	v_cmp_le_i32_e64 s[0:1], v2, v3
	s_and_b64 s[0:1], vcc, s[0:1]
	s_and_saveexec_b64 s[2:3], s[0:1]
	s_cbranch_execz .LBB325_12
; %bb.11:
	v_ashrrev_i32_e32 v3, 31, v2
	v_lshlrev_b64 v[1:2], 3, v[2:3]
	v_add_co_u32_e32 v1, vcc, v5, v1
	v_addc_co_u32_e32 v2, vcc, v6, v2, vcc
	v_cmp_ne_u32_e32 vcc, v4, v0
	v_cndmask_b32_e32 v12, 0, v10, vcc
	global_store_dwordx2 v[1:2], v[11:12], off
.LBB325_12:
	s_endpgm
	.section	.rodata,"a",@progbits
	.p2align	6, 0x0
	.amdhsa_kernel _ZL37rocblas_syrkx_herkx_restricted_kernelIi19rocblas_complex_numIfELi16ELi32ELi8ELi1ELi0ELb1ELc84ELc85EKS1_S1_EviT_PT9_S3_lS5_S3_lPT10_S3_li
		.amdhsa_group_segment_fixed_size 4096
		.amdhsa_private_segment_fixed_size 0
		.amdhsa_kernarg_size 84
		.amdhsa_user_sgpr_count 6
		.amdhsa_user_sgpr_private_segment_buffer 1
		.amdhsa_user_sgpr_dispatch_ptr 0
		.amdhsa_user_sgpr_queue_ptr 0
		.amdhsa_user_sgpr_kernarg_segment_ptr 1
		.amdhsa_user_sgpr_dispatch_id 0
		.amdhsa_user_sgpr_flat_scratch_init 0
		.amdhsa_user_sgpr_private_segment_size 0
		.amdhsa_uses_dynamic_stack 0
		.amdhsa_system_sgpr_private_segment_wavefront_offset 0
		.amdhsa_system_sgpr_workgroup_id_x 1
		.amdhsa_system_sgpr_workgroup_id_y 1
		.amdhsa_system_sgpr_workgroup_id_z 1
		.amdhsa_system_sgpr_workgroup_info 0
		.amdhsa_system_vgpr_workitem_id 1
		.amdhsa_next_free_vgpr 41
		.amdhsa_next_free_sgpr 22
		.amdhsa_reserve_vcc 1
		.amdhsa_reserve_flat_scratch 0
		.amdhsa_float_round_mode_32 0
		.amdhsa_float_round_mode_16_64 0
		.amdhsa_float_denorm_mode_32 3
		.amdhsa_float_denorm_mode_16_64 3
		.amdhsa_dx10_clamp 1
		.amdhsa_ieee_mode 1
		.amdhsa_fp16_overflow 0
		.amdhsa_exception_fp_ieee_invalid_op 0
		.amdhsa_exception_fp_denorm_src 0
		.amdhsa_exception_fp_ieee_div_zero 0
		.amdhsa_exception_fp_ieee_overflow 0
		.amdhsa_exception_fp_ieee_underflow 0
		.amdhsa_exception_fp_ieee_inexact 0
		.amdhsa_exception_int_div_zero 0
	.end_amdhsa_kernel
	.section	.text._ZL37rocblas_syrkx_herkx_restricted_kernelIi19rocblas_complex_numIfELi16ELi32ELi8ELi1ELi0ELb1ELc84ELc85EKS1_S1_EviT_PT9_S3_lS5_S3_lPT10_S3_li,"axG",@progbits,_ZL37rocblas_syrkx_herkx_restricted_kernelIi19rocblas_complex_numIfELi16ELi32ELi8ELi1ELi0ELb1ELc84ELc85EKS1_S1_EviT_PT9_S3_lS5_S3_lPT10_S3_li,comdat
.Lfunc_end325:
	.size	_ZL37rocblas_syrkx_herkx_restricted_kernelIi19rocblas_complex_numIfELi16ELi32ELi8ELi1ELi0ELb1ELc84ELc85EKS1_S1_EviT_PT9_S3_lS5_S3_lPT10_S3_li, .Lfunc_end325-_ZL37rocblas_syrkx_herkx_restricted_kernelIi19rocblas_complex_numIfELi16ELi32ELi8ELi1ELi0ELb1ELc84ELc85EKS1_S1_EviT_PT9_S3_lS5_S3_lPT10_S3_li
                                        ; -- End function
	.set _ZL37rocblas_syrkx_herkx_restricted_kernelIi19rocblas_complex_numIfELi16ELi32ELi8ELi1ELi0ELb1ELc84ELc85EKS1_S1_EviT_PT9_S3_lS5_S3_lPT10_S3_li.num_vgpr, 41
	.set _ZL37rocblas_syrkx_herkx_restricted_kernelIi19rocblas_complex_numIfELi16ELi32ELi8ELi1ELi0ELb1ELc84ELc85EKS1_S1_EviT_PT9_S3_lS5_S3_lPT10_S3_li.num_agpr, 0
	.set _ZL37rocblas_syrkx_herkx_restricted_kernelIi19rocblas_complex_numIfELi16ELi32ELi8ELi1ELi0ELb1ELc84ELc85EKS1_S1_EviT_PT9_S3_lS5_S3_lPT10_S3_li.numbered_sgpr, 22
	.set _ZL37rocblas_syrkx_herkx_restricted_kernelIi19rocblas_complex_numIfELi16ELi32ELi8ELi1ELi0ELb1ELc84ELc85EKS1_S1_EviT_PT9_S3_lS5_S3_lPT10_S3_li.num_named_barrier, 0
	.set _ZL37rocblas_syrkx_herkx_restricted_kernelIi19rocblas_complex_numIfELi16ELi32ELi8ELi1ELi0ELb1ELc84ELc85EKS1_S1_EviT_PT9_S3_lS5_S3_lPT10_S3_li.private_seg_size, 0
	.set _ZL37rocblas_syrkx_herkx_restricted_kernelIi19rocblas_complex_numIfELi16ELi32ELi8ELi1ELi0ELb1ELc84ELc85EKS1_S1_EviT_PT9_S3_lS5_S3_lPT10_S3_li.uses_vcc, 1
	.set _ZL37rocblas_syrkx_herkx_restricted_kernelIi19rocblas_complex_numIfELi16ELi32ELi8ELi1ELi0ELb1ELc84ELc85EKS1_S1_EviT_PT9_S3_lS5_S3_lPT10_S3_li.uses_flat_scratch, 0
	.set _ZL37rocblas_syrkx_herkx_restricted_kernelIi19rocblas_complex_numIfELi16ELi32ELi8ELi1ELi0ELb1ELc84ELc85EKS1_S1_EviT_PT9_S3_lS5_S3_lPT10_S3_li.has_dyn_sized_stack, 0
	.set _ZL37rocblas_syrkx_herkx_restricted_kernelIi19rocblas_complex_numIfELi16ELi32ELi8ELi1ELi0ELb1ELc84ELc85EKS1_S1_EviT_PT9_S3_lS5_S3_lPT10_S3_li.has_recursion, 0
	.set _ZL37rocblas_syrkx_herkx_restricted_kernelIi19rocblas_complex_numIfELi16ELi32ELi8ELi1ELi0ELb1ELc84ELc85EKS1_S1_EviT_PT9_S3_lS5_S3_lPT10_S3_li.has_indirect_call, 0
	.section	.AMDGPU.csdata,"",@progbits
; Kernel info:
; codeLenInByte = 1928
; TotalNumSgprs: 26
; NumVgprs: 41
; ScratchSize: 0
; MemoryBound: 0
; FloatMode: 240
; IeeeMode: 1
; LDSByteSize: 4096 bytes/workgroup (compile time only)
; SGPRBlocks: 3
; VGPRBlocks: 10
; NumSGPRsForWavesPerEU: 26
; NumVGPRsForWavesPerEU: 41
; Occupancy: 5
; WaveLimiterHint : 0
; COMPUTE_PGM_RSRC2:SCRATCH_EN: 0
; COMPUTE_PGM_RSRC2:USER_SGPR: 6
; COMPUTE_PGM_RSRC2:TRAP_HANDLER: 0
; COMPUTE_PGM_RSRC2:TGID_X_EN: 1
; COMPUTE_PGM_RSRC2:TGID_Y_EN: 1
; COMPUTE_PGM_RSRC2:TGID_Z_EN: 1
; COMPUTE_PGM_RSRC2:TIDIG_COMP_CNT: 1
	.section	.text._ZL37rocblas_syrkx_herkx_restricted_kernelIi19rocblas_complex_numIfELi16ELi32ELi8ELi1ELi0ELb1ELc67ELc85EKS1_S1_EviT_PT9_S3_lS5_S3_lPT10_S3_li,"axG",@progbits,_ZL37rocblas_syrkx_herkx_restricted_kernelIi19rocblas_complex_numIfELi16ELi32ELi8ELi1ELi0ELb1ELc67ELc85EKS1_S1_EviT_PT9_S3_lS5_S3_lPT10_S3_li,comdat
	.globl	_ZL37rocblas_syrkx_herkx_restricted_kernelIi19rocblas_complex_numIfELi16ELi32ELi8ELi1ELi0ELb1ELc67ELc85EKS1_S1_EviT_PT9_S3_lS5_S3_lPT10_S3_li ; -- Begin function _ZL37rocblas_syrkx_herkx_restricted_kernelIi19rocblas_complex_numIfELi16ELi32ELi8ELi1ELi0ELb1ELc67ELc85EKS1_S1_EviT_PT9_S3_lS5_S3_lPT10_S3_li
	.p2align	8
	.type	_ZL37rocblas_syrkx_herkx_restricted_kernelIi19rocblas_complex_numIfELi16ELi32ELi8ELi1ELi0ELb1ELc67ELc85EKS1_S1_EviT_PT9_S3_lS5_S3_lPT10_S3_li,@function
_ZL37rocblas_syrkx_herkx_restricted_kernelIi19rocblas_complex_numIfELi16ELi32ELi8ELi1ELi0ELb1ELc67ELc85EKS1_S1_EviT_PT9_S3_lS5_S3_lPT10_S3_li: ; @_ZL37rocblas_syrkx_herkx_restricted_kernelIi19rocblas_complex_numIfELi16ELi32ELi8ELi1ELi0ELb1ELc67ELc85EKS1_S1_EviT_PT9_S3_lS5_S3_lPT10_S3_li
; %bb.0:
	s_load_dwordx2 s[10:11], s[4:5], 0x0
	s_load_dwordx4 s[0:3], s[4:5], 0x30
	s_lshl_b32 s6, s6, 5
	s_lshl_b32 s7, s7, 5
	s_mov_b32 s9, 0
	s_waitcnt lgkmcnt(0)
	s_cmp_lt_i32 s11, 1
	s_cbranch_scc1 .LBB326_3
; %bb.1:
	v_lshl_add_u32 v4, v1, 4, v0
	v_and_b32_e32 v7, 31, v4
	s_load_dwordx2 s[16:17], s[4:5], 0x8
	s_load_dword s20, s[4:5], 0x10
	s_load_dwordx4 s[12:15], s[4:5], 0x18
	s_load_dword s18, s[4:5], 0x28
	v_lshrrev_b32_e32 v6, 3, v4
	v_and_b32_e32 v9, 7, v0
	v_lshrrev_b32_e32 v4, 5, v4
	v_lshlrev_b32_e32 v8, 3, v7
	v_lshl_or_b32 v15, v4, 8, v8
	v_lshlrev_b32_e32 v8, 3, v9
	v_add_u32_e32 v2, s7, v6
	v_lshl_or_b32 v6, v6, 6, v8
	v_mov_b32_e32 v10, 0
	v_add_u32_e32 v16, 0x800, v6
	v_mov_b32_e32 v6, 0x800
	v_mov_b32_e32 v5, v10
	v_lshl_add_u32 v18, v1, 6, v6
	v_add_u32_e32 v6, s6, v7
	s_waitcnt lgkmcnt(0)
	v_mad_i64_i32 v[2:3], s[18:19], s18, v2, v[9:10]
	v_mad_i64_i32 v[4:5], s[18:19], s20, v6, v[4:5]
	s_mul_i32 s13, s13, s8
	s_mul_hi_u32 s21, s12, s8
	s_add_i32 s13, s21, s13
	s_mul_i32 s12, s12, s8
	s_lshl_b64 s[12:13], s[12:13], 3
	v_lshlrev_b64 v[4:5], 3, v[4:5]
	s_add_u32 s12, s16, s12
	s_addc_u32 s13, s17, s13
	v_add_co_u32_e32 v4, vcc, s12, v4
	s_mul_i32 s1, s1, s8
	s_mul_hi_u32 s12, s0, s8
	v_mov_b32_e32 v6, s13
	s_add_i32 s1, s12, s1
	s_mul_i32 s0, s0, s8
	v_addc_co_u32_e32 v5, vcc, v6, v5, vcc
	s_lshl_b64 s[0:1], s[0:1], 3
	v_add_co_u32_e32 v6, vcc, 4, v4
	v_lshlrev_b64 v[2:3], 3, v[2:3]
	s_add_u32 s0, s14, s0
	v_addc_co_u32_e32 v7, vcc, 0, v5, vcc
	s_addc_u32 s1, s15, s1
	v_mov_b32_e32 v4, s1
	v_add_co_u32_e32 v2, vcc, s0, v2
	v_addc_co_u32_e32 v3, vcc, v4, v3, vcc
	v_add_co_u32_e32 v8, vcc, 4, v2
	v_lshlrev_b32_e32 v17, 3, v0
	v_addc_co_u32_e32 v9, vcc, 0, v3, vcc
	v_mov_b32_e32 v11, v10
	v_mov_b32_e32 v19, v10
	;; [unrolled: 1-line block ×7, first 2 shown]
.LBB326_2:                              ; =>This Inner Loop Header: Depth=1
	global_load_dwordx2 v[2:3], v[6:7], off offset:-4
	v_add_co_u32_e32 v6, vcc, 64, v6
	v_addc_co_u32_e32 v7, vcc, 0, v7, vcc
	s_add_i32 s9, s9, 8
	s_cmp_ge_i32 s9, s11
	s_waitcnt vmcnt(0)
	v_xor_b32_e32 v3, 0x80000000, v3
	ds_write_b64 v15, v[2:3]
	global_load_dwordx2 v[2:3], v[8:9], off offset:-4
	v_add_co_u32_e32 v8, vcc, 64, v8
	v_addc_co_u32_e32 v9, vcc, 0, v9, vcc
	s_waitcnt vmcnt(0)
	ds_write_b64 v16, v[2:3]
	s_waitcnt lgkmcnt(0)
	s_barrier
	ds_read_b128 v[22:25], v18
	ds_read_b128 v[26:29], v18 offset:16
	ds_read_b128 v[30:33], v18 offset:32
	;; [unrolled: 1-line block ×3, first 2 shown]
	ds_read2_b64 v[34:37], v17 offset1:16
	s_waitcnt lgkmcnt(0)
	v_mul_f32_e32 v38, v23, v35
	v_mul_f32_e32 v39, v22, v35
	v_fma_f32 v38, v22, v34, -v38
	v_fmac_f32_e32 v39, v23, v34
	v_add_f32_e32 v14, v14, v38
	v_add_f32_e32 v38, v21, v39
	v_mul_f32_e32 v21, v23, v37
	v_fma_f32 v21, v22, v36, -v21
	v_mul_f32_e32 v22, v22, v37
	v_fmac_f32_e32 v22, v23, v36
	v_add_f32_e32 v39, v13, v21
	v_add_f32_e32 v40, v20, v22
	ds_read_b128 v[20:23], v18 offset:1024
	s_waitcnt lgkmcnt(0)
	v_mul_f32_e32 v13, v21, v35
	v_fma_f32 v13, v20, v34, -v13
	v_mul_f32_e32 v35, v20, v35
	v_fmac_f32_e32 v35, v21, v34
	v_add_f32_e32 v34, v12, v13
	v_mul_f32_e32 v12, v21, v37
	v_mul_f32_e32 v13, v20, v37
	v_fma_f32 v12, v20, v36, -v12
	v_fmac_f32_e32 v13, v21, v36
	v_add_f32_e32 v20, v11, v12
	v_add_f32_e32 v21, v10, v13
	ds_read2_b64 v[10:13], v17 offset0:32 offset1:48
	v_add_f32_e32 v19, v19, v35
	s_waitcnt lgkmcnt(0)
	v_mul_f32_e32 v35, v25, v11
	v_mul_f32_e32 v36, v24, v11
	v_fma_f32 v35, v24, v10, -v35
	v_fmac_f32_e32 v36, v25, v10
	v_add_f32_e32 v14, v14, v35
	v_add_f32_e32 v35, v38, v36
	v_mul_f32_e32 v36, v25, v13
	v_fma_f32 v36, v24, v12, -v36
	v_mul_f32_e32 v24, v24, v13
	v_fmac_f32_e32 v24, v25, v12
	v_add_f32_e32 v25, v39, v36
	v_mul_f32_e32 v36, v23, v11
	v_mul_f32_e32 v11, v22, v11
	v_fma_f32 v36, v22, v10, -v36
	v_fmac_f32_e32 v11, v23, v10
	v_add_f32_e32 v34, v34, v36
	v_add_f32_e32 v36, v19, v11
	v_mul_f32_e32 v10, v23, v13
	v_mul_f32_e32 v11, v22, v13
	v_fma_f32 v10, v22, v12, -v10
	v_fmac_f32_e32 v11, v23, v12
	v_add_f32_e32 v23, v20, v10
	v_add_f32_e32 v37, v21, v11
	ds_read2_b64 v[10:13], v17 offset0:64 offset1:80
	v_add_f32_e32 v24, v40, v24
	s_waitcnt lgkmcnt(0)
	v_mul_f32_e32 v19, v27, v11
	v_mul_f32_e32 v20, v26, v11
	v_fma_f32 v19, v26, v10, -v19
	v_fmac_f32_e32 v20, v27, v10
	v_add_f32_e32 v14, v14, v19
	v_add_f32_e32 v35, v35, v20
	v_mul_f32_e32 v19, v27, v13
	v_mul_f32_e32 v20, v26, v13
	v_fma_f32 v19, v26, v12, -v19
	v_fmac_f32_e32 v20, v27, v12
	v_add_f32_e32 v25, v25, v19
	v_add_f32_e32 v24, v24, v20
	ds_read_b128 v[19:22], v18 offset:1040
	s_waitcnt lgkmcnt(0)
	v_mul_f32_e32 v26, v20, v11
	v_mul_f32_e32 v11, v19, v11
	v_fmac_f32_e32 v11, v20, v10
	v_fma_f32 v26, v19, v10, -v26
	v_add_f32_e32 v27, v36, v11
	v_mul_f32_e32 v10, v20, v13
	v_mul_f32_e32 v11, v19, v13
	v_fma_f32 v10, v19, v12, -v10
	v_fmac_f32_e32 v11, v20, v12
	v_add_f32_e32 v19, v23, v10
	v_add_f32_e32 v20, v37, v11
	ds_read2_b64 v[10:13], v17 offset0:96 offset1:112
	v_add_f32_e32 v26, v34, v26
	s_waitcnt lgkmcnt(0)
	v_mul_f32_e32 v23, v29, v11
	v_mul_f32_e32 v34, v28, v11
	v_fma_f32 v23, v28, v10, -v23
	v_fmac_f32_e32 v34, v29, v10
	v_add_f32_e32 v14, v14, v23
	v_add_f32_e32 v23, v35, v34
	v_mul_f32_e32 v34, v29, v13
	v_fma_f32 v34, v28, v12, -v34
	v_mul_f32_e32 v28, v28, v13
	v_fmac_f32_e32 v28, v29, v12
	v_add_f32_e32 v24, v24, v28
	v_mul_f32_e32 v28, v22, v11
	v_mul_f32_e32 v11, v21, v11
	v_fmac_f32_e32 v11, v22, v10
	v_fma_f32 v28, v21, v10, -v28
	v_add_f32_e32 v27, v27, v11
	v_mul_f32_e32 v10, v22, v13
	v_mul_f32_e32 v11, v21, v13
	v_fma_f32 v10, v21, v12, -v10
	v_fmac_f32_e32 v11, v22, v12
	v_add_f32_e32 v26, v26, v28
	v_add_f32_e32 v28, v19, v10
	;; [unrolled: 1-line block ×3, first 2 shown]
	ds_read2_b64 v[10:13], v17 offset0:128 offset1:144
	v_add_f32_e32 v25, v25, v34
	s_waitcnt lgkmcnt(0)
	v_mul_f32_e32 v19, v31, v11
	v_mul_f32_e32 v20, v30, v11
	v_fma_f32 v19, v30, v10, -v19
	v_fmac_f32_e32 v20, v31, v10
	v_add_f32_e32 v14, v14, v19
	v_add_f32_e32 v23, v23, v20
	v_mul_f32_e32 v19, v31, v13
	v_mul_f32_e32 v20, v30, v13
	v_fma_f32 v19, v30, v12, -v19
	v_fmac_f32_e32 v20, v31, v12
	v_add_f32_e32 v25, v25, v19
	v_add_f32_e32 v24, v24, v20
	ds_read_b128 v[19:22], v18 offset:1056
	s_waitcnt lgkmcnt(0)
	v_mul_f32_e32 v30, v20, v11
	v_mul_f32_e32 v11, v19, v11
	v_fmac_f32_e32 v11, v20, v10
	v_fma_f32 v30, v19, v10, -v30
	v_add_f32_e32 v27, v27, v11
	v_mul_f32_e32 v10, v20, v13
	v_mul_f32_e32 v11, v19, v13
	v_fma_f32 v10, v19, v12, -v10
	v_fmac_f32_e32 v11, v20, v12
	v_add_f32_e32 v19, v28, v10
	v_add_f32_e32 v20, v29, v11
	ds_read2_b64 v[10:13], v17 offset0:160 offset1:176
	v_add_f32_e32 v26, v26, v30
	s_waitcnt lgkmcnt(0)
	v_mul_f32_e32 v28, v33, v11
	v_fma_f32 v28, v32, v10, -v28
	v_add_f32_e32 v14, v14, v28
	v_mul_f32_e32 v28, v33, v13
	v_fma_f32 v28, v32, v12, -v28
	v_mul_f32_e32 v29, v32, v11
	v_add_f32_e32 v25, v25, v28
	v_mul_f32_e32 v28, v22, v11
	v_mul_f32_e32 v11, v21, v11
	v_fmac_f32_e32 v11, v22, v10
	v_fmac_f32_e32 v29, v33, v10
	v_fma_f32 v28, v21, v10, -v28
	v_add_f32_e32 v27, v27, v11
	v_mul_f32_e32 v10, v22, v13
	v_mul_f32_e32 v11, v21, v13
	v_add_f32_e32 v23, v23, v29
	v_mul_f32_e32 v29, v32, v13
	v_fma_f32 v10, v21, v12, -v10
	v_fmac_f32_e32 v11, v22, v12
	v_fmac_f32_e32 v29, v33, v12
	v_add_f32_e32 v26, v26, v28
	v_add_f32_e32 v19, v19, v10
	;; [unrolled: 1-line block ×3, first 2 shown]
	ds_read2_b64 v[10:13], v17 offset0:192 offset1:208
	v_add_f32_e32 v24, v24, v29
	s_waitcnt lgkmcnt(0)
	v_mul_f32_e32 v20, v3, v11
	v_fma_f32 v20, v2, v10, -v20
	v_mul_f32_e32 v21, v2, v11
	v_add_f32_e32 v14, v14, v20
	v_mul_f32_e32 v20, v3, v13
	v_fmac_f32_e32 v21, v3, v10
	v_fma_f32 v20, v2, v12, -v20
	v_mul_f32_e32 v2, v2, v13
	v_add_f32_e32 v29, v23, v21
	v_fmac_f32_e32 v2, v3, v12
	v_add_f32_e32 v3, v25, v20
	ds_read_b128 v[20:23], v18 offset:1072
	v_add_f32_e32 v2, v24, v2
	s_waitcnt lgkmcnt(0)
	v_mul_f32_e32 v24, v21, v11
	v_fma_f32 v24, v20, v10, -v24
	v_mul_f32_e32 v11, v20, v11
	v_fmac_f32_e32 v11, v21, v10
	v_add_f32_e32 v10, v26, v24
	v_mul_f32_e32 v24, v21, v13
	v_fma_f32 v24, v20, v12, -v24
	v_add_f32_e32 v11, v27, v11
	v_add_f32_e32 v30, v19, v24
	ds_read2_b64 v[24:27], v17 offset0:224 offset1:240
	v_mul_f32_e32 v13, v20, v13
	v_fmac_f32_e32 v13, v21, v12
	v_add_f32_e32 v28, v28, v13
	s_waitcnt lgkmcnt(0)
	v_mul_f32_e32 v12, v5, v25
	v_fma_f32 v12, v4, v24, -v12
	v_add_f32_e32 v14, v14, v12
	v_mul_f32_e32 v12, v5, v27
	v_mul_f32_e32 v13, v4, v25
	v_fma_f32 v12, v4, v26, -v12
	v_mul_f32_e32 v4, v4, v27
	v_fmac_f32_e32 v13, v5, v24
	v_fmac_f32_e32 v4, v5, v26
	v_add_f32_e32 v21, v29, v13
	v_add_f32_e32 v13, v3, v12
	v_add_f32_e32 v20, v2, v4
	v_mul_f32_e32 v2, v23, v25
	v_mul_f32_e32 v3, v22, v25
	v_fma_f32 v2, v22, v24, -v2
	v_fmac_f32_e32 v3, v23, v24
	v_add_f32_e32 v12, v10, v2
	v_add_f32_e32 v19, v11, v3
	v_mul_f32_e32 v2, v23, v27
	v_mul_f32_e32 v3, v22, v27
	v_fma_f32 v2, v22, v26, -v2
	v_fmac_f32_e32 v3, v23, v26
	v_add_f32_e32 v11, v30, v2
	v_add_f32_e32 v10, v28, v3
	s_barrier
	s_cbranch_scc0 .LBB326_2
	s_branch .LBB326_4
.LBB326_3:
	v_mov_b32_e32 v21, 0
	v_mov_b32_e32 v14, 0
	;; [unrolled: 1-line block ×8, first 2 shown]
.LBB326_4:
	s_load_dwordx2 s[0:1], s[4:5], 0x48
	s_load_dword s9, s[4:5], 0x40
	v_add_u32_e32 v4, s7, v1
	v_add_u32_e32 v0, s6, v0
	v_cmp_gt_i32_e32 vcc, s10, v4
	s_waitcnt lgkmcnt(0)
	s_mul_i32 s1, s1, s8
	v_mad_i64_i32 v[1:2], s[12:13], v4, s9, 0
	s_mul_hi_u32 s4, s0, s8
	s_mul_i32 s0, s0, s8
	s_add_i32 s1, s4, s1
	s_lshl_b64 s[0:1], s[0:1], 3
	s_add_u32 s4, s2, s0
	v_lshlrev_b64 v[1:2], 3, v[1:2]
	s_addc_u32 s5, s3, s1
	v_mov_b32_e32 v3, s5
	v_add_co_u32_e64 v5, s[0:1], s4, v1
	v_addc_co_u32_e64 v6, s[0:1], v3, v2, s[0:1]
	v_cmp_le_i32_e64 s[0:1], v0, v4
	s_and_b64 s[0:1], vcc, s[0:1]
	s_and_saveexec_b64 s[2:3], s[0:1]
	s_cbranch_execz .LBB326_6
; %bb.5:
	v_ashrrev_i32_e32 v1, 31, v0
	v_lshlrev_b64 v[1:2], 3, v[0:1]
	v_add_co_u32_e64 v1, s[0:1], v5, v1
	v_addc_co_u32_e64 v2, s[0:1], v6, v2, s[0:1]
	v_cmp_ne_u32_e64 s[0:1], v4, v0
	v_cndmask_b32_e64 v15, 0, v21, s[0:1]
	global_store_dwordx2 v[1:2], v[14:15], off
.LBB326_6:
	s_or_b64 exec, exec, s[2:3]
	v_add_u32_e32 v2, 16, v0
	v_cmp_le_i32_e64 s[0:1], v2, v4
	s_and_b64 s[2:3], vcc, s[0:1]
	s_and_saveexec_b64 s[0:1], s[2:3]
	s_cbranch_execz .LBB326_8
; %bb.7:
	v_ashrrev_i32_e32 v3, 31, v2
	v_lshlrev_b64 v[7:8], 3, v[2:3]
	v_add_co_u32_e32 v5, vcc, v5, v7
	v_addc_co_u32_e32 v6, vcc, v6, v8, vcc
	v_cmp_ne_u32_e32 vcc, v4, v2
	v_cndmask_b32_e32 v14, 0, v20, vcc
	global_store_dwordx2 v[5:6], v[13:14], off
.LBB326_8:
	s_or_b64 exec, exec, s[0:1]
	v_add_u32_e32 v3, 16, v4
	v_mad_i64_i32 v[5:6], s[0:1], v3, s9, 0
	v_mov_b32_e32 v1, s5
	v_cmp_gt_i32_e32 vcc, s10, v3
	v_lshlrev_b64 v[5:6], 3, v[5:6]
	v_add_co_u32_e64 v5, s[0:1], s4, v5
	v_addc_co_u32_e64 v6, s[0:1], v1, v6, s[0:1]
	v_cmp_le_i32_e64 s[0:1], v0, v3
	s_and_b64 s[0:1], vcc, s[0:1]
	s_and_saveexec_b64 s[2:3], s[0:1]
	s_cbranch_execz .LBB326_10
; %bb.9:
	v_ashrrev_i32_e32 v1, 31, v0
	v_lshlrev_b64 v[7:8], 3, v[0:1]
	v_add_co_u32_e64 v7, s[0:1], v5, v7
	v_addc_co_u32_e64 v8, s[0:1], v6, v8, s[0:1]
	v_cmp_ne_u32_e64 s[0:1], v3, v0
	v_cndmask_b32_e64 v13, 0, v19, s[0:1]
	global_store_dwordx2 v[7:8], v[12:13], off
.LBB326_10:
	s_or_b64 exec, exec, s[2:3]
	v_cmp_le_i32_e64 s[0:1], v2, v3
	s_and_b64 s[0:1], vcc, s[0:1]
	s_and_saveexec_b64 s[2:3], s[0:1]
	s_cbranch_execz .LBB326_12
; %bb.11:
	v_ashrrev_i32_e32 v3, 31, v2
	v_lshlrev_b64 v[1:2], 3, v[2:3]
	v_add_co_u32_e32 v1, vcc, v5, v1
	v_addc_co_u32_e32 v2, vcc, v6, v2, vcc
	v_cmp_ne_u32_e32 vcc, v4, v0
	v_cndmask_b32_e32 v12, 0, v10, vcc
	global_store_dwordx2 v[1:2], v[11:12], off
.LBB326_12:
	s_endpgm
	.section	.rodata,"a",@progbits
	.p2align	6, 0x0
	.amdhsa_kernel _ZL37rocblas_syrkx_herkx_restricted_kernelIi19rocblas_complex_numIfELi16ELi32ELi8ELi1ELi0ELb1ELc67ELc85EKS1_S1_EviT_PT9_S3_lS5_S3_lPT10_S3_li
		.amdhsa_group_segment_fixed_size 4096
		.amdhsa_private_segment_fixed_size 0
		.amdhsa_kernarg_size 84
		.amdhsa_user_sgpr_count 6
		.amdhsa_user_sgpr_private_segment_buffer 1
		.amdhsa_user_sgpr_dispatch_ptr 0
		.amdhsa_user_sgpr_queue_ptr 0
		.amdhsa_user_sgpr_kernarg_segment_ptr 1
		.amdhsa_user_sgpr_dispatch_id 0
		.amdhsa_user_sgpr_flat_scratch_init 0
		.amdhsa_user_sgpr_private_segment_size 0
		.amdhsa_uses_dynamic_stack 0
		.amdhsa_system_sgpr_private_segment_wavefront_offset 0
		.amdhsa_system_sgpr_workgroup_id_x 1
		.amdhsa_system_sgpr_workgroup_id_y 1
		.amdhsa_system_sgpr_workgroup_id_z 1
		.amdhsa_system_sgpr_workgroup_info 0
		.amdhsa_system_vgpr_workitem_id 1
		.amdhsa_next_free_vgpr 41
		.amdhsa_next_free_sgpr 22
		.amdhsa_reserve_vcc 1
		.amdhsa_reserve_flat_scratch 0
		.amdhsa_float_round_mode_32 0
		.amdhsa_float_round_mode_16_64 0
		.amdhsa_float_denorm_mode_32 3
		.amdhsa_float_denorm_mode_16_64 3
		.amdhsa_dx10_clamp 1
		.amdhsa_ieee_mode 1
		.amdhsa_fp16_overflow 0
		.amdhsa_exception_fp_ieee_invalid_op 0
		.amdhsa_exception_fp_denorm_src 0
		.amdhsa_exception_fp_ieee_div_zero 0
		.amdhsa_exception_fp_ieee_overflow 0
		.amdhsa_exception_fp_ieee_underflow 0
		.amdhsa_exception_fp_ieee_inexact 0
		.amdhsa_exception_int_div_zero 0
	.end_amdhsa_kernel
	.section	.text._ZL37rocblas_syrkx_herkx_restricted_kernelIi19rocblas_complex_numIfELi16ELi32ELi8ELi1ELi0ELb1ELc67ELc85EKS1_S1_EviT_PT9_S3_lS5_S3_lPT10_S3_li,"axG",@progbits,_ZL37rocblas_syrkx_herkx_restricted_kernelIi19rocblas_complex_numIfELi16ELi32ELi8ELi1ELi0ELb1ELc67ELc85EKS1_S1_EviT_PT9_S3_lS5_S3_lPT10_S3_li,comdat
.Lfunc_end326:
	.size	_ZL37rocblas_syrkx_herkx_restricted_kernelIi19rocblas_complex_numIfELi16ELi32ELi8ELi1ELi0ELb1ELc67ELc85EKS1_S1_EviT_PT9_S3_lS5_S3_lPT10_S3_li, .Lfunc_end326-_ZL37rocblas_syrkx_herkx_restricted_kernelIi19rocblas_complex_numIfELi16ELi32ELi8ELi1ELi0ELb1ELc67ELc85EKS1_S1_EviT_PT9_S3_lS5_S3_lPT10_S3_li
                                        ; -- End function
	.set _ZL37rocblas_syrkx_herkx_restricted_kernelIi19rocblas_complex_numIfELi16ELi32ELi8ELi1ELi0ELb1ELc67ELc85EKS1_S1_EviT_PT9_S3_lS5_S3_lPT10_S3_li.num_vgpr, 41
	.set _ZL37rocblas_syrkx_herkx_restricted_kernelIi19rocblas_complex_numIfELi16ELi32ELi8ELi1ELi0ELb1ELc67ELc85EKS1_S1_EviT_PT9_S3_lS5_S3_lPT10_S3_li.num_agpr, 0
	.set _ZL37rocblas_syrkx_herkx_restricted_kernelIi19rocblas_complex_numIfELi16ELi32ELi8ELi1ELi0ELb1ELc67ELc85EKS1_S1_EviT_PT9_S3_lS5_S3_lPT10_S3_li.numbered_sgpr, 22
	.set _ZL37rocblas_syrkx_herkx_restricted_kernelIi19rocblas_complex_numIfELi16ELi32ELi8ELi1ELi0ELb1ELc67ELc85EKS1_S1_EviT_PT9_S3_lS5_S3_lPT10_S3_li.num_named_barrier, 0
	.set _ZL37rocblas_syrkx_herkx_restricted_kernelIi19rocblas_complex_numIfELi16ELi32ELi8ELi1ELi0ELb1ELc67ELc85EKS1_S1_EviT_PT9_S3_lS5_S3_lPT10_S3_li.private_seg_size, 0
	.set _ZL37rocblas_syrkx_herkx_restricted_kernelIi19rocblas_complex_numIfELi16ELi32ELi8ELi1ELi0ELb1ELc67ELc85EKS1_S1_EviT_PT9_S3_lS5_S3_lPT10_S3_li.uses_vcc, 1
	.set _ZL37rocblas_syrkx_herkx_restricted_kernelIi19rocblas_complex_numIfELi16ELi32ELi8ELi1ELi0ELb1ELc67ELc85EKS1_S1_EviT_PT9_S3_lS5_S3_lPT10_S3_li.uses_flat_scratch, 0
	.set _ZL37rocblas_syrkx_herkx_restricted_kernelIi19rocblas_complex_numIfELi16ELi32ELi8ELi1ELi0ELb1ELc67ELc85EKS1_S1_EviT_PT9_S3_lS5_S3_lPT10_S3_li.has_dyn_sized_stack, 0
	.set _ZL37rocblas_syrkx_herkx_restricted_kernelIi19rocblas_complex_numIfELi16ELi32ELi8ELi1ELi0ELb1ELc67ELc85EKS1_S1_EviT_PT9_S3_lS5_S3_lPT10_S3_li.has_recursion, 0
	.set _ZL37rocblas_syrkx_herkx_restricted_kernelIi19rocblas_complex_numIfELi16ELi32ELi8ELi1ELi0ELb1ELc67ELc85EKS1_S1_EviT_PT9_S3_lS5_S3_lPT10_S3_li.has_indirect_call, 0
	.section	.AMDGPU.csdata,"",@progbits
; Kernel info:
; codeLenInByte = 1936
; TotalNumSgprs: 26
; NumVgprs: 41
; ScratchSize: 0
; MemoryBound: 0
; FloatMode: 240
; IeeeMode: 1
; LDSByteSize: 4096 bytes/workgroup (compile time only)
; SGPRBlocks: 3
; VGPRBlocks: 10
; NumSGPRsForWavesPerEU: 26
; NumVGPRsForWavesPerEU: 41
; Occupancy: 5
; WaveLimiterHint : 0
; COMPUTE_PGM_RSRC2:SCRATCH_EN: 0
; COMPUTE_PGM_RSRC2:USER_SGPR: 6
; COMPUTE_PGM_RSRC2:TRAP_HANDLER: 0
; COMPUTE_PGM_RSRC2:TGID_X_EN: 1
; COMPUTE_PGM_RSRC2:TGID_Y_EN: 1
; COMPUTE_PGM_RSRC2:TGID_Z_EN: 1
; COMPUTE_PGM_RSRC2:TIDIG_COMP_CNT: 1
	.section	.text._ZL37rocblas_syrkx_herkx_restricted_kernelIi19rocblas_complex_numIfELi16ELi32ELi8ELi1ELi0ELb1ELc78ELc85EKS1_S1_EviT_PT9_S3_lS5_S3_lPT10_S3_li,"axG",@progbits,_ZL37rocblas_syrkx_herkx_restricted_kernelIi19rocblas_complex_numIfELi16ELi32ELi8ELi1ELi0ELb1ELc78ELc85EKS1_S1_EviT_PT9_S3_lS5_S3_lPT10_S3_li,comdat
	.globl	_ZL37rocblas_syrkx_herkx_restricted_kernelIi19rocblas_complex_numIfELi16ELi32ELi8ELi1ELi0ELb1ELc78ELc85EKS1_S1_EviT_PT9_S3_lS5_S3_lPT10_S3_li ; -- Begin function _ZL37rocblas_syrkx_herkx_restricted_kernelIi19rocblas_complex_numIfELi16ELi32ELi8ELi1ELi0ELb1ELc78ELc85EKS1_S1_EviT_PT9_S3_lS5_S3_lPT10_S3_li
	.p2align	8
	.type	_ZL37rocblas_syrkx_herkx_restricted_kernelIi19rocblas_complex_numIfELi16ELi32ELi8ELi1ELi0ELb1ELc78ELc85EKS1_S1_EviT_PT9_S3_lS5_S3_lPT10_S3_li,@function
_ZL37rocblas_syrkx_herkx_restricted_kernelIi19rocblas_complex_numIfELi16ELi32ELi8ELi1ELi0ELb1ELc78ELc85EKS1_S1_EviT_PT9_S3_lS5_S3_lPT10_S3_li: ; @_ZL37rocblas_syrkx_herkx_restricted_kernelIi19rocblas_complex_numIfELi16ELi32ELi8ELi1ELi0ELb1ELc78ELc85EKS1_S1_EviT_PT9_S3_lS5_S3_lPT10_S3_li
; %bb.0:
	s_load_dwordx2 s[10:11], s[4:5], 0x0
	s_load_dwordx4 s[0:3], s[4:5], 0x30
	s_lshl_b32 s9, s6, 5
	s_lshl_b32 s16, s7, 5
	s_mov_b32 s17, 0
	s_waitcnt lgkmcnt(0)
	s_cmp_lt_i32 s11, 1
	s_cbranch_scc1 .LBB327_3
; %bb.1:
	v_lshl_add_u32 v5, v1, 4, v0
	s_load_dword s6, s[4:5], 0x10
	s_load_dword s18, s[4:5], 0x28
	s_load_dwordx2 s[20:21], s[4:5], 0x8
	s_load_dwordx4 s[12:15], s[4:5], 0x18
	v_lshrrev_b32_e32 v6, 3, v5
	v_add_u32_e32 v2, s16, v6
	v_and_b32_e32 v4, 7, v0
	v_ashrrev_i32_e32 v3, 31, v2
	s_waitcnt lgkmcnt(0)
	v_mad_i64_i32 v[2:3], s[22:23], s18, v4, v[2:3]
	v_lshlrev_b32_e32 v4, 3, v4
	v_lshl_or_b32 v4, v6, 6, v4
	v_lshrrev_b32_e32 v7, 5, v5
	v_and_b32_e32 v5, 31, v5
	v_add_u32_e32 v15, 0x800, v4
	v_mov_b32_e32 v4, 0x800
	v_lshl_add_u32 v17, v1, 6, v4
	v_add_u32_e32 v4, s9, v5
	v_lshlrev_b32_e32 v8, 3, v5
	v_ashrrev_i32_e32 v5, 31, v4
	v_mad_i64_i32 v[4:5], s[22:23], s6, v7, v[4:5]
	s_mul_i32 s13, s13, s8
	s_mul_hi_u32 s24, s12, s8
	s_add_i32 s13, s24, s13
	s_mul_i32 s12, s12, s8
	s_ashr_i32 s7, s6, 31
	s_ashr_i32 s19, s18, 31
	s_lshl_b64 s[12:13], s[12:13], 3
	v_lshlrev_b64 v[4:5], 3, v[4:5]
	s_add_u32 s12, s20, s12
	s_addc_u32 s13, s21, s13
	v_add_co_u32_e32 v4, vcc, s12, v4
	s_mul_i32 s1, s1, s8
	s_mul_hi_u32 s12, s0, s8
	v_mov_b32_e32 v6, s13
	s_add_i32 s1, s12, s1
	s_mul_i32 s0, s0, s8
	v_addc_co_u32_e32 v5, vcc, v6, v5, vcc
	s_lshl_b64 s[6:7], s[6:7], 6
	s_lshl_b64 s[0:1], s[0:1], 3
	v_add_co_u32_e32 v6, vcc, 4, v4
	v_lshlrev_b64 v[2:3], 3, v[2:3]
	s_add_u32 s0, s14, s0
	v_lshl_or_b32 v14, v7, 8, v8
	v_addc_co_u32_e32 v7, vcc, 0, v5, vcc
	s_addc_u32 s1, s15, s1
	v_mov_b32_e32 v4, s1
	v_add_co_u32_e32 v2, vcc, s0, v2
	v_addc_co_u32_e32 v3, vcc, v4, v3, vcc
	v_add_co_u32_e32 v8, vcc, 4, v2
	s_lshl_b64 s[0:1], s[18:19], 6
	v_lshlrev_b32_e32 v16, 3, v0
	v_addc_co_u32_e32 v9, vcc, 0, v3, vcc
	v_mov_b32_e32 v20, 0
	v_mov_b32_e32 v18, s7
	;; [unrolled: 1-line block ×10, first 2 shown]
.LBB327_2:                              ; =>This Inner Loop Header: Depth=1
	global_load_dwordx2 v[2:3], v[6:7], off offset:-4
	v_add_co_u32_e32 v6, vcc, s6, v6
	v_addc_co_u32_e32 v7, vcc, v7, v18, vcc
	s_add_i32 s17, s17, 8
	s_cmp_ge_i32 s17, s11
	s_waitcnt vmcnt(0)
	ds_write_b64 v14, v[2:3]
	global_load_dwordx2 v[2:3], v[8:9], off offset:-4
	v_add_co_u32_e32 v8, vcc, s0, v8
	v_addc_co_u32_e32 v9, vcc, v9, v19, vcc
	s_waitcnt vmcnt(0)
	v_xor_b32_e32 v3, 0x80000000, v3
	ds_write_b64 v15, v[2:3]
	s_waitcnt lgkmcnt(0)
	s_barrier
	ds_read_b128 v[24:27], v17
	ds_read_b128 v[28:31], v17 offset:16
	ds_read_b128 v[32:35], v17 offset:32
	;; [unrolled: 1-line block ×3, first 2 shown]
	ds_read2_b64 v[36:39], v16 offset1:16
	s_waitcnt lgkmcnt(0)
	v_mul_f32_e32 v41, v24, v37
	v_mul_f32_e32 v40, v25, v37
	v_fmac_f32_e32 v41, v25, v36
	v_fma_f32 v40, v24, v36, -v40
	v_add_f32_e32 v41, v23, v41
	v_mul_f32_e32 v23, v24, v39
	v_add_f32_e32 v40, v13, v40
	v_mul_f32_e32 v13, v25, v39
	v_fmac_f32_e32 v23, v25, v38
	v_fma_f32 v13, v24, v38, -v13
	v_add_f32_e32 v43, v22, v23
	ds_read_b128 v[22:25], v17 offset:1024
	v_add_f32_e32 v42, v12, v13
	s_waitcnt lgkmcnt(0)
	v_mul_f32_e32 v12, v23, v37
	v_fma_f32 v12, v22, v36, -v12
	v_mul_f32_e32 v13, v22, v37
	v_fmac_f32_e32 v13, v23, v36
	v_add_f32_e32 v36, v11, v12
	v_mul_f32_e32 v11, v23, v39
	v_mul_f32_e32 v12, v22, v39
	v_fma_f32 v11, v22, v38, -v11
	v_fmac_f32_e32 v12, v23, v38
	v_add_f32_e32 v21, v21, v13
	v_add_f32_e32 v22, v10, v11
	;; [unrolled: 1-line block ×3, first 2 shown]
	ds_read2_b64 v[10:13], v16 offset0:32 offset1:48
	s_waitcnt lgkmcnt(0)
	v_mul_f32_e32 v23, v27, v11
	v_mul_f32_e32 v38, v27, v13
	v_fma_f32 v23, v26, v10, -v23
	v_mul_f32_e32 v37, v26, v11
	v_fma_f32 v38, v26, v12, -v38
	v_mul_f32_e32 v26, v26, v13
	v_fmac_f32_e32 v37, v27, v10
	v_fmac_f32_e32 v26, v27, v12
	v_add_f32_e32 v27, v42, v38
	v_mul_f32_e32 v38, v25, v11
	v_mul_f32_e32 v11, v24, v11
	v_fma_f32 v38, v24, v10, -v38
	v_fmac_f32_e32 v11, v25, v10
	v_add_f32_e32 v36, v36, v38
	v_add_f32_e32 v38, v21, v11
	v_mul_f32_e32 v10, v25, v13
	v_mul_f32_e32 v11, v24, v13
	v_fma_f32 v10, v24, v12, -v10
	v_fmac_f32_e32 v11, v25, v12
	v_add_f32_e32 v24, v22, v10
	v_add_f32_e32 v25, v20, v11
	ds_read2_b64 v[10:13], v16 offset0:64 offset1:80
	v_add_f32_e32 v23, v40, v23
	v_add_f32_e32 v37, v41, v37
	;; [unrolled: 1-line block ×3, first 2 shown]
	s_waitcnt lgkmcnt(0)
	v_mul_f32_e32 v20, v29, v11
	v_mul_f32_e32 v21, v28, v11
	v_fma_f32 v20, v28, v10, -v20
	v_fmac_f32_e32 v21, v29, v10
	v_add_f32_e32 v39, v23, v20
	v_add_f32_e32 v37, v37, v21
	v_mul_f32_e32 v20, v29, v13
	v_mul_f32_e32 v21, v28, v13
	v_fma_f32 v20, v28, v12, -v20
	v_fmac_f32_e32 v21, v29, v12
	v_add_f32_e32 v27, v27, v20
	v_add_f32_e32 v26, v26, v21
	ds_read_b128 v[20:23], v17 offset:1040
	s_waitcnt lgkmcnt(0)
	v_mul_f32_e32 v28, v21, v11
	v_mul_f32_e32 v11, v20, v11
	v_fmac_f32_e32 v11, v21, v10
	v_fma_f32 v28, v20, v10, -v28
	v_add_f32_e32 v29, v38, v11
	v_mul_f32_e32 v10, v21, v13
	v_mul_f32_e32 v11, v20, v13
	v_fma_f32 v10, v20, v12, -v10
	v_fmac_f32_e32 v11, v21, v12
	v_add_f32_e32 v20, v24, v10
	v_add_f32_e32 v21, v25, v11
	ds_read2_b64 v[10:13], v16 offset0:96 offset1:112
	v_add_f32_e32 v28, v36, v28
	s_waitcnt lgkmcnt(0)
	v_mul_f32_e32 v24, v31, v11
	v_mul_f32_e32 v36, v31, v13
	v_fma_f32 v24, v30, v10, -v24
	v_mul_f32_e32 v25, v30, v11
	v_fma_f32 v36, v30, v12, -v36
	v_mul_f32_e32 v30, v30, v13
	v_fmac_f32_e32 v30, v31, v12
	v_add_f32_e32 v26, v26, v30
	v_mul_f32_e32 v30, v23, v11
	v_mul_f32_e32 v11, v22, v11
	v_fmac_f32_e32 v11, v23, v10
	v_fmac_f32_e32 v25, v31, v10
	v_fma_f32 v30, v22, v10, -v30
	v_add_f32_e32 v29, v29, v11
	v_mul_f32_e32 v10, v23, v13
	v_mul_f32_e32 v11, v22, v13
	v_fma_f32 v10, v22, v12, -v10
	v_fmac_f32_e32 v11, v23, v12
	v_add_f32_e32 v28, v28, v30
	v_add_f32_e32 v30, v20, v10
	;; [unrolled: 1-line block ×3, first 2 shown]
	ds_read2_b64 v[10:13], v16 offset0:128 offset1:144
	v_add_f32_e32 v24, v39, v24
	v_add_f32_e32 v25, v37, v25
	;; [unrolled: 1-line block ×3, first 2 shown]
	s_waitcnt lgkmcnt(0)
	v_mul_f32_e32 v20, v33, v11
	v_mul_f32_e32 v21, v32, v11
	v_fma_f32 v20, v32, v10, -v20
	v_fmac_f32_e32 v21, v33, v10
	v_add_f32_e32 v24, v24, v20
	v_add_f32_e32 v25, v25, v21
	v_mul_f32_e32 v20, v33, v13
	v_mul_f32_e32 v21, v32, v13
	v_fma_f32 v20, v32, v12, -v20
	v_fmac_f32_e32 v21, v33, v12
	v_add_f32_e32 v27, v27, v20
	v_add_f32_e32 v26, v26, v21
	ds_read_b128 v[20:23], v17 offset:1056
	s_waitcnt lgkmcnt(0)
	v_mul_f32_e32 v32, v21, v11
	v_mul_f32_e32 v11, v20, v11
	v_fmac_f32_e32 v11, v21, v10
	v_fma_f32 v32, v20, v10, -v32
	v_add_f32_e32 v29, v29, v11
	v_mul_f32_e32 v10, v21, v13
	v_mul_f32_e32 v11, v20, v13
	v_fma_f32 v10, v20, v12, -v10
	v_fmac_f32_e32 v11, v21, v12
	v_add_f32_e32 v20, v30, v10
	v_add_f32_e32 v21, v31, v11
	ds_read2_b64 v[10:13], v16 offset0:160 offset1:176
	v_add_f32_e32 v28, v28, v32
	s_waitcnt lgkmcnt(0)
	v_mul_f32_e32 v30, v35, v11
	v_fma_f32 v30, v34, v10, -v30
	v_add_f32_e32 v24, v24, v30
	v_mul_f32_e32 v30, v35, v13
	v_fma_f32 v30, v34, v12, -v30
	v_mul_f32_e32 v31, v34, v11
	v_add_f32_e32 v27, v27, v30
	v_mul_f32_e32 v30, v23, v11
	v_mul_f32_e32 v11, v22, v11
	v_fmac_f32_e32 v11, v23, v10
	v_fmac_f32_e32 v31, v35, v10
	v_fma_f32 v30, v22, v10, -v30
	v_add_f32_e32 v29, v29, v11
	v_mul_f32_e32 v10, v23, v13
	v_mul_f32_e32 v11, v22, v13
	v_add_f32_e32 v25, v25, v31
	v_mul_f32_e32 v31, v34, v13
	v_fma_f32 v10, v22, v12, -v10
	v_fmac_f32_e32 v11, v23, v12
	v_fmac_f32_e32 v31, v35, v12
	v_add_f32_e32 v20, v20, v10
	v_add_f32_e32 v21, v21, v11
	ds_read2_b64 v[10:13], v16 offset0:192 offset1:208
	v_add_f32_e32 v28, v28, v30
	v_add_f32_e32 v26, v26, v31
	s_waitcnt lgkmcnt(0)
	v_mul_f32_e32 v22, v3, v11
	v_fma_f32 v22, v2, v10, -v22
	v_mul_f32_e32 v23, v2, v11
	v_add_f32_e32 v30, v24, v22
	v_mul_f32_e32 v22, v3, v13
	v_fmac_f32_e32 v23, v3, v10
	v_fma_f32 v22, v2, v12, -v22
	v_mul_f32_e32 v2, v2, v13
	v_add_f32_e32 v31, v25, v23
	v_fmac_f32_e32 v2, v3, v12
	v_add_f32_e32 v3, v27, v22
	ds_read_b128 v[22:25], v17 offset:1072
	v_add_f32_e32 v2, v26, v2
	s_waitcnt lgkmcnt(0)
	v_mul_f32_e32 v26, v23, v11
	v_mul_f32_e32 v11, v22, v11
	v_fma_f32 v26, v22, v10, -v26
	v_fmac_f32_e32 v11, v23, v10
	v_add_f32_e32 v10, v28, v26
	v_add_f32_e32 v32, v29, v11
	ds_read2_b64 v[26:29], v16 offset0:224 offset1:240
	v_mul_f32_e32 v11, v23, v13
	v_fma_f32 v11, v22, v12, -v11
	v_mul_f32_e32 v13, v22, v13
	v_add_f32_e32 v20, v20, v11
	s_waitcnt lgkmcnt(0)
	v_mul_f32_e32 v11, v5, v27
	v_fmac_f32_e32 v13, v23, v12
	v_fma_f32 v11, v4, v26, -v11
	v_add_f32_e32 v33, v21, v13
	v_add_f32_e32 v13, v30, v11
	v_mul_f32_e32 v11, v5, v29
	v_mul_f32_e32 v12, v4, v27
	v_fma_f32 v11, v4, v28, -v11
	v_mul_f32_e32 v4, v4, v29
	v_fmac_f32_e32 v12, v5, v26
	v_fmac_f32_e32 v4, v5, v28
	v_add_f32_e32 v23, v31, v12
	v_add_f32_e32 v12, v3, v11
	;; [unrolled: 1-line block ×3, first 2 shown]
	v_mul_f32_e32 v2, v25, v27
	v_mul_f32_e32 v3, v24, v27
	v_fma_f32 v2, v24, v26, -v2
	v_fmac_f32_e32 v3, v25, v26
	v_add_f32_e32 v11, v10, v2
	v_add_f32_e32 v21, v32, v3
	v_mul_f32_e32 v2, v25, v29
	v_mul_f32_e32 v3, v24, v29
	v_fma_f32 v2, v24, v28, -v2
	v_fmac_f32_e32 v3, v25, v28
	v_add_f32_e32 v10, v20, v2
	v_add_f32_e32 v20, v33, v3
	s_barrier
	s_cbranch_scc0 .LBB327_2
	s_branch .LBB327_4
.LBB327_3:
	v_mov_b32_e32 v23, 0
	v_mov_b32_e32 v13, 0
	;; [unrolled: 1-line block ×8, first 2 shown]
.LBB327_4:
	s_load_dwordx2 s[0:1], s[4:5], 0x48
	s_load_dword s6, s[4:5], 0x40
	v_add_u32_e32 v4, s16, v1
	v_add_u32_e32 v0, s9, v0
	v_cmp_gt_i32_e32 vcc, s10, v4
	s_waitcnt lgkmcnt(0)
	s_mul_i32 s1, s1, s8
	v_mad_i64_i32 v[1:2], s[12:13], v4, s6, 0
	s_mul_hi_u32 s4, s0, s8
	s_mul_i32 s0, s0, s8
	s_add_i32 s1, s4, s1
	s_lshl_b64 s[0:1], s[0:1], 3
	s_add_u32 s4, s2, s0
	v_lshlrev_b64 v[1:2], 3, v[1:2]
	s_addc_u32 s5, s3, s1
	v_mov_b32_e32 v3, s5
	v_add_co_u32_e64 v5, s[0:1], s4, v1
	v_addc_co_u32_e64 v6, s[0:1], v3, v2, s[0:1]
	v_cmp_le_i32_e64 s[0:1], v0, v4
	s_and_b64 s[0:1], vcc, s[0:1]
	s_and_saveexec_b64 s[2:3], s[0:1]
	s_cbranch_execz .LBB327_6
; %bb.5:
	v_ashrrev_i32_e32 v1, 31, v0
	v_lshlrev_b64 v[1:2], 3, v[0:1]
	v_add_co_u32_e64 v1, s[0:1], v5, v1
	v_addc_co_u32_e64 v2, s[0:1], v6, v2, s[0:1]
	v_cmp_ne_u32_e64 s[0:1], v4, v0
	v_cndmask_b32_e64 v14, 0, v23, s[0:1]
	global_store_dwordx2 v[1:2], v[13:14], off
.LBB327_6:
	s_or_b64 exec, exec, s[2:3]
	v_add_u32_e32 v2, 16, v0
	v_cmp_le_i32_e64 s[0:1], v2, v4
	s_and_b64 s[2:3], vcc, s[0:1]
	s_and_saveexec_b64 s[0:1], s[2:3]
	s_cbranch_execz .LBB327_8
; %bb.7:
	v_ashrrev_i32_e32 v3, 31, v2
	v_lshlrev_b64 v[7:8], 3, v[2:3]
	v_add_co_u32_e32 v5, vcc, v5, v7
	v_addc_co_u32_e32 v6, vcc, v6, v8, vcc
	v_cmp_ne_u32_e32 vcc, v4, v2
	v_cndmask_b32_e32 v13, 0, v22, vcc
	global_store_dwordx2 v[5:6], v[12:13], off
.LBB327_8:
	s_or_b64 exec, exec, s[0:1]
	v_add_u32_e32 v3, 16, v4
	v_mad_i64_i32 v[5:6], s[0:1], v3, s6, 0
	v_mov_b32_e32 v1, s5
	v_cmp_gt_i32_e32 vcc, s10, v3
	v_lshlrev_b64 v[5:6], 3, v[5:6]
	v_add_co_u32_e64 v5, s[0:1], s4, v5
	v_addc_co_u32_e64 v6, s[0:1], v1, v6, s[0:1]
	v_cmp_le_i32_e64 s[0:1], v0, v3
	s_and_b64 s[0:1], vcc, s[0:1]
	s_and_saveexec_b64 s[2:3], s[0:1]
	s_cbranch_execz .LBB327_10
; %bb.9:
	v_ashrrev_i32_e32 v1, 31, v0
	v_lshlrev_b64 v[7:8], 3, v[0:1]
	v_add_co_u32_e64 v7, s[0:1], v5, v7
	v_addc_co_u32_e64 v8, s[0:1], v6, v8, s[0:1]
	v_cmp_ne_u32_e64 s[0:1], v3, v0
	v_cndmask_b32_e64 v12, 0, v21, s[0:1]
	global_store_dwordx2 v[7:8], v[11:12], off
.LBB327_10:
	s_or_b64 exec, exec, s[2:3]
	v_cmp_le_i32_e64 s[0:1], v2, v3
	s_and_b64 s[0:1], vcc, s[0:1]
	s_and_saveexec_b64 s[2:3], s[0:1]
	s_cbranch_execz .LBB327_12
; %bb.11:
	v_ashrrev_i32_e32 v3, 31, v2
	v_lshlrev_b64 v[1:2], 3, v[2:3]
	v_add_co_u32_e32 v1, vcc, v5, v1
	v_addc_co_u32_e32 v2, vcc, v6, v2, vcc
	v_cmp_ne_u32_e32 vcc, v4, v0
	v_cndmask_b32_e32 v11, 0, v20, vcc
	global_store_dwordx2 v[1:2], v[10:11], off
.LBB327_12:
	s_endpgm
	.section	.rodata,"a",@progbits
	.p2align	6, 0x0
	.amdhsa_kernel _ZL37rocblas_syrkx_herkx_restricted_kernelIi19rocblas_complex_numIfELi16ELi32ELi8ELi1ELi0ELb1ELc78ELc85EKS1_S1_EviT_PT9_S3_lS5_S3_lPT10_S3_li
		.amdhsa_group_segment_fixed_size 4096
		.amdhsa_private_segment_fixed_size 0
		.amdhsa_kernarg_size 84
		.amdhsa_user_sgpr_count 6
		.amdhsa_user_sgpr_private_segment_buffer 1
		.amdhsa_user_sgpr_dispatch_ptr 0
		.amdhsa_user_sgpr_queue_ptr 0
		.amdhsa_user_sgpr_kernarg_segment_ptr 1
		.amdhsa_user_sgpr_dispatch_id 0
		.amdhsa_user_sgpr_flat_scratch_init 0
		.amdhsa_user_sgpr_private_segment_size 0
		.amdhsa_uses_dynamic_stack 0
		.amdhsa_system_sgpr_private_segment_wavefront_offset 0
		.amdhsa_system_sgpr_workgroup_id_x 1
		.amdhsa_system_sgpr_workgroup_id_y 1
		.amdhsa_system_sgpr_workgroup_id_z 1
		.amdhsa_system_sgpr_workgroup_info 0
		.amdhsa_system_vgpr_workitem_id 1
		.amdhsa_next_free_vgpr 44
		.amdhsa_next_free_sgpr 25
		.amdhsa_reserve_vcc 1
		.amdhsa_reserve_flat_scratch 0
		.amdhsa_float_round_mode_32 0
		.amdhsa_float_round_mode_16_64 0
		.amdhsa_float_denorm_mode_32 3
		.amdhsa_float_denorm_mode_16_64 3
		.amdhsa_dx10_clamp 1
		.amdhsa_ieee_mode 1
		.amdhsa_fp16_overflow 0
		.amdhsa_exception_fp_ieee_invalid_op 0
		.amdhsa_exception_fp_denorm_src 0
		.amdhsa_exception_fp_ieee_div_zero 0
		.amdhsa_exception_fp_ieee_overflow 0
		.amdhsa_exception_fp_ieee_underflow 0
		.amdhsa_exception_fp_ieee_inexact 0
		.amdhsa_exception_int_div_zero 0
	.end_amdhsa_kernel
	.section	.text._ZL37rocblas_syrkx_herkx_restricted_kernelIi19rocblas_complex_numIfELi16ELi32ELi8ELi1ELi0ELb1ELc78ELc85EKS1_S1_EviT_PT9_S3_lS5_S3_lPT10_S3_li,"axG",@progbits,_ZL37rocblas_syrkx_herkx_restricted_kernelIi19rocblas_complex_numIfELi16ELi32ELi8ELi1ELi0ELb1ELc78ELc85EKS1_S1_EviT_PT9_S3_lS5_S3_lPT10_S3_li,comdat
.Lfunc_end327:
	.size	_ZL37rocblas_syrkx_herkx_restricted_kernelIi19rocblas_complex_numIfELi16ELi32ELi8ELi1ELi0ELb1ELc78ELc85EKS1_S1_EviT_PT9_S3_lS5_S3_lPT10_S3_li, .Lfunc_end327-_ZL37rocblas_syrkx_herkx_restricted_kernelIi19rocblas_complex_numIfELi16ELi32ELi8ELi1ELi0ELb1ELc78ELc85EKS1_S1_EviT_PT9_S3_lS5_S3_lPT10_S3_li
                                        ; -- End function
	.set _ZL37rocblas_syrkx_herkx_restricted_kernelIi19rocblas_complex_numIfELi16ELi32ELi8ELi1ELi0ELb1ELc78ELc85EKS1_S1_EviT_PT9_S3_lS5_S3_lPT10_S3_li.num_vgpr, 44
	.set _ZL37rocblas_syrkx_herkx_restricted_kernelIi19rocblas_complex_numIfELi16ELi32ELi8ELi1ELi0ELb1ELc78ELc85EKS1_S1_EviT_PT9_S3_lS5_S3_lPT10_S3_li.num_agpr, 0
	.set _ZL37rocblas_syrkx_herkx_restricted_kernelIi19rocblas_complex_numIfELi16ELi32ELi8ELi1ELi0ELb1ELc78ELc85EKS1_S1_EviT_PT9_S3_lS5_S3_lPT10_S3_li.numbered_sgpr, 25
	.set _ZL37rocblas_syrkx_herkx_restricted_kernelIi19rocblas_complex_numIfELi16ELi32ELi8ELi1ELi0ELb1ELc78ELc85EKS1_S1_EviT_PT9_S3_lS5_S3_lPT10_S3_li.num_named_barrier, 0
	.set _ZL37rocblas_syrkx_herkx_restricted_kernelIi19rocblas_complex_numIfELi16ELi32ELi8ELi1ELi0ELb1ELc78ELc85EKS1_S1_EviT_PT9_S3_lS5_S3_lPT10_S3_li.private_seg_size, 0
	.set _ZL37rocblas_syrkx_herkx_restricted_kernelIi19rocblas_complex_numIfELi16ELi32ELi8ELi1ELi0ELb1ELc78ELc85EKS1_S1_EviT_PT9_S3_lS5_S3_lPT10_S3_li.uses_vcc, 1
	.set _ZL37rocblas_syrkx_herkx_restricted_kernelIi19rocblas_complex_numIfELi16ELi32ELi8ELi1ELi0ELb1ELc78ELc85EKS1_S1_EviT_PT9_S3_lS5_S3_lPT10_S3_li.uses_flat_scratch, 0
	.set _ZL37rocblas_syrkx_herkx_restricted_kernelIi19rocblas_complex_numIfELi16ELi32ELi8ELi1ELi0ELb1ELc78ELc85EKS1_S1_EviT_PT9_S3_lS5_S3_lPT10_S3_li.has_dyn_sized_stack, 0
	.set _ZL37rocblas_syrkx_herkx_restricted_kernelIi19rocblas_complex_numIfELi16ELi32ELi8ELi1ELi0ELb1ELc78ELc85EKS1_S1_EviT_PT9_S3_lS5_S3_lPT10_S3_li.has_recursion, 0
	.set _ZL37rocblas_syrkx_herkx_restricted_kernelIi19rocblas_complex_numIfELi16ELi32ELi8ELi1ELi0ELb1ELc78ELc85EKS1_S1_EviT_PT9_S3_lS5_S3_lPT10_S3_li.has_indirect_call, 0
	.section	.AMDGPU.csdata,"",@progbits
; Kernel info:
; codeLenInByte = 1964
; TotalNumSgprs: 29
; NumVgprs: 44
; ScratchSize: 0
; MemoryBound: 0
; FloatMode: 240
; IeeeMode: 1
; LDSByteSize: 4096 bytes/workgroup (compile time only)
; SGPRBlocks: 3
; VGPRBlocks: 10
; NumSGPRsForWavesPerEU: 29
; NumVGPRsForWavesPerEU: 44
; Occupancy: 5
; WaveLimiterHint : 0
; COMPUTE_PGM_RSRC2:SCRATCH_EN: 0
; COMPUTE_PGM_RSRC2:USER_SGPR: 6
; COMPUTE_PGM_RSRC2:TRAP_HANDLER: 0
; COMPUTE_PGM_RSRC2:TGID_X_EN: 1
; COMPUTE_PGM_RSRC2:TGID_Y_EN: 1
; COMPUTE_PGM_RSRC2:TGID_Z_EN: 1
; COMPUTE_PGM_RSRC2:TIDIG_COMP_CNT: 1
	.section	.text._ZL37rocblas_syrkx_herkx_restricted_kernelIi19rocblas_complex_numIfELi16ELi32ELi8ELin1ELi0ELb1ELc84ELc76EKS1_S1_EviT_PT9_S3_lS5_S3_lPT10_S3_li,"axG",@progbits,_ZL37rocblas_syrkx_herkx_restricted_kernelIi19rocblas_complex_numIfELi16ELi32ELi8ELin1ELi0ELb1ELc84ELc76EKS1_S1_EviT_PT9_S3_lS5_S3_lPT10_S3_li,comdat
	.globl	_ZL37rocblas_syrkx_herkx_restricted_kernelIi19rocblas_complex_numIfELi16ELi32ELi8ELin1ELi0ELb1ELc84ELc76EKS1_S1_EviT_PT9_S3_lS5_S3_lPT10_S3_li ; -- Begin function _ZL37rocblas_syrkx_herkx_restricted_kernelIi19rocblas_complex_numIfELi16ELi32ELi8ELin1ELi0ELb1ELc84ELc76EKS1_S1_EviT_PT9_S3_lS5_S3_lPT10_S3_li
	.p2align	8
	.type	_ZL37rocblas_syrkx_herkx_restricted_kernelIi19rocblas_complex_numIfELi16ELi32ELi8ELin1ELi0ELb1ELc84ELc76EKS1_S1_EviT_PT9_S3_lS5_S3_lPT10_S3_li,@function
_ZL37rocblas_syrkx_herkx_restricted_kernelIi19rocblas_complex_numIfELi16ELi32ELi8ELin1ELi0ELb1ELc84ELc76EKS1_S1_EviT_PT9_S3_lS5_S3_lPT10_S3_li: ; @_ZL37rocblas_syrkx_herkx_restricted_kernelIi19rocblas_complex_numIfELi16ELi32ELi8ELin1ELi0ELb1ELc84ELc76EKS1_S1_EviT_PT9_S3_lS5_S3_lPT10_S3_li
; %bb.0:
	s_load_dwordx2 s[10:11], s[4:5], 0x0
	s_load_dwordx4 s[0:3], s[4:5], 0x30
	s_lshl_b32 s6, s6, 5
	s_lshl_b32 s7, s7, 5
	s_mov_b32 s9, 0
	s_waitcnt lgkmcnt(0)
	s_cmp_lt_i32 s11, 1
	s_cbranch_scc1 .LBB328_3
; %bb.1:
	v_lshl_add_u32 v4, v1, 4, v0
	v_and_b32_e32 v7, 31, v4
	s_load_dwordx2 s[16:17], s[4:5], 0x8
	s_load_dword s20, s[4:5], 0x10
	s_load_dwordx4 s[12:15], s[4:5], 0x18
	s_load_dword s18, s[4:5], 0x28
	v_lshrrev_b32_e32 v6, 3, v4
	v_and_b32_e32 v9, 7, v0
	v_lshrrev_b32_e32 v4, 5, v4
	v_lshlrev_b32_e32 v8, 3, v7
	v_lshl_or_b32 v11, v4, 8, v8
	v_lshlrev_b32_e32 v8, 3, v9
	v_add_u32_e32 v2, s7, v6
	v_lshl_or_b32 v6, v6, 6, v8
	v_mov_b32_e32 v10, 0
	v_add_u32_e32 v12, 0x800, v6
	v_mov_b32_e32 v6, 0x800
	v_mov_b32_e32 v5, v10
	v_lshl_add_u32 v14, v1, 6, v6
	v_add_u32_e32 v6, s6, v7
	s_waitcnt lgkmcnt(0)
	v_mad_i64_i32 v[2:3], s[18:19], s18, v2, v[9:10]
	v_mad_i64_i32 v[4:5], s[18:19], s20, v6, v[4:5]
	s_mul_i32 s13, s13, s8
	s_mul_hi_u32 s21, s12, s8
	s_add_i32 s13, s21, s13
	s_mul_i32 s12, s12, s8
	s_lshl_b64 s[12:13], s[12:13], 3
	v_lshlrev_b64 v[4:5], 3, v[4:5]
	s_add_u32 s12, s16, s12
	s_addc_u32 s13, s17, s13
	v_add_co_u32_e32 v4, vcc, s12, v4
	s_mul_i32 s1, s1, s8
	s_mul_hi_u32 s12, s0, s8
	v_mov_b32_e32 v6, s13
	s_add_i32 s1, s12, s1
	s_mul_i32 s0, s0, s8
	v_addc_co_u32_e32 v5, vcc, v6, v5, vcc
	s_lshl_b64 s[0:1], s[0:1], 3
	v_add_co_u32_e32 v6, vcc, 4, v4
	v_lshlrev_b64 v[2:3], 3, v[2:3]
	s_add_u32 s0, s14, s0
	v_addc_co_u32_e32 v7, vcc, 0, v5, vcc
	s_addc_u32 s1, s15, s1
	v_mov_b32_e32 v4, s1
	v_add_co_u32_e32 v2, vcc, s0, v2
	v_addc_co_u32_e32 v3, vcc, v4, v3, vcc
	v_add_co_u32_e32 v8, vcc, 4, v2
	v_lshlrev_b32_e32 v13, 3, v0
	v_addc_co_u32_e32 v9, vcc, 0, v3, vcc
	v_mov_b32_e32 v15, v10
	v_mov_b32_e32 v16, v10
	;; [unrolled: 1-line block ×7, first 2 shown]
.LBB328_2:                              ; =>This Inner Loop Header: Depth=1
	global_load_dwordx2 v[2:3], v[6:7], off offset:-4
	v_add_co_u32_e32 v6, vcc, 64, v6
	v_addc_co_u32_e32 v7, vcc, 0, v7, vcc
	s_add_i32 s9, s9, 8
	s_cmp_ge_i32 s9, s11
	s_waitcnt vmcnt(0)
	ds_write_b64 v11, v[2:3]
	global_load_dwordx2 v[2:3], v[8:9], off offset:-4
	v_add_co_u32_e32 v8, vcc, 64, v8
	v_addc_co_u32_e32 v9, vcc, 0, v9, vcc
	s_waitcnt vmcnt(0)
	ds_write_b64 v12, v[2:3]
	s_waitcnt lgkmcnt(0)
	s_barrier
	ds_read_b128 v[22:25], v14
	ds_read_b128 v[26:29], v14 offset:16
	ds_read_b128 v[30:33], v14 offset:32
	;; [unrolled: 1-line block ×3, first 2 shown]
	ds_read2_b64 v[34:37], v13 offset1:16
	s_waitcnt lgkmcnt(0)
	v_mul_f32_e32 v38, v23, v35
	v_mul_f32_e32 v39, v22, v35
	v_fma_f32 v38, v22, v34, -v38
	v_fmac_f32_e32 v39, v23, v34
	v_add_f32_e32 v38, v20, v38
	v_add_f32_e32 v39, v21, v39
	v_mul_f32_e32 v20, v23, v37
	v_mul_f32_e32 v21, v22, v37
	v_fma_f32 v20, v22, v36, -v20
	v_fmac_f32_e32 v21, v23, v36
	v_add_f32_e32 v22, v19, v20
	v_add_f32_e32 v23, v18, v21
	ds_read_b128 v[18:21], v14 offset:1024
	s_waitcnt lgkmcnt(0)
	v_mul_f32_e32 v40, v19, v35
	v_mul_f32_e32 v35, v18, v35
	v_fma_f32 v40, v18, v34, -v40
	v_fmac_f32_e32 v35, v19, v34
	v_add_f32_e32 v34, v17, v40
	v_add_f32_e32 v35, v16, v35
	v_mul_f32_e32 v16, v19, v37
	v_mul_f32_e32 v17, v18, v37
	v_fma_f32 v16, v18, v36, -v16
	v_fmac_f32_e32 v17, v19, v36
	v_add_f32_e32 v19, v15, v16
	v_add_f32_e32 v10, v10, v17
	ds_read2_b64 v[15:18], v13 offset0:32 offset1:48
	s_waitcnt lgkmcnt(0)
	v_mul_f32_e32 v36, v25, v16
	v_fma_f32 v36, v24, v15, -v36
	v_add_f32_e32 v36, v38, v36
	v_mul_f32_e32 v38, v25, v18
	v_mul_f32_e32 v37, v24, v16
	v_fma_f32 v38, v24, v17, -v38
	v_mul_f32_e32 v24, v24, v18
	v_fmac_f32_e32 v24, v25, v17
	v_add_f32_e32 v23, v23, v24
	v_mul_f32_e32 v24, v21, v16
	v_mul_f32_e32 v16, v20, v16
	v_fmac_f32_e32 v16, v21, v15
	v_fmac_f32_e32 v37, v25, v15
	v_fma_f32 v24, v20, v15, -v24
	v_add_f32_e32 v25, v35, v16
	v_mul_f32_e32 v15, v21, v18
	v_mul_f32_e32 v16, v20, v18
	v_fma_f32 v15, v20, v17, -v15
	v_fmac_f32_e32 v16, v21, v17
	v_add_f32_e32 v24, v34, v24
	v_add_f32_e32 v34, v19, v15
	;; [unrolled: 1-line block ×3, first 2 shown]
	ds_read2_b64 v[15:18], v13 offset0:64 offset1:80
	v_add_f32_e32 v37, v39, v37
	v_add_f32_e32 v22, v22, v38
	s_waitcnt lgkmcnt(0)
	v_mul_f32_e32 v19, v27, v16
	v_mul_f32_e32 v20, v26, v16
	v_fma_f32 v19, v26, v15, -v19
	v_fmac_f32_e32 v20, v27, v15
	v_add_f32_e32 v35, v36, v19
	v_add_f32_e32 v36, v37, v20
	v_mul_f32_e32 v19, v27, v18
	v_mul_f32_e32 v20, v26, v18
	v_fma_f32 v19, v26, v17, -v19
	v_fmac_f32_e32 v20, v27, v17
	v_add_f32_e32 v26, v22, v19
	v_add_f32_e32 v23, v23, v20
	ds_read_b128 v[19:22], v14 offset:1040
	s_waitcnt lgkmcnt(0)
	v_mul_f32_e32 v27, v20, v16
	v_mul_f32_e32 v16, v19, v16
	v_fmac_f32_e32 v16, v20, v15
	v_fma_f32 v27, v19, v15, -v27
	v_add_f32_e32 v25, v25, v16
	v_mul_f32_e32 v15, v20, v18
	v_mul_f32_e32 v16, v19, v18
	v_fma_f32 v15, v19, v17, -v15
	v_fmac_f32_e32 v16, v20, v17
	v_add_f32_e32 v19, v34, v15
	v_add_f32_e32 v10, v10, v16
	ds_read2_b64 v[15:18], v13 offset0:96 offset1:112
	v_add_f32_e32 v24, v24, v27
	s_waitcnt lgkmcnt(0)
	v_mul_f32_e32 v20, v29, v16
	v_mul_f32_e32 v34, v29, v18
	v_fma_f32 v20, v28, v15, -v20
	v_mul_f32_e32 v27, v28, v16
	v_fma_f32 v34, v28, v17, -v34
	v_mul_f32_e32 v28, v28, v18
	v_fmac_f32_e32 v28, v29, v17
	v_add_f32_e32 v23, v23, v28
	v_mul_f32_e32 v28, v22, v16
	v_mul_f32_e32 v16, v21, v16
	v_fmac_f32_e32 v16, v22, v15
	v_fmac_f32_e32 v27, v29, v15
	v_fma_f32 v28, v21, v15, -v28
	v_add_f32_e32 v25, v25, v16
	v_mul_f32_e32 v15, v22, v18
	v_mul_f32_e32 v16, v21, v18
	v_fma_f32 v15, v21, v17, -v15
	v_fmac_f32_e32 v16, v22, v17
	v_add_f32_e32 v24, v24, v28
	v_add_f32_e32 v28, v19, v15
	;; [unrolled: 1-line block ×3, first 2 shown]
	ds_read2_b64 v[15:18], v13 offset0:128 offset1:144
	v_add_f32_e32 v20, v35, v20
	v_add_f32_e32 v27, v36, v27
	;; [unrolled: 1-line block ×3, first 2 shown]
	s_waitcnt lgkmcnt(0)
	v_mul_f32_e32 v19, v31, v16
	v_fma_f32 v19, v30, v15, -v19
	v_mul_f32_e32 v21, v30, v16
	v_add_f32_e32 v29, v20, v19
	v_mul_f32_e32 v19, v31, v18
	v_mul_f32_e32 v20, v30, v18
	v_fmac_f32_e32 v21, v31, v15
	v_fma_f32 v19, v30, v17, -v19
	v_fmac_f32_e32 v20, v31, v17
	v_add_f32_e32 v27, v27, v21
	v_add_f32_e32 v26, v26, v19
	;; [unrolled: 1-line block ×3, first 2 shown]
	ds_read_b128 v[19:22], v14 offset:1056
	s_waitcnt lgkmcnt(0)
	v_mul_f32_e32 v30, v20, v16
	v_mul_f32_e32 v16, v19, v16
	v_fmac_f32_e32 v16, v20, v15
	v_fma_f32 v30, v19, v15, -v30
	v_add_f32_e32 v25, v25, v16
	v_mul_f32_e32 v15, v20, v18
	v_mul_f32_e32 v16, v19, v18
	v_fma_f32 v15, v19, v17, -v15
	v_fmac_f32_e32 v16, v20, v17
	v_add_f32_e32 v19, v28, v15
	v_add_f32_e32 v10, v10, v16
	ds_read2_b64 v[15:18], v13 offset0:160 offset1:176
	v_add_f32_e32 v24, v24, v30
	s_waitcnt lgkmcnt(0)
	v_mul_f32_e32 v28, v32, v16
	v_fmac_f32_e32 v28, v33, v15
	v_add_f32_e32 v27, v27, v28
	v_mul_f32_e32 v28, v33, v18
	v_fma_f32 v28, v32, v17, -v28
	v_mul_f32_e32 v20, v33, v16
	v_add_f32_e32 v26, v26, v28
	v_mul_f32_e32 v28, v22, v16
	v_mul_f32_e32 v16, v21, v16
	v_fmac_f32_e32 v16, v22, v15
	v_fma_f32 v20, v32, v15, -v20
	v_fma_f32 v28, v21, v15, -v28
	v_add_f32_e32 v25, v25, v16
	v_mul_f32_e32 v15, v22, v18
	v_mul_f32_e32 v16, v21, v18
	v_add_f32_e32 v20, v29, v20
	v_mul_f32_e32 v29, v32, v18
	v_fma_f32 v15, v21, v17, -v15
	v_fmac_f32_e32 v16, v22, v17
	v_fmac_f32_e32 v29, v33, v17
	v_add_f32_e32 v19, v19, v15
	v_add_f32_e32 v10, v10, v16
	ds_read2_b64 v[15:18], v13 offset0:192 offset1:208
	v_add_f32_e32 v24, v24, v28
	v_add_f32_e32 v23, v23, v29
	s_waitcnt lgkmcnt(0)
	v_mul_f32_e32 v21, v3, v16
	v_fma_f32 v21, v2, v15, -v21
	v_add_f32_e32 v28, v20, v21
	v_mul_f32_e32 v20, v3, v18
	v_mul_f32_e32 v22, v2, v16
	v_fma_f32 v20, v2, v17, -v20
	v_mul_f32_e32 v2, v2, v18
	v_fmac_f32_e32 v22, v3, v15
	v_fmac_f32_e32 v2, v3, v17
	v_add_f32_e32 v29, v27, v22
	v_add_f32_e32 v3, v26, v20
	;; [unrolled: 1-line block ×3, first 2 shown]
	ds_read_b128 v[20:23], v14 offset:1072
	s_waitcnt lgkmcnt(0)
	v_mul_f32_e32 v26, v21, v16
	v_fma_f32 v26, v20, v15, -v26
	v_mul_f32_e32 v16, v20, v16
	v_fmac_f32_e32 v16, v21, v15
	v_add_f32_e32 v15, v24, v26
	v_mul_f32_e32 v24, v21, v18
	v_fma_f32 v24, v20, v17, -v24
	v_add_f32_e32 v16, v25, v16
	v_add_f32_e32 v30, v19, v24
	ds_read2_b64 v[24:27], v13 offset0:224 offset1:240
	v_mul_f32_e32 v18, v20, v18
	v_fmac_f32_e32 v18, v21, v17
	v_add_f32_e32 v10, v10, v18
	s_waitcnt lgkmcnt(0)
	v_mul_f32_e32 v17, v5, v25
	v_fma_f32 v17, v4, v24, -v17
	v_add_f32_e32 v20, v28, v17
	v_mul_f32_e32 v17, v5, v27
	v_mul_f32_e32 v18, v4, v25
	v_fma_f32 v17, v4, v26, -v17
	v_mul_f32_e32 v4, v4, v27
	v_fmac_f32_e32 v18, v5, v24
	v_fmac_f32_e32 v4, v5, v26
	v_add_f32_e32 v21, v29, v18
	v_add_f32_e32 v19, v3, v17
	;; [unrolled: 1-line block ×3, first 2 shown]
	v_mul_f32_e32 v2, v23, v25
	v_mul_f32_e32 v3, v22, v25
	v_fma_f32 v2, v22, v24, -v2
	v_fmac_f32_e32 v3, v23, v24
	v_add_f32_e32 v17, v15, v2
	v_add_f32_e32 v16, v16, v3
	v_mul_f32_e32 v2, v23, v27
	v_mul_f32_e32 v3, v22, v27
	v_fma_f32 v2, v22, v26, -v2
	v_fmac_f32_e32 v3, v23, v26
	v_add_f32_e32 v15, v30, v2
	v_add_f32_e32 v10, v10, v3
	s_barrier
	s_cbranch_scc0 .LBB328_2
	s_branch .LBB328_4
.LBB328_3:
	v_mov_b32_e32 v20, 0
	v_mov_b32_e32 v21, 0
	;; [unrolled: 1-line block ×8, first 2 shown]
.LBB328_4:
	s_load_dwordx2 s[0:1], s[4:5], 0x48
	s_load_dword s9, s[4:5], 0x40
	v_add_u32_e32 v5, s7, v1
	v_add_u32_e32 v0, s6, v0
	s_waitcnt lgkmcnt(0)
	s_mul_i32 s1, s1, s8
	s_mul_hi_u32 s4, s0, s8
	s_add_i32 s1, s4, s1
	v_mad_i64_i32 v[1:2], s[4:5], v5, s9, 0
	s_mul_i32 s0, s0, s8
	s_lshl_b64 s[0:1], s[0:1], 3
	s_add_u32 s7, s2, s0
	v_lshlrev_b64 v[1:2], 3, v[1:2]
	s_addc_u32 s8, s3, s1
	v_mov_b32_e32 v3, s8
	v_add_co_u32_e32 v4, vcc, s7, v1
	v_addc_co_u32_e32 v6, vcc, v3, v2, vcc
	v_cmp_le_i32_e64 s[0:1], v5, v0
	v_cmp_gt_i32_e32 vcc, s10, v0
	s_and_b64 s[0:1], s[0:1], vcc
	s_and_saveexec_b64 s[2:3], s[0:1]
	s_cbranch_execz .LBB328_7
; %bb.5:
	v_ashrrev_i32_e32 v1, 31, v0
	v_lshlrev_b64 v[1:2], 3, v[0:1]
	v_xor_b32_e32 v7, 0x80000000, v20
	v_add_co_u32_e64 v1, s[0:1], v4, v1
	v_addc_co_u32_e64 v2, s[0:1], v6, v2, s[0:1]
	v_xor_b32_e32 v8, 0x80000000, v21
	v_cmp_eq_u32_e64 s[0:1], v5, v0
	global_store_dwordx2 v[1:2], v[7:8], off
	s_and_b64 exec, exec, s[0:1]
	s_cbranch_execz .LBB328_7
; %bb.6:
	v_mov_b32_e32 v3, 0
	global_store_dword v[1:2], v3, off offset:4
.LBB328_7:
	s_or_b64 exec, exec, s[2:3]
	v_add_u32_e32 v2, 16, v0
	v_cmp_le_i32_e64 s[2:3], v5, v2
	v_cmp_gt_i32_e64 s[0:1], s10, v2
	s_and_b64 s[2:3], s[2:3], s[0:1]
	s_and_saveexec_b64 s[4:5], s[2:3]
	s_cbranch_execz .LBB328_10
; %bb.8:
	v_ashrrev_i32_e32 v3, 31, v2
	v_lshlrev_b64 v[11:12], 3, v[2:3]
	v_xor_b32_e32 v7, 0x80000000, v19
	v_add_co_u32_e64 v3, s[2:3], v4, v11
	v_addc_co_u32_e64 v4, s[2:3], v6, v12, s[2:3]
	v_xor_b32_e32 v8, 0x80000000, v18
	v_cmp_eq_u32_e64 s[2:3], v5, v2
	global_store_dwordx2 v[3:4], v[7:8], off
	s_and_b64 exec, exec, s[2:3]
	s_cbranch_execz .LBB328_10
; %bb.9:
	v_mov_b32_e32 v1, 0
	global_store_dword v[3:4], v1, off offset:4
.LBB328_10:
	s_or_b64 exec, exec, s[4:5]
	v_add_u32_e32 v8, 16, v5
	v_mad_i64_i32 v[3:4], s[2:3], v8, s9, 0
	v_mov_b32_e32 v1, s8
	v_lshlrev_b64 v[3:4], 3, v[3:4]
	v_add_co_u32_e64 v6, s[2:3], s7, v3
	v_addc_co_u32_e64 v7, s[2:3], v1, v4, s[2:3]
	v_cmp_le_i32_e64 s[2:3], v8, v0
	s_and_b64 s[4:5], s[2:3], vcc
	s_and_saveexec_b64 s[2:3], s[4:5]
	s_cbranch_execz .LBB328_13
; %bb.11:
	v_ashrrev_i32_e32 v1, 31, v0
	v_lshlrev_b64 v[3:4], 3, v[0:1]
	v_xor_b32_e32 v11, 0x80000000, v17
	v_add_co_u32_e32 v3, vcc, v6, v3
	v_addc_co_u32_e32 v4, vcc, v7, v4, vcc
	v_xor_b32_e32 v12, 0x80000000, v16
	v_cmp_eq_u32_e32 vcc, v8, v0
	global_store_dwordx2 v[3:4], v[11:12], off
	s_and_b64 exec, exec, vcc
	s_cbranch_execz .LBB328_13
; %bb.12:
	v_mov_b32_e32 v1, 0
	global_store_dword v[3:4], v1, off offset:4
.LBB328_13:
	s_or_b64 exec, exec, s[2:3]
	v_cmp_le_i32_e32 vcc, v8, v2
	s_and_b64 s[0:1], vcc, s[0:1]
	s_and_saveexec_b64 s[2:3], s[0:1]
	s_cbranch_execz .LBB328_16
; %bb.14:
	v_ashrrev_i32_e32 v3, 31, v2
	v_lshlrev_b64 v[1:2], 3, v[2:3]
	v_xor_b32_e32 v8, 0x80000000, v15
	v_add_co_u32_e32 v1, vcc, v6, v1
	v_addc_co_u32_e32 v2, vcc, v7, v2, vcc
	v_xor_b32_e32 v9, 0x80000000, v10
	v_cmp_eq_u32_e32 vcc, v5, v0
	global_store_dwordx2 v[1:2], v[8:9], off
	s_and_b64 exec, exec, vcc
	s_cbranch_execz .LBB328_16
; %bb.15:
	v_mov_b32_e32 v0, 0
	global_store_dword v[1:2], v0, off offset:4
.LBB328_16:
	s_endpgm
	.section	.rodata,"a",@progbits
	.p2align	6, 0x0
	.amdhsa_kernel _ZL37rocblas_syrkx_herkx_restricted_kernelIi19rocblas_complex_numIfELi16ELi32ELi8ELin1ELi0ELb1ELc84ELc76EKS1_S1_EviT_PT9_S3_lS5_S3_lPT10_S3_li
		.amdhsa_group_segment_fixed_size 4096
		.amdhsa_private_segment_fixed_size 0
		.amdhsa_kernarg_size 84
		.amdhsa_user_sgpr_count 6
		.amdhsa_user_sgpr_private_segment_buffer 1
		.amdhsa_user_sgpr_dispatch_ptr 0
		.amdhsa_user_sgpr_queue_ptr 0
		.amdhsa_user_sgpr_kernarg_segment_ptr 1
		.amdhsa_user_sgpr_dispatch_id 0
		.amdhsa_user_sgpr_flat_scratch_init 0
		.amdhsa_user_sgpr_private_segment_size 0
		.amdhsa_uses_dynamic_stack 0
		.amdhsa_system_sgpr_private_segment_wavefront_offset 0
		.amdhsa_system_sgpr_workgroup_id_x 1
		.amdhsa_system_sgpr_workgroup_id_y 1
		.amdhsa_system_sgpr_workgroup_id_z 1
		.amdhsa_system_sgpr_workgroup_info 0
		.amdhsa_system_vgpr_workitem_id 1
		.amdhsa_next_free_vgpr 41
		.amdhsa_next_free_sgpr 22
		.amdhsa_reserve_vcc 1
		.amdhsa_reserve_flat_scratch 0
		.amdhsa_float_round_mode_32 0
		.amdhsa_float_round_mode_16_64 0
		.amdhsa_float_denorm_mode_32 3
		.amdhsa_float_denorm_mode_16_64 3
		.amdhsa_dx10_clamp 1
		.amdhsa_ieee_mode 1
		.amdhsa_fp16_overflow 0
		.amdhsa_exception_fp_ieee_invalid_op 0
		.amdhsa_exception_fp_denorm_src 0
		.amdhsa_exception_fp_ieee_div_zero 0
		.amdhsa_exception_fp_ieee_overflow 0
		.amdhsa_exception_fp_ieee_underflow 0
		.amdhsa_exception_fp_ieee_inexact 0
		.amdhsa_exception_int_div_zero 0
	.end_amdhsa_kernel
	.section	.text._ZL37rocblas_syrkx_herkx_restricted_kernelIi19rocblas_complex_numIfELi16ELi32ELi8ELin1ELi0ELb1ELc84ELc76EKS1_S1_EviT_PT9_S3_lS5_S3_lPT10_S3_li,"axG",@progbits,_ZL37rocblas_syrkx_herkx_restricted_kernelIi19rocblas_complex_numIfELi16ELi32ELi8ELin1ELi0ELb1ELc84ELc76EKS1_S1_EviT_PT9_S3_lS5_S3_lPT10_S3_li,comdat
.Lfunc_end328:
	.size	_ZL37rocblas_syrkx_herkx_restricted_kernelIi19rocblas_complex_numIfELi16ELi32ELi8ELin1ELi0ELb1ELc84ELc76EKS1_S1_EviT_PT9_S3_lS5_S3_lPT10_S3_li, .Lfunc_end328-_ZL37rocblas_syrkx_herkx_restricted_kernelIi19rocblas_complex_numIfELi16ELi32ELi8ELin1ELi0ELb1ELc84ELc76EKS1_S1_EviT_PT9_S3_lS5_S3_lPT10_S3_li
                                        ; -- End function
	.set _ZL37rocblas_syrkx_herkx_restricted_kernelIi19rocblas_complex_numIfELi16ELi32ELi8ELin1ELi0ELb1ELc84ELc76EKS1_S1_EviT_PT9_S3_lS5_S3_lPT10_S3_li.num_vgpr, 41
	.set _ZL37rocblas_syrkx_herkx_restricted_kernelIi19rocblas_complex_numIfELi16ELi32ELi8ELin1ELi0ELb1ELc84ELc76EKS1_S1_EviT_PT9_S3_lS5_S3_lPT10_S3_li.num_agpr, 0
	.set _ZL37rocblas_syrkx_herkx_restricted_kernelIi19rocblas_complex_numIfELi16ELi32ELi8ELin1ELi0ELb1ELc84ELc76EKS1_S1_EviT_PT9_S3_lS5_S3_lPT10_S3_li.numbered_sgpr, 22
	.set _ZL37rocblas_syrkx_herkx_restricted_kernelIi19rocblas_complex_numIfELi16ELi32ELi8ELin1ELi0ELb1ELc84ELc76EKS1_S1_EviT_PT9_S3_lS5_S3_lPT10_S3_li.num_named_barrier, 0
	.set _ZL37rocblas_syrkx_herkx_restricted_kernelIi19rocblas_complex_numIfELi16ELi32ELi8ELin1ELi0ELb1ELc84ELc76EKS1_S1_EviT_PT9_S3_lS5_S3_lPT10_S3_li.private_seg_size, 0
	.set _ZL37rocblas_syrkx_herkx_restricted_kernelIi19rocblas_complex_numIfELi16ELi32ELi8ELin1ELi0ELb1ELc84ELc76EKS1_S1_EviT_PT9_S3_lS5_S3_lPT10_S3_li.uses_vcc, 1
	.set _ZL37rocblas_syrkx_herkx_restricted_kernelIi19rocblas_complex_numIfELi16ELi32ELi8ELin1ELi0ELb1ELc84ELc76EKS1_S1_EviT_PT9_S3_lS5_S3_lPT10_S3_li.uses_flat_scratch, 0
	.set _ZL37rocblas_syrkx_herkx_restricted_kernelIi19rocblas_complex_numIfELi16ELi32ELi8ELin1ELi0ELb1ELc84ELc76EKS1_S1_EviT_PT9_S3_lS5_S3_lPT10_S3_li.has_dyn_sized_stack, 0
	.set _ZL37rocblas_syrkx_herkx_restricted_kernelIi19rocblas_complex_numIfELi16ELi32ELi8ELin1ELi0ELb1ELc84ELc76EKS1_S1_EviT_PT9_S3_lS5_S3_lPT10_S3_li.has_recursion, 0
	.set _ZL37rocblas_syrkx_herkx_restricted_kernelIi19rocblas_complex_numIfELi16ELi32ELi8ELin1ELi0ELb1ELc84ELc76EKS1_S1_EviT_PT9_S3_lS5_S3_lPT10_S3_li.has_indirect_call, 0
	.section	.AMDGPU.csdata,"",@progbits
; Kernel info:
; codeLenInByte = 2040
; TotalNumSgprs: 26
; NumVgprs: 41
; ScratchSize: 0
; MemoryBound: 0
; FloatMode: 240
; IeeeMode: 1
; LDSByteSize: 4096 bytes/workgroup (compile time only)
; SGPRBlocks: 3
; VGPRBlocks: 10
; NumSGPRsForWavesPerEU: 26
; NumVGPRsForWavesPerEU: 41
; Occupancy: 5
; WaveLimiterHint : 0
; COMPUTE_PGM_RSRC2:SCRATCH_EN: 0
; COMPUTE_PGM_RSRC2:USER_SGPR: 6
; COMPUTE_PGM_RSRC2:TRAP_HANDLER: 0
; COMPUTE_PGM_RSRC2:TGID_X_EN: 1
; COMPUTE_PGM_RSRC2:TGID_Y_EN: 1
; COMPUTE_PGM_RSRC2:TGID_Z_EN: 1
; COMPUTE_PGM_RSRC2:TIDIG_COMP_CNT: 1
	.section	.text._ZL37rocblas_syrkx_herkx_restricted_kernelIi19rocblas_complex_numIfELi16ELi32ELi8ELin1ELi0ELb1ELc67ELc76EKS1_S1_EviT_PT9_S3_lS5_S3_lPT10_S3_li,"axG",@progbits,_ZL37rocblas_syrkx_herkx_restricted_kernelIi19rocblas_complex_numIfELi16ELi32ELi8ELin1ELi0ELb1ELc67ELc76EKS1_S1_EviT_PT9_S3_lS5_S3_lPT10_S3_li,comdat
	.globl	_ZL37rocblas_syrkx_herkx_restricted_kernelIi19rocblas_complex_numIfELi16ELi32ELi8ELin1ELi0ELb1ELc67ELc76EKS1_S1_EviT_PT9_S3_lS5_S3_lPT10_S3_li ; -- Begin function _ZL37rocblas_syrkx_herkx_restricted_kernelIi19rocblas_complex_numIfELi16ELi32ELi8ELin1ELi0ELb1ELc67ELc76EKS1_S1_EviT_PT9_S3_lS5_S3_lPT10_S3_li
	.p2align	8
	.type	_ZL37rocblas_syrkx_herkx_restricted_kernelIi19rocblas_complex_numIfELi16ELi32ELi8ELin1ELi0ELb1ELc67ELc76EKS1_S1_EviT_PT9_S3_lS5_S3_lPT10_S3_li,@function
_ZL37rocblas_syrkx_herkx_restricted_kernelIi19rocblas_complex_numIfELi16ELi32ELi8ELin1ELi0ELb1ELc67ELc76EKS1_S1_EviT_PT9_S3_lS5_S3_lPT10_S3_li: ; @_ZL37rocblas_syrkx_herkx_restricted_kernelIi19rocblas_complex_numIfELi16ELi32ELi8ELin1ELi0ELb1ELc67ELc76EKS1_S1_EviT_PT9_S3_lS5_S3_lPT10_S3_li
; %bb.0:
	s_load_dwordx2 s[10:11], s[4:5], 0x0
	s_load_dwordx4 s[0:3], s[4:5], 0x30
	s_lshl_b32 s6, s6, 5
	s_lshl_b32 s7, s7, 5
	s_mov_b32 s9, 0
	s_waitcnt lgkmcnt(0)
	s_cmp_lt_i32 s11, 1
	s_cbranch_scc1 .LBB329_3
; %bb.1:
	v_lshl_add_u32 v4, v1, 4, v0
	v_and_b32_e32 v7, 31, v4
	s_load_dwordx2 s[16:17], s[4:5], 0x8
	s_load_dword s20, s[4:5], 0x10
	s_load_dwordx4 s[12:15], s[4:5], 0x18
	s_load_dword s18, s[4:5], 0x28
	v_lshrrev_b32_e32 v6, 3, v4
	v_and_b32_e32 v9, 7, v0
	v_lshrrev_b32_e32 v4, 5, v4
	v_lshlrev_b32_e32 v8, 3, v7
	v_lshl_or_b32 v11, v4, 8, v8
	v_lshlrev_b32_e32 v8, 3, v9
	v_add_u32_e32 v2, s7, v6
	v_lshl_or_b32 v6, v6, 6, v8
	v_mov_b32_e32 v10, 0
	v_add_u32_e32 v12, 0x800, v6
	v_mov_b32_e32 v6, 0x800
	v_mov_b32_e32 v5, v10
	v_lshl_add_u32 v14, v1, 6, v6
	v_add_u32_e32 v6, s6, v7
	s_waitcnt lgkmcnt(0)
	v_mad_i64_i32 v[2:3], s[18:19], s18, v2, v[9:10]
	v_mad_i64_i32 v[4:5], s[18:19], s20, v6, v[4:5]
	s_mul_i32 s13, s13, s8
	s_mul_hi_u32 s21, s12, s8
	s_add_i32 s13, s21, s13
	s_mul_i32 s12, s12, s8
	s_lshl_b64 s[12:13], s[12:13], 3
	v_lshlrev_b64 v[4:5], 3, v[4:5]
	s_add_u32 s12, s16, s12
	s_addc_u32 s13, s17, s13
	v_add_co_u32_e32 v4, vcc, s12, v4
	s_mul_i32 s1, s1, s8
	s_mul_hi_u32 s12, s0, s8
	v_mov_b32_e32 v6, s13
	s_add_i32 s1, s12, s1
	s_mul_i32 s0, s0, s8
	v_addc_co_u32_e32 v5, vcc, v6, v5, vcc
	s_lshl_b64 s[0:1], s[0:1], 3
	v_add_co_u32_e32 v6, vcc, 4, v4
	v_lshlrev_b64 v[2:3], 3, v[2:3]
	s_add_u32 s0, s14, s0
	v_addc_co_u32_e32 v7, vcc, 0, v5, vcc
	s_addc_u32 s1, s15, s1
	v_mov_b32_e32 v4, s1
	v_add_co_u32_e32 v2, vcc, s0, v2
	v_addc_co_u32_e32 v3, vcc, v4, v3, vcc
	v_add_co_u32_e32 v8, vcc, 4, v2
	v_lshlrev_b32_e32 v13, 3, v0
	v_addc_co_u32_e32 v9, vcc, 0, v3, vcc
	v_mov_b32_e32 v15, v10
	v_mov_b32_e32 v16, v10
	;; [unrolled: 1-line block ×7, first 2 shown]
.LBB329_2:                              ; =>This Inner Loop Header: Depth=1
	global_load_dwordx2 v[2:3], v[6:7], off offset:-4
	v_add_co_u32_e32 v6, vcc, 64, v6
	v_addc_co_u32_e32 v7, vcc, 0, v7, vcc
	s_add_i32 s9, s9, 8
	s_cmp_ge_i32 s9, s11
	s_waitcnt vmcnt(0)
	v_xor_b32_e32 v3, 0x80000000, v3
	ds_write_b64 v11, v[2:3]
	global_load_dwordx2 v[2:3], v[8:9], off offset:-4
	v_add_co_u32_e32 v8, vcc, 64, v8
	v_addc_co_u32_e32 v9, vcc, 0, v9, vcc
	s_waitcnt vmcnt(0)
	ds_write_b64 v12, v[2:3]
	s_waitcnt lgkmcnt(0)
	s_barrier
	ds_read_b128 v[22:25], v14
	ds_read_b128 v[26:29], v14 offset:16
	ds_read_b128 v[30:33], v14 offset:32
	;; [unrolled: 1-line block ×3, first 2 shown]
	ds_read2_b64 v[34:37], v13 offset1:16
	s_waitcnt lgkmcnt(0)
	v_mul_f32_e32 v38, v23, v35
	v_mul_f32_e32 v39, v22, v35
	v_fma_f32 v38, v22, v34, -v38
	v_fmac_f32_e32 v39, v23, v34
	v_add_f32_e32 v38, v20, v38
	v_add_f32_e32 v39, v21, v39
	v_mul_f32_e32 v20, v23, v37
	v_mul_f32_e32 v21, v22, v37
	v_fma_f32 v20, v22, v36, -v20
	v_fmac_f32_e32 v21, v23, v36
	v_add_f32_e32 v22, v19, v20
	v_add_f32_e32 v23, v18, v21
	ds_read_b128 v[18:21], v14 offset:1024
	s_waitcnt lgkmcnt(0)
	v_mul_f32_e32 v40, v19, v35
	v_mul_f32_e32 v35, v18, v35
	v_fma_f32 v40, v18, v34, -v40
	v_fmac_f32_e32 v35, v19, v34
	v_add_f32_e32 v34, v17, v40
	v_add_f32_e32 v35, v16, v35
	v_mul_f32_e32 v16, v19, v37
	v_mul_f32_e32 v17, v18, v37
	v_fma_f32 v16, v18, v36, -v16
	v_fmac_f32_e32 v17, v19, v36
	v_add_f32_e32 v19, v15, v16
	v_add_f32_e32 v10, v10, v17
	ds_read2_b64 v[15:18], v13 offset0:32 offset1:48
	s_waitcnt lgkmcnt(0)
	v_mul_f32_e32 v36, v25, v16
	v_fma_f32 v36, v24, v15, -v36
	v_add_f32_e32 v36, v38, v36
	v_mul_f32_e32 v38, v25, v18
	v_mul_f32_e32 v37, v24, v16
	v_fma_f32 v38, v24, v17, -v38
	v_mul_f32_e32 v24, v24, v18
	v_fmac_f32_e32 v24, v25, v17
	v_add_f32_e32 v23, v23, v24
	v_mul_f32_e32 v24, v21, v16
	v_mul_f32_e32 v16, v20, v16
	v_fmac_f32_e32 v16, v21, v15
	v_fmac_f32_e32 v37, v25, v15
	v_fma_f32 v24, v20, v15, -v24
	v_add_f32_e32 v25, v35, v16
	v_mul_f32_e32 v15, v21, v18
	v_mul_f32_e32 v16, v20, v18
	v_fma_f32 v15, v20, v17, -v15
	v_fmac_f32_e32 v16, v21, v17
	v_add_f32_e32 v24, v34, v24
	v_add_f32_e32 v34, v19, v15
	;; [unrolled: 1-line block ×3, first 2 shown]
	ds_read2_b64 v[15:18], v13 offset0:64 offset1:80
	v_add_f32_e32 v37, v39, v37
	v_add_f32_e32 v22, v22, v38
	s_waitcnt lgkmcnt(0)
	v_mul_f32_e32 v19, v27, v16
	v_mul_f32_e32 v20, v26, v16
	v_fma_f32 v19, v26, v15, -v19
	v_fmac_f32_e32 v20, v27, v15
	v_add_f32_e32 v35, v36, v19
	v_add_f32_e32 v36, v37, v20
	v_mul_f32_e32 v19, v27, v18
	v_mul_f32_e32 v20, v26, v18
	v_fma_f32 v19, v26, v17, -v19
	v_fmac_f32_e32 v20, v27, v17
	v_add_f32_e32 v26, v22, v19
	v_add_f32_e32 v23, v23, v20
	ds_read_b128 v[19:22], v14 offset:1040
	s_waitcnt lgkmcnt(0)
	v_mul_f32_e32 v27, v20, v16
	v_mul_f32_e32 v16, v19, v16
	v_fmac_f32_e32 v16, v20, v15
	v_fma_f32 v27, v19, v15, -v27
	v_add_f32_e32 v25, v25, v16
	v_mul_f32_e32 v15, v20, v18
	v_mul_f32_e32 v16, v19, v18
	v_fma_f32 v15, v19, v17, -v15
	v_fmac_f32_e32 v16, v20, v17
	v_add_f32_e32 v19, v34, v15
	v_add_f32_e32 v10, v10, v16
	ds_read2_b64 v[15:18], v13 offset0:96 offset1:112
	v_add_f32_e32 v24, v24, v27
	s_waitcnt lgkmcnt(0)
	v_mul_f32_e32 v20, v29, v16
	v_mul_f32_e32 v34, v29, v18
	v_fma_f32 v20, v28, v15, -v20
	v_mul_f32_e32 v27, v28, v16
	v_fma_f32 v34, v28, v17, -v34
	v_mul_f32_e32 v28, v28, v18
	v_fmac_f32_e32 v28, v29, v17
	v_add_f32_e32 v23, v23, v28
	v_mul_f32_e32 v28, v22, v16
	v_mul_f32_e32 v16, v21, v16
	v_fmac_f32_e32 v16, v22, v15
	v_fmac_f32_e32 v27, v29, v15
	v_fma_f32 v28, v21, v15, -v28
	v_add_f32_e32 v25, v25, v16
	v_mul_f32_e32 v15, v22, v18
	v_mul_f32_e32 v16, v21, v18
	v_fma_f32 v15, v21, v17, -v15
	v_fmac_f32_e32 v16, v22, v17
	v_add_f32_e32 v24, v24, v28
	v_add_f32_e32 v28, v19, v15
	;; [unrolled: 1-line block ×3, first 2 shown]
	ds_read2_b64 v[15:18], v13 offset0:128 offset1:144
	v_add_f32_e32 v20, v35, v20
	v_add_f32_e32 v27, v36, v27
	;; [unrolled: 1-line block ×3, first 2 shown]
	s_waitcnt lgkmcnt(0)
	v_mul_f32_e32 v19, v31, v16
	v_fma_f32 v19, v30, v15, -v19
	v_mul_f32_e32 v21, v30, v16
	v_add_f32_e32 v29, v20, v19
	v_mul_f32_e32 v19, v31, v18
	v_mul_f32_e32 v20, v30, v18
	v_fmac_f32_e32 v21, v31, v15
	v_fma_f32 v19, v30, v17, -v19
	v_fmac_f32_e32 v20, v31, v17
	v_add_f32_e32 v27, v27, v21
	v_add_f32_e32 v26, v26, v19
	v_add_f32_e32 v23, v23, v20
	ds_read_b128 v[19:22], v14 offset:1056
	s_waitcnt lgkmcnt(0)
	v_mul_f32_e32 v30, v20, v16
	v_mul_f32_e32 v16, v19, v16
	v_fmac_f32_e32 v16, v20, v15
	v_fma_f32 v30, v19, v15, -v30
	v_add_f32_e32 v25, v25, v16
	v_mul_f32_e32 v15, v20, v18
	v_mul_f32_e32 v16, v19, v18
	v_fma_f32 v15, v19, v17, -v15
	v_fmac_f32_e32 v16, v20, v17
	v_add_f32_e32 v19, v28, v15
	v_add_f32_e32 v10, v10, v16
	ds_read2_b64 v[15:18], v13 offset0:160 offset1:176
	v_add_f32_e32 v24, v24, v30
	s_waitcnt lgkmcnt(0)
	v_mul_f32_e32 v28, v32, v16
	v_fmac_f32_e32 v28, v33, v15
	v_add_f32_e32 v27, v27, v28
	v_mul_f32_e32 v28, v33, v18
	v_fma_f32 v28, v32, v17, -v28
	v_mul_f32_e32 v20, v33, v16
	v_add_f32_e32 v26, v26, v28
	v_mul_f32_e32 v28, v22, v16
	v_mul_f32_e32 v16, v21, v16
	v_fmac_f32_e32 v16, v22, v15
	v_fma_f32 v20, v32, v15, -v20
	v_fma_f32 v28, v21, v15, -v28
	v_add_f32_e32 v25, v25, v16
	v_mul_f32_e32 v15, v22, v18
	v_mul_f32_e32 v16, v21, v18
	v_add_f32_e32 v20, v29, v20
	v_mul_f32_e32 v29, v32, v18
	v_fma_f32 v15, v21, v17, -v15
	v_fmac_f32_e32 v16, v22, v17
	v_fmac_f32_e32 v29, v33, v17
	v_add_f32_e32 v19, v19, v15
	v_add_f32_e32 v10, v10, v16
	ds_read2_b64 v[15:18], v13 offset0:192 offset1:208
	v_add_f32_e32 v24, v24, v28
	v_add_f32_e32 v23, v23, v29
	s_waitcnt lgkmcnt(0)
	v_mul_f32_e32 v21, v3, v16
	v_fma_f32 v21, v2, v15, -v21
	v_add_f32_e32 v28, v20, v21
	v_mul_f32_e32 v20, v3, v18
	v_mul_f32_e32 v22, v2, v16
	v_fma_f32 v20, v2, v17, -v20
	v_mul_f32_e32 v2, v2, v18
	v_fmac_f32_e32 v22, v3, v15
	v_fmac_f32_e32 v2, v3, v17
	v_add_f32_e32 v29, v27, v22
	v_add_f32_e32 v3, v26, v20
	;; [unrolled: 1-line block ×3, first 2 shown]
	ds_read_b128 v[20:23], v14 offset:1072
	s_waitcnt lgkmcnt(0)
	v_mul_f32_e32 v26, v21, v16
	v_fma_f32 v26, v20, v15, -v26
	v_mul_f32_e32 v16, v20, v16
	v_fmac_f32_e32 v16, v21, v15
	v_add_f32_e32 v15, v24, v26
	v_mul_f32_e32 v24, v21, v18
	v_fma_f32 v24, v20, v17, -v24
	v_add_f32_e32 v16, v25, v16
	v_add_f32_e32 v30, v19, v24
	ds_read2_b64 v[24:27], v13 offset0:224 offset1:240
	v_mul_f32_e32 v18, v20, v18
	v_fmac_f32_e32 v18, v21, v17
	v_add_f32_e32 v10, v10, v18
	s_waitcnt lgkmcnt(0)
	v_mul_f32_e32 v17, v5, v25
	v_fma_f32 v17, v4, v24, -v17
	v_add_f32_e32 v20, v28, v17
	v_mul_f32_e32 v17, v5, v27
	v_mul_f32_e32 v18, v4, v25
	v_fma_f32 v17, v4, v26, -v17
	v_mul_f32_e32 v4, v4, v27
	v_fmac_f32_e32 v18, v5, v24
	v_fmac_f32_e32 v4, v5, v26
	v_add_f32_e32 v21, v29, v18
	v_add_f32_e32 v19, v3, v17
	;; [unrolled: 1-line block ×3, first 2 shown]
	v_mul_f32_e32 v2, v23, v25
	v_mul_f32_e32 v3, v22, v25
	v_fma_f32 v2, v22, v24, -v2
	v_fmac_f32_e32 v3, v23, v24
	v_add_f32_e32 v17, v15, v2
	v_add_f32_e32 v16, v16, v3
	v_mul_f32_e32 v2, v23, v27
	v_mul_f32_e32 v3, v22, v27
	v_fma_f32 v2, v22, v26, -v2
	v_fmac_f32_e32 v3, v23, v26
	v_add_f32_e32 v15, v30, v2
	v_add_f32_e32 v10, v10, v3
	s_barrier
	s_cbranch_scc0 .LBB329_2
	s_branch .LBB329_4
.LBB329_3:
	v_mov_b32_e32 v20, 0
	v_mov_b32_e32 v21, 0
	;; [unrolled: 1-line block ×8, first 2 shown]
.LBB329_4:
	s_load_dwordx2 s[0:1], s[4:5], 0x48
	s_load_dword s9, s[4:5], 0x40
	v_add_u32_e32 v5, s7, v1
	v_add_u32_e32 v0, s6, v0
	s_waitcnt lgkmcnt(0)
	s_mul_i32 s1, s1, s8
	s_mul_hi_u32 s4, s0, s8
	s_add_i32 s1, s4, s1
	v_mad_i64_i32 v[1:2], s[4:5], v5, s9, 0
	s_mul_i32 s0, s0, s8
	s_lshl_b64 s[0:1], s[0:1], 3
	s_add_u32 s7, s2, s0
	v_lshlrev_b64 v[1:2], 3, v[1:2]
	s_addc_u32 s8, s3, s1
	v_mov_b32_e32 v3, s8
	v_add_co_u32_e32 v4, vcc, s7, v1
	v_addc_co_u32_e32 v6, vcc, v3, v2, vcc
	v_cmp_le_i32_e64 s[0:1], v5, v0
	v_cmp_gt_i32_e32 vcc, s10, v0
	s_and_b64 s[0:1], s[0:1], vcc
	s_and_saveexec_b64 s[2:3], s[0:1]
	s_cbranch_execz .LBB329_7
; %bb.5:
	v_ashrrev_i32_e32 v1, 31, v0
	v_lshlrev_b64 v[1:2], 3, v[0:1]
	v_xor_b32_e32 v7, 0x80000000, v20
	v_add_co_u32_e64 v1, s[0:1], v4, v1
	v_addc_co_u32_e64 v2, s[0:1], v6, v2, s[0:1]
	v_xor_b32_e32 v8, 0x80000000, v21
	v_cmp_eq_u32_e64 s[0:1], v5, v0
	global_store_dwordx2 v[1:2], v[7:8], off
	s_and_b64 exec, exec, s[0:1]
	s_cbranch_execz .LBB329_7
; %bb.6:
	v_mov_b32_e32 v3, 0
	global_store_dword v[1:2], v3, off offset:4
.LBB329_7:
	s_or_b64 exec, exec, s[2:3]
	v_add_u32_e32 v2, 16, v0
	v_cmp_le_i32_e64 s[2:3], v5, v2
	v_cmp_gt_i32_e64 s[0:1], s10, v2
	s_and_b64 s[2:3], s[2:3], s[0:1]
	s_and_saveexec_b64 s[4:5], s[2:3]
	s_cbranch_execz .LBB329_10
; %bb.8:
	v_ashrrev_i32_e32 v3, 31, v2
	v_lshlrev_b64 v[11:12], 3, v[2:3]
	v_xor_b32_e32 v7, 0x80000000, v19
	v_add_co_u32_e64 v3, s[2:3], v4, v11
	v_addc_co_u32_e64 v4, s[2:3], v6, v12, s[2:3]
	v_xor_b32_e32 v8, 0x80000000, v18
	v_cmp_eq_u32_e64 s[2:3], v5, v2
	global_store_dwordx2 v[3:4], v[7:8], off
	s_and_b64 exec, exec, s[2:3]
	s_cbranch_execz .LBB329_10
; %bb.9:
	v_mov_b32_e32 v1, 0
	global_store_dword v[3:4], v1, off offset:4
.LBB329_10:
	s_or_b64 exec, exec, s[4:5]
	v_add_u32_e32 v8, 16, v5
	v_mad_i64_i32 v[3:4], s[2:3], v8, s9, 0
	v_mov_b32_e32 v1, s8
	v_lshlrev_b64 v[3:4], 3, v[3:4]
	v_add_co_u32_e64 v6, s[2:3], s7, v3
	v_addc_co_u32_e64 v7, s[2:3], v1, v4, s[2:3]
	v_cmp_le_i32_e64 s[2:3], v8, v0
	s_and_b64 s[4:5], s[2:3], vcc
	s_and_saveexec_b64 s[2:3], s[4:5]
	s_cbranch_execz .LBB329_13
; %bb.11:
	v_ashrrev_i32_e32 v1, 31, v0
	v_lshlrev_b64 v[3:4], 3, v[0:1]
	v_xor_b32_e32 v11, 0x80000000, v17
	v_add_co_u32_e32 v3, vcc, v6, v3
	v_addc_co_u32_e32 v4, vcc, v7, v4, vcc
	v_xor_b32_e32 v12, 0x80000000, v16
	v_cmp_eq_u32_e32 vcc, v8, v0
	global_store_dwordx2 v[3:4], v[11:12], off
	s_and_b64 exec, exec, vcc
	s_cbranch_execz .LBB329_13
; %bb.12:
	v_mov_b32_e32 v1, 0
	global_store_dword v[3:4], v1, off offset:4
.LBB329_13:
	s_or_b64 exec, exec, s[2:3]
	v_cmp_le_i32_e32 vcc, v8, v2
	s_and_b64 s[0:1], vcc, s[0:1]
	s_and_saveexec_b64 s[2:3], s[0:1]
	s_cbranch_execz .LBB329_16
; %bb.14:
	v_ashrrev_i32_e32 v3, 31, v2
	v_lshlrev_b64 v[1:2], 3, v[2:3]
	v_xor_b32_e32 v8, 0x80000000, v15
	v_add_co_u32_e32 v1, vcc, v6, v1
	v_addc_co_u32_e32 v2, vcc, v7, v2, vcc
	v_xor_b32_e32 v9, 0x80000000, v10
	v_cmp_eq_u32_e32 vcc, v5, v0
	global_store_dwordx2 v[1:2], v[8:9], off
	s_and_b64 exec, exec, vcc
	s_cbranch_execz .LBB329_16
; %bb.15:
	v_mov_b32_e32 v0, 0
	global_store_dword v[1:2], v0, off offset:4
.LBB329_16:
	s_endpgm
	.section	.rodata,"a",@progbits
	.p2align	6, 0x0
	.amdhsa_kernel _ZL37rocblas_syrkx_herkx_restricted_kernelIi19rocblas_complex_numIfELi16ELi32ELi8ELin1ELi0ELb1ELc67ELc76EKS1_S1_EviT_PT9_S3_lS5_S3_lPT10_S3_li
		.amdhsa_group_segment_fixed_size 4096
		.amdhsa_private_segment_fixed_size 0
		.amdhsa_kernarg_size 84
		.amdhsa_user_sgpr_count 6
		.amdhsa_user_sgpr_private_segment_buffer 1
		.amdhsa_user_sgpr_dispatch_ptr 0
		.amdhsa_user_sgpr_queue_ptr 0
		.amdhsa_user_sgpr_kernarg_segment_ptr 1
		.amdhsa_user_sgpr_dispatch_id 0
		.amdhsa_user_sgpr_flat_scratch_init 0
		.amdhsa_user_sgpr_private_segment_size 0
		.amdhsa_uses_dynamic_stack 0
		.amdhsa_system_sgpr_private_segment_wavefront_offset 0
		.amdhsa_system_sgpr_workgroup_id_x 1
		.amdhsa_system_sgpr_workgroup_id_y 1
		.amdhsa_system_sgpr_workgroup_id_z 1
		.amdhsa_system_sgpr_workgroup_info 0
		.amdhsa_system_vgpr_workitem_id 1
		.amdhsa_next_free_vgpr 41
		.amdhsa_next_free_sgpr 22
		.amdhsa_reserve_vcc 1
		.amdhsa_reserve_flat_scratch 0
		.amdhsa_float_round_mode_32 0
		.amdhsa_float_round_mode_16_64 0
		.amdhsa_float_denorm_mode_32 3
		.amdhsa_float_denorm_mode_16_64 3
		.amdhsa_dx10_clamp 1
		.amdhsa_ieee_mode 1
		.amdhsa_fp16_overflow 0
		.amdhsa_exception_fp_ieee_invalid_op 0
		.amdhsa_exception_fp_denorm_src 0
		.amdhsa_exception_fp_ieee_div_zero 0
		.amdhsa_exception_fp_ieee_overflow 0
		.amdhsa_exception_fp_ieee_underflow 0
		.amdhsa_exception_fp_ieee_inexact 0
		.amdhsa_exception_int_div_zero 0
	.end_amdhsa_kernel
	.section	.text._ZL37rocblas_syrkx_herkx_restricted_kernelIi19rocblas_complex_numIfELi16ELi32ELi8ELin1ELi0ELb1ELc67ELc76EKS1_S1_EviT_PT9_S3_lS5_S3_lPT10_S3_li,"axG",@progbits,_ZL37rocblas_syrkx_herkx_restricted_kernelIi19rocblas_complex_numIfELi16ELi32ELi8ELin1ELi0ELb1ELc67ELc76EKS1_S1_EviT_PT9_S3_lS5_S3_lPT10_S3_li,comdat
.Lfunc_end329:
	.size	_ZL37rocblas_syrkx_herkx_restricted_kernelIi19rocblas_complex_numIfELi16ELi32ELi8ELin1ELi0ELb1ELc67ELc76EKS1_S1_EviT_PT9_S3_lS5_S3_lPT10_S3_li, .Lfunc_end329-_ZL37rocblas_syrkx_herkx_restricted_kernelIi19rocblas_complex_numIfELi16ELi32ELi8ELin1ELi0ELb1ELc67ELc76EKS1_S1_EviT_PT9_S3_lS5_S3_lPT10_S3_li
                                        ; -- End function
	.set _ZL37rocblas_syrkx_herkx_restricted_kernelIi19rocblas_complex_numIfELi16ELi32ELi8ELin1ELi0ELb1ELc67ELc76EKS1_S1_EviT_PT9_S3_lS5_S3_lPT10_S3_li.num_vgpr, 41
	.set _ZL37rocblas_syrkx_herkx_restricted_kernelIi19rocblas_complex_numIfELi16ELi32ELi8ELin1ELi0ELb1ELc67ELc76EKS1_S1_EviT_PT9_S3_lS5_S3_lPT10_S3_li.num_agpr, 0
	.set _ZL37rocblas_syrkx_herkx_restricted_kernelIi19rocblas_complex_numIfELi16ELi32ELi8ELin1ELi0ELb1ELc67ELc76EKS1_S1_EviT_PT9_S3_lS5_S3_lPT10_S3_li.numbered_sgpr, 22
	.set _ZL37rocblas_syrkx_herkx_restricted_kernelIi19rocblas_complex_numIfELi16ELi32ELi8ELin1ELi0ELb1ELc67ELc76EKS1_S1_EviT_PT9_S3_lS5_S3_lPT10_S3_li.num_named_barrier, 0
	.set _ZL37rocblas_syrkx_herkx_restricted_kernelIi19rocblas_complex_numIfELi16ELi32ELi8ELin1ELi0ELb1ELc67ELc76EKS1_S1_EviT_PT9_S3_lS5_S3_lPT10_S3_li.private_seg_size, 0
	.set _ZL37rocblas_syrkx_herkx_restricted_kernelIi19rocblas_complex_numIfELi16ELi32ELi8ELin1ELi0ELb1ELc67ELc76EKS1_S1_EviT_PT9_S3_lS5_S3_lPT10_S3_li.uses_vcc, 1
	.set _ZL37rocblas_syrkx_herkx_restricted_kernelIi19rocblas_complex_numIfELi16ELi32ELi8ELin1ELi0ELb1ELc67ELc76EKS1_S1_EviT_PT9_S3_lS5_S3_lPT10_S3_li.uses_flat_scratch, 0
	.set _ZL37rocblas_syrkx_herkx_restricted_kernelIi19rocblas_complex_numIfELi16ELi32ELi8ELin1ELi0ELb1ELc67ELc76EKS1_S1_EviT_PT9_S3_lS5_S3_lPT10_S3_li.has_dyn_sized_stack, 0
	.set _ZL37rocblas_syrkx_herkx_restricted_kernelIi19rocblas_complex_numIfELi16ELi32ELi8ELin1ELi0ELb1ELc67ELc76EKS1_S1_EviT_PT9_S3_lS5_S3_lPT10_S3_li.has_recursion, 0
	.set _ZL37rocblas_syrkx_herkx_restricted_kernelIi19rocblas_complex_numIfELi16ELi32ELi8ELin1ELi0ELb1ELc67ELc76EKS1_S1_EviT_PT9_S3_lS5_S3_lPT10_S3_li.has_indirect_call, 0
	.section	.AMDGPU.csdata,"",@progbits
; Kernel info:
; codeLenInByte = 2048
; TotalNumSgprs: 26
; NumVgprs: 41
; ScratchSize: 0
; MemoryBound: 0
; FloatMode: 240
; IeeeMode: 1
; LDSByteSize: 4096 bytes/workgroup (compile time only)
; SGPRBlocks: 3
; VGPRBlocks: 10
; NumSGPRsForWavesPerEU: 26
; NumVGPRsForWavesPerEU: 41
; Occupancy: 5
; WaveLimiterHint : 0
; COMPUTE_PGM_RSRC2:SCRATCH_EN: 0
; COMPUTE_PGM_RSRC2:USER_SGPR: 6
; COMPUTE_PGM_RSRC2:TRAP_HANDLER: 0
; COMPUTE_PGM_RSRC2:TGID_X_EN: 1
; COMPUTE_PGM_RSRC2:TGID_Y_EN: 1
; COMPUTE_PGM_RSRC2:TGID_Z_EN: 1
; COMPUTE_PGM_RSRC2:TIDIG_COMP_CNT: 1
	.section	.text._ZL37rocblas_syrkx_herkx_restricted_kernelIi19rocblas_complex_numIfELi16ELi32ELi8ELin1ELi0ELb1ELc78ELc76EKS1_S1_EviT_PT9_S3_lS5_S3_lPT10_S3_li,"axG",@progbits,_ZL37rocblas_syrkx_herkx_restricted_kernelIi19rocblas_complex_numIfELi16ELi32ELi8ELin1ELi0ELb1ELc78ELc76EKS1_S1_EviT_PT9_S3_lS5_S3_lPT10_S3_li,comdat
	.globl	_ZL37rocblas_syrkx_herkx_restricted_kernelIi19rocblas_complex_numIfELi16ELi32ELi8ELin1ELi0ELb1ELc78ELc76EKS1_S1_EviT_PT9_S3_lS5_S3_lPT10_S3_li ; -- Begin function _ZL37rocblas_syrkx_herkx_restricted_kernelIi19rocblas_complex_numIfELi16ELi32ELi8ELin1ELi0ELb1ELc78ELc76EKS1_S1_EviT_PT9_S3_lS5_S3_lPT10_S3_li
	.p2align	8
	.type	_ZL37rocblas_syrkx_herkx_restricted_kernelIi19rocblas_complex_numIfELi16ELi32ELi8ELin1ELi0ELb1ELc78ELc76EKS1_S1_EviT_PT9_S3_lS5_S3_lPT10_S3_li,@function
_ZL37rocblas_syrkx_herkx_restricted_kernelIi19rocblas_complex_numIfELi16ELi32ELi8ELin1ELi0ELb1ELc78ELc76EKS1_S1_EviT_PT9_S3_lS5_S3_lPT10_S3_li: ; @_ZL37rocblas_syrkx_herkx_restricted_kernelIi19rocblas_complex_numIfELi16ELi32ELi8ELin1ELi0ELb1ELc78ELc76EKS1_S1_EviT_PT9_S3_lS5_S3_lPT10_S3_li
; %bb.0:
	s_load_dwordx2 s[10:11], s[4:5], 0x0
	s_load_dwordx4 s[0:3], s[4:5], 0x30
	s_lshl_b32 s9, s6, 5
	s_lshl_b32 s16, s7, 5
	s_mov_b32 s17, 0
	s_waitcnt lgkmcnt(0)
	s_cmp_lt_i32 s11, 1
	s_cbranch_scc1 .LBB330_3
; %bb.1:
	v_lshl_add_u32 v5, v1, 4, v0
	s_load_dword s6, s[4:5], 0x10
	s_load_dword s18, s[4:5], 0x28
	s_load_dwordx2 s[20:21], s[4:5], 0x8
	s_load_dwordx4 s[12:15], s[4:5], 0x18
	v_lshrrev_b32_e32 v6, 3, v5
	v_add_u32_e32 v2, s16, v6
	v_and_b32_e32 v4, 7, v0
	v_ashrrev_i32_e32 v3, 31, v2
	s_waitcnt lgkmcnt(0)
	v_mad_i64_i32 v[2:3], s[22:23], s18, v4, v[2:3]
	v_lshlrev_b32_e32 v4, 3, v4
	v_lshl_or_b32 v4, v6, 6, v4
	v_lshrrev_b32_e32 v7, 5, v5
	v_and_b32_e32 v5, 31, v5
	v_add_u32_e32 v11, 0x800, v4
	v_mov_b32_e32 v4, 0x800
	v_lshl_add_u32 v13, v1, 6, v4
	v_add_u32_e32 v4, s9, v5
	v_lshlrev_b32_e32 v8, 3, v5
	v_ashrrev_i32_e32 v5, 31, v4
	v_mad_i64_i32 v[4:5], s[22:23], s6, v7, v[4:5]
	s_mul_i32 s13, s13, s8
	s_mul_hi_u32 s24, s12, s8
	s_add_i32 s13, s24, s13
	s_mul_i32 s12, s12, s8
	s_ashr_i32 s7, s6, 31
	s_ashr_i32 s19, s18, 31
	s_lshl_b64 s[12:13], s[12:13], 3
	v_lshlrev_b64 v[4:5], 3, v[4:5]
	s_add_u32 s12, s20, s12
	s_addc_u32 s13, s21, s13
	v_add_co_u32_e32 v4, vcc, s12, v4
	s_mul_i32 s1, s1, s8
	s_mul_hi_u32 s12, s0, s8
	v_mov_b32_e32 v6, s13
	s_add_i32 s1, s12, s1
	s_mul_i32 s0, s0, s8
	v_addc_co_u32_e32 v5, vcc, v6, v5, vcc
	s_lshl_b64 s[6:7], s[6:7], 6
	s_lshl_b64 s[0:1], s[0:1], 3
	v_add_co_u32_e32 v6, vcc, 4, v4
	v_lshlrev_b64 v[2:3], 3, v[2:3]
	s_add_u32 s0, s14, s0
	v_lshl_or_b32 v10, v7, 8, v8
	v_addc_co_u32_e32 v7, vcc, 0, v5, vcc
	s_addc_u32 s1, s15, s1
	v_mov_b32_e32 v4, s1
	v_add_co_u32_e32 v2, vcc, s0, v2
	v_addc_co_u32_e32 v3, vcc, v4, v3, vcc
	v_add_co_u32_e32 v8, vcc, 4, v2
	s_lshl_b64 s[0:1], s[18:19], 6
	v_lshlrev_b32_e32 v12, 3, v0
	v_addc_co_u32_e32 v9, vcc, 0, v3, vcc
	v_mov_b32_e32 v16, 0
	v_mov_b32_e32 v14, s7
	;; [unrolled: 1-line block ×10, first 2 shown]
.LBB330_2:                              ; =>This Inner Loop Header: Depth=1
	global_load_dwordx2 v[2:3], v[6:7], off offset:-4
	v_add_co_u32_e32 v6, vcc, s6, v6
	v_addc_co_u32_e32 v7, vcc, v7, v14, vcc
	s_add_i32 s17, s17, 8
	s_cmp_ge_i32 s17, s11
	s_waitcnt vmcnt(0)
	ds_write_b64 v10, v[2:3]
	global_load_dwordx2 v[2:3], v[8:9], off offset:-4
	v_add_co_u32_e32 v8, vcc, s0, v8
	v_addc_co_u32_e32 v9, vcc, v9, v15, vcc
	s_waitcnt vmcnt(0)
	v_xor_b32_e32 v3, 0x80000000, v3
	ds_write_b64 v11, v[2:3]
	s_waitcnt lgkmcnt(0)
	s_barrier
	ds_read_b128 v[24:27], v13
	ds_read_b128 v[28:31], v13 offset:16
	ds_read_b128 v[32:35], v13 offset:32
	ds_read_b128 v[2:5], v13 offset:48
	ds_read2_b64 v[36:39], v12 offset1:16
	s_waitcnt lgkmcnt(0)
	v_mul_f32_e32 v40, v25, v37
	v_mul_f32_e32 v41, v24, v37
	v_fma_f32 v40, v24, v36, -v40
	v_fmac_f32_e32 v41, v25, v36
	v_add_f32_e32 v40, v22, v40
	v_add_f32_e32 v41, v23, v41
	v_mul_f32_e32 v22, v25, v39
	v_mul_f32_e32 v23, v24, v39
	v_fma_f32 v22, v24, v38, -v22
	v_fmac_f32_e32 v23, v25, v38
	v_add_f32_e32 v24, v21, v22
	v_add_f32_e32 v25, v20, v23
	ds_read_b128 v[20:23], v13 offset:1024
	s_waitcnt lgkmcnt(0)
	v_mul_f32_e32 v42, v21, v37
	v_mul_f32_e32 v37, v20, v37
	v_fma_f32 v42, v20, v36, -v42
	v_fmac_f32_e32 v37, v21, v36
	v_add_f32_e32 v36, v19, v42
	v_add_f32_e32 v37, v18, v37
	v_mul_f32_e32 v18, v21, v39
	v_mul_f32_e32 v19, v20, v39
	v_fma_f32 v18, v20, v38, -v18
	v_fmac_f32_e32 v19, v21, v38
	v_add_f32_e32 v20, v17, v18
	v_add_f32_e32 v21, v16, v19
	ds_read2_b64 v[16:19], v12 offset0:32 offset1:48
	s_waitcnt lgkmcnt(0)
	v_mul_f32_e32 v38, v27, v17
	v_fma_f32 v38, v26, v16, -v38
	v_add_f32_e32 v38, v40, v38
	v_mul_f32_e32 v40, v27, v19
	v_mul_f32_e32 v39, v26, v17
	v_fma_f32 v40, v26, v18, -v40
	v_mul_f32_e32 v26, v26, v19
	v_fmac_f32_e32 v26, v27, v18
	v_add_f32_e32 v25, v25, v26
	v_mul_f32_e32 v26, v23, v17
	v_mul_f32_e32 v17, v22, v17
	v_fmac_f32_e32 v17, v23, v16
	v_fmac_f32_e32 v39, v27, v16
	v_fma_f32 v26, v22, v16, -v26
	v_add_f32_e32 v27, v37, v17
	v_mul_f32_e32 v16, v23, v19
	v_mul_f32_e32 v17, v22, v19
	v_fma_f32 v16, v22, v18, -v16
	v_fmac_f32_e32 v17, v23, v18
	v_add_f32_e32 v26, v36, v26
	v_add_f32_e32 v36, v20, v16
	;; [unrolled: 1-line block ×3, first 2 shown]
	ds_read2_b64 v[16:19], v12 offset0:64 offset1:80
	v_add_f32_e32 v39, v41, v39
	v_add_f32_e32 v24, v24, v40
	s_waitcnt lgkmcnt(0)
	v_mul_f32_e32 v20, v29, v17
	v_mul_f32_e32 v21, v28, v17
	v_fma_f32 v20, v28, v16, -v20
	v_fmac_f32_e32 v21, v29, v16
	v_add_f32_e32 v38, v38, v20
	v_add_f32_e32 v39, v39, v21
	v_mul_f32_e32 v20, v29, v19
	v_mul_f32_e32 v21, v28, v19
	v_fma_f32 v20, v28, v18, -v20
	v_fmac_f32_e32 v21, v29, v18
	v_add_f32_e32 v24, v24, v20
	v_add_f32_e32 v25, v25, v21
	ds_read_b128 v[20:23], v13 offset:1040
	s_waitcnt lgkmcnt(0)
	v_mul_f32_e32 v28, v21, v17
	v_mul_f32_e32 v17, v20, v17
	v_fmac_f32_e32 v17, v21, v16
	v_fma_f32 v28, v20, v16, -v28
	v_add_f32_e32 v27, v27, v17
	v_mul_f32_e32 v16, v21, v19
	v_mul_f32_e32 v17, v20, v19
	v_fma_f32 v16, v20, v18, -v16
	v_fmac_f32_e32 v17, v21, v18
	v_add_f32_e32 v20, v36, v16
	v_add_f32_e32 v21, v37, v17
	ds_read2_b64 v[16:19], v12 offset0:96 offset1:112
	v_add_f32_e32 v26, v26, v28
	s_waitcnt lgkmcnt(0)
	v_mul_f32_e32 v28, v31, v17
	v_mul_f32_e32 v36, v31, v19
	v_fma_f32 v28, v30, v16, -v28
	v_mul_f32_e32 v29, v30, v17
	v_fma_f32 v36, v30, v18, -v36
	v_mul_f32_e32 v30, v30, v19
	v_fmac_f32_e32 v30, v31, v18
	v_add_f32_e32 v25, v25, v30
	v_mul_f32_e32 v30, v23, v17
	v_mul_f32_e32 v17, v22, v17
	v_fmac_f32_e32 v17, v23, v16
	v_fmac_f32_e32 v29, v31, v16
	v_fma_f32 v30, v22, v16, -v30
	v_add_f32_e32 v27, v27, v17
	v_mul_f32_e32 v16, v23, v19
	v_mul_f32_e32 v17, v22, v19
	v_fma_f32 v16, v22, v18, -v16
	v_fmac_f32_e32 v17, v23, v18
	v_add_f32_e32 v26, v26, v30
	v_add_f32_e32 v30, v20, v16
	;; [unrolled: 1-line block ×3, first 2 shown]
	ds_read2_b64 v[16:19], v12 offset0:128 offset1:144
	v_add_f32_e32 v28, v38, v28
	v_add_f32_e32 v29, v39, v29
	v_add_f32_e32 v24, v24, v36
	s_waitcnt lgkmcnt(0)
	v_mul_f32_e32 v20, v33, v17
	v_mul_f32_e32 v21, v32, v17
	v_fma_f32 v20, v32, v16, -v20
	v_fmac_f32_e32 v21, v33, v16
	v_add_f32_e32 v28, v28, v20
	v_add_f32_e32 v29, v29, v21
	v_mul_f32_e32 v20, v33, v19
	v_mul_f32_e32 v21, v32, v19
	v_fma_f32 v20, v32, v18, -v20
	v_fmac_f32_e32 v21, v33, v18
	v_add_f32_e32 v24, v24, v20
	v_add_f32_e32 v25, v25, v21
	ds_read_b128 v[20:23], v13 offset:1056
	s_waitcnt lgkmcnt(0)
	v_mul_f32_e32 v32, v21, v17
	v_mul_f32_e32 v17, v20, v17
	v_fmac_f32_e32 v17, v21, v16
	v_fma_f32 v32, v20, v16, -v32
	v_add_f32_e32 v27, v27, v17
	v_mul_f32_e32 v16, v21, v19
	v_mul_f32_e32 v17, v20, v19
	v_fma_f32 v16, v20, v18, -v16
	v_fmac_f32_e32 v17, v21, v18
	v_add_f32_e32 v20, v30, v16
	v_add_f32_e32 v21, v31, v17
	ds_read2_b64 v[16:19], v12 offset0:160 offset1:176
	v_add_f32_e32 v26, v26, v32
	s_waitcnt lgkmcnt(0)
	v_mul_f32_e32 v30, v35, v17
	v_fma_f32 v30, v34, v16, -v30
	v_add_f32_e32 v28, v28, v30
	v_mul_f32_e32 v30, v35, v19
	v_fma_f32 v30, v34, v18, -v30
	v_mul_f32_e32 v31, v34, v17
	v_add_f32_e32 v24, v24, v30
	v_mul_f32_e32 v30, v23, v17
	v_mul_f32_e32 v17, v22, v17
	v_fmac_f32_e32 v17, v23, v16
	v_fmac_f32_e32 v31, v35, v16
	v_fma_f32 v30, v22, v16, -v30
	v_add_f32_e32 v27, v27, v17
	v_mul_f32_e32 v16, v23, v19
	v_mul_f32_e32 v17, v22, v19
	v_add_f32_e32 v29, v29, v31
	v_mul_f32_e32 v31, v34, v19
	v_fma_f32 v16, v22, v18, -v16
	v_fmac_f32_e32 v17, v23, v18
	v_fmac_f32_e32 v31, v35, v18
	v_add_f32_e32 v20, v20, v16
	v_add_f32_e32 v21, v21, v17
	ds_read2_b64 v[16:19], v12 offset0:192 offset1:208
	v_add_f32_e32 v26, v26, v30
	v_add_f32_e32 v25, v25, v31
	s_waitcnt lgkmcnt(0)
	v_mul_f32_e32 v22, v3, v17
	v_fma_f32 v22, v2, v16, -v22
	v_add_f32_e32 v30, v28, v22
	v_mul_f32_e32 v22, v3, v19
	v_mul_f32_e32 v23, v2, v17
	v_fma_f32 v22, v2, v18, -v22
	v_mul_f32_e32 v2, v2, v19
	v_fmac_f32_e32 v23, v3, v16
	v_fmac_f32_e32 v2, v3, v18
	v_add_f32_e32 v31, v29, v23
	v_add_f32_e32 v3, v24, v22
	;; [unrolled: 1-line block ×3, first 2 shown]
	ds_read_b128 v[22:25], v13 offset:1072
	s_waitcnt lgkmcnt(0)
	v_mul_f32_e32 v28, v23, v17
	v_fma_f32 v28, v22, v16, -v28
	v_mul_f32_e32 v17, v22, v17
	v_fmac_f32_e32 v17, v23, v16
	v_add_f32_e32 v16, v26, v28
	v_mul_f32_e32 v26, v23, v19
	v_fma_f32 v26, v22, v18, -v26
	v_add_f32_e32 v17, v27, v17
	v_add_f32_e32 v32, v20, v26
	ds_read2_b64 v[26:29], v12 offset0:224 offset1:240
	v_mul_f32_e32 v19, v22, v19
	v_fmac_f32_e32 v19, v23, v18
	v_add_f32_e32 v33, v21, v19
	s_waitcnt lgkmcnt(0)
	v_mul_f32_e32 v18, v5, v27
	v_fma_f32 v18, v4, v26, -v18
	v_add_f32_e32 v22, v30, v18
	v_mul_f32_e32 v18, v5, v29
	v_mul_f32_e32 v19, v4, v27
	v_fma_f32 v18, v4, v28, -v18
	v_mul_f32_e32 v4, v4, v29
	v_fmac_f32_e32 v4, v5, v28
	v_add_f32_e32 v21, v3, v18
	v_add_f32_e32 v20, v2, v4
	v_mul_f32_e32 v2, v25, v27
	v_mul_f32_e32 v3, v24, v27
	v_fmac_f32_e32 v19, v5, v26
	v_fma_f32 v2, v24, v26, -v2
	v_fmac_f32_e32 v3, v25, v26
	v_add_f32_e32 v23, v31, v19
	v_add_f32_e32 v19, v16, v2
	;; [unrolled: 1-line block ×3, first 2 shown]
	v_mul_f32_e32 v2, v25, v29
	v_mul_f32_e32 v3, v24, v29
	v_fma_f32 v2, v24, v28, -v2
	v_fmac_f32_e32 v3, v25, v28
	v_add_f32_e32 v17, v32, v2
	v_add_f32_e32 v16, v33, v3
	s_barrier
	s_cbranch_scc0 .LBB330_2
	s_branch .LBB330_4
.LBB330_3:
	v_mov_b32_e32 v22, 0
	v_mov_b32_e32 v23, 0
	;; [unrolled: 1-line block ×8, first 2 shown]
.LBB330_4:
	s_load_dwordx2 s[0:1], s[4:5], 0x48
	s_load_dword s6, s[4:5], 0x40
	v_add_u32_e32 v5, s16, v1
	v_add_u32_e32 v0, s9, v0
	s_waitcnt lgkmcnt(0)
	s_mul_i32 s1, s1, s8
	s_mul_hi_u32 s4, s0, s8
	s_add_i32 s1, s4, s1
	v_mad_i64_i32 v[1:2], s[4:5], v5, s6, 0
	s_mul_i32 s0, s0, s8
	s_lshl_b64 s[0:1], s[0:1], 3
	s_add_u32 s7, s2, s0
	v_lshlrev_b64 v[1:2], 3, v[1:2]
	s_addc_u32 s8, s3, s1
	v_mov_b32_e32 v3, s8
	v_add_co_u32_e32 v4, vcc, s7, v1
	v_addc_co_u32_e32 v6, vcc, v3, v2, vcc
	v_cmp_le_i32_e64 s[0:1], v5, v0
	v_cmp_gt_i32_e32 vcc, s10, v0
	s_and_b64 s[0:1], s[0:1], vcc
	s_and_saveexec_b64 s[2:3], s[0:1]
	s_cbranch_execz .LBB330_7
; %bb.5:
	v_ashrrev_i32_e32 v1, 31, v0
	v_lshlrev_b64 v[1:2], 3, v[0:1]
	v_xor_b32_e32 v7, 0x80000000, v22
	v_add_co_u32_e64 v1, s[0:1], v4, v1
	v_addc_co_u32_e64 v2, s[0:1], v6, v2, s[0:1]
	v_xor_b32_e32 v8, 0x80000000, v23
	v_cmp_eq_u32_e64 s[0:1], v5, v0
	global_store_dwordx2 v[1:2], v[7:8], off
	s_and_b64 exec, exec, s[0:1]
	s_cbranch_execz .LBB330_7
; %bb.6:
	v_mov_b32_e32 v3, 0
	global_store_dword v[1:2], v3, off offset:4
.LBB330_7:
	s_or_b64 exec, exec, s[2:3]
	v_add_u32_e32 v2, 16, v0
	v_cmp_le_i32_e64 s[2:3], v5, v2
	v_cmp_gt_i32_e64 s[0:1], s10, v2
	s_and_b64 s[2:3], s[2:3], s[0:1]
	s_and_saveexec_b64 s[4:5], s[2:3]
	s_cbranch_execz .LBB330_10
; %bb.8:
	v_ashrrev_i32_e32 v3, 31, v2
	v_lshlrev_b64 v[9:10], 3, v[2:3]
	v_xor_b32_e32 v7, 0x80000000, v21
	v_add_co_u32_e64 v3, s[2:3], v4, v9
	v_addc_co_u32_e64 v4, s[2:3], v6, v10, s[2:3]
	v_xor_b32_e32 v8, 0x80000000, v20
	v_cmp_eq_u32_e64 s[2:3], v5, v2
	global_store_dwordx2 v[3:4], v[7:8], off
	s_and_b64 exec, exec, s[2:3]
	s_cbranch_execz .LBB330_10
; %bb.9:
	v_mov_b32_e32 v1, 0
	global_store_dword v[3:4], v1, off offset:4
.LBB330_10:
	s_or_b64 exec, exec, s[4:5]
	v_add_u32_e32 v8, 16, v5
	v_mad_i64_i32 v[3:4], s[2:3], v8, s6, 0
	v_mov_b32_e32 v1, s8
	v_lshlrev_b64 v[3:4], 3, v[3:4]
	v_add_co_u32_e64 v6, s[2:3], s7, v3
	v_addc_co_u32_e64 v7, s[2:3], v1, v4, s[2:3]
	v_cmp_le_i32_e64 s[2:3], v8, v0
	s_and_b64 s[4:5], s[2:3], vcc
	s_and_saveexec_b64 s[2:3], s[4:5]
	s_cbranch_execz .LBB330_13
; %bb.11:
	v_ashrrev_i32_e32 v1, 31, v0
	v_lshlrev_b64 v[3:4], 3, v[0:1]
	v_xor_b32_e32 v9, 0x80000000, v19
	v_add_co_u32_e32 v3, vcc, v6, v3
	v_addc_co_u32_e32 v4, vcc, v7, v4, vcc
	v_xor_b32_e32 v10, 0x80000000, v18
	v_cmp_eq_u32_e32 vcc, v8, v0
	global_store_dwordx2 v[3:4], v[9:10], off
	s_and_b64 exec, exec, vcc
	s_cbranch_execz .LBB330_13
; %bb.12:
	v_mov_b32_e32 v1, 0
	global_store_dword v[3:4], v1, off offset:4
.LBB330_13:
	s_or_b64 exec, exec, s[2:3]
	v_cmp_le_i32_e32 vcc, v8, v2
	s_and_b64 s[0:1], vcc, s[0:1]
	s_and_saveexec_b64 s[2:3], s[0:1]
	s_cbranch_execz .LBB330_16
; %bb.14:
	v_ashrrev_i32_e32 v3, 31, v2
	v_lshlrev_b64 v[1:2], 3, v[2:3]
	v_xor_b32_e32 v8, 0x80000000, v17
	v_add_co_u32_e32 v1, vcc, v6, v1
	v_addc_co_u32_e32 v2, vcc, v7, v2, vcc
	v_xor_b32_e32 v9, 0x80000000, v16
	v_cmp_eq_u32_e32 vcc, v5, v0
	global_store_dwordx2 v[1:2], v[8:9], off
	s_and_b64 exec, exec, vcc
	s_cbranch_execz .LBB330_16
; %bb.15:
	v_mov_b32_e32 v0, 0
	global_store_dword v[1:2], v0, off offset:4
.LBB330_16:
	s_endpgm
	.section	.rodata,"a",@progbits
	.p2align	6, 0x0
	.amdhsa_kernel _ZL37rocblas_syrkx_herkx_restricted_kernelIi19rocblas_complex_numIfELi16ELi32ELi8ELin1ELi0ELb1ELc78ELc76EKS1_S1_EviT_PT9_S3_lS5_S3_lPT10_S3_li
		.amdhsa_group_segment_fixed_size 4096
		.amdhsa_private_segment_fixed_size 0
		.amdhsa_kernarg_size 84
		.amdhsa_user_sgpr_count 6
		.amdhsa_user_sgpr_private_segment_buffer 1
		.amdhsa_user_sgpr_dispatch_ptr 0
		.amdhsa_user_sgpr_queue_ptr 0
		.amdhsa_user_sgpr_kernarg_segment_ptr 1
		.amdhsa_user_sgpr_dispatch_id 0
		.amdhsa_user_sgpr_flat_scratch_init 0
		.amdhsa_user_sgpr_private_segment_size 0
		.amdhsa_uses_dynamic_stack 0
		.amdhsa_system_sgpr_private_segment_wavefront_offset 0
		.amdhsa_system_sgpr_workgroup_id_x 1
		.amdhsa_system_sgpr_workgroup_id_y 1
		.amdhsa_system_sgpr_workgroup_id_z 1
		.amdhsa_system_sgpr_workgroup_info 0
		.amdhsa_system_vgpr_workitem_id 1
		.amdhsa_next_free_vgpr 43
		.amdhsa_next_free_sgpr 25
		.amdhsa_reserve_vcc 1
		.amdhsa_reserve_flat_scratch 0
		.amdhsa_float_round_mode_32 0
		.amdhsa_float_round_mode_16_64 0
		.amdhsa_float_denorm_mode_32 3
		.amdhsa_float_denorm_mode_16_64 3
		.amdhsa_dx10_clamp 1
		.amdhsa_ieee_mode 1
		.amdhsa_fp16_overflow 0
		.amdhsa_exception_fp_ieee_invalid_op 0
		.amdhsa_exception_fp_denorm_src 0
		.amdhsa_exception_fp_ieee_div_zero 0
		.amdhsa_exception_fp_ieee_overflow 0
		.amdhsa_exception_fp_ieee_underflow 0
		.amdhsa_exception_fp_ieee_inexact 0
		.amdhsa_exception_int_div_zero 0
	.end_amdhsa_kernel
	.section	.text._ZL37rocblas_syrkx_herkx_restricted_kernelIi19rocblas_complex_numIfELi16ELi32ELi8ELin1ELi0ELb1ELc78ELc76EKS1_S1_EviT_PT9_S3_lS5_S3_lPT10_S3_li,"axG",@progbits,_ZL37rocblas_syrkx_herkx_restricted_kernelIi19rocblas_complex_numIfELi16ELi32ELi8ELin1ELi0ELb1ELc78ELc76EKS1_S1_EviT_PT9_S3_lS5_S3_lPT10_S3_li,comdat
.Lfunc_end330:
	.size	_ZL37rocblas_syrkx_herkx_restricted_kernelIi19rocblas_complex_numIfELi16ELi32ELi8ELin1ELi0ELb1ELc78ELc76EKS1_S1_EviT_PT9_S3_lS5_S3_lPT10_S3_li, .Lfunc_end330-_ZL37rocblas_syrkx_herkx_restricted_kernelIi19rocblas_complex_numIfELi16ELi32ELi8ELin1ELi0ELb1ELc78ELc76EKS1_S1_EviT_PT9_S3_lS5_S3_lPT10_S3_li
                                        ; -- End function
	.set _ZL37rocblas_syrkx_herkx_restricted_kernelIi19rocblas_complex_numIfELi16ELi32ELi8ELin1ELi0ELb1ELc78ELc76EKS1_S1_EviT_PT9_S3_lS5_S3_lPT10_S3_li.num_vgpr, 43
	.set _ZL37rocblas_syrkx_herkx_restricted_kernelIi19rocblas_complex_numIfELi16ELi32ELi8ELin1ELi0ELb1ELc78ELc76EKS1_S1_EviT_PT9_S3_lS5_S3_lPT10_S3_li.num_agpr, 0
	.set _ZL37rocblas_syrkx_herkx_restricted_kernelIi19rocblas_complex_numIfELi16ELi32ELi8ELin1ELi0ELb1ELc78ELc76EKS1_S1_EviT_PT9_S3_lS5_S3_lPT10_S3_li.numbered_sgpr, 25
	.set _ZL37rocblas_syrkx_herkx_restricted_kernelIi19rocblas_complex_numIfELi16ELi32ELi8ELin1ELi0ELb1ELc78ELc76EKS1_S1_EviT_PT9_S3_lS5_S3_lPT10_S3_li.num_named_barrier, 0
	.set _ZL37rocblas_syrkx_herkx_restricted_kernelIi19rocblas_complex_numIfELi16ELi32ELi8ELin1ELi0ELb1ELc78ELc76EKS1_S1_EviT_PT9_S3_lS5_S3_lPT10_S3_li.private_seg_size, 0
	.set _ZL37rocblas_syrkx_herkx_restricted_kernelIi19rocblas_complex_numIfELi16ELi32ELi8ELin1ELi0ELb1ELc78ELc76EKS1_S1_EviT_PT9_S3_lS5_S3_lPT10_S3_li.uses_vcc, 1
	.set _ZL37rocblas_syrkx_herkx_restricted_kernelIi19rocblas_complex_numIfELi16ELi32ELi8ELin1ELi0ELb1ELc78ELc76EKS1_S1_EviT_PT9_S3_lS5_S3_lPT10_S3_li.uses_flat_scratch, 0
	.set _ZL37rocblas_syrkx_herkx_restricted_kernelIi19rocblas_complex_numIfELi16ELi32ELi8ELin1ELi0ELb1ELc78ELc76EKS1_S1_EviT_PT9_S3_lS5_S3_lPT10_S3_li.has_dyn_sized_stack, 0
	.set _ZL37rocblas_syrkx_herkx_restricted_kernelIi19rocblas_complex_numIfELi16ELi32ELi8ELin1ELi0ELb1ELc78ELc76EKS1_S1_EviT_PT9_S3_lS5_S3_lPT10_S3_li.has_recursion, 0
	.set _ZL37rocblas_syrkx_herkx_restricted_kernelIi19rocblas_complex_numIfELi16ELi32ELi8ELin1ELi0ELb1ELc78ELc76EKS1_S1_EviT_PT9_S3_lS5_S3_lPT10_S3_li.has_indirect_call, 0
	.section	.AMDGPU.csdata,"",@progbits
; Kernel info:
; codeLenInByte = 2076
; TotalNumSgprs: 29
; NumVgprs: 43
; ScratchSize: 0
; MemoryBound: 0
; FloatMode: 240
; IeeeMode: 1
; LDSByteSize: 4096 bytes/workgroup (compile time only)
; SGPRBlocks: 3
; VGPRBlocks: 10
; NumSGPRsForWavesPerEU: 29
; NumVGPRsForWavesPerEU: 43
; Occupancy: 5
; WaveLimiterHint : 0
; COMPUTE_PGM_RSRC2:SCRATCH_EN: 0
; COMPUTE_PGM_RSRC2:USER_SGPR: 6
; COMPUTE_PGM_RSRC2:TRAP_HANDLER: 0
; COMPUTE_PGM_RSRC2:TGID_X_EN: 1
; COMPUTE_PGM_RSRC2:TGID_Y_EN: 1
; COMPUTE_PGM_RSRC2:TGID_Z_EN: 1
; COMPUTE_PGM_RSRC2:TIDIG_COMP_CNT: 1
	.section	.text._ZL37rocblas_syrkx_herkx_restricted_kernelIi19rocblas_complex_numIfELi16ELi32ELi8ELin1ELi0ELb1ELc84ELc85EKS1_S1_EviT_PT9_S3_lS5_S3_lPT10_S3_li,"axG",@progbits,_ZL37rocblas_syrkx_herkx_restricted_kernelIi19rocblas_complex_numIfELi16ELi32ELi8ELin1ELi0ELb1ELc84ELc85EKS1_S1_EviT_PT9_S3_lS5_S3_lPT10_S3_li,comdat
	.globl	_ZL37rocblas_syrkx_herkx_restricted_kernelIi19rocblas_complex_numIfELi16ELi32ELi8ELin1ELi0ELb1ELc84ELc85EKS1_S1_EviT_PT9_S3_lS5_S3_lPT10_S3_li ; -- Begin function _ZL37rocblas_syrkx_herkx_restricted_kernelIi19rocblas_complex_numIfELi16ELi32ELi8ELin1ELi0ELb1ELc84ELc85EKS1_S1_EviT_PT9_S3_lS5_S3_lPT10_S3_li
	.p2align	8
	.type	_ZL37rocblas_syrkx_herkx_restricted_kernelIi19rocblas_complex_numIfELi16ELi32ELi8ELin1ELi0ELb1ELc84ELc85EKS1_S1_EviT_PT9_S3_lS5_S3_lPT10_S3_li,@function
_ZL37rocblas_syrkx_herkx_restricted_kernelIi19rocblas_complex_numIfELi16ELi32ELi8ELin1ELi0ELb1ELc84ELc85EKS1_S1_EviT_PT9_S3_lS5_S3_lPT10_S3_li: ; @_ZL37rocblas_syrkx_herkx_restricted_kernelIi19rocblas_complex_numIfELi16ELi32ELi8ELin1ELi0ELb1ELc84ELc85EKS1_S1_EviT_PT9_S3_lS5_S3_lPT10_S3_li
; %bb.0:
	s_load_dwordx2 s[10:11], s[4:5], 0x0
	s_load_dwordx4 s[0:3], s[4:5], 0x30
	s_lshl_b32 s6, s6, 5
	s_lshl_b32 s7, s7, 5
	s_mov_b32 s9, 0
	s_waitcnt lgkmcnt(0)
	s_cmp_lt_i32 s11, 1
	s_cbranch_scc1 .LBB331_3
; %bb.1:
	v_lshl_add_u32 v4, v1, 4, v0
	v_and_b32_e32 v7, 31, v4
	s_load_dwordx2 s[16:17], s[4:5], 0x8
	s_load_dword s20, s[4:5], 0x10
	s_load_dwordx4 s[12:15], s[4:5], 0x18
	s_load_dword s18, s[4:5], 0x28
	v_lshrrev_b32_e32 v6, 3, v4
	v_and_b32_e32 v9, 7, v0
	v_lshrrev_b32_e32 v4, 5, v4
	v_lshlrev_b32_e32 v8, 3, v7
	v_lshl_or_b32 v11, v4, 8, v8
	v_lshlrev_b32_e32 v8, 3, v9
	v_add_u32_e32 v2, s7, v6
	v_lshl_or_b32 v6, v6, 6, v8
	v_mov_b32_e32 v10, 0
	v_add_u32_e32 v12, 0x800, v6
	v_mov_b32_e32 v6, 0x800
	v_mov_b32_e32 v5, v10
	v_lshl_add_u32 v14, v1, 6, v6
	v_add_u32_e32 v6, s6, v7
	s_waitcnt lgkmcnt(0)
	v_mad_i64_i32 v[2:3], s[18:19], s18, v2, v[9:10]
	v_mad_i64_i32 v[4:5], s[18:19], s20, v6, v[4:5]
	s_mul_i32 s13, s13, s8
	s_mul_hi_u32 s21, s12, s8
	s_add_i32 s13, s21, s13
	s_mul_i32 s12, s12, s8
	s_lshl_b64 s[12:13], s[12:13], 3
	v_lshlrev_b64 v[4:5], 3, v[4:5]
	s_add_u32 s12, s16, s12
	s_addc_u32 s13, s17, s13
	v_add_co_u32_e32 v4, vcc, s12, v4
	s_mul_i32 s1, s1, s8
	s_mul_hi_u32 s12, s0, s8
	v_mov_b32_e32 v6, s13
	s_add_i32 s1, s12, s1
	s_mul_i32 s0, s0, s8
	v_addc_co_u32_e32 v5, vcc, v6, v5, vcc
	s_lshl_b64 s[0:1], s[0:1], 3
	v_add_co_u32_e32 v6, vcc, 4, v4
	v_lshlrev_b64 v[2:3], 3, v[2:3]
	s_add_u32 s0, s14, s0
	v_addc_co_u32_e32 v7, vcc, 0, v5, vcc
	s_addc_u32 s1, s15, s1
	v_mov_b32_e32 v4, s1
	v_add_co_u32_e32 v2, vcc, s0, v2
	v_addc_co_u32_e32 v3, vcc, v4, v3, vcc
	v_add_co_u32_e32 v8, vcc, 4, v2
	v_lshlrev_b32_e32 v13, 3, v0
	v_addc_co_u32_e32 v9, vcc, 0, v3, vcc
	v_mov_b32_e32 v15, v10
	v_mov_b32_e32 v16, v10
	v_mov_b32_e32 v17, v10
	v_mov_b32_e32 v18, v10
	v_mov_b32_e32 v19, v10
	v_mov_b32_e32 v21, v10
	v_mov_b32_e32 v20, v10
.LBB331_2:                              ; =>This Inner Loop Header: Depth=1
	global_load_dwordx2 v[2:3], v[6:7], off offset:-4
	v_add_co_u32_e32 v6, vcc, 64, v6
	v_addc_co_u32_e32 v7, vcc, 0, v7, vcc
	s_add_i32 s9, s9, 8
	s_cmp_ge_i32 s9, s11
	s_waitcnt vmcnt(0)
	ds_write_b64 v11, v[2:3]
	global_load_dwordx2 v[2:3], v[8:9], off offset:-4
	v_add_co_u32_e32 v8, vcc, 64, v8
	v_addc_co_u32_e32 v9, vcc, 0, v9, vcc
	s_waitcnt vmcnt(0)
	ds_write_b64 v12, v[2:3]
	s_waitcnt lgkmcnt(0)
	s_barrier
	ds_read_b128 v[22:25], v14
	ds_read_b128 v[26:29], v14 offset:16
	ds_read_b128 v[30:33], v14 offset:32
	;; [unrolled: 1-line block ×3, first 2 shown]
	ds_read2_b64 v[34:37], v13 offset1:16
	s_waitcnt lgkmcnt(0)
	v_mul_f32_e32 v38, v23, v35
	v_mul_f32_e32 v39, v22, v35
	v_fma_f32 v38, v22, v34, -v38
	v_fmac_f32_e32 v39, v23, v34
	v_add_f32_e32 v38, v20, v38
	v_add_f32_e32 v39, v21, v39
	v_mul_f32_e32 v20, v23, v37
	v_mul_f32_e32 v21, v22, v37
	v_fma_f32 v20, v22, v36, -v20
	v_fmac_f32_e32 v21, v23, v36
	v_add_f32_e32 v22, v19, v20
	v_add_f32_e32 v23, v18, v21
	ds_read_b128 v[18:21], v14 offset:1024
	s_waitcnt lgkmcnt(0)
	v_mul_f32_e32 v40, v19, v35
	v_mul_f32_e32 v35, v18, v35
	v_fma_f32 v40, v18, v34, -v40
	v_fmac_f32_e32 v35, v19, v34
	v_add_f32_e32 v34, v17, v40
	v_add_f32_e32 v35, v16, v35
	v_mul_f32_e32 v16, v19, v37
	v_mul_f32_e32 v17, v18, v37
	v_fma_f32 v16, v18, v36, -v16
	v_fmac_f32_e32 v17, v19, v36
	v_add_f32_e32 v19, v15, v16
	v_add_f32_e32 v10, v10, v17
	ds_read2_b64 v[15:18], v13 offset0:32 offset1:48
	s_waitcnt lgkmcnt(0)
	v_mul_f32_e32 v36, v25, v16
	v_fma_f32 v36, v24, v15, -v36
	v_add_f32_e32 v36, v38, v36
	v_mul_f32_e32 v38, v25, v18
	v_mul_f32_e32 v37, v24, v16
	v_fma_f32 v38, v24, v17, -v38
	v_mul_f32_e32 v24, v24, v18
	v_fmac_f32_e32 v24, v25, v17
	v_add_f32_e32 v23, v23, v24
	v_mul_f32_e32 v24, v21, v16
	v_mul_f32_e32 v16, v20, v16
	v_fmac_f32_e32 v16, v21, v15
	v_fmac_f32_e32 v37, v25, v15
	v_fma_f32 v24, v20, v15, -v24
	v_add_f32_e32 v25, v35, v16
	v_mul_f32_e32 v15, v21, v18
	v_mul_f32_e32 v16, v20, v18
	v_fma_f32 v15, v20, v17, -v15
	v_fmac_f32_e32 v16, v21, v17
	v_add_f32_e32 v24, v34, v24
	v_add_f32_e32 v34, v19, v15
	;; [unrolled: 1-line block ×3, first 2 shown]
	ds_read2_b64 v[15:18], v13 offset0:64 offset1:80
	v_add_f32_e32 v37, v39, v37
	v_add_f32_e32 v22, v22, v38
	s_waitcnt lgkmcnt(0)
	v_mul_f32_e32 v19, v27, v16
	v_mul_f32_e32 v20, v26, v16
	v_fma_f32 v19, v26, v15, -v19
	v_fmac_f32_e32 v20, v27, v15
	v_add_f32_e32 v35, v36, v19
	v_add_f32_e32 v36, v37, v20
	v_mul_f32_e32 v19, v27, v18
	v_mul_f32_e32 v20, v26, v18
	v_fma_f32 v19, v26, v17, -v19
	v_fmac_f32_e32 v20, v27, v17
	v_add_f32_e32 v26, v22, v19
	v_add_f32_e32 v23, v23, v20
	ds_read_b128 v[19:22], v14 offset:1040
	s_waitcnt lgkmcnt(0)
	v_mul_f32_e32 v27, v20, v16
	v_mul_f32_e32 v16, v19, v16
	v_fmac_f32_e32 v16, v20, v15
	v_fma_f32 v27, v19, v15, -v27
	v_add_f32_e32 v25, v25, v16
	v_mul_f32_e32 v15, v20, v18
	v_mul_f32_e32 v16, v19, v18
	v_fma_f32 v15, v19, v17, -v15
	v_fmac_f32_e32 v16, v20, v17
	v_add_f32_e32 v19, v34, v15
	v_add_f32_e32 v10, v10, v16
	ds_read2_b64 v[15:18], v13 offset0:96 offset1:112
	v_add_f32_e32 v24, v24, v27
	s_waitcnt lgkmcnt(0)
	v_mul_f32_e32 v20, v29, v16
	v_mul_f32_e32 v34, v29, v18
	v_fma_f32 v20, v28, v15, -v20
	v_mul_f32_e32 v27, v28, v16
	v_fma_f32 v34, v28, v17, -v34
	v_mul_f32_e32 v28, v28, v18
	v_fmac_f32_e32 v28, v29, v17
	v_add_f32_e32 v23, v23, v28
	v_mul_f32_e32 v28, v22, v16
	v_mul_f32_e32 v16, v21, v16
	v_fmac_f32_e32 v16, v22, v15
	v_fmac_f32_e32 v27, v29, v15
	v_fma_f32 v28, v21, v15, -v28
	v_add_f32_e32 v25, v25, v16
	v_mul_f32_e32 v15, v22, v18
	v_mul_f32_e32 v16, v21, v18
	v_fma_f32 v15, v21, v17, -v15
	v_fmac_f32_e32 v16, v22, v17
	v_add_f32_e32 v24, v24, v28
	v_add_f32_e32 v28, v19, v15
	;; [unrolled: 1-line block ×3, first 2 shown]
	ds_read2_b64 v[15:18], v13 offset0:128 offset1:144
	v_add_f32_e32 v20, v35, v20
	v_add_f32_e32 v27, v36, v27
	;; [unrolled: 1-line block ×3, first 2 shown]
	s_waitcnt lgkmcnt(0)
	v_mul_f32_e32 v19, v31, v16
	v_fma_f32 v19, v30, v15, -v19
	v_mul_f32_e32 v21, v30, v16
	v_add_f32_e32 v29, v20, v19
	v_mul_f32_e32 v19, v31, v18
	v_mul_f32_e32 v20, v30, v18
	v_fmac_f32_e32 v21, v31, v15
	v_fma_f32 v19, v30, v17, -v19
	v_fmac_f32_e32 v20, v31, v17
	v_add_f32_e32 v27, v27, v21
	v_add_f32_e32 v26, v26, v19
	;; [unrolled: 1-line block ×3, first 2 shown]
	ds_read_b128 v[19:22], v14 offset:1056
	s_waitcnt lgkmcnt(0)
	v_mul_f32_e32 v30, v20, v16
	v_mul_f32_e32 v16, v19, v16
	v_fmac_f32_e32 v16, v20, v15
	v_fma_f32 v30, v19, v15, -v30
	v_add_f32_e32 v25, v25, v16
	v_mul_f32_e32 v15, v20, v18
	v_mul_f32_e32 v16, v19, v18
	v_fma_f32 v15, v19, v17, -v15
	v_fmac_f32_e32 v16, v20, v17
	v_add_f32_e32 v19, v28, v15
	v_add_f32_e32 v10, v10, v16
	ds_read2_b64 v[15:18], v13 offset0:160 offset1:176
	v_add_f32_e32 v24, v24, v30
	s_waitcnt lgkmcnt(0)
	v_mul_f32_e32 v28, v32, v16
	v_fmac_f32_e32 v28, v33, v15
	v_add_f32_e32 v27, v27, v28
	v_mul_f32_e32 v28, v33, v18
	v_fma_f32 v28, v32, v17, -v28
	v_mul_f32_e32 v20, v33, v16
	v_add_f32_e32 v26, v26, v28
	v_mul_f32_e32 v28, v22, v16
	v_mul_f32_e32 v16, v21, v16
	v_fmac_f32_e32 v16, v22, v15
	v_fma_f32 v20, v32, v15, -v20
	v_fma_f32 v28, v21, v15, -v28
	v_add_f32_e32 v25, v25, v16
	v_mul_f32_e32 v15, v22, v18
	v_mul_f32_e32 v16, v21, v18
	v_add_f32_e32 v20, v29, v20
	v_mul_f32_e32 v29, v32, v18
	v_fma_f32 v15, v21, v17, -v15
	v_fmac_f32_e32 v16, v22, v17
	v_fmac_f32_e32 v29, v33, v17
	v_add_f32_e32 v19, v19, v15
	v_add_f32_e32 v10, v10, v16
	ds_read2_b64 v[15:18], v13 offset0:192 offset1:208
	v_add_f32_e32 v24, v24, v28
	v_add_f32_e32 v23, v23, v29
	s_waitcnt lgkmcnt(0)
	v_mul_f32_e32 v21, v3, v16
	v_fma_f32 v21, v2, v15, -v21
	v_add_f32_e32 v28, v20, v21
	v_mul_f32_e32 v20, v3, v18
	v_mul_f32_e32 v22, v2, v16
	v_fma_f32 v20, v2, v17, -v20
	v_mul_f32_e32 v2, v2, v18
	v_fmac_f32_e32 v22, v3, v15
	v_fmac_f32_e32 v2, v3, v17
	v_add_f32_e32 v29, v27, v22
	v_add_f32_e32 v3, v26, v20
	v_add_f32_e32 v2, v23, v2
	ds_read_b128 v[20:23], v14 offset:1072
	s_waitcnt lgkmcnt(0)
	v_mul_f32_e32 v26, v21, v16
	v_fma_f32 v26, v20, v15, -v26
	v_mul_f32_e32 v16, v20, v16
	v_fmac_f32_e32 v16, v21, v15
	v_add_f32_e32 v15, v24, v26
	v_mul_f32_e32 v24, v21, v18
	v_fma_f32 v24, v20, v17, -v24
	v_add_f32_e32 v16, v25, v16
	v_add_f32_e32 v30, v19, v24
	ds_read2_b64 v[24:27], v13 offset0:224 offset1:240
	v_mul_f32_e32 v18, v20, v18
	v_fmac_f32_e32 v18, v21, v17
	v_add_f32_e32 v10, v10, v18
	s_waitcnt lgkmcnt(0)
	v_mul_f32_e32 v17, v5, v25
	v_fma_f32 v17, v4, v24, -v17
	v_add_f32_e32 v20, v28, v17
	v_mul_f32_e32 v17, v5, v27
	v_mul_f32_e32 v18, v4, v25
	v_fma_f32 v17, v4, v26, -v17
	v_mul_f32_e32 v4, v4, v27
	v_fmac_f32_e32 v18, v5, v24
	v_fmac_f32_e32 v4, v5, v26
	v_add_f32_e32 v21, v29, v18
	v_add_f32_e32 v19, v3, v17
	;; [unrolled: 1-line block ×3, first 2 shown]
	v_mul_f32_e32 v2, v23, v25
	v_mul_f32_e32 v3, v22, v25
	v_fma_f32 v2, v22, v24, -v2
	v_fmac_f32_e32 v3, v23, v24
	v_add_f32_e32 v17, v15, v2
	v_add_f32_e32 v16, v16, v3
	v_mul_f32_e32 v2, v23, v27
	v_mul_f32_e32 v3, v22, v27
	v_fma_f32 v2, v22, v26, -v2
	v_fmac_f32_e32 v3, v23, v26
	v_add_f32_e32 v15, v30, v2
	v_add_f32_e32 v10, v10, v3
	s_barrier
	s_cbranch_scc0 .LBB331_2
	s_branch .LBB331_4
.LBB331_3:
	v_mov_b32_e32 v20, 0
	v_mov_b32_e32 v21, 0
	;; [unrolled: 1-line block ×8, first 2 shown]
.LBB331_4:
	s_load_dwordx2 s[0:1], s[4:5], 0x48
	s_load_dword s9, s[4:5], 0x40
	v_add_u32_e32 v5, s7, v1
	v_add_u32_e32 v0, s6, v0
	v_cmp_gt_i32_e32 vcc, s10, v5
	s_waitcnt lgkmcnt(0)
	s_mul_i32 s1, s1, s8
	v_mad_i64_i32 v[1:2], s[12:13], v5, s9, 0
	s_mul_hi_u32 s4, s0, s8
	s_mul_i32 s0, s0, s8
	s_add_i32 s1, s4, s1
	s_lshl_b64 s[0:1], s[0:1], 3
	s_add_u32 s4, s2, s0
	v_lshlrev_b64 v[1:2], 3, v[1:2]
	s_addc_u32 s5, s3, s1
	v_mov_b32_e32 v3, s5
	v_add_co_u32_e64 v4, s[0:1], s4, v1
	v_addc_co_u32_e64 v6, s[0:1], v3, v2, s[0:1]
	v_cmp_le_i32_e64 s[0:1], v0, v5
	s_and_b64 s[0:1], vcc, s[0:1]
	s_and_saveexec_b64 s[2:3], s[0:1]
	s_cbranch_execz .LBB331_7
; %bb.5:
	v_ashrrev_i32_e32 v1, 31, v0
	v_lshlrev_b64 v[1:2], 3, v[0:1]
	v_xor_b32_e32 v7, 0x80000000, v20
	v_add_co_u32_e64 v1, s[0:1], v4, v1
	v_addc_co_u32_e64 v2, s[0:1], v6, v2, s[0:1]
	v_xor_b32_e32 v8, 0x80000000, v21
	v_cmp_eq_u32_e64 s[0:1], v5, v0
	global_store_dwordx2 v[1:2], v[7:8], off
	s_and_b64 exec, exec, s[0:1]
	s_cbranch_execz .LBB331_7
; %bb.6:
	v_mov_b32_e32 v3, 0
	global_store_dword v[1:2], v3, off offset:4
.LBB331_7:
	s_or_b64 exec, exec, s[2:3]
	v_add_u32_e32 v2, 16, v0
	v_cmp_le_i32_e64 s[0:1], v2, v5
	s_and_b64 s[2:3], vcc, s[0:1]
	s_and_saveexec_b64 s[0:1], s[2:3]
	s_cbranch_execz .LBB331_10
; %bb.8:
	v_ashrrev_i32_e32 v3, 31, v2
	v_lshlrev_b64 v[11:12], 3, v[2:3]
	v_xor_b32_e32 v7, 0x80000000, v19
	v_add_co_u32_e32 v3, vcc, v4, v11
	v_addc_co_u32_e32 v4, vcc, v6, v12, vcc
	v_xor_b32_e32 v8, 0x80000000, v18
	v_cmp_eq_u32_e32 vcc, v5, v2
	global_store_dwordx2 v[3:4], v[7:8], off
	s_and_b64 exec, exec, vcc
	s_cbranch_execz .LBB331_10
; %bb.9:
	v_mov_b32_e32 v1, 0
	global_store_dword v[3:4], v1, off offset:4
.LBB331_10:
	s_or_b64 exec, exec, s[0:1]
	v_add_u32_e32 v8, 16, v5
	v_mad_i64_i32 v[3:4], s[0:1], v8, s9, 0
	v_mov_b32_e32 v1, s5
	v_cmp_gt_i32_e32 vcc, s10, v8
	v_lshlrev_b64 v[3:4], 3, v[3:4]
	v_add_co_u32_e64 v6, s[0:1], s4, v3
	v_addc_co_u32_e64 v7, s[0:1], v1, v4, s[0:1]
	v_cmp_le_i32_e64 s[0:1], v0, v8
	s_and_b64 s[0:1], vcc, s[0:1]
	s_and_saveexec_b64 s[2:3], s[0:1]
	s_cbranch_execz .LBB331_13
; %bb.11:
	v_ashrrev_i32_e32 v1, 31, v0
	v_lshlrev_b64 v[3:4], 3, v[0:1]
	v_xor_b32_e32 v11, 0x80000000, v17
	v_add_co_u32_e64 v3, s[0:1], v6, v3
	v_addc_co_u32_e64 v4, s[0:1], v7, v4, s[0:1]
	v_xor_b32_e32 v12, 0x80000000, v16
	v_cmp_eq_u32_e64 s[0:1], v8, v0
	global_store_dwordx2 v[3:4], v[11:12], off
	s_and_b64 exec, exec, s[0:1]
	s_cbranch_execz .LBB331_13
; %bb.12:
	v_mov_b32_e32 v1, 0
	global_store_dword v[3:4], v1, off offset:4
.LBB331_13:
	s_or_b64 exec, exec, s[2:3]
	v_cmp_le_i32_e64 s[0:1], v2, v8
	s_and_b64 s[0:1], vcc, s[0:1]
	s_and_saveexec_b64 s[2:3], s[0:1]
	s_cbranch_execz .LBB331_16
; %bb.14:
	v_ashrrev_i32_e32 v3, 31, v2
	v_lshlrev_b64 v[1:2], 3, v[2:3]
	v_xor_b32_e32 v8, 0x80000000, v15
	v_add_co_u32_e32 v1, vcc, v6, v1
	v_addc_co_u32_e32 v2, vcc, v7, v2, vcc
	v_xor_b32_e32 v9, 0x80000000, v10
	v_cmp_eq_u32_e32 vcc, v5, v0
	global_store_dwordx2 v[1:2], v[8:9], off
	s_and_b64 exec, exec, vcc
	s_cbranch_execz .LBB331_16
; %bb.15:
	v_mov_b32_e32 v0, 0
	global_store_dword v[1:2], v0, off offset:4
.LBB331_16:
	s_endpgm
	.section	.rodata,"a",@progbits
	.p2align	6, 0x0
	.amdhsa_kernel _ZL37rocblas_syrkx_herkx_restricted_kernelIi19rocblas_complex_numIfELi16ELi32ELi8ELin1ELi0ELb1ELc84ELc85EKS1_S1_EviT_PT9_S3_lS5_S3_lPT10_S3_li
		.amdhsa_group_segment_fixed_size 4096
		.amdhsa_private_segment_fixed_size 0
		.amdhsa_kernarg_size 84
		.amdhsa_user_sgpr_count 6
		.amdhsa_user_sgpr_private_segment_buffer 1
		.amdhsa_user_sgpr_dispatch_ptr 0
		.amdhsa_user_sgpr_queue_ptr 0
		.amdhsa_user_sgpr_kernarg_segment_ptr 1
		.amdhsa_user_sgpr_dispatch_id 0
		.amdhsa_user_sgpr_flat_scratch_init 0
		.amdhsa_user_sgpr_private_segment_size 0
		.amdhsa_uses_dynamic_stack 0
		.amdhsa_system_sgpr_private_segment_wavefront_offset 0
		.amdhsa_system_sgpr_workgroup_id_x 1
		.amdhsa_system_sgpr_workgroup_id_y 1
		.amdhsa_system_sgpr_workgroup_id_z 1
		.amdhsa_system_sgpr_workgroup_info 0
		.amdhsa_system_vgpr_workitem_id 1
		.amdhsa_next_free_vgpr 41
		.amdhsa_next_free_sgpr 22
		.amdhsa_reserve_vcc 1
		.amdhsa_reserve_flat_scratch 0
		.amdhsa_float_round_mode_32 0
		.amdhsa_float_round_mode_16_64 0
		.amdhsa_float_denorm_mode_32 3
		.amdhsa_float_denorm_mode_16_64 3
		.amdhsa_dx10_clamp 1
		.amdhsa_ieee_mode 1
		.amdhsa_fp16_overflow 0
		.amdhsa_exception_fp_ieee_invalid_op 0
		.amdhsa_exception_fp_denorm_src 0
		.amdhsa_exception_fp_ieee_div_zero 0
		.amdhsa_exception_fp_ieee_overflow 0
		.amdhsa_exception_fp_ieee_underflow 0
		.amdhsa_exception_fp_ieee_inexact 0
		.amdhsa_exception_int_div_zero 0
	.end_amdhsa_kernel
	.section	.text._ZL37rocblas_syrkx_herkx_restricted_kernelIi19rocblas_complex_numIfELi16ELi32ELi8ELin1ELi0ELb1ELc84ELc85EKS1_S1_EviT_PT9_S3_lS5_S3_lPT10_S3_li,"axG",@progbits,_ZL37rocblas_syrkx_herkx_restricted_kernelIi19rocblas_complex_numIfELi16ELi32ELi8ELin1ELi0ELb1ELc84ELc85EKS1_S1_EviT_PT9_S3_lS5_S3_lPT10_S3_li,comdat
.Lfunc_end331:
	.size	_ZL37rocblas_syrkx_herkx_restricted_kernelIi19rocblas_complex_numIfELi16ELi32ELi8ELin1ELi0ELb1ELc84ELc85EKS1_S1_EviT_PT9_S3_lS5_S3_lPT10_S3_li, .Lfunc_end331-_ZL37rocblas_syrkx_herkx_restricted_kernelIi19rocblas_complex_numIfELi16ELi32ELi8ELin1ELi0ELb1ELc84ELc85EKS1_S1_EviT_PT9_S3_lS5_S3_lPT10_S3_li
                                        ; -- End function
	.set _ZL37rocblas_syrkx_herkx_restricted_kernelIi19rocblas_complex_numIfELi16ELi32ELi8ELin1ELi0ELb1ELc84ELc85EKS1_S1_EviT_PT9_S3_lS5_S3_lPT10_S3_li.num_vgpr, 41
	.set _ZL37rocblas_syrkx_herkx_restricted_kernelIi19rocblas_complex_numIfELi16ELi32ELi8ELin1ELi0ELb1ELc84ELc85EKS1_S1_EviT_PT9_S3_lS5_S3_lPT10_S3_li.num_agpr, 0
	.set _ZL37rocblas_syrkx_herkx_restricted_kernelIi19rocblas_complex_numIfELi16ELi32ELi8ELin1ELi0ELb1ELc84ELc85EKS1_S1_EviT_PT9_S3_lS5_S3_lPT10_S3_li.numbered_sgpr, 22
	.set _ZL37rocblas_syrkx_herkx_restricted_kernelIi19rocblas_complex_numIfELi16ELi32ELi8ELin1ELi0ELb1ELc84ELc85EKS1_S1_EviT_PT9_S3_lS5_S3_lPT10_S3_li.num_named_barrier, 0
	.set _ZL37rocblas_syrkx_herkx_restricted_kernelIi19rocblas_complex_numIfELi16ELi32ELi8ELin1ELi0ELb1ELc84ELc85EKS1_S1_EviT_PT9_S3_lS5_S3_lPT10_S3_li.private_seg_size, 0
	.set _ZL37rocblas_syrkx_herkx_restricted_kernelIi19rocblas_complex_numIfELi16ELi32ELi8ELin1ELi0ELb1ELc84ELc85EKS1_S1_EviT_PT9_S3_lS5_S3_lPT10_S3_li.uses_vcc, 1
	.set _ZL37rocblas_syrkx_herkx_restricted_kernelIi19rocblas_complex_numIfELi16ELi32ELi8ELin1ELi0ELb1ELc84ELc85EKS1_S1_EviT_PT9_S3_lS5_S3_lPT10_S3_li.uses_flat_scratch, 0
	.set _ZL37rocblas_syrkx_herkx_restricted_kernelIi19rocblas_complex_numIfELi16ELi32ELi8ELin1ELi0ELb1ELc84ELc85EKS1_S1_EviT_PT9_S3_lS5_S3_lPT10_S3_li.has_dyn_sized_stack, 0
	.set _ZL37rocblas_syrkx_herkx_restricted_kernelIi19rocblas_complex_numIfELi16ELi32ELi8ELin1ELi0ELb1ELc84ELc85EKS1_S1_EviT_PT9_S3_lS5_S3_lPT10_S3_li.has_recursion, 0
	.set _ZL37rocblas_syrkx_herkx_restricted_kernelIi19rocblas_complex_numIfELi16ELi32ELi8ELin1ELi0ELb1ELc84ELc85EKS1_S1_EviT_PT9_S3_lS5_S3_lPT10_S3_li.has_indirect_call, 0
	.section	.AMDGPU.csdata,"",@progbits
; Kernel info:
; codeLenInByte = 2048
; TotalNumSgprs: 26
; NumVgprs: 41
; ScratchSize: 0
; MemoryBound: 0
; FloatMode: 240
; IeeeMode: 1
; LDSByteSize: 4096 bytes/workgroup (compile time only)
; SGPRBlocks: 3
; VGPRBlocks: 10
; NumSGPRsForWavesPerEU: 26
; NumVGPRsForWavesPerEU: 41
; Occupancy: 5
; WaveLimiterHint : 0
; COMPUTE_PGM_RSRC2:SCRATCH_EN: 0
; COMPUTE_PGM_RSRC2:USER_SGPR: 6
; COMPUTE_PGM_RSRC2:TRAP_HANDLER: 0
; COMPUTE_PGM_RSRC2:TGID_X_EN: 1
; COMPUTE_PGM_RSRC2:TGID_Y_EN: 1
; COMPUTE_PGM_RSRC2:TGID_Z_EN: 1
; COMPUTE_PGM_RSRC2:TIDIG_COMP_CNT: 1
	.section	.text._ZL37rocblas_syrkx_herkx_restricted_kernelIi19rocblas_complex_numIfELi16ELi32ELi8ELin1ELi0ELb1ELc67ELc85EKS1_S1_EviT_PT9_S3_lS5_S3_lPT10_S3_li,"axG",@progbits,_ZL37rocblas_syrkx_herkx_restricted_kernelIi19rocblas_complex_numIfELi16ELi32ELi8ELin1ELi0ELb1ELc67ELc85EKS1_S1_EviT_PT9_S3_lS5_S3_lPT10_S3_li,comdat
	.globl	_ZL37rocblas_syrkx_herkx_restricted_kernelIi19rocblas_complex_numIfELi16ELi32ELi8ELin1ELi0ELb1ELc67ELc85EKS1_S1_EviT_PT9_S3_lS5_S3_lPT10_S3_li ; -- Begin function _ZL37rocblas_syrkx_herkx_restricted_kernelIi19rocblas_complex_numIfELi16ELi32ELi8ELin1ELi0ELb1ELc67ELc85EKS1_S1_EviT_PT9_S3_lS5_S3_lPT10_S3_li
	.p2align	8
	.type	_ZL37rocblas_syrkx_herkx_restricted_kernelIi19rocblas_complex_numIfELi16ELi32ELi8ELin1ELi0ELb1ELc67ELc85EKS1_S1_EviT_PT9_S3_lS5_S3_lPT10_S3_li,@function
_ZL37rocblas_syrkx_herkx_restricted_kernelIi19rocblas_complex_numIfELi16ELi32ELi8ELin1ELi0ELb1ELc67ELc85EKS1_S1_EviT_PT9_S3_lS5_S3_lPT10_S3_li: ; @_ZL37rocblas_syrkx_herkx_restricted_kernelIi19rocblas_complex_numIfELi16ELi32ELi8ELin1ELi0ELb1ELc67ELc85EKS1_S1_EviT_PT9_S3_lS5_S3_lPT10_S3_li
; %bb.0:
	s_load_dwordx2 s[10:11], s[4:5], 0x0
	s_load_dwordx4 s[0:3], s[4:5], 0x30
	s_lshl_b32 s6, s6, 5
	s_lshl_b32 s7, s7, 5
	s_mov_b32 s9, 0
	s_waitcnt lgkmcnt(0)
	s_cmp_lt_i32 s11, 1
	s_cbranch_scc1 .LBB332_3
; %bb.1:
	v_lshl_add_u32 v4, v1, 4, v0
	v_and_b32_e32 v7, 31, v4
	s_load_dwordx2 s[16:17], s[4:5], 0x8
	s_load_dword s20, s[4:5], 0x10
	s_load_dwordx4 s[12:15], s[4:5], 0x18
	s_load_dword s18, s[4:5], 0x28
	v_lshrrev_b32_e32 v6, 3, v4
	v_and_b32_e32 v9, 7, v0
	v_lshrrev_b32_e32 v4, 5, v4
	v_lshlrev_b32_e32 v8, 3, v7
	v_lshl_or_b32 v11, v4, 8, v8
	v_lshlrev_b32_e32 v8, 3, v9
	v_add_u32_e32 v2, s7, v6
	v_lshl_or_b32 v6, v6, 6, v8
	v_mov_b32_e32 v10, 0
	v_add_u32_e32 v12, 0x800, v6
	v_mov_b32_e32 v6, 0x800
	v_mov_b32_e32 v5, v10
	v_lshl_add_u32 v14, v1, 6, v6
	v_add_u32_e32 v6, s6, v7
	s_waitcnt lgkmcnt(0)
	v_mad_i64_i32 v[2:3], s[18:19], s18, v2, v[9:10]
	v_mad_i64_i32 v[4:5], s[18:19], s20, v6, v[4:5]
	s_mul_i32 s13, s13, s8
	s_mul_hi_u32 s21, s12, s8
	s_add_i32 s13, s21, s13
	s_mul_i32 s12, s12, s8
	s_lshl_b64 s[12:13], s[12:13], 3
	v_lshlrev_b64 v[4:5], 3, v[4:5]
	s_add_u32 s12, s16, s12
	s_addc_u32 s13, s17, s13
	v_add_co_u32_e32 v4, vcc, s12, v4
	s_mul_i32 s1, s1, s8
	s_mul_hi_u32 s12, s0, s8
	v_mov_b32_e32 v6, s13
	s_add_i32 s1, s12, s1
	s_mul_i32 s0, s0, s8
	v_addc_co_u32_e32 v5, vcc, v6, v5, vcc
	s_lshl_b64 s[0:1], s[0:1], 3
	v_add_co_u32_e32 v6, vcc, 4, v4
	v_lshlrev_b64 v[2:3], 3, v[2:3]
	s_add_u32 s0, s14, s0
	v_addc_co_u32_e32 v7, vcc, 0, v5, vcc
	s_addc_u32 s1, s15, s1
	v_mov_b32_e32 v4, s1
	v_add_co_u32_e32 v2, vcc, s0, v2
	v_addc_co_u32_e32 v3, vcc, v4, v3, vcc
	v_add_co_u32_e32 v8, vcc, 4, v2
	v_lshlrev_b32_e32 v13, 3, v0
	v_addc_co_u32_e32 v9, vcc, 0, v3, vcc
	v_mov_b32_e32 v15, v10
	v_mov_b32_e32 v16, v10
	v_mov_b32_e32 v17, v10
	v_mov_b32_e32 v18, v10
	v_mov_b32_e32 v19, v10
	v_mov_b32_e32 v21, v10
	v_mov_b32_e32 v20, v10
.LBB332_2:                              ; =>This Inner Loop Header: Depth=1
	global_load_dwordx2 v[2:3], v[6:7], off offset:-4
	v_add_co_u32_e32 v6, vcc, 64, v6
	v_addc_co_u32_e32 v7, vcc, 0, v7, vcc
	s_add_i32 s9, s9, 8
	s_cmp_ge_i32 s9, s11
	s_waitcnt vmcnt(0)
	v_xor_b32_e32 v3, 0x80000000, v3
	ds_write_b64 v11, v[2:3]
	global_load_dwordx2 v[2:3], v[8:9], off offset:-4
	v_add_co_u32_e32 v8, vcc, 64, v8
	v_addc_co_u32_e32 v9, vcc, 0, v9, vcc
	s_waitcnt vmcnt(0)
	ds_write_b64 v12, v[2:3]
	s_waitcnt lgkmcnt(0)
	s_barrier
	ds_read_b128 v[22:25], v14
	ds_read_b128 v[26:29], v14 offset:16
	ds_read_b128 v[30:33], v14 offset:32
	;; [unrolled: 1-line block ×3, first 2 shown]
	ds_read2_b64 v[34:37], v13 offset1:16
	s_waitcnt lgkmcnt(0)
	v_mul_f32_e32 v38, v23, v35
	v_mul_f32_e32 v39, v22, v35
	v_fma_f32 v38, v22, v34, -v38
	v_fmac_f32_e32 v39, v23, v34
	v_add_f32_e32 v38, v20, v38
	v_add_f32_e32 v39, v21, v39
	v_mul_f32_e32 v20, v23, v37
	v_mul_f32_e32 v21, v22, v37
	v_fma_f32 v20, v22, v36, -v20
	v_fmac_f32_e32 v21, v23, v36
	v_add_f32_e32 v22, v19, v20
	v_add_f32_e32 v23, v18, v21
	ds_read_b128 v[18:21], v14 offset:1024
	s_waitcnt lgkmcnt(0)
	v_mul_f32_e32 v40, v19, v35
	v_mul_f32_e32 v35, v18, v35
	v_fma_f32 v40, v18, v34, -v40
	v_fmac_f32_e32 v35, v19, v34
	v_add_f32_e32 v34, v17, v40
	v_add_f32_e32 v35, v16, v35
	v_mul_f32_e32 v16, v19, v37
	v_mul_f32_e32 v17, v18, v37
	v_fma_f32 v16, v18, v36, -v16
	v_fmac_f32_e32 v17, v19, v36
	v_add_f32_e32 v19, v15, v16
	v_add_f32_e32 v10, v10, v17
	ds_read2_b64 v[15:18], v13 offset0:32 offset1:48
	s_waitcnt lgkmcnt(0)
	v_mul_f32_e32 v36, v25, v16
	v_fma_f32 v36, v24, v15, -v36
	v_add_f32_e32 v36, v38, v36
	v_mul_f32_e32 v38, v25, v18
	v_mul_f32_e32 v37, v24, v16
	v_fma_f32 v38, v24, v17, -v38
	v_mul_f32_e32 v24, v24, v18
	v_fmac_f32_e32 v24, v25, v17
	v_add_f32_e32 v23, v23, v24
	v_mul_f32_e32 v24, v21, v16
	v_mul_f32_e32 v16, v20, v16
	v_fmac_f32_e32 v16, v21, v15
	v_fmac_f32_e32 v37, v25, v15
	v_fma_f32 v24, v20, v15, -v24
	v_add_f32_e32 v25, v35, v16
	v_mul_f32_e32 v15, v21, v18
	v_mul_f32_e32 v16, v20, v18
	v_fma_f32 v15, v20, v17, -v15
	v_fmac_f32_e32 v16, v21, v17
	v_add_f32_e32 v24, v34, v24
	v_add_f32_e32 v34, v19, v15
	;; [unrolled: 1-line block ×3, first 2 shown]
	ds_read2_b64 v[15:18], v13 offset0:64 offset1:80
	v_add_f32_e32 v37, v39, v37
	v_add_f32_e32 v22, v22, v38
	s_waitcnt lgkmcnt(0)
	v_mul_f32_e32 v19, v27, v16
	v_mul_f32_e32 v20, v26, v16
	v_fma_f32 v19, v26, v15, -v19
	v_fmac_f32_e32 v20, v27, v15
	v_add_f32_e32 v35, v36, v19
	v_add_f32_e32 v36, v37, v20
	v_mul_f32_e32 v19, v27, v18
	v_mul_f32_e32 v20, v26, v18
	v_fma_f32 v19, v26, v17, -v19
	v_fmac_f32_e32 v20, v27, v17
	v_add_f32_e32 v26, v22, v19
	v_add_f32_e32 v23, v23, v20
	ds_read_b128 v[19:22], v14 offset:1040
	s_waitcnt lgkmcnt(0)
	v_mul_f32_e32 v27, v20, v16
	v_mul_f32_e32 v16, v19, v16
	v_fmac_f32_e32 v16, v20, v15
	v_fma_f32 v27, v19, v15, -v27
	v_add_f32_e32 v25, v25, v16
	v_mul_f32_e32 v15, v20, v18
	v_mul_f32_e32 v16, v19, v18
	v_fma_f32 v15, v19, v17, -v15
	v_fmac_f32_e32 v16, v20, v17
	v_add_f32_e32 v19, v34, v15
	v_add_f32_e32 v10, v10, v16
	ds_read2_b64 v[15:18], v13 offset0:96 offset1:112
	v_add_f32_e32 v24, v24, v27
	s_waitcnt lgkmcnt(0)
	v_mul_f32_e32 v20, v29, v16
	v_mul_f32_e32 v34, v29, v18
	v_fma_f32 v20, v28, v15, -v20
	v_mul_f32_e32 v27, v28, v16
	v_fma_f32 v34, v28, v17, -v34
	v_mul_f32_e32 v28, v28, v18
	v_fmac_f32_e32 v28, v29, v17
	v_add_f32_e32 v23, v23, v28
	v_mul_f32_e32 v28, v22, v16
	v_mul_f32_e32 v16, v21, v16
	v_fmac_f32_e32 v16, v22, v15
	v_fmac_f32_e32 v27, v29, v15
	v_fma_f32 v28, v21, v15, -v28
	v_add_f32_e32 v25, v25, v16
	v_mul_f32_e32 v15, v22, v18
	v_mul_f32_e32 v16, v21, v18
	v_fma_f32 v15, v21, v17, -v15
	v_fmac_f32_e32 v16, v22, v17
	v_add_f32_e32 v24, v24, v28
	v_add_f32_e32 v28, v19, v15
	;; [unrolled: 1-line block ×3, first 2 shown]
	ds_read2_b64 v[15:18], v13 offset0:128 offset1:144
	v_add_f32_e32 v20, v35, v20
	v_add_f32_e32 v27, v36, v27
	;; [unrolled: 1-line block ×3, first 2 shown]
	s_waitcnt lgkmcnt(0)
	v_mul_f32_e32 v19, v31, v16
	v_fma_f32 v19, v30, v15, -v19
	v_mul_f32_e32 v21, v30, v16
	v_add_f32_e32 v29, v20, v19
	v_mul_f32_e32 v19, v31, v18
	v_mul_f32_e32 v20, v30, v18
	v_fmac_f32_e32 v21, v31, v15
	v_fma_f32 v19, v30, v17, -v19
	v_fmac_f32_e32 v20, v31, v17
	v_add_f32_e32 v27, v27, v21
	v_add_f32_e32 v26, v26, v19
	;; [unrolled: 1-line block ×3, first 2 shown]
	ds_read_b128 v[19:22], v14 offset:1056
	s_waitcnt lgkmcnt(0)
	v_mul_f32_e32 v30, v20, v16
	v_mul_f32_e32 v16, v19, v16
	v_fmac_f32_e32 v16, v20, v15
	v_fma_f32 v30, v19, v15, -v30
	v_add_f32_e32 v25, v25, v16
	v_mul_f32_e32 v15, v20, v18
	v_mul_f32_e32 v16, v19, v18
	v_fma_f32 v15, v19, v17, -v15
	v_fmac_f32_e32 v16, v20, v17
	v_add_f32_e32 v19, v28, v15
	v_add_f32_e32 v10, v10, v16
	ds_read2_b64 v[15:18], v13 offset0:160 offset1:176
	v_add_f32_e32 v24, v24, v30
	s_waitcnt lgkmcnt(0)
	v_mul_f32_e32 v28, v32, v16
	v_fmac_f32_e32 v28, v33, v15
	v_add_f32_e32 v27, v27, v28
	v_mul_f32_e32 v28, v33, v18
	v_fma_f32 v28, v32, v17, -v28
	v_mul_f32_e32 v20, v33, v16
	v_add_f32_e32 v26, v26, v28
	v_mul_f32_e32 v28, v22, v16
	v_mul_f32_e32 v16, v21, v16
	v_fmac_f32_e32 v16, v22, v15
	v_fma_f32 v20, v32, v15, -v20
	v_fma_f32 v28, v21, v15, -v28
	v_add_f32_e32 v25, v25, v16
	v_mul_f32_e32 v15, v22, v18
	v_mul_f32_e32 v16, v21, v18
	v_add_f32_e32 v20, v29, v20
	v_mul_f32_e32 v29, v32, v18
	v_fma_f32 v15, v21, v17, -v15
	v_fmac_f32_e32 v16, v22, v17
	v_fmac_f32_e32 v29, v33, v17
	v_add_f32_e32 v19, v19, v15
	v_add_f32_e32 v10, v10, v16
	ds_read2_b64 v[15:18], v13 offset0:192 offset1:208
	v_add_f32_e32 v24, v24, v28
	v_add_f32_e32 v23, v23, v29
	s_waitcnt lgkmcnt(0)
	v_mul_f32_e32 v21, v3, v16
	v_fma_f32 v21, v2, v15, -v21
	v_add_f32_e32 v28, v20, v21
	v_mul_f32_e32 v20, v3, v18
	v_mul_f32_e32 v22, v2, v16
	v_fma_f32 v20, v2, v17, -v20
	v_mul_f32_e32 v2, v2, v18
	v_fmac_f32_e32 v22, v3, v15
	v_fmac_f32_e32 v2, v3, v17
	v_add_f32_e32 v29, v27, v22
	v_add_f32_e32 v3, v26, v20
	;; [unrolled: 1-line block ×3, first 2 shown]
	ds_read_b128 v[20:23], v14 offset:1072
	s_waitcnt lgkmcnt(0)
	v_mul_f32_e32 v26, v21, v16
	v_fma_f32 v26, v20, v15, -v26
	v_mul_f32_e32 v16, v20, v16
	v_fmac_f32_e32 v16, v21, v15
	v_add_f32_e32 v15, v24, v26
	v_mul_f32_e32 v24, v21, v18
	v_fma_f32 v24, v20, v17, -v24
	v_add_f32_e32 v16, v25, v16
	v_add_f32_e32 v30, v19, v24
	ds_read2_b64 v[24:27], v13 offset0:224 offset1:240
	v_mul_f32_e32 v18, v20, v18
	v_fmac_f32_e32 v18, v21, v17
	v_add_f32_e32 v10, v10, v18
	s_waitcnt lgkmcnt(0)
	v_mul_f32_e32 v17, v5, v25
	v_fma_f32 v17, v4, v24, -v17
	v_add_f32_e32 v20, v28, v17
	v_mul_f32_e32 v17, v5, v27
	v_mul_f32_e32 v18, v4, v25
	v_fma_f32 v17, v4, v26, -v17
	v_mul_f32_e32 v4, v4, v27
	v_fmac_f32_e32 v18, v5, v24
	v_fmac_f32_e32 v4, v5, v26
	v_add_f32_e32 v21, v29, v18
	v_add_f32_e32 v19, v3, v17
	;; [unrolled: 1-line block ×3, first 2 shown]
	v_mul_f32_e32 v2, v23, v25
	v_mul_f32_e32 v3, v22, v25
	v_fma_f32 v2, v22, v24, -v2
	v_fmac_f32_e32 v3, v23, v24
	v_add_f32_e32 v17, v15, v2
	v_add_f32_e32 v16, v16, v3
	v_mul_f32_e32 v2, v23, v27
	v_mul_f32_e32 v3, v22, v27
	v_fma_f32 v2, v22, v26, -v2
	v_fmac_f32_e32 v3, v23, v26
	v_add_f32_e32 v15, v30, v2
	v_add_f32_e32 v10, v10, v3
	s_barrier
	s_cbranch_scc0 .LBB332_2
	s_branch .LBB332_4
.LBB332_3:
	v_mov_b32_e32 v20, 0
	v_mov_b32_e32 v21, 0
	;; [unrolled: 1-line block ×8, first 2 shown]
.LBB332_4:
	s_load_dwordx2 s[0:1], s[4:5], 0x48
	s_load_dword s9, s[4:5], 0x40
	v_add_u32_e32 v5, s7, v1
	v_add_u32_e32 v0, s6, v0
	v_cmp_gt_i32_e32 vcc, s10, v5
	s_waitcnt lgkmcnt(0)
	s_mul_i32 s1, s1, s8
	v_mad_i64_i32 v[1:2], s[12:13], v5, s9, 0
	s_mul_hi_u32 s4, s0, s8
	s_mul_i32 s0, s0, s8
	s_add_i32 s1, s4, s1
	s_lshl_b64 s[0:1], s[0:1], 3
	s_add_u32 s4, s2, s0
	v_lshlrev_b64 v[1:2], 3, v[1:2]
	s_addc_u32 s5, s3, s1
	v_mov_b32_e32 v3, s5
	v_add_co_u32_e64 v4, s[0:1], s4, v1
	v_addc_co_u32_e64 v6, s[0:1], v3, v2, s[0:1]
	v_cmp_le_i32_e64 s[0:1], v0, v5
	s_and_b64 s[0:1], vcc, s[0:1]
	s_and_saveexec_b64 s[2:3], s[0:1]
	s_cbranch_execz .LBB332_7
; %bb.5:
	v_ashrrev_i32_e32 v1, 31, v0
	v_lshlrev_b64 v[1:2], 3, v[0:1]
	v_xor_b32_e32 v7, 0x80000000, v20
	v_add_co_u32_e64 v1, s[0:1], v4, v1
	v_addc_co_u32_e64 v2, s[0:1], v6, v2, s[0:1]
	v_xor_b32_e32 v8, 0x80000000, v21
	v_cmp_eq_u32_e64 s[0:1], v5, v0
	global_store_dwordx2 v[1:2], v[7:8], off
	s_and_b64 exec, exec, s[0:1]
	s_cbranch_execz .LBB332_7
; %bb.6:
	v_mov_b32_e32 v3, 0
	global_store_dword v[1:2], v3, off offset:4
.LBB332_7:
	s_or_b64 exec, exec, s[2:3]
	v_add_u32_e32 v2, 16, v0
	v_cmp_le_i32_e64 s[0:1], v2, v5
	s_and_b64 s[2:3], vcc, s[0:1]
	s_and_saveexec_b64 s[0:1], s[2:3]
	s_cbranch_execz .LBB332_10
; %bb.8:
	v_ashrrev_i32_e32 v3, 31, v2
	v_lshlrev_b64 v[11:12], 3, v[2:3]
	v_xor_b32_e32 v7, 0x80000000, v19
	v_add_co_u32_e32 v3, vcc, v4, v11
	v_addc_co_u32_e32 v4, vcc, v6, v12, vcc
	v_xor_b32_e32 v8, 0x80000000, v18
	v_cmp_eq_u32_e32 vcc, v5, v2
	global_store_dwordx2 v[3:4], v[7:8], off
	s_and_b64 exec, exec, vcc
	s_cbranch_execz .LBB332_10
; %bb.9:
	v_mov_b32_e32 v1, 0
	global_store_dword v[3:4], v1, off offset:4
.LBB332_10:
	s_or_b64 exec, exec, s[0:1]
	v_add_u32_e32 v8, 16, v5
	v_mad_i64_i32 v[3:4], s[0:1], v8, s9, 0
	v_mov_b32_e32 v1, s5
	v_cmp_gt_i32_e32 vcc, s10, v8
	v_lshlrev_b64 v[3:4], 3, v[3:4]
	v_add_co_u32_e64 v6, s[0:1], s4, v3
	v_addc_co_u32_e64 v7, s[0:1], v1, v4, s[0:1]
	v_cmp_le_i32_e64 s[0:1], v0, v8
	s_and_b64 s[0:1], vcc, s[0:1]
	s_and_saveexec_b64 s[2:3], s[0:1]
	s_cbranch_execz .LBB332_13
; %bb.11:
	v_ashrrev_i32_e32 v1, 31, v0
	v_lshlrev_b64 v[3:4], 3, v[0:1]
	v_xor_b32_e32 v11, 0x80000000, v17
	v_add_co_u32_e64 v3, s[0:1], v6, v3
	v_addc_co_u32_e64 v4, s[0:1], v7, v4, s[0:1]
	v_xor_b32_e32 v12, 0x80000000, v16
	v_cmp_eq_u32_e64 s[0:1], v8, v0
	global_store_dwordx2 v[3:4], v[11:12], off
	s_and_b64 exec, exec, s[0:1]
	s_cbranch_execz .LBB332_13
; %bb.12:
	v_mov_b32_e32 v1, 0
	global_store_dword v[3:4], v1, off offset:4
.LBB332_13:
	s_or_b64 exec, exec, s[2:3]
	v_cmp_le_i32_e64 s[0:1], v2, v8
	s_and_b64 s[0:1], vcc, s[0:1]
	s_and_saveexec_b64 s[2:3], s[0:1]
	s_cbranch_execz .LBB332_16
; %bb.14:
	v_ashrrev_i32_e32 v3, 31, v2
	v_lshlrev_b64 v[1:2], 3, v[2:3]
	v_xor_b32_e32 v8, 0x80000000, v15
	v_add_co_u32_e32 v1, vcc, v6, v1
	v_addc_co_u32_e32 v2, vcc, v7, v2, vcc
	v_xor_b32_e32 v9, 0x80000000, v10
	v_cmp_eq_u32_e32 vcc, v5, v0
	global_store_dwordx2 v[1:2], v[8:9], off
	s_and_b64 exec, exec, vcc
	s_cbranch_execz .LBB332_16
; %bb.15:
	v_mov_b32_e32 v0, 0
	global_store_dword v[1:2], v0, off offset:4
.LBB332_16:
	s_endpgm
	.section	.rodata,"a",@progbits
	.p2align	6, 0x0
	.amdhsa_kernel _ZL37rocblas_syrkx_herkx_restricted_kernelIi19rocblas_complex_numIfELi16ELi32ELi8ELin1ELi0ELb1ELc67ELc85EKS1_S1_EviT_PT9_S3_lS5_S3_lPT10_S3_li
		.amdhsa_group_segment_fixed_size 4096
		.amdhsa_private_segment_fixed_size 0
		.amdhsa_kernarg_size 84
		.amdhsa_user_sgpr_count 6
		.amdhsa_user_sgpr_private_segment_buffer 1
		.amdhsa_user_sgpr_dispatch_ptr 0
		.amdhsa_user_sgpr_queue_ptr 0
		.amdhsa_user_sgpr_kernarg_segment_ptr 1
		.amdhsa_user_sgpr_dispatch_id 0
		.amdhsa_user_sgpr_flat_scratch_init 0
		.amdhsa_user_sgpr_private_segment_size 0
		.amdhsa_uses_dynamic_stack 0
		.amdhsa_system_sgpr_private_segment_wavefront_offset 0
		.amdhsa_system_sgpr_workgroup_id_x 1
		.amdhsa_system_sgpr_workgroup_id_y 1
		.amdhsa_system_sgpr_workgroup_id_z 1
		.amdhsa_system_sgpr_workgroup_info 0
		.amdhsa_system_vgpr_workitem_id 1
		.amdhsa_next_free_vgpr 41
		.amdhsa_next_free_sgpr 22
		.amdhsa_reserve_vcc 1
		.amdhsa_reserve_flat_scratch 0
		.amdhsa_float_round_mode_32 0
		.amdhsa_float_round_mode_16_64 0
		.amdhsa_float_denorm_mode_32 3
		.amdhsa_float_denorm_mode_16_64 3
		.amdhsa_dx10_clamp 1
		.amdhsa_ieee_mode 1
		.amdhsa_fp16_overflow 0
		.amdhsa_exception_fp_ieee_invalid_op 0
		.amdhsa_exception_fp_denorm_src 0
		.amdhsa_exception_fp_ieee_div_zero 0
		.amdhsa_exception_fp_ieee_overflow 0
		.amdhsa_exception_fp_ieee_underflow 0
		.amdhsa_exception_fp_ieee_inexact 0
		.amdhsa_exception_int_div_zero 0
	.end_amdhsa_kernel
	.section	.text._ZL37rocblas_syrkx_herkx_restricted_kernelIi19rocblas_complex_numIfELi16ELi32ELi8ELin1ELi0ELb1ELc67ELc85EKS1_S1_EviT_PT9_S3_lS5_S3_lPT10_S3_li,"axG",@progbits,_ZL37rocblas_syrkx_herkx_restricted_kernelIi19rocblas_complex_numIfELi16ELi32ELi8ELin1ELi0ELb1ELc67ELc85EKS1_S1_EviT_PT9_S3_lS5_S3_lPT10_S3_li,comdat
.Lfunc_end332:
	.size	_ZL37rocblas_syrkx_herkx_restricted_kernelIi19rocblas_complex_numIfELi16ELi32ELi8ELin1ELi0ELb1ELc67ELc85EKS1_S1_EviT_PT9_S3_lS5_S3_lPT10_S3_li, .Lfunc_end332-_ZL37rocblas_syrkx_herkx_restricted_kernelIi19rocblas_complex_numIfELi16ELi32ELi8ELin1ELi0ELb1ELc67ELc85EKS1_S1_EviT_PT9_S3_lS5_S3_lPT10_S3_li
                                        ; -- End function
	.set _ZL37rocblas_syrkx_herkx_restricted_kernelIi19rocblas_complex_numIfELi16ELi32ELi8ELin1ELi0ELb1ELc67ELc85EKS1_S1_EviT_PT9_S3_lS5_S3_lPT10_S3_li.num_vgpr, 41
	.set _ZL37rocblas_syrkx_herkx_restricted_kernelIi19rocblas_complex_numIfELi16ELi32ELi8ELin1ELi0ELb1ELc67ELc85EKS1_S1_EviT_PT9_S3_lS5_S3_lPT10_S3_li.num_agpr, 0
	.set _ZL37rocblas_syrkx_herkx_restricted_kernelIi19rocblas_complex_numIfELi16ELi32ELi8ELin1ELi0ELb1ELc67ELc85EKS1_S1_EviT_PT9_S3_lS5_S3_lPT10_S3_li.numbered_sgpr, 22
	.set _ZL37rocblas_syrkx_herkx_restricted_kernelIi19rocblas_complex_numIfELi16ELi32ELi8ELin1ELi0ELb1ELc67ELc85EKS1_S1_EviT_PT9_S3_lS5_S3_lPT10_S3_li.num_named_barrier, 0
	.set _ZL37rocblas_syrkx_herkx_restricted_kernelIi19rocblas_complex_numIfELi16ELi32ELi8ELin1ELi0ELb1ELc67ELc85EKS1_S1_EviT_PT9_S3_lS5_S3_lPT10_S3_li.private_seg_size, 0
	.set _ZL37rocblas_syrkx_herkx_restricted_kernelIi19rocblas_complex_numIfELi16ELi32ELi8ELin1ELi0ELb1ELc67ELc85EKS1_S1_EviT_PT9_S3_lS5_S3_lPT10_S3_li.uses_vcc, 1
	.set _ZL37rocblas_syrkx_herkx_restricted_kernelIi19rocblas_complex_numIfELi16ELi32ELi8ELin1ELi0ELb1ELc67ELc85EKS1_S1_EviT_PT9_S3_lS5_S3_lPT10_S3_li.uses_flat_scratch, 0
	.set _ZL37rocblas_syrkx_herkx_restricted_kernelIi19rocblas_complex_numIfELi16ELi32ELi8ELin1ELi0ELb1ELc67ELc85EKS1_S1_EviT_PT9_S3_lS5_S3_lPT10_S3_li.has_dyn_sized_stack, 0
	.set _ZL37rocblas_syrkx_herkx_restricted_kernelIi19rocblas_complex_numIfELi16ELi32ELi8ELin1ELi0ELb1ELc67ELc85EKS1_S1_EviT_PT9_S3_lS5_S3_lPT10_S3_li.has_recursion, 0
	.set _ZL37rocblas_syrkx_herkx_restricted_kernelIi19rocblas_complex_numIfELi16ELi32ELi8ELin1ELi0ELb1ELc67ELc85EKS1_S1_EviT_PT9_S3_lS5_S3_lPT10_S3_li.has_indirect_call, 0
	.section	.AMDGPU.csdata,"",@progbits
; Kernel info:
; codeLenInByte = 2056
; TotalNumSgprs: 26
; NumVgprs: 41
; ScratchSize: 0
; MemoryBound: 0
; FloatMode: 240
; IeeeMode: 1
; LDSByteSize: 4096 bytes/workgroup (compile time only)
; SGPRBlocks: 3
; VGPRBlocks: 10
; NumSGPRsForWavesPerEU: 26
; NumVGPRsForWavesPerEU: 41
; Occupancy: 5
; WaveLimiterHint : 0
; COMPUTE_PGM_RSRC2:SCRATCH_EN: 0
; COMPUTE_PGM_RSRC2:USER_SGPR: 6
; COMPUTE_PGM_RSRC2:TRAP_HANDLER: 0
; COMPUTE_PGM_RSRC2:TGID_X_EN: 1
; COMPUTE_PGM_RSRC2:TGID_Y_EN: 1
; COMPUTE_PGM_RSRC2:TGID_Z_EN: 1
; COMPUTE_PGM_RSRC2:TIDIG_COMP_CNT: 1
	.section	.text._ZL37rocblas_syrkx_herkx_restricted_kernelIi19rocblas_complex_numIfELi16ELi32ELi8ELin1ELi0ELb1ELc78ELc85EKS1_S1_EviT_PT9_S3_lS5_S3_lPT10_S3_li,"axG",@progbits,_ZL37rocblas_syrkx_herkx_restricted_kernelIi19rocblas_complex_numIfELi16ELi32ELi8ELin1ELi0ELb1ELc78ELc85EKS1_S1_EviT_PT9_S3_lS5_S3_lPT10_S3_li,comdat
	.globl	_ZL37rocblas_syrkx_herkx_restricted_kernelIi19rocblas_complex_numIfELi16ELi32ELi8ELin1ELi0ELb1ELc78ELc85EKS1_S1_EviT_PT9_S3_lS5_S3_lPT10_S3_li ; -- Begin function _ZL37rocblas_syrkx_herkx_restricted_kernelIi19rocblas_complex_numIfELi16ELi32ELi8ELin1ELi0ELb1ELc78ELc85EKS1_S1_EviT_PT9_S3_lS5_S3_lPT10_S3_li
	.p2align	8
	.type	_ZL37rocblas_syrkx_herkx_restricted_kernelIi19rocblas_complex_numIfELi16ELi32ELi8ELin1ELi0ELb1ELc78ELc85EKS1_S1_EviT_PT9_S3_lS5_S3_lPT10_S3_li,@function
_ZL37rocblas_syrkx_herkx_restricted_kernelIi19rocblas_complex_numIfELi16ELi32ELi8ELin1ELi0ELb1ELc78ELc85EKS1_S1_EviT_PT9_S3_lS5_S3_lPT10_S3_li: ; @_ZL37rocblas_syrkx_herkx_restricted_kernelIi19rocblas_complex_numIfELi16ELi32ELi8ELin1ELi0ELb1ELc78ELc85EKS1_S1_EviT_PT9_S3_lS5_S3_lPT10_S3_li
; %bb.0:
	s_load_dwordx2 s[10:11], s[4:5], 0x0
	s_load_dwordx4 s[0:3], s[4:5], 0x30
	s_lshl_b32 s9, s6, 5
	s_lshl_b32 s16, s7, 5
	s_mov_b32 s17, 0
	s_waitcnt lgkmcnt(0)
	s_cmp_lt_i32 s11, 1
	s_cbranch_scc1 .LBB333_3
; %bb.1:
	v_lshl_add_u32 v5, v1, 4, v0
	s_load_dword s6, s[4:5], 0x10
	s_load_dword s18, s[4:5], 0x28
	s_load_dwordx2 s[20:21], s[4:5], 0x8
	s_load_dwordx4 s[12:15], s[4:5], 0x18
	v_lshrrev_b32_e32 v6, 3, v5
	v_add_u32_e32 v2, s16, v6
	v_and_b32_e32 v4, 7, v0
	v_ashrrev_i32_e32 v3, 31, v2
	s_waitcnt lgkmcnt(0)
	v_mad_i64_i32 v[2:3], s[22:23], s18, v4, v[2:3]
	v_lshlrev_b32_e32 v4, 3, v4
	v_lshl_or_b32 v4, v6, 6, v4
	v_lshrrev_b32_e32 v7, 5, v5
	v_and_b32_e32 v5, 31, v5
	v_add_u32_e32 v11, 0x800, v4
	v_mov_b32_e32 v4, 0x800
	v_lshl_add_u32 v13, v1, 6, v4
	v_add_u32_e32 v4, s9, v5
	v_lshlrev_b32_e32 v8, 3, v5
	v_ashrrev_i32_e32 v5, 31, v4
	v_mad_i64_i32 v[4:5], s[22:23], s6, v7, v[4:5]
	s_mul_i32 s13, s13, s8
	s_mul_hi_u32 s24, s12, s8
	s_add_i32 s13, s24, s13
	s_mul_i32 s12, s12, s8
	s_ashr_i32 s7, s6, 31
	s_ashr_i32 s19, s18, 31
	s_lshl_b64 s[12:13], s[12:13], 3
	v_lshlrev_b64 v[4:5], 3, v[4:5]
	s_add_u32 s12, s20, s12
	s_addc_u32 s13, s21, s13
	v_add_co_u32_e32 v4, vcc, s12, v4
	s_mul_i32 s1, s1, s8
	s_mul_hi_u32 s12, s0, s8
	v_mov_b32_e32 v6, s13
	s_add_i32 s1, s12, s1
	s_mul_i32 s0, s0, s8
	v_addc_co_u32_e32 v5, vcc, v6, v5, vcc
	s_lshl_b64 s[6:7], s[6:7], 6
	s_lshl_b64 s[0:1], s[0:1], 3
	v_add_co_u32_e32 v6, vcc, 4, v4
	v_lshlrev_b64 v[2:3], 3, v[2:3]
	s_add_u32 s0, s14, s0
	v_lshl_or_b32 v10, v7, 8, v8
	v_addc_co_u32_e32 v7, vcc, 0, v5, vcc
	s_addc_u32 s1, s15, s1
	v_mov_b32_e32 v4, s1
	v_add_co_u32_e32 v2, vcc, s0, v2
	v_addc_co_u32_e32 v3, vcc, v4, v3, vcc
	v_add_co_u32_e32 v8, vcc, 4, v2
	s_lshl_b64 s[0:1], s[18:19], 6
	v_lshlrev_b32_e32 v12, 3, v0
	v_addc_co_u32_e32 v9, vcc, 0, v3, vcc
	v_mov_b32_e32 v16, 0
	v_mov_b32_e32 v14, s7
	;; [unrolled: 1-line block ×10, first 2 shown]
.LBB333_2:                              ; =>This Inner Loop Header: Depth=1
	global_load_dwordx2 v[2:3], v[6:7], off offset:-4
	v_add_co_u32_e32 v6, vcc, s6, v6
	v_addc_co_u32_e32 v7, vcc, v7, v14, vcc
	s_add_i32 s17, s17, 8
	s_cmp_ge_i32 s17, s11
	s_waitcnt vmcnt(0)
	ds_write_b64 v10, v[2:3]
	global_load_dwordx2 v[2:3], v[8:9], off offset:-4
	v_add_co_u32_e32 v8, vcc, s0, v8
	v_addc_co_u32_e32 v9, vcc, v9, v15, vcc
	s_waitcnt vmcnt(0)
	v_xor_b32_e32 v3, 0x80000000, v3
	ds_write_b64 v11, v[2:3]
	s_waitcnt lgkmcnt(0)
	s_barrier
	ds_read_b128 v[24:27], v13
	ds_read_b128 v[28:31], v13 offset:16
	ds_read_b128 v[32:35], v13 offset:32
	;; [unrolled: 1-line block ×3, first 2 shown]
	ds_read2_b64 v[36:39], v12 offset1:16
	s_waitcnt lgkmcnt(0)
	v_mul_f32_e32 v40, v25, v37
	v_mul_f32_e32 v41, v24, v37
	v_fma_f32 v40, v24, v36, -v40
	v_fmac_f32_e32 v41, v25, v36
	v_add_f32_e32 v40, v22, v40
	v_add_f32_e32 v41, v23, v41
	v_mul_f32_e32 v22, v25, v39
	v_mul_f32_e32 v23, v24, v39
	v_fma_f32 v22, v24, v38, -v22
	v_fmac_f32_e32 v23, v25, v38
	v_add_f32_e32 v24, v21, v22
	v_add_f32_e32 v25, v20, v23
	ds_read_b128 v[20:23], v13 offset:1024
	s_waitcnt lgkmcnt(0)
	v_mul_f32_e32 v42, v21, v37
	v_mul_f32_e32 v37, v20, v37
	v_fma_f32 v42, v20, v36, -v42
	v_fmac_f32_e32 v37, v21, v36
	v_add_f32_e32 v36, v19, v42
	v_add_f32_e32 v37, v18, v37
	v_mul_f32_e32 v18, v21, v39
	v_mul_f32_e32 v19, v20, v39
	v_fma_f32 v18, v20, v38, -v18
	v_fmac_f32_e32 v19, v21, v38
	v_add_f32_e32 v20, v17, v18
	v_add_f32_e32 v21, v16, v19
	ds_read2_b64 v[16:19], v12 offset0:32 offset1:48
	s_waitcnt lgkmcnt(0)
	v_mul_f32_e32 v38, v27, v17
	v_fma_f32 v38, v26, v16, -v38
	v_add_f32_e32 v38, v40, v38
	v_mul_f32_e32 v40, v27, v19
	v_mul_f32_e32 v39, v26, v17
	v_fma_f32 v40, v26, v18, -v40
	v_mul_f32_e32 v26, v26, v19
	v_fmac_f32_e32 v26, v27, v18
	v_add_f32_e32 v25, v25, v26
	v_mul_f32_e32 v26, v23, v17
	v_mul_f32_e32 v17, v22, v17
	v_fmac_f32_e32 v17, v23, v16
	v_fmac_f32_e32 v39, v27, v16
	v_fma_f32 v26, v22, v16, -v26
	v_add_f32_e32 v27, v37, v17
	v_mul_f32_e32 v16, v23, v19
	v_mul_f32_e32 v17, v22, v19
	v_fma_f32 v16, v22, v18, -v16
	v_fmac_f32_e32 v17, v23, v18
	v_add_f32_e32 v26, v36, v26
	v_add_f32_e32 v36, v20, v16
	;; [unrolled: 1-line block ×3, first 2 shown]
	ds_read2_b64 v[16:19], v12 offset0:64 offset1:80
	v_add_f32_e32 v39, v41, v39
	v_add_f32_e32 v24, v24, v40
	s_waitcnt lgkmcnt(0)
	v_mul_f32_e32 v20, v29, v17
	v_mul_f32_e32 v21, v28, v17
	v_fma_f32 v20, v28, v16, -v20
	v_fmac_f32_e32 v21, v29, v16
	v_add_f32_e32 v38, v38, v20
	v_add_f32_e32 v39, v39, v21
	v_mul_f32_e32 v20, v29, v19
	v_mul_f32_e32 v21, v28, v19
	v_fma_f32 v20, v28, v18, -v20
	v_fmac_f32_e32 v21, v29, v18
	v_add_f32_e32 v24, v24, v20
	v_add_f32_e32 v25, v25, v21
	ds_read_b128 v[20:23], v13 offset:1040
	s_waitcnt lgkmcnt(0)
	v_mul_f32_e32 v28, v21, v17
	v_mul_f32_e32 v17, v20, v17
	v_fmac_f32_e32 v17, v21, v16
	v_fma_f32 v28, v20, v16, -v28
	v_add_f32_e32 v27, v27, v17
	v_mul_f32_e32 v16, v21, v19
	v_mul_f32_e32 v17, v20, v19
	v_fma_f32 v16, v20, v18, -v16
	v_fmac_f32_e32 v17, v21, v18
	v_add_f32_e32 v20, v36, v16
	v_add_f32_e32 v21, v37, v17
	ds_read2_b64 v[16:19], v12 offset0:96 offset1:112
	v_add_f32_e32 v26, v26, v28
	s_waitcnt lgkmcnt(0)
	v_mul_f32_e32 v28, v31, v17
	v_mul_f32_e32 v36, v31, v19
	v_fma_f32 v28, v30, v16, -v28
	v_mul_f32_e32 v29, v30, v17
	v_fma_f32 v36, v30, v18, -v36
	v_mul_f32_e32 v30, v30, v19
	v_fmac_f32_e32 v30, v31, v18
	v_add_f32_e32 v25, v25, v30
	v_mul_f32_e32 v30, v23, v17
	v_mul_f32_e32 v17, v22, v17
	v_fmac_f32_e32 v17, v23, v16
	v_fmac_f32_e32 v29, v31, v16
	v_fma_f32 v30, v22, v16, -v30
	v_add_f32_e32 v27, v27, v17
	v_mul_f32_e32 v16, v23, v19
	v_mul_f32_e32 v17, v22, v19
	v_fma_f32 v16, v22, v18, -v16
	v_fmac_f32_e32 v17, v23, v18
	v_add_f32_e32 v26, v26, v30
	v_add_f32_e32 v30, v20, v16
	;; [unrolled: 1-line block ×3, first 2 shown]
	ds_read2_b64 v[16:19], v12 offset0:128 offset1:144
	v_add_f32_e32 v28, v38, v28
	v_add_f32_e32 v29, v39, v29
	;; [unrolled: 1-line block ×3, first 2 shown]
	s_waitcnt lgkmcnt(0)
	v_mul_f32_e32 v20, v33, v17
	v_mul_f32_e32 v21, v32, v17
	v_fma_f32 v20, v32, v16, -v20
	v_fmac_f32_e32 v21, v33, v16
	v_add_f32_e32 v28, v28, v20
	v_add_f32_e32 v29, v29, v21
	v_mul_f32_e32 v20, v33, v19
	v_mul_f32_e32 v21, v32, v19
	v_fma_f32 v20, v32, v18, -v20
	v_fmac_f32_e32 v21, v33, v18
	v_add_f32_e32 v24, v24, v20
	v_add_f32_e32 v25, v25, v21
	ds_read_b128 v[20:23], v13 offset:1056
	s_waitcnt lgkmcnt(0)
	v_mul_f32_e32 v32, v21, v17
	v_mul_f32_e32 v17, v20, v17
	v_fmac_f32_e32 v17, v21, v16
	v_fma_f32 v32, v20, v16, -v32
	v_add_f32_e32 v27, v27, v17
	v_mul_f32_e32 v16, v21, v19
	v_mul_f32_e32 v17, v20, v19
	v_fma_f32 v16, v20, v18, -v16
	v_fmac_f32_e32 v17, v21, v18
	v_add_f32_e32 v20, v30, v16
	v_add_f32_e32 v21, v31, v17
	ds_read2_b64 v[16:19], v12 offset0:160 offset1:176
	v_add_f32_e32 v26, v26, v32
	s_waitcnt lgkmcnt(0)
	v_mul_f32_e32 v30, v35, v17
	v_fma_f32 v30, v34, v16, -v30
	v_add_f32_e32 v28, v28, v30
	v_mul_f32_e32 v30, v35, v19
	v_fma_f32 v30, v34, v18, -v30
	v_mul_f32_e32 v31, v34, v17
	v_add_f32_e32 v24, v24, v30
	v_mul_f32_e32 v30, v23, v17
	v_mul_f32_e32 v17, v22, v17
	v_fmac_f32_e32 v17, v23, v16
	v_fmac_f32_e32 v31, v35, v16
	v_fma_f32 v30, v22, v16, -v30
	v_add_f32_e32 v27, v27, v17
	v_mul_f32_e32 v16, v23, v19
	v_mul_f32_e32 v17, v22, v19
	v_add_f32_e32 v29, v29, v31
	v_mul_f32_e32 v31, v34, v19
	v_fma_f32 v16, v22, v18, -v16
	v_fmac_f32_e32 v17, v23, v18
	v_fmac_f32_e32 v31, v35, v18
	v_add_f32_e32 v20, v20, v16
	v_add_f32_e32 v21, v21, v17
	ds_read2_b64 v[16:19], v12 offset0:192 offset1:208
	v_add_f32_e32 v26, v26, v30
	v_add_f32_e32 v25, v25, v31
	s_waitcnt lgkmcnt(0)
	v_mul_f32_e32 v22, v3, v17
	v_fma_f32 v22, v2, v16, -v22
	v_add_f32_e32 v30, v28, v22
	v_mul_f32_e32 v22, v3, v19
	v_mul_f32_e32 v23, v2, v17
	v_fma_f32 v22, v2, v18, -v22
	v_mul_f32_e32 v2, v2, v19
	v_fmac_f32_e32 v23, v3, v16
	v_fmac_f32_e32 v2, v3, v18
	v_add_f32_e32 v31, v29, v23
	v_add_f32_e32 v3, v24, v22
	;; [unrolled: 1-line block ×3, first 2 shown]
	ds_read_b128 v[22:25], v13 offset:1072
	s_waitcnt lgkmcnt(0)
	v_mul_f32_e32 v28, v23, v17
	v_fma_f32 v28, v22, v16, -v28
	v_mul_f32_e32 v17, v22, v17
	v_fmac_f32_e32 v17, v23, v16
	v_add_f32_e32 v16, v26, v28
	v_mul_f32_e32 v26, v23, v19
	v_fma_f32 v26, v22, v18, -v26
	v_add_f32_e32 v17, v27, v17
	v_add_f32_e32 v32, v20, v26
	ds_read2_b64 v[26:29], v12 offset0:224 offset1:240
	v_mul_f32_e32 v19, v22, v19
	v_fmac_f32_e32 v19, v23, v18
	v_add_f32_e32 v33, v21, v19
	s_waitcnt lgkmcnt(0)
	v_mul_f32_e32 v18, v5, v27
	v_fma_f32 v18, v4, v26, -v18
	v_add_f32_e32 v22, v30, v18
	v_mul_f32_e32 v18, v5, v29
	v_mul_f32_e32 v19, v4, v27
	v_fma_f32 v18, v4, v28, -v18
	v_mul_f32_e32 v4, v4, v29
	v_fmac_f32_e32 v4, v5, v28
	v_add_f32_e32 v21, v3, v18
	v_add_f32_e32 v20, v2, v4
	v_mul_f32_e32 v2, v25, v27
	v_mul_f32_e32 v3, v24, v27
	v_fmac_f32_e32 v19, v5, v26
	v_fma_f32 v2, v24, v26, -v2
	v_fmac_f32_e32 v3, v25, v26
	v_add_f32_e32 v23, v31, v19
	v_add_f32_e32 v19, v16, v2
	;; [unrolled: 1-line block ×3, first 2 shown]
	v_mul_f32_e32 v2, v25, v29
	v_mul_f32_e32 v3, v24, v29
	v_fma_f32 v2, v24, v28, -v2
	v_fmac_f32_e32 v3, v25, v28
	v_add_f32_e32 v17, v32, v2
	v_add_f32_e32 v16, v33, v3
	s_barrier
	s_cbranch_scc0 .LBB333_2
	s_branch .LBB333_4
.LBB333_3:
	v_mov_b32_e32 v22, 0
	v_mov_b32_e32 v23, 0
	v_mov_b32_e32 v21, 0
	v_mov_b32_e32 v20, 0
	v_mov_b32_e32 v19, 0
	v_mov_b32_e32 v18, 0
	v_mov_b32_e32 v17, 0
	v_mov_b32_e32 v16, 0
.LBB333_4:
	s_load_dwordx2 s[0:1], s[4:5], 0x48
	s_load_dword s6, s[4:5], 0x40
	v_add_u32_e32 v5, s16, v1
	v_add_u32_e32 v0, s9, v0
	v_cmp_gt_i32_e32 vcc, s10, v5
	s_waitcnt lgkmcnt(0)
	s_mul_i32 s1, s1, s8
	v_mad_i64_i32 v[1:2], s[12:13], v5, s6, 0
	s_mul_hi_u32 s4, s0, s8
	s_mul_i32 s0, s0, s8
	s_add_i32 s1, s4, s1
	s_lshl_b64 s[0:1], s[0:1], 3
	s_add_u32 s4, s2, s0
	v_lshlrev_b64 v[1:2], 3, v[1:2]
	s_addc_u32 s5, s3, s1
	v_mov_b32_e32 v3, s5
	v_add_co_u32_e64 v4, s[0:1], s4, v1
	v_addc_co_u32_e64 v6, s[0:1], v3, v2, s[0:1]
	v_cmp_le_i32_e64 s[0:1], v0, v5
	s_and_b64 s[0:1], vcc, s[0:1]
	s_and_saveexec_b64 s[2:3], s[0:1]
	s_cbranch_execz .LBB333_7
; %bb.5:
	v_ashrrev_i32_e32 v1, 31, v0
	v_lshlrev_b64 v[1:2], 3, v[0:1]
	v_xor_b32_e32 v7, 0x80000000, v22
	v_add_co_u32_e64 v1, s[0:1], v4, v1
	v_addc_co_u32_e64 v2, s[0:1], v6, v2, s[0:1]
	v_xor_b32_e32 v8, 0x80000000, v23
	v_cmp_eq_u32_e64 s[0:1], v5, v0
	global_store_dwordx2 v[1:2], v[7:8], off
	s_and_b64 exec, exec, s[0:1]
	s_cbranch_execz .LBB333_7
; %bb.6:
	v_mov_b32_e32 v3, 0
	global_store_dword v[1:2], v3, off offset:4
.LBB333_7:
	s_or_b64 exec, exec, s[2:3]
	v_add_u32_e32 v2, 16, v0
	v_cmp_le_i32_e64 s[0:1], v2, v5
	s_and_b64 s[2:3], vcc, s[0:1]
	s_and_saveexec_b64 s[0:1], s[2:3]
	s_cbranch_execz .LBB333_10
; %bb.8:
	v_ashrrev_i32_e32 v3, 31, v2
	v_lshlrev_b64 v[9:10], 3, v[2:3]
	v_xor_b32_e32 v7, 0x80000000, v21
	v_add_co_u32_e32 v3, vcc, v4, v9
	v_addc_co_u32_e32 v4, vcc, v6, v10, vcc
	v_xor_b32_e32 v8, 0x80000000, v20
	v_cmp_eq_u32_e32 vcc, v5, v2
	global_store_dwordx2 v[3:4], v[7:8], off
	s_and_b64 exec, exec, vcc
	s_cbranch_execz .LBB333_10
; %bb.9:
	v_mov_b32_e32 v1, 0
	global_store_dword v[3:4], v1, off offset:4
.LBB333_10:
	s_or_b64 exec, exec, s[0:1]
	v_add_u32_e32 v8, 16, v5
	v_mad_i64_i32 v[3:4], s[0:1], v8, s6, 0
	v_mov_b32_e32 v1, s5
	v_cmp_gt_i32_e32 vcc, s10, v8
	v_lshlrev_b64 v[3:4], 3, v[3:4]
	v_add_co_u32_e64 v6, s[0:1], s4, v3
	v_addc_co_u32_e64 v7, s[0:1], v1, v4, s[0:1]
	v_cmp_le_i32_e64 s[0:1], v0, v8
	s_and_b64 s[0:1], vcc, s[0:1]
	s_and_saveexec_b64 s[2:3], s[0:1]
	s_cbranch_execz .LBB333_13
; %bb.11:
	v_ashrrev_i32_e32 v1, 31, v0
	v_lshlrev_b64 v[3:4], 3, v[0:1]
	v_xor_b32_e32 v9, 0x80000000, v19
	v_add_co_u32_e64 v3, s[0:1], v6, v3
	v_addc_co_u32_e64 v4, s[0:1], v7, v4, s[0:1]
	v_xor_b32_e32 v10, 0x80000000, v18
	v_cmp_eq_u32_e64 s[0:1], v8, v0
	global_store_dwordx2 v[3:4], v[9:10], off
	s_and_b64 exec, exec, s[0:1]
	s_cbranch_execz .LBB333_13
; %bb.12:
	v_mov_b32_e32 v1, 0
	global_store_dword v[3:4], v1, off offset:4
.LBB333_13:
	s_or_b64 exec, exec, s[2:3]
	v_cmp_le_i32_e64 s[0:1], v2, v8
	s_and_b64 s[0:1], vcc, s[0:1]
	s_and_saveexec_b64 s[2:3], s[0:1]
	s_cbranch_execz .LBB333_16
; %bb.14:
	v_ashrrev_i32_e32 v3, 31, v2
	v_lshlrev_b64 v[1:2], 3, v[2:3]
	v_xor_b32_e32 v8, 0x80000000, v17
	v_add_co_u32_e32 v1, vcc, v6, v1
	v_addc_co_u32_e32 v2, vcc, v7, v2, vcc
	v_xor_b32_e32 v9, 0x80000000, v16
	v_cmp_eq_u32_e32 vcc, v5, v0
	global_store_dwordx2 v[1:2], v[8:9], off
	s_and_b64 exec, exec, vcc
	s_cbranch_execz .LBB333_16
; %bb.15:
	v_mov_b32_e32 v0, 0
	global_store_dword v[1:2], v0, off offset:4
.LBB333_16:
	s_endpgm
	.section	.rodata,"a",@progbits
	.p2align	6, 0x0
	.amdhsa_kernel _ZL37rocblas_syrkx_herkx_restricted_kernelIi19rocblas_complex_numIfELi16ELi32ELi8ELin1ELi0ELb1ELc78ELc85EKS1_S1_EviT_PT9_S3_lS5_S3_lPT10_S3_li
		.amdhsa_group_segment_fixed_size 4096
		.amdhsa_private_segment_fixed_size 0
		.amdhsa_kernarg_size 84
		.amdhsa_user_sgpr_count 6
		.amdhsa_user_sgpr_private_segment_buffer 1
		.amdhsa_user_sgpr_dispatch_ptr 0
		.amdhsa_user_sgpr_queue_ptr 0
		.amdhsa_user_sgpr_kernarg_segment_ptr 1
		.amdhsa_user_sgpr_dispatch_id 0
		.amdhsa_user_sgpr_flat_scratch_init 0
		.amdhsa_user_sgpr_private_segment_size 0
		.amdhsa_uses_dynamic_stack 0
		.amdhsa_system_sgpr_private_segment_wavefront_offset 0
		.amdhsa_system_sgpr_workgroup_id_x 1
		.amdhsa_system_sgpr_workgroup_id_y 1
		.amdhsa_system_sgpr_workgroup_id_z 1
		.amdhsa_system_sgpr_workgroup_info 0
		.amdhsa_system_vgpr_workitem_id 1
		.amdhsa_next_free_vgpr 43
		.amdhsa_next_free_sgpr 25
		.amdhsa_reserve_vcc 1
		.amdhsa_reserve_flat_scratch 0
		.amdhsa_float_round_mode_32 0
		.amdhsa_float_round_mode_16_64 0
		.amdhsa_float_denorm_mode_32 3
		.amdhsa_float_denorm_mode_16_64 3
		.amdhsa_dx10_clamp 1
		.amdhsa_ieee_mode 1
		.amdhsa_fp16_overflow 0
		.amdhsa_exception_fp_ieee_invalid_op 0
		.amdhsa_exception_fp_denorm_src 0
		.amdhsa_exception_fp_ieee_div_zero 0
		.amdhsa_exception_fp_ieee_overflow 0
		.amdhsa_exception_fp_ieee_underflow 0
		.amdhsa_exception_fp_ieee_inexact 0
		.amdhsa_exception_int_div_zero 0
	.end_amdhsa_kernel
	.section	.text._ZL37rocblas_syrkx_herkx_restricted_kernelIi19rocblas_complex_numIfELi16ELi32ELi8ELin1ELi0ELb1ELc78ELc85EKS1_S1_EviT_PT9_S3_lS5_S3_lPT10_S3_li,"axG",@progbits,_ZL37rocblas_syrkx_herkx_restricted_kernelIi19rocblas_complex_numIfELi16ELi32ELi8ELin1ELi0ELb1ELc78ELc85EKS1_S1_EviT_PT9_S3_lS5_S3_lPT10_S3_li,comdat
.Lfunc_end333:
	.size	_ZL37rocblas_syrkx_herkx_restricted_kernelIi19rocblas_complex_numIfELi16ELi32ELi8ELin1ELi0ELb1ELc78ELc85EKS1_S1_EviT_PT9_S3_lS5_S3_lPT10_S3_li, .Lfunc_end333-_ZL37rocblas_syrkx_herkx_restricted_kernelIi19rocblas_complex_numIfELi16ELi32ELi8ELin1ELi0ELb1ELc78ELc85EKS1_S1_EviT_PT9_S3_lS5_S3_lPT10_S3_li
                                        ; -- End function
	.set _ZL37rocblas_syrkx_herkx_restricted_kernelIi19rocblas_complex_numIfELi16ELi32ELi8ELin1ELi0ELb1ELc78ELc85EKS1_S1_EviT_PT9_S3_lS5_S3_lPT10_S3_li.num_vgpr, 43
	.set _ZL37rocblas_syrkx_herkx_restricted_kernelIi19rocblas_complex_numIfELi16ELi32ELi8ELin1ELi0ELb1ELc78ELc85EKS1_S1_EviT_PT9_S3_lS5_S3_lPT10_S3_li.num_agpr, 0
	.set _ZL37rocblas_syrkx_herkx_restricted_kernelIi19rocblas_complex_numIfELi16ELi32ELi8ELin1ELi0ELb1ELc78ELc85EKS1_S1_EviT_PT9_S3_lS5_S3_lPT10_S3_li.numbered_sgpr, 25
	.set _ZL37rocblas_syrkx_herkx_restricted_kernelIi19rocblas_complex_numIfELi16ELi32ELi8ELin1ELi0ELb1ELc78ELc85EKS1_S1_EviT_PT9_S3_lS5_S3_lPT10_S3_li.num_named_barrier, 0
	.set _ZL37rocblas_syrkx_herkx_restricted_kernelIi19rocblas_complex_numIfELi16ELi32ELi8ELin1ELi0ELb1ELc78ELc85EKS1_S1_EviT_PT9_S3_lS5_S3_lPT10_S3_li.private_seg_size, 0
	.set _ZL37rocblas_syrkx_herkx_restricted_kernelIi19rocblas_complex_numIfELi16ELi32ELi8ELin1ELi0ELb1ELc78ELc85EKS1_S1_EviT_PT9_S3_lS5_S3_lPT10_S3_li.uses_vcc, 1
	.set _ZL37rocblas_syrkx_herkx_restricted_kernelIi19rocblas_complex_numIfELi16ELi32ELi8ELin1ELi0ELb1ELc78ELc85EKS1_S1_EviT_PT9_S3_lS5_S3_lPT10_S3_li.uses_flat_scratch, 0
	.set _ZL37rocblas_syrkx_herkx_restricted_kernelIi19rocblas_complex_numIfELi16ELi32ELi8ELin1ELi0ELb1ELc78ELc85EKS1_S1_EviT_PT9_S3_lS5_S3_lPT10_S3_li.has_dyn_sized_stack, 0
	.set _ZL37rocblas_syrkx_herkx_restricted_kernelIi19rocblas_complex_numIfELi16ELi32ELi8ELin1ELi0ELb1ELc78ELc85EKS1_S1_EviT_PT9_S3_lS5_S3_lPT10_S3_li.has_recursion, 0
	.set _ZL37rocblas_syrkx_herkx_restricted_kernelIi19rocblas_complex_numIfELi16ELi32ELi8ELin1ELi0ELb1ELc78ELc85EKS1_S1_EviT_PT9_S3_lS5_S3_lPT10_S3_li.has_indirect_call, 0
	.section	.AMDGPU.csdata,"",@progbits
; Kernel info:
; codeLenInByte = 2084
; TotalNumSgprs: 29
; NumVgprs: 43
; ScratchSize: 0
; MemoryBound: 0
; FloatMode: 240
; IeeeMode: 1
; LDSByteSize: 4096 bytes/workgroup (compile time only)
; SGPRBlocks: 3
; VGPRBlocks: 10
; NumSGPRsForWavesPerEU: 29
; NumVGPRsForWavesPerEU: 43
; Occupancy: 5
; WaveLimiterHint : 0
; COMPUTE_PGM_RSRC2:SCRATCH_EN: 0
; COMPUTE_PGM_RSRC2:USER_SGPR: 6
; COMPUTE_PGM_RSRC2:TRAP_HANDLER: 0
; COMPUTE_PGM_RSRC2:TGID_X_EN: 1
; COMPUTE_PGM_RSRC2:TGID_Y_EN: 1
; COMPUTE_PGM_RSRC2:TGID_Z_EN: 1
; COMPUTE_PGM_RSRC2:TIDIG_COMP_CNT: 1
	.section	.text._ZL37rocblas_syrkx_herkx_restricted_kernelIi19rocblas_complex_numIfELi16ELi32ELi8ELb1ELb1ELc84ELc76EKS1_S1_EviT_T0_PT8_S3_lS6_S3_lS4_PT9_S3_li,"axG",@progbits,_ZL37rocblas_syrkx_herkx_restricted_kernelIi19rocblas_complex_numIfELi16ELi32ELi8ELb1ELb1ELc84ELc76EKS1_S1_EviT_T0_PT8_S3_lS6_S3_lS4_PT9_S3_li,comdat
	.globl	_ZL37rocblas_syrkx_herkx_restricted_kernelIi19rocblas_complex_numIfELi16ELi32ELi8ELb1ELb1ELc84ELc76EKS1_S1_EviT_T0_PT8_S3_lS6_S3_lS4_PT9_S3_li ; -- Begin function _ZL37rocblas_syrkx_herkx_restricted_kernelIi19rocblas_complex_numIfELi16ELi32ELi8ELb1ELb1ELc84ELc76EKS1_S1_EviT_T0_PT8_S3_lS6_S3_lS4_PT9_S3_li
	.p2align	8
	.type	_ZL37rocblas_syrkx_herkx_restricted_kernelIi19rocblas_complex_numIfELi16ELi32ELi8ELb1ELb1ELc84ELc76EKS1_S1_EviT_T0_PT8_S3_lS6_S3_lS4_PT9_S3_li,@function
_ZL37rocblas_syrkx_herkx_restricted_kernelIi19rocblas_complex_numIfELi16ELi32ELi8ELb1ELb1ELc84ELc76EKS1_S1_EviT_T0_PT8_S3_lS6_S3_lS4_PT9_S3_li: ; @_ZL37rocblas_syrkx_herkx_restricted_kernelIi19rocblas_complex_numIfELi16ELi32ELi8ELb1ELb1ELc84ELc76EKS1_S1_EviT_T0_PT8_S3_lS6_S3_lS4_PT9_S3_li
; %bb.0:
	s_load_dwordx2 s[10:11], s[4:5], 0x0
	s_load_dwordx4 s[12:15], s[4:5], 0x8
	s_lshl_b32 s6, s6, 5
	s_lshl_b32 s7, s7, 5
	s_mov_b32 s9, 0
	s_waitcnt lgkmcnt(0)
	s_cmp_lt_i32 s11, 1
	s_cbranch_scc1 .LBB334_3
; %bb.1:
	v_lshl_add_u32 v3, v1, 4, v0
	v_and_b32_e32 v7, 31, v3
	s_load_dword s20, s[4:5], 0x18
	s_load_dwordx4 s[0:3], s[4:5], 0x20
	s_load_dword s18, s[4:5], 0x30
	s_load_dwordx2 s[16:17], s[4:5], 0x38
	v_lshrrev_b32_e32 v2, 5, v3
	v_and_b32_e32 v9, 7, v0
	v_lshlrev_b32_e32 v8, 3, v7
	v_lshrrev_b32_e32 v6, 3, v3
	v_lshl_or_b32 v11, v2, 8, v8
	v_lshlrev_b32_e32 v8, 3, v9
	v_add_u32_e32 v3, s7, v6
	v_lshl_or_b32 v6, v6, 6, v8
	v_mov_b32_e32 v10, 0
	v_add_u32_e32 v12, 0x800, v6
	v_mov_b32_e32 v6, 0x800
	s_waitcnt lgkmcnt(0)
	v_mad_i64_i32 v[4:5], s[18:19], s18, v3, v[9:10]
	v_mov_b32_e32 v3, v10
	v_lshl_add_u32 v14, v1, 6, v6
	v_add_u32_e32 v6, s6, v7
	v_mad_i64_i32 v[2:3], s[18:19], s20, v6, v[2:3]
	s_mul_i32 s1, s1, s8
	s_mul_hi_u32 s21, s0, s8
	s_add_i32 s1, s21, s1
	s_mul_i32 s0, s0, s8
	s_lshl_b64 s[0:1], s[0:1], 3
	v_lshlrev_b64 v[2:3], 3, v[2:3]
	s_add_u32 s0, s14, s0
	s_addc_u32 s1, s15, s1
	v_mov_b32_e32 v6, s1
	v_add_co_u32_e32 v2, vcc, s0, v2
	s_mul_i32 s0, s17, s8
	s_mul_hi_u32 s1, s16, s8
	v_addc_co_u32_e32 v3, vcc, v6, v3, vcc
	s_add_i32 s1, s1, s0
	s_mul_i32 s0, s16, s8
	v_add_co_u32_e32 v6, vcc, 4, v2
	s_lshl_b64 s[0:1], s[0:1], 3
	v_addc_co_u32_e32 v7, vcc, 0, v3, vcc
	v_lshlrev_b64 v[2:3], 3, v[4:5]
	s_add_u32 s0, s2, s0
	s_addc_u32 s1, s3, s1
	v_mov_b32_e32 v4, s1
	v_add_co_u32_e32 v2, vcc, s0, v2
	v_addc_co_u32_e32 v3, vcc, v4, v3, vcc
	v_add_co_u32_e32 v8, vcc, 4, v2
	v_lshlrev_b32_e32 v13, 3, v0
	v_addc_co_u32_e32 v9, vcc, 0, v3, vcc
	v_mov_b32_e32 v15, v10
	v_mov_b32_e32 v17, v10
	;; [unrolled: 1-line block ×7, first 2 shown]
.LBB334_2:                              ; =>This Inner Loop Header: Depth=1
	global_load_dwordx2 v[2:3], v[6:7], off offset:-4
	v_add_co_u32_e32 v6, vcc, 64, v6
	v_addc_co_u32_e32 v7, vcc, 0, v7, vcc
	s_add_i32 s9, s9, 8
	s_cmp_ge_i32 s9, s11
	s_waitcnt vmcnt(0)
	ds_write_b64 v11, v[2:3]
	global_load_dwordx2 v[2:3], v[8:9], off offset:-4
	v_add_co_u32_e32 v8, vcc, 64, v8
	v_addc_co_u32_e32 v9, vcc, 0, v9, vcc
	s_waitcnt vmcnt(0)
	ds_write_b64 v12, v[2:3]
	s_waitcnt lgkmcnt(0)
	s_barrier
	ds_read_b128 v[22:25], v14
	ds_read_b128 v[26:29], v14 offset:16
	ds_read_b128 v[30:33], v14 offset:32
	;; [unrolled: 1-line block ×3, first 2 shown]
	ds_read2_b64 v[34:37], v13 offset1:16
	s_waitcnt lgkmcnt(0)
	v_mul_f32_e32 v38, v23, v35
	v_mul_f32_e32 v39, v22, v35
	v_fma_f32 v38, v22, v34, -v38
	v_fmac_f32_e32 v39, v23, v34
	v_add_f32_e32 v38, v20, v38
	v_add_f32_e32 v39, v21, v39
	v_mul_f32_e32 v20, v23, v37
	v_mul_f32_e32 v21, v22, v37
	v_fma_f32 v20, v22, v36, -v20
	v_fmac_f32_e32 v21, v23, v36
	v_add_f32_e32 v22, v18, v20
	v_add_f32_e32 v23, v19, v21
	ds_read_b128 v[18:21], v14 offset:1024
	s_waitcnt lgkmcnt(0)
	v_mul_f32_e32 v40, v19, v35
	v_mul_f32_e32 v35, v18, v35
	v_fma_f32 v40, v18, v34, -v40
	v_fmac_f32_e32 v35, v19, v34
	v_add_f32_e32 v34, v16, v40
	v_add_f32_e32 v35, v17, v35
	v_mul_f32_e32 v16, v19, v37
	v_mul_f32_e32 v17, v18, v37
	v_fma_f32 v16, v18, v36, -v16
	v_fmac_f32_e32 v17, v19, v36
	v_add_f32_e32 v19, v15, v16
	v_add_f32_e32 v10, v10, v17
	ds_read2_b64 v[15:18], v13 offset0:32 offset1:48
	s_waitcnt lgkmcnt(0)
	v_mul_f32_e32 v36, v25, v16
	v_fma_f32 v36, v24, v15, -v36
	v_add_f32_e32 v36, v38, v36
	v_mul_f32_e32 v38, v25, v18
	v_mul_f32_e32 v37, v24, v16
	v_fma_f32 v38, v24, v17, -v38
	v_mul_f32_e32 v24, v24, v18
	v_fmac_f32_e32 v24, v25, v17
	v_add_f32_e32 v23, v23, v24
	v_mul_f32_e32 v24, v21, v16
	v_mul_f32_e32 v16, v20, v16
	v_fmac_f32_e32 v16, v21, v15
	v_fmac_f32_e32 v37, v25, v15
	v_fma_f32 v24, v20, v15, -v24
	v_add_f32_e32 v25, v35, v16
	v_mul_f32_e32 v15, v21, v18
	v_mul_f32_e32 v16, v20, v18
	v_fma_f32 v15, v20, v17, -v15
	v_fmac_f32_e32 v16, v21, v17
	v_add_f32_e32 v24, v34, v24
	v_add_f32_e32 v34, v19, v15
	;; [unrolled: 1-line block ×3, first 2 shown]
	ds_read2_b64 v[15:18], v13 offset0:64 offset1:80
	v_add_f32_e32 v37, v39, v37
	v_add_f32_e32 v22, v22, v38
	s_waitcnt lgkmcnt(0)
	v_mul_f32_e32 v19, v27, v16
	v_mul_f32_e32 v20, v26, v16
	v_fma_f32 v19, v26, v15, -v19
	v_fmac_f32_e32 v20, v27, v15
	v_add_f32_e32 v35, v36, v19
	v_add_f32_e32 v36, v37, v20
	v_mul_f32_e32 v19, v27, v18
	v_mul_f32_e32 v20, v26, v18
	v_fma_f32 v19, v26, v17, -v19
	v_fmac_f32_e32 v20, v27, v17
	v_add_f32_e32 v26, v22, v19
	v_add_f32_e32 v23, v23, v20
	ds_read_b128 v[19:22], v14 offset:1040
	s_waitcnt lgkmcnt(0)
	v_mul_f32_e32 v27, v20, v16
	v_mul_f32_e32 v16, v19, v16
	v_fmac_f32_e32 v16, v20, v15
	v_fma_f32 v27, v19, v15, -v27
	v_add_f32_e32 v25, v25, v16
	v_mul_f32_e32 v15, v20, v18
	v_mul_f32_e32 v16, v19, v18
	v_fma_f32 v15, v19, v17, -v15
	v_fmac_f32_e32 v16, v20, v17
	v_add_f32_e32 v19, v34, v15
	v_add_f32_e32 v10, v10, v16
	ds_read2_b64 v[15:18], v13 offset0:96 offset1:112
	v_add_f32_e32 v24, v24, v27
	s_waitcnt lgkmcnt(0)
	v_mul_f32_e32 v20, v29, v16
	v_mul_f32_e32 v34, v29, v18
	v_fma_f32 v20, v28, v15, -v20
	v_mul_f32_e32 v27, v28, v16
	v_fma_f32 v34, v28, v17, -v34
	v_mul_f32_e32 v28, v28, v18
	v_fmac_f32_e32 v28, v29, v17
	v_add_f32_e32 v23, v23, v28
	v_mul_f32_e32 v28, v22, v16
	v_mul_f32_e32 v16, v21, v16
	v_fmac_f32_e32 v16, v22, v15
	v_fmac_f32_e32 v27, v29, v15
	v_fma_f32 v28, v21, v15, -v28
	v_add_f32_e32 v25, v25, v16
	v_mul_f32_e32 v15, v22, v18
	v_mul_f32_e32 v16, v21, v18
	v_fma_f32 v15, v21, v17, -v15
	v_fmac_f32_e32 v16, v22, v17
	v_add_f32_e32 v24, v24, v28
	v_add_f32_e32 v28, v19, v15
	v_add_f32_e32 v10, v10, v16
	ds_read2_b64 v[15:18], v13 offset0:128 offset1:144
	v_add_f32_e32 v20, v35, v20
	v_add_f32_e32 v27, v36, v27
	v_add_f32_e32 v26, v26, v34
	s_waitcnt lgkmcnt(0)
	v_mul_f32_e32 v19, v31, v16
	v_fma_f32 v19, v30, v15, -v19
	v_mul_f32_e32 v21, v30, v16
	v_add_f32_e32 v29, v20, v19
	v_mul_f32_e32 v19, v31, v18
	v_mul_f32_e32 v20, v30, v18
	v_fmac_f32_e32 v21, v31, v15
	v_fma_f32 v19, v30, v17, -v19
	v_fmac_f32_e32 v20, v31, v17
	v_add_f32_e32 v27, v27, v21
	v_add_f32_e32 v26, v26, v19
	;; [unrolled: 1-line block ×3, first 2 shown]
	ds_read_b128 v[19:22], v14 offset:1056
	s_waitcnt lgkmcnt(0)
	v_mul_f32_e32 v30, v20, v16
	v_mul_f32_e32 v16, v19, v16
	v_fmac_f32_e32 v16, v20, v15
	v_fma_f32 v30, v19, v15, -v30
	v_add_f32_e32 v25, v25, v16
	v_mul_f32_e32 v15, v20, v18
	v_mul_f32_e32 v16, v19, v18
	v_fma_f32 v15, v19, v17, -v15
	v_fmac_f32_e32 v16, v20, v17
	v_add_f32_e32 v19, v28, v15
	v_add_f32_e32 v10, v10, v16
	ds_read2_b64 v[15:18], v13 offset0:160 offset1:176
	v_add_f32_e32 v24, v24, v30
	s_waitcnt lgkmcnt(0)
	v_mul_f32_e32 v28, v32, v16
	v_fmac_f32_e32 v28, v33, v15
	v_add_f32_e32 v27, v27, v28
	v_mul_f32_e32 v28, v33, v18
	v_fma_f32 v28, v32, v17, -v28
	v_mul_f32_e32 v20, v33, v16
	v_add_f32_e32 v26, v26, v28
	v_mul_f32_e32 v28, v22, v16
	v_mul_f32_e32 v16, v21, v16
	v_fmac_f32_e32 v16, v22, v15
	v_fma_f32 v20, v32, v15, -v20
	v_fma_f32 v28, v21, v15, -v28
	v_add_f32_e32 v25, v25, v16
	v_mul_f32_e32 v15, v22, v18
	v_mul_f32_e32 v16, v21, v18
	v_add_f32_e32 v20, v29, v20
	v_mul_f32_e32 v29, v32, v18
	v_fma_f32 v15, v21, v17, -v15
	v_fmac_f32_e32 v16, v22, v17
	v_fmac_f32_e32 v29, v33, v17
	v_add_f32_e32 v19, v19, v15
	v_add_f32_e32 v10, v10, v16
	ds_read2_b64 v[15:18], v13 offset0:192 offset1:208
	v_add_f32_e32 v24, v24, v28
	v_add_f32_e32 v23, v23, v29
	s_waitcnt lgkmcnt(0)
	v_mul_f32_e32 v21, v3, v16
	v_fma_f32 v21, v2, v15, -v21
	v_add_f32_e32 v28, v20, v21
	v_mul_f32_e32 v20, v3, v18
	v_mul_f32_e32 v22, v2, v16
	v_fma_f32 v20, v2, v17, -v20
	v_mul_f32_e32 v2, v2, v18
	v_fmac_f32_e32 v22, v3, v15
	v_fmac_f32_e32 v2, v3, v17
	v_add_f32_e32 v29, v27, v22
	v_add_f32_e32 v3, v26, v20
	;; [unrolled: 1-line block ×3, first 2 shown]
	ds_read_b128 v[20:23], v14 offset:1072
	s_waitcnt lgkmcnt(0)
	v_mul_f32_e32 v26, v21, v16
	v_mul_f32_e32 v16, v20, v16
	v_fma_f32 v26, v20, v15, -v26
	v_fmac_f32_e32 v16, v21, v15
	v_add_f32_e32 v15, v24, v26
	v_add_f32_e32 v30, v25, v16
	ds_read2_b64 v[24:27], v13 offset0:224 offset1:240
	v_mul_f32_e32 v16, v21, v18
	v_fma_f32 v16, v20, v17, -v16
	v_add_f32_e32 v31, v19, v16
	v_mul_f32_e32 v18, v20, v18
	s_waitcnt lgkmcnt(0)
	v_mul_f32_e32 v16, v5, v25
	v_fma_f32 v16, v4, v24, -v16
	v_add_f32_e32 v20, v28, v16
	v_mul_f32_e32 v16, v5, v27
	v_fmac_f32_e32 v18, v21, v17
	v_mul_f32_e32 v17, v4, v25
	v_fma_f32 v16, v4, v26, -v16
	v_mul_f32_e32 v4, v4, v27
	v_fmac_f32_e32 v4, v5, v26
	v_add_f32_e32 v10, v10, v18
	v_add_f32_e32 v18, v3, v16
	;; [unrolled: 1-line block ×3, first 2 shown]
	v_mul_f32_e32 v2, v23, v25
	v_mul_f32_e32 v3, v22, v25
	v_fmac_f32_e32 v17, v5, v24
	v_fma_f32 v2, v22, v24, -v2
	v_fmac_f32_e32 v3, v23, v24
	v_add_f32_e32 v21, v29, v17
	v_add_f32_e32 v16, v15, v2
	;; [unrolled: 1-line block ×3, first 2 shown]
	v_mul_f32_e32 v2, v23, v27
	v_mul_f32_e32 v3, v22, v27
	v_fma_f32 v2, v22, v26, -v2
	v_fmac_f32_e32 v3, v23, v26
	v_add_f32_e32 v15, v31, v2
	v_add_f32_e32 v10, v10, v3
	s_barrier
	s_cbranch_scc0 .LBB334_2
	s_branch .LBB334_4
.LBB334_3:
	v_mov_b32_e32 v20, 0
	v_mov_b32_e32 v21, 0
	;; [unrolled: 1-line block ×8, first 2 shown]
.LBB334_4:
	s_load_dwordx2 s[0:1], s[4:5], 0x58
	s_load_dwordx2 s[2:3], s[4:5], 0x48
	s_load_dword s9, s[4:5], 0x50
	v_add_u32_e32 v5, s7, v1
	v_add_u32_e32 v0, s6, v0
	s_waitcnt lgkmcnt(0)
	s_mul_i32 s1, s1, s8
	s_mul_hi_u32 s4, s0, s8
	s_add_i32 s1, s4, s1
	v_mad_i64_i32 v[1:2], s[4:5], v5, s9, 0
	s_mul_i32 s0, s0, s8
	s_lshl_b64 s[0:1], s[0:1], 3
	s_add_u32 s7, s2, s0
	v_lshlrev_b64 v[1:2], 3, v[1:2]
	s_addc_u32 s8, s3, s1
	v_mov_b32_e32 v3, s8
	v_add_co_u32_e32 v4, vcc, s7, v1
	v_addc_co_u32_e32 v6, vcc, v3, v2, vcc
	v_cmp_le_i32_e64 s[0:1], v5, v0
	v_cmp_gt_i32_e32 vcc, s10, v0
	s_and_b64 s[0:1], s[0:1], vcc
	s_and_saveexec_b64 s[2:3], s[0:1]
	s_cbranch_execz .LBB334_7
; %bb.5:
	v_mul_f32_e32 v1, s13, v21
	v_fma_f32 v7, v20, s12, -v1
	v_ashrrev_i32_e32 v1, 31, v0
	v_lshlrev_b64 v[1:2], 3, v[0:1]
	v_mul_f32_e32 v8, s12, v21
	v_add_co_u32_e64 v1, s[0:1], v4, v1
	v_addc_co_u32_e64 v2, s[0:1], v6, v2, s[0:1]
	v_fmac_f32_e32 v8, s13, v20
	v_cmp_eq_u32_e64 s[0:1], v5, v0
	global_store_dwordx2 v[1:2], v[7:8], off
	s_and_b64 exec, exec, s[0:1]
	s_cbranch_execz .LBB334_7
; %bb.6:
	v_mov_b32_e32 v3, 0
	global_store_dword v[1:2], v3, off offset:4
.LBB334_7:
	s_or_b64 exec, exec, s[2:3]
	v_add_u32_e32 v2, 16, v0
	v_cmp_le_i32_e64 s[2:3], v5, v2
	v_cmp_gt_i32_e64 s[0:1], s10, v2
	s_and_b64 s[2:3], s[2:3], s[0:1]
	s_and_saveexec_b64 s[4:5], s[2:3]
	s_cbranch_execz .LBB334_10
; %bb.8:
	v_ashrrev_i32_e32 v3, 31, v2
	v_lshlrev_b64 v[11:12], 3, v[2:3]
	v_mul_f32_e32 v1, s13, v19
	v_add_co_u32_e64 v3, s[2:3], v4, v11
	v_mul_f32_e32 v8, s12, v19
	v_addc_co_u32_e64 v4, s[2:3], v6, v12, s[2:3]
	v_fma_f32 v7, v18, s12, -v1
	v_fmac_f32_e32 v8, s13, v18
	v_cmp_eq_u32_e64 s[2:3], v5, v2
	global_store_dwordx2 v[3:4], v[7:8], off
	s_and_b64 exec, exec, s[2:3]
	s_cbranch_execz .LBB334_10
; %bb.9:
	v_mov_b32_e32 v1, 0
	global_store_dword v[3:4], v1, off offset:4
.LBB334_10:
	s_or_b64 exec, exec, s[4:5]
	v_add_u32_e32 v8, 16, v5
	v_mad_i64_i32 v[3:4], s[2:3], v8, s9, 0
	v_mov_b32_e32 v1, s8
	v_lshlrev_b64 v[3:4], 3, v[3:4]
	v_add_co_u32_e64 v6, s[2:3], s7, v3
	v_addc_co_u32_e64 v7, s[2:3], v1, v4, s[2:3]
	v_cmp_le_i32_e64 s[2:3], v8, v0
	s_and_b64 s[4:5], s[2:3], vcc
	s_and_saveexec_b64 s[2:3], s[4:5]
	s_cbranch_execz .LBB334_13
; %bb.11:
	v_mul_f32_e32 v1, s13, v17
	v_fma_f32 v11, v16, s12, -v1
	v_ashrrev_i32_e32 v1, 31, v0
	v_lshlrev_b64 v[3:4], 3, v[0:1]
	v_mul_f32_e32 v12, s12, v17
	v_add_co_u32_e32 v3, vcc, v6, v3
	v_addc_co_u32_e32 v4, vcc, v7, v4, vcc
	v_fmac_f32_e32 v12, s13, v16
	v_cmp_eq_u32_e32 vcc, v8, v0
	global_store_dwordx2 v[3:4], v[11:12], off
	s_and_b64 exec, exec, vcc
	s_cbranch_execz .LBB334_13
; %bb.12:
	v_mov_b32_e32 v1, 0
	global_store_dword v[3:4], v1, off offset:4
.LBB334_13:
	s_or_b64 exec, exec, s[2:3]
	v_cmp_le_i32_e32 vcc, v8, v2
	s_and_b64 s[0:1], vcc, s[0:1]
	s_and_saveexec_b64 s[2:3], s[0:1]
	s_cbranch_execz .LBB334_16
; %bb.14:
	v_mul_f32_e32 v1, s13, v10
	v_ashrrev_i32_e32 v3, 31, v2
	v_fma_f32 v8, v15, s12, -v1
	v_lshlrev_b64 v[1:2], 3, v[2:3]
	v_mul_f32_e32 v9, s12, v10
	v_add_co_u32_e32 v1, vcc, v6, v1
	v_addc_co_u32_e32 v2, vcc, v7, v2, vcc
	v_fmac_f32_e32 v9, s13, v15
	v_cmp_eq_u32_e32 vcc, v5, v0
	global_store_dwordx2 v[1:2], v[8:9], off
	s_and_b64 exec, exec, vcc
	s_cbranch_execz .LBB334_16
; %bb.15:
	v_mov_b32_e32 v0, 0
	global_store_dword v[1:2], v0, off offset:4
.LBB334_16:
	s_endpgm
	.section	.rodata,"a",@progbits
	.p2align	6, 0x0
	.amdhsa_kernel _ZL37rocblas_syrkx_herkx_restricted_kernelIi19rocblas_complex_numIfELi16ELi32ELi8ELb1ELb1ELc84ELc76EKS1_S1_EviT_T0_PT8_S3_lS6_S3_lS4_PT9_S3_li
		.amdhsa_group_segment_fixed_size 4096
		.amdhsa_private_segment_fixed_size 0
		.amdhsa_kernarg_size 100
		.amdhsa_user_sgpr_count 6
		.amdhsa_user_sgpr_private_segment_buffer 1
		.amdhsa_user_sgpr_dispatch_ptr 0
		.amdhsa_user_sgpr_queue_ptr 0
		.amdhsa_user_sgpr_kernarg_segment_ptr 1
		.amdhsa_user_sgpr_dispatch_id 0
		.amdhsa_user_sgpr_flat_scratch_init 0
		.amdhsa_user_sgpr_private_segment_size 0
		.amdhsa_uses_dynamic_stack 0
		.amdhsa_system_sgpr_private_segment_wavefront_offset 0
		.amdhsa_system_sgpr_workgroup_id_x 1
		.amdhsa_system_sgpr_workgroup_id_y 1
		.amdhsa_system_sgpr_workgroup_id_z 1
		.amdhsa_system_sgpr_workgroup_info 0
		.amdhsa_system_vgpr_workitem_id 1
		.amdhsa_next_free_vgpr 41
		.amdhsa_next_free_sgpr 22
		.amdhsa_reserve_vcc 1
		.amdhsa_reserve_flat_scratch 0
		.amdhsa_float_round_mode_32 0
		.amdhsa_float_round_mode_16_64 0
		.amdhsa_float_denorm_mode_32 3
		.amdhsa_float_denorm_mode_16_64 3
		.amdhsa_dx10_clamp 1
		.amdhsa_ieee_mode 1
		.amdhsa_fp16_overflow 0
		.amdhsa_exception_fp_ieee_invalid_op 0
		.amdhsa_exception_fp_denorm_src 0
		.amdhsa_exception_fp_ieee_div_zero 0
		.amdhsa_exception_fp_ieee_overflow 0
		.amdhsa_exception_fp_ieee_underflow 0
		.amdhsa_exception_fp_ieee_inexact 0
		.amdhsa_exception_int_div_zero 0
	.end_amdhsa_kernel
	.section	.text._ZL37rocblas_syrkx_herkx_restricted_kernelIi19rocblas_complex_numIfELi16ELi32ELi8ELb1ELb1ELc84ELc76EKS1_S1_EviT_T0_PT8_S3_lS6_S3_lS4_PT9_S3_li,"axG",@progbits,_ZL37rocblas_syrkx_herkx_restricted_kernelIi19rocblas_complex_numIfELi16ELi32ELi8ELb1ELb1ELc84ELc76EKS1_S1_EviT_T0_PT8_S3_lS6_S3_lS4_PT9_S3_li,comdat
.Lfunc_end334:
	.size	_ZL37rocblas_syrkx_herkx_restricted_kernelIi19rocblas_complex_numIfELi16ELi32ELi8ELb1ELb1ELc84ELc76EKS1_S1_EviT_T0_PT8_S3_lS6_S3_lS4_PT9_S3_li, .Lfunc_end334-_ZL37rocblas_syrkx_herkx_restricted_kernelIi19rocblas_complex_numIfELi16ELi32ELi8ELb1ELb1ELc84ELc76EKS1_S1_EviT_T0_PT8_S3_lS6_S3_lS4_PT9_S3_li
                                        ; -- End function
	.set _ZL37rocblas_syrkx_herkx_restricted_kernelIi19rocblas_complex_numIfELi16ELi32ELi8ELb1ELb1ELc84ELc76EKS1_S1_EviT_T0_PT8_S3_lS6_S3_lS4_PT9_S3_li.num_vgpr, 41
	.set _ZL37rocblas_syrkx_herkx_restricted_kernelIi19rocblas_complex_numIfELi16ELi32ELi8ELb1ELb1ELc84ELc76EKS1_S1_EviT_T0_PT8_S3_lS6_S3_lS4_PT9_S3_li.num_agpr, 0
	.set _ZL37rocblas_syrkx_herkx_restricted_kernelIi19rocblas_complex_numIfELi16ELi32ELi8ELb1ELb1ELc84ELc76EKS1_S1_EviT_T0_PT8_S3_lS6_S3_lS4_PT9_S3_li.numbered_sgpr, 22
	.set _ZL37rocblas_syrkx_herkx_restricted_kernelIi19rocblas_complex_numIfELi16ELi32ELi8ELb1ELb1ELc84ELc76EKS1_S1_EviT_T0_PT8_S3_lS6_S3_lS4_PT9_S3_li.num_named_barrier, 0
	.set _ZL37rocblas_syrkx_herkx_restricted_kernelIi19rocblas_complex_numIfELi16ELi32ELi8ELb1ELb1ELc84ELc76EKS1_S1_EviT_T0_PT8_S3_lS6_S3_lS4_PT9_S3_li.private_seg_size, 0
	.set _ZL37rocblas_syrkx_herkx_restricted_kernelIi19rocblas_complex_numIfELi16ELi32ELi8ELb1ELb1ELc84ELc76EKS1_S1_EviT_T0_PT8_S3_lS6_S3_lS4_PT9_S3_li.uses_vcc, 1
	.set _ZL37rocblas_syrkx_herkx_restricted_kernelIi19rocblas_complex_numIfELi16ELi32ELi8ELb1ELb1ELc84ELc76EKS1_S1_EviT_T0_PT8_S3_lS6_S3_lS4_PT9_S3_li.uses_flat_scratch, 0
	.set _ZL37rocblas_syrkx_herkx_restricted_kernelIi19rocblas_complex_numIfELi16ELi32ELi8ELb1ELb1ELc84ELc76EKS1_S1_EviT_T0_PT8_S3_lS6_S3_lS4_PT9_S3_li.has_dyn_sized_stack, 0
	.set _ZL37rocblas_syrkx_herkx_restricted_kernelIi19rocblas_complex_numIfELi16ELi32ELi8ELb1ELb1ELc84ELc76EKS1_S1_EviT_T0_PT8_S3_lS6_S3_lS4_PT9_S3_li.has_recursion, 0
	.set _ZL37rocblas_syrkx_herkx_restricted_kernelIi19rocblas_complex_numIfELi16ELi32ELi8ELb1ELb1ELc84ELc76EKS1_S1_EviT_T0_PT8_S3_lS6_S3_lS4_PT9_S3_li.has_indirect_call, 0
	.section	.AMDGPU.csdata,"",@progbits
; Kernel info:
; codeLenInByte = 2064
; TotalNumSgprs: 26
; NumVgprs: 41
; ScratchSize: 0
; MemoryBound: 0
; FloatMode: 240
; IeeeMode: 1
; LDSByteSize: 4096 bytes/workgroup (compile time only)
; SGPRBlocks: 3
; VGPRBlocks: 10
; NumSGPRsForWavesPerEU: 26
; NumVGPRsForWavesPerEU: 41
; Occupancy: 5
; WaveLimiterHint : 0
; COMPUTE_PGM_RSRC2:SCRATCH_EN: 0
; COMPUTE_PGM_RSRC2:USER_SGPR: 6
; COMPUTE_PGM_RSRC2:TRAP_HANDLER: 0
; COMPUTE_PGM_RSRC2:TGID_X_EN: 1
; COMPUTE_PGM_RSRC2:TGID_Y_EN: 1
; COMPUTE_PGM_RSRC2:TGID_Z_EN: 1
; COMPUTE_PGM_RSRC2:TIDIG_COMP_CNT: 1
	.section	.text._ZL37rocblas_syrkx_herkx_restricted_kernelIi19rocblas_complex_numIfELi16ELi32ELi8ELb1ELb1ELc67ELc76EKS1_S1_EviT_T0_PT8_S3_lS6_S3_lS4_PT9_S3_li,"axG",@progbits,_ZL37rocblas_syrkx_herkx_restricted_kernelIi19rocblas_complex_numIfELi16ELi32ELi8ELb1ELb1ELc67ELc76EKS1_S1_EviT_T0_PT8_S3_lS6_S3_lS4_PT9_S3_li,comdat
	.globl	_ZL37rocblas_syrkx_herkx_restricted_kernelIi19rocblas_complex_numIfELi16ELi32ELi8ELb1ELb1ELc67ELc76EKS1_S1_EviT_T0_PT8_S3_lS6_S3_lS4_PT9_S3_li ; -- Begin function _ZL37rocblas_syrkx_herkx_restricted_kernelIi19rocblas_complex_numIfELi16ELi32ELi8ELb1ELb1ELc67ELc76EKS1_S1_EviT_T0_PT8_S3_lS6_S3_lS4_PT9_S3_li
	.p2align	8
	.type	_ZL37rocblas_syrkx_herkx_restricted_kernelIi19rocblas_complex_numIfELi16ELi32ELi8ELb1ELb1ELc67ELc76EKS1_S1_EviT_T0_PT8_S3_lS6_S3_lS4_PT9_S3_li,@function
_ZL37rocblas_syrkx_herkx_restricted_kernelIi19rocblas_complex_numIfELi16ELi32ELi8ELb1ELb1ELc67ELc76EKS1_S1_EviT_T0_PT8_S3_lS6_S3_lS4_PT9_S3_li: ; @_ZL37rocblas_syrkx_herkx_restricted_kernelIi19rocblas_complex_numIfELi16ELi32ELi8ELb1ELb1ELc67ELc76EKS1_S1_EviT_T0_PT8_S3_lS6_S3_lS4_PT9_S3_li
; %bb.0:
	s_load_dwordx2 s[10:11], s[4:5], 0x0
	s_load_dwordx4 s[12:15], s[4:5], 0x8
	s_lshl_b32 s6, s6, 5
	s_lshl_b32 s7, s7, 5
	s_mov_b32 s9, 0
	s_waitcnt lgkmcnt(0)
	s_cmp_lt_i32 s11, 1
	s_cbranch_scc1 .LBB335_3
; %bb.1:
	v_lshl_add_u32 v3, v1, 4, v0
	v_and_b32_e32 v7, 31, v3
	s_load_dword s20, s[4:5], 0x18
	s_load_dwordx4 s[0:3], s[4:5], 0x20
	s_load_dword s18, s[4:5], 0x30
	s_load_dwordx2 s[16:17], s[4:5], 0x38
	v_lshrrev_b32_e32 v2, 5, v3
	v_and_b32_e32 v9, 7, v0
	v_lshlrev_b32_e32 v8, 3, v7
	v_lshrrev_b32_e32 v6, 3, v3
	v_lshl_or_b32 v11, v2, 8, v8
	v_lshlrev_b32_e32 v8, 3, v9
	v_add_u32_e32 v3, s7, v6
	v_lshl_or_b32 v6, v6, 6, v8
	v_mov_b32_e32 v10, 0
	v_add_u32_e32 v12, 0x800, v6
	v_mov_b32_e32 v6, 0x800
	s_waitcnt lgkmcnt(0)
	v_mad_i64_i32 v[4:5], s[18:19], s18, v3, v[9:10]
	v_mov_b32_e32 v3, v10
	v_lshl_add_u32 v14, v1, 6, v6
	v_add_u32_e32 v6, s6, v7
	v_mad_i64_i32 v[2:3], s[18:19], s20, v6, v[2:3]
	s_mul_i32 s1, s1, s8
	s_mul_hi_u32 s21, s0, s8
	s_add_i32 s1, s21, s1
	s_mul_i32 s0, s0, s8
	s_lshl_b64 s[0:1], s[0:1], 3
	v_lshlrev_b64 v[2:3], 3, v[2:3]
	s_add_u32 s0, s14, s0
	s_addc_u32 s1, s15, s1
	v_mov_b32_e32 v6, s1
	v_add_co_u32_e32 v2, vcc, s0, v2
	s_mul_i32 s0, s17, s8
	s_mul_hi_u32 s1, s16, s8
	v_addc_co_u32_e32 v3, vcc, v6, v3, vcc
	s_add_i32 s1, s1, s0
	s_mul_i32 s0, s16, s8
	v_add_co_u32_e32 v6, vcc, 4, v2
	s_lshl_b64 s[0:1], s[0:1], 3
	v_addc_co_u32_e32 v7, vcc, 0, v3, vcc
	v_lshlrev_b64 v[2:3], 3, v[4:5]
	s_add_u32 s0, s2, s0
	s_addc_u32 s1, s3, s1
	v_mov_b32_e32 v4, s1
	v_add_co_u32_e32 v2, vcc, s0, v2
	v_addc_co_u32_e32 v3, vcc, v4, v3, vcc
	v_add_co_u32_e32 v8, vcc, 4, v2
	v_lshlrev_b32_e32 v13, 3, v0
	v_addc_co_u32_e32 v9, vcc, 0, v3, vcc
	v_mov_b32_e32 v15, v10
	v_mov_b32_e32 v17, v10
	;; [unrolled: 1-line block ×7, first 2 shown]
.LBB335_2:                              ; =>This Inner Loop Header: Depth=1
	global_load_dwordx2 v[2:3], v[6:7], off offset:-4
	v_add_co_u32_e32 v6, vcc, 64, v6
	v_addc_co_u32_e32 v7, vcc, 0, v7, vcc
	s_add_i32 s9, s9, 8
	s_cmp_ge_i32 s9, s11
	s_waitcnt vmcnt(0)
	v_xor_b32_e32 v3, 0x80000000, v3
	ds_write_b64 v11, v[2:3]
	global_load_dwordx2 v[2:3], v[8:9], off offset:-4
	v_add_co_u32_e32 v8, vcc, 64, v8
	v_addc_co_u32_e32 v9, vcc, 0, v9, vcc
	s_waitcnt vmcnt(0)
	ds_write_b64 v12, v[2:3]
	s_waitcnt lgkmcnt(0)
	s_barrier
	ds_read_b128 v[22:25], v14
	ds_read_b128 v[26:29], v14 offset:16
	ds_read_b128 v[30:33], v14 offset:32
	;; [unrolled: 1-line block ×3, first 2 shown]
	ds_read2_b64 v[34:37], v13 offset1:16
	s_waitcnt lgkmcnt(0)
	v_mul_f32_e32 v38, v23, v35
	v_mul_f32_e32 v39, v22, v35
	v_fma_f32 v38, v22, v34, -v38
	v_fmac_f32_e32 v39, v23, v34
	v_add_f32_e32 v38, v20, v38
	v_add_f32_e32 v39, v21, v39
	v_mul_f32_e32 v20, v23, v37
	v_mul_f32_e32 v21, v22, v37
	v_fma_f32 v20, v22, v36, -v20
	v_fmac_f32_e32 v21, v23, v36
	v_add_f32_e32 v22, v18, v20
	v_add_f32_e32 v23, v19, v21
	ds_read_b128 v[18:21], v14 offset:1024
	s_waitcnt lgkmcnt(0)
	v_mul_f32_e32 v40, v19, v35
	v_mul_f32_e32 v35, v18, v35
	v_fma_f32 v40, v18, v34, -v40
	v_fmac_f32_e32 v35, v19, v34
	v_add_f32_e32 v34, v16, v40
	v_add_f32_e32 v35, v17, v35
	v_mul_f32_e32 v16, v19, v37
	v_mul_f32_e32 v17, v18, v37
	v_fma_f32 v16, v18, v36, -v16
	v_fmac_f32_e32 v17, v19, v36
	v_add_f32_e32 v19, v15, v16
	v_add_f32_e32 v10, v10, v17
	ds_read2_b64 v[15:18], v13 offset0:32 offset1:48
	s_waitcnt lgkmcnt(0)
	v_mul_f32_e32 v36, v25, v16
	v_fma_f32 v36, v24, v15, -v36
	v_add_f32_e32 v36, v38, v36
	v_mul_f32_e32 v38, v25, v18
	v_mul_f32_e32 v37, v24, v16
	v_fma_f32 v38, v24, v17, -v38
	v_mul_f32_e32 v24, v24, v18
	v_fmac_f32_e32 v24, v25, v17
	v_add_f32_e32 v23, v23, v24
	v_mul_f32_e32 v24, v21, v16
	v_mul_f32_e32 v16, v20, v16
	v_fmac_f32_e32 v16, v21, v15
	v_fmac_f32_e32 v37, v25, v15
	v_fma_f32 v24, v20, v15, -v24
	v_add_f32_e32 v25, v35, v16
	v_mul_f32_e32 v15, v21, v18
	v_mul_f32_e32 v16, v20, v18
	v_fma_f32 v15, v20, v17, -v15
	v_fmac_f32_e32 v16, v21, v17
	v_add_f32_e32 v24, v34, v24
	v_add_f32_e32 v34, v19, v15
	;; [unrolled: 1-line block ×3, first 2 shown]
	ds_read2_b64 v[15:18], v13 offset0:64 offset1:80
	v_add_f32_e32 v37, v39, v37
	v_add_f32_e32 v22, v22, v38
	s_waitcnt lgkmcnt(0)
	v_mul_f32_e32 v19, v27, v16
	v_mul_f32_e32 v20, v26, v16
	v_fma_f32 v19, v26, v15, -v19
	v_fmac_f32_e32 v20, v27, v15
	v_add_f32_e32 v35, v36, v19
	v_add_f32_e32 v36, v37, v20
	v_mul_f32_e32 v19, v27, v18
	v_mul_f32_e32 v20, v26, v18
	v_fma_f32 v19, v26, v17, -v19
	v_fmac_f32_e32 v20, v27, v17
	v_add_f32_e32 v26, v22, v19
	v_add_f32_e32 v23, v23, v20
	ds_read_b128 v[19:22], v14 offset:1040
	s_waitcnt lgkmcnt(0)
	v_mul_f32_e32 v27, v20, v16
	v_mul_f32_e32 v16, v19, v16
	v_fmac_f32_e32 v16, v20, v15
	v_fma_f32 v27, v19, v15, -v27
	v_add_f32_e32 v25, v25, v16
	v_mul_f32_e32 v15, v20, v18
	v_mul_f32_e32 v16, v19, v18
	v_fma_f32 v15, v19, v17, -v15
	v_fmac_f32_e32 v16, v20, v17
	v_add_f32_e32 v19, v34, v15
	v_add_f32_e32 v10, v10, v16
	ds_read2_b64 v[15:18], v13 offset0:96 offset1:112
	v_add_f32_e32 v24, v24, v27
	s_waitcnt lgkmcnt(0)
	v_mul_f32_e32 v20, v29, v16
	v_mul_f32_e32 v34, v29, v18
	v_fma_f32 v20, v28, v15, -v20
	v_mul_f32_e32 v27, v28, v16
	v_fma_f32 v34, v28, v17, -v34
	v_mul_f32_e32 v28, v28, v18
	v_fmac_f32_e32 v28, v29, v17
	v_add_f32_e32 v23, v23, v28
	v_mul_f32_e32 v28, v22, v16
	v_mul_f32_e32 v16, v21, v16
	v_fmac_f32_e32 v16, v22, v15
	v_fmac_f32_e32 v27, v29, v15
	v_fma_f32 v28, v21, v15, -v28
	v_add_f32_e32 v25, v25, v16
	v_mul_f32_e32 v15, v22, v18
	v_mul_f32_e32 v16, v21, v18
	v_fma_f32 v15, v21, v17, -v15
	v_fmac_f32_e32 v16, v22, v17
	v_add_f32_e32 v24, v24, v28
	v_add_f32_e32 v28, v19, v15
	;; [unrolled: 1-line block ×3, first 2 shown]
	ds_read2_b64 v[15:18], v13 offset0:128 offset1:144
	v_add_f32_e32 v20, v35, v20
	v_add_f32_e32 v27, v36, v27
	;; [unrolled: 1-line block ×3, first 2 shown]
	s_waitcnt lgkmcnt(0)
	v_mul_f32_e32 v19, v31, v16
	v_fma_f32 v19, v30, v15, -v19
	v_mul_f32_e32 v21, v30, v16
	v_add_f32_e32 v29, v20, v19
	v_mul_f32_e32 v19, v31, v18
	v_mul_f32_e32 v20, v30, v18
	v_fmac_f32_e32 v21, v31, v15
	v_fma_f32 v19, v30, v17, -v19
	v_fmac_f32_e32 v20, v31, v17
	v_add_f32_e32 v27, v27, v21
	v_add_f32_e32 v26, v26, v19
	;; [unrolled: 1-line block ×3, first 2 shown]
	ds_read_b128 v[19:22], v14 offset:1056
	s_waitcnt lgkmcnt(0)
	v_mul_f32_e32 v30, v20, v16
	v_mul_f32_e32 v16, v19, v16
	v_fmac_f32_e32 v16, v20, v15
	v_fma_f32 v30, v19, v15, -v30
	v_add_f32_e32 v25, v25, v16
	v_mul_f32_e32 v15, v20, v18
	v_mul_f32_e32 v16, v19, v18
	v_fma_f32 v15, v19, v17, -v15
	v_fmac_f32_e32 v16, v20, v17
	v_add_f32_e32 v19, v28, v15
	v_add_f32_e32 v10, v10, v16
	ds_read2_b64 v[15:18], v13 offset0:160 offset1:176
	v_add_f32_e32 v24, v24, v30
	s_waitcnt lgkmcnt(0)
	v_mul_f32_e32 v28, v32, v16
	v_fmac_f32_e32 v28, v33, v15
	v_add_f32_e32 v27, v27, v28
	v_mul_f32_e32 v28, v33, v18
	v_fma_f32 v28, v32, v17, -v28
	v_mul_f32_e32 v20, v33, v16
	v_add_f32_e32 v26, v26, v28
	v_mul_f32_e32 v28, v22, v16
	v_mul_f32_e32 v16, v21, v16
	v_fmac_f32_e32 v16, v22, v15
	v_fma_f32 v20, v32, v15, -v20
	v_fma_f32 v28, v21, v15, -v28
	v_add_f32_e32 v25, v25, v16
	v_mul_f32_e32 v15, v22, v18
	v_mul_f32_e32 v16, v21, v18
	v_add_f32_e32 v20, v29, v20
	v_mul_f32_e32 v29, v32, v18
	v_fma_f32 v15, v21, v17, -v15
	v_fmac_f32_e32 v16, v22, v17
	v_fmac_f32_e32 v29, v33, v17
	v_add_f32_e32 v19, v19, v15
	v_add_f32_e32 v10, v10, v16
	ds_read2_b64 v[15:18], v13 offset0:192 offset1:208
	v_add_f32_e32 v24, v24, v28
	v_add_f32_e32 v23, v23, v29
	s_waitcnt lgkmcnt(0)
	v_mul_f32_e32 v21, v3, v16
	v_fma_f32 v21, v2, v15, -v21
	v_add_f32_e32 v28, v20, v21
	v_mul_f32_e32 v20, v3, v18
	v_mul_f32_e32 v22, v2, v16
	v_fma_f32 v20, v2, v17, -v20
	v_mul_f32_e32 v2, v2, v18
	v_fmac_f32_e32 v22, v3, v15
	v_fmac_f32_e32 v2, v3, v17
	v_add_f32_e32 v29, v27, v22
	v_add_f32_e32 v3, v26, v20
	;; [unrolled: 1-line block ×3, first 2 shown]
	ds_read_b128 v[20:23], v14 offset:1072
	s_waitcnt lgkmcnt(0)
	v_mul_f32_e32 v26, v21, v16
	v_mul_f32_e32 v16, v20, v16
	v_fma_f32 v26, v20, v15, -v26
	v_fmac_f32_e32 v16, v21, v15
	v_add_f32_e32 v15, v24, v26
	v_add_f32_e32 v30, v25, v16
	ds_read2_b64 v[24:27], v13 offset0:224 offset1:240
	v_mul_f32_e32 v16, v21, v18
	v_fma_f32 v16, v20, v17, -v16
	v_add_f32_e32 v31, v19, v16
	v_mul_f32_e32 v18, v20, v18
	s_waitcnt lgkmcnt(0)
	v_mul_f32_e32 v16, v5, v25
	v_fma_f32 v16, v4, v24, -v16
	v_add_f32_e32 v20, v28, v16
	v_mul_f32_e32 v16, v5, v27
	v_fmac_f32_e32 v18, v21, v17
	v_mul_f32_e32 v17, v4, v25
	v_fma_f32 v16, v4, v26, -v16
	v_mul_f32_e32 v4, v4, v27
	v_fmac_f32_e32 v4, v5, v26
	v_add_f32_e32 v10, v10, v18
	v_add_f32_e32 v18, v3, v16
	;; [unrolled: 1-line block ×3, first 2 shown]
	v_mul_f32_e32 v2, v23, v25
	v_mul_f32_e32 v3, v22, v25
	v_fmac_f32_e32 v17, v5, v24
	v_fma_f32 v2, v22, v24, -v2
	v_fmac_f32_e32 v3, v23, v24
	v_add_f32_e32 v21, v29, v17
	v_add_f32_e32 v16, v15, v2
	;; [unrolled: 1-line block ×3, first 2 shown]
	v_mul_f32_e32 v2, v23, v27
	v_mul_f32_e32 v3, v22, v27
	v_fma_f32 v2, v22, v26, -v2
	v_fmac_f32_e32 v3, v23, v26
	v_add_f32_e32 v15, v31, v2
	v_add_f32_e32 v10, v10, v3
	s_barrier
	s_cbranch_scc0 .LBB335_2
	s_branch .LBB335_4
.LBB335_3:
	v_mov_b32_e32 v20, 0
	v_mov_b32_e32 v21, 0
	;; [unrolled: 1-line block ×8, first 2 shown]
.LBB335_4:
	s_load_dwordx2 s[0:1], s[4:5], 0x58
	s_load_dwordx2 s[2:3], s[4:5], 0x48
	s_load_dword s9, s[4:5], 0x50
	v_add_u32_e32 v5, s7, v1
	v_add_u32_e32 v0, s6, v0
	s_waitcnt lgkmcnt(0)
	s_mul_i32 s1, s1, s8
	s_mul_hi_u32 s4, s0, s8
	s_add_i32 s1, s4, s1
	v_mad_i64_i32 v[1:2], s[4:5], v5, s9, 0
	s_mul_i32 s0, s0, s8
	s_lshl_b64 s[0:1], s[0:1], 3
	s_add_u32 s7, s2, s0
	v_lshlrev_b64 v[1:2], 3, v[1:2]
	s_addc_u32 s8, s3, s1
	v_mov_b32_e32 v3, s8
	v_add_co_u32_e32 v4, vcc, s7, v1
	v_addc_co_u32_e32 v6, vcc, v3, v2, vcc
	v_cmp_le_i32_e64 s[0:1], v5, v0
	v_cmp_gt_i32_e32 vcc, s10, v0
	s_and_b64 s[0:1], s[0:1], vcc
	s_and_saveexec_b64 s[2:3], s[0:1]
	s_cbranch_execz .LBB335_7
; %bb.5:
	v_mul_f32_e32 v1, s13, v21
	v_fma_f32 v7, v20, s12, -v1
	v_ashrrev_i32_e32 v1, 31, v0
	v_lshlrev_b64 v[1:2], 3, v[0:1]
	v_mul_f32_e32 v8, s12, v21
	v_add_co_u32_e64 v1, s[0:1], v4, v1
	v_addc_co_u32_e64 v2, s[0:1], v6, v2, s[0:1]
	v_fmac_f32_e32 v8, s13, v20
	v_cmp_eq_u32_e64 s[0:1], v5, v0
	global_store_dwordx2 v[1:2], v[7:8], off
	s_and_b64 exec, exec, s[0:1]
	s_cbranch_execz .LBB335_7
; %bb.6:
	v_mov_b32_e32 v3, 0
	global_store_dword v[1:2], v3, off offset:4
.LBB335_7:
	s_or_b64 exec, exec, s[2:3]
	v_add_u32_e32 v2, 16, v0
	v_cmp_le_i32_e64 s[2:3], v5, v2
	v_cmp_gt_i32_e64 s[0:1], s10, v2
	s_and_b64 s[2:3], s[2:3], s[0:1]
	s_and_saveexec_b64 s[4:5], s[2:3]
	s_cbranch_execz .LBB335_10
; %bb.8:
	v_ashrrev_i32_e32 v3, 31, v2
	v_lshlrev_b64 v[11:12], 3, v[2:3]
	v_mul_f32_e32 v1, s13, v19
	v_add_co_u32_e64 v3, s[2:3], v4, v11
	v_mul_f32_e32 v8, s12, v19
	v_addc_co_u32_e64 v4, s[2:3], v6, v12, s[2:3]
	v_fma_f32 v7, v18, s12, -v1
	v_fmac_f32_e32 v8, s13, v18
	v_cmp_eq_u32_e64 s[2:3], v5, v2
	global_store_dwordx2 v[3:4], v[7:8], off
	s_and_b64 exec, exec, s[2:3]
	s_cbranch_execz .LBB335_10
; %bb.9:
	v_mov_b32_e32 v1, 0
	global_store_dword v[3:4], v1, off offset:4
.LBB335_10:
	s_or_b64 exec, exec, s[4:5]
	v_add_u32_e32 v8, 16, v5
	v_mad_i64_i32 v[3:4], s[2:3], v8, s9, 0
	v_mov_b32_e32 v1, s8
	v_lshlrev_b64 v[3:4], 3, v[3:4]
	v_add_co_u32_e64 v6, s[2:3], s7, v3
	v_addc_co_u32_e64 v7, s[2:3], v1, v4, s[2:3]
	v_cmp_le_i32_e64 s[2:3], v8, v0
	s_and_b64 s[4:5], s[2:3], vcc
	s_and_saveexec_b64 s[2:3], s[4:5]
	s_cbranch_execz .LBB335_13
; %bb.11:
	v_mul_f32_e32 v1, s13, v17
	v_fma_f32 v11, v16, s12, -v1
	v_ashrrev_i32_e32 v1, 31, v0
	v_lshlrev_b64 v[3:4], 3, v[0:1]
	v_mul_f32_e32 v12, s12, v17
	v_add_co_u32_e32 v3, vcc, v6, v3
	v_addc_co_u32_e32 v4, vcc, v7, v4, vcc
	v_fmac_f32_e32 v12, s13, v16
	v_cmp_eq_u32_e32 vcc, v8, v0
	global_store_dwordx2 v[3:4], v[11:12], off
	s_and_b64 exec, exec, vcc
	s_cbranch_execz .LBB335_13
; %bb.12:
	v_mov_b32_e32 v1, 0
	global_store_dword v[3:4], v1, off offset:4
.LBB335_13:
	s_or_b64 exec, exec, s[2:3]
	v_cmp_le_i32_e32 vcc, v8, v2
	s_and_b64 s[0:1], vcc, s[0:1]
	s_and_saveexec_b64 s[2:3], s[0:1]
	s_cbranch_execz .LBB335_16
; %bb.14:
	v_mul_f32_e32 v1, s13, v10
	v_ashrrev_i32_e32 v3, 31, v2
	v_fma_f32 v8, v15, s12, -v1
	v_lshlrev_b64 v[1:2], 3, v[2:3]
	v_mul_f32_e32 v9, s12, v10
	v_add_co_u32_e32 v1, vcc, v6, v1
	v_addc_co_u32_e32 v2, vcc, v7, v2, vcc
	v_fmac_f32_e32 v9, s13, v15
	v_cmp_eq_u32_e32 vcc, v5, v0
	global_store_dwordx2 v[1:2], v[8:9], off
	s_and_b64 exec, exec, vcc
	s_cbranch_execz .LBB335_16
; %bb.15:
	v_mov_b32_e32 v0, 0
	global_store_dword v[1:2], v0, off offset:4
.LBB335_16:
	s_endpgm
	.section	.rodata,"a",@progbits
	.p2align	6, 0x0
	.amdhsa_kernel _ZL37rocblas_syrkx_herkx_restricted_kernelIi19rocblas_complex_numIfELi16ELi32ELi8ELb1ELb1ELc67ELc76EKS1_S1_EviT_T0_PT8_S3_lS6_S3_lS4_PT9_S3_li
		.amdhsa_group_segment_fixed_size 4096
		.amdhsa_private_segment_fixed_size 0
		.amdhsa_kernarg_size 100
		.amdhsa_user_sgpr_count 6
		.amdhsa_user_sgpr_private_segment_buffer 1
		.amdhsa_user_sgpr_dispatch_ptr 0
		.amdhsa_user_sgpr_queue_ptr 0
		.amdhsa_user_sgpr_kernarg_segment_ptr 1
		.amdhsa_user_sgpr_dispatch_id 0
		.amdhsa_user_sgpr_flat_scratch_init 0
		.amdhsa_user_sgpr_private_segment_size 0
		.amdhsa_uses_dynamic_stack 0
		.amdhsa_system_sgpr_private_segment_wavefront_offset 0
		.amdhsa_system_sgpr_workgroup_id_x 1
		.amdhsa_system_sgpr_workgroup_id_y 1
		.amdhsa_system_sgpr_workgroup_id_z 1
		.amdhsa_system_sgpr_workgroup_info 0
		.amdhsa_system_vgpr_workitem_id 1
		.amdhsa_next_free_vgpr 41
		.amdhsa_next_free_sgpr 22
		.amdhsa_reserve_vcc 1
		.amdhsa_reserve_flat_scratch 0
		.amdhsa_float_round_mode_32 0
		.amdhsa_float_round_mode_16_64 0
		.amdhsa_float_denorm_mode_32 3
		.amdhsa_float_denorm_mode_16_64 3
		.amdhsa_dx10_clamp 1
		.amdhsa_ieee_mode 1
		.amdhsa_fp16_overflow 0
		.amdhsa_exception_fp_ieee_invalid_op 0
		.amdhsa_exception_fp_denorm_src 0
		.amdhsa_exception_fp_ieee_div_zero 0
		.amdhsa_exception_fp_ieee_overflow 0
		.amdhsa_exception_fp_ieee_underflow 0
		.amdhsa_exception_fp_ieee_inexact 0
		.amdhsa_exception_int_div_zero 0
	.end_amdhsa_kernel
	.section	.text._ZL37rocblas_syrkx_herkx_restricted_kernelIi19rocblas_complex_numIfELi16ELi32ELi8ELb1ELb1ELc67ELc76EKS1_S1_EviT_T0_PT8_S3_lS6_S3_lS4_PT9_S3_li,"axG",@progbits,_ZL37rocblas_syrkx_herkx_restricted_kernelIi19rocblas_complex_numIfELi16ELi32ELi8ELb1ELb1ELc67ELc76EKS1_S1_EviT_T0_PT8_S3_lS6_S3_lS4_PT9_S3_li,comdat
.Lfunc_end335:
	.size	_ZL37rocblas_syrkx_herkx_restricted_kernelIi19rocblas_complex_numIfELi16ELi32ELi8ELb1ELb1ELc67ELc76EKS1_S1_EviT_T0_PT8_S3_lS6_S3_lS4_PT9_S3_li, .Lfunc_end335-_ZL37rocblas_syrkx_herkx_restricted_kernelIi19rocblas_complex_numIfELi16ELi32ELi8ELb1ELb1ELc67ELc76EKS1_S1_EviT_T0_PT8_S3_lS6_S3_lS4_PT9_S3_li
                                        ; -- End function
	.set _ZL37rocblas_syrkx_herkx_restricted_kernelIi19rocblas_complex_numIfELi16ELi32ELi8ELb1ELb1ELc67ELc76EKS1_S1_EviT_T0_PT8_S3_lS6_S3_lS4_PT9_S3_li.num_vgpr, 41
	.set _ZL37rocblas_syrkx_herkx_restricted_kernelIi19rocblas_complex_numIfELi16ELi32ELi8ELb1ELb1ELc67ELc76EKS1_S1_EviT_T0_PT8_S3_lS6_S3_lS4_PT9_S3_li.num_agpr, 0
	.set _ZL37rocblas_syrkx_herkx_restricted_kernelIi19rocblas_complex_numIfELi16ELi32ELi8ELb1ELb1ELc67ELc76EKS1_S1_EviT_T0_PT8_S3_lS6_S3_lS4_PT9_S3_li.numbered_sgpr, 22
	.set _ZL37rocblas_syrkx_herkx_restricted_kernelIi19rocblas_complex_numIfELi16ELi32ELi8ELb1ELb1ELc67ELc76EKS1_S1_EviT_T0_PT8_S3_lS6_S3_lS4_PT9_S3_li.num_named_barrier, 0
	.set _ZL37rocblas_syrkx_herkx_restricted_kernelIi19rocblas_complex_numIfELi16ELi32ELi8ELb1ELb1ELc67ELc76EKS1_S1_EviT_T0_PT8_S3_lS6_S3_lS4_PT9_S3_li.private_seg_size, 0
	.set _ZL37rocblas_syrkx_herkx_restricted_kernelIi19rocblas_complex_numIfELi16ELi32ELi8ELb1ELb1ELc67ELc76EKS1_S1_EviT_T0_PT8_S3_lS6_S3_lS4_PT9_S3_li.uses_vcc, 1
	.set _ZL37rocblas_syrkx_herkx_restricted_kernelIi19rocblas_complex_numIfELi16ELi32ELi8ELb1ELb1ELc67ELc76EKS1_S1_EviT_T0_PT8_S3_lS6_S3_lS4_PT9_S3_li.uses_flat_scratch, 0
	.set _ZL37rocblas_syrkx_herkx_restricted_kernelIi19rocblas_complex_numIfELi16ELi32ELi8ELb1ELb1ELc67ELc76EKS1_S1_EviT_T0_PT8_S3_lS6_S3_lS4_PT9_S3_li.has_dyn_sized_stack, 0
	.set _ZL37rocblas_syrkx_herkx_restricted_kernelIi19rocblas_complex_numIfELi16ELi32ELi8ELb1ELb1ELc67ELc76EKS1_S1_EviT_T0_PT8_S3_lS6_S3_lS4_PT9_S3_li.has_recursion, 0
	.set _ZL37rocblas_syrkx_herkx_restricted_kernelIi19rocblas_complex_numIfELi16ELi32ELi8ELb1ELb1ELc67ELc76EKS1_S1_EviT_T0_PT8_S3_lS6_S3_lS4_PT9_S3_li.has_indirect_call, 0
	.section	.AMDGPU.csdata,"",@progbits
; Kernel info:
; codeLenInByte = 2072
; TotalNumSgprs: 26
; NumVgprs: 41
; ScratchSize: 0
; MemoryBound: 0
; FloatMode: 240
; IeeeMode: 1
; LDSByteSize: 4096 bytes/workgroup (compile time only)
; SGPRBlocks: 3
; VGPRBlocks: 10
; NumSGPRsForWavesPerEU: 26
; NumVGPRsForWavesPerEU: 41
; Occupancy: 5
; WaveLimiterHint : 0
; COMPUTE_PGM_RSRC2:SCRATCH_EN: 0
; COMPUTE_PGM_RSRC2:USER_SGPR: 6
; COMPUTE_PGM_RSRC2:TRAP_HANDLER: 0
; COMPUTE_PGM_RSRC2:TGID_X_EN: 1
; COMPUTE_PGM_RSRC2:TGID_Y_EN: 1
; COMPUTE_PGM_RSRC2:TGID_Z_EN: 1
; COMPUTE_PGM_RSRC2:TIDIG_COMP_CNT: 1
	.section	.text._ZL37rocblas_syrkx_herkx_restricted_kernelIi19rocblas_complex_numIfELi16ELi32ELi8ELb1ELb1ELc78ELc76EKS1_S1_EviT_T0_PT8_S3_lS6_S3_lS4_PT9_S3_li,"axG",@progbits,_ZL37rocblas_syrkx_herkx_restricted_kernelIi19rocblas_complex_numIfELi16ELi32ELi8ELb1ELb1ELc78ELc76EKS1_S1_EviT_T0_PT8_S3_lS6_S3_lS4_PT9_S3_li,comdat
	.globl	_ZL37rocblas_syrkx_herkx_restricted_kernelIi19rocblas_complex_numIfELi16ELi32ELi8ELb1ELb1ELc78ELc76EKS1_S1_EviT_T0_PT8_S3_lS6_S3_lS4_PT9_S3_li ; -- Begin function _ZL37rocblas_syrkx_herkx_restricted_kernelIi19rocblas_complex_numIfELi16ELi32ELi8ELb1ELb1ELc78ELc76EKS1_S1_EviT_T0_PT8_S3_lS6_S3_lS4_PT9_S3_li
	.p2align	8
	.type	_ZL37rocblas_syrkx_herkx_restricted_kernelIi19rocblas_complex_numIfELi16ELi32ELi8ELb1ELb1ELc78ELc76EKS1_S1_EviT_T0_PT8_S3_lS6_S3_lS4_PT9_S3_li,@function
_ZL37rocblas_syrkx_herkx_restricted_kernelIi19rocblas_complex_numIfELi16ELi32ELi8ELb1ELb1ELc78ELc76EKS1_S1_EviT_T0_PT8_S3_lS6_S3_lS4_PT9_S3_li: ; @_ZL37rocblas_syrkx_herkx_restricted_kernelIi19rocblas_complex_numIfELi16ELi32ELi8ELb1ELb1ELc78ELc76EKS1_S1_EviT_T0_PT8_S3_lS6_S3_lS4_PT9_S3_li
; %bb.0:
	s_load_dwordx2 s[10:11], s[4:5], 0x0
	s_load_dwordx4 s[12:15], s[4:5], 0x8
	s_lshl_b32 s6, s6, 5
	s_lshl_b32 s7, s7, 5
	s_mov_b32 s9, 0
	s_waitcnt lgkmcnt(0)
	s_cmp_lt_i32 s11, 1
	s_cbranch_scc1 .LBB336_3
; %bb.1:
	v_lshl_add_u32 v2, v1, 4, v0
	s_load_dword s16, s[4:5], 0x18
	s_load_dword s18, s[4:5], 0x30
	s_load_dwordx2 s[20:21], s[4:5], 0x38
	s_load_dwordx4 s[0:3], s[4:5], 0x20
	v_lshrrev_b32_e32 v4, 3, v2
	v_lshrrev_b32_e32 v6, 5, v2
	v_and_b32_e32 v7, 31, v2
	v_add_u32_e32 v2, s7, v4
	v_and_b32_e32 v5, 7, v0
	v_ashrrev_i32_e32 v3, 31, v2
	s_waitcnt lgkmcnt(0)
	v_mad_i64_i32 v[2:3], s[22:23], s18, v5, v[2:3]
	v_lshlrev_b32_e32 v5, 3, v5
	v_lshl_or_b32 v4, v4, 6, v5
	v_add_u32_e32 v11, 0x800, v4
	v_mov_b32_e32 v4, 0x800
	v_lshl_add_u32 v13, v1, 6, v4
	v_add_u32_e32 v4, s6, v7
	v_ashrrev_i32_e32 v5, 31, v4
	v_mad_i64_i32 v[4:5], s[22:23], s16, v6, v[4:5]
	s_mul_i32 s1, s1, s8
	s_mul_hi_u32 s24, s0, s8
	s_add_i32 s1, s24, s1
	s_mul_i32 s0, s0, s8
	s_ashr_i32 s17, s16, 31
	s_ashr_i32 s19, s18, 31
	s_lshl_b64 s[0:1], s[0:1], 3
	v_lshlrev_b64 v[4:5], 3, v[4:5]
	s_add_u32 s0, s14, s0
	v_lshlrev_b32_e32 v8, 3, v7
	s_addc_u32 s1, s15, s1
	s_mul_i32 s14, s21, s8
	s_mul_hi_u32 s15, s20, s8
	v_lshl_or_b32 v10, v6, 8, v8
	v_mov_b32_e32 v6, s1
	v_add_co_u32_e32 v4, vcc, s0, v4
	s_add_i32 s15, s15, s14
	s_mul_i32 s14, s20, s8
	v_addc_co_u32_e32 v5, vcc, v6, v5, vcc
	s_lshl_b64 s[0:1], s[16:17], 6
	s_lshl_b64 s[14:15], s[14:15], 3
	v_add_co_u32_e32 v6, vcc, 4, v4
	v_lshlrev_b64 v[2:3], 3, v[2:3]
	s_add_u32 s2, s2, s14
	v_addc_co_u32_e32 v7, vcc, 0, v5, vcc
	s_addc_u32 s3, s3, s15
	v_mov_b32_e32 v4, s3
	v_add_co_u32_e32 v2, vcc, s2, v2
	v_addc_co_u32_e32 v3, vcc, v4, v3, vcc
	v_add_co_u32_e32 v8, vcc, 4, v2
	s_lshl_b64 s[2:3], s[18:19], 6
	v_lshlrev_b32_e32 v12, 3, v0
	v_addc_co_u32_e32 v9, vcc, 0, v3, vcc
	v_mov_b32_e32 v16, 0
	v_mov_b32_e32 v14, s1
	;; [unrolled: 1-line block ×10, first 2 shown]
.LBB336_2:                              ; =>This Inner Loop Header: Depth=1
	global_load_dwordx2 v[2:3], v[6:7], off offset:-4
	v_add_co_u32_e32 v6, vcc, s0, v6
	v_addc_co_u32_e32 v7, vcc, v7, v14, vcc
	s_add_i32 s9, s9, 8
	s_cmp_ge_i32 s9, s11
	s_waitcnt vmcnt(0)
	ds_write_b64 v10, v[2:3]
	global_load_dwordx2 v[2:3], v[8:9], off offset:-4
	v_add_co_u32_e32 v8, vcc, s2, v8
	v_addc_co_u32_e32 v9, vcc, v9, v15, vcc
	s_waitcnt vmcnt(0)
	v_xor_b32_e32 v3, 0x80000000, v3
	ds_write_b64 v11, v[2:3]
	s_waitcnt lgkmcnt(0)
	s_barrier
	ds_read_b128 v[24:27], v13
	ds_read_b128 v[28:31], v13 offset:16
	ds_read_b128 v[32:35], v13 offset:32
	;; [unrolled: 1-line block ×3, first 2 shown]
	ds_read2_b64 v[36:39], v12 offset1:16
	s_waitcnt lgkmcnt(0)
	v_mul_f32_e32 v40, v25, v37
	v_mul_f32_e32 v41, v24, v37
	v_fma_f32 v40, v24, v36, -v40
	v_fmac_f32_e32 v41, v25, v36
	v_add_f32_e32 v40, v22, v40
	v_add_f32_e32 v41, v23, v41
	v_mul_f32_e32 v22, v25, v39
	v_mul_f32_e32 v23, v24, v39
	v_fma_f32 v22, v24, v38, -v22
	v_fmac_f32_e32 v23, v25, v38
	v_add_f32_e32 v24, v20, v22
	v_add_f32_e32 v25, v21, v23
	ds_read_b128 v[20:23], v13 offset:1024
	s_waitcnt lgkmcnt(0)
	v_mul_f32_e32 v42, v21, v37
	v_mul_f32_e32 v37, v20, v37
	v_fma_f32 v42, v20, v36, -v42
	v_fmac_f32_e32 v37, v21, v36
	v_add_f32_e32 v36, v18, v42
	v_add_f32_e32 v37, v19, v37
	v_mul_f32_e32 v18, v21, v39
	v_mul_f32_e32 v19, v20, v39
	v_fma_f32 v18, v20, v38, -v18
	v_fmac_f32_e32 v19, v21, v38
	v_add_f32_e32 v20, v17, v18
	v_add_f32_e32 v21, v16, v19
	ds_read2_b64 v[16:19], v12 offset0:32 offset1:48
	s_waitcnt lgkmcnt(0)
	v_mul_f32_e32 v38, v27, v17
	v_fma_f32 v38, v26, v16, -v38
	v_add_f32_e32 v38, v40, v38
	v_mul_f32_e32 v40, v27, v19
	v_mul_f32_e32 v39, v26, v17
	v_fma_f32 v40, v26, v18, -v40
	v_mul_f32_e32 v26, v26, v19
	v_fmac_f32_e32 v26, v27, v18
	v_add_f32_e32 v25, v25, v26
	v_mul_f32_e32 v26, v23, v17
	v_mul_f32_e32 v17, v22, v17
	v_fmac_f32_e32 v17, v23, v16
	v_fmac_f32_e32 v39, v27, v16
	v_fma_f32 v26, v22, v16, -v26
	v_add_f32_e32 v27, v37, v17
	v_mul_f32_e32 v16, v23, v19
	v_mul_f32_e32 v17, v22, v19
	v_fma_f32 v16, v22, v18, -v16
	v_fmac_f32_e32 v17, v23, v18
	v_add_f32_e32 v26, v36, v26
	v_add_f32_e32 v36, v20, v16
	;; [unrolled: 1-line block ×3, first 2 shown]
	ds_read2_b64 v[16:19], v12 offset0:64 offset1:80
	v_add_f32_e32 v39, v41, v39
	v_add_f32_e32 v24, v24, v40
	s_waitcnt lgkmcnt(0)
	v_mul_f32_e32 v20, v29, v17
	v_mul_f32_e32 v21, v28, v17
	v_fma_f32 v20, v28, v16, -v20
	v_fmac_f32_e32 v21, v29, v16
	v_add_f32_e32 v38, v38, v20
	v_add_f32_e32 v39, v39, v21
	v_mul_f32_e32 v20, v29, v19
	v_mul_f32_e32 v21, v28, v19
	v_fma_f32 v20, v28, v18, -v20
	v_fmac_f32_e32 v21, v29, v18
	v_add_f32_e32 v24, v24, v20
	v_add_f32_e32 v25, v25, v21
	ds_read_b128 v[20:23], v13 offset:1040
	s_waitcnt lgkmcnt(0)
	v_mul_f32_e32 v28, v21, v17
	v_mul_f32_e32 v17, v20, v17
	v_fmac_f32_e32 v17, v21, v16
	v_fma_f32 v28, v20, v16, -v28
	v_add_f32_e32 v27, v27, v17
	v_mul_f32_e32 v16, v21, v19
	v_mul_f32_e32 v17, v20, v19
	v_fma_f32 v16, v20, v18, -v16
	v_fmac_f32_e32 v17, v21, v18
	v_add_f32_e32 v20, v36, v16
	v_add_f32_e32 v21, v37, v17
	ds_read2_b64 v[16:19], v12 offset0:96 offset1:112
	v_add_f32_e32 v26, v26, v28
	s_waitcnt lgkmcnt(0)
	v_mul_f32_e32 v28, v31, v17
	v_mul_f32_e32 v36, v31, v19
	v_fma_f32 v28, v30, v16, -v28
	v_mul_f32_e32 v29, v30, v17
	v_fma_f32 v36, v30, v18, -v36
	v_mul_f32_e32 v30, v30, v19
	v_fmac_f32_e32 v30, v31, v18
	v_add_f32_e32 v25, v25, v30
	v_mul_f32_e32 v30, v23, v17
	v_mul_f32_e32 v17, v22, v17
	v_fmac_f32_e32 v17, v23, v16
	v_fmac_f32_e32 v29, v31, v16
	v_fma_f32 v30, v22, v16, -v30
	v_add_f32_e32 v27, v27, v17
	v_mul_f32_e32 v16, v23, v19
	v_mul_f32_e32 v17, v22, v19
	v_fma_f32 v16, v22, v18, -v16
	v_fmac_f32_e32 v17, v23, v18
	v_add_f32_e32 v26, v26, v30
	v_add_f32_e32 v30, v20, v16
	v_add_f32_e32 v31, v21, v17
	ds_read2_b64 v[16:19], v12 offset0:128 offset1:144
	v_add_f32_e32 v28, v38, v28
	v_add_f32_e32 v29, v39, v29
	;; [unrolled: 1-line block ×3, first 2 shown]
	s_waitcnt lgkmcnt(0)
	v_mul_f32_e32 v20, v33, v17
	v_mul_f32_e32 v21, v32, v17
	v_fma_f32 v20, v32, v16, -v20
	v_fmac_f32_e32 v21, v33, v16
	v_add_f32_e32 v28, v28, v20
	v_add_f32_e32 v29, v29, v21
	v_mul_f32_e32 v20, v33, v19
	v_mul_f32_e32 v21, v32, v19
	v_fma_f32 v20, v32, v18, -v20
	v_fmac_f32_e32 v21, v33, v18
	v_add_f32_e32 v24, v24, v20
	v_add_f32_e32 v25, v25, v21
	ds_read_b128 v[20:23], v13 offset:1056
	s_waitcnt lgkmcnt(0)
	v_mul_f32_e32 v32, v21, v17
	v_mul_f32_e32 v17, v20, v17
	v_fmac_f32_e32 v17, v21, v16
	v_fma_f32 v32, v20, v16, -v32
	v_add_f32_e32 v27, v27, v17
	v_mul_f32_e32 v16, v21, v19
	v_mul_f32_e32 v17, v20, v19
	v_fma_f32 v16, v20, v18, -v16
	v_fmac_f32_e32 v17, v21, v18
	v_add_f32_e32 v20, v30, v16
	v_add_f32_e32 v21, v31, v17
	ds_read2_b64 v[16:19], v12 offset0:160 offset1:176
	v_add_f32_e32 v26, v26, v32
	s_waitcnt lgkmcnt(0)
	v_mul_f32_e32 v30, v35, v17
	v_fma_f32 v30, v34, v16, -v30
	v_add_f32_e32 v28, v28, v30
	v_mul_f32_e32 v30, v35, v19
	v_fma_f32 v30, v34, v18, -v30
	v_mul_f32_e32 v31, v34, v17
	v_add_f32_e32 v24, v24, v30
	v_mul_f32_e32 v30, v23, v17
	v_mul_f32_e32 v17, v22, v17
	v_fmac_f32_e32 v17, v23, v16
	v_fmac_f32_e32 v31, v35, v16
	v_fma_f32 v30, v22, v16, -v30
	v_add_f32_e32 v27, v27, v17
	v_mul_f32_e32 v16, v23, v19
	v_mul_f32_e32 v17, v22, v19
	v_add_f32_e32 v29, v29, v31
	v_mul_f32_e32 v31, v34, v19
	v_fma_f32 v16, v22, v18, -v16
	v_fmac_f32_e32 v17, v23, v18
	v_fmac_f32_e32 v31, v35, v18
	v_add_f32_e32 v20, v20, v16
	v_add_f32_e32 v21, v21, v17
	ds_read2_b64 v[16:19], v12 offset0:192 offset1:208
	v_add_f32_e32 v26, v26, v30
	v_add_f32_e32 v25, v25, v31
	s_waitcnt lgkmcnt(0)
	v_mul_f32_e32 v22, v3, v17
	v_fma_f32 v22, v2, v16, -v22
	v_add_f32_e32 v30, v28, v22
	v_mul_f32_e32 v22, v3, v19
	v_mul_f32_e32 v23, v2, v17
	v_fma_f32 v22, v2, v18, -v22
	v_mul_f32_e32 v2, v2, v19
	v_fmac_f32_e32 v23, v3, v16
	v_fmac_f32_e32 v2, v3, v18
	v_add_f32_e32 v31, v29, v23
	v_add_f32_e32 v3, v24, v22
	;; [unrolled: 1-line block ×3, first 2 shown]
	ds_read_b128 v[22:25], v13 offset:1072
	s_waitcnt lgkmcnt(0)
	v_mul_f32_e32 v28, v23, v17
	v_fma_f32 v28, v22, v16, -v28
	v_mul_f32_e32 v17, v22, v17
	v_fmac_f32_e32 v17, v23, v16
	v_add_f32_e32 v16, v26, v28
	v_mul_f32_e32 v26, v23, v19
	v_fma_f32 v26, v22, v18, -v26
	v_add_f32_e32 v17, v27, v17
	v_add_f32_e32 v32, v20, v26
	ds_read2_b64 v[26:29], v12 offset0:224 offset1:240
	v_mul_f32_e32 v19, v22, v19
	v_fmac_f32_e32 v19, v23, v18
	v_add_f32_e32 v33, v21, v19
	s_waitcnt lgkmcnt(0)
	v_mul_f32_e32 v18, v5, v27
	v_fma_f32 v18, v4, v26, -v18
	v_add_f32_e32 v22, v30, v18
	v_mul_f32_e32 v18, v5, v29
	v_mul_f32_e32 v19, v4, v27
	v_fma_f32 v18, v4, v28, -v18
	v_mul_f32_e32 v4, v4, v29
	v_fmac_f32_e32 v4, v5, v28
	v_add_f32_e32 v20, v3, v18
	v_add_f32_e32 v21, v2, v4
	v_mul_f32_e32 v2, v25, v27
	v_mul_f32_e32 v3, v24, v27
	v_fmac_f32_e32 v19, v5, v26
	v_fma_f32 v2, v24, v26, -v2
	v_fmac_f32_e32 v3, v25, v26
	v_add_f32_e32 v23, v31, v19
	v_add_f32_e32 v18, v16, v2
	;; [unrolled: 1-line block ×3, first 2 shown]
	v_mul_f32_e32 v2, v25, v29
	v_mul_f32_e32 v3, v24, v29
	v_fma_f32 v2, v24, v28, -v2
	v_fmac_f32_e32 v3, v25, v28
	v_add_f32_e32 v17, v32, v2
	v_add_f32_e32 v16, v33, v3
	s_barrier
	s_cbranch_scc0 .LBB336_2
	s_branch .LBB336_4
.LBB336_3:
	v_mov_b32_e32 v22, 0
	v_mov_b32_e32 v23, 0
	;; [unrolled: 1-line block ×8, first 2 shown]
.LBB336_4:
	s_load_dwordx2 s[0:1], s[4:5], 0x58
	s_load_dwordx2 s[2:3], s[4:5], 0x48
	s_load_dword s9, s[4:5], 0x50
	v_add_u32_e32 v5, s7, v1
	v_add_u32_e32 v0, s6, v0
	s_waitcnt lgkmcnt(0)
	s_mul_i32 s1, s1, s8
	s_mul_hi_u32 s4, s0, s8
	s_add_i32 s1, s4, s1
	v_mad_i64_i32 v[1:2], s[4:5], v5, s9, 0
	s_mul_i32 s0, s0, s8
	s_lshl_b64 s[0:1], s[0:1], 3
	s_add_u32 s7, s2, s0
	v_lshlrev_b64 v[1:2], 3, v[1:2]
	s_addc_u32 s8, s3, s1
	v_mov_b32_e32 v3, s8
	v_add_co_u32_e32 v4, vcc, s7, v1
	v_addc_co_u32_e32 v6, vcc, v3, v2, vcc
	v_cmp_le_i32_e64 s[0:1], v5, v0
	v_cmp_gt_i32_e32 vcc, s10, v0
	s_and_b64 s[0:1], s[0:1], vcc
	s_and_saveexec_b64 s[2:3], s[0:1]
	s_cbranch_execz .LBB336_7
; %bb.5:
	v_mul_f32_e32 v1, s13, v23
	v_fma_f32 v7, v22, s12, -v1
	v_ashrrev_i32_e32 v1, 31, v0
	v_lshlrev_b64 v[1:2], 3, v[0:1]
	v_mul_f32_e32 v8, s12, v23
	v_add_co_u32_e64 v1, s[0:1], v4, v1
	v_addc_co_u32_e64 v2, s[0:1], v6, v2, s[0:1]
	v_fmac_f32_e32 v8, s13, v22
	v_cmp_eq_u32_e64 s[0:1], v5, v0
	global_store_dwordx2 v[1:2], v[7:8], off
	s_and_b64 exec, exec, s[0:1]
	s_cbranch_execz .LBB336_7
; %bb.6:
	v_mov_b32_e32 v3, 0
	global_store_dword v[1:2], v3, off offset:4
.LBB336_7:
	s_or_b64 exec, exec, s[2:3]
	v_add_u32_e32 v2, 16, v0
	v_cmp_le_i32_e64 s[2:3], v5, v2
	v_cmp_gt_i32_e64 s[0:1], s10, v2
	s_and_b64 s[2:3], s[2:3], s[0:1]
	s_and_saveexec_b64 s[4:5], s[2:3]
	s_cbranch_execz .LBB336_10
; %bb.8:
	v_ashrrev_i32_e32 v3, 31, v2
	v_lshlrev_b64 v[9:10], 3, v[2:3]
	v_mul_f32_e32 v1, s13, v21
	v_add_co_u32_e64 v3, s[2:3], v4, v9
	v_mul_f32_e32 v8, s12, v21
	v_addc_co_u32_e64 v4, s[2:3], v6, v10, s[2:3]
	v_fma_f32 v7, v20, s12, -v1
	v_fmac_f32_e32 v8, s13, v20
	v_cmp_eq_u32_e64 s[2:3], v5, v2
	global_store_dwordx2 v[3:4], v[7:8], off
	s_and_b64 exec, exec, s[2:3]
	s_cbranch_execz .LBB336_10
; %bb.9:
	v_mov_b32_e32 v1, 0
	global_store_dword v[3:4], v1, off offset:4
.LBB336_10:
	s_or_b64 exec, exec, s[4:5]
	v_add_u32_e32 v8, 16, v5
	v_mad_i64_i32 v[3:4], s[2:3], v8, s9, 0
	v_mov_b32_e32 v1, s8
	v_lshlrev_b64 v[3:4], 3, v[3:4]
	v_add_co_u32_e64 v6, s[2:3], s7, v3
	v_addc_co_u32_e64 v7, s[2:3], v1, v4, s[2:3]
	v_cmp_le_i32_e64 s[2:3], v8, v0
	s_and_b64 s[4:5], s[2:3], vcc
	s_and_saveexec_b64 s[2:3], s[4:5]
	s_cbranch_execz .LBB336_13
; %bb.11:
	v_mul_f32_e32 v1, s13, v19
	v_fma_f32 v9, v18, s12, -v1
	v_ashrrev_i32_e32 v1, 31, v0
	v_lshlrev_b64 v[3:4], 3, v[0:1]
	v_mul_f32_e32 v10, s12, v19
	v_add_co_u32_e32 v3, vcc, v6, v3
	v_addc_co_u32_e32 v4, vcc, v7, v4, vcc
	v_fmac_f32_e32 v10, s13, v18
	v_cmp_eq_u32_e32 vcc, v8, v0
	global_store_dwordx2 v[3:4], v[9:10], off
	s_and_b64 exec, exec, vcc
	s_cbranch_execz .LBB336_13
; %bb.12:
	v_mov_b32_e32 v1, 0
	global_store_dword v[3:4], v1, off offset:4
.LBB336_13:
	s_or_b64 exec, exec, s[2:3]
	v_cmp_le_i32_e32 vcc, v8, v2
	s_and_b64 s[0:1], vcc, s[0:1]
	s_and_saveexec_b64 s[2:3], s[0:1]
	s_cbranch_execz .LBB336_16
; %bb.14:
	v_mul_f32_e32 v1, s13, v16
	v_ashrrev_i32_e32 v3, 31, v2
	v_fma_f32 v8, v17, s12, -v1
	v_lshlrev_b64 v[1:2], 3, v[2:3]
	v_mul_f32_e32 v9, s12, v16
	v_add_co_u32_e32 v1, vcc, v6, v1
	v_addc_co_u32_e32 v2, vcc, v7, v2, vcc
	v_fmac_f32_e32 v9, s13, v17
	v_cmp_eq_u32_e32 vcc, v5, v0
	global_store_dwordx2 v[1:2], v[8:9], off
	s_and_b64 exec, exec, vcc
	s_cbranch_execz .LBB336_16
; %bb.15:
	v_mov_b32_e32 v0, 0
	global_store_dword v[1:2], v0, off offset:4
.LBB336_16:
	s_endpgm
	.section	.rodata,"a",@progbits
	.p2align	6, 0x0
	.amdhsa_kernel _ZL37rocblas_syrkx_herkx_restricted_kernelIi19rocblas_complex_numIfELi16ELi32ELi8ELb1ELb1ELc78ELc76EKS1_S1_EviT_T0_PT8_S3_lS6_S3_lS4_PT9_S3_li
		.amdhsa_group_segment_fixed_size 4096
		.amdhsa_private_segment_fixed_size 0
		.amdhsa_kernarg_size 100
		.amdhsa_user_sgpr_count 6
		.amdhsa_user_sgpr_private_segment_buffer 1
		.amdhsa_user_sgpr_dispatch_ptr 0
		.amdhsa_user_sgpr_queue_ptr 0
		.amdhsa_user_sgpr_kernarg_segment_ptr 1
		.amdhsa_user_sgpr_dispatch_id 0
		.amdhsa_user_sgpr_flat_scratch_init 0
		.amdhsa_user_sgpr_private_segment_size 0
		.amdhsa_uses_dynamic_stack 0
		.amdhsa_system_sgpr_private_segment_wavefront_offset 0
		.amdhsa_system_sgpr_workgroup_id_x 1
		.amdhsa_system_sgpr_workgroup_id_y 1
		.amdhsa_system_sgpr_workgroup_id_z 1
		.amdhsa_system_sgpr_workgroup_info 0
		.amdhsa_system_vgpr_workitem_id 1
		.amdhsa_next_free_vgpr 43
		.amdhsa_next_free_sgpr 25
		.amdhsa_reserve_vcc 1
		.amdhsa_reserve_flat_scratch 0
		.amdhsa_float_round_mode_32 0
		.amdhsa_float_round_mode_16_64 0
		.amdhsa_float_denorm_mode_32 3
		.amdhsa_float_denorm_mode_16_64 3
		.amdhsa_dx10_clamp 1
		.amdhsa_ieee_mode 1
		.amdhsa_fp16_overflow 0
		.amdhsa_exception_fp_ieee_invalid_op 0
		.amdhsa_exception_fp_denorm_src 0
		.amdhsa_exception_fp_ieee_div_zero 0
		.amdhsa_exception_fp_ieee_overflow 0
		.amdhsa_exception_fp_ieee_underflow 0
		.amdhsa_exception_fp_ieee_inexact 0
		.amdhsa_exception_int_div_zero 0
	.end_amdhsa_kernel
	.section	.text._ZL37rocblas_syrkx_herkx_restricted_kernelIi19rocblas_complex_numIfELi16ELi32ELi8ELb1ELb1ELc78ELc76EKS1_S1_EviT_T0_PT8_S3_lS6_S3_lS4_PT9_S3_li,"axG",@progbits,_ZL37rocblas_syrkx_herkx_restricted_kernelIi19rocblas_complex_numIfELi16ELi32ELi8ELb1ELb1ELc78ELc76EKS1_S1_EviT_T0_PT8_S3_lS6_S3_lS4_PT9_S3_li,comdat
.Lfunc_end336:
	.size	_ZL37rocblas_syrkx_herkx_restricted_kernelIi19rocblas_complex_numIfELi16ELi32ELi8ELb1ELb1ELc78ELc76EKS1_S1_EviT_T0_PT8_S3_lS6_S3_lS4_PT9_S3_li, .Lfunc_end336-_ZL37rocblas_syrkx_herkx_restricted_kernelIi19rocblas_complex_numIfELi16ELi32ELi8ELb1ELb1ELc78ELc76EKS1_S1_EviT_T0_PT8_S3_lS6_S3_lS4_PT9_S3_li
                                        ; -- End function
	.set _ZL37rocblas_syrkx_herkx_restricted_kernelIi19rocblas_complex_numIfELi16ELi32ELi8ELb1ELb1ELc78ELc76EKS1_S1_EviT_T0_PT8_S3_lS6_S3_lS4_PT9_S3_li.num_vgpr, 43
	.set _ZL37rocblas_syrkx_herkx_restricted_kernelIi19rocblas_complex_numIfELi16ELi32ELi8ELb1ELb1ELc78ELc76EKS1_S1_EviT_T0_PT8_S3_lS6_S3_lS4_PT9_S3_li.num_agpr, 0
	.set _ZL37rocblas_syrkx_herkx_restricted_kernelIi19rocblas_complex_numIfELi16ELi32ELi8ELb1ELb1ELc78ELc76EKS1_S1_EviT_T0_PT8_S3_lS6_S3_lS4_PT9_S3_li.numbered_sgpr, 25
	.set _ZL37rocblas_syrkx_herkx_restricted_kernelIi19rocblas_complex_numIfELi16ELi32ELi8ELb1ELb1ELc78ELc76EKS1_S1_EviT_T0_PT8_S3_lS6_S3_lS4_PT9_S3_li.num_named_barrier, 0
	.set _ZL37rocblas_syrkx_herkx_restricted_kernelIi19rocblas_complex_numIfELi16ELi32ELi8ELb1ELb1ELc78ELc76EKS1_S1_EviT_T0_PT8_S3_lS6_S3_lS4_PT9_S3_li.private_seg_size, 0
	.set _ZL37rocblas_syrkx_herkx_restricted_kernelIi19rocblas_complex_numIfELi16ELi32ELi8ELb1ELb1ELc78ELc76EKS1_S1_EviT_T0_PT8_S3_lS6_S3_lS4_PT9_S3_li.uses_vcc, 1
	.set _ZL37rocblas_syrkx_herkx_restricted_kernelIi19rocblas_complex_numIfELi16ELi32ELi8ELb1ELb1ELc78ELc76EKS1_S1_EviT_T0_PT8_S3_lS6_S3_lS4_PT9_S3_li.uses_flat_scratch, 0
	.set _ZL37rocblas_syrkx_herkx_restricted_kernelIi19rocblas_complex_numIfELi16ELi32ELi8ELb1ELb1ELc78ELc76EKS1_S1_EviT_T0_PT8_S3_lS6_S3_lS4_PT9_S3_li.has_dyn_sized_stack, 0
	.set _ZL37rocblas_syrkx_herkx_restricted_kernelIi19rocblas_complex_numIfELi16ELi32ELi8ELb1ELb1ELc78ELc76EKS1_S1_EviT_T0_PT8_S3_lS6_S3_lS4_PT9_S3_li.has_recursion, 0
	.set _ZL37rocblas_syrkx_herkx_restricted_kernelIi19rocblas_complex_numIfELi16ELi32ELi8ELb1ELb1ELc78ELc76EKS1_S1_EviT_T0_PT8_S3_lS6_S3_lS4_PT9_S3_li.has_indirect_call, 0
	.section	.AMDGPU.csdata,"",@progbits
; Kernel info:
; codeLenInByte = 2100
; TotalNumSgprs: 29
; NumVgprs: 43
; ScratchSize: 0
; MemoryBound: 0
; FloatMode: 240
; IeeeMode: 1
; LDSByteSize: 4096 bytes/workgroup (compile time only)
; SGPRBlocks: 3
; VGPRBlocks: 10
; NumSGPRsForWavesPerEU: 29
; NumVGPRsForWavesPerEU: 43
; Occupancy: 5
; WaveLimiterHint : 0
; COMPUTE_PGM_RSRC2:SCRATCH_EN: 0
; COMPUTE_PGM_RSRC2:USER_SGPR: 6
; COMPUTE_PGM_RSRC2:TRAP_HANDLER: 0
; COMPUTE_PGM_RSRC2:TGID_X_EN: 1
; COMPUTE_PGM_RSRC2:TGID_Y_EN: 1
; COMPUTE_PGM_RSRC2:TGID_Z_EN: 1
; COMPUTE_PGM_RSRC2:TIDIG_COMP_CNT: 1
	.section	.text._ZL37rocblas_syrkx_herkx_restricted_kernelIi19rocblas_complex_numIfELi16ELi32ELi8ELb1ELb1ELc84ELc85EKS1_S1_EviT_T0_PT8_S3_lS6_S3_lS4_PT9_S3_li,"axG",@progbits,_ZL37rocblas_syrkx_herkx_restricted_kernelIi19rocblas_complex_numIfELi16ELi32ELi8ELb1ELb1ELc84ELc85EKS1_S1_EviT_T0_PT8_S3_lS6_S3_lS4_PT9_S3_li,comdat
	.globl	_ZL37rocblas_syrkx_herkx_restricted_kernelIi19rocblas_complex_numIfELi16ELi32ELi8ELb1ELb1ELc84ELc85EKS1_S1_EviT_T0_PT8_S3_lS6_S3_lS4_PT9_S3_li ; -- Begin function _ZL37rocblas_syrkx_herkx_restricted_kernelIi19rocblas_complex_numIfELi16ELi32ELi8ELb1ELb1ELc84ELc85EKS1_S1_EviT_T0_PT8_S3_lS6_S3_lS4_PT9_S3_li
	.p2align	8
	.type	_ZL37rocblas_syrkx_herkx_restricted_kernelIi19rocblas_complex_numIfELi16ELi32ELi8ELb1ELb1ELc84ELc85EKS1_S1_EviT_T0_PT8_S3_lS6_S3_lS4_PT9_S3_li,@function
_ZL37rocblas_syrkx_herkx_restricted_kernelIi19rocblas_complex_numIfELi16ELi32ELi8ELb1ELb1ELc84ELc85EKS1_S1_EviT_T0_PT8_S3_lS6_S3_lS4_PT9_S3_li: ; @_ZL37rocblas_syrkx_herkx_restricted_kernelIi19rocblas_complex_numIfELi16ELi32ELi8ELb1ELb1ELc84ELc85EKS1_S1_EviT_T0_PT8_S3_lS6_S3_lS4_PT9_S3_li
; %bb.0:
	s_load_dwordx2 s[10:11], s[4:5], 0x0
	s_load_dwordx4 s[12:15], s[4:5], 0x8
	s_lshl_b32 s6, s6, 5
	s_lshl_b32 s7, s7, 5
	s_mov_b32 s9, 0
	s_waitcnt lgkmcnt(0)
	s_cmp_lt_i32 s11, 1
	s_cbranch_scc1 .LBB337_3
; %bb.1:
	v_lshl_add_u32 v3, v1, 4, v0
	v_and_b32_e32 v7, 31, v3
	s_load_dword s20, s[4:5], 0x18
	s_load_dwordx4 s[0:3], s[4:5], 0x20
	s_load_dword s18, s[4:5], 0x30
	s_load_dwordx2 s[16:17], s[4:5], 0x38
	v_lshrrev_b32_e32 v2, 5, v3
	v_and_b32_e32 v9, 7, v0
	v_lshlrev_b32_e32 v8, 3, v7
	v_lshrrev_b32_e32 v6, 3, v3
	v_lshl_or_b32 v11, v2, 8, v8
	v_lshlrev_b32_e32 v8, 3, v9
	v_add_u32_e32 v3, s7, v6
	v_lshl_or_b32 v6, v6, 6, v8
	v_mov_b32_e32 v10, 0
	v_add_u32_e32 v12, 0x800, v6
	v_mov_b32_e32 v6, 0x800
	s_waitcnt lgkmcnt(0)
	v_mad_i64_i32 v[4:5], s[18:19], s18, v3, v[9:10]
	v_mov_b32_e32 v3, v10
	v_lshl_add_u32 v14, v1, 6, v6
	v_add_u32_e32 v6, s6, v7
	v_mad_i64_i32 v[2:3], s[18:19], s20, v6, v[2:3]
	s_mul_i32 s1, s1, s8
	s_mul_hi_u32 s21, s0, s8
	s_add_i32 s1, s21, s1
	s_mul_i32 s0, s0, s8
	s_lshl_b64 s[0:1], s[0:1], 3
	v_lshlrev_b64 v[2:3], 3, v[2:3]
	s_add_u32 s0, s14, s0
	s_addc_u32 s1, s15, s1
	v_mov_b32_e32 v6, s1
	v_add_co_u32_e32 v2, vcc, s0, v2
	s_mul_i32 s0, s17, s8
	s_mul_hi_u32 s1, s16, s8
	v_addc_co_u32_e32 v3, vcc, v6, v3, vcc
	s_add_i32 s1, s1, s0
	s_mul_i32 s0, s16, s8
	v_add_co_u32_e32 v6, vcc, 4, v2
	s_lshl_b64 s[0:1], s[0:1], 3
	v_addc_co_u32_e32 v7, vcc, 0, v3, vcc
	v_lshlrev_b64 v[2:3], 3, v[4:5]
	s_add_u32 s0, s2, s0
	s_addc_u32 s1, s3, s1
	v_mov_b32_e32 v4, s1
	v_add_co_u32_e32 v2, vcc, s0, v2
	v_addc_co_u32_e32 v3, vcc, v4, v3, vcc
	v_add_co_u32_e32 v8, vcc, 4, v2
	v_lshlrev_b32_e32 v13, 3, v0
	v_addc_co_u32_e32 v9, vcc, 0, v3, vcc
	v_mov_b32_e32 v15, v10
	v_mov_b32_e32 v17, v10
	;; [unrolled: 1-line block ×7, first 2 shown]
.LBB337_2:                              ; =>This Inner Loop Header: Depth=1
	global_load_dwordx2 v[2:3], v[6:7], off offset:-4
	v_add_co_u32_e32 v6, vcc, 64, v6
	v_addc_co_u32_e32 v7, vcc, 0, v7, vcc
	s_add_i32 s9, s9, 8
	s_cmp_ge_i32 s9, s11
	s_waitcnt vmcnt(0)
	ds_write_b64 v11, v[2:3]
	global_load_dwordx2 v[2:3], v[8:9], off offset:-4
	v_add_co_u32_e32 v8, vcc, 64, v8
	v_addc_co_u32_e32 v9, vcc, 0, v9, vcc
	s_waitcnt vmcnt(0)
	ds_write_b64 v12, v[2:3]
	s_waitcnt lgkmcnt(0)
	s_barrier
	ds_read_b128 v[22:25], v14
	ds_read_b128 v[26:29], v14 offset:16
	ds_read_b128 v[30:33], v14 offset:32
	;; [unrolled: 1-line block ×3, first 2 shown]
	ds_read2_b64 v[34:37], v13 offset1:16
	s_waitcnt lgkmcnt(0)
	v_mul_f32_e32 v38, v23, v35
	v_mul_f32_e32 v39, v22, v35
	v_fma_f32 v38, v22, v34, -v38
	v_fmac_f32_e32 v39, v23, v34
	v_add_f32_e32 v38, v20, v38
	v_add_f32_e32 v39, v21, v39
	v_mul_f32_e32 v20, v23, v37
	v_mul_f32_e32 v21, v22, v37
	v_fma_f32 v20, v22, v36, -v20
	v_fmac_f32_e32 v21, v23, v36
	v_add_f32_e32 v22, v18, v20
	v_add_f32_e32 v23, v19, v21
	ds_read_b128 v[18:21], v14 offset:1024
	s_waitcnt lgkmcnt(0)
	v_mul_f32_e32 v40, v19, v35
	v_mul_f32_e32 v35, v18, v35
	v_fma_f32 v40, v18, v34, -v40
	v_fmac_f32_e32 v35, v19, v34
	v_add_f32_e32 v34, v16, v40
	v_add_f32_e32 v35, v17, v35
	v_mul_f32_e32 v16, v19, v37
	v_mul_f32_e32 v17, v18, v37
	v_fma_f32 v16, v18, v36, -v16
	v_fmac_f32_e32 v17, v19, v36
	v_add_f32_e32 v19, v15, v16
	v_add_f32_e32 v10, v10, v17
	ds_read2_b64 v[15:18], v13 offset0:32 offset1:48
	s_waitcnt lgkmcnt(0)
	v_mul_f32_e32 v36, v25, v16
	v_fma_f32 v36, v24, v15, -v36
	v_add_f32_e32 v36, v38, v36
	v_mul_f32_e32 v38, v25, v18
	v_mul_f32_e32 v37, v24, v16
	v_fma_f32 v38, v24, v17, -v38
	v_mul_f32_e32 v24, v24, v18
	v_fmac_f32_e32 v24, v25, v17
	v_add_f32_e32 v23, v23, v24
	v_mul_f32_e32 v24, v21, v16
	v_mul_f32_e32 v16, v20, v16
	v_fmac_f32_e32 v16, v21, v15
	v_fmac_f32_e32 v37, v25, v15
	v_fma_f32 v24, v20, v15, -v24
	v_add_f32_e32 v25, v35, v16
	v_mul_f32_e32 v15, v21, v18
	v_mul_f32_e32 v16, v20, v18
	v_fma_f32 v15, v20, v17, -v15
	v_fmac_f32_e32 v16, v21, v17
	v_add_f32_e32 v24, v34, v24
	v_add_f32_e32 v34, v19, v15
	v_add_f32_e32 v10, v10, v16
	ds_read2_b64 v[15:18], v13 offset0:64 offset1:80
	v_add_f32_e32 v37, v39, v37
	v_add_f32_e32 v22, v22, v38
	s_waitcnt lgkmcnt(0)
	v_mul_f32_e32 v19, v27, v16
	v_mul_f32_e32 v20, v26, v16
	v_fma_f32 v19, v26, v15, -v19
	v_fmac_f32_e32 v20, v27, v15
	v_add_f32_e32 v35, v36, v19
	v_add_f32_e32 v36, v37, v20
	v_mul_f32_e32 v19, v27, v18
	v_mul_f32_e32 v20, v26, v18
	v_fma_f32 v19, v26, v17, -v19
	v_fmac_f32_e32 v20, v27, v17
	v_add_f32_e32 v26, v22, v19
	v_add_f32_e32 v23, v23, v20
	ds_read_b128 v[19:22], v14 offset:1040
	s_waitcnt lgkmcnt(0)
	v_mul_f32_e32 v27, v20, v16
	v_mul_f32_e32 v16, v19, v16
	v_fmac_f32_e32 v16, v20, v15
	v_fma_f32 v27, v19, v15, -v27
	v_add_f32_e32 v25, v25, v16
	v_mul_f32_e32 v15, v20, v18
	v_mul_f32_e32 v16, v19, v18
	v_fma_f32 v15, v19, v17, -v15
	v_fmac_f32_e32 v16, v20, v17
	v_add_f32_e32 v19, v34, v15
	v_add_f32_e32 v10, v10, v16
	ds_read2_b64 v[15:18], v13 offset0:96 offset1:112
	v_add_f32_e32 v24, v24, v27
	s_waitcnt lgkmcnt(0)
	v_mul_f32_e32 v20, v29, v16
	v_mul_f32_e32 v34, v29, v18
	v_fma_f32 v20, v28, v15, -v20
	v_mul_f32_e32 v27, v28, v16
	v_fma_f32 v34, v28, v17, -v34
	v_mul_f32_e32 v28, v28, v18
	v_fmac_f32_e32 v28, v29, v17
	v_add_f32_e32 v23, v23, v28
	v_mul_f32_e32 v28, v22, v16
	v_mul_f32_e32 v16, v21, v16
	v_fmac_f32_e32 v16, v22, v15
	v_fmac_f32_e32 v27, v29, v15
	v_fma_f32 v28, v21, v15, -v28
	v_add_f32_e32 v25, v25, v16
	v_mul_f32_e32 v15, v22, v18
	v_mul_f32_e32 v16, v21, v18
	v_fma_f32 v15, v21, v17, -v15
	v_fmac_f32_e32 v16, v22, v17
	v_add_f32_e32 v24, v24, v28
	v_add_f32_e32 v28, v19, v15
	;; [unrolled: 1-line block ×3, first 2 shown]
	ds_read2_b64 v[15:18], v13 offset0:128 offset1:144
	v_add_f32_e32 v20, v35, v20
	v_add_f32_e32 v27, v36, v27
	;; [unrolled: 1-line block ×3, first 2 shown]
	s_waitcnt lgkmcnt(0)
	v_mul_f32_e32 v19, v31, v16
	v_fma_f32 v19, v30, v15, -v19
	v_mul_f32_e32 v21, v30, v16
	v_add_f32_e32 v29, v20, v19
	v_mul_f32_e32 v19, v31, v18
	v_mul_f32_e32 v20, v30, v18
	v_fmac_f32_e32 v21, v31, v15
	v_fma_f32 v19, v30, v17, -v19
	v_fmac_f32_e32 v20, v31, v17
	v_add_f32_e32 v27, v27, v21
	v_add_f32_e32 v26, v26, v19
	;; [unrolled: 1-line block ×3, first 2 shown]
	ds_read_b128 v[19:22], v14 offset:1056
	s_waitcnt lgkmcnt(0)
	v_mul_f32_e32 v30, v20, v16
	v_mul_f32_e32 v16, v19, v16
	v_fmac_f32_e32 v16, v20, v15
	v_fma_f32 v30, v19, v15, -v30
	v_add_f32_e32 v25, v25, v16
	v_mul_f32_e32 v15, v20, v18
	v_mul_f32_e32 v16, v19, v18
	v_fma_f32 v15, v19, v17, -v15
	v_fmac_f32_e32 v16, v20, v17
	v_add_f32_e32 v19, v28, v15
	v_add_f32_e32 v10, v10, v16
	ds_read2_b64 v[15:18], v13 offset0:160 offset1:176
	v_add_f32_e32 v24, v24, v30
	s_waitcnt lgkmcnt(0)
	v_mul_f32_e32 v28, v32, v16
	v_fmac_f32_e32 v28, v33, v15
	v_add_f32_e32 v27, v27, v28
	v_mul_f32_e32 v28, v33, v18
	v_fma_f32 v28, v32, v17, -v28
	v_mul_f32_e32 v20, v33, v16
	v_add_f32_e32 v26, v26, v28
	v_mul_f32_e32 v28, v22, v16
	v_mul_f32_e32 v16, v21, v16
	v_fmac_f32_e32 v16, v22, v15
	v_fma_f32 v20, v32, v15, -v20
	v_fma_f32 v28, v21, v15, -v28
	v_add_f32_e32 v25, v25, v16
	v_mul_f32_e32 v15, v22, v18
	v_mul_f32_e32 v16, v21, v18
	v_add_f32_e32 v20, v29, v20
	v_mul_f32_e32 v29, v32, v18
	v_fma_f32 v15, v21, v17, -v15
	v_fmac_f32_e32 v16, v22, v17
	v_fmac_f32_e32 v29, v33, v17
	v_add_f32_e32 v19, v19, v15
	v_add_f32_e32 v10, v10, v16
	ds_read2_b64 v[15:18], v13 offset0:192 offset1:208
	v_add_f32_e32 v24, v24, v28
	v_add_f32_e32 v23, v23, v29
	s_waitcnt lgkmcnt(0)
	v_mul_f32_e32 v21, v3, v16
	v_fma_f32 v21, v2, v15, -v21
	v_add_f32_e32 v28, v20, v21
	v_mul_f32_e32 v20, v3, v18
	v_mul_f32_e32 v22, v2, v16
	v_fma_f32 v20, v2, v17, -v20
	v_mul_f32_e32 v2, v2, v18
	v_fmac_f32_e32 v22, v3, v15
	v_fmac_f32_e32 v2, v3, v17
	v_add_f32_e32 v29, v27, v22
	v_add_f32_e32 v3, v26, v20
	;; [unrolled: 1-line block ×3, first 2 shown]
	ds_read_b128 v[20:23], v14 offset:1072
	s_waitcnt lgkmcnt(0)
	v_mul_f32_e32 v26, v21, v16
	v_mul_f32_e32 v16, v20, v16
	v_fma_f32 v26, v20, v15, -v26
	v_fmac_f32_e32 v16, v21, v15
	v_add_f32_e32 v15, v24, v26
	v_add_f32_e32 v30, v25, v16
	ds_read2_b64 v[24:27], v13 offset0:224 offset1:240
	v_mul_f32_e32 v16, v21, v18
	v_fma_f32 v16, v20, v17, -v16
	v_add_f32_e32 v31, v19, v16
	v_mul_f32_e32 v18, v20, v18
	s_waitcnt lgkmcnt(0)
	v_mul_f32_e32 v16, v5, v25
	v_fma_f32 v16, v4, v24, -v16
	v_add_f32_e32 v20, v28, v16
	v_mul_f32_e32 v16, v5, v27
	v_fmac_f32_e32 v18, v21, v17
	v_mul_f32_e32 v17, v4, v25
	v_fma_f32 v16, v4, v26, -v16
	v_mul_f32_e32 v4, v4, v27
	v_fmac_f32_e32 v4, v5, v26
	v_add_f32_e32 v10, v10, v18
	v_add_f32_e32 v18, v3, v16
	;; [unrolled: 1-line block ×3, first 2 shown]
	v_mul_f32_e32 v2, v23, v25
	v_mul_f32_e32 v3, v22, v25
	v_fmac_f32_e32 v17, v5, v24
	v_fma_f32 v2, v22, v24, -v2
	v_fmac_f32_e32 v3, v23, v24
	v_add_f32_e32 v21, v29, v17
	v_add_f32_e32 v16, v15, v2
	;; [unrolled: 1-line block ×3, first 2 shown]
	v_mul_f32_e32 v2, v23, v27
	v_mul_f32_e32 v3, v22, v27
	v_fma_f32 v2, v22, v26, -v2
	v_fmac_f32_e32 v3, v23, v26
	v_add_f32_e32 v15, v31, v2
	v_add_f32_e32 v10, v10, v3
	s_barrier
	s_cbranch_scc0 .LBB337_2
	s_branch .LBB337_4
.LBB337_3:
	v_mov_b32_e32 v20, 0
	v_mov_b32_e32 v21, 0
	;; [unrolled: 1-line block ×8, first 2 shown]
.LBB337_4:
	s_load_dwordx2 s[0:1], s[4:5], 0x58
	s_load_dwordx2 s[2:3], s[4:5], 0x48
	s_load_dword s9, s[4:5], 0x50
	v_add_u32_e32 v5, s7, v1
	v_add_u32_e32 v0, s6, v0
	s_waitcnt lgkmcnt(0)
	s_mul_i32 s1, s1, s8
	s_mul_hi_u32 s4, s0, s8
	v_mad_i64_i32 v[1:2], s[14:15], v5, s9, 0
	s_mul_i32 s0, s0, s8
	s_add_i32 s1, s4, s1
	s_lshl_b64 s[0:1], s[0:1], 3
	s_add_u32 s4, s2, s0
	v_lshlrev_b64 v[1:2], 3, v[1:2]
	s_addc_u32 s5, s3, s1
	v_mov_b32_e32 v3, s5
	v_add_co_u32_e64 v4, s[0:1], s4, v1
	v_addc_co_u32_e64 v6, s[0:1], v3, v2, s[0:1]
	v_cmp_gt_i32_e32 vcc, s10, v5
	v_cmp_le_i32_e64 s[0:1], v0, v5
	s_and_b64 s[0:1], vcc, s[0:1]
	s_and_saveexec_b64 s[2:3], s[0:1]
	s_cbranch_execz .LBB337_7
; %bb.5:
	v_mul_f32_e32 v1, s13, v21
	v_fma_f32 v7, v20, s12, -v1
	v_ashrrev_i32_e32 v1, 31, v0
	v_lshlrev_b64 v[1:2], 3, v[0:1]
	v_mul_f32_e32 v8, s12, v21
	v_add_co_u32_e64 v1, s[0:1], v4, v1
	v_addc_co_u32_e64 v2, s[0:1], v6, v2, s[0:1]
	v_fmac_f32_e32 v8, s13, v20
	v_cmp_eq_u32_e64 s[0:1], v5, v0
	global_store_dwordx2 v[1:2], v[7:8], off
	s_and_b64 exec, exec, s[0:1]
	s_cbranch_execz .LBB337_7
; %bb.6:
	v_mov_b32_e32 v3, 0
	global_store_dword v[1:2], v3, off offset:4
.LBB337_7:
	s_or_b64 exec, exec, s[2:3]
	v_add_u32_e32 v2, 16, v0
	v_cmp_le_i32_e64 s[0:1], v2, v5
	s_and_b64 s[2:3], vcc, s[0:1]
	s_and_saveexec_b64 s[0:1], s[2:3]
	s_cbranch_execz .LBB337_10
; %bb.8:
	v_ashrrev_i32_e32 v3, 31, v2
	v_lshlrev_b64 v[11:12], 3, v[2:3]
	v_mul_f32_e32 v1, s13, v19
	v_add_co_u32_e32 v3, vcc, v4, v11
	v_mul_f32_e32 v8, s12, v19
	v_addc_co_u32_e32 v4, vcc, v6, v12, vcc
	v_fma_f32 v7, v18, s12, -v1
	v_fmac_f32_e32 v8, s13, v18
	v_cmp_eq_u32_e32 vcc, v5, v2
	global_store_dwordx2 v[3:4], v[7:8], off
	s_and_b64 exec, exec, vcc
	s_cbranch_execz .LBB337_10
; %bb.9:
	v_mov_b32_e32 v1, 0
	global_store_dword v[3:4], v1, off offset:4
.LBB337_10:
	s_or_b64 exec, exec, s[0:1]
	v_add_u32_e32 v8, 16, v5
	v_mad_i64_i32 v[3:4], s[0:1], v8, s9, 0
	v_mov_b32_e32 v1, s5
	v_cmp_gt_i32_e32 vcc, s10, v8
	v_lshlrev_b64 v[3:4], 3, v[3:4]
	v_add_co_u32_e64 v6, s[0:1], s4, v3
	v_addc_co_u32_e64 v7, s[0:1], v1, v4, s[0:1]
	v_cmp_le_i32_e64 s[0:1], v0, v8
	s_and_b64 s[0:1], vcc, s[0:1]
	s_and_saveexec_b64 s[2:3], s[0:1]
	s_cbranch_execz .LBB337_13
; %bb.11:
	v_mul_f32_e32 v1, s13, v17
	v_fma_f32 v11, v16, s12, -v1
	v_ashrrev_i32_e32 v1, 31, v0
	v_lshlrev_b64 v[3:4], 3, v[0:1]
	v_mul_f32_e32 v12, s12, v17
	v_add_co_u32_e64 v3, s[0:1], v6, v3
	v_addc_co_u32_e64 v4, s[0:1], v7, v4, s[0:1]
	v_fmac_f32_e32 v12, s13, v16
	v_cmp_eq_u32_e64 s[0:1], v8, v0
	global_store_dwordx2 v[3:4], v[11:12], off
	s_and_b64 exec, exec, s[0:1]
	s_cbranch_execz .LBB337_13
; %bb.12:
	v_mov_b32_e32 v1, 0
	global_store_dword v[3:4], v1, off offset:4
.LBB337_13:
	s_or_b64 exec, exec, s[2:3]
	v_cmp_le_i32_e64 s[0:1], v2, v8
	s_and_b64 s[0:1], vcc, s[0:1]
	s_and_saveexec_b64 s[2:3], s[0:1]
	s_cbranch_execz .LBB337_16
; %bb.14:
	v_mul_f32_e32 v1, s13, v10
	v_ashrrev_i32_e32 v3, 31, v2
	v_fma_f32 v8, v15, s12, -v1
	v_lshlrev_b64 v[1:2], 3, v[2:3]
	v_mul_f32_e32 v9, s12, v10
	v_add_co_u32_e32 v1, vcc, v6, v1
	v_addc_co_u32_e32 v2, vcc, v7, v2, vcc
	v_fmac_f32_e32 v9, s13, v15
	v_cmp_eq_u32_e32 vcc, v5, v0
	global_store_dwordx2 v[1:2], v[8:9], off
	s_and_b64 exec, exec, vcc
	s_cbranch_execz .LBB337_16
; %bb.15:
	v_mov_b32_e32 v0, 0
	global_store_dword v[1:2], v0, off offset:4
.LBB337_16:
	s_endpgm
	.section	.rodata,"a",@progbits
	.p2align	6, 0x0
	.amdhsa_kernel _ZL37rocblas_syrkx_herkx_restricted_kernelIi19rocblas_complex_numIfELi16ELi32ELi8ELb1ELb1ELc84ELc85EKS1_S1_EviT_T0_PT8_S3_lS6_S3_lS4_PT9_S3_li
		.amdhsa_group_segment_fixed_size 4096
		.amdhsa_private_segment_fixed_size 0
		.amdhsa_kernarg_size 100
		.amdhsa_user_sgpr_count 6
		.amdhsa_user_sgpr_private_segment_buffer 1
		.amdhsa_user_sgpr_dispatch_ptr 0
		.amdhsa_user_sgpr_queue_ptr 0
		.amdhsa_user_sgpr_kernarg_segment_ptr 1
		.amdhsa_user_sgpr_dispatch_id 0
		.amdhsa_user_sgpr_flat_scratch_init 0
		.amdhsa_user_sgpr_private_segment_size 0
		.amdhsa_uses_dynamic_stack 0
		.amdhsa_system_sgpr_private_segment_wavefront_offset 0
		.amdhsa_system_sgpr_workgroup_id_x 1
		.amdhsa_system_sgpr_workgroup_id_y 1
		.amdhsa_system_sgpr_workgroup_id_z 1
		.amdhsa_system_sgpr_workgroup_info 0
		.amdhsa_system_vgpr_workitem_id 1
		.amdhsa_next_free_vgpr 41
		.amdhsa_next_free_sgpr 22
		.amdhsa_reserve_vcc 1
		.amdhsa_reserve_flat_scratch 0
		.amdhsa_float_round_mode_32 0
		.amdhsa_float_round_mode_16_64 0
		.amdhsa_float_denorm_mode_32 3
		.amdhsa_float_denorm_mode_16_64 3
		.amdhsa_dx10_clamp 1
		.amdhsa_ieee_mode 1
		.amdhsa_fp16_overflow 0
		.amdhsa_exception_fp_ieee_invalid_op 0
		.amdhsa_exception_fp_denorm_src 0
		.amdhsa_exception_fp_ieee_div_zero 0
		.amdhsa_exception_fp_ieee_overflow 0
		.amdhsa_exception_fp_ieee_underflow 0
		.amdhsa_exception_fp_ieee_inexact 0
		.amdhsa_exception_int_div_zero 0
	.end_amdhsa_kernel
	.section	.text._ZL37rocblas_syrkx_herkx_restricted_kernelIi19rocblas_complex_numIfELi16ELi32ELi8ELb1ELb1ELc84ELc85EKS1_S1_EviT_T0_PT8_S3_lS6_S3_lS4_PT9_S3_li,"axG",@progbits,_ZL37rocblas_syrkx_herkx_restricted_kernelIi19rocblas_complex_numIfELi16ELi32ELi8ELb1ELb1ELc84ELc85EKS1_S1_EviT_T0_PT8_S3_lS6_S3_lS4_PT9_S3_li,comdat
.Lfunc_end337:
	.size	_ZL37rocblas_syrkx_herkx_restricted_kernelIi19rocblas_complex_numIfELi16ELi32ELi8ELb1ELb1ELc84ELc85EKS1_S1_EviT_T0_PT8_S3_lS6_S3_lS4_PT9_S3_li, .Lfunc_end337-_ZL37rocblas_syrkx_herkx_restricted_kernelIi19rocblas_complex_numIfELi16ELi32ELi8ELb1ELb1ELc84ELc85EKS1_S1_EviT_T0_PT8_S3_lS6_S3_lS4_PT9_S3_li
                                        ; -- End function
	.set _ZL37rocblas_syrkx_herkx_restricted_kernelIi19rocblas_complex_numIfELi16ELi32ELi8ELb1ELb1ELc84ELc85EKS1_S1_EviT_T0_PT8_S3_lS6_S3_lS4_PT9_S3_li.num_vgpr, 41
	.set _ZL37rocblas_syrkx_herkx_restricted_kernelIi19rocblas_complex_numIfELi16ELi32ELi8ELb1ELb1ELc84ELc85EKS1_S1_EviT_T0_PT8_S3_lS6_S3_lS4_PT9_S3_li.num_agpr, 0
	.set _ZL37rocblas_syrkx_herkx_restricted_kernelIi19rocblas_complex_numIfELi16ELi32ELi8ELb1ELb1ELc84ELc85EKS1_S1_EviT_T0_PT8_S3_lS6_S3_lS4_PT9_S3_li.numbered_sgpr, 22
	.set _ZL37rocblas_syrkx_herkx_restricted_kernelIi19rocblas_complex_numIfELi16ELi32ELi8ELb1ELb1ELc84ELc85EKS1_S1_EviT_T0_PT8_S3_lS6_S3_lS4_PT9_S3_li.num_named_barrier, 0
	.set _ZL37rocblas_syrkx_herkx_restricted_kernelIi19rocblas_complex_numIfELi16ELi32ELi8ELb1ELb1ELc84ELc85EKS1_S1_EviT_T0_PT8_S3_lS6_S3_lS4_PT9_S3_li.private_seg_size, 0
	.set _ZL37rocblas_syrkx_herkx_restricted_kernelIi19rocblas_complex_numIfELi16ELi32ELi8ELb1ELb1ELc84ELc85EKS1_S1_EviT_T0_PT8_S3_lS6_S3_lS4_PT9_S3_li.uses_vcc, 1
	.set _ZL37rocblas_syrkx_herkx_restricted_kernelIi19rocblas_complex_numIfELi16ELi32ELi8ELb1ELb1ELc84ELc85EKS1_S1_EviT_T0_PT8_S3_lS6_S3_lS4_PT9_S3_li.uses_flat_scratch, 0
	.set _ZL37rocblas_syrkx_herkx_restricted_kernelIi19rocblas_complex_numIfELi16ELi32ELi8ELb1ELb1ELc84ELc85EKS1_S1_EviT_T0_PT8_S3_lS6_S3_lS4_PT9_S3_li.has_dyn_sized_stack, 0
	.set _ZL37rocblas_syrkx_herkx_restricted_kernelIi19rocblas_complex_numIfELi16ELi32ELi8ELb1ELb1ELc84ELc85EKS1_S1_EviT_T0_PT8_S3_lS6_S3_lS4_PT9_S3_li.has_recursion, 0
	.set _ZL37rocblas_syrkx_herkx_restricted_kernelIi19rocblas_complex_numIfELi16ELi32ELi8ELb1ELb1ELc84ELc85EKS1_S1_EviT_T0_PT8_S3_lS6_S3_lS4_PT9_S3_li.has_indirect_call, 0
	.section	.AMDGPU.csdata,"",@progbits
; Kernel info:
; codeLenInByte = 2072
; TotalNumSgprs: 26
; NumVgprs: 41
; ScratchSize: 0
; MemoryBound: 0
; FloatMode: 240
; IeeeMode: 1
; LDSByteSize: 4096 bytes/workgroup (compile time only)
; SGPRBlocks: 3
; VGPRBlocks: 10
; NumSGPRsForWavesPerEU: 26
; NumVGPRsForWavesPerEU: 41
; Occupancy: 5
; WaveLimiterHint : 0
; COMPUTE_PGM_RSRC2:SCRATCH_EN: 0
; COMPUTE_PGM_RSRC2:USER_SGPR: 6
; COMPUTE_PGM_RSRC2:TRAP_HANDLER: 0
; COMPUTE_PGM_RSRC2:TGID_X_EN: 1
; COMPUTE_PGM_RSRC2:TGID_Y_EN: 1
; COMPUTE_PGM_RSRC2:TGID_Z_EN: 1
; COMPUTE_PGM_RSRC2:TIDIG_COMP_CNT: 1
	.section	.text._ZL37rocblas_syrkx_herkx_restricted_kernelIi19rocblas_complex_numIfELi16ELi32ELi8ELb1ELb1ELc67ELc85EKS1_S1_EviT_T0_PT8_S3_lS6_S3_lS4_PT9_S3_li,"axG",@progbits,_ZL37rocblas_syrkx_herkx_restricted_kernelIi19rocblas_complex_numIfELi16ELi32ELi8ELb1ELb1ELc67ELc85EKS1_S1_EviT_T0_PT8_S3_lS6_S3_lS4_PT9_S3_li,comdat
	.globl	_ZL37rocblas_syrkx_herkx_restricted_kernelIi19rocblas_complex_numIfELi16ELi32ELi8ELb1ELb1ELc67ELc85EKS1_S1_EviT_T0_PT8_S3_lS6_S3_lS4_PT9_S3_li ; -- Begin function _ZL37rocblas_syrkx_herkx_restricted_kernelIi19rocblas_complex_numIfELi16ELi32ELi8ELb1ELb1ELc67ELc85EKS1_S1_EviT_T0_PT8_S3_lS6_S3_lS4_PT9_S3_li
	.p2align	8
	.type	_ZL37rocblas_syrkx_herkx_restricted_kernelIi19rocblas_complex_numIfELi16ELi32ELi8ELb1ELb1ELc67ELc85EKS1_S1_EviT_T0_PT8_S3_lS6_S3_lS4_PT9_S3_li,@function
_ZL37rocblas_syrkx_herkx_restricted_kernelIi19rocblas_complex_numIfELi16ELi32ELi8ELb1ELb1ELc67ELc85EKS1_S1_EviT_T0_PT8_S3_lS6_S3_lS4_PT9_S3_li: ; @_ZL37rocblas_syrkx_herkx_restricted_kernelIi19rocblas_complex_numIfELi16ELi32ELi8ELb1ELb1ELc67ELc85EKS1_S1_EviT_T0_PT8_S3_lS6_S3_lS4_PT9_S3_li
; %bb.0:
	s_load_dwordx2 s[10:11], s[4:5], 0x0
	s_load_dwordx4 s[12:15], s[4:5], 0x8
	s_lshl_b32 s6, s6, 5
	s_lshl_b32 s7, s7, 5
	s_mov_b32 s9, 0
	s_waitcnt lgkmcnt(0)
	s_cmp_lt_i32 s11, 1
	s_cbranch_scc1 .LBB338_3
; %bb.1:
	v_lshl_add_u32 v3, v1, 4, v0
	v_and_b32_e32 v7, 31, v3
	s_load_dword s20, s[4:5], 0x18
	s_load_dwordx4 s[0:3], s[4:5], 0x20
	s_load_dword s18, s[4:5], 0x30
	s_load_dwordx2 s[16:17], s[4:5], 0x38
	v_lshrrev_b32_e32 v2, 5, v3
	v_and_b32_e32 v9, 7, v0
	v_lshlrev_b32_e32 v8, 3, v7
	v_lshrrev_b32_e32 v6, 3, v3
	v_lshl_or_b32 v11, v2, 8, v8
	v_lshlrev_b32_e32 v8, 3, v9
	v_add_u32_e32 v3, s7, v6
	v_lshl_or_b32 v6, v6, 6, v8
	v_mov_b32_e32 v10, 0
	v_add_u32_e32 v12, 0x800, v6
	v_mov_b32_e32 v6, 0x800
	s_waitcnt lgkmcnt(0)
	v_mad_i64_i32 v[4:5], s[18:19], s18, v3, v[9:10]
	v_mov_b32_e32 v3, v10
	v_lshl_add_u32 v14, v1, 6, v6
	v_add_u32_e32 v6, s6, v7
	v_mad_i64_i32 v[2:3], s[18:19], s20, v6, v[2:3]
	s_mul_i32 s1, s1, s8
	s_mul_hi_u32 s21, s0, s8
	s_add_i32 s1, s21, s1
	s_mul_i32 s0, s0, s8
	s_lshl_b64 s[0:1], s[0:1], 3
	v_lshlrev_b64 v[2:3], 3, v[2:3]
	s_add_u32 s0, s14, s0
	s_addc_u32 s1, s15, s1
	v_mov_b32_e32 v6, s1
	v_add_co_u32_e32 v2, vcc, s0, v2
	s_mul_i32 s0, s17, s8
	s_mul_hi_u32 s1, s16, s8
	v_addc_co_u32_e32 v3, vcc, v6, v3, vcc
	s_add_i32 s1, s1, s0
	s_mul_i32 s0, s16, s8
	v_add_co_u32_e32 v6, vcc, 4, v2
	s_lshl_b64 s[0:1], s[0:1], 3
	v_addc_co_u32_e32 v7, vcc, 0, v3, vcc
	v_lshlrev_b64 v[2:3], 3, v[4:5]
	s_add_u32 s0, s2, s0
	s_addc_u32 s1, s3, s1
	v_mov_b32_e32 v4, s1
	v_add_co_u32_e32 v2, vcc, s0, v2
	v_addc_co_u32_e32 v3, vcc, v4, v3, vcc
	v_add_co_u32_e32 v8, vcc, 4, v2
	v_lshlrev_b32_e32 v13, 3, v0
	v_addc_co_u32_e32 v9, vcc, 0, v3, vcc
	v_mov_b32_e32 v15, v10
	v_mov_b32_e32 v17, v10
	;; [unrolled: 1-line block ×7, first 2 shown]
.LBB338_2:                              ; =>This Inner Loop Header: Depth=1
	global_load_dwordx2 v[2:3], v[6:7], off offset:-4
	v_add_co_u32_e32 v6, vcc, 64, v6
	v_addc_co_u32_e32 v7, vcc, 0, v7, vcc
	s_add_i32 s9, s9, 8
	s_cmp_ge_i32 s9, s11
	s_waitcnt vmcnt(0)
	v_xor_b32_e32 v3, 0x80000000, v3
	ds_write_b64 v11, v[2:3]
	global_load_dwordx2 v[2:3], v[8:9], off offset:-4
	v_add_co_u32_e32 v8, vcc, 64, v8
	v_addc_co_u32_e32 v9, vcc, 0, v9, vcc
	s_waitcnt vmcnt(0)
	ds_write_b64 v12, v[2:3]
	s_waitcnt lgkmcnt(0)
	s_barrier
	ds_read_b128 v[22:25], v14
	ds_read_b128 v[26:29], v14 offset:16
	ds_read_b128 v[30:33], v14 offset:32
	;; [unrolled: 1-line block ×3, first 2 shown]
	ds_read2_b64 v[34:37], v13 offset1:16
	s_waitcnt lgkmcnt(0)
	v_mul_f32_e32 v38, v23, v35
	v_mul_f32_e32 v39, v22, v35
	v_fma_f32 v38, v22, v34, -v38
	v_fmac_f32_e32 v39, v23, v34
	v_add_f32_e32 v38, v20, v38
	v_add_f32_e32 v39, v21, v39
	v_mul_f32_e32 v20, v23, v37
	v_mul_f32_e32 v21, v22, v37
	v_fma_f32 v20, v22, v36, -v20
	v_fmac_f32_e32 v21, v23, v36
	v_add_f32_e32 v22, v18, v20
	v_add_f32_e32 v23, v19, v21
	ds_read_b128 v[18:21], v14 offset:1024
	s_waitcnt lgkmcnt(0)
	v_mul_f32_e32 v40, v19, v35
	v_mul_f32_e32 v35, v18, v35
	v_fma_f32 v40, v18, v34, -v40
	v_fmac_f32_e32 v35, v19, v34
	v_add_f32_e32 v34, v16, v40
	v_add_f32_e32 v35, v17, v35
	v_mul_f32_e32 v16, v19, v37
	v_mul_f32_e32 v17, v18, v37
	v_fma_f32 v16, v18, v36, -v16
	v_fmac_f32_e32 v17, v19, v36
	v_add_f32_e32 v19, v15, v16
	v_add_f32_e32 v10, v10, v17
	ds_read2_b64 v[15:18], v13 offset0:32 offset1:48
	s_waitcnt lgkmcnt(0)
	v_mul_f32_e32 v36, v25, v16
	v_fma_f32 v36, v24, v15, -v36
	v_add_f32_e32 v36, v38, v36
	v_mul_f32_e32 v38, v25, v18
	v_mul_f32_e32 v37, v24, v16
	v_fma_f32 v38, v24, v17, -v38
	v_mul_f32_e32 v24, v24, v18
	v_fmac_f32_e32 v24, v25, v17
	v_add_f32_e32 v23, v23, v24
	v_mul_f32_e32 v24, v21, v16
	v_mul_f32_e32 v16, v20, v16
	v_fmac_f32_e32 v16, v21, v15
	v_fmac_f32_e32 v37, v25, v15
	v_fma_f32 v24, v20, v15, -v24
	v_add_f32_e32 v25, v35, v16
	v_mul_f32_e32 v15, v21, v18
	v_mul_f32_e32 v16, v20, v18
	v_fma_f32 v15, v20, v17, -v15
	v_fmac_f32_e32 v16, v21, v17
	v_add_f32_e32 v24, v34, v24
	v_add_f32_e32 v34, v19, v15
	;; [unrolled: 1-line block ×3, first 2 shown]
	ds_read2_b64 v[15:18], v13 offset0:64 offset1:80
	v_add_f32_e32 v37, v39, v37
	v_add_f32_e32 v22, v22, v38
	s_waitcnt lgkmcnt(0)
	v_mul_f32_e32 v19, v27, v16
	v_mul_f32_e32 v20, v26, v16
	v_fma_f32 v19, v26, v15, -v19
	v_fmac_f32_e32 v20, v27, v15
	v_add_f32_e32 v35, v36, v19
	v_add_f32_e32 v36, v37, v20
	v_mul_f32_e32 v19, v27, v18
	v_mul_f32_e32 v20, v26, v18
	v_fma_f32 v19, v26, v17, -v19
	v_fmac_f32_e32 v20, v27, v17
	v_add_f32_e32 v26, v22, v19
	v_add_f32_e32 v23, v23, v20
	ds_read_b128 v[19:22], v14 offset:1040
	s_waitcnt lgkmcnt(0)
	v_mul_f32_e32 v27, v20, v16
	v_mul_f32_e32 v16, v19, v16
	v_fmac_f32_e32 v16, v20, v15
	v_fma_f32 v27, v19, v15, -v27
	v_add_f32_e32 v25, v25, v16
	v_mul_f32_e32 v15, v20, v18
	v_mul_f32_e32 v16, v19, v18
	v_fma_f32 v15, v19, v17, -v15
	v_fmac_f32_e32 v16, v20, v17
	v_add_f32_e32 v19, v34, v15
	v_add_f32_e32 v10, v10, v16
	ds_read2_b64 v[15:18], v13 offset0:96 offset1:112
	v_add_f32_e32 v24, v24, v27
	s_waitcnt lgkmcnt(0)
	v_mul_f32_e32 v20, v29, v16
	v_mul_f32_e32 v34, v29, v18
	v_fma_f32 v20, v28, v15, -v20
	v_mul_f32_e32 v27, v28, v16
	v_fma_f32 v34, v28, v17, -v34
	v_mul_f32_e32 v28, v28, v18
	v_fmac_f32_e32 v28, v29, v17
	v_add_f32_e32 v23, v23, v28
	v_mul_f32_e32 v28, v22, v16
	v_mul_f32_e32 v16, v21, v16
	v_fmac_f32_e32 v16, v22, v15
	v_fmac_f32_e32 v27, v29, v15
	v_fma_f32 v28, v21, v15, -v28
	v_add_f32_e32 v25, v25, v16
	v_mul_f32_e32 v15, v22, v18
	v_mul_f32_e32 v16, v21, v18
	v_fma_f32 v15, v21, v17, -v15
	v_fmac_f32_e32 v16, v22, v17
	v_add_f32_e32 v24, v24, v28
	v_add_f32_e32 v28, v19, v15
	;; [unrolled: 1-line block ×3, first 2 shown]
	ds_read2_b64 v[15:18], v13 offset0:128 offset1:144
	v_add_f32_e32 v20, v35, v20
	v_add_f32_e32 v27, v36, v27
	;; [unrolled: 1-line block ×3, first 2 shown]
	s_waitcnt lgkmcnt(0)
	v_mul_f32_e32 v19, v31, v16
	v_fma_f32 v19, v30, v15, -v19
	v_mul_f32_e32 v21, v30, v16
	v_add_f32_e32 v29, v20, v19
	v_mul_f32_e32 v19, v31, v18
	v_mul_f32_e32 v20, v30, v18
	v_fmac_f32_e32 v21, v31, v15
	v_fma_f32 v19, v30, v17, -v19
	v_fmac_f32_e32 v20, v31, v17
	v_add_f32_e32 v27, v27, v21
	v_add_f32_e32 v26, v26, v19
	v_add_f32_e32 v23, v23, v20
	ds_read_b128 v[19:22], v14 offset:1056
	s_waitcnt lgkmcnt(0)
	v_mul_f32_e32 v30, v20, v16
	v_mul_f32_e32 v16, v19, v16
	v_fmac_f32_e32 v16, v20, v15
	v_fma_f32 v30, v19, v15, -v30
	v_add_f32_e32 v25, v25, v16
	v_mul_f32_e32 v15, v20, v18
	v_mul_f32_e32 v16, v19, v18
	v_fma_f32 v15, v19, v17, -v15
	v_fmac_f32_e32 v16, v20, v17
	v_add_f32_e32 v19, v28, v15
	v_add_f32_e32 v10, v10, v16
	ds_read2_b64 v[15:18], v13 offset0:160 offset1:176
	v_add_f32_e32 v24, v24, v30
	s_waitcnt lgkmcnt(0)
	v_mul_f32_e32 v28, v32, v16
	v_fmac_f32_e32 v28, v33, v15
	v_add_f32_e32 v27, v27, v28
	v_mul_f32_e32 v28, v33, v18
	v_fma_f32 v28, v32, v17, -v28
	v_mul_f32_e32 v20, v33, v16
	v_add_f32_e32 v26, v26, v28
	v_mul_f32_e32 v28, v22, v16
	v_mul_f32_e32 v16, v21, v16
	v_fmac_f32_e32 v16, v22, v15
	v_fma_f32 v20, v32, v15, -v20
	v_fma_f32 v28, v21, v15, -v28
	v_add_f32_e32 v25, v25, v16
	v_mul_f32_e32 v15, v22, v18
	v_mul_f32_e32 v16, v21, v18
	v_add_f32_e32 v20, v29, v20
	v_mul_f32_e32 v29, v32, v18
	v_fma_f32 v15, v21, v17, -v15
	v_fmac_f32_e32 v16, v22, v17
	v_fmac_f32_e32 v29, v33, v17
	v_add_f32_e32 v19, v19, v15
	v_add_f32_e32 v10, v10, v16
	ds_read2_b64 v[15:18], v13 offset0:192 offset1:208
	v_add_f32_e32 v24, v24, v28
	v_add_f32_e32 v23, v23, v29
	s_waitcnt lgkmcnt(0)
	v_mul_f32_e32 v21, v3, v16
	v_fma_f32 v21, v2, v15, -v21
	v_add_f32_e32 v28, v20, v21
	v_mul_f32_e32 v20, v3, v18
	v_mul_f32_e32 v22, v2, v16
	v_fma_f32 v20, v2, v17, -v20
	v_mul_f32_e32 v2, v2, v18
	v_fmac_f32_e32 v22, v3, v15
	v_fmac_f32_e32 v2, v3, v17
	v_add_f32_e32 v29, v27, v22
	v_add_f32_e32 v3, v26, v20
	;; [unrolled: 1-line block ×3, first 2 shown]
	ds_read_b128 v[20:23], v14 offset:1072
	s_waitcnt lgkmcnt(0)
	v_mul_f32_e32 v26, v21, v16
	v_mul_f32_e32 v16, v20, v16
	v_fma_f32 v26, v20, v15, -v26
	v_fmac_f32_e32 v16, v21, v15
	v_add_f32_e32 v15, v24, v26
	v_add_f32_e32 v30, v25, v16
	ds_read2_b64 v[24:27], v13 offset0:224 offset1:240
	v_mul_f32_e32 v16, v21, v18
	v_fma_f32 v16, v20, v17, -v16
	v_add_f32_e32 v31, v19, v16
	v_mul_f32_e32 v18, v20, v18
	s_waitcnt lgkmcnt(0)
	v_mul_f32_e32 v16, v5, v25
	v_fma_f32 v16, v4, v24, -v16
	v_add_f32_e32 v20, v28, v16
	v_mul_f32_e32 v16, v5, v27
	v_fmac_f32_e32 v18, v21, v17
	v_mul_f32_e32 v17, v4, v25
	v_fma_f32 v16, v4, v26, -v16
	v_mul_f32_e32 v4, v4, v27
	v_fmac_f32_e32 v4, v5, v26
	v_add_f32_e32 v10, v10, v18
	v_add_f32_e32 v18, v3, v16
	;; [unrolled: 1-line block ×3, first 2 shown]
	v_mul_f32_e32 v2, v23, v25
	v_mul_f32_e32 v3, v22, v25
	v_fmac_f32_e32 v17, v5, v24
	v_fma_f32 v2, v22, v24, -v2
	v_fmac_f32_e32 v3, v23, v24
	v_add_f32_e32 v21, v29, v17
	v_add_f32_e32 v16, v15, v2
	;; [unrolled: 1-line block ×3, first 2 shown]
	v_mul_f32_e32 v2, v23, v27
	v_mul_f32_e32 v3, v22, v27
	v_fma_f32 v2, v22, v26, -v2
	v_fmac_f32_e32 v3, v23, v26
	v_add_f32_e32 v15, v31, v2
	v_add_f32_e32 v10, v10, v3
	s_barrier
	s_cbranch_scc0 .LBB338_2
	s_branch .LBB338_4
.LBB338_3:
	v_mov_b32_e32 v20, 0
	v_mov_b32_e32 v21, 0
	;; [unrolled: 1-line block ×8, first 2 shown]
.LBB338_4:
	s_load_dwordx2 s[0:1], s[4:5], 0x58
	s_load_dwordx2 s[2:3], s[4:5], 0x48
	s_load_dword s9, s[4:5], 0x50
	v_add_u32_e32 v5, s7, v1
	v_add_u32_e32 v0, s6, v0
	s_waitcnt lgkmcnt(0)
	s_mul_i32 s1, s1, s8
	s_mul_hi_u32 s4, s0, s8
	v_mad_i64_i32 v[1:2], s[14:15], v5, s9, 0
	s_mul_i32 s0, s0, s8
	s_add_i32 s1, s4, s1
	s_lshl_b64 s[0:1], s[0:1], 3
	s_add_u32 s4, s2, s0
	v_lshlrev_b64 v[1:2], 3, v[1:2]
	s_addc_u32 s5, s3, s1
	v_mov_b32_e32 v3, s5
	v_add_co_u32_e64 v4, s[0:1], s4, v1
	v_addc_co_u32_e64 v6, s[0:1], v3, v2, s[0:1]
	v_cmp_gt_i32_e32 vcc, s10, v5
	v_cmp_le_i32_e64 s[0:1], v0, v5
	s_and_b64 s[0:1], vcc, s[0:1]
	s_and_saveexec_b64 s[2:3], s[0:1]
	s_cbranch_execz .LBB338_7
; %bb.5:
	v_mul_f32_e32 v1, s13, v21
	v_fma_f32 v7, v20, s12, -v1
	v_ashrrev_i32_e32 v1, 31, v0
	v_lshlrev_b64 v[1:2], 3, v[0:1]
	v_mul_f32_e32 v8, s12, v21
	v_add_co_u32_e64 v1, s[0:1], v4, v1
	v_addc_co_u32_e64 v2, s[0:1], v6, v2, s[0:1]
	v_fmac_f32_e32 v8, s13, v20
	v_cmp_eq_u32_e64 s[0:1], v5, v0
	global_store_dwordx2 v[1:2], v[7:8], off
	s_and_b64 exec, exec, s[0:1]
	s_cbranch_execz .LBB338_7
; %bb.6:
	v_mov_b32_e32 v3, 0
	global_store_dword v[1:2], v3, off offset:4
.LBB338_7:
	s_or_b64 exec, exec, s[2:3]
	v_add_u32_e32 v2, 16, v0
	v_cmp_le_i32_e64 s[0:1], v2, v5
	s_and_b64 s[2:3], vcc, s[0:1]
	s_and_saveexec_b64 s[0:1], s[2:3]
	s_cbranch_execz .LBB338_10
; %bb.8:
	v_ashrrev_i32_e32 v3, 31, v2
	v_lshlrev_b64 v[11:12], 3, v[2:3]
	v_mul_f32_e32 v1, s13, v19
	v_add_co_u32_e32 v3, vcc, v4, v11
	v_mul_f32_e32 v8, s12, v19
	v_addc_co_u32_e32 v4, vcc, v6, v12, vcc
	v_fma_f32 v7, v18, s12, -v1
	v_fmac_f32_e32 v8, s13, v18
	v_cmp_eq_u32_e32 vcc, v5, v2
	global_store_dwordx2 v[3:4], v[7:8], off
	s_and_b64 exec, exec, vcc
	s_cbranch_execz .LBB338_10
; %bb.9:
	v_mov_b32_e32 v1, 0
	global_store_dword v[3:4], v1, off offset:4
.LBB338_10:
	s_or_b64 exec, exec, s[0:1]
	v_add_u32_e32 v8, 16, v5
	v_mad_i64_i32 v[3:4], s[0:1], v8, s9, 0
	v_mov_b32_e32 v1, s5
	v_cmp_gt_i32_e32 vcc, s10, v8
	v_lshlrev_b64 v[3:4], 3, v[3:4]
	v_add_co_u32_e64 v6, s[0:1], s4, v3
	v_addc_co_u32_e64 v7, s[0:1], v1, v4, s[0:1]
	v_cmp_le_i32_e64 s[0:1], v0, v8
	s_and_b64 s[0:1], vcc, s[0:1]
	s_and_saveexec_b64 s[2:3], s[0:1]
	s_cbranch_execz .LBB338_13
; %bb.11:
	v_mul_f32_e32 v1, s13, v17
	v_fma_f32 v11, v16, s12, -v1
	v_ashrrev_i32_e32 v1, 31, v0
	v_lshlrev_b64 v[3:4], 3, v[0:1]
	v_mul_f32_e32 v12, s12, v17
	v_add_co_u32_e64 v3, s[0:1], v6, v3
	v_addc_co_u32_e64 v4, s[0:1], v7, v4, s[0:1]
	v_fmac_f32_e32 v12, s13, v16
	v_cmp_eq_u32_e64 s[0:1], v8, v0
	global_store_dwordx2 v[3:4], v[11:12], off
	s_and_b64 exec, exec, s[0:1]
	s_cbranch_execz .LBB338_13
; %bb.12:
	v_mov_b32_e32 v1, 0
	global_store_dword v[3:4], v1, off offset:4
.LBB338_13:
	s_or_b64 exec, exec, s[2:3]
	v_cmp_le_i32_e64 s[0:1], v2, v8
	s_and_b64 s[0:1], vcc, s[0:1]
	s_and_saveexec_b64 s[2:3], s[0:1]
	s_cbranch_execz .LBB338_16
; %bb.14:
	v_mul_f32_e32 v1, s13, v10
	v_ashrrev_i32_e32 v3, 31, v2
	v_fma_f32 v8, v15, s12, -v1
	v_lshlrev_b64 v[1:2], 3, v[2:3]
	v_mul_f32_e32 v9, s12, v10
	v_add_co_u32_e32 v1, vcc, v6, v1
	v_addc_co_u32_e32 v2, vcc, v7, v2, vcc
	v_fmac_f32_e32 v9, s13, v15
	v_cmp_eq_u32_e32 vcc, v5, v0
	global_store_dwordx2 v[1:2], v[8:9], off
	s_and_b64 exec, exec, vcc
	s_cbranch_execz .LBB338_16
; %bb.15:
	v_mov_b32_e32 v0, 0
	global_store_dword v[1:2], v0, off offset:4
.LBB338_16:
	s_endpgm
	.section	.rodata,"a",@progbits
	.p2align	6, 0x0
	.amdhsa_kernel _ZL37rocblas_syrkx_herkx_restricted_kernelIi19rocblas_complex_numIfELi16ELi32ELi8ELb1ELb1ELc67ELc85EKS1_S1_EviT_T0_PT8_S3_lS6_S3_lS4_PT9_S3_li
		.amdhsa_group_segment_fixed_size 4096
		.amdhsa_private_segment_fixed_size 0
		.amdhsa_kernarg_size 100
		.amdhsa_user_sgpr_count 6
		.amdhsa_user_sgpr_private_segment_buffer 1
		.amdhsa_user_sgpr_dispatch_ptr 0
		.amdhsa_user_sgpr_queue_ptr 0
		.amdhsa_user_sgpr_kernarg_segment_ptr 1
		.amdhsa_user_sgpr_dispatch_id 0
		.amdhsa_user_sgpr_flat_scratch_init 0
		.amdhsa_user_sgpr_private_segment_size 0
		.amdhsa_uses_dynamic_stack 0
		.amdhsa_system_sgpr_private_segment_wavefront_offset 0
		.amdhsa_system_sgpr_workgroup_id_x 1
		.amdhsa_system_sgpr_workgroup_id_y 1
		.amdhsa_system_sgpr_workgroup_id_z 1
		.amdhsa_system_sgpr_workgroup_info 0
		.amdhsa_system_vgpr_workitem_id 1
		.amdhsa_next_free_vgpr 41
		.amdhsa_next_free_sgpr 22
		.amdhsa_reserve_vcc 1
		.amdhsa_reserve_flat_scratch 0
		.amdhsa_float_round_mode_32 0
		.amdhsa_float_round_mode_16_64 0
		.amdhsa_float_denorm_mode_32 3
		.amdhsa_float_denorm_mode_16_64 3
		.amdhsa_dx10_clamp 1
		.amdhsa_ieee_mode 1
		.amdhsa_fp16_overflow 0
		.amdhsa_exception_fp_ieee_invalid_op 0
		.amdhsa_exception_fp_denorm_src 0
		.amdhsa_exception_fp_ieee_div_zero 0
		.amdhsa_exception_fp_ieee_overflow 0
		.amdhsa_exception_fp_ieee_underflow 0
		.amdhsa_exception_fp_ieee_inexact 0
		.amdhsa_exception_int_div_zero 0
	.end_amdhsa_kernel
	.section	.text._ZL37rocblas_syrkx_herkx_restricted_kernelIi19rocblas_complex_numIfELi16ELi32ELi8ELb1ELb1ELc67ELc85EKS1_S1_EviT_T0_PT8_S3_lS6_S3_lS4_PT9_S3_li,"axG",@progbits,_ZL37rocblas_syrkx_herkx_restricted_kernelIi19rocblas_complex_numIfELi16ELi32ELi8ELb1ELb1ELc67ELc85EKS1_S1_EviT_T0_PT8_S3_lS6_S3_lS4_PT9_S3_li,comdat
.Lfunc_end338:
	.size	_ZL37rocblas_syrkx_herkx_restricted_kernelIi19rocblas_complex_numIfELi16ELi32ELi8ELb1ELb1ELc67ELc85EKS1_S1_EviT_T0_PT8_S3_lS6_S3_lS4_PT9_S3_li, .Lfunc_end338-_ZL37rocblas_syrkx_herkx_restricted_kernelIi19rocblas_complex_numIfELi16ELi32ELi8ELb1ELb1ELc67ELc85EKS1_S1_EviT_T0_PT8_S3_lS6_S3_lS4_PT9_S3_li
                                        ; -- End function
	.set _ZL37rocblas_syrkx_herkx_restricted_kernelIi19rocblas_complex_numIfELi16ELi32ELi8ELb1ELb1ELc67ELc85EKS1_S1_EviT_T0_PT8_S3_lS6_S3_lS4_PT9_S3_li.num_vgpr, 41
	.set _ZL37rocblas_syrkx_herkx_restricted_kernelIi19rocblas_complex_numIfELi16ELi32ELi8ELb1ELb1ELc67ELc85EKS1_S1_EviT_T0_PT8_S3_lS6_S3_lS4_PT9_S3_li.num_agpr, 0
	.set _ZL37rocblas_syrkx_herkx_restricted_kernelIi19rocblas_complex_numIfELi16ELi32ELi8ELb1ELb1ELc67ELc85EKS1_S1_EviT_T0_PT8_S3_lS6_S3_lS4_PT9_S3_li.numbered_sgpr, 22
	.set _ZL37rocblas_syrkx_herkx_restricted_kernelIi19rocblas_complex_numIfELi16ELi32ELi8ELb1ELb1ELc67ELc85EKS1_S1_EviT_T0_PT8_S3_lS6_S3_lS4_PT9_S3_li.num_named_barrier, 0
	.set _ZL37rocblas_syrkx_herkx_restricted_kernelIi19rocblas_complex_numIfELi16ELi32ELi8ELb1ELb1ELc67ELc85EKS1_S1_EviT_T0_PT8_S3_lS6_S3_lS4_PT9_S3_li.private_seg_size, 0
	.set _ZL37rocblas_syrkx_herkx_restricted_kernelIi19rocblas_complex_numIfELi16ELi32ELi8ELb1ELb1ELc67ELc85EKS1_S1_EviT_T0_PT8_S3_lS6_S3_lS4_PT9_S3_li.uses_vcc, 1
	.set _ZL37rocblas_syrkx_herkx_restricted_kernelIi19rocblas_complex_numIfELi16ELi32ELi8ELb1ELb1ELc67ELc85EKS1_S1_EviT_T0_PT8_S3_lS6_S3_lS4_PT9_S3_li.uses_flat_scratch, 0
	.set _ZL37rocblas_syrkx_herkx_restricted_kernelIi19rocblas_complex_numIfELi16ELi32ELi8ELb1ELb1ELc67ELc85EKS1_S1_EviT_T0_PT8_S3_lS6_S3_lS4_PT9_S3_li.has_dyn_sized_stack, 0
	.set _ZL37rocblas_syrkx_herkx_restricted_kernelIi19rocblas_complex_numIfELi16ELi32ELi8ELb1ELb1ELc67ELc85EKS1_S1_EviT_T0_PT8_S3_lS6_S3_lS4_PT9_S3_li.has_recursion, 0
	.set _ZL37rocblas_syrkx_herkx_restricted_kernelIi19rocblas_complex_numIfELi16ELi32ELi8ELb1ELb1ELc67ELc85EKS1_S1_EviT_T0_PT8_S3_lS6_S3_lS4_PT9_S3_li.has_indirect_call, 0
	.section	.AMDGPU.csdata,"",@progbits
; Kernel info:
; codeLenInByte = 2080
; TotalNumSgprs: 26
; NumVgprs: 41
; ScratchSize: 0
; MemoryBound: 0
; FloatMode: 240
; IeeeMode: 1
; LDSByteSize: 4096 bytes/workgroup (compile time only)
; SGPRBlocks: 3
; VGPRBlocks: 10
; NumSGPRsForWavesPerEU: 26
; NumVGPRsForWavesPerEU: 41
; Occupancy: 5
; WaveLimiterHint : 0
; COMPUTE_PGM_RSRC2:SCRATCH_EN: 0
; COMPUTE_PGM_RSRC2:USER_SGPR: 6
; COMPUTE_PGM_RSRC2:TRAP_HANDLER: 0
; COMPUTE_PGM_RSRC2:TGID_X_EN: 1
; COMPUTE_PGM_RSRC2:TGID_Y_EN: 1
; COMPUTE_PGM_RSRC2:TGID_Z_EN: 1
; COMPUTE_PGM_RSRC2:TIDIG_COMP_CNT: 1
	.section	.text._ZL37rocblas_syrkx_herkx_restricted_kernelIi19rocblas_complex_numIfELi16ELi32ELi8ELb1ELb1ELc78ELc85EKS1_S1_EviT_T0_PT8_S3_lS6_S3_lS4_PT9_S3_li,"axG",@progbits,_ZL37rocblas_syrkx_herkx_restricted_kernelIi19rocblas_complex_numIfELi16ELi32ELi8ELb1ELb1ELc78ELc85EKS1_S1_EviT_T0_PT8_S3_lS6_S3_lS4_PT9_S3_li,comdat
	.globl	_ZL37rocblas_syrkx_herkx_restricted_kernelIi19rocblas_complex_numIfELi16ELi32ELi8ELb1ELb1ELc78ELc85EKS1_S1_EviT_T0_PT8_S3_lS6_S3_lS4_PT9_S3_li ; -- Begin function _ZL37rocblas_syrkx_herkx_restricted_kernelIi19rocblas_complex_numIfELi16ELi32ELi8ELb1ELb1ELc78ELc85EKS1_S1_EviT_T0_PT8_S3_lS6_S3_lS4_PT9_S3_li
	.p2align	8
	.type	_ZL37rocblas_syrkx_herkx_restricted_kernelIi19rocblas_complex_numIfELi16ELi32ELi8ELb1ELb1ELc78ELc85EKS1_S1_EviT_T0_PT8_S3_lS6_S3_lS4_PT9_S3_li,@function
_ZL37rocblas_syrkx_herkx_restricted_kernelIi19rocblas_complex_numIfELi16ELi32ELi8ELb1ELb1ELc78ELc85EKS1_S1_EviT_T0_PT8_S3_lS6_S3_lS4_PT9_S3_li: ; @_ZL37rocblas_syrkx_herkx_restricted_kernelIi19rocblas_complex_numIfELi16ELi32ELi8ELb1ELb1ELc78ELc85EKS1_S1_EviT_T0_PT8_S3_lS6_S3_lS4_PT9_S3_li
; %bb.0:
	s_load_dwordx2 s[10:11], s[4:5], 0x0
	s_load_dwordx4 s[12:15], s[4:5], 0x8
	s_lshl_b32 s6, s6, 5
	s_lshl_b32 s7, s7, 5
	s_mov_b32 s9, 0
	s_waitcnt lgkmcnt(0)
	s_cmp_lt_i32 s11, 1
	s_cbranch_scc1 .LBB339_3
; %bb.1:
	v_lshl_add_u32 v2, v1, 4, v0
	s_load_dword s16, s[4:5], 0x18
	s_load_dword s18, s[4:5], 0x30
	s_load_dwordx2 s[20:21], s[4:5], 0x38
	s_load_dwordx4 s[0:3], s[4:5], 0x20
	v_lshrrev_b32_e32 v4, 3, v2
	v_lshrrev_b32_e32 v6, 5, v2
	v_and_b32_e32 v7, 31, v2
	v_add_u32_e32 v2, s7, v4
	v_and_b32_e32 v5, 7, v0
	v_ashrrev_i32_e32 v3, 31, v2
	s_waitcnt lgkmcnt(0)
	v_mad_i64_i32 v[2:3], s[22:23], s18, v5, v[2:3]
	v_lshlrev_b32_e32 v5, 3, v5
	v_lshl_or_b32 v4, v4, 6, v5
	v_add_u32_e32 v11, 0x800, v4
	v_mov_b32_e32 v4, 0x800
	v_lshl_add_u32 v13, v1, 6, v4
	v_add_u32_e32 v4, s6, v7
	v_ashrrev_i32_e32 v5, 31, v4
	v_mad_i64_i32 v[4:5], s[22:23], s16, v6, v[4:5]
	s_mul_i32 s1, s1, s8
	s_mul_hi_u32 s24, s0, s8
	s_add_i32 s1, s24, s1
	s_mul_i32 s0, s0, s8
	s_ashr_i32 s17, s16, 31
	s_ashr_i32 s19, s18, 31
	s_lshl_b64 s[0:1], s[0:1], 3
	v_lshlrev_b64 v[4:5], 3, v[4:5]
	s_add_u32 s0, s14, s0
	v_lshlrev_b32_e32 v8, 3, v7
	s_addc_u32 s1, s15, s1
	s_mul_i32 s14, s21, s8
	s_mul_hi_u32 s15, s20, s8
	v_lshl_or_b32 v10, v6, 8, v8
	v_mov_b32_e32 v6, s1
	v_add_co_u32_e32 v4, vcc, s0, v4
	s_add_i32 s15, s15, s14
	s_mul_i32 s14, s20, s8
	v_addc_co_u32_e32 v5, vcc, v6, v5, vcc
	s_lshl_b64 s[0:1], s[16:17], 6
	s_lshl_b64 s[14:15], s[14:15], 3
	v_add_co_u32_e32 v6, vcc, 4, v4
	v_lshlrev_b64 v[2:3], 3, v[2:3]
	s_add_u32 s2, s2, s14
	v_addc_co_u32_e32 v7, vcc, 0, v5, vcc
	s_addc_u32 s3, s3, s15
	v_mov_b32_e32 v4, s3
	v_add_co_u32_e32 v2, vcc, s2, v2
	v_addc_co_u32_e32 v3, vcc, v4, v3, vcc
	v_add_co_u32_e32 v8, vcc, 4, v2
	s_lshl_b64 s[2:3], s[18:19], 6
	v_lshlrev_b32_e32 v12, 3, v0
	v_addc_co_u32_e32 v9, vcc, 0, v3, vcc
	v_mov_b32_e32 v16, 0
	v_mov_b32_e32 v14, s1
	;; [unrolled: 1-line block ×10, first 2 shown]
.LBB339_2:                              ; =>This Inner Loop Header: Depth=1
	global_load_dwordx2 v[2:3], v[6:7], off offset:-4
	v_add_co_u32_e32 v6, vcc, s0, v6
	v_addc_co_u32_e32 v7, vcc, v7, v14, vcc
	s_add_i32 s9, s9, 8
	s_cmp_ge_i32 s9, s11
	s_waitcnt vmcnt(0)
	ds_write_b64 v10, v[2:3]
	global_load_dwordx2 v[2:3], v[8:9], off offset:-4
	v_add_co_u32_e32 v8, vcc, s2, v8
	v_addc_co_u32_e32 v9, vcc, v9, v15, vcc
	s_waitcnt vmcnt(0)
	v_xor_b32_e32 v3, 0x80000000, v3
	ds_write_b64 v11, v[2:3]
	s_waitcnt lgkmcnt(0)
	s_barrier
	ds_read_b128 v[24:27], v13
	ds_read_b128 v[28:31], v13 offset:16
	ds_read_b128 v[32:35], v13 offset:32
	;; [unrolled: 1-line block ×3, first 2 shown]
	ds_read2_b64 v[36:39], v12 offset1:16
	s_waitcnt lgkmcnt(0)
	v_mul_f32_e32 v40, v25, v37
	v_mul_f32_e32 v41, v24, v37
	v_fma_f32 v40, v24, v36, -v40
	v_fmac_f32_e32 v41, v25, v36
	v_add_f32_e32 v40, v22, v40
	v_add_f32_e32 v41, v23, v41
	v_mul_f32_e32 v22, v25, v39
	v_mul_f32_e32 v23, v24, v39
	v_fma_f32 v22, v24, v38, -v22
	v_fmac_f32_e32 v23, v25, v38
	v_add_f32_e32 v24, v20, v22
	v_add_f32_e32 v25, v21, v23
	ds_read_b128 v[20:23], v13 offset:1024
	s_waitcnt lgkmcnt(0)
	v_mul_f32_e32 v42, v21, v37
	v_mul_f32_e32 v37, v20, v37
	v_fma_f32 v42, v20, v36, -v42
	v_fmac_f32_e32 v37, v21, v36
	v_add_f32_e32 v36, v18, v42
	v_add_f32_e32 v37, v19, v37
	v_mul_f32_e32 v18, v21, v39
	v_mul_f32_e32 v19, v20, v39
	v_fma_f32 v18, v20, v38, -v18
	v_fmac_f32_e32 v19, v21, v38
	v_add_f32_e32 v20, v17, v18
	v_add_f32_e32 v21, v16, v19
	ds_read2_b64 v[16:19], v12 offset0:32 offset1:48
	s_waitcnt lgkmcnt(0)
	v_mul_f32_e32 v38, v27, v17
	v_fma_f32 v38, v26, v16, -v38
	v_add_f32_e32 v38, v40, v38
	v_mul_f32_e32 v40, v27, v19
	v_mul_f32_e32 v39, v26, v17
	v_fma_f32 v40, v26, v18, -v40
	v_mul_f32_e32 v26, v26, v19
	v_fmac_f32_e32 v26, v27, v18
	v_add_f32_e32 v25, v25, v26
	v_mul_f32_e32 v26, v23, v17
	v_mul_f32_e32 v17, v22, v17
	v_fmac_f32_e32 v17, v23, v16
	v_fmac_f32_e32 v39, v27, v16
	v_fma_f32 v26, v22, v16, -v26
	v_add_f32_e32 v27, v37, v17
	v_mul_f32_e32 v16, v23, v19
	v_mul_f32_e32 v17, v22, v19
	v_fma_f32 v16, v22, v18, -v16
	v_fmac_f32_e32 v17, v23, v18
	v_add_f32_e32 v26, v36, v26
	v_add_f32_e32 v36, v20, v16
	;; [unrolled: 1-line block ×3, first 2 shown]
	ds_read2_b64 v[16:19], v12 offset0:64 offset1:80
	v_add_f32_e32 v39, v41, v39
	v_add_f32_e32 v24, v24, v40
	s_waitcnt lgkmcnt(0)
	v_mul_f32_e32 v20, v29, v17
	v_mul_f32_e32 v21, v28, v17
	v_fma_f32 v20, v28, v16, -v20
	v_fmac_f32_e32 v21, v29, v16
	v_add_f32_e32 v38, v38, v20
	v_add_f32_e32 v39, v39, v21
	v_mul_f32_e32 v20, v29, v19
	v_mul_f32_e32 v21, v28, v19
	v_fma_f32 v20, v28, v18, -v20
	v_fmac_f32_e32 v21, v29, v18
	v_add_f32_e32 v24, v24, v20
	v_add_f32_e32 v25, v25, v21
	ds_read_b128 v[20:23], v13 offset:1040
	s_waitcnt lgkmcnt(0)
	v_mul_f32_e32 v28, v21, v17
	v_mul_f32_e32 v17, v20, v17
	v_fmac_f32_e32 v17, v21, v16
	v_fma_f32 v28, v20, v16, -v28
	v_add_f32_e32 v27, v27, v17
	v_mul_f32_e32 v16, v21, v19
	v_mul_f32_e32 v17, v20, v19
	v_fma_f32 v16, v20, v18, -v16
	v_fmac_f32_e32 v17, v21, v18
	v_add_f32_e32 v20, v36, v16
	v_add_f32_e32 v21, v37, v17
	ds_read2_b64 v[16:19], v12 offset0:96 offset1:112
	v_add_f32_e32 v26, v26, v28
	s_waitcnt lgkmcnt(0)
	v_mul_f32_e32 v28, v31, v17
	v_mul_f32_e32 v36, v31, v19
	v_fma_f32 v28, v30, v16, -v28
	v_mul_f32_e32 v29, v30, v17
	v_fma_f32 v36, v30, v18, -v36
	v_mul_f32_e32 v30, v30, v19
	v_fmac_f32_e32 v30, v31, v18
	v_add_f32_e32 v25, v25, v30
	v_mul_f32_e32 v30, v23, v17
	v_mul_f32_e32 v17, v22, v17
	v_fmac_f32_e32 v17, v23, v16
	v_fmac_f32_e32 v29, v31, v16
	v_fma_f32 v30, v22, v16, -v30
	v_add_f32_e32 v27, v27, v17
	v_mul_f32_e32 v16, v23, v19
	v_mul_f32_e32 v17, v22, v19
	v_fma_f32 v16, v22, v18, -v16
	v_fmac_f32_e32 v17, v23, v18
	v_add_f32_e32 v26, v26, v30
	v_add_f32_e32 v30, v20, v16
	;; [unrolled: 1-line block ×3, first 2 shown]
	ds_read2_b64 v[16:19], v12 offset0:128 offset1:144
	v_add_f32_e32 v28, v38, v28
	v_add_f32_e32 v29, v39, v29
	v_add_f32_e32 v24, v24, v36
	s_waitcnt lgkmcnt(0)
	v_mul_f32_e32 v20, v33, v17
	v_mul_f32_e32 v21, v32, v17
	v_fma_f32 v20, v32, v16, -v20
	v_fmac_f32_e32 v21, v33, v16
	v_add_f32_e32 v28, v28, v20
	v_add_f32_e32 v29, v29, v21
	v_mul_f32_e32 v20, v33, v19
	v_mul_f32_e32 v21, v32, v19
	v_fma_f32 v20, v32, v18, -v20
	v_fmac_f32_e32 v21, v33, v18
	v_add_f32_e32 v24, v24, v20
	v_add_f32_e32 v25, v25, v21
	ds_read_b128 v[20:23], v13 offset:1056
	s_waitcnt lgkmcnt(0)
	v_mul_f32_e32 v32, v21, v17
	v_mul_f32_e32 v17, v20, v17
	v_fmac_f32_e32 v17, v21, v16
	v_fma_f32 v32, v20, v16, -v32
	v_add_f32_e32 v27, v27, v17
	v_mul_f32_e32 v16, v21, v19
	v_mul_f32_e32 v17, v20, v19
	v_fma_f32 v16, v20, v18, -v16
	v_fmac_f32_e32 v17, v21, v18
	v_add_f32_e32 v20, v30, v16
	v_add_f32_e32 v21, v31, v17
	ds_read2_b64 v[16:19], v12 offset0:160 offset1:176
	v_add_f32_e32 v26, v26, v32
	s_waitcnt lgkmcnt(0)
	v_mul_f32_e32 v30, v35, v17
	v_fma_f32 v30, v34, v16, -v30
	v_add_f32_e32 v28, v28, v30
	v_mul_f32_e32 v30, v35, v19
	v_fma_f32 v30, v34, v18, -v30
	v_mul_f32_e32 v31, v34, v17
	v_add_f32_e32 v24, v24, v30
	v_mul_f32_e32 v30, v23, v17
	v_mul_f32_e32 v17, v22, v17
	v_fmac_f32_e32 v17, v23, v16
	v_fmac_f32_e32 v31, v35, v16
	v_fma_f32 v30, v22, v16, -v30
	v_add_f32_e32 v27, v27, v17
	v_mul_f32_e32 v16, v23, v19
	v_mul_f32_e32 v17, v22, v19
	v_add_f32_e32 v29, v29, v31
	v_mul_f32_e32 v31, v34, v19
	v_fma_f32 v16, v22, v18, -v16
	v_fmac_f32_e32 v17, v23, v18
	v_fmac_f32_e32 v31, v35, v18
	v_add_f32_e32 v20, v20, v16
	v_add_f32_e32 v21, v21, v17
	ds_read2_b64 v[16:19], v12 offset0:192 offset1:208
	v_add_f32_e32 v26, v26, v30
	v_add_f32_e32 v25, v25, v31
	s_waitcnt lgkmcnt(0)
	v_mul_f32_e32 v22, v3, v17
	v_fma_f32 v22, v2, v16, -v22
	v_add_f32_e32 v30, v28, v22
	v_mul_f32_e32 v22, v3, v19
	v_mul_f32_e32 v23, v2, v17
	v_fma_f32 v22, v2, v18, -v22
	v_mul_f32_e32 v2, v2, v19
	v_fmac_f32_e32 v23, v3, v16
	v_fmac_f32_e32 v2, v3, v18
	v_add_f32_e32 v31, v29, v23
	v_add_f32_e32 v3, v24, v22
	;; [unrolled: 1-line block ×3, first 2 shown]
	ds_read_b128 v[22:25], v13 offset:1072
	s_waitcnt lgkmcnt(0)
	v_mul_f32_e32 v28, v23, v17
	v_fma_f32 v28, v22, v16, -v28
	v_mul_f32_e32 v17, v22, v17
	v_fmac_f32_e32 v17, v23, v16
	v_add_f32_e32 v16, v26, v28
	v_mul_f32_e32 v26, v23, v19
	v_fma_f32 v26, v22, v18, -v26
	v_add_f32_e32 v17, v27, v17
	v_add_f32_e32 v32, v20, v26
	ds_read2_b64 v[26:29], v12 offset0:224 offset1:240
	v_mul_f32_e32 v19, v22, v19
	v_fmac_f32_e32 v19, v23, v18
	v_add_f32_e32 v33, v21, v19
	s_waitcnt lgkmcnt(0)
	v_mul_f32_e32 v18, v5, v27
	v_fma_f32 v18, v4, v26, -v18
	v_add_f32_e32 v22, v30, v18
	v_mul_f32_e32 v18, v5, v29
	v_mul_f32_e32 v19, v4, v27
	v_fma_f32 v18, v4, v28, -v18
	v_mul_f32_e32 v4, v4, v29
	v_fmac_f32_e32 v4, v5, v28
	v_add_f32_e32 v20, v3, v18
	v_add_f32_e32 v21, v2, v4
	v_mul_f32_e32 v2, v25, v27
	v_mul_f32_e32 v3, v24, v27
	v_fmac_f32_e32 v19, v5, v26
	v_fma_f32 v2, v24, v26, -v2
	v_fmac_f32_e32 v3, v25, v26
	v_add_f32_e32 v23, v31, v19
	v_add_f32_e32 v18, v16, v2
	;; [unrolled: 1-line block ×3, first 2 shown]
	v_mul_f32_e32 v2, v25, v29
	v_mul_f32_e32 v3, v24, v29
	v_fma_f32 v2, v24, v28, -v2
	v_fmac_f32_e32 v3, v25, v28
	v_add_f32_e32 v17, v32, v2
	v_add_f32_e32 v16, v33, v3
	s_barrier
	s_cbranch_scc0 .LBB339_2
	s_branch .LBB339_4
.LBB339_3:
	v_mov_b32_e32 v22, 0
	v_mov_b32_e32 v23, 0
	;; [unrolled: 1-line block ×8, first 2 shown]
.LBB339_4:
	s_load_dwordx2 s[0:1], s[4:5], 0x58
	s_load_dwordx2 s[2:3], s[4:5], 0x48
	s_load_dword s9, s[4:5], 0x50
	v_add_u32_e32 v5, s7, v1
	v_add_u32_e32 v0, s6, v0
	s_waitcnt lgkmcnt(0)
	s_mul_i32 s1, s1, s8
	s_mul_hi_u32 s4, s0, s8
	v_mad_i64_i32 v[1:2], s[14:15], v5, s9, 0
	s_mul_i32 s0, s0, s8
	s_add_i32 s1, s4, s1
	s_lshl_b64 s[0:1], s[0:1], 3
	s_add_u32 s4, s2, s0
	v_lshlrev_b64 v[1:2], 3, v[1:2]
	s_addc_u32 s5, s3, s1
	v_mov_b32_e32 v3, s5
	v_add_co_u32_e64 v4, s[0:1], s4, v1
	v_addc_co_u32_e64 v6, s[0:1], v3, v2, s[0:1]
	v_cmp_gt_i32_e32 vcc, s10, v5
	v_cmp_le_i32_e64 s[0:1], v0, v5
	s_and_b64 s[0:1], vcc, s[0:1]
	s_and_saveexec_b64 s[2:3], s[0:1]
	s_cbranch_execz .LBB339_7
; %bb.5:
	v_mul_f32_e32 v1, s13, v23
	v_fma_f32 v7, v22, s12, -v1
	v_ashrrev_i32_e32 v1, 31, v0
	v_lshlrev_b64 v[1:2], 3, v[0:1]
	v_mul_f32_e32 v8, s12, v23
	v_add_co_u32_e64 v1, s[0:1], v4, v1
	v_addc_co_u32_e64 v2, s[0:1], v6, v2, s[0:1]
	v_fmac_f32_e32 v8, s13, v22
	v_cmp_eq_u32_e64 s[0:1], v5, v0
	global_store_dwordx2 v[1:2], v[7:8], off
	s_and_b64 exec, exec, s[0:1]
	s_cbranch_execz .LBB339_7
; %bb.6:
	v_mov_b32_e32 v3, 0
	global_store_dword v[1:2], v3, off offset:4
.LBB339_7:
	s_or_b64 exec, exec, s[2:3]
	v_add_u32_e32 v2, 16, v0
	v_cmp_le_i32_e64 s[0:1], v2, v5
	s_and_b64 s[2:3], vcc, s[0:1]
	s_and_saveexec_b64 s[0:1], s[2:3]
	s_cbranch_execz .LBB339_10
; %bb.8:
	v_ashrrev_i32_e32 v3, 31, v2
	v_lshlrev_b64 v[9:10], 3, v[2:3]
	v_mul_f32_e32 v1, s13, v21
	v_add_co_u32_e32 v3, vcc, v4, v9
	v_mul_f32_e32 v8, s12, v21
	v_addc_co_u32_e32 v4, vcc, v6, v10, vcc
	v_fma_f32 v7, v20, s12, -v1
	v_fmac_f32_e32 v8, s13, v20
	v_cmp_eq_u32_e32 vcc, v5, v2
	global_store_dwordx2 v[3:4], v[7:8], off
	s_and_b64 exec, exec, vcc
	s_cbranch_execz .LBB339_10
; %bb.9:
	v_mov_b32_e32 v1, 0
	global_store_dword v[3:4], v1, off offset:4
.LBB339_10:
	s_or_b64 exec, exec, s[0:1]
	v_add_u32_e32 v8, 16, v5
	v_mad_i64_i32 v[3:4], s[0:1], v8, s9, 0
	v_mov_b32_e32 v1, s5
	v_cmp_gt_i32_e32 vcc, s10, v8
	v_lshlrev_b64 v[3:4], 3, v[3:4]
	v_add_co_u32_e64 v6, s[0:1], s4, v3
	v_addc_co_u32_e64 v7, s[0:1], v1, v4, s[0:1]
	v_cmp_le_i32_e64 s[0:1], v0, v8
	s_and_b64 s[0:1], vcc, s[0:1]
	s_and_saveexec_b64 s[2:3], s[0:1]
	s_cbranch_execz .LBB339_13
; %bb.11:
	v_mul_f32_e32 v1, s13, v19
	v_fma_f32 v9, v18, s12, -v1
	v_ashrrev_i32_e32 v1, 31, v0
	v_lshlrev_b64 v[3:4], 3, v[0:1]
	v_mul_f32_e32 v10, s12, v19
	v_add_co_u32_e64 v3, s[0:1], v6, v3
	v_addc_co_u32_e64 v4, s[0:1], v7, v4, s[0:1]
	v_fmac_f32_e32 v10, s13, v18
	v_cmp_eq_u32_e64 s[0:1], v8, v0
	global_store_dwordx2 v[3:4], v[9:10], off
	s_and_b64 exec, exec, s[0:1]
	s_cbranch_execz .LBB339_13
; %bb.12:
	v_mov_b32_e32 v1, 0
	global_store_dword v[3:4], v1, off offset:4
.LBB339_13:
	s_or_b64 exec, exec, s[2:3]
	v_cmp_le_i32_e64 s[0:1], v2, v8
	s_and_b64 s[0:1], vcc, s[0:1]
	s_and_saveexec_b64 s[2:3], s[0:1]
	s_cbranch_execz .LBB339_16
; %bb.14:
	v_mul_f32_e32 v1, s13, v16
	v_ashrrev_i32_e32 v3, 31, v2
	v_fma_f32 v8, v17, s12, -v1
	v_lshlrev_b64 v[1:2], 3, v[2:3]
	v_mul_f32_e32 v9, s12, v16
	v_add_co_u32_e32 v1, vcc, v6, v1
	v_addc_co_u32_e32 v2, vcc, v7, v2, vcc
	v_fmac_f32_e32 v9, s13, v17
	v_cmp_eq_u32_e32 vcc, v5, v0
	global_store_dwordx2 v[1:2], v[8:9], off
	s_and_b64 exec, exec, vcc
	s_cbranch_execz .LBB339_16
; %bb.15:
	v_mov_b32_e32 v0, 0
	global_store_dword v[1:2], v0, off offset:4
.LBB339_16:
	s_endpgm
	.section	.rodata,"a",@progbits
	.p2align	6, 0x0
	.amdhsa_kernel _ZL37rocblas_syrkx_herkx_restricted_kernelIi19rocblas_complex_numIfELi16ELi32ELi8ELb1ELb1ELc78ELc85EKS1_S1_EviT_T0_PT8_S3_lS6_S3_lS4_PT9_S3_li
		.amdhsa_group_segment_fixed_size 4096
		.amdhsa_private_segment_fixed_size 0
		.amdhsa_kernarg_size 100
		.amdhsa_user_sgpr_count 6
		.amdhsa_user_sgpr_private_segment_buffer 1
		.amdhsa_user_sgpr_dispatch_ptr 0
		.amdhsa_user_sgpr_queue_ptr 0
		.amdhsa_user_sgpr_kernarg_segment_ptr 1
		.amdhsa_user_sgpr_dispatch_id 0
		.amdhsa_user_sgpr_flat_scratch_init 0
		.amdhsa_user_sgpr_private_segment_size 0
		.amdhsa_uses_dynamic_stack 0
		.amdhsa_system_sgpr_private_segment_wavefront_offset 0
		.amdhsa_system_sgpr_workgroup_id_x 1
		.amdhsa_system_sgpr_workgroup_id_y 1
		.amdhsa_system_sgpr_workgroup_id_z 1
		.amdhsa_system_sgpr_workgroup_info 0
		.amdhsa_system_vgpr_workitem_id 1
		.amdhsa_next_free_vgpr 43
		.amdhsa_next_free_sgpr 25
		.amdhsa_reserve_vcc 1
		.amdhsa_reserve_flat_scratch 0
		.amdhsa_float_round_mode_32 0
		.amdhsa_float_round_mode_16_64 0
		.amdhsa_float_denorm_mode_32 3
		.amdhsa_float_denorm_mode_16_64 3
		.amdhsa_dx10_clamp 1
		.amdhsa_ieee_mode 1
		.amdhsa_fp16_overflow 0
		.amdhsa_exception_fp_ieee_invalid_op 0
		.amdhsa_exception_fp_denorm_src 0
		.amdhsa_exception_fp_ieee_div_zero 0
		.amdhsa_exception_fp_ieee_overflow 0
		.amdhsa_exception_fp_ieee_underflow 0
		.amdhsa_exception_fp_ieee_inexact 0
		.amdhsa_exception_int_div_zero 0
	.end_amdhsa_kernel
	.section	.text._ZL37rocblas_syrkx_herkx_restricted_kernelIi19rocblas_complex_numIfELi16ELi32ELi8ELb1ELb1ELc78ELc85EKS1_S1_EviT_T0_PT8_S3_lS6_S3_lS4_PT9_S3_li,"axG",@progbits,_ZL37rocblas_syrkx_herkx_restricted_kernelIi19rocblas_complex_numIfELi16ELi32ELi8ELb1ELb1ELc78ELc85EKS1_S1_EviT_T0_PT8_S3_lS6_S3_lS4_PT9_S3_li,comdat
.Lfunc_end339:
	.size	_ZL37rocblas_syrkx_herkx_restricted_kernelIi19rocblas_complex_numIfELi16ELi32ELi8ELb1ELb1ELc78ELc85EKS1_S1_EviT_T0_PT8_S3_lS6_S3_lS4_PT9_S3_li, .Lfunc_end339-_ZL37rocblas_syrkx_herkx_restricted_kernelIi19rocblas_complex_numIfELi16ELi32ELi8ELb1ELb1ELc78ELc85EKS1_S1_EviT_T0_PT8_S3_lS6_S3_lS4_PT9_S3_li
                                        ; -- End function
	.set _ZL37rocblas_syrkx_herkx_restricted_kernelIi19rocblas_complex_numIfELi16ELi32ELi8ELb1ELb1ELc78ELc85EKS1_S1_EviT_T0_PT8_S3_lS6_S3_lS4_PT9_S3_li.num_vgpr, 43
	.set _ZL37rocblas_syrkx_herkx_restricted_kernelIi19rocblas_complex_numIfELi16ELi32ELi8ELb1ELb1ELc78ELc85EKS1_S1_EviT_T0_PT8_S3_lS6_S3_lS4_PT9_S3_li.num_agpr, 0
	.set _ZL37rocblas_syrkx_herkx_restricted_kernelIi19rocblas_complex_numIfELi16ELi32ELi8ELb1ELb1ELc78ELc85EKS1_S1_EviT_T0_PT8_S3_lS6_S3_lS4_PT9_S3_li.numbered_sgpr, 25
	.set _ZL37rocblas_syrkx_herkx_restricted_kernelIi19rocblas_complex_numIfELi16ELi32ELi8ELb1ELb1ELc78ELc85EKS1_S1_EviT_T0_PT8_S3_lS6_S3_lS4_PT9_S3_li.num_named_barrier, 0
	.set _ZL37rocblas_syrkx_herkx_restricted_kernelIi19rocblas_complex_numIfELi16ELi32ELi8ELb1ELb1ELc78ELc85EKS1_S1_EviT_T0_PT8_S3_lS6_S3_lS4_PT9_S3_li.private_seg_size, 0
	.set _ZL37rocblas_syrkx_herkx_restricted_kernelIi19rocblas_complex_numIfELi16ELi32ELi8ELb1ELb1ELc78ELc85EKS1_S1_EviT_T0_PT8_S3_lS6_S3_lS4_PT9_S3_li.uses_vcc, 1
	.set _ZL37rocblas_syrkx_herkx_restricted_kernelIi19rocblas_complex_numIfELi16ELi32ELi8ELb1ELb1ELc78ELc85EKS1_S1_EviT_T0_PT8_S3_lS6_S3_lS4_PT9_S3_li.uses_flat_scratch, 0
	.set _ZL37rocblas_syrkx_herkx_restricted_kernelIi19rocblas_complex_numIfELi16ELi32ELi8ELb1ELb1ELc78ELc85EKS1_S1_EviT_T0_PT8_S3_lS6_S3_lS4_PT9_S3_li.has_dyn_sized_stack, 0
	.set _ZL37rocblas_syrkx_herkx_restricted_kernelIi19rocblas_complex_numIfELi16ELi32ELi8ELb1ELb1ELc78ELc85EKS1_S1_EviT_T0_PT8_S3_lS6_S3_lS4_PT9_S3_li.has_recursion, 0
	.set _ZL37rocblas_syrkx_herkx_restricted_kernelIi19rocblas_complex_numIfELi16ELi32ELi8ELb1ELb1ELc78ELc85EKS1_S1_EviT_T0_PT8_S3_lS6_S3_lS4_PT9_S3_li.has_indirect_call, 0
	.section	.AMDGPU.csdata,"",@progbits
; Kernel info:
; codeLenInByte = 2108
; TotalNumSgprs: 29
; NumVgprs: 43
; ScratchSize: 0
; MemoryBound: 0
; FloatMode: 240
; IeeeMode: 1
; LDSByteSize: 4096 bytes/workgroup (compile time only)
; SGPRBlocks: 3
; VGPRBlocks: 10
; NumSGPRsForWavesPerEU: 29
; NumVGPRsForWavesPerEU: 43
; Occupancy: 5
; WaveLimiterHint : 0
; COMPUTE_PGM_RSRC2:SCRATCH_EN: 0
; COMPUTE_PGM_RSRC2:USER_SGPR: 6
; COMPUTE_PGM_RSRC2:TRAP_HANDLER: 0
; COMPUTE_PGM_RSRC2:TGID_X_EN: 1
; COMPUTE_PGM_RSRC2:TGID_Y_EN: 1
; COMPUTE_PGM_RSRC2:TGID_Z_EN: 1
; COMPUTE_PGM_RSRC2:TIDIG_COMP_CNT: 1
	.section	.text._ZL37rocblas_syrkx_herkx_restricted_kernelIi19rocblas_complex_numIfELi16ELi32ELi8ELb0ELb1ELc84ELc76EKS1_S1_EviT_T0_PT8_S3_lS6_S3_lS4_PT9_S3_li,"axG",@progbits,_ZL37rocblas_syrkx_herkx_restricted_kernelIi19rocblas_complex_numIfELi16ELi32ELi8ELb0ELb1ELc84ELc76EKS1_S1_EviT_T0_PT8_S3_lS6_S3_lS4_PT9_S3_li,comdat
	.globl	_ZL37rocblas_syrkx_herkx_restricted_kernelIi19rocblas_complex_numIfELi16ELi32ELi8ELb0ELb1ELc84ELc76EKS1_S1_EviT_T0_PT8_S3_lS6_S3_lS4_PT9_S3_li ; -- Begin function _ZL37rocblas_syrkx_herkx_restricted_kernelIi19rocblas_complex_numIfELi16ELi32ELi8ELb0ELb1ELc84ELc76EKS1_S1_EviT_T0_PT8_S3_lS6_S3_lS4_PT9_S3_li
	.p2align	8
	.type	_ZL37rocblas_syrkx_herkx_restricted_kernelIi19rocblas_complex_numIfELi16ELi32ELi8ELb0ELb1ELc84ELc76EKS1_S1_EviT_T0_PT8_S3_lS6_S3_lS4_PT9_S3_li,@function
_ZL37rocblas_syrkx_herkx_restricted_kernelIi19rocblas_complex_numIfELi16ELi32ELi8ELb0ELb1ELc84ELc76EKS1_S1_EviT_T0_PT8_S3_lS6_S3_lS4_PT9_S3_li: ; @_ZL37rocblas_syrkx_herkx_restricted_kernelIi19rocblas_complex_numIfELi16ELi32ELi8ELb0ELb1ELc84ELc76EKS1_S1_EviT_T0_PT8_S3_lS6_S3_lS4_PT9_S3_li
; %bb.0:
	s_load_dwordx2 s[10:11], s[4:5], 0x0
	s_load_dwordx4 s[16:19], s[4:5], 0x8
	s_load_dwordx4 s[12:15], s[4:5], 0x38
	s_load_dwordx2 s[20:21], s[4:5], 0x48
	s_lshl_b32 s6, s6, 5
	s_lshl_b32 s7, s7, 5
	s_waitcnt lgkmcnt(0)
	s_cmp_lt_i32 s11, 1
	s_mov_b32 s9, 0
	s_cbranch_scc1 .LBB340_3
; %bb.1:
	v_lshl_add_u32 v3, v1, 4, v0
	s_load_dword s24, s[4:5], 0x18
	s_load_dwordx4 s[0:3], s[4:5], 0x20
	s_load_dword s22, s[4:5], 0x30
	v_and_b32_e32 v7, 31, v3
	v_lshrrev_b32_e32 v2, 5, v3
	v_and_b32_e32 v9, 7, v0
	v_lshlrev_b32_e32 v8, 3, v7
	v_lshrrev_b32_e32 v6, 3, v3
	v_lshl_or_b32 v11, v2, 8, v8
	v_lshlrev_b32_e32 v8, 3, v9
	v_add_u32_e32 v3, s7, v6
	v_lshl_or_b32 v6, v6, 6, v8
	v_mov_b32_e32 v10, 0
	v_add_u32_e32 v12, 0x800, v6
	v_mov_b32_e32 v6, 0x800
	s_waitcnt lgkmcnt(0)
	v_mad_i64_i32 v[4:5], s[22:23], s22, v3, v[9:10]
	v_mov_b32_e32 v3, v10
	v_lshl_add_u32 v14, v1, 6, v6
	v_add_u32_e32 v6, s6, v7
	v_mad_i64_i32 v[2:3], s[22:23], s24, v6, v[2:3]
	s_mul_i32 s1, s1, s8
	s_mul_hi_u32 s25, s0, s8
	s_add_i32 s1, s25, s1
	s_mul_i32 s0, s0, s8
	s_lshl_b64 s[0:1], s[0:1], 3
	v_lshlrev_b64 v[2:3], 3, v[2:3]
	s_add_u32 s0, s18, s0
	s_addc_u32 s1, s19, s1
	v_mov_b32_e32 v6, s1
	v_add_co_u32_e32 v2, vcc, s0, v2
	s_mul_i32 s0, s13, s8
	s_mul_hi_u32 s1, s12, s8
	v_addc_co_u32_e32 v3, vcc, v6, v3, vcc
	s_add_i32 s1, s1, s0
	s_mul_i32 s0, s12, s8
	v_add_co_u32_e32 v6, vcc, 4, v2
	s_lshl_b64 s[0:1], s[0:1], 3
	v_addc_co_u32_e32 v7, vcc, 0, v3, vcc
	v_lshlrev_b64 v[2:3], 3, v[4:5]
	s_add_u32 s0, s2, s0
	s_addc_u32 s1, s3, s1
	v_mov_b32_e32 v4, s1
	v_add_co_u32_e32 v2, vcc, s0, v2
	v_addc_co_u32_e32 v3, vcc, v4, v3, vcc
	v_add_co_u32_e32 v8, vcc, 4, v2
	v_lshlrev_b32_e32 v13, 3, v0
	v_addc_co_u32_e32 v9, vcc, 0, v3, vcc
	v_mov_b32_e32 v15, v10
	v_mov_b32_e32 v17, v10
	;; [unrolled: 1-line block ×7, first 2 shown]
.LBB340_2:                              ; =>This Inner Loop Header: Depth=1
	global_load_dwordx2 v[2:3], v[6:7], off offset:-4
	v_add_co_u32_e32 v6, vcc, 64, v6
	v_addc_co_u32_e32 v7, vcc, 0, v7, vcc
	s_add_i32 s9, s9, 8
	s_cmp_ge_i32 s9, s11
	s_waitcnt vmcnt(0)
	ds_write_b64 v11, v[2:3]
	global_load_dwordx2 v[2:3], v[8:9], off offset:-4
	v_add_co_u32_e32 v8, vcc, 64, v8
	v_addc_co_u32_e32 v9, vcc, 0, v9, vcc
	s_waitcnt vmcnt(0)
	ds_write_b64 v12, v[2:3]
	s_waitcnt lgkmcnt(0)
	s_barrier
	ds_read_b128 v[22:25], v14
	ds_read_b128 v[26:29], v14 offset:16
	ds_read_b128 v[30:33], v14 offset:32
	;; [unrolled: 1-line block ×3, first 2 shown]
	ds_read2_b64 v[34:37], v13 offset1:16
	s_waitcnt lgkmcnt(0)
	v_mul_f32_e32 v38, v23, v35
	v_mul_f32_e32 v39, v22, v35
	v_fma_f32 v38, v22, v34, -v38
	v_fmac_f32_e32 v39, v23, v34
	v_add_f32_e32 v38, v20, v38
	v_add_f32_e32 v39, v21, v39
	v_mul_f32_e32 v20, v23, v37
	v_mul_f32_e32 v21, v22, v37
	v_fma_f32 v20, v22, v36, -v20
	v_fmac_f32_e32 v21, v23, v36
	v_add_f32_e32 v22, v18, v20
	v_add_f32_e32 v23, v19, v21
	ds_read_b128 v[18:21], v14 offset:1024
	s_waitcnt lgkmcnt(0)
	v_mul_f32_e32 v40, v19, v35
	v_mul_f32_e32 v35, v18, v35
	v_fma_f32 v40, v18, v34, -v40
	v_fmac_f32_e32 v35, v19, v34
	v_add_f32_e32 v34, v16, v40
	v_add_f32_e32 v35, v17, v35
	v_mul_f32_e32 v16, v19, v37
	v_mul_f32_e32 v17, v18, v37
	v_fma_f32 v16, v18, v36, -v16
	v_fmac_f32_e32 v17, v19, v36
	v_add_f32_e32 v19, v15, v16
	v_add_f32_e32 v10, v10, v17
	ds_read2_b64 v[15:18], v13 offset0:32 offset1:48
	s_waitcnt lgkmcnt(0)
	v_mul_f32_e32 v36, v25, v16
	v_fma_f32 v36, v24, v15, -v36
	v_add_f32_e32 v36, v38, v36
	v_mul_f32_e32 v38, v25, v18
	v_mul_f32_e32 v37, v24, v16
	v_fma_f32 v38, v24, v17, -v38
	v_mul_f32_e32 v24, v24, v18
	v_fmac_f32_e32 v24, v25, v17
	v_add_f32_e32 v23, v23, v24
	v_mul_f32_e32 v24, v21, v16
	v_mul_f32_e32 v16, v20, v16
	v_fmac_f32_e32 v16, v21, v15
	v_fmac_f32_e32 v37, v25, v15
	v_fma_f32 v24, v20, v15, -v24
	v_add_f32_e32 v25, v35, v16
	v_mul_f32_e32 v15, v21, v18
	v_mul_f32_e32 v16, v20, v18
	v_fma_f32 v15, v20, v17, -v15
	v_fmac_f32_e32 v16, v21, v17
	v_add_f32_e32 v24, v34, v24
	v_add_f32_e32 v34, v19, v15
	;; [unrolled: 1-line block ×3, first 2 shown]
	ds_read2_b64 v[15:18], v13 offset0:64 offset1:80
	v_add_f32_e32 v37, v39, v37
	v_add_f32_e32 v22, v22, v38
	s_waitcnt lgkmcnt(0)
	v_mul_f32_e32 v19, v27, v16
	v_mul_f32_e32 v20, v26, v16
	v_fma_f32 v19, v26, v15, -v19
	v_fmac_f32_e32 v20, v27, v15
	v_add_f32_e32 v35, v36, v19
	v_add_f32_e32 v36, v37, v20
	v_mul_f32_e32 v19, v27, v18
	v_mul_f32_e32 v20, v26, v18
	v_fma_f32 v19, v26, v17, -v19
	v_fmac_f32_e32 v20, v27, v17
	v_add_f32_e32 v26, v22, v19
	v_add_f32_e32 v23, v23, v20
	ds_read_b128 v[19:22], v14 offset:1040
	s_waitcnt lgkmcnt(0)
	v_mul_f32_e32 v27, v20, v16
	v_mul_f32_e32 v16, v19, v16
	v_fmac_f32_e32 v16, v20, v15
	v_fma_f32 v27, v19, v15, -v27
	v_add_f32_e32 v25, v25, v16
	v_mul_f32_e32 v15, v20, v18
	v_mul_f32_e32 v16, v19, v18
	v_fma_f32 v15, v19, v17, -v15
	v_fmac_f32_e32 v16, v20, v17
	v_add_f32_e32 v19, v34, v15
	v_add_f32_e32 v10, v10, v16
	ds_read2_b64 v[15:18], v13 offset0:96 offset1:112
	v_add_f32_e32 v24, v24, v27
	s_waitcnt lgkmcnt(0)
	v_mul_f32_e32 v20, v29, v16
	v_mul_f32_e32 v34, v29, v18
	v_fma_f32 v20, v28, v15, -v20
	v_mul_f32_e32 v27, v28, v16
	v_fma_f32 v34, v28, v17, -v34
	v_mul_f32_e32 v28, v28, v18
	v_fmac_f32_e32 v28, v29, v17
	v_add_f32_e32 v23, v23, v28
	v_mul_f32_e32 v28, v22, v16
	v_mul_f32_e32 v16, v21, v16
	v_fmac_f32_e32 v16, v22, v15
	v_fmac_f32_e32 v27, v29, v15
	v_fma_f32 v28, v21, v15, -v28
	v_add_f32_e32 v25, v25, v16
	v_mul_f32_e32 v15, v22, v18
	v_mul_f32_e32 v16, v21, v18
	v_fma_f32 v15, v21, v17, -v15
	v_fmac_f32_e32 v16, v22, v17
	v_add_f32_e32 v24, v24, v28
	v_add_f32_e32 v28, v19, v15
	;; [unrolled: 1-line block ×3, first 2 shown]
	ds_read2_b64 v[15:18], v13 offset0:128 offset1:144
	v_add_f32_e32 v20, v35, v20
	v_add_f32_e32 v27, v36, v27
	;; [unrolled: 1-line block ×3, first 2 shown]
	s_waitcnt lgkmcnt(0)
	v_mul_f32_e32 v19, v31, v16
	v_fma_f32 v19, v30, v15, -v19
	v_mul_f32_e32 v21, v30, v16
	v_add_f32_e32 v29, v20, v19
	v_mul_f32_e32 v19, v31, v18
	v_mul_f32_e32 v20, v30, v18
	v_fmac_f32_e32 v21, v31, v15
	v_fma_f32 v19, v30, v17, -v19
	v_fmac_f32_e32 v20, v31, v17
	v_add_f32_e32 v27, v27, v21
	v_add_f32_e32 v26, v26, v19
	;; [unrolled: 1-line block ×3, first 2 shown]
	ds_read_b128 v[19:22], v14 offset:1056
	s_waitcnt lgkmcnt(0)
	v_mul_f32_e32 v30, v20, v16
	v_mul_f32_e32 v16, v19, v16
	v_fmac_f32_e32 v16, v20, v15
	v_fma_f32 v30, v19, v15, -v30
	v_add_f32_e32 v25, v25, v16
	v_mul_f32_e32 v15, v20, v18
	v_mul_f32_e32 v16, v19, v18
	v_fma_f32 v15, v19, v17, -v15
	v_fmac_f32_e32 v16, v20, v17
	v_add_f32_e32 v19, v28, v15
	v_add_f32_e32 v10, v10, v16
	ds_read2_b64 v[15:18], v13 offset0:160 offset1:176
	v_add_f32_e32 v24, v24, v30
	s_waitcnt lgkmcnt(0)
	v_mul_f32_e32 v28, v32, v16
	v_fmac_f32_e32 v28, v33, v15
	v_add_f32_e32 v27, v27, v28
	v_mul_f32_e32 v28, v33, v18
	v_fma_f32 v28, v32, v17, -v28
	v_mul_f32_e32 v20, v33, v16
	v_add_f32_e32 v26, v26, v28
	v_mul_f32_e32 v28, v22, v16
	v_mul_f32_e32 v16, v21, v16
	v_fmac_f32_e32 v16, v22, v15
	v_fma_f32 v20, v32, v15, -v20
	v_fma_f32 v28, v21, v15, -v28
	v_add_f32_e32 v25, v25, v16
	v_mul_f32_e32 v15, v22, v18
	v_mul_f32_e32 v16, v21, v18
	v_add_f32_e32 v20, v29, v20
	v_mul_f32_e32 v29, v32, v18
	v_fma_f32 v15, v21, v17, -v15
	v_fmac_f32_e32 v16, v22, v17
	v_fmac_f32_e32 v29, v33, v17
	v_add_f32_e32 v19, v19, v15
	v_add_f32_e32 v10, v10, v16
	ds_read2_b64 v[15:18], v13 offset0:192 offset1:208
	v_add_f32_e32 v24, v24, v28
	v_add_f32_e32 v23, v23, v29
	s_waitcnt lgkmcnt(0)
	v_mul_f32_e32 v21, v3, v16
	v_fma_f32 v21, v2, v15, -v21
	v_add_f32_e32 v28, v20, v21
	v_mul_f32_e32 v20, v3, v18
	v_mul_f32_e32 v22, v2, v16
	v_fma_f32 v20, v2, v17, -v20
	v_mul_f32_e32 v2, v2, v18
	v_fmac_f32_e32 v22, v3, v15
	v_fmac_f32_e32 v2, v3, v17
	v_add_f32_e32 v29, v27, v22
	v_add_f32_e32 v3, v26, v20
	;; [unrolled: 1-line block ×3, first 2 shown]
	ds_read_b128 v[20:23], v14 offset:1072
	s_waitcnt lgkmcnt(0)
	v_mul_f32_e32 v26, v21, v16
	v_mul_f32_e32 v16, v20, v16
	v_fma_f32 v26, v20, v15, -v26
	v_fmac_f32_e32 v16, v21, v15
	v_add_f32_e32 v15, v24, v26
	v_add_f32_e32 v30, v25, v16
	ds_read2_b64 v[24:27], v13 offset0:224 offset1:240
	v_mul_f32_e32 v16, v21, v18
	v_fma_f32 v16, v20, v17, -v16
	v_add_f32_e32 v31, v19, v16
	v_mul_f32_e32 v18, v20, v18
	s_waitcnt lgkmcnt(0)
	v_mul_f32_e32 v16, v5, v25
	v_fma_f32 v16, v4, v24, -v16
	v_add_f32_e32 v20, v28, v16
	v_mul_f32_e32 v16, v5, v27
	v_fmac_f32_e32 v18, v21, v17
	v_mul_f32_e32 v17, v4, v25
	v_fma_f32 v16, v4, v26, -v16
	v_mul_f32_e32 v4, v4, v27
	v_fmac_f32_e32 v4, v5, v26
	v_add_f32_e32 v10, v10, v18
	v_add_f32_e32 v18, v3, v16
	;; [unrolled: 1-line block ×3, first 2 shown]
	v_mul_f32_e32 v2, v23, v25
	v_mul_f32_e32 v3, v22, v25
	v_fmac_f32_e32 v17, v5, v24
	v_fma_f32 v2, v22, v24, -v2
	v_fmac_f32_e32 v3, v23, v24
	v_add_f32_e32 v21, v29, v17
	v_add_f32_e32 v16, v15, v2
	;; [unrolled: 1-line block ×3, first 2 shown]
	v_mul_f32_e32 v2, v23, v27
	v_mul_f32_e32 v3, v22, v27
	v_fma_f32 v2, v22, v26, -v2
	v_fmac_f32_e32 v3, v23, v26
	v_add_f32_e32 v15, v31, v2
	v_add_f32_e32 v10, v10, v3
	s_barrier
	s_cbranch_scc0 .LBB340_2
	s_branch .LBB340_4
.LBB340_3:
	v_mov_b32_e32 v20, 0
	v_mov_b32_e32 v21, 0
	;; [unrolled: 1-line block ×8, first 2 shown]
.LBB340_4:
	s_load_dwordx2 s[0:1], s[4:5], 0x58
	s_load_dword s9, s[4:5], 0x50
	v_add_u32_e32 v5, s7, v1
	v_add_u32_e32 v0, s6, v0
	s_waitcnt lgkmcnt(0)
	s_mul_i32 s1, s1, s8
	s_mul_hi_u32 s2, s0, s8
	s_add_i32 s1, s2, s1
	v_mad_i64_i32 v[1:2], s[2:3], v5, s9, 0
	s_mul_i32 s0, s0, s8
	s_lshl_b64 s[0:1], s[0:1], 3
	s_add_u32 s7, s20, s0
	v_lshlrev_b64 v[1:2], 3, v[1:2]
	s_addc_u32 s8, s21, s1
	v_mov_b32_e32 v3, s8
	v_add_co_u32_e32 v4, vcc, s7, v1
	v_addc_co_u32_e32 v6, vcc, v3, v2, vcc
	v_cmp_le_i32_e64 s[0:1], v5, v0
	v_cmp_gt_i32_e32 vcc, s10, v0
	s_and_b64 s[0:1], s[0:1], vcc
	s_and_saveexec_b64 s[2:3], s[0:1]
	s_cbranch_execz .LBB340_7
; %bb.5:
	v_ashrrev_i32_e32 v1, 31, v0
	v_lshlrev_b64 v[1:2], 3, v[0:1]
	v_mul_f32_e32 v3, s17, v21
	v_add_co_u32_e64 v1, s[0:1], v4, v1
	v_addc_co_u32_e64 v2, s[0:1], v6, v2, s[0:1]
	global_load_dwordx2 v[7:8], v[1:2], off
	v_mul_f32_e32 v9, s16, v21
	v_fma_f32 v3, v20, s16, -v3
	v_fmac_f32_e32 v9, s17, v20
	v_cmp_eq_u32_e64 s[0:1], v5, v0
	s_waitcnt vmcnt(0)
	v_mul_f32_e32 v11, s15, v8
	v_mul_f32_e32 v8, s14, v8
	v_fma_f32 v11, v7, s14, -v11
	v_fmac_f32_e32 v8, s15, v7
	v_add_f32_e32 v7, v3, v11
	v_add_f32_e32 v8, v9, v8
	global_store_dwordx2 v[1:2], v[7:8], off
	s_and_b64 exec, exec, s[0:1]
	s_cbranch_execz .LBB340_7
; %bb.6:
	v_mov_b32_e32 v3, 0
	global_store_dword v[1:2], v3, off offset:4
.LBB340_7:
	s_or_b64 exec, exec, s[2:3]
	v_add_u32_e32 v2, 16, v0
	v_cmp_le_i32_e64 s[2:3], v5, v2
	v_cmp_gt_i32_e64 s[0:1], s10, v2
	s_and_b64 s[2:3], s[2:3], s[0:1]
	s_and_saveexec_b64 s[4:5], s[2:3]
	s_cbranch_execz .LBB340_10
; %bb.8:
	v_ashrrev_i32_e32 v3, 31, v2
	v_lshlrev_b64 v[7:8], 3, v[2:3]
	v_mul_f32_e32 v1, s17, v19
	v_add_co_u32_e64 v3, s[2:3], v4, v7
	v_addc_co_u32_e64 v4, s[2:3], v6, v8, s[2:3]
	global_load_dwordx2 v[6:7], v[3:4], off
	v_mul_f32_e32 v8, s16, v19
	v_fma_f32 v1, v18, s16, -v1
	v_fmac_f32_e32 v8, s17, v18
	v_cmp_eq_u32_e64 s[2:3], v5, v2
	s_waitcnt vmcnt(0)
	v_mul_f32_e32 v9, s15, v7
	v_mul_f32_e32 v7, s14, v7
	v_fma_f32 v9, v6, s14, -v9
	v_fmac_f32_e32 v7, s15, v6
	v_add_f32_e32 v6, v1, v9
	v_add_f32_e32 v7, v8, v7
	global_store_dwordx2 v[3:4], v[6:7], off
	s_and_b64 exec, exec, s[2:3]
	s_cbranch_execz .LBB340_10
; %bb.9:
	v_mov_b32_e32 v1, 0
	global_store_dword v[3:4], v1, off offset:4
.LBB340_10:
	s_or_b64 exec, exec, s[4:5]
	v_add_u32_e32 v8, 16, v5
	v_mad_i64_i32 v[3:4], s[2:3], v8, s9, 0
	v_mov_b32_e32 v1, s8
	v_lshlrev_b64 v[3:4], 3, v[3:4]
	v_add_co_u32_e64 v6, s[2:3], s7, v3
	v_addc_co_u32_e64 v7, s[2:3], v1, v4, s[2:3]
	v_cmp_le_i32_e64 s[2:3], v8, v0
	s_and_b64 s[4:5], s[2:3], vcc
	s_and_saveexec_b64 s[2:3], s[4:5]
	s_cbranch_execz .LBB340_13
; %bb.11:
	v_ashrrev_i32_e32 v1, 31, v0
	v_lshlrev_b64 v[3:4], 3, v[0:1]
	v_mul_f32_e32 v1, s17, v17
	v_add_co_u32_e32 v3, vcc, v6, v3
	v_addc_co_u32_e32 v4, vcc, v7, v4, vcc
	global_load_dwordx2 v[11:12], v[3:4], off
	v_mul_f32_e32 v9, s16, v17
	v_fma_f32 v1, v16, s16, -v1
	v_fmac_f32_e32 v9, s17, v16
	v_cmp_eq_u32_e32 vcc, v8, v0
	s_waitcnt vmcnt(0)
	v_mul_f32_e32 v13, s15, v12
	v_mul_f32_e32 v12, s14, v12
	v_fma_f32 v13, v11, s14, -v13
	v_fmac_f32_e32 v12, s15, v11
	v_add_f32_e32 v11, v1, v13
	v_add_f32_e32 v12, v9, v12
	global_store_dwordx2 v[3:4], v[11:12], off
	s_and_b64 exec, exec, vcc
	s_cbranch_execz .LBB340_13
; %bb.12:
	v_mov_b32_e32 v1, 0
	global_store_dword v[3:4], v1, off offset:4
.LBB340_13:
	s_or_b64 exec, exec, s[2:3]
	v_cmp_le_i32_e32 vcc, v8, v2
	s_and_b64 s[0:1], vcc, s[0:1]
	s_and_saveexec_b64 s[2:3], s[0:1]
	s_cbranch_execz .LBB340_16
; %bb.14:
	v_ashrrev_i32_e32 v3, 31, v2
	v_lshlrev_b64 v[1:2], 3, v[2:3]
	v_add_co_u32_e32 v1, vcc, v6, v1
	v_addc_co_u32_e32 v2, vcc, v7, v2, vcc
	global_load_dwordx2 v[3:4], v[1:2], off
	v_mul_f32_e32 v6, s17, v10
	v_mul_f32_e32 v7, s16, v10
	v_fma_f32 v6, v15, s16, -v6
	v_fmac_f32_e32 v7, s17, v15
	v_cmp_eq_u32_e32 vcc, v5, v0
	s_waitcnt vmcnt(0)
	v_mul_f32_e32 v8, s15, v4
	v_mul_f32_e32 v4, s14, v4
	v_fma_f32 v8, v3, s14, -v8
	v_fmac_f32_e32 v4, s15, v3
	v_add_f32_e32 v3, v6, v8
	v_add_f32_e32 v4, v7, v4
	global_store_dwordx2 v[1:2], v[3:4], off
	s_and_b64 exec, exec, vcc
	s_cbranch_execz .LBB340_16
; %bb.15:
	v_mov_b32_e32 v0, 0
	global_store_dword v[1:2], v0, off offset:4
.LBB340_16:
	s_endpgm
	.section	.rodata,"a",@progbits
	.p2align	6, 0x0
	.amdhsa_kernel _ZL37rocblas_syrkx_herkx_restricted_kernelIi19rocblas_complex_numIfELi16ELi32ELi8ELb0ELb1ELc84ELc76EKS1_S1_EviT_T0_PT8_S3_lS6_S3_lS4_PT9_S3_li
		.amdhsa_group_segment_fixed_size 4096
		.amdhsa_private_segment_fixed_size 0
		.amdhsa_kernarg_size 100
		.amdhsa_user_sgpr_count 6
		.amdhsa_user_sgpr_private_segment_buffer 1
		.amdhsa_user_sgpr_dispatch_ptr 0
		.amdhsa_user_sgpr_queue_ptr 0
		.amdhsa_user_sgpr_kernarg_segment_ptr 1
		.amdhsa_user_sgpr_dispatch_id 0
		.amdhsa_user_sgpr_flat_scratch_init 0
		.amdhsa_user_sgpr_private_segment_size 0
		.amdhsa_uses_dynamic_stack 0
		.amdhsa_system_sgpr_private_segment_wavefront_offset 0
		.amdhsa_system_sgpr_workgroup_id_x 1
		.amdhsa_system_sgpr_workgroup_id_y 1
		.amdhsa_system_sgpr_workgroup_id_z 1
		.amdhsa_system_sgpr_workgroup_info 0
		.amdhsa_system_vgpr_workitem_id 1
		.amdhsa_next_free_vgpr 41
		.amdhsa_next_free_sgpr 26
		.amdhsa_reserve_vcc 1
		.amdhsa_reserve_flat_scratch 0
		.amdhsa_float_round_mode_32 0
		.amdhsa_float_round_mode_16_64 0
		.amdhsa_float_denorm_mode_32 3
		.amdhsa_float_denorm_mode_16_64 3
		.amdhsa_dx10_clamp 1
		.amdhsa_ieee_mode 1
		.amdhsa_fp16_overflow 0
		.amdhsa_exception_fp_ieee_invalid_op 0
		.amdhsa_exception_fp_denorm_src 0
		.amdhsa_exception_fp_ieee_div_zero 0
		.amdhsa_exception_fp_ieee_overflow 0
		.amdhsa_exception_fp_ieee_underflow 0
		.amdhsa_exception_fp_ieee_inexact 0
		.amdhsa_exception_int_div_zero 0
	.end_amdhsa_kernel
	.section	.text._ZL37rocblas_syrkx_herkx_restricted_kernelIi19rocblas_complex_numIfELi16ELi32ELi8ELb0ELb1ELc84ELc76EKS1_S1_EviT_T0_PT8_S3_lS6_S3_lS4_PT9_S3_li,"axG",@progbits,_ZL37rocblas_syrkx_herkx_restricted_kernelIi19rocblas_complex_numIfELi16ELi32ELi8ELb0ELb1ELc84ELc76EKS1_S1_EviT_T0_PT8_S3_lS6_S3_lS4_PT9_S3_li,comdat
.Lfunc_end340:
	.size	_ZL37rocblas_syrkx_herkx_restricted_kernelIi19rocblas_complex_numIfELi16ELi32ELi8ELb0ELb1ELc84ELc76EKS1_S1_EviT_T0_PT8_S3_lS6_S3_lS4_PT9_S3_li, .Lfunc_end340-_ZL37rocblas_syrkx_herkx_restricted_kernelIi19rocblas_complex_numIfELi16ELi32ELi8ELb0ELb1ELc84ELc76EKS1_S1_EviT_T0_PT8_S3_lS6_S3_lS4_PT9_S3_li
                                        ; -- End function
	.set _ZL37rocblas_syrkx_herkx_restricted_kernelIi19rocblas_complex_numIfELi16ELi32ELi8ELb0ELb1ELc84ELc76EKS1_S1_EviT_T0_PT8_S3_lS6_S3_lS4_PT9_S3_li.num_vgpr, 41
	.set _ZL37rocblas_syrkx_herkx_restricted_kernelIi19rocblas_complex_numIfELi16ELi32ELi8ELb0ELb1ELc84ELc76EKS1_S1_EviT_T0_PT8_S3_lS6_S3_lS4_PT9_S3_li.num_agpr, 0
	.set _ZL37rocblas_syrkx_herkx_restricted_kernelIi19rocblas_complex_numIfELi16ELi32ELi8ELb0ELb1ELc84ELc76EKS1_S1_EviT_T0_PT8_S3_lS6_S3_lS4_PT9_S3_li.numbered_sgpr, 26
	.set _ZL37rocblas_syrkx_herkx_restricted_kernelIi19rocblas_complex_numIfELi16ELi32ELi8ELb0ELb1ELc84ELc76EKS1_S1_EviT_T0_PT8_S3_lS6_S3_lS4_PT9_S3_li.num_named_barrier, 0
	.set _ZL37rocblas_syrkx_herkx_restricted_kernelIi19rocblas_complex_numIfELi16ELi32ELi8ELb0ELb1ELc84ELc76EKS1_S1_EviT_T0_PT8_S3_lS6_S3_lS4_PT9_S3_li.private_seg_size, 0
	.set _ZL37rocblas_syrkx_herkx_restricted_kernelIi19rocblas_complex_numIfELi16ELi32ELi8ELb0ELb1ELc84ELc76EKS1_S1_EviT_T0_PT8_S3_lS6_S3_lS4_PT9_S3_li.uses_vcc, 1
	.set _ZL37rocblas_syrkx_herkx_restricted_kernelIi19rocblas_complex_numIfELi16ELi32ELi8ELb0ELb1ELc84ELc76EKS1_S1_EviT_T0_PT8_S3_lS6_S3_lS4_PT9_S3_li.uses_flat_scratch, 0
	.set _ZL37rocblas_syrkx_herkx_restricted_kernelIi19rocblas_complex_numIfELi16ELi32ELi8ELb0ELb1ELc84ELc76EKS1_S1_EviT_T0_PT8_S3_lS6_S3_lS4_PT9_S3_li.has_dyn_sized_stack, 0
	.set _ZL37rocblas_syrkx_herkx_restricted_kernelIi19rocblas_complex_numIfELi16ELi32ELi8ELb0ELb1ELc84ELc76EKS1_S1_EviT_T0_PT8_S3_lS6_S3_lS4_PT9_S3_li.has_recursion, 0
	.set _ZL37rocblas_syrkx_herkx_restricted_kernelIi19rocblas_complex_numIfELi16ELi32ELi8ELb0ELb1ELc84ELc76EKS1_S1_EviT_T0_PT8_S3_lS6_S3_lS4_PT9_S3_li.has_indirect_call, 0
	.section	.AMDGPU.csdata,"",@progbits
; Kernel info:
; codeLenInByte = 2224
; TotalNumSgprs: 30
; NumVgprs: 41
; ScratchSize: 0
; MemoryBound: 0
; FloatMode: 240
; IeeeMode: 1
; LDSByteSize: 4096 bytes/workgroup (compile time only)
; SGPRBlocks: 3
; VGPRBlocks: 10
; NumSGPRsForWavesPerEU: 30
; NumVGPRsForWavesPerEU: 41
; Occupancy: 5
; WaveLimiterHint : 0
; COMPUTE_PGM_RSRC2:SCRATCH_EN: 0
; COMPUTE_PGM_RSRC2:USER_SGPR: 6
; COMPUTE_PGM_RSRC2:TRAP_HANDLER: 0
; COMPUTE_PGM_RSRC2:TGID_X_EN: 1
; COMPUTE_PGM_RSRC2:TGID_Y_EN: 1
; COMPUTE_PGM_RSRC2:TGID_Z_EN: 1
; COMPUTE_PGM_RSRC2:TIDIG_COMP_CNT: 1
	.section	.text._ZL37rocblas_syrkx_herkx_restricted_kernelIi19rocblas_complex_numIfELi16ELi32ELi8ELb0ELb1ELc67ELc76EKS1_S1_EviT_T0_PT8_S3_lS6_S3_lS4_PT9_S3_li,"axG",@progbits,_ZL37rocblas_syrkx_herkx_restricted_kernelIi19rocblas_complex_numIfELi16ELi32ELi8ELb0ELb1ELc67ELc76EKS1_S1_EviT_T0_PT8_S3_lS6_S3_lS4_PT9_S3_li,comdat
	.globl	_ZL37rocblas_syrkx_herkx_restricted_kernelIi19rocblas_complex_numIfELi16ELi32ELi8ELb0ELb1ELc67ELc76EKS1_S1_EviT_T0_PT8_S3_lS6_S3_lS4_PT9_S3_li ; -- Begin function _ZL37rocblas_syrkx_herkx_restricted_kernelIi19rocblas_complex_numIfELi16ELi32ELi8ELb0ELb1ELc67ELc76EKS1_S1_EviT_T0_PT8_S3_lS6_S3_lS4_PT9_S3_li
	.p2align	8
	.type	_ZL37rocblas_syrkx_herkx_restricted_kernelIi19rocblas_complex_numIfELi16ELi32ELi8ELb0ELb1ELc67ELc76EKS1_S1_EviT_T0_PT8_S3_lS6_S3_lS4_PT9_S3_li,@function
_ZL37rocblas_syrkx_herkx_restricted_kernelIi19rocblas_complex_numIfELi16ELi32ELi8ELb0ELb1ELc67ELc76EKS1_S1_EviT_T0_PT8_S3_lS6_S3_lS4_PT9_S3_li: ; @_ZL37rocblas_syrkx_herkx_restricted_kernelIi19rocblas_complex_numIfELi16ELi32ELi8ELb0ELb1ELc67ELc76EKS1_S1_EviT_T0_PT8_S3_lS6_S3_lS4_PT9_S3_li
; %bb.0:
	s_load_dwordx2 s[10:11], s[4:5], 0x0
	s_load_dwordx4 s[16:19], s[4:5], 0x8
	s_load_dwordx4 s[12:15], s[4:5], 0x38
	s_load_dwordx2 s[20:21], s[4:5], 0x48
	s_lshl_b32 s6, s6, 5
	s_lshl_b32 s7, s7, 5
	s_waitcnt lgkmcnt(0)
	s_cmp_lt_i32 s11, 1
	s_mov_b32 s9, 0
	s_cbranch_scc1 .LBB341_3
; %bb.1:
	v_lshl_add_u32 v3, v1, 4, v0
	s_load_dword s24, s[4:5], 0x18
	s_load_dwordx4 s[0:3], s[4:5], 0x20
	s_load_dword s22, s[4:5], 0x30
	v_and_b32_e32 v7, 31, v3
	v_lshrrev_b32_e32 v2, 5, v3
	v_and_b32_e32 v9, 7, v0
	v_lshlrev_b32_e32 v8, 3, v7
	v_lshrrev_b32_e32 v6, 3, v3
	v_lshl_or_b32 v11, v2, 8, v8
	v_lshlrev_b32_e32 v8, 3, v9
	v_add_u32_e32 v3, s7, v6
	v_lshl_or_b32 v6, v6, 6, v8
	v_mov_b32_e32 v10, 0
	v_add_u32_e32 v12, 0x800, v6
	v_mov_b32_e32 v6, 0x800
	s_waitcnt lgkmcnt(0)
	v_mad_i64_i32 v[4:5], s[22:23], s22, v3, v[9:10]
	v_mov_b32_e32 v3, v10
	v_lshl_add_u32 v14, v1, 6, v6
	v_add_u32_e32 v6, s6, v7
	v_mad_i64_i32 v[2:3], s[22:23], s24, v6, v[2:3]
	s_mul_i32 s1, s1, s8
	s_mul_hi_u32 s25, s0, s8
	s_add_i32 s1, s25, s1
	s_mul_i32 s0, s0, s8
	s_lshl_b64 s[0:1], s[0:1], 3
	v_lshlrev_b64 v[2:3], 3, v[2:3]
	s_add_u32 s0, s18, s0
	s_addc_u32 s1, s19, s1
	v_mov_b32_e32 v6, s1
	v_add_co_u32_e32 v2, vcc, s0, v2
	s_mul_i32 s0, s13, s8
	s_mul_hi_u32 s1, s12, s8
	v_addc_co_u32_e32 v3, vcc, v6, v3, vcc
	s_add_i32 s1, s1, s0
	s_mul_i32 s0, s12, s8
	v_add_co_u32_e32 v6, vcc, 4, v2
	s_lshl_b64 s[0:1], s[0:1], 3
	v_addc_co_u32_e32 v7, vcc, 0, v3, vcc
	v_lshlrev_b64 v[2:3], 3, v[4:5]
	s_add_u32 s0, s2, s0
	s_addc_u32 s1, s3, s1
	v_mov_b32_e32 v4, s1
	v_add_co_u32_e32 v2, vcc, s0, v2
	v_addc_co_u32_e32 v3, vcc, v4, v3, vcc
	v_add_co_u32_e32 v8, vcc, 4, v2
	v_lshlrev_b32_e32 v13, 3, v0
	v_addc_co_u32_e32 v9, vcc, 0, v3, vcc
	v_mov_b32_e32 v15, v10
	v_mov_b32_e32 v17, v10
	;; [unrolled: 1-line block ×7, first 2 shown]
.LBB341_2:                              ; =>This Inner Loop Header: Depth=1
	global_load_dwordx2 v[2:3], v[6:7], off offset:-4
	v_add_co_u32_e32 v6, vcc, 64, v6
	v_addc_co_u32_e32 v7, vcc, 0, v7, vcc
	s_add_i32 s9, s9, 8
	s_cmp_ge_i32 s9, s11
	s_waitcnt vmcnt(0)
	v_xor_b32_e32 v3, 0x80000000, v3
	ds_write_b64 v11, v[2:3]
	global_load_dwordx2 v[2:3], v[8:9], off offset:-4
	v_add_co_u32_e32 v8, vcc, 64, v8
	v_addc_co_u32_e32 v9, vcc, 0, v9, vcc
	s_waitcnt vmcnt(0)
	ds_write_b64 v12, v[2:3]
	s_waitcnt lgkmcnt(0)
	s_barrier
	ds_read_b128 v[22:25], v14
	ds_read_b128 v[26:29], v14 offset:16
	ds_read_b128 v[30:33], v14 offset:32
	;; [unrolled: 1-line block ×3, first 2 shown]
	ds_read2_b64 v[34:37], v13 offset1:16
	s_waitcnt lgkmcnt(0)
	v_mul_f32_e32 v38, v23, v35
	v_mul_f32_e32 v39, v22, v35
	v_fma_f32 v38, v22, v34, -v38
	v_fmac_f32_e32 v39, v23, v34
	v_add_f32_e32 v38, v20, v38
	v_add_f32_e32 v39, v21, v39
	v_mul_f32_e32 v20, v23, v37
	v_mul_f32_e32 v21, v22, v37
	v_fma_f32 v20, v22, v36, -v20
	v_fmac_f32_e32 v21, v23, v36
	v_add_f32_e32 v22, v18, v20
	v_add_f32_e32 v23, v19, v21
	ds_read_b128 v[18:21], v14 offset:1024
	s_waitcnt lgkmcnt(0)
	v_mul_f32_e32 v40, v19, v35
	v_mul_f32_e32 v35, v18, v35
	v_fma_f32 v40, v18, v34, -v40
	v_fmac_f32_e32 v35, v19, v34
	v_add_f32_e32 v34, v16, v40
	v_add_f32_e32 v35, v17, v35
	v_mul_f32_e32 v16, v19, v37
	v_mul_f32_e32 v17, v18, v37
	v_fma_f32 v16, v18, v36, -v16
	v_fmac_f32_e32 v17, v19, v36
	v_add_f32_e32 v19, v15, v16
	v_add_f32_e32 v10, v10, v17
	ds_read2_b64 v[15:18], v13 offset0:32 offset1:48
	s_waitcnt lgkmcnt(0)
	v_mul_f32_e32 v36, v25, v16
	v_fma_f32 v36, v24, v15, -v36
	v_add_f32_e32 v36, v38, v36
	v_mul_f32_e32 v38, v25, v18
	v_mul_f32_e32 v37, v24, v16
	v_fma_f32 v38, v24, v17, -v38
	v_mul_f32_e32 v24, v24, v18
	v_fmac_f32_e32 v24, v25, v17
	v_add_f32_e32 v23, v23, v24
	v_mul_f32_e32 v24, v21, v16
	v_mul_f32_e32 v16, v20, v16
	v_fmac_f32_e32 v16, v21, v15
	v_fmac_f32_e32 v37, v25, v15
	v_fma_f32 v24, v20, v15, -v24
	v_add_f32_e32 v25, v35, v16
	v_mul_f32_e32 v15, v21, v18
	v_mul_f32_e32 v16, v20, v18
	v_fma_f32 v15, v20, v17, -v15
	v_fmac_f32_e32 v16, v21, v17
	v_add_f32_e32 v24, v34, v24
	v_add_f32_e32 v34, v19, v15
	;; [unrolled: 1-line block ×3, first 2 shown]
	ds_read2_b64 v[15:18], v13 offset0:64 offset1:80
	v_add_f32_e32 v37, v39, v37
	v_add_f32_e32 v22, v22, v38
	s_waitcnt lgkmcnt(0)
	v_mul_f32_e32 v19, v27, v16
	v_mul_f32_e32 v20, v26, v16
	v_fma_f32 v19, v26, v15, -v19
	v_fmac_f32_e32 v20, v27, v15
	v_add_f32_e32 v35, v36, v19
	v_add_f32_e32 v36, v37, v20
	v_mul_f32_e32 v19, v27, v18
	v_mul_f32_e32 v20, v26, v18
	v_fma_f32 v19, v26, v17, -v19
	v_fmac_f32_e32 v20, v27, v17
	v_add_f32_e32 v26, v22, v19
	v_add_f32_e32 v23, v23, v20
	ds_read_b128 v[19:22], v14 offset:1040
	s_waitcnt lgkmcnt(0)
	v_mul_f32_e32 v27, v20, v16
	v_mul_f32_e32 v16, v19, v16
	v_fmac_f32_e32 v16, v20, v15
	v_fma_f32 v27, v19, v15, -v27
	v_add_f32_e32 v25, v25, v16
	v_mul_f32_e32 v15, v20, v18
	v_mul_f32_e32 v16, v19, v18
	v_fma_f32 v15, v19, v17, -v15
	v_fmac_f32_e32 v16, v20, v17
	v_add_f32_e32 v19, v34, v15
	v_add_f32_e32 v10, v10, v16
	ds_read2_b64 v[15:18], v13 offset0:96 offset1:112
	v_add_f32_e32 v24, v24, v27
	s_waitcnt lgkmcnt(0)
	v_mul_f32_e32 v20, v29, v16
	v_mul_f32_e32 v34, v29, v18
	v_fma_f32 v20, v28, v15, -v20
	v_mul_f32_e32 v27, v28, v16
	v_fma_f32 v34, v28, v17, -v34
	v_mul_f32_e32 v28, v28, v18
	v_fmac_f32_e32 v28, v29, v17
	v_add_f32_e32 v23, v23, v28
	v_mul_f32_e32 v28, v22, v16
	v_mul_f32_e32 v16, v21, v16
	v_fmac_f32_e32 v16, v22, v15
	v_fmac_f32_e32 v27, v29, v15
	v_fma_f32 v28, v21, v15, -v28
	v_add_f32_e32 v25, v25, v16
	v_mul_f32_e32 v15, v22, v18
	v_mul_f32_e32 v16, v21, v18
	v_fma_f32 v15, v21, v17, -v15
	v_fmac_f32_e32 v16, v22, v17
	v_add_f32_e32 v24, v24, v28
	v_add_f32_e32 v28, v19, v15
	;; [unrolled: 1-line block ×3, first 2 shown]
	ds_read2_b64 v[15:18], v13 offset0:128 offset1:144
	v_add_f32_e32 v20, v35, v20
	v_add_f32_e32 v27, v36, v27
	;; [unrolled: 1-line block ×3, first 2 shown]
	s_waitcnt lgkmcnt(0)
	v_mul_f32_e32 v19, v31, v16
	v_fma_f32 v19, v30, v15, -v19
	v_mul_f32_e32 v21, v30, v16
	v_add_f32_e32 v29, v20, v19
	v_mul_f32_e32 v19, v31, v18
	v_mul_f32_e32 v20, v30, v18
	v_fmac_f32_e32 v21, v31, v15
	v_fma_f32 v19, v30, v17, -v19
	v_fmac_f32_e32 v20, v31, v17
	v_add_f32_e32 v27, v27, v21
	v_add_f32_e32 v26, v26, v19
	;; [unrolled: 1-line block ×3, first 2 shown]
	ds_read_b128 v[19:22], v14 offset:1056
	s_waitcnt lgkmcnt(0)
	v_mul_f32_e32 v30, v20, v16
	v_mul_f32_e32 v16, v19, v16
	v_fmac_f32_e32 v16, v20, v15
	v_fma_f32 v30, v19, v15, -v30
	v_add_f32_e32 v25, v25, v16
	v_mul_f32_e32 v15, v20, v18
	v_mul_f32_e32 v16, v19, v18
	v_fma_f32 v15, v19, v17, -v15
	v_fmac_f32_e32 v16, v20, v17
	v_add_f32_e32 v19, v28, v15
	v_add_f32_e32 v10, v10, v16
	ds_read2_b64 v[15:18], v13 offset0:160 offset1:176
	v_add_f32_e32 v24, v24, v30
	s_waitcnt lgkmcnt(0)
	v_mul_f32_e32 v28, v32, v16
	v_fmac_f32_e32 v28, v33, v15
	v_add_f32_e32 v27, v27, v28
	v_mul_f32_e32 v28, v33, v18
	v_fma_f32 v28, v32, v17, -v28
	v_mul_f32_e32 v20, v33, v16
	v_add_f32_e32 v26, v26, v28
	v_mul_f32_e32 v28, v22, v16
	v_mul_f32_e32 v16, v21, v16
	v_fmac_f32_e32 v16, v22, v15
	v_fma_f32 v20, v32, v15, -v20
	v_fma_f32 v28, v21, v15, -v28
	v_add_f32_e32 v25, v25, v16
	v_mul_f32_e32 v15, v22, v18
	v_mul_f32_e32 v16, v21, v18
	v_add_f32_e32 v20, v29, v20
	v_mul_f32_e32 v29, v32, v18
	v_fma_f32 v15, v21, v17, -v15
	v_fmac_f32_e32 v16, v22, v17
	v_fmac_f32_e32 v29, v33, v17
	v_add_f32_e32 v19, v19, v15
	v_add_f32_e32 v10, v10, v16
	ds_read2_b64 v[15:18], v13 offset0:192 offset1:208
	v_add_f32_e32 v24, v24, v28
	v_add_f32_e32 v23, v23, v29
	s_waitcnt lgkmcnt(0)
	v_mul_f32_e32 v21, v3, v16
	v_fma_f32 v21, v2, v15, -v21
	v_add_f32_e32 v28, v20, v21
	v_mul_f32_e32 v20, v3, v18
	v_mul_f32_e32 v22, v2, v16
	v_fma_f32 v20, v2, v17, -v20
	v_mul_f32_e32 v2, v2, v18
	v_fmac_f32_e32 v22, v3, v15
	v_fmac_f32_e32 v2, v3, v17
	v_add_f32_e32 v29, v27, v22
	v_add_f32_e32 v3, v26, v20
	;; [unrolled: 1-line block ×3, first 2 shown]
	ds_read_b128 v[20:23], v14 offset:1072
	s_waitcnt lgkmcnt(0)
	v_mul_f32_e32 v26, v21, v16
	v_mul_f32_e32 v16, v20, v16
	v_fma_f32 v26, v20, v15, -v26
	v_fmac_f32_e32 v16, v21, v15
	v_add_f32_e32 v15, v24, v26
	v_add_f32_e32 v30, v25, v16
	ds_read2_b64 v[24:27], v13 offset0:224 offset1:240
	v_mul_f32_e32 v16, v21, v18
	v_fma_f32 v16, v20, v17, -v16
	v_add_f32_e32 v31, v19, v16
	v_mul_f32_e32 v18, v20, v18
	s_waitcnt lgkmcnt(0)
	v_mul_f32_e32 v16, v5, v25
	v_fma_f32 v16, v4, v24, -v16
	v_add_f32_e32 v20, v28, v16
	v_mul_f32_e32 v16, v5, v27
	v_fmac_f32_e32 v18, v21, v17
	v_mul_f32_e32 v17, v4, v25
	v_fma_f32 v16, v4, v26, -v16
	v_mul_f32_e32 v4, v4, v27
	v_fmac_f32_e32 v4, v5, v26
	v_add_f32_e32 v10, v10, v18
	v_add_f32_e32 v18, v3, v16
	;; [unrolled: 1-line block ×3, first 2 shown]
	v_mul_f32_e32 v2, v23, v25
	v_mul_f32_e32 v3, v22, v25
	v_fmac_f32_e32 v17, v5, v24
	v_fma_f32 v2, v22, v24, -v2
	v_fmac_f32_e32 v3, v23, v24
	v_add_f32_e32 v21, v29, v17
	v_add_f32_e32 v16, v15, v2
	;; [unrolled: 1-line block ×3, first 2 shown]
	v_mul_f32_e32 v2, v23, v27
	v_mul_f32_e32 v3, v22, v27
	v_fma_f32 v2, v22, v26, -v2
	v_fmac_f32_e32 v3, v23, v26
	v_add_f32_e32 v15, v31, v2
	v_add_f32_e32 v10, v10, v3
	s_barrier
	s_cbranch_scc0 .LBB341_2
	s_branch .LBB341_4
.LBB341_3:
	v_mov_b32_e32 v20, 0
	v_mov_b32_e32 v21, 0
	;; [unrolled: 1-line block ×8, first 2 shown]
.LBB341_4:
	s_load_dwordx2 s[0:1], s[4:5], 0x58
	s_load_dword s9, s[4:5], 0x50
	v_add_u32_e32 v5, s7, v1
	v_add_u32_e32 v0, s6, v0
	s_waitcnt lgkmcnt(0)
	s_mul_i32 s1, s1, s8
	s_mul_hi_u32 s2, s0, s8
	s_add_i32 s1, s2, s1
	v_mad_i64_i32 v[1:2], s[2:3], v5, s9, 0
	s_mul_i32 s0, s0, s8
	s_lshl_b64 s[0:1], s[0:1], 3
	s_add_u32 s7, s20, s0
	v_lshlrev_b64 v[1:2], 3, v[1:2]
	s_addc_u32 s8, s21, s1
	v_mov_b32_e32 v3, s8
	v_add_co_u32_e32 v4, vcc, s7, v1
	v_addc_co_u32_e32 v6, vcc, v3, v2, vcc
	v_cmp_le_i32_e64 s[0:1], v5, v0
	v_cmp_gt_i32_e32 vcc, s10, v0
	s_and_b64 s[0:1], s[0:1], vcc
	s_and_saveexec_b64 s[2:3], s[0:1]
	s_cbranch_execz .LBB341_7
; %bb.5:
	v_ashrrev_i32_e32 v1, 31, v0
	v_lshlrev_b64 v[1:2], 3, v[0:1]
	v_mul_f32_e32 v3, s17, v21
	v_add_co_u32_e64 v1, s[0:1], v4, v1
	v_addc_co_u32_e64 v2, s[0:1], v6, v2, s[0:1]
	global_load_dwordx2 v[7:8], v[1:2], off
	v_mul_f32_e32 v9, s16, v21
	v_fma_f32 v3, v20, s16, -v3
	v_fmac_f32_e32 v9, s17, v20
	v_cmp_eq_u32_e64 s[0:1], v5, v0
	s_waitcnt vmcnt(0)
	v_mul_f32_e32 v11, s15, v8
	v_mul_f32_e32 v8, s14, v8
	v_fma_f32 v11, v7, s14, -v11
	v_fmac_f32_e32 v8, s15, v7
	v_add_f32_e32 v7, v3, v11
	v_add_f32_e32 v8, v9, v8
	global_store_dwordx2 v[1:2], v[7:8], off
	s_and_b64 exec, exec, s[0:1]
	s_cbranch_execz .LBB341_7
; %bb.6:
	v_mov_b32_e32 v3, 0
	global_store_dword v[1:2], v3, off offset:4
.LBB341_7:
	s_or_b64 exec, exec, s[2:3]
	v_add_u32_e32 v2, 16, v0
	v_cmp_le_i32_e64 s[2:3], v5, v2
	v_cmp_gt_i32_e64 s[0:1], s10, v2
	s_and_b64 s[2:3], s[2:3], s[0:1]
	s_and_saveexec_b64 s[4:5], s[2:3]
	s_cbranch_execz .LBB341_10
; %bb.8:
	v_ashrrev_i32_e32 v3, 31, v2
	v_lshlrev_b64 v[7:8], 3, v[2:3]
	v_mul_f32_e32 v1, s17, v19
	v_add_co_u32_e64 v3, s[2:3], v4, v7
	v_addc_co_u32_e64 v4, s[2:3], v6, v8, s[2:3]
	global_load_dwordx2 v[6:7], v[3:4], off
	v_mul_f32_e32 v8, s16, v19
	v_fma_f32 v1, v18, s16, -v1
	v_fmac_f32_e32 v8, s17, v18
	v_cmp_eq_u32_e64 s[2:3], v5, v2
	s_waitcnt vmcnt(0)
	v_mul_f32_e32 v9, s15, v7
	v_mul_f32_e32 v7, s14, v7
	v_fma_f32 v9, v6, s14, -v9
	v_fmac_f32_e32 v7, s15, v6
	v_add_f32_e32 v6, v1, v9
	v_add_f32_e32 v7, v8, v7
	global_store_dwordx2 v[3:4], v[6:7], off
	s_and_b64 exec, exec, s[2:3]
	s_cbranch_execz .LBB341_10
; %bb.9:
	v_mov_b32_e32 v1, 0
	global_store_dword v[3:4], v1, off offset:4
.LBB341_10:
	s_or_b64 exec, exec, s[4:5]
	v_add_u32_e32 v8, 16, v5
	v_mad_i64_i32 v[3:4], s[2:3], v8, s9, 0
	v_mov_b32_e32 v1, s8
	v_lshlrev_b64 v[3:4], 3, v[3:4]
	v_add_co_u32_e64 v6, s[2:3], s7, v3
	v_addc_co_u32_e64 v7, s[2:3], v1, v4, s[2:3]
	v_cmp_le_i32_e64 s[2:3], v8, v0
	s_and_b64 s[4:5], s[2:3], vcc
	s_and_saveexec_b64 s[2:3], s[4:5]
	s_cbranch_execz .LBB341_13
; %bb.11:
	v_ashrrev_i32_e32 v1, 31, v0
	v_lshlrev_b64 v[3:4], 3, v[0:1]
	v_mul_f32_e32 v1, s17, v17
	v_add_co_u32_e32 v3, vcc, v6, v3
	v_addc_co_u32_e32 v4, vcc, v7, v4, vcc
	global_load_dwordx2 v[11:12], v[3:4], off
	v_mul_f32_e32 v9, s16, v17
	v_fma_f32 v1, v16, s16, -v1
	v_fmac_f32_e32 v9, s17, v16
	v_cmp_eq_u32_e32 vcc, v8, v0
	s_waitcnt vmcnt(0)
	v_mul_f32_e32 v13, s15, v12
	v_mul_f32_e32 v12, s14, v12
	v_fma_f32 v13, v11, s14, -v13
	v_fmac_f32_e32 v12, s15, v11
	v_add_f32_e32 v11, v1, v13
	v_add_f32_e32 v12, v9, v12
	global_store_dwordx2 v[3:4], v[11:12], off
	s_and_b64 exec, exec, vcc
	s_cbranch_execz .LBB341_13
; %bb.12:
	v_mov_b32_e32 v1, 0
	global_store_dword v[3:4], v1, off offset:4
.LBB341_13:
	s_or_b64 exec, exec, s[2:3]
	v_cmp_le_i32_e32 vcc, v8, v2
	s_and_b64 s[0:1], vcc, s[0:1]
	s_and_saveexec_b64 s[2:3], s[0:1]
	s_cbranch_execz .LBB341_16
; %bb.14:
	v_ashrrev_i32_e32 v3, 31, v2
	v_lshlrev_b64 v[1:2], 3, v[2:3]
	v_add_co_u32_e32 v1, vcc, v6, v1
	v_addc_co_u32_e32 v2, vcc, v7, v2, vcc
	global_load_dwordx2 v[3:4], v[1:2], off
	v_mul_f32_e32 v6, s17, v10
	v_mul_f32_e32 v7, s16, v10
	v_fma_f32 v6, v15, s16, -v6
	v_fmac_f32_e32 v7, s17, v15
	v_cmp_eq_u32_e32 vcc, v5, v0
	s_waitcnt vmcnt(0)
	v_mul_f32_e32 v8, s15, v4
	v_mul_f32_e32 v4, s14, v4
	v_fma_f32 v8, v3, s14, -v8
	v_fmac_f32_e32 v4, s15, v3
	v_add_f32_e32 v3, v6, v8
	v_add_f32_e32 v4, v7, v4
	global_store_dwordx2 v[1:2], v[3:4], off
	s_and_b64 exec, exec, vcc
	s_cbranch_execz .LBB341_16
; %bb.15:
	v_mov_b32_e32 v0, 0
	global_store_dword v[1:2], v0, off offset:4
.LBB341_16:
	s_endpgm
	.section	.rodata,"a",@progbits
	.p2align	6, 0x0
	.amdhsa_kernel _ZL37rocblas_syrkx_herkx_restricted_kernelIi19rocblas_complex_numIfELi16ELi32ELi8ELb0ELb1ELc67ELc76EKS1_S1_EviT_T0_PT8_S3_lS6_S3_lS4_PT9_S3_li
		.amdhsa_group_segment_fixed_size 4096
		.amdhsa_private_segment_fixed_size 0
		.amdhsa_kernarg_size 100
		.amdhsa_user_sgpr_count 6
		.amdhsa_user_sgpr_private_segment_buffer 1
		.amdhsa_user_sgpr_dispatch_ptr 0
		.amdhsa_user_sgpr_queue_ptr 0
		.amdhsa_user_sgpr_kernarg_segment_ptr 1
		.amdhsa_user_sgpr_dispatch_id 0
		.amdhsa_user_sgpr_flat_scratch_init 0
		.amdhsa_user_sgpr_private_segment_size 0
		.amdhsa_uses_dynamic_stack 0
		.amdhsa_system_sgpr_private_segment_wavefront_offset 0
		.amdhsa_system_sgpr_workgroup_id_x 1
		.amdhsa_system_sgpr_workgroup_id_y 1
		.amdhsa_system_sgpr_workgroup_id_z 1
		.amdhsa_system_sgpr_workgroup_info 0
		.amdhsa_system_vgpr_workitem_id 1
		.amdhsa_next_free_vgpr 41
		.amdhsa_next_free_sgpr 26
		.amdhsa_reserve_vcc 1
		.amdhsa_reserve_flat_scratch 0
		.amdhsa_float_round_mode_32 0
		.amdhsa_float_round_mode_16_64 0
		.amdhsa_float_denorm_mode_32 3
		.amdhsa_float_denorm_mode_16_64 3
		.amdhsa_dx10_clamp 1
		.amdhsa_ieee_mode 1
		.amdhsa_fp16_overflow 0
		.amdhsa_exception_fp_ieee_invalid_op 0
		.amdhsa_exception_fp_denorm_src 0
		.amdhsa_exception_fp_ieee_div_zero 0
		.amdhsa_exception_fp_ieee_overflow 0
		.amdhsa_exception_fp_ieee_underflow 0
		.amdhsa_exception_fp_ieee_inexact 0
		.amdhsa_exception_int_div_zero 0
	.end_amdhsa_kernel
	.section	.text._ZL37rocblas_syrkx_herkx_restricted_kernelIi19rocblas_complex_numIfELi16ELi32ELi8ELb0ELb1ELc67ELc76EKS1_S1_EviT_T0_PT8_S3_lS6_S3_lS4_PT9_S3_li,"axG",@progbits,_ZL37rocblas_syrkx_herkx_restricted_kernelIi19rocblas_complex_numIfELi16ELi32ELi8ELb0ELb1ELc67ELc76EKS1_S1_EviT_T0_PT8_S3_lS6_S3_lS4_PT9_S3_li,comdat
.Lfunc_end341:
	.size	_ZL37rocblas_syrkx_herkx_restricted_kernelIi19rocblas_complex_numIfELi16ELi32ELi8ELb0ELb1ELc67ELc76EKS1_S1_EviT_T0_PT8_S3_lS6_S3_lS4_PT9_S3_li, .Lfunc_end341-_ZL37rocblas_syrkx_herkx_restricted_kernelIi19rocblas_complex_numIfELi16ELi32ELi8ELb0ELb1ELc67ELc76EKS1_S1_EviT_T0_PT8_S3_lS6_S3_lS4_PT9_S3_li
                                        ; -- End function
	.set _ZL37rocblas_syrkx_herkx_restricted_kernelIi19rocblas_complex_numIfELi16ELi32ELi8ELb0ELb1ELc67ELc76EKS1_S1_EviT_T0_PT8_S3_lS6_S3_lS4_PT9_S3_li.num_vgpr, 41
	.set _ZL37rocblas_syrkx_herkx_restricted_kernelIi19rocblas_complex_numIfELi16ELi32ELi8ELb0ELb1ELc67ELc76EKS1_S1_EviT_T0_PT8_S3_lS6_S3_lS4_PT9_S3_li.num_agpr, 0
	.set _ZL37rocblas_syrkx_herkx_restricted_kernelIi19rocblas_complex_numIfELi16ELi32ELi8ELb0ELb1ELc67ELc76EKS1_S1_EviT_T0_PT8_S3_lS6_S3_lS4_PT9_S3_li.numbered_sgpr, 26
	.set _ZL37rocblas_syrkx_herkx_restricted_kernelIi19rocblas_complex_numIfELi16ELi32ELi8ELb0ELb1ELc67ELc76EKS1_S1_EviT_T0_PT8_S3_lS6_S3_lS4_PT9_S3_li.num_named_barrier, 0
	.set _ZL37rocblas_syrkx_herkx_restricted_kernelIi19rocblas_complex_numIfELi16ELi32ELi8ELb0ELb1ELc67ELc76EKS1_S1_EviT_T0_PT8_S3_lS6_S3_lS4_PT9_S3_li.private_seg_size, 0
	.set _ZL37rocblas_syrkx_herkx_restricted_kernelIi19rocblas_complex_numIfELi16ELi32ELi8ELb0ELb1ELc67ELc76EKS1_S1_EviT_T0_PT8_S3_lS6_S3_lS4_PT9_S3_li.uses_vcc, 1
	.set _ZL37rocblas_syrkx_herkx_restricted_kernelIi19rocblas_complex_numIfELi16ELi32ELi8ELb0ELb1ELc67ELc76EKS1_S1_EviT_T0_PT8_S3_lS6_S3_lS4_PT9_S3_li.uses_flat_scratch, 0
	.set _ZL37rocblas_syrkx_herkx_restricted_kernelIi19rocblas_complex_numIfELi16ELi32ELi8ELb0ELb1ELc67ELc76EKS1_S1_EviT_T0_PT8_S3_lS6_S3_lS4_PT9_S3_li.has_dyn_sized_stack, 0
	.set _ZL37rocblas_syrkx_herkx_restricted_kernelIi19rocblas_complex_numIfELi16ELi32ELi8ELb0ELb1ELc67ELc76EKS1_S1_EviT_T0_PT8_S3_lS6_S3_lS4_PT9_S3_li.has_recursion, 0
	.set _ZL37rocblas_syrkx_herkx_restricted_kernelIi19rocblas_complex_numIfELi16ELi32ELi8ELb0ELb1ELc67ELc76EKS1_S1_EviT_T0_PT8_S3_lS6_S3_lS4_PT9_S3_li.has_indirect_call, 0
	.section	.AMDGPU.csdata,"",@progbits
; Kernel info:
; codeLenInByte = 2232
; TotalNumSgprs: 30
; NumVgprs: 41
; ScratchSize: 0
; MemoryBound: 0
; FloatMode: 240
; IeeeMode: 1
; LDSByteSize: 4096 bytes/workgroup (compile time only)
; SGPRBlocks: 3
; VGPRBlocks: 10
; NumSGPRsForWavesPerEU: 30
; NumVGPRsForWavesPerEU: 41
; Occupancy: 5
; WaveLimiterHint : 0
; COMPUTE_PGM_RSRC2:SCRATCH_EN: 0
; COMPUTE_PGM_RSRC2:USER_SGPR: 6
; COMPUTE_PGM_RSRC2:TRAP_HANDLER: 0
; COMPUTE_PGM_RSRC2:TGID_X_EN: 1
; COMPUTE_PGM_RSRC2:TGID_Y_EN: 1
; COMPUTE_PGM_RSRC2:TGID_Z_EN: 1
; COMPUTE_PGM_RSRC2:TIDIG_COMP_CNT: 1
	.section	.text._ZL37rocblas_syrkx_herkx_restricted_kernelIi19rocblas_complex_numIfELi16ELi32ELi8ELb0ELb1ELc78ELc76EKS1_S1_EviT_T0_PT8_S3_lS6_S3_lS4_PT9_S3_li,"axG",@progbits,_ZL37rocblas_syrkx_herkx_restricted_kernelIi19rocblas_complex_numIfELi16ELi32ELi8ELb0ELb1ELc78ELc76EKS1_S1_EviT_T0_PT8_S3_lS6_S3_lS4_PT9_S3_li,comdat
	.globl	_ZL37rocblas_syrkx_herkx_restricted_kernelIi19rocblas_complex_numIfELi16ELi32ELi8ELb0ELb1ELc78ELc76EKS1_S1_EviT_T0_PT8_S3_lS6_S3_lS4_PT9_S3_li ; -- Begin function _ZL37rocblas_syrkx_herkx_restricted_kernelIi19rocblas_complex_numIfELi16ELi32ELi8ELb0ELb1ELc78ELc76EKS1_S1_EviT_T0_PT8_S3_lS6_S3_lS4_PT9_S3_li
	.p2align	8
	.type	_ZL37rocblas_syrkx_herkx_restricted_kernelIi19rocblas_complex_numIfELi16ELi32ELi8ELb0ELb1ELc78ELc76EKS1_S1_EviT_T0_PT8_S3_lS6_S3_lS4_PT9_S3_li,@function
_ZL37rocblas_syrkx_herkx_restricted_kernelIi19rocblas_complex_numIfELi16ELi32ELi8ELb0ELb1ELc78ELc76EKS1_S1_EviT_T0_PT8_S3_lS6_S3_lS4_PT9_S3_li: ; @_ZL37rocblas_syrkx_herkx_restricted_kernelIi19rocblas_complex_numIfELi16ELi32ELi8ELb0ELb1ELc78ELc76EKS1_S1_EviT_T0_PT8_S3_lS6_S3_lS4_PT9_S3_li
; %bb.0:
	s_load_dwordx2 s[10:11], s[4:5], 0x0
	s_load_dwordx4 s[16:19], s[4:5], 0x8
	s_load_dwordx4 s[12:15], s[4:5], 0x38
	s_load_dwordx2 s[20:21], s[4:5], 0x48
	s_lshl_b32 s6, s6, 5
	s_lshl_b32 s7, s7, 5
	s_waitcnt lgkmcnt(0)
	s_cmp_lt_i32 s11, 1
	s_mov_b32 s9, 0
	s_cbranch_scc1 .LBB342_3
; %bb.1:
	s_load_dword s22, s[4:5], 0x18
	s_load_dword s24, s[4:5], 0x30
	s_load_dwordx4 s[0:3], s[4:5], 0x20
	v_lshl_add_u32 v2, v1, 4, v0
	v_lshrrev_b32_e32 v4, 3, v2
	v_lshrrev_b32_e32 v6, 5, v2
	v_and_b32_e32 v7, 31, v2
	v_add_u32_e32 v2, s7, v4
	v_and_b32_e32 v5, 7, v0
	v_ashrrev_i32_e32 v3, 31, v2
	s_waitcnt lgkmcnt(0)
	v_mad_i64_i32 v[2:3], s[26:27], s24, v5, v[2:3]
	v_lshlrev_b32_e32 v5, 3, v5
	v_lshl_or_b32 v4, v4, 6, v5
	v_add_u32_e32 v11, 0x800, v4
	v_mov_b32_e32 v4, 0x800
	v_lshl_add_u32 v13, v1, 6, v4
	v_add_u32_e32 v4, s6, v7
	v_ashrrev_i32_e32 v5, 31, v4
	v_mad_i64_i32 v[4:5], s[26:27], s22, v6, v[4:5]
	s_mul_i32 s1, s1, s8
	s_mul_hi_u32 s28, s0, s8
	s_add_i32 s1, s28, s1
	s_mul_i32 s0, s0, s8
	s_ashr_i32 s23, s22, 31
	s_ashr_i32 s25, s24, 31
	s_lshl_b64 s[0:1], s[0:1], 3
	v_lshlrev_b64 v[4:5], 3, v[4:5]
	s_add_u32 s0, s18, s0
	v_lshlrev_b32_e32 v8, 3, v7
	s_addc_u32 s1, s19, s1
	s_mul_i32 s13, s13, s8
	s_mul_hi_u32 s18, s12, s8
	v_lshl_or_b32 v10, v6, 8, v8
	v_mov_b32_e32 v6, s1
	v_add_co_u32_e32 v4, vcc, s0, v4
	s_add_i32 s13, s18, s13
	s_mul_i32 s12, s12, s8
	v_addc_co_u32_e32 v5, vcc, v6, v5, vcc
	s_lshl_b64 s[0:1], s[22:23], 6
	s_lshl_b64 s[12:13], s[12:13], 3
	v_add_co_u32_e32 v6, vcc, 4, v4
	v_lshlrev_b64 v[2:3], 3, v[2:3]
	s_add_u32 s2, s2, s12
	v_addc_co_u32_e32 v7, vcc, 0, v5, vcc
	s_addc_u32 s3, s3, s13
	v_mov_b32_e32 v4, s3
	v_add_co_u32_e32 v2, vcc, s2, v2
	v_addc_co_u32_e32 v3, vcc, v4, v3, vcc
	v_add_co_u32_e32 v8, vcc, 4, v2
	s_lshl_b64 s[2:3], s[24:25], 6
	v_lshlrev_b32_e32 v12, 3, v0
	v_addc_co_u32_e32 v9, vcc, 0, v3, vcc
	v_mov_b32_e32 v16, 0
	v_mov_b32_e32 v14, s1
	;; [unrolled: 1-line block ×10, first 2 shown]
.LBB342_2:                              ; =>This Inner Loop Header: Depth=1
	global_load_dwordx2 v[2:3], v[6:7], off offset:-4
	v_add_co_u32_e32 v6, vcc, s0, v6
	v_addc_co_u32_e32 v7, vcc, v7, v14, vcc
	s_add_i32 s9, s9, 8
	s_cmp_ge_i32 s9, s11
	s_waitcnt vmcnt(0)
	ds_write_b64 v10, v[2:3]
	global_load_dwordx2 v[2:3], v[8:9], off offset:-4
	v_add_co_u32_e32 v8, vcc, s2, v8
	v_addc_co_u32_e32 v9, vcc, v9, v15, vcc
	s_waitcnt vmcnt(0)
	v_xor_b32_e32 v3, 0x80000000, v3
	ds_write_b64 v11, v[2:3]
	s_waitcnt lgkmcnt(0)
	s_barrier
	ds_read_b128 v[24:27], v13
	ds_read_b128 v[28:31], v13 offset:16
	ds_read_b128 v[32:35], v13 offset:32
	;; [unrolled: 1-line block ×3, first 2 shown]
	ds_read2_b64 v[36:39], v12 offset1:16
	s_waitcnt lgkmcnt(0)
	v_mul_f32_e32 v40, v25, v37
	v_mul_f32_e32 v41, v24, v37
	v_fma_f32 v40, v24, v36, -v40
	v_fmac_f32_e32 v41, v25, v36
	v_add_f32_e32 v40, v22, v40
	v_add_f32_e32 v41, v23, v41
	v_mul_f32_e32 v22, v25, v39
	v_mul_f32_e32 v23, v24, v39
	v_fma_f32 v22, v24, v38, -v22
	v_fmac_f32_e32 v23, v25, v38
	v_add_f32_e32 v24, v20, v22
	v_add_f32_e32 v25, v21, v23
	ds_read_b128 v[20:23], v13 offset:1024
	s_waitcnt lgkmcnt(0)
	v_mul_f32_e32 v42, v21, v37
	v_mul_f32_e32 v37, v20, v37
	v_fma_f32 v42, v20, v36, -v42
	v_fmac_f32_e32 v37, v21, v36
	v_add_f32_e32 v36, v18, v42
	v_add_f32_e32 v37, v19, v37
	v_mul_f32_e32 v18, v21, v39
	v_mul_f32_e32 v19, v20, v39
	v_fma_f32 v18, v20, v38, -v18
	v_fmac_f32_e32 v19, v21, v38
	v_add_f32_e32 v20, v17, v18
	v_add_f32_e32 v21, v16, v19
	ds_read2_b64 v[16:19], v12 offset0:32 offset1:48
	s_waitcnt lgkmcnt(0)
	v_mul_f32_e32 v38, v27, v17
	v_fma_f32 v38, v26, v16, -v38
	v_add_f32_e32 v38, v40, v38
	v_mul_f32_e32 v40, v27, v19
	v_mul_f32_e32 v39, v26, v17
	v_fma_f32 v40, v26, v18, -v40
	v_mul_f32_e32 v26, v26, v19
	v_fmac_f32_e32 v26, v27, v18
	v_add_f32_e32 v25, v25, v26
	v_mul_f32_e32 v26, v23, v17
	v_mul_f32_e32 v17, v22, v17
	v_fmac_f32_e32 v17, v23, v16
	v_fmac_f32_e32 v39, v27, v16
	v_fma_f32 v26, v22, v16, -v26
	v_add_f32_e32 v27, v37, v17
	v_mul_f32_e32 v16, v23, v19
	v_mul_f32_e32 v17, v22, v19
	v_fma_f32 v16, v22, v18, -v16
	v_fmac_f32_e32 v17, v23, v18
	v_add_f32_e32 v26, v36, v26
	v_add_f32_e32 v36, v20, v16
	;; [unrolled: 1-line block ×3, first 2 shown]
	ds_read2_b64 v[16:19], v12 offset0:64 offset1:80
	v_add_f32_e32 v39, v41, v39
	v_add_f32_e32 v24, v24, v40
	s_waitcnt lgkmcnt(0)
	v_mul_f32_e32 v20, v29, v17
	v_mul_f32_e32 v21, v28, v17
	v_fma_f32 v20, v28, v16, -v20
	v_fmac_f32_e32 v21, v29, v16
	v_add_f32_e32 v38, v38, v20
	v_add_f32_e32 v39, v39, v21
	v_mul_f32_e32 v20, v29, v19
	v_mul_f32_e32 v21, v28, v19
	v_fma_f32 v20, v28, v18, -v20
	v_fmac_f32_e32 v21, v29, v18
	v_add_f32_e32 v24, v24, v20
	v_add_f32_e32 v25, v25, v21
	ds_read_b128 v[20:23], v13 offset:1040
	s_waitcnt lgkmcnt(0)
	v_mul_f32_e32 v28, v21, v17
	v_mul_f32_e32 v17, v20, v17
	v_fmac_f32_e32 v17, v21, v16
	v_fma_f32 v28, v20, v16, -v28
	v_add_f32_e32 v27, v27, v17
	v_mul_f32_e32 v16, v21, v19
	v_mul_f32_e32 v17, v20, v19
	v_fma_f32 v16, v20, v18, -v16
	v_fmac_f32_e32 v17, v21, v18
	v_add_f32_e32 v20, v36, v16
	v_add_f32_e32 v21, v37, v17
	ds_read2_b64 v[16:19], v12 offset0:96 offset1:112
	v_add_f32_e32 v26, v26, v28
	s_waitcnt lgkmcnt(0)
	v_mul_f32_e32 v28, v31, v17
	v_mul_f32_e32 v36, v31, v19
	v_fma_f32 v28, v30, v16, -v28
	v_mul_f32_e32 v29, v30, v17
	v_fma_f32 v36, v30, v18, -v36
	v_mul_f32_e32 v30, v30, v19
	v_fmac_f32_e32 v30, v31, v18
	v_add_f32_e32 v25, v25, v30
	v_mul_f32_e32 v30, v23, v17
	v_mul_f32_e32 v17, v22, v17
	v_fmac_f32_e32 v17, v23, v16
	v_fmac_f32_e32 v29, v31, v16
	v_fma_f32 v30, v22, v16, -v30
	v_add_f32_e32 v27, v27, v17
	v_mul_f32_e32 v16, v23, v19
	v_mul_f32_e32 v17, v22, v19
	v_fma_f32 v16, v22, v18, -v16
	v_fmac_f32_e32 v17, v23, v18
	v_add_f32_e32 v26, v26, v30
	v_add_f32_e32 v30, v20, v16
	;; [unrolled: 1-line block ×3, first 2 shown]
	ds_read2_b64 v[16:19], v12 offset0:128 offset1:144
	v_add_f32_e32 v28, v38, v28
	v_add_f32_e32 v29, v39, v29
	;; [unrolled: 1-line block ×3, first 2 shown]
	s_waitcnt lgkmcnt(0)
	v_mul_f32_e32 v20, v33, v17
	v_mul_f32_e32 v21, v32, v17
	v_fma_f32 v20, v32, v16, -v20
	v_fmac_f32_e32 v21, v33, v16
	v_add_f32_e32 v28, v28, v20
	v_add_f32_e32 v29, v29, v21
	v_mul_f32_e32 v20, v33, v19
	v_mul_f32_e32 v21, v32, v19
	v_fma_f32 v20, v32, v18, -v20
	v_fmac_f32_e32 v21, v33, v18
	v_add_f32_e32 v24, v24, v20
	v_add_f32_e32 v25, v25, v21
	ds_read_b128 v[20:23], v13 offset:1056
	s_waitcnt lgkmcnt(0)
	v_mul_f32_e32 v32, v21, v17
	v_mul_f32_e32 v17, v20, v17
	v_fmac_f32_e32 v17, v21, v16
	v_fma_f32 v32, v20, v16, -v32
	v_add_f32_e32 v27, v27, v17
	v_mul_f32_e32 v16, v21, v19
	v_mul_f32_e32 v17, v20, v19
	v_fma_f32 v16, v20, v18, -v16
	v_fmac_f32_e32 v17, v21, v18
	v_add_f32_e32 v20, v30, v16
	v_add_f32_e32 v21, v31, v17
	ds_read2_b64 v[16:19], v12 offset0:160 offset1:176
	v_add_f32_e32 v26, v26, v32
	s_waitcnt lgkmcnt(0)
	v_mul_f32_e32 v30, v35, v17
	v_fma_f32 v30, v34, v16, -v30
	v_add_f32_e32 v28, v28, v30
	v_mul_f32_e32 v30, v35, v19
	v_fma_f32 v30, v34, v18, -v30
	v_mul_f32_e32 v31, v34, v17
	v_add_f32_e32 v24, v24, v30
	v_mul_f32_e32 v30, v23, v17
	v_mul_f32_e32 v17, v22, v17
	v_fmac_f32_e32 v17, v23, v16
	v_fmac_f32_e32 v31, v35, v16
	v_fma_f32 v30, v22, v16, -v30
	v_add_f32_e32 v27, v27, v17
	v_mul_f32_e32 v16, v23, v19
	v_mul_f32_e32 v17, v22, v19
	v_add_f32_e32 v29, v29, v31
	v_mul_f32_e32 v31, v34, v19
	v_fma_f32 v16, v22, v18, -v16
	v_fmac_f32_e32 v17, v23, v18
	v_fmac_f32_e32 v31, v35, v18
	v_add_f32_e32 v20, v20, v16
	v_add_f32_e32 v21, v21, v17
	ds_read2_b64 v[16:19], v12 offset0:192 offset1:208
	v_add_f32_e32 v26, v26, v30
	v_add_f32_e32 v25, v25, v31
	s_waitcnt lgkmcnt(0)
	v_mul_f32_e32 v22, v3, v17
	v_fma_f32 v22, v2, v16, -v22
	v_add_f32_e32 v30, v28, v22
	v_mul_f32_e32 v22, v3, v19
	v_mul_f32_e32 v23, v2, v17
	v_fma_f32 v22, v2, v18, -v22
	v_mul_f32_e32 v2, v2, v19
	v_fmac_f32_e32 v23, v3, v16
	v_fmac_f32_e32 v2, v3, v18
	v_add_f32_e32 v31, v29, v23
	v_add_f32_e32 v3, v24, v22
	;; [unrolled: 1-line block ×3, first 2 shown]
	ds_read_b128 v[22:25], v13 offset:1072
	s_waitcnt lgkmcnt(0)
	v_mul_f32_e32 v28, v23, v17
	v_fma_f32 v28, v22, v16, -v28
	v_mul_f32_e32 v17, v22, v17
	v_fmac_f32_e32 v17, v23, v16
	v_add_f32_e32 v16, v26, v28
	v_mul_f32_e32 v26, v23, v19
	v_fma_f32 v26, v22, v18, -v26
	v_add_f32_e32 v17, v27, v17
	v_add_f32_e32 v32, v20, v26
	ds_read2_b64 v[26:29], v12 offset0:224 offset1:240
	v_mul_f32_e32 v19, v22, v19
	v_fmac_f32_e32 v19, v23, v18
	v_add_f32_e32 v33, v21, v19
	s_waitcnt lgkmcnt(0)
	v_mul_f32_e32 v18, v5, v27
	v_fma_f32 v18, v4, v26, -v18
	v_add_f32_e32 v22, v30, v18
	v_mul_f32_e32 v18, v5, v29
	v_mul_f32_e32 v19, v4, v27
	v_fma_f32 v18, v4, v28, -v18
	v_mul_f32_e32 v4, v4, v29
	v_fmac_f32_e32 v4, v5, v28
	v_add_f32_e32 v20, v3, v18
	v_add_f32_e32 v21, v2, v4
	v_mul_f32_e32 v2, v25, v27
	v_mul_f32_e32 v3, v24, v27
	v_fmac_f32_e32 v19, v5, v26
	v_fma_f32 v2, v24, v26, -v2
	v_fmac_f32_e32 v3, v25, v26
	v_add_f32_e32 v23, v31, v19
	v_add_f32_e32 v18, v16, v2
	;; [unrolled: 1-line block ×3, first 2 shown]
	v_mul_f32_e32 v2, v25, v29
	v_mul_f32_e32 v3, v24, v29
	v_fma_f32 v2, v24, v28, -v2
	v_fmac_f32_e32 v3, v25, v28
	v_add_f32_e32 v17, v32, v2
	v_add_f32_e32 v16, v33, v3
	s_barrier
	s_cbranch_scc0 .LBB342_2
	s_branch .LBB342_4
.LBB342_3:
	v_mov_b32_e32 v22, 0
	v_mov_b32_e32 v23, 0
	;; [unrolled: 1-line block ×8, first 2 shown]
.LBB342_4:
	s_load_dwordx2 s[0:1], s[4:5], 0x58
	s_load_dword s9, s[4:5], 0x50
	v_add_u32_e32 v5, s7, v1
	v_add_u32_e32 v0, s6, v0
	s_waitcnt lgkmcnt(0)
	s_mul_i32 s1, s1, s8
	s_mul_hi_u32 s2, s0, s8
	s_add_i32 s1, s2, s1
	v_mad_i64_i32 v[1:2], s[2:3], v5, s9, 0
	s_mul_i32 s0, s0, s8
	s_lshl_b64 s[0:1], s[0:1], 3
	s_add_u32 s7, s20, s0
	v_lshlrev_b64 v[1:2], 3, v[1:2]
	s_addc_u32 s8, s21, s1
	v_mov_b32_e32 v3, s8
	v_add_co_u32_e32 v4, vcc, s7, v1
	v_addc_co_u32_e32 v6, vcc, v3, v2, vcc
	v_cmp_le_i32_e64 s[0:1], v5, v0
	v_cmp_gt_i32_e32 vcc, s10, v0
	s_and_b64 s[0:1], s[0:1], vcc
	s_and_saveexec_b64 s[2:3], s[0:1]
	s_cbranch_execz .LBB342_7
; %bb.5:
	v_ashrrev_i32_e32 v1, 31, v0
	v_lshlrev_b64 v[1:2], 3, v[0:1]
	v_mul_f32_e32 v3, s17, v23
	v_add_co_u32_e64 v1, s[0:1], v4, v1
	v_addc_co_u32_e64 v2, s[0:1], v6, v2, s[0:1]
	global_load_dwordx2 v[7:8], v[1:2], off
	v_mul_f32_e32 v9, s16, v23
	v_fma_f32 v3, v22, s16, -v3
	v_fmac_f32_e32 v9, s17, v22
	v_cmp_eq_u32_e64 s[0:1], v5, v0
	s_waitcnt vmcnt(0)
	v_mul_f32_e32 v10, s15, v8
	v_mul_f32_e32 v8, s14, v8
	v_fma_f32 v10, v7, s14, -v10
	v_fmac_f32_e32 v8, s15, v7
	v_add_f32_e32 v7, v3, v10
	v_add_f32_e32 v8, v9, v8
	global_store_dwordx2 v[1:2], v[7:8], off
	s_and_b64 exec, exec, s[0:1]
	s_cbranch_execz .LBB342_7
; %bb.6:
	v_mov_b32_e32 v3, 0
	global_store_dword v[1:2], v3, off offset:4
.LBB342_7:
	s_or_b64 exec, exec, s[2:3]
	v_add_u32_e32 v2, 16, v0
	v_cmp_le_i32_e64 s[2:3], v5, v2
	v_cmp_gt_i32_e64 s[0:1], s10, v2
	s_and_b64 s[2:3], s[2:3], s[0:1]
	s_and_saveexec_b64 s[4:5], s[2:3]
	s_cbranch_execz .LBB342_10
; %bb.8:
	v_ashrrev_i32_e32 v3, 31, v2
	v_lshlrev_b64 v[7:8], 3, v[2:3]
	v_mul_f32_e32 v1, s17, v21
	v_add_co_u32_e64 v3, s[2:3], v4, v7
	v_addc_co_u32_e64 v4, s[2:3], v6, v8, s[2:3]
	global_load_dwordx2 v[6:7], v[3:4], off
	v_mul_f32_e32 v8, s16, v21
	v_fma_f32 v1, v20, s16, -v1
	v_fmac_f32_e32 v8, s17, v20
	v_cmp_eq_u32_e64 s[2:3], v5, v2
	s_waitcnt vmcnt(0)
	v_mul_f32_e32 v9, s15, v7
	v_mul_f32_e32 v7, s14, v7
	v_fma_f32 v9, v6, s14, -v9
	v_fmac_f32_e32 v7, s15, v6
	v_add_f32_e32 v6, v1, v9
	v_add_f32_e32 v7, v8, v7
	global_store_dwordx2 v[3:4], v[6:7], off
	s_and_b64 exec, exec, s[2:3]
	s_cbranch_execz .LBB342_10
; %bb.9:
	v_mov_b32_e32 v1, 0
	global_store_dword v[3:4], v1, off offset:4
.LBB342_10:
	s_or_b64 exec, exec, s[4:5]
	v_add_u32_e32 v8, 16, v5
	v_mad_i64_i32 v[3:4], s[2:3], v8, s9, 0
	v_mov_b32_e32 v1, s8
	v_lshlrev_b64 v[3:4], 3, v[3:4]
	v_add_co_u32_e64 v6, s[2:3], s7, v3
	v_addc_co_u32_e64 v7, s[2:3], v1, v4, s[2:3]
	v_cmp_le_i32_e64 s[2:3], v8, v0
	s_and_b64 s[4:5], s[2:3], vcc
	s_and_saveexec_b64 s[2:3], s[4:5]
	s_cbranch_execz .LBB342_13
; %bb.11:
	v_ashrrev_i32_e32 v1, 31, v0
	v_lshlrev_b64 v[3:4], 3, v[0:1]
	v_mul_f32_e32 v1, s17, v19
	v_add_co_u32_e32 v3, vcc, v6, v3
	v_addc_co_u32_e32 v4, vcc, v7, v4, vcc
	global_load_dwordx2 v[9:10], v[3:4], off
	v_mul_f32_e32 v11, s16, v19
	v_fma_f32 v1, v18, s16, -v1
	v_fmac_f32_e32 v11, s17, v18
	v_cmp_eq_u32_e32 vcc, v8, v0
	s_waitcnt vmcnt(0)
	v_mul_f32_e32 v12, s15, v10
	v_mul_f32_e32 v10, s14, v10
	v_fma_f32 v12, v9, s14, -v12
	v_fmac_f32_e32 v10, s15, v9
	v_add_f32_e32 v9, v1, v12
	v_add_f32_e32 v10, v11, v10
	global_store_dwordx2 v[3:4], v[9:10], off
	s_and_b64 exec, exec, vcc
	s_cbranch_execz .LBB342_13
; %bb.12:
	v_mov_b32_e32 v1, 0
	global_store_dword v[3:4], v1, off offset:4
.LBB342_13:
	s_or_b64 exec, exec, s[2:3]
	v_cmp_le_i32_e32 vcc, v8, v2
	s_and_b64 s[0:1], vcc, s[0:1]
	s_and_saveexec_b64 s[2:3], s[0:1]
	s_cbranch_execz .LBB342_16
; %bb.14:
	v_ashrrev_i32_e32 v3, 31, v2
	v_lshlrev_b64 v[1:2], 3, v[2:3]
	v_add_co_u32_e32 v1, vcc, v6, v1
	v_addc_co_u32_e32 v2, vcc, v7, v2, vcc
	global_load_dwordx2 v[3:4], v[1:2], off
	v_mul_f32_e32 v6, s17, v16
	v_mul_f32_e32 v7, s16, v16
	v_fma_f32 v6, v17, s16, -v6
	v_fmac_f32_e32 v7, s17, v17
	v_cmp_eq_u32_e32 vcc, v5, v0
	s_waitcnt vmcnt(0)
	v_mul_f32_e32 v8, s15, v4
	v_mul_f32_e32 v4, s14, v4
	v_fma_f32 v8, v3, s14, -v8
	v_fmac_f32_e32 v4, s15, v3
	v_add_f32_e32 v3, v6, v8
	v_add_f32_e32 v4, v7, v4
	global_store_dwordx2 v[1:2], v[3:4], off
	s_and_b64 exec, exec, vcc
	s_cbranch_execz .LBB342_16
; %bb.15:
	v_mov_b32_e32 v0, 0
	global_store_dword v[1:2], v0, off offset:4
.LBB342_16:
	s_endpgm
	.section	.rodata,"a",@progbits
	.p2align	6, 0x0
	.amdhsa_kernel _ZL37rocblas_syrkx_herkx_restricted_kernelIi19rocblas_complex_numIfELi16ELi32ELi8ELb0ELb1ELc78ELc76EKS1_S1_EviT_T0_PT8_S3_lS6_S3_lS4_PT9_S3_li
		.amdhsa_group_segment_fixed_size 4096
		.amdhsa_private_segment_fixed_size 0
		.amdhsa_kernarg_size 100
		.amdhsa_user_sgpr_count 6
		.amdhsa_user_sgpr_private_segment_buffer 1
		.amdhsa_user_sgpr_dispatch_ptr 0
		.amdhsa_user_sgpr_queue_ptr 0
		.amdhsa_user_sgpr_kernarg_segment_ptr 1
		.amdhsa_user_sgpr_dispatch_id 0
		.amdhsa_user_sgpr_flat_scratch_init 0
		.amdhsa_user_sgpr_private_segment_size 0
		.amdhsa_uses_dynamic_stack 0
		.amdhsa_system_sgpr_private_segment_wavefront_offset 0
		.amdhsa_system_sgpr_workgroup_id_x 1
		.amdhsa_system_sgpr_workgroup_id_y 1
		.amdhsa_system_sgpr_workgroup_id_z 1
		.amdhsa_system_sgpr_workgroup_info 0
		.amdhsa_system_vgpr_workitem_id 1
		.amdhsa_next_free_vgpr 43
		.amdhsa_next_free_sgpr 29
		.amdhsa_reserve_vcc 1
		.amdhsa_reserve_flat_scratch 0
		.amdhsa_float_round_mode_32 0
		.amdhsa_float_round_mode_16_64 0
		.amdhsa_float_denorm_mode_32 3
		.amdhsa_float_denorm_mode_16_64 3
		.amdhsa_dx10_clamp 1
		.amdhsa_ieee_mode 1
		.amdhsa_fp16_overflow 0
		.amdhsa_exception_fp_ieee_invalid_op 0
		.amdhsa_exception_fp_denorm_src 0
		.amdhsa_exception_fp_ieee_div_zero 0
		.amdhsa_exception_fp_ieee_overflow 0
		.amdhsa_exception_fp_ieee_underflow 0
		.amdhsa_exception_fp_ieee_inexact 0
		.amdhsa_exception_int_div_zero 0
	.end_amdhsa_kernel
	.section	.text._ZL37rocblas_syrkx_herkx_restricted_kernelIi19rocblas_complex_numIfELi16ELi32ELi8ELb0ELb1ELc78ELc76EKS1_S1_EviT_T0_PT8_S3_lS6_S3_lS4_PT9_S3_li,"axG",@progbits,_ZL37rocblas_syrkx_herkx_restricted_kernelIi19rocblas_complex_numIfELi16ELi32ELi8ELb0ELb1ELc78ELc76EKS1_S1_EviT_T0_PT8_S3_lS6_S3_lS4_PT9_S3_li,comdat
.Lfunc_end342:
	.size	_ZL37rocblas_syrkx_herkx_restricted_kernelIi19rocblas_complex_numIfELi16ELi32ELi8ELb0ELb1ELc78ELc76EKS1_S1_EviT_T0_PT8_S3_lS6_S3_lS4_PT9_S3_li, .Lfunc_end342-_ZL37rocblas_syrkx_herkx_restricted_kernelIi19rocblas_complex_numIfELi16ELi32ELi8ELb0ELb1ELc78ELc76EKS1_S1_EviT_T0_PT8_S3_lS6_S3_lS4_PT9_S3_li
                                        ; -- End function
	.set _ZL37rocblas_syrkx_herkx_restricted_kernelIi19rocblas_complex_numIfELi16ELi32ELi8ELb0ELb1ELc78ELc76EKS1_S1_EviT_T0_PT8_S3_lS6_S3_lS4_PT9_S3_li.num_vgpr, 43
	.set _ZL37rocblas_syrkx_herkx_restricted_kernelIi19rocblas_complex_numIfELi16ELi32ELi8ELb0ELb1ELc78ELc76EKS1_S1_EviT_T0_PT8_S3_lS6_S3_lS4_PT9_S3_li.num_agpr, 0
	.set _ZL37rocblas_syrkx_herkx_restricted_kernelIi19rocblas_complex_numIfELi16ELi32ELi8ELb0ELb1ELc78ELc76EKS1_S1_EviT_T0_PT8_S3_lS6_S3_lS4_PT9_S3_li.numbered_sgpr, 29
	.set _ZL37rocblas_syrkx_herkx_restricted_kernelIi19rocblas_complex_numIfELi16ELi32ELi8ELb0ELb1ELc78ELc76EKS1_S1_EviT_T0_PT8_S3_lS6_S3_lS4_PT9_S3_li.num_named_barrier, 0
	.set _ZL37rocblas_syrkx_herkx_restricted_kernelIi19rocblas_complex_numIfELi16ELi32ELi8ELb0ELb1ELc78ELc76EKS1_S1_EviT_T0_PT8_S3_lS6_S3_lS4_PT9_S3_li.private_seg_size, 0
	.set _ZL37rocblas_syrkx_herkx_restricted_kernelIi19rocblas_complex_numIfELi16ELi32ELi8ELb0ELb1ELc78ELc76EKS1_S1_EviT_T0_PT8_S3_lS6_S3_lS4_PT9_S3_li.uses_vcc, 1
	.set _ZL37rocblas_syrkx_herkx_restricted_kernelIi19rocblas_complex_numIfELi16ELi32ELi8ELb0ELb1ELc78ELc76EKS1_S1_EviT_T0_PT8_S3_lS6_S3_lS4_PT9_S3_li.uses_flat_scratch, 0
	.set _ZL37rocblas_syrkx_herkx_restricted_kernelIi19rocblas_complex_numIfELi16ELi32ELi8ELb0ELb1ELc78ELc76EKS1_S1_EviT_T0_PT8_S3_lS6_S3_lS4_PT9_S3_li.has_dyn_sized_stack, 0
	.set _ZL37rocblas_syrkx_herkx_restricted_kernelIi19rocblas_complex_numIfELi16ELi32ELi8ELb0ELb1ELc78ELc76EKS1_S1_EviT_T0_PT8_S3_lS6_S3_lS4_PT9_S3_li.has_recursion, 0
	.set _ZL37rocblas_syrkx_herkx_restricted_kernelIi19rocblas_complex_numIfELi16ELi32ELi8ELb0ELb1ELc78ELc76EKS1_S1_EviT_T0_PT8_S3_lS6_S3_lS4_PT9_S3_li.has_indirect_call, 0
	.section	.AMDGPU.csdata,"",@progbits
; Kernel info:
; codeLenInByte = 2260
; TotalNumSgprs: 33
; NumVgprs: 43
; ScratchSize: 0
; MemoryBound: 0
; FloatMode: 240
; IeeeMode: 1
; LDSByteSize: 4096 bytes/workgroup (compile time only)
; SGPRBlocks: 4
; VGPRBlocks: 10
; NumSGPRsForWavesPerEU: 33
; NumVGPRsForWavesPerEU: 43
; Occupancy: 5
; WaveLimiterHint : 0
; COMPUTE_PGM_RSRC2:SCRATCH_EN: 0
; COMPUTE_PGM_RSRC2:USER_SGPR: 6
; COMPUTE_PGM_RSRC2:TRAP_HANDLER: 0
; COMPUTE_PGM_RSRC2:TGID_X_EN: 1
; COMPUTE_PGM_RSRC2:TGID_Y_EN: 1
; COMPUTE_PGM_RSRC2:TGID_Z_EN: 1
; COMPUTE_PGM_RSRC2:TIDIG_COMP_CNT: 1
	.section	.text._ZL37rocblas_syrkx_herkx_restricted_kernelIi19rocblas_complex_numIfELi16ELi32ELi8ELb0ELb1ELc84ELc85EKS1_S1_EviT_T0_PT8_S3_lS6_S3_lS4_PT9_S3_li,"axG",@progbits,_ZL37rocblas_syrkx_herkx_restricted_kernelIi19rocblas_complex_numIfELi16ELi32ELi8ELb0ELb1ELc84ELc85EKS1_S1_EviT_T0_PT8_S3_lS6_S3_lS4_PT9_S3_li,comdat
	.globl	_ZL37rocblas_syrkx_herkx_restricted_kernelIi19rocblas_complex_numIfELi16ELi32ELi8ELb0ELb1ELc84ELc85EKS1_S1_EviT_T0_PT8_S3_lS6_S3_lS4_PT9_S3_li ; -- Begin function _ZL37rocblas_syrkx_herkx_restricted_kernelIi19rocblas_complex_numIfELi16ELi32ELi8ELb0ELb1ELc84ELc85EKS1_S1_EviT_T0_PT8_S3_lS6_S3_lS4_PT9_S3_li
	.p2align	8
	.type	_ZL37rocblas_syrkx_herkx_restricted_kernelIi19rocblas_complex_numIfELi16ELi32ELi8ELb0ELb1ELc84ELc85EKS1_S1_EviT_T0_PT8_S3_lS6_S3_lS4_PT9_S3_li,@function
_ZL37rocblas_syrkx_herkx_restricted_kernelIi19rocblas_complex_numIfELi16ELi32ELi8ELb0ELb1ELc84ELc85EKS1_S1_EviT_T0_PT8_S3_lS6_S3_lS4_PT9_S3_li: ; @_ZL37rocblas_syrkx_herkx_restricted_kernelIi19rocblas_complex_numIfELi16ELi32ELi8ELb0ELb1ELc84ELc85EKS1_S1_EviT_T0_PT8_S3_lS6_S3_lS4_PT9_S3_li
; %bb.0:
	s_load_dwordx2 s[10:11], s[4:5], 0x0
	s_load_dwordx4 s[12:15], s[4:5], 0x8
	s_load_dwordx4 s[0:3], s[4:5], 0x38
	s_load_dwordx2 s[20:21], s[4:5], 0x48
	s_lshl_b32 s6, s6, 5
	s_lshl_b32 s7, s7, 5
	s_waitcnt lgkmcnt(0)
	s_cmp_lt_i32 s11, 1
	s_mov_b32 s9, 0
	s_cbranch_scc1 .LBB343_3
; %bb.1:
	v_lshl_add_u32 v3, v1, 4, v0
	s_load_dword s24, s[4:5], 0x18
	s_load_dwordx4 s[16:19], s[4:5], 0x20
	s_load_dword s22, s[4:5], 0x30
	v_and_b32_e32 v7, 31, v3
	v_lshrrev_b32_e32 v2, 5, v3
	v_and_b32_e32 v9, 7, v0
	v_lshlrev_b32_e32 v8, 3, v7
	v_lshrrev_b32_e32 v6, 3, v3
	v_lshl_or_b32 v11, v2, 8, v8
	v_lshlrev_b32_e32 v8, 3, v9
	v_add_u32_e32 v3, s7, v6
	v_lshl_or_b32 v6, v6, 6, v8
	v_mov_b32_e32 v10, 0
	v_add_u32_e32 v12, 0x800, v6
	v_mov_b32_e32 v6, 0x800
	s_waitcnt lgkmcnt(0)
	v_mad_i64_i32 v[4:5], s[22:23], s22, v3, v[9:10]
	v_mov_b32_e32 v3, v10
	v_lshl_add_u32 v14, v1, 6, v6
	v_add_u32_e32 v6, s6, v7
	v_mad_i64_i32 v[2:3], s[22:23], s24, v6, v[2:3]
	s_mul_i32 s17, s17, s8
	s_mul_hi_u32 s25, s16, s8
	s_add_i32 s17, s25, s17
	s_mul_i32 s16, s16, s8
	s_lshl_b64 s[16:17], s[16:17], 3
	v_lshlrev_b64 v[2:3], 3, v[2:3]
	s_add_u32 s14, s14, s16
	s_addc_u32 s15, s15, s17
	v_mov_b32_e32 v6, s15
	v_add_co_u32_e32 v2, vcc, s14, v2
	s_mul_i32 s1, s1, s8
	s_mul_hi_u32 s14, s0, s8
	v_addc_co_u32_e32 v3, vcc, v6, v3, vcc
	s_add_i32 s1, s14, s1
	s_mul_i32 s0, s0, s8
	v_add_co_u32_e32 v6, vcc, 4, v2
	s_lshl_b64 s[0:1], s[0:1], 3
	v_addc_co_u32_e32 v7, vcc, 0, v3, vcc
	v_lshlrev_b64 v[2:3], 3, v[4:5]
	s_add_u32 s0, s18, s0
	s_addc_u32 s1, s19, s1
	v_mov_b32_e32 v4, s1
	v_add_co_u32_e32 v2, vcc, s0, v2
	v_addc_co_u32_e32 v3, vcc, v4, v3, vcc
	v_add_co_u32_e32 v8, vcc, 4, v2
	v_lshlrev_b32_e32 v13, 3, v0
	v_addc_co_u32_e32 v9, vcc, 0, v3, vcc
	v_mov_b32_e32 v15, v10
	v_mov_b32_e32 v17, v10
	;; [unrolled: 1-line block ×7, first 2 shown]
.LBB343_2:                              ; =>This Inner Loop Header: Depth=1
	global_load_dwordx2 v[2:3], v[6:7], off offset:-4
	v_add_co_u32_e32 v6, vcc, 64, v6
	v_addc_co_u32_e32 v7, vcc, 0, v7, vcc
	s_add_i32 s9, s9, 8
	s_cmp_ge_i32 s9, s11
	s_waitcnt vmcnt(0)
	ds_write_b64 v11, v[2:3]
	global_load_dwordx2 v[2:3], v[8:9], off offset:-4
	v_add_co_u32_e32 v8, vcc, 64, v8
	v_addc_co_u32_e32 v9, vcc, 0, v9, vcc
	s_waitcnt vmcnt(0)
	ds_write_b64 v12, v[2:3]
	s_waitcnt lgkmcnt(0)
	s_barrier
	ds_read_b128 v[22:25], v14
	ds_read_b128 v[26:29], v14 offset:16
	ds_read_b128 v[30:33], v14 offset:32
	;; [unrolled: 1-line block ×3, first 2 shown]
	ds_read2_b64 v[34:37], v13 offset1:16
	s_waitcnt lgkmcnt(0)
	v_mul_f32_e32 v38, v23, v35
	v_mul_f32_e32 v39, v22, v35
	v_fma_f32 v38, v22, v34, -v38
	v_fmac_f32_e32 v39, v23, v34
	v_add_f32_e32 v38, v20, v38
	v_add_f32_e32 v39, v21, v39
	v_mul_f32_e32 v20, v23, v37
	v_mul_f32_e32 v21, v22, v37
	v_fma_f32 v20, v22, v36, -v20
	v_fmac_f32_e32 v21, v23, v36
	v_add_f32_e32 v22, v18, v20
	v_add_f32_e32 v23, v19, v21
	ds_read_b128 v[18:21], v14 offset:1024
	s_waitcnt lgkmcnt(0)
	v_mul_f32_e32 v40, v19, v35
	v_mul_f32_e32 v35, v18, v35
	v_fma_f32 v40, v18, v34, -v40
	v_fmac_f32_e32 v35, v19, v34
	v_add_f32_e32 v34, v16, v40
	v_add_f32_e32 v35, v17, v35
	v_mul_f32_e32 v16, v19, v37
	v_mul_f32_e32 v17, v18, v37
	v_fma_f32 v16, v18, v36, -v16
	v_fmac_f32_e32 v17, v19, v36
	v_add_f32_e32 v19, v15, v16
	v_add_f32_e32 v10, v10, v17
	ds_read2_b64 v[15:18], v13 offset0:32 offset1:48
	s_waitcnt lgkmcnt(0)
	v_mul_f32_e32 v36, v25, v16
	v_fma_f32 v36, v24, v15, -v36
	v_add_f32_e32 v36, v38, v36
	v_mul_f32_e32 v38, v25, v18
	v_mul_f32_e32 v37, v24, v16
	v_fma_f32 v38, v24, v17, -v38
	v_mul_f32_e32 v24, v24, v18
	v_fmac_f32_e32 v24, v25, v17
	v_add_f32_e32 v23, v23, v24
	v_mul_f32_e32 v24, v21, v16
	v_mul_f32_e32 v16, v20, v16
	v_fmac_f32_e32 v16, v21, v15
	v_fmac_f32_e32 v37, v25, v15
	v_fma_f32 v24, v20, v15, -v24
	v_add_f32_e32 v25, v35, v16
	v_mul_f32_e32 v15, v21, v18
	v_mul_f32_e32 v16, v20, v18
	v_fma_f32 v15, v20, v17, -v15
	v_fmac_f32_e32 v16, v21, v17
	v_add_f32_e32 v24, v34, v24
	v_add_f32_e32 v34, v19, v15
	;; [unrolled: 1-line block ×3, first 2 shown]
	ds_read2_b64 v[15:18], v13 offset0:64 offset1:80
	v_add_f32_e32 v37, v39, v37
	v_add_f32_e32 v22, v22, v38
	s_waitcnt lgkmcnt(0)
	v_mul_f32_e32 v19, v27, v16
	v_mul_f32_e32 v20, v26, v16
	v_fma_f32 v19, v26, v15, -v19
	v_fmac_f32_e32 v20, v27, v15
	v_add_f32_e32 v35, v36, v19
	v_add_f32_e32 v36, v37, v20
	v_mul_f32_e32 v19, v27, v18
	v_mul_f32_e32 v20, v26, v18
	v_fma_f32 v19, v26, v17, -v19
	v_fmac_f32_e32 v20, v27, v17
	v_add_f32_e32 v26, v22, v19
	v_add_f32_e32 v23, v23, v20
	ds_read_b128 v[19:22], v14 offset:1040
	s_waitcnt lgkmcnt(0)
	v_mul_f32_e32 v27, v20, v16
	v_mul_f32_e32 v16, v19, v16
	v_fmac_f32_e32 v16, v20, v15
	v_fma_f32 v27, v19, v15, -v27
	v_add_f32_e32 v25, v25, v16
	v_mul_f32_e32 v15, v20, v18
	v_mul_f32_e32 v16, v19, v18
	v_fma_f32 v15, v19, v17, -v15
	v_fmac_f32_e32 v16, v20, v17
	v_add_f32_e32 v19, v34, v15
	v_add_f32_e32 v10, v10, v16
	ds_read2_b64 v[15:18], v13 offset0:96 offset1:112
	v_add_f32_e32 v24, v24, v27
	s_waitcnt lgkmcnt(0)
	v_mul_f32_e32 v20, v29, v16
	v_mul_f32_e32 v34, v29, v18
	v_fma_f32 v20, v28, v15, -v20
	v_mul_f32_e32 v27, v28, v16
	v_fma_f32 v34, v28, v17, -v34
	v_mul_f32_e32 v28, v28, v18
	v_fmac_f32_e32 v28, v29, v17
	v_add_f32_e32 v23, v23, v28
	v_mul_f32_e32 v28, v22, v16
	v_mul_f32_e32 v16, v21, v16
	v_fmac_f32_e32 v16, v22, v15
	v_fmac_f32_e32 v27, v29, v15
	v_fma_f32 v28, v21, v15, -v28
	v_add_f32_e32 v25, v25, v16
	v_mul_f32_e32 v15, v22, v18
	v_mul_f32_e32 v16, v21, v18
	v_fma_f32 v15, v21, v17, -v15
	v_fmac_f32_e32 v16, v22, v17
	v_add_f32_e32 v24, v24, v28
	v_add_f32_e32 v28, v19, v15
	;; [unrolled: 1-line block ×3, first 2 shown]
	ds_read2_b64 v[15:18], v13 offset0:128 offset1:144
	v_add_f32_e32 v20, v35, v20
	v_add_f32_e32 v27, v36, v27
	;; [unrolled: 1-line block ×3, first 2 shown]
	s_waitcnt lgkmcnt(0)
	v_mul_f32_e32 v19, v31, v16
	v_fma_f32 v19, v30, v15, -v19
	v_mul_f32_e32 v21, v30, v16
	v_add_f32_e32 v29, v20, v19
	v_mul_f32_e32 v19, v31, v18
	v_mul_f32_e32 v20, v30, v18
	v_fmac_f32_e32 v21, v31, v15
	v_fma_f32 v19, v30, v17, -v19
	v_fmac_f32_e32 v20, v31, v17
	v_add_f32_e32 v27, v27, v21
	v_add_f32_e32 v26, v26, v19
	;; [unrolled: 1-line block ×3, first 2 shown]
	ds_read_b128 v[19:22], v14 offset:1056
	s_waitcnt lgkmcnt(0)
	v_mul_f32_e32 v30, v20, v16
	v_mul_f32_e32 v16, v19, v16
	v_fmac_f32_e32 v16, v20, v15
	v_fma_f32 v30, v19, v15, -v30
	v_add_f32_e32 v25, v25, v16
	v_mul_f32_e32 v15, v20, v18
	v_mul_f32_e32 v16, v19, v18
	v_fma_f32 v15, v19, v17, -v15
	v_fmac_f32_e32 v16, v20, v17
	v_add_f32_e32 v19, v28, v15
	v_add_f32_e32 v10, v10, v16
	ds_read2_b64 v[15:18], v13 offset0:160 offset1:176
	v_add_f32_e32 v24, v24, v30
	s_waitcnt lgkmcnt(0)
	v_mul_f32_e32 v28, v32, v16
	v_fmac_f32_e32 v28, v33, v15
	v_add_f32_e32 v27, v27, v28
	v_mul_f32_e32 v28, v33, v18
	v_fma_f32 v28, v32, v17, -v28
	v_mul_f32_e32 v20, v33, v16
	v_add_f32_e32 v26, v26, v28
	v_mul_f32_e32 v28, v22, v16
	v_mul_f32_e32 v16, v21, v16
	v_fmac_f32_e32 v16, v22, v15
	v_fma_f32 v20, v32, v15, -v20
	v_fma_f32 v28, v21, v15, -v28
	v_add_f32_e32 v25, v25, v16
	v_mul_f32_e32 v15, v22, v18
	v_mul_f32_e32 v16, v21, v18
	v_add_f32_e32 v20, v29, v20
	v_mul_f32_e32 v29, v32, v18
	v_fma_f32 v15, v21, v17, -v15
	v_fmac_f32_e32 v16, v22, v17
	v_fmac_f32_e32 v29, v33, v17
	v_add_f32_e32 v19, v19, v15
	v_add_f32_e32 v10, v10, v16
	ds_read2_b64 v[15:18], v13 offset0:192 offset1:208
	v_add_f32_e32 v24, v24, v28
	v_add_f32_e32 v23, v23, v29
	s_waitcnt lgkmcnt(0)
	v_mul_f32_e32 v21, v3, v16
	v_fma_f32 v21, v2, v15, -v21
	v_add_f32_e32 v28, v20, v21
	v_mul_f32_e32 v20, v3, v18
	v_mul_f32_e32 v22, v2, v16
	v_fma_f32 v20, v2, v17, -v20
	v_mul_f32_e32 v2, v2, v18
	v_fmac_f32_e32 v22, v3, v15
	v_fmac_f32_e32 v2, v3, v17
	v_add_f32_e32 v29, v27, v22
	v_add_f32_e32 v3, v26, v20
	v_add_f32_e32 v2, v23, v2
	ds_read_b128 v[20:23], v14 offset:1072
	s_waitcnt lgkmcnt(0)
	v_mul_f32_e32 v26, v21, v16
	v_mul_f32_e32 v16, v20, v16
	v_fma_f32 v26, v20, v15, -v26
	v_fmac_f32_e32 v16, v21, v15
	v_add_f32_e32 v15, v24, v26
	v_add_f32_e32 v30, v25, v16
	ds_read2_b64 v[24:27], v13 offset0:224 offset1:240
	v_mul_f32_e32 v16, v21, v18
	v_fma_f32 v16, v20, v17, -v16
	v_add_f32_e32 v31, v19, v16
	v_mul_f32_e32 v18, v20, v18
	s_waitcnt lgkmcnt(0)
	v_mul_f32_e32 v16, v5, v25
	v_fma_f32 v16, v4, v24, -v16
	v_add_f32_e32 v20, v28, v16
	v_mul_f32_e32 v16, v5, v27
	v_fmac_f32_e32 v18, v21, v17
	v_mul_f32_e32 v17, v4, v25
	v_fma_f32 v16, v4, v26, -v16
	v_mul_f32_e32 v4, v4, v27
	v_fmac_f32_e32 v4, v5, v26
	v_add_f32_e32 v10, v10, v18
	v_add_f32_e32 v18, v3, v16
	;; [unrolled: 1-line block ×3, first 2 shown]
	v_mul_f32_e32 v2, v23, v25
	v_mul_f32_e32 v3, v22, v25
	v_fmac_f32_e32 v17, v5, v24
	v_fma_f32 v2, v22, v24, -v2
	v_fmac_f32_e32 v3, v23, v24
	v_add_f32_e32 v21, v29, v17
	v_add_f32_e32 v16, v15, v2
	;; [unrolled: 1-line block ×3, first 2 shown]
	v_mul_f32_e32 v2, v23, v27
	v_mul_f32_e32 v3, v22, v27
	v_fma_f32 v2, v22, v26, -v2
	v_fmac_f32_e32 v3, v23, v26
	v_add_f32_e32 v15, v31, v2
	v_add_f32_e32 v10, v10, v3
	s_barrier
	s_cbranch_scc0 .LBB343_2
	s_branch .LBB343_4
.LBB343_3:
	v_mov_b32_e32 v20, 0
	v_mov_b32_e32 v21, 0
	;; [unrolled: 1-line block ×8, first 2 shown]
.LBB343_4:
	s_load_dwordx2 s[0:1], s[4:5], 0x58
	s_load_dword s9, s[4:5], 0x50
	v_add_u32_e32 v5, s7, v1
	v_add_u32_e32 v0, s6, v0
	v_cmp_gt_i32_e32 vcc, s10, v5
	s_waitcnt lgkmcnt(0)
	s_mul_i32 s1, s1, s8
	s_mul_hi_u32 s4, s0, s8
	s_add_i32 s1, s4, s1
	v_mad_i64_i32 v[1:2], s[4:5], v5, s9, 0
	s_mul_i32 s0, s0, s8
	s_lshl_b64 s[0:1], s[0:1], 3
	s_add_u32 s7, s20, s0
	v_lshlrev_b64 v[1:2], 3, v[1:2]
	s_addc_u32 s8, s21, s1
	v_mov_b32_e32 v3, s8
	v_add_co_u32_e64 v4, s[0:1], s7, v1
	v_addc_co_u32_e64 v6, s[0:1], v3, v2, s[0:1]
	v_cmp_le_i32_e64 s[0:1], v0, v5
	s_and_b64 s[0:1], vcc, s[0:1]
	s_and_saveexec_b64 s[4:5], s[0:1]
	s_cbranch_execz .LBB343_7
; %bb.5:
	v_ashrrev_i32_e32 v1, 31, v0
	v_lshlrev_b64 v[1:2], 3, v[0:1]
	v_mul_f32_e32 v3, s13, v21
	v_add_co_u32_e64 v1, s[0:1], v4, v1
	v_addc_co_u32_e64 v2, s[0:1], v6, v2, s[0:1]
	global_load_dwordx2 v[7:8], v[1:2], off
	v_mul_f32_e32 v9, s12, v21
	v_fma_f32 v3, v20, s12, -v3
	v_fmac_f32_e32 v9, s13, v20
	v_cmp_eq_u32_e64 s[0:1], v5, v0
	s_waitcnt vmcnt(0)
	v_mul_f32_e32 v11, s3, v8
	v_mul_f32_e32 v8, s2, v8
	v_fma_f32 v11, v7, s2, -v11
	v_fmac_f32_e32 v8, s3, v7
	v_add_f32_e32 v7, v3, v11
	v_add_f32_e32 v8, v9, v8
	global_store_dwordx2 v[1:2], v[7:8], off
	s_and_b64 exec, exec, s[0:1]
	s_cbranch_execz .LBB343_7
; %bb.6:
	v_mov_b32_e32 v3, 0
	global_store_dword v[1:2], v3, off offset:4
.LBB343_7:
	s_or_b64 exec, exec, s[4:5]
	v_add_u32_e32 v2, 16, v0
	v_cmp_le_i32_e64 s[0:1], v2, v5
	s_and_b64 s[4:5], vcc, s[0:1]
	s_and_saveexec_b64 s[0:1], s[4:5]
	s_cbranch_execz .LBB343_10
; %bb.8:
	v_ashrrev_i32_e32 v3, 31, v2
	v_lshlrev_b64 v[7:8], 3, v[2:3]
	v_mul_f32_e32 v1, s13, v19
	v_add_co_u32_e32 v3, vcc, v4, v7
	v_addc_co_u32_e32 v4, vcc, v6, v8, vcc
	global_load_dwordx2 v[6:7], v[3:4], off
	v_mul_f32_e32 v8, s12, v19
	v_fma_f32 v1, v18, s12, -v1
	v_fmac_f32_e32 v8, s13, v18
	v_cmp_eq_u32_e32 vcc, v5, v2
	s_waitcnt vmcnt(0)
	v_mul_f32_e32 v9, s3, v7
	v_mul_f32_e32 v7, s2, v7
	v_fma_f32 v9, v6, s2, -v9
	v_fmac_f32_e32 v7, s3, v6
	v_add_f32_e32 v6, v1, v9
	v_add_f32_e32 v7, v8, v7
	global_store_dwordx2 v[3:4], v[6:7], off
	s_and_b64 exec, exec, vcc
	s_cbranch_execz .LBB343_10
; %bb.9:
	v_mov_b32_e32 v1, 0
	global_store_dword v[3:4], v1, off offset:4
.LBB343_10:
	s_or_b64 exec, exec, s[0:1]
	v_add_u32_e32 v8, 16, v5
	v_mad_i64_i32 v[3:4], s[0:1], v8, s9, 0
	v_mov_b32_e32 v1, s8
	v_cmp_gt_i32_e32 vcc, s10, v8
	v_lshlrev_b64 v[3:4], 3, v[3:4]
	v_add_co_u32_e64 v6, s[0:1], s7, v3
	v_addc_co_u32_e64 v7, s[0:1], v1, v4, s[0:1]
	v_cmp_le_i32_e64 s[0:1], v0, v8
	s_and_b64 s[0:1], vcc, s[0:1]
	s_and_saveexec_b64 s[4:5], s[0:1]
	s_cbranch_execz .LBB343_13
; %bb.11:
	v_ashrrev_i32_e32 v1, 31, v0
	v_lshlrev_b64 v[3:4], 3, v[0:1]
	v_mul_f32_e32 v1, s13, v17
	v_add_co_u32_e64 v3, s[0:1], v6, v3
	v_addc_co_u32_e64 v4, s[0:1], v7, v4, s[0:1]
	global_load_dwordx2 v[11:12], v[3:4], off
	v_mul_f32_e32 v9, s12, v17
	v_fma_f32 v1, v16, s12, -v1
	v_fmac_f32_e32 v9, s13, v16
	v_cmp_eq_u32_e64 s[0:1], v8, v0
	s_waitcnt vmcnt(0)
	v_mul_f32_e32 v13, s3, v12
	v_mul_f32_e32 v12, s2, v12
	v_fma_f32 v13, v11, s2, -v13
	v_fmac_f32_e32 v12, s3, v11
	v_add_f32_e32 v11, v1, v13
	v_add_f32_e32 v12, v9, v12
	global_store_dwordx2 v[3:4], v[11:12], off
	s_and_b64 exec, exec, s[0:1]
	s_cbranch_execz .LBB343_13
; %bb.12:
	v_mov_b32_e32 v1, 0
	global_store_dword v[3:4], v1, off offset:4
.LBB343_13:
	s_or_b64 exec, exec, s[4:5]
	v_cmp_le_i32_e64 s[0:1], v2, v8
	s_and_b64 s[0:1], vcc, s[0:1]
	s_and_saveexec_b64 s[4:5], s[0:1]
	s_cbranch_execz .LBB343_16
; %bb.14:
	v_ashrrev_i32_e32 v3, 31, v2
	v_lshlrev_b64 v[1:2], 3, v[2:3]
	v_add_co_u32_e32 v1, vcc, v6, v1
	v_addc_co_u32_e32 v2, vcc, v7, v2, vcc
	global_load_dwordx2 v[3:4], v[1:2], off
	v_mul_f32_e32 v6, s13, v10
	v_mul_f32_e32 v7, s12, v10
	v_fma_f32 v6, v15, s12, -v6
	v_fmac_f32_e32 v7, s13, v15
	v_cmp_eq_u32_e32 vcc, v5, v0
	s_waitcnt vmcnt(0)
	v_mul_f32_e32 v8, s3, v4
	v_mul_f32_e32 v4, s2, v4
	v_fma_f32 v8, v3, s2, -v8
	v_fmac_f32_e32 v4, s3, v3
	v_add_f32_e32 v3, v6, v8
	v_add_f32_e32 v4, v7, v4
	global_store_dwordx2 v[1:2], v[3:4], off
	s_and_b64 exec, exec, vcc
	s_cbranch_execz .LBB343_16
; %bb.15:
	v_mov_b32_e32 v0, 0
	global_store_dword v[1:2], v0, off offset:4
.LBB343_16:
	s_endpgm
	.section	.rodata,"a",@progbits
	.p2align	6, 0x0
	.amdhsa_kernel _ZL37rocblas_syrkx_herkx_restricted_kernelIi19rocblas_complex_numIfELi16ELi32ELi8ELb0ELb1ELc84ELc85EKS1_S1_EviT_T0_PT8_S3_lS6_S3_lS4_PT9_S3_li
		.amdhsa_group_segment_fixed_size 4096
		.amdhsa_private_segment_fixed_size 0
		.amdhsa_kernarg_size 100
		.amdhsa_user_sgpr_count 6
		.amdhsa_user_sgpr_private_segment_buffer 1
		.amdhsa_user_sgpr_dispatch_ptr 0
		.amdhsa_user_sgpr_queue_ptr 0
		.amdhsa_user_sgpr_kernarg_segment_ptr 1
		.amdhsa_user_sgpr_dispatch_id 0
		.amdhsa_user_sgpr_flat_scratch_init 0
		.amdhsa_user_sgpr_private_segment_size 0
		.amdhsa_uses_dynamic_stack 0
		.amdhsa_system_sgpr_private_segment_wavefront_offset 0
		.amdhsa_system_sgpr_workgroup_id_x 1
		.amdhsa_system_sgpr_workgroup_id_y 1
		.amdhsa_system_sgpr_workgroup_id_z 1
		.amdhsa_system_sgpr_workgroup_info 0
		.amdhsa_system_vgpr_workitem_id 1
		.amdhsa_next_free_vgpr 41
		.amdhsa_next_free_sgpr 26
		.amdhsa_reserve_vcc 1
		.amdhsa_reserve_flat_scratch 0
		.amdhsa_float_round_mode_32 0
		.amdhsa_float_round_mode_16_64 0
		.amdhsa_float_denorm_mode_32 3
		.amdhsa_float_denorm_mode_16_64 3
		.amdhsa_dx10_clamp 1
		.amdhsa_ieee_mode 1
		.amdhsa_fp16_overflow 0
		.amdhsa_exception_fp_ieee_invalid_op 0
		.amdhsa_exception_fp_denorm_src 0
		.amdhsa_exception_fp_ieee_div_zero 0
		.amdhsa_exception_fp_ieee_overflow 0
		.amdhsa_exception_fp_ieee_underflow 0
		.amdhsa_exception_fp_ieee_inexact 0
		.amdhsa_exception_int_div_zero 0
	.end_amdhsa_kernel
	.section	.text._ZL37rocblas_syrkx_herkx_restricted_kernelIi19rocblas_complex_numIfELi16ELi32ELi8ELb0ELb1ELc84ELc85EKS1_S1_EviT_T0_PT8_S3_lS6_S3_lS4_PT9_S3_li,"axG",@progbits,_ZL37rocblas_syrkx_herkx_restricted_kernelIi19rocblas_complex_numIfELi16ELi32ELi8ELb0ELb1ELc84ELc85EKS1_S1_EviT_T0_PT8_S3_lS6_S3_lS4_PT9_S3_li,comdat
.Lfunc_end343:
	.size	_ZL37rocblas_syrkx_herkx_restricted_kernelIi19rocblas_complex_numIfELi16ELi32ELi8ELb0ELb1ELc84ELc85EKS1_S1_EviT_T0_PT8_S3_lS6_S3_lS4_PT9_S3_li, .Lfunc_end343-_ZL37rocblas_syrkx_herkx_restricted_kernelIi19rocblas_complex_numIfELi16ELi32ELi8ELb0ELb1ELc84ELc85EKS1_S1_EviT_T0_PT8_S3_lS6_S3_lS4_PT9_S3_li
                                        ; -- End function
	.set _ZL37rocblas_syrkx_herkx_restricted_kernelIi19rocblas_complex_numIfELi16ELi32ELi8ELb0ELb1ELc84ELc85EKS1_S1_EviT_T0_PT8_S3_lS6_S3_lS4_PT9_S3_li.num_vgpr, 41
	.set _ZL37rocblas_syrkx_herkx_restricted_kernelIi19rocblas_complex_numIfELi16ELi32ELi8ELb0ELb1ELc84ELc85EKS1_S1_EviT_T0_PT8_S3_lS6_S3_lS4_PT9_S3_li.num_agpr, 0
	.set _ZL37rocblas_syrkx_herkx_restricted_kernelIi19rocblas_complex_numIfELi16ELi32ELi8ELb0ELb1ELc84ELc85EKS1_S1_EviT_T0_PT8_S3_lS6_S3_lS4_PT9_S3_li.numbered_sgpr, 26
	.set _ZL37rocblas_syrkx_herkx_restricted_kernelIi19rocblas_complex_numIfELi16ELi32ELi8ELb0ELb1ELc84ELc85EKS1_S1_EviT_T0_PT8_S3_lS6_S3_lS4_PT9_S3_li.num_named_barrier, 0
	.set _ZL37rocblas_syrkx_herkx_restricted_kernelIi19rocblas_complex_numIfELi16ELi32ELi8ELb0ELb1ELc84ELc85EKS1_S1_EviT_T0_PT8_S3_lS6_S3_lS4_PT9_S3_li.private_seg_size, 0
	.set _ZL37rocblas_syrkx_herkx_restricted_kernelIi19rocblas_complex_numIfELi16ELi32ELi8ELb0ELb1ELc84ELc85EKS1_S1_EviT_T0_PT8_S3_lS6_S3_lS4_PT9_S3_li.uses_vcc, 1
	.set _ZL37rocblas_syrkx_herkx_restricted_kernelIi19rocblas_complex_numIfELi16ELi32ELi8ELb0ELb1ELc84ELc85EKS1_S1_EviT_T0_PT8_S3_lS6_S3_lS4_PT9_S3_li.uses_flat_scratch, 0
	.set _ZL37rocblas_syrkx_herkx_restricted_kernelIi19rocblas_complex_numIfELi16ELi32ELi8ELb0ELb1ELc84ELc85EKS1_S1_EviT_T0_PT8_S3_lS6_S3_lS4_PT9_S3_li.has_dyn_sized_stack, 0
	.set _ZL37rocblas_syrkx_herkx_restricted_kernelIi19rocblas_complex_numIfELi16ELi32ELi8ELb0ELb1ELc84ELc85EKS1_S1_EviT_T0_PT8_S3_lS6_S3_lS4_PT9_S3_li.has_recursion, 0
	.set _ZL37rocblas_syrkx_herkx_restricted_kernelIi19rocblas_complex_numIfELi16ELi32ELi8ELb0ELb1ELc84ELc85EKS1_S1_EviT_T0_PT8_S3_lS6_S3_lS4_PT9_S3_li.has_indirect_call, 0
	.section	.AMDGPU.csdata,"",@progbits
; Kernel info:
; codeLenInByte = 2232
; TotalNumSgprs: 30
; NumVgprs: 41
; ScratchSize: 0
; MemoryBound: 0
; FloatMode: 240
; IeeeMode: 1
; LDSByteSize: 4096 bytes/workgroup (compile time only)
; SGPRBlocks: 3
; VGPRBlocks: 10
; NumSGPRsForWavesPerEU: 30
; NumVGPRsForWavesPerEU: 41
; Occupancy: 5
; WaveLimiterHint : 0
; COMPUTE_PGM_RSRC2:SCRATCH_EN: 0
; COMPUTE_PGM_RSRC2:USER_SGPR: 6
; COMPUTE_PGM_RSRC2:TRAP_HANDLER: 0
; COMPUTE_PGM_RSRC2:TGID_X_EN: 1
; COMPUTE_PGM_RSRC2:TGID_Y_EN: 1
; COMPUTE_PGM_RSRC2:TGID_Z_EN: 1
; COMPUTE_PGM_RSRC2:TIDIG_COMP_CNT: 1
	.section	.text._ZL37rocblas_syrkx_herkx_restricted_kernelIi19rocblas_complex_numIfELi16ELi32ELi8ELb0ELb1ELc67ELc85EKS1_S1_EviT_T0_PT8_S3_lS6_S3_lS4_PT9_S3_li,"axG",@progbits,_ZL37rocblas_syrkx_herkx_restricted_kernelIi19rocblas_complex_numIfELi16ELi32ELi8ELb0ELb1ELc67ELc85EKS1_S1_EviT_T0_PT8_S3_lS6_S3_lS4_PT9_S3_li,comdat
	.globl	_ZL37rocblas_syrkx_herkx_restricted_kernelIi19rocblas_complex_numIfELi16ELi32ELi8ELb0ELb1ELc67ELc85EKS1_S1_EviT_T0_PT8_S3_lS6_S3_lS4_PT9_S3_li ; -- Begin function _ZL37rocblas_syrkx_herkx_restricted_kernelIi19rocblas_complex_numIfELi16ELi32ELi8ELb0ELb1ELc67ELc85EKS1_S1_EviT_T0_PT8_S3_lS6_S3_lS4_PT9_S3_li
	.p2align	8
	.type	_ZL37rocblas_syrkx_herkx_restricted_kernelIi19rocblas_complex_numIfELi16ELi32ELi8ELb0ELb1ELc67ELc85EKS1_S1_EviT_T0_PT8_S3_lS6_S3_lS4_PT9_S3_li,@function
_ZL37rocblas_syrkx_herkx_restricted_kernelIi19rocblas_complex_numIfELi16ELi32ELi8ELb0ELb1ELc67ELc85EKS1_S1_EviT_T0_PT8_S3_lS6_S3_lS4_PT9_S3_li: ; @_ZL37rocblas_syrkx_herkx_restricted_kernelIi19rocblas_complex_numIfELi16ELi32ELi8ELb0ELb1ELc67ELc85EKS1_S1_EviT_T0_PT8_S3_lS6_S3_lS4_PT9_S3_li
; %bb.0:
	s_load_dwordx2 s[10:11], s[4:5], 0x0
	s_load_dwordx4 s[12:15], s[4:5], 0x8
	s_load_dwordx4 s[0:3], s[4:5], 0x38
	s_load_dwordx2 s[20:21], s[4:5], 0x48
	s_lshl_b32 s6, s6, 5
	s_lshl_b32 s7, s7, 5
	s_waitcnt lgkmcnt(0)
	s_cmp_lt_i32 s11, 1
	s_mov_b32 s9, 0
	s_cbranch_scc1 .LBB344_3
; %bb.1:
	v_lshl_add_u32 v3, v1, 4, v0
	s_load_dword s24, s[4:5], 0x18
	s_load_dwordx4 s[16:19], s[4:5], 0x20
	s_load_dword s22, s[4:5], 0x30
	v_and_b32_e32 v7, 31, v3
	v_lshrrev_b32_e32 v2, 5, v3
	v_and_b32_e32 v9, 7, v0
	v_lshlrev_b32_e32 v8, 3, v7
	v_lshrrev_b32_e32 v6, 3, v3
	v_lshl_or_b32 v11, v2, 8, v8
	v_lshlrev_b32_e32 v8, 3, v9
	v_add_u32_e32 v3, s7, v6
	v_lshl_or_b32 v6, v6, 6, v8
	v_mov_b32_e32 v10, 0
	v_add_u32_e32 v12, 0x800, v6
	v_mov_b32_e32 v6, 0x800
	s_waitcnt lgkmcnt(0)
	v_mad_i64_i32 v[4:5], s[22:23], s22, v3, v[9:10]
	v_mov_b32_e32 v3, v10
	v_lshl_add_u32 v14, v1, 6, v6
	v_add_u32_e32 v6, s6, v7
	v_mad_i64_i32 v[2:3], s[22:23], s24, v6, v[2:3]
	s_mul_i32 s17, s17, s8
	s_mul_hi_u32 s25, s16, s8
	s_add_i32 s17, s25, s17
	s_mul_i32 s16, s16, s8
	s_lshl_b64 s[16:17], s[16:17], 3
	v_lshlrev_b64 v[2:3], 3, v[2:3]
	s_add_u32 s14, s14, s16
	s_addc_u32 s15, s15, s17
	v_mov_b32_e32 v6, s15
	v_add_co_u32_e32 v2, vcc, s14, v2
	s_mul_i32 s1, s1, s8
	s_mul_hi_u32 s14, s0, s8
	v_addc_co_u32_e32 v3, vcc, v6, v3, vcc
	s_add_i32 s1, s14, s1
	s_mul_i32 s0, s0, s8
	v_add_co_u32_e32 v6, vcc, 4, v2
	s_lshl_b64 s[0:1], s[0:1], 3
	v_addc_co_u32_e32 v7, vcc, 0, v3, vcc
	v_lshlrev_b64 v[2:3], 3, v[4:5]
	s_add_u32 s0, s18, s0
	s_addc_u32 s1, s19, s1
	v_mov_b32_e32 v4, s1
	v_add_co_u32_e32 v2, vcc, s0, v2
	v_addc_co_u32_e32 v3, vcc, v4, v3, vcc
	v_add_co_u32_e32 v8, vcc, 4, v2
	v_lshlrev_b32_e32 v13, 3, v0
	v_addc_co_u32_e32 v9, vcc, 0, v3, vcc
	v_mov_b32_e32 v15, v10
	v_mov_b32_e32 v17, v10
	;; [unrolled: 1-line block ×7, first 2 shown]
.LBB344_2:                              ; =>This Inner Loop Header: Depth=1
	global_load_dwordx2 v[2:3], v[6:7], off offset:-4
	v_add_co_u32_e32 v6, vcc, 64, v6
	v_addc_co_u32_e32 v7, vcc, 0, v7, vcc
	s_add_i32 s9, s9, 8
	s_cmp_ge_i32 s9, s11
	s_waitcnt vmcnt(0)
	v_xor_b32_e32 v3, 0x80000000, v3
	ds_write_b64 v11, v[2:3]
	global_load_dwordx2 v[2:3], v[8:9], off offset:-4
	v_add_co_u32_e32 v8, vcc, 64, v8
	v_addc_co_u32_e32 v9, vcc, 0, v9, vcc
	s_waitcnt vmcnt(0)
	ds_write_b64 v12, v[2:3]
	s_waitcnt lgkmcnt(0)
	s_barrier
	ds_read_b128 v[22:25], v14
	ds_read_b128 v[26:29], v14 offset:16
	ds_read_b128 v[30:33], v14 offset:32
	;; [unrolled: 1-line block ×3, first 2 shown]
	ds_read2_b64 v[34:37], v13 offset1:16
	s_waitcnt lgkmcnt(0)
	v_mul_f32_e32 v38, v23, v35
	v_mul_f32_e32 v39, v22, v35
	v_fma_f32 v38, v22, v34, -v38
	v_fmac_f32_e32 v39, v23, v34
	v_add_f32_e32 v38, v20, v38
	v_add_f32_e32 v39, v21, v39
	v_mul_f32_e32 v20, v23, v37
	v_mul_f32_e32 v21, v22, v37
	v_fma_f32 v20, v22, v36, -v20
	v_fmac_f32_e32 v21, v23, v36
	v_add_f32_e32 v22, v18, v20
	v_add_f32_e32 v23, v19, v21
	ds_read_b128 v[18:21], v14 offset:1024
	s_waitcnt lgkmcnt(0)
	v_mul_f32_e32 v40, v19, v35
	v_mul_f32_e32 v35, v18, v35
	v_fma_f32 v40, v18, v34, -v40
	v_fmac_f32_e32 v35, v19, v34
	v_add_f32_e32 v34, v16, v40
	v_add_f32_e32 v35, v17, v35
	v_mul_f32_e32 v16, v19, v37
	v_mul_f32_e32 v17, v18, v37
	v_fma_f32 v16, v18, v36, -v16
	v_fmac_f32_e32 v17, v19, v36
	v_add_f32_e32 v19, v15, v16
	v_add_f32_e32 v10, v10, v17
	ds_read2_b64 v[15:18], v13 offset0:32 offset1:48
	s_waitcnt lgkmcnt(0)
	v_mul_f32_e32 v36, v25, v16
	v_fma_f32 v36, v24, v15, -v36
	v_add_f32_e32 v36, v38, v36
	v_mul_f32_e32 v38, v25, v18
	v_mul_f32_e32 v37, v24, v16
	v_fma_f32 v38, v24, v17, -v38
	v_mul_f32_e32 v24, v24, v18
	v_fmac_f32_e32 v24, v25, v17
	v_add_f32_e32 v23, v23, v24
	v_mul_f32_e32 v24, v21, v16
	v_mul_f32_e32 v16, v20, v16
	v_fmac_f32_e32 v16, v21, v15
	v_fmac_f32_e32 v37, v25, v15
	v_fma_f32 v24, v20, v15, -v24
	v_add_f32_e32 v25, v35, v16
	v_mul_f32_e32 v15, v21, v18
	v_mul_f32_e32 v16, v20, v18
	v_fma_f32 v15, v20, v17, -v15
	v_fmac_f32_e32 v16, v21, v17
	v_add_f32_e32 v24, v34, v24
	v_add_f32_e32 v34, v19, v15
	;; [unrolled: 1-line block ×3, first 2 shown]
	ds_read2_b64 v[15:18], v13 offset0:64 offset1:80
	v_add_f32_e32 v37, v39, v37
	v_add_f32_e32 v22, v22, v38
	s_waitcnt lgkmcnt(0)
	v_mul_f32_e32 v19, v27, v16
	v_mul_f32_e32 v20, v26, v16
	v_fma_f32 v19, v26, v15, -v19
	v_fmac_f32_e32 v20, v27, v15
	v_add_f32_e32 v35, v36, v19
	v_add_f32_e32 v36, v37, v20
	v_mul_f32_e32 v19, v27, v18
	v_mul_f32_e32 v20, v26, v18
	v_fma_f32 v19, v26, v17, -v19
	v_fmac_f32_e32 v20, v27, v17
	v_add_f32_e32 v26, v22, v19
	v_add_f32_e32 v23, v23, v20
	ds_read_b128 v[19:22], v14 offset:1040
	s_waitcnt lgkmcnt(0)
	v_mul_f32_e32 v27, v20, v16
	v_mul_f32_e32 v16, v19, v16
	v_fmac_f32_e32 v16, v20, v15
	v_fma_f32 v27, v19, v15, -v27
	v_add_f32_e32 v25, v25, v16
	v_mul_f32_e32 v15, v20, v18
	v_mul_f32_e32 v16, v19, v18
	v_fma_f32 v15, v19, v17, -v15
	v_fmac_f32_e32 v16, v20, v17
	v_add_f32_e32 v19, v34, v15
	v_add_f32_e32 v10, v10, v16
	ds_read2_b64 v[15:18], v13 offset0:96 offset1:112
	v_add_f32_e32 v24, v24, v27
	s_waitcnt lgkmcnt(0)
	v_mul_f32_e32 v20, v29, v16
	v_mul_f32_e32 v34, v29, v18
	v_fma_f32 v20, v28, v15, -v20
	v_mul_f32_e32 v27, v28, v16
	v_fma_f32 v34, v28, v17, -v34
	v_mul_f32_e32 v28, v28, v18
	v_fmac_f32_e32 v28, v29, v17
	v_add_f32_e32 v23, v23, v28
	v_mul_f32_e32 v28, v22, v16
	v_mul_f32_e32 v16, v21, v16
	v_fmac_f32_e32 v16, v22, v15
	v_fmac_f32_e32 v27, v29, v15
	v_fma_f32 v28, v21, v15, -v28
	v_add_f32_e32 v25, v25, v16
	v_mul_f32_e32 v15, v22, v18
	v_mul_f32_e32 v16, v21, v18
	v_fma_f32 v15, v21, v17, -v15
	v_fmac_f32_e32 v16, v22, v17
	v_add_f32_e32 v24, v24, v28
	v_add_f32_e32 v28, v19, v15
	;; [unrolled: 1-line block ×3, first 2 shown]
	ds_read2_b64 v[15:18], v13 offset0:128 offset1:144
	v_add_f32_e32 v20, v35, v20
	v_add_f32_e32 v27, v36, v27
	;; [unrolled: 1-line block ×3, first 2 shown]
	s_waitcnt lgkmcnt(0)
	v_mul_f32_e32 v19, v31, v16
	v_fma_f32 v19, v30, v15, -v19
	v_mul_f32_e32 v21, v30, v16
	v_add_f32_e32 v29, v20, v19
	v_mul_f32_e32 v19, v31, v18
	v_mul_f32_e32 v20, v30, v18
	v_fmac_f32_e32 v21, v31, v15
	v_fma_f32 v19, v30, v17, -v19
	v_fmac_f32_e32 v20, v31, v17
	v_add_f32_e32 v27, v27, v21
	v_add_f32_e32 v26, v26, v19
	;; [unrolled: 1-line block ×3, first 2 shown]
	ds_read_b128 v[19:22], v14 offset:1056
	s_waitcnt lgkmcnt(0)
	v_mul_f32_e32 v30, v20, v16
	v_mul_f32_e32 v16, v19, v16
	v_fmac_f32_e32 v16, v20, v15
	v_fma_f32 v30, v19, v15, -v30
	v_add_f32_e32 v25, v25, v16
	v_mul_f32_e32 v15, v20, v18
	v_mul_f32_e32 v16, v19, v18
	v_fma_f32 v15, v19, v17, -v15
	v_fmac_f32_e32 v16, v20, v17
	v_add_f32_e32 v19, v28, v15
	v_add_f32_e32 v10, v10, v16
	ds_read2_b64 v[15:18], v13 offset0:160 offset1:176
	v_add_f32_e32 v24, v24, v30
	s_waitcnt lgkmcnt(0)
	v_mul_f32_e32 v28, v32, v16
	v_fmac_f32_e32 v28, v33, v15
	v_add_f32_e32 v27, v27, v28
	v_mul_f32_e32 v28, v33, v18
	v_fma_f32 v28, v32, v17, -v28
	v_mul_f32_e32 v20, v33, v16
	v_add_f32_e32 v26, v26, v28
	v_mul_f32_e32 v28, v22, v16
	v_mul_f32_e32 v16, v21, v16
	v_fmac_f32_e32 v16, v22, v15
	v_fma_f32 v20, v32, v15, -v20
	v_fma_f32 v28, v21, v15, -v28
	v_add_f32_e32 v25, v25, v16
	v_mul_f32_e32 v15, v22, v18
	v_mul_f32_e32 v16, v21, v18
	v_add_f32_e32 v20, v29, v20
	v_mul_f32_e32 v29, v32, v18
	v_fma_f32 v15, v21, v17, -v15
	v_fmac_f32_e32 v16, v22, v17
	v_fmac_f32_e32 v29, v33, v17
	v_add_f32_e32 v19, v19, v15
	v_add_f32_e32 v10, v10, v16
	ds_read2_b64 v[15:18], v13 offset0:192 offset1:208
	v_add_f32_e32 v24, v24, v28
	v_add_f32_e32 v23, v23, v29
	s_waitcnt lgkmcnt(0)
	v_mul_f32_e32 v21, v3, v16
	v_fma_f32 v21, v2, v15, -v21
	v_add_f32_e32 v28, v20, v21
	v_mul_f32_e32 v20, v3, v18
	v_mul_f32_e32 v22, v2, v16
	v_fma_f32 v20, v2, v17, -v20
	v_mul_f32_e32 v2, v2, v18
	v_fmac_f32_e32 v22, v3, v15
	v_fmac_f32_e32 v2, v3, v17
	v_add_f32_e32 v29, v27, v22
	v_add_f32_e32 v3, v26, v20
	v_add_f32_e32 v2, v23, v2
	ds_read_b128 v[20:23], v14 offset:1072
	s_waitcnt lgkmcnt(0)
	v_mul_f32_e32 v26, v21, v16
	v_mul_f32_e32 v16, v20, v16
	v_fma_f32 v26, v20, v15, -v26
	v_fmac_f32_e32 v16, v21, v15
	v_add_f32_e32 v15, v24, v26
	v_add_f32_e32 v30, v25, v16
	ds_read2_b64 v[24:27], v13 offset0:224 offset1:240
	v_mul_f32_e32 v16, v21, v18
	v_fma_f32 v16, v20, v17, -v16
	v_add_f32_e32 v31, v19, v16
	v_mul_f32_e32 v18, v20, v18
	s_waitcnt lgkmcnt(0)
	v_mul_f32_e32 v16, v5, v25
	v_fma_f32 v16, v4, v24, -v16
	v_add_f32_e32 v20, v28, v16
	v_mul_f32_e32 v16, v5, v27
	v_fmac_f32_e32 v18, v21, v17
	v_mul_f32_e32 v17, v4, v25
	v_fma_f32 v16, v4, v26, -v16
	v_mul_f32_e32 v4, v4, v27
	v_fmac_f32_e32 v4, v5, v26
	v_add_f32_e32 v10, v10, v18
	v_add_f32_e32 v18, v3, v16
	;; [unrolled: 1-line block ×3, first 2 shown]
	v_mul_f32_e32 v2, v23, v25
	v_mul_f32_e32 v3, v22, v25
	v_fmac_f32_e32 v17, v5, v24
	v_fma_f32 v2, v22, v24, -v2
	v_fmac_f32_e32 v3, v23, v24
	v_add_f32_e32 v21, v29, v17
	v_add_f32_e32 v16, v15, v2
	;; [unrolled: 1-line block ×3, first 2 shown]
	v_mul_f32_e32 v2, v23, v27
	v_mul_f32_e32 v3, v22, v27
	v_fma_f32 v2, v22, v26, -v2
	v_fmac_f32_e32 v3, v23, v26
	v_add_f32_e32 v15, v31, v2
	v_add_f32_e32 v10, v10, v3
	s_barrier
	s_cbranch_scc0 .LBB344_2
	s_branch .LBB344_4
.LBB344_3:
	v_mov_b32_e32 v20, 0
	v_mov_b32_e32 v21, 0
	;; [unrolled: 1-line block ×8, first 2 shown]
.LBB344_4:
	s_load_dwordx2 s[0:1], s[4:5], 0x58
	s_load_dword s9, s[4:5], 0x50
	v_add_u32_e32 v5, s7, v1
	v_add_u32_e32 v0, s6, v0
	v_cmp_gt_i32_e32 vcc, s10, v5
	s_waitcnt lgkmcnt(0)
	s_mul_i32 s1, s1, s8
	s_mul_hi_u32 s4, s0, s8
	s_add_i32 s1, s4, s1
	v_mad_i64_i32 v[1:2], s[4:5], v5, s9, 0
	s_mul_i32 s0, s0, s8
	s_lshl_b64 s[0:1], s[0:1], 3
	s_add_u32 s7, s20, s0
	v_lshlrev_b64 v[1:2], 3, v[1:2]
	s_addc_u32 s8, s21, s1
	v_mov_b32_e32 v3, s8
	v_add_co_u32_e64 v4, s[0:1], s7, v1
	v_addc_co_u32_e64 v6, s[0:1], v3, v2, s[0:1]
	v_cmp_le_i32_e64 s[0:1], v0, v5
	s_and_b64 s[0:1], vcc, s[0:1]
	s_and_saveexec_b64 s[4:5], s[0:1]
	s_cbranch_execz .LBB344_7
; %bb.5:
	v_ashrrev_i32_e32 v1, 31, v0
	v_lshlrev_b64 v[1:2], 3, v[0:1]
	v_mul_f32_e32 v3, s13, v21
	v_add_co_u32_e64 v1, s[0:1], v4, v1
	v_addc_co_u32_e64 v2, s[0:1], v6, v2, s[0:1]
	global_load_dwordx2 v[7:8], v[1:2], off
	v_mul_f32_e32 v9, s12, v21
	v_fma_f32 v3, v20, s12, -v3
	v_fmac_f32_e32 v9, s13, v20
	v_cmp_eq_u32_e64 s[0:1], v5, v0
	s_waitcnt vmcnt(0)
	v_mul_f32_e32 v11, s3, v8
	v_mul_f32_e32 v8, s2, v8
	v_fma_f32 v11, v7, s2, -v11
	v_fmac_f32_e32 v8, s3, v7
	v_add_f32_e32 v7, v3, v11
	v_add_f32_e32 v8, v9, v8
	global_store_dwordx2 v[1:2], v[7:8], off
	s_and_b64 exec, exec, s[0:1]
	s_cbranch_execz .LBB344_7
; %bb.6:
	v_mov_b32_e32 v3, 0
	global_store_dword v[1:2], v3, off offset:4
.LBB344_7:
	s_or_b64 exec, exec, s[4:5]
	v_add_u32_e32 v2, 16, v0
	v_cmp_le_i32_e64 s[0:1], v2, v5
	s_and_b64 s[4:5], vcc, s[0:1]
	s_and_saveexec_b64 s[0:1], s[4:5]
	s_cbranch_execz .LBB344_10
; %bb.8:
	v_ashrrev_i32_e32 v3, 31, v2
	v_lshlrev_b64 v[7:8], 3, v[2:3]
	v_mul_f32_e32 v1, s13, v19
	v_add_co_u32_e32 v3, vcc, v4, v7
	v_addc_co_u32_e32 v4, vcc, v6, v8, vcc
	global_load_dwordx2 v[6:7], v[3:4], off
	v_mul_f32_e32 v8, s12, v19
	v_fma_f32 v1, v18, s12, -v1
	v_fmac_f32_e32 v8, s13, v18
	v_cmp_eq_u32_e32 vcc, v5, v2
	s_waitcnt vmcnt(0)
	v_mul_f32_e32 v9, s3, v7
	v_mul_f32_e32 v7, s2, v7
	v_fma_f32 v9, v6, s2, -v9
	v_fmac_f32_e32 v7, s3, v6
	v_add_f32_e32 v6, v1, v9
	v_add_f32_e32 v7, v8, v7
	global_store_dwordx2 v[3:4], v[6:7], off
	s_and_b64 exec, exec, vcc
	s_cbranch_execz .LBB344_10
; %bb.9:
	v_mov_b32_e32 v1, 0
	global_store_dword v[3:4], v1, off offset:4
.LBB344_10:
	s_or_b64 exec, exec, s[0:1]
	v_add_u32_e32 v8, 16, v5
	v_mad_i64_i32 v[3:4], s[0:1], v8, s9, 0
	v_mov_b32_e32 v1, s8
	v_cmp_gt_i32_e32 vcc, s10, v8
	v_lshlrev_b64 v[3:4], 3, v[3:4]
	v_add_co_u32_e64 v6, s[0:1], s7, v3
	v_addc_co_u32_e64 v7, s[0:1], v1, v4, s[0:1]
	v_cmp_le_i32_e64 s[0:1], v0, v8
	s_and_b64 s[0:1], vcc, s[0:1]
	s_and_saveexec_b64 s[4:5], s[0:1]
	s_cbranch_execz .LBB344_13
; %bb.11:
	v_ashrrev_i32_e32 v1, 31, v0
	v_lshlrev_b64 v[3:4], 3, v[0:1]
	v_mul_f32_e32 v1, s13, v17
	v_add_co_u32_e64 v3, s[0:1], v6, v3
	v_addc_co_u32_e64 v4, s[0:1], v7, v4, s[0:1]
	global_load_dwordx2 v[11:12], v[3:4], off
	v_mul_f32_e32 v9, s12, v17
	v_fma_f32 v1, v16, s12, -v1
	v_fmac_f32_e32 v9, s13, v16
	v_cmp_eq_u32_e64 s[0:1], v8, v0
	s_waitcnt vmcnt(0)
	v_mul_f32_e32 v13, s3, v12
	v_mul_f32_e32 v12, s2, v12
	v_fma_f32 v13, v11, s2, -v13
	v_fmac_f32_e32 v12, s3, v11
	v_add_f32_e32 v11, v1, v13
	v_add_f32_e32 v12, v9, v12
	global_store_dwordx2 v[3:4], v[11:12], off
	s_and_b64 exec, exec, s[0:1]
	s_cbranch_execz .LBB344_13
; %bb.12:
	v_mov_b32_e32 v1, 0
	global_store_dword v[3:4], v1, off offset:4
.LBB344_13:
	s_or_b64 exec, exec, s[4:5]
	v_cmp_le_i32_e64 s[0:1], v2, v8
	s_and_b64 s[0:1], vcc, s[0:1]
	s_and_saveexec_b64 s[4:5], s[0:1]
	s_cbranch_execz .LBB344_16
; %bb.14:
	v_ashrrev_i32_e32 v3, 31, v2
	v_lshlrev_b64 v[1:2], 3, v[2:3]
	v_add_co_u32_e32 v1, vcc, v6, v1
	v_addc_co_u32_e32 v2, vcc, v7, v2, vcc
	global_load_dwordx2 v[3:4], v[1:2], off
	v_mul_f32_e32 v6, s13, v10
	v_mul_f32_e32 v7, s12, v10
	v_fma_f32 v6, v15, s12, -v6
	v_fmac_f32_e32 v7, s13, v15
	v_cmp_eq_u32_e32 vcc, v5, v0
	s_waitcnt vmcnt(0)
	v_mul_f32_e32 v8, s3, v4
	v_mul_f32_e32 v4, s2, v4
	v_fma_f32 v8, v3, s2, -v8
	v_fmac_f32_e32 v4, s3, v3
	v_add_f32_e32 v3, v6, v8
	v_add_f32_e32 v4, v7, v4
	global_store_dwordx2 v[1:2], v[3:4], off
	s_and_b64 exec, exec, vcc
	s_cbranch_execz .LBB344_16
; %bb.15:
	v_mov_b32_e32 v0, 0
	global_store_dword v[1:2], v0, off offset:4
.LBB344_16:
	s_endpgm
	.section	.rodata,"a",@progbits
	.p2align	6, 0x0
	.amdhsa_kernel _ZL37rocblas_syrkx_herkx_restricted_kernelIi19rocblas_complex_numIfELi16ELi32ELi8ELb0ELb1ELc67ELc85EKS1_S1_EviT_T0_PT8_S3_lS6_S3_lS4_PT9_S3_li
		.amdhsa_group_segment_fixed_size 4096
		.amdhsa_private_segment_fixed_size 0
		.amdhsa_kernarg_size 100
		.amdhsa_user_sgpr_count 6
		.amdhsa_user_sgpr_private_segment_buffer 1
		.amdhsa_user_sgpr_dispatch_ptr 0
		.amdhsa_user_sgpr_queue_ptr 0
		.amdhsa_user_sgpr_kernarg_segment_ptr 1
		.amdhsa_user_sgpr_dispatch_id 0
		.amdhsa_user_sgpr_flat_scratch_init 0
		.amdhsa_user_sgpr_private_segment_size 0
		.amdhsa_uses_dynamic_stack 0
		.amdhsa_system_sgpr_private_segment_wavefront_offset 0
		.amdhsa_system_sgpr_workgroup_id_x 1
		.amdhsa_system_sgpr_workgroup_id_y 1
		.amdhsa_system_sgpr_workgroup_id_z 1
		.amdhsa_system_sgpr_workgroup_info 0
		.amdhsa_system_vgpr_workitem_id 1
		.amdhsa_next_free_vgpr 41
		.amdhsa_next_free_sgpr 26
		.amdhsa_reserve_vcc 1
		.amdhsa_reserve_flat_scratch 0
		.amdhsa_float_round_mode_32 0
		.amdhsa_float_round_mode_16_64 0
		.amdhsa_float_denorm_mode_32 3
		.amdhsa_float_denorm_mode_16_64 3
		.amdhsa_dx10_clamp 1
		.amdhsa_ieee_mode 1
		.amdhsa_fp16_overflow 0
		.amdhsa_exception_fp_ieee_invalid_op 0
		.amdhsa_exception_fp_denorm_src 0
		.amdhsa_exception_fp_ieee_div_zero 0
		.amdhsa_exception_fp_ieee_overflow 0
		.amdhsa_exception_fp_ieee_underflow 0
		.amdhsa_exception_fp_ieee_inexact 0
		.amdhsa_exception_int_div_zero 0
	.end_amdhsa_kernel
	.section	.text._ZL37rocblas_syrkx_herkx_restricted_kernelIi19rocblas_complex_numIfELi16ELi32ELi8ELb0ELb1ELc67ELc85EKS1_S1_EviT_T0_PT8_S3_lS6_S3_lS4_PT9_S3_li,"axG",@progbits,_ZL37rocblas_syrkx_herkx_restricted_kernelIi19rocblas_complex_numIfELi16ELi32ELi8ELb0ELb1ELc67ELc85EKS1_S1_EviT_T0_PT8_S3_lS6_S3_lS4_PT9_S3_li,comdat
.Lfunc_end344:
	.size	_ZL37rocblas_syrkx_herkx_restricted_kernelIi19rocblas_complex_numIfELi16ELi32ELi8ELb0ELb1ELc67ELc85EKS1_S1_EviT_T0_PT8_S3_lS6_S3_lS4_PT9_S3_li, .Lfunc_end344-_ZL37rocblas_syrkx_herkx_restricted_kernelIi19rocblas_complex_numIfELi16ELi32ELi8ELb0ELb1ELc67ELc85EKS1_S1_EviT_T0_PT8_S3_lS6_S3_lS4_PT9_S3_li
                                        ; -- End function
	.set _ZL37rocblas_syrkx_herkx_restricted_kernelIi19rocblas_complex_numIfELi16ELi32ELi8ELb0ELb1ELc67ELc85EKS1_S1_EviT_T0_PT8_S3_lS6_S3_lS4_PT9_S3_li.num_vgpr, 41
	.set _ZL37rocblas_syrkx_herkx_restricted_kernelIi19rocblas_complex_numIfELi16ELi32ELi8ELb0ELb1ELc67ELc85EKS1_S1_EviT_T0_PT8_S3_lS6_S3_lS4_PT9_S3_li.num_agpr, 0
	.set _ZL37rocblas_syrkx_herkx_restricted_kernelIi19rocblas_complex_numIfELi16ELi32ELi8ELb0ELb1ELc67ELc85EKS1_S1_EviT_T0_PT8_S3_lS6_S3_lS4_PT9_S3_li.numbered_sgpr, 26
	.set _ZL37rocblas_syrkx_herkx_restricted_kernelIi19rocblas_complex_numIfELi16ELi32ELi8ELb0ELb1ELc67ELc85EKS1_S1_EviT_T0_PT8_S3_lS6_S3_lS4_PT9_S3_li.num_named_barrier, 0
	.set _ZL37rocblas_syrkx_herkx_restricted_kernelIi19rocblas_complex_numIfELi16ELi32ELi8ELb0ELb1ELc67ELc85EKS1_S1_EviT_T0_PT8_S3_lS6_S3_lS4_PT9_S3_li.private_seg_size, 0
	.set _ZL37rocblas_syrkx_herkx_restricted_kernelIi19rocblas_complex_numIfELi16ELi32ELi8ELb0ELb1ELc67ELc85EKS1_S1_EviT_T0_PT8_S3_lS6_S3_lS4_PT9_S3_li.uses_vcc, 1
	.set _ZL37rocblas_syrkx_herkx_restricted_kernelIi19rocblas_complex_numIfELi16ELi32ELi8ELb0ELb1ELc67ELc85EKS1_S1_EviT_T0_PT8_S3_lS6_S3_lS4_PT9_S3_li.uses_flat_scratch, 0
	.set _ZL37rocblas_syrkx_herkx_restricted_kernelIi19rocblas_complex_numIfELi16ELi32ELi8ELb0ELb1ELc67ELc85EKS1_S1_EviT_T0_PT8_S3_lS6_S3_lS4_PT9_S3_li.has_dyn_sized_stack, 0
	.set _ZL37rocblas_syrkx_herkx_restricted_kernelIi19rocblas_complex_numIfELi16ELi32ELi8ELb0ELb1ELc67ELc85EKS1_S1_EviT_T0_PT8_S3_lS6_S3_lS4_PT9_S3_li.has_recursion, 0
	.set _ZL37rocblas_syrkx_herkx_restricted_kernelIi19rocblas_complex_numIfELi16ELi32ELi8ELb0ELb1ELc67ELc85EKS1_S1_EviT_T0_PT8_S3_lS6_S3_lS4_PT9_S3_li.has_indirect_call, 0
	.section	.AMDGPU.csdata,"",@progbits
; Kernel info:
; codeLenInByte = 2240
; TotalNumSgprs: 30
; NumVgprs: 41
; ScratchSize: 0
; MemoryBound: 0
; FloatMode: 240
; IeeeMode: 1
; LDSByteSize: 4096 bytes/workgroup (compile time only)
; SGPRBlocks: 3
; VGPRBlocks: 10
; NumSGPRsForWavesPerEU: 30
; NumVGPRsForWavesPerEU: 41
; Occupancy: 5
; WaveLimiterHint : 0
; COMPUTE_PGM_RSRC2:SCRATCH_EN: 0
; COMPUTE_PGM_RSRC2:USER_SGPR: 6
; COMPUTE_PGM_RSRC2:TRAP_HANDLER: 0
; COMPUTE_PGM_RSRC2:TGID_X_EN: 1
; COMPUTE_PGM_RSRC2:TGID_Y_EN: 1
; COMPUTE_PGM_RSRC2:TGID_Z_EN: 1
; COMPUTE_PGM_RSRC2:TIDIG_COMP_CNT: 1
	.section	.text._ZL37rocblas_syrkx_herkx_restricted_kernelIi19rocblas_complex_numIfELi16ELi32ELi8ELb0ELb1ELc78ELc85EKS1_S1_EviT_T0_PT8_S3_lS6_S3_lS4_PT9_S3_li,"axG",@progbits,_ZL37rocblas_syrkx_herkx_restricted_kernelIi19rocblas_complex_numIfELi16ELi32ELi8ELb0ELb1ELc78ELc85EKS1_S1_EviT_T0_PT8_S3_lS6_S3_lS4_PT9_S3_li,comdat
	.globl	_ZL37rocblas_syrkx_herkx_restricted_kernelIi19rocblas_complex_numIfELi16ELi32ELi8ELb0ELb1ELc78ELc85EKS1_S1_EviT_T0_PT8_S3_lS6_S3_lS4_PT9_S3_li ; -- Begin function _ZL37rocblas_syrkx_herkx_restricted_kernelIi19rocblas_complex_numIfELi16ELi32ELi8ELb0ELb1ELc78ELc85EKS1_S1_EviT_T0_PT8_S3_lS6_S3_lS4_PT9_S3_li
	.p2align	8
	.type	_ZL37rocblas_syrkx_herkx_restricted_kernelIi19rocblas_complex_numIfELi16ELi32ELi8ELb0ELb1ELc78ELc85EKS1_S1_EviT_T0_PT8_S3_lS6_S3_lS4_PT9_S3_li,@function
_ZL37rocblas_syrkx_herkx_restricted_kernelIi19rocblas_complex_numIfELi16ELi32ELi8ELb0ELb1ELc78ELc85EKS1_S1_EviT_T0_PT8_S3_lS6_S3_lS4_PT9_S3_li: ; @_ZL37rocblas_syrkx_herkx_restricted_kernelIi19rocblas_complex_numIfELi16ELi32ELi8ELb0ELb1ELc78ELc85EKS1_S1_EviT_T0_PT8_S3_lS6_S3_lS4_PT9_S3_li
; %bb.0:
	s_load_dwordx2 s[10:11], s[4:5], 0x0
	s_load_dwordx4 s[12:15], s[4:5], 0x8
	s_load_dwordx4 s[0:3], s[4:5], 0x38
	s_load_dwordx2 s[20:21], s[4:5], 0x48
	s_lshl_b32 s9, s6, 5
	s_lshl_b32 s22, s7, 5
	s_waitcnt lgkmcnt(0)
	s_cmp_lt_i32 s11, 1
	s_mov_b32 s23, 0
	s_cbranch_scc1 .LBB345_3
; %bb.1:
	s_load_dword s6, s[4:5], 0x18
	s_load_dword s24, s[4:5], 0x30
	s_load_dwordx4 s[16:19], s[4:5], 0x20
	v_lshl_add_u32 v2, v1, 4, v0
	v_lshrrev_b32_e32 v4, 3, v2
	v_lshrrev_b32_e32 v6, 5, v2
	v_and_b32_e32 v7, 31, v2
	v_add_u32_e32 v2, s22, v4
	v_and_b32_e32 v5, 7, v0
	v_ashrrev_i32_e32 v3, 31, v2
	s_waitcnt lgkmcnt(0)
	v_mad_i64_i32 v[2:3], s[26:27], s24, v5, v[2:3]
	v_lshlrev_b32_e32 v5, 3, v5
	v_lshl_or_b32 v4, v4, 6, v5
	v_add_u32_e32 v11, 0x800, v4
	v_mov_b32_e32 v4, 0x800
	v_lshl_add_u32 v13, v1, 6, v4
	v_add_u32_e32 v4, s9, v7
	v_ashrrev_i32_e32 v5, 31, v4
	v_mad_i64_i32 v[4:5], s[26:27], s6, v6, v[4:5]
	s_mul_i32 s17, s17, s8
	s_mul_hi_u32 s28, s16, s8
	s_add_i32 s17, s28, s17
	s_mul_i32 s16, s16, s8
	s_ashr_i32 s7, s6, 31
	s_ashr_i32 s25, s24, 31
	s_lshl_b64 s[16:17], s[16:17], 3
	v_lshlrev_b64 v[4:5], 3, v[4:5]
	s_add_u32 s14, s14, s16
	v_lshlrev_b32_e32 v8, 3, v7
	s_addc_u32 s15, s15, s17
	v_add_co_u32_e32 v4, vcc, s14, v4
	s_mul_i32 s1, s1, s8
	s_mul_hi_u32 s14, s0, s8
	v_lshl_or_b32 v10, v6, 8, v8
	v_mov_b32_e32 v6, s15
	s_add_i32 s1, s14, s1
	s_mul_i32 s0, s0, s8
	v_addc_co_u32_e32 v5, vcc, v6, v5, vcc
	s_lshl_b64 s[6:7], s[6:7], 6
	s_lshl_b64 s[0:1], s[0:1], 3
	v_add_co_u32_e32 v6, vcc, 4, v4
	v_lshlrev_b64 v[2:3], 3, v[2:3]
	s_add_u32 s0, s18, s0
	v_addc_co_u32_e32 v7, vcc, 0, v5, vcc
	s_addc_u32 s1, s19, s1
	v_mov_b32_e32 v4, s1
	v_add_co_u32_e32 v2, vcc, s0, v2
	v_addc_co_u32_e32 v3, vcc, v4, v3, vcc
	v_add_co_u32_e32 v8, vcc, 4, v2
	s_lshl_b64 s[0:1], s[24:25], 6
	v_lshlrev_b32_e32 v12, 3, v0
	v_addc_co_u32_e32 v9, vcc, 0, v3, vcc
	v_mov_b32_e32 v16, 0
	v_mov_b32_e32 v14, s7
	;; [unrolled: 1-line block ×10, first 2 shown]
.LBB345_2:                              ; =>This Inner Loop Header: Depth=1
	global_load_dwordx2 v[2:3], v[6:7], off offset:-4
	v_add_co_u32_e32 v6, vcc, s6, v6
	v_addc_co_u32_e32 v7, vcc, v7, v14, vcc
	s_add_i32 s23, s23, 8
	s_cmp_ge_i32 s23, s11
	s_waitcnt vmcnt(0)
	ds_write_b64 v10, v[2:3]
	global_load_dwordx2 v[2:3], v[8:9], off offset:-4
	v_add_co_u32_e32 v8, vcc, s0, v8
	v_addc_co_u32_e32 v9, vcc, v9, v15, vcc
	s_waitcnt vmcnt(0)
	v_xor_b32_e32 v3, 0x80000000, v3
	ds_write_b64 v11, v[2:3]
	s_waitcnt lgkmcnt(0)
	s_barrier
	ds_read_b128 v[24:27], v13
	ds_read_b128 v[28:31], v13 offset:16
	ds_read_b128 v[32:35], v13 offset:32
	ds_read_b128 v[2:5], v13 offset:48
	ds_read2_b64 v[36:39], v12 offset1:16
	s_waitcnt lgkmcnt(0)
	v_mul_f32_e32 v40, v25, v37
	v_mul_f32_e32 v41, v24, v37
	v_fma_f32 v40, v24, v36, -v40
	v_fmac_f32_e32 v41, v25, v36
	v_add_f32_e32 v40, v22, v40
	v_add_f32_e32 v41, v23, v41
	v_mul_f32_e32 v22, v25, v39
	v_mul_f32_e32 v23, v24, v39
	v_fma_f32 v22, v24, v38, -v22
	v_fmac_f32_e32 v23, v25, v38
	v_add_f32_e32 v24, v20, v22
	v_add_f32_e32 v25, v21, v23
	ds_read_b128 v[20:23], v13 offset:1024
	s_waitcnt lgkmcnt(0)
	v_mul_f32_e32 v42, v21, v37
	v_mul_f32_e32 v37, v20, v37
	v_fma_f32 v42, v20, v36, -v42
	v_fmac_f32_e32 v37, v21, v36
	v_add_f32_e32 v36, v18, v42
	v_add_f32_e32 v37, v19, v37
	v_mul_f32_e32 v18, v21, v39
	v_mul_f32_e32 v19, v20, v39
	v_fma_f32 v18, v20, v38, -v18
	v_fmac_f32_e32 v19, v21, v38
	v_add_f32_e32 v20, v17, v18
	v_add_f32_e32 v21, v16, v19
	ds_read2_b64 v[16:19], v12 offset0:32 offset1:48
	s_waitcnt lgkmcnt(0)
	v_mul_f32_e32 v38, v27, v17
	v_fma_f32 v38, v26, v16, -v38
	v_add_f32_e32 v38, v40, v38
	v_mul_f32_e32 v40, v27, v19
	v_mul_f32_e32 v39, v26, v17
	v_fma_f32 v40, v26, v18, -v40
	v_mul_f32_e32 v26, v26, v19
	v_fmac_f32_e32 v26, v27, v18
	v_add_f32_e32 v25, v25, v26
	v_mul_f32_e32 v26, v23, v17
	v_mul_f32_e32 v17, v22, v17
	v_fmac_f32_e32 v17, v23, v16
	v_fmac_f32_e32 v39, v27, v16
	v_fma_f32 v26, v22, v16, -v26
	v_add_f32_e32 v27, v37, v17
	v_mul_f32_e32 v16, v23, v19
	v_mul_f32_e32 v17, v22, v19
	v_fma_f32 v16, v22, v18, -v16
	v_fmac_f32_e32 v17, v23, v18
	v_add_f32_e32 v26, v36, v26
	v_add_f32_e32 v36, v20, v16
	;; [unrolled: 1-line block ×3, first 2 shown]
	ds_read2_b64 v[16:19], v12 offset0:64 offset1:80
	v_add_f32_e32 v39, v41, v39
	v_add_f32_e32 v24, v24, v40
	s_waitcnt lgkmcnt(0)
	v_mul_f32_e32 v20, v29, v17
	v_mul_f32_e32 v21, v28, v17
	v_fma_f32 v20, v28, v16, -v20
	v_fmac_f32_e32 v21, v29, v16
	v_add_f32_e32 v38, v38, v20
	v_add_f32_e32 v39, v39, v21
	v_mul_f32_e32 v20, v29, v19
	v_mul_f32_e32 v21, v28, v19
	v_fma_f32 v20, v28, v18, -v20
	v_fmac_f32_e32 v21, v29, v18
	v_add_f32_e32 v24, v24, v20
	v_add_f32_e32 v25, v25, v21
	ds_read_b128 v[20:23], v13 offset:1040
	s_waitcnt lgkmcnt(0)
	v_mul_f32_e32 v28, v21, v17
	v_mul_f32_e32 v17, v20, v17
	v_fmac_f32_e32 v17, v21, v16
	v_fma_f32 v28, v20, v16, -v28
	v_add_f32_e32 v27, v27, v17
	v_mul_f32_e32 v16, v21, v19
	v_mul_f32_e32 v17, v20, v19
	v_fma_f32 v16, v20, v18, -v16
	v_fmac_f32_e32 v17, v21, v18
	v_add_f32_e32 v20, v36, v16
	v_add_f32_e32 v21, v37, v17
	ds_read2_b64 v[16:19], v12 offset0:96 offset1:112
	v_add_f32_e32 v26, v26, v28
	s_waitcnt lgkmcnt(0)
	v_mul_f32_e32 v28, v31, v17
	v_mul_f32_e32 v36, v31, v19
	v_fma_f32 v28, v30, v16, -v28
	v_mul_f32_e32 v29, v30, v17
	v_fma_f32 v36, v30, v18, -v36
	v_mul_f32_e32 v30, v30, v19
	v_fmac_f32_e32 v30, v31, v18
	v_add_f32_e32 v25, v25, v30
	v_mul_f32_e32 v30, v23, v17
	v_mul_f32_e32 v17, v22, v17
	v_fmac_f32_e32 v17, v23, v16
	v_fmac_f32_e32 v29, v31, v16
	v_fma_f32 v30, v22, v16, -v30
	v_add_f32_e32 v27, v27, v17
	v_mul_f32_e32 v16, v23, v19
	v_mul_f32_e32 v17, v22, v19
	v_fma_f32 v16, v22, v18, -v16
	v_fmac_f32_e32 v17, v23, v18
	v_add_f32_e32 v26, v26, v30
	v_add_f32_e32 v30, v20, v16
	;; [unrolled: 1-line block ×3, first 2 shown]
	ds_read2_b64 v[16:19], v12 offset0:128 offset1:144
	v_add_f32_e32 v28, v38, v28
	v_add_f32_e32 v29, v39, v29
	;; [unrolled: 1-line block ×3, first 2 shown]
	s_waitcnt lgkmcnt(0)
	v_mul_f32_e32 v20, v33, v17
	v_mul_f32_e32 v21, v32, v17
	v_fma_f32 v20, v32, v16, -v20
	v_fmac_f32_e32 v21, v33, v16
	v_add_f32_e32 v28, v28, v20
	v_add_f32_e32 v29, v29, v21
	v_mul_f32_e32 v20, v33, v19
	v_mul_f32_e32 v21, v32, v19
	v_fma_f32 v20, v32, v18, -v20
	v_fmac_f32_e32 v21, v33, v18
	v_add_f32_e32 v24, v24, v20
	v_add_f32_e32 v25, v25, v21
	ds_read_b128 v[20:23], v13 offset:1056
	s_waitcnt lgkmcnt(0)
	v_mul_f32_e32 v32, v21, v17
	v_mul_f32_e32 v17, v20, v17
	v_fmac_f32_e32 v17, v21, v16
	v_fma_f32 v32, v20, v16, -v32
	v_add_f32_e32 v27, v27, v17
	v_mul_f32_e32 v16, v21, v19
	v_mul_f32_e32 v17, v20, v19
	v_fma_f32 v16, v20, v18, -v16
	v_fmac_f32_e32 v17, v21, v18
	v_add_f32_e32 v20, v30, v16
	v_add_f32_e32 v21, v31, v17
	ds_read2_b64 v[16:19], v12 offset0:160 offset1:176
	v_add_f32_e32 v26, v26, v32
	s_waitcnt lgkmcnt(0)
	v_mul_f32_e32 v30, v35, v17
	v_fma_f32 v30, v34, v16, -v30
	v_add_f32_e32 v28, v28, v30
	v_mul_f32_e32 v30, v35, v19
	v_fma_f32 v30, v34, v18, -v30
	v_mul_f32_e32 v31, v34, v17
	v_add_f32_e32 v24, v24, v30
	v_mul_f32_e32 v30, v23, v17
	v_mul_f32_e32 v17, v22, v17
	v_fmac_f32_e32 v17, v23, v16
	v_fmac_f32_e32 v31, v35, v16
	v_fma_f32 v30, v22, v16, -v30
	v_add_f32_e32 v27, v27, v17
	v_mul_f32_e32 v16, v23, v19
	v_mul_f32_e32 v17, v22, v19
	v_add_f32_e32 v29, v29, v31
	v_mul_f32_e32 v31, v34, v19
	v_fma_f32 v16, v22, v18, -v16
	v_fmac_f32_e32 v17, v23, v18
	v_fmac_f32_e32 v31, v35, v18
	v_add_f32_e32 v20, v20, v16
	v_add_f32_e32 v21, v21, v17
	ds_read2_b64 v[16:19], v12 offset0:192 offset1:208
	v_add_f32_e32 v26, v26, v30
	v_add_f32_e32 v25, v25, v31
	s_waitcnt lgkmcnt(0)
	v_mul_f32_e32 v22, v3, v17
	v_fma_f32 v22, v2, v16, -v22
	v_add_f32_e32 v30, v28, v22
	v_mul_f32_e32 v22, v3, v19
	v_mul_f32_e32 v23, v2, v17
	v_fma_f32 v22, v2, v18, -v22
	v_mul_f32_e32 v2, v2, v19
	v_fmac_f32_e32 v23, v3, v16
	v_fmac_f32_e32 v2, v3, v18
	v_add_f32_e32 v31, v29, v23
	v_add_f32_e32 v3, v24, v22
	;; [unrolled: 1-line block ×3, first 2 shown]
	ds_read_b128 v[22:25], v13 offset:1072
	s_waitcnt lgkmcnt(0)
	v_mul_f32_e32 v28, v23, v17
	v_fma_f32 v28, v22, v16, -v28
	v_mul_f32_e32 v17, v22, v17
	v_fmac_f32_e32 v17, v23, v16
	v_add_f32_e32 v16, v26, v28
	v_mul_f32_e32 v26, v23, v19
	v_fma_f32 v26, v22, v18, -v26
	v_add_f32_e32 v17, v27, v17
	v_add_f32_e32 v32, v20, v26
	ds_read2_b64 v[26:29], v12 offset0:224 offset1:240
	v_mul_f32_e32 v19, v22, v19
	v_fmac_f32_e32 v19, v23, v18
	v_add_f32_e32 v33, v21, v19
	s_waitcnt lgkmcnt(0)
	v_mul_f32_e32 v18, v5, v27
	v_fma_f32 v18, v4, v26, -v18
	v_add_f32_e32 v22, v30, v18
	v_mul_f32_e32 v18, v5, v29
	v_mul_f32_e32 v19, v4, v27
	v_fma_f32 v18, v4, v28, -v18
	v_mul_f32_e32 v4, v4, v29
	v_fmac_f32_e32 v4, v5, v28
	v_add_f32_e32 v20, v3, v18
	v_add_f32_e32 v21, v2, v4
	v_mul_f32_e32 v2, v25, v27
	v_mul_f32_e32 v3, v24, v27
	v_fmac_f32_e32 v19, v5, v26
	v_fma_f32 v2, v24, v26, -v2
	v_fmac_f32_e32 v3, v25, v26
	v_add_f32_e32 v23, v31, v19
	v_add_f32_e32 v18, v16, v2
	;; [unrolled: 1-line block ×3, first 2 shown]
	v_mul_f32_e32 v2, v25, v29
	v_mul_f32_e32 v3, v24, v29
	v_fma_f32 v2, v24, v28, -v2
	v_fmac_f32_e32 v3, v25, v28
	v_add_f32_e32 v17, v32, v2
	v_add_f32_e32 v16, v33, v3
	s_barrier
	s_cbranch_scc0 .LBB345_2
	s_branch .LBB345_4
.LBB345_3:
	v_mov_b32_e32 v22, 0
	v_mov_b32_e32 v23, 0
	;; [unrolled: 1-line block ×8, first 2 shown]
.LBB345_4:
	s_load_dwordx2 s[0:1], s[4:5], 0x58
	s_load_dword s6, s[4:5], 0x50
	v_add_u32_e32 v5, s22, v1
	v_add_u32_e32 v0, s9, v0
	v_cmp_gt_i32_e32 vcc, s10, v5
	s_waitcnt lgkmcnt(0)
	s_mul_i32 s1, s1, s8
	s_mul_hi_u32 s4, s0, s8
	s_add_i32 s1, s4, s1
	v_mad_i64_i32 v[1:2], s[4:5], v5, s6, 0
	s_mul_i32 s0, s0, s8
	s_lshl_b64 s[0:1], s[0:1], 3
	s_add_u32 s7, s20, s0
	v_lshlrev_b64 v[1:2], 3, v[1:2]
	s_addc_u32 s8, s21, s1
	v_mov_b32_e32 v3, s8
	v_add_co_u32_e64 v4, s[0:1], s7, v1
	v_addc_co_u32_e64 v6, s[0:1], v3, v2, s[0:1]
	v_cmp_le_i32_e64 s[0:1], v0, v5
	s_and_b64 s[0:1], vcc, s[0:1]
	s_and_saveexec_b64 s[4:5], s[0:1]
	s_cbranch_execz .LBB345_7
; %bb.5:
	v_ashrrev_i32_e32 v1, 31, v0
	v_lshlrev_b64 v[1:2], 3, v[0:1]
	v_mul_f32_e32 v3, s13, v23
	v_add_co_u32_e64 v1, s[0:1], v4, v1
	v_addc_co_u32_e64 v2, s[0:1], v6, v2, s[0:1]
	global_load_dwordx2 v[7:8], v[1:2], off
	v_mul_f32_e32 v9, s12, v23
	v_fma_f32 v3, v22, s12, -v3
	v_fmac_f32_e32 v9, s13, v22
	v_cmp_eq_u32_e64 s[0:1], v5, v0
	s_waitcnt vmcnt(0)
	v_mul_f32_e32 v10, s3, v8
	v_mul_f32_e32 v8, s2, v8
	v_fma_f32 v10, v7, s2, -v10
	v_fmac_f32_e32 v8, s3, v7
	v_add_f32_e32 v7, v3, v10
	v_add_f32_e32 v8, v9, v8
	global_store_dwordx2 v[1:2], v[7:8], off
	s_and_b64 exec, exec, s[0:1]
	s_cbranch_execz .LBB345_7
; %bb.6:
	v_mov_b32_e32 v3, 0
	global_store_dword v[1:2], v3, off offset:4
.LBB345_7:
	s_or_b64 exec, exec, s[4:5]
	v_add_u32_e32 v2, 16, v0
	v_cmp_le_i32_e64 s[0:1], v2, v5
	s_and_b64 s[4:5], vcc, s[0:1]
	s_and_saveexec_b64 s[0:1], s[4:5]
	s_cbranch_execz .LBB345_10
; %bb.8:
	v_ashrrev_i32_e32 v3, 31, v2
	v_lshlrev_b64 v[7:8], 3, v[2:3]
	v_mul_f32_e32 v1, s13, v21
	v_add_co_u32_e32 v3, vcc, v4, v7
	v_addc_co_u32_e32 v4, vcc, v6, v8, vcc
	global_load_dwordx2 v[6:7], v[3:4], off
	v_mul_f32_e32 v8, s12, v21
	v_fma_f32 v1, v20, s12, -v1
	v_fmac_f32_e32 v8, s13, v20
	v_cmp_eq_u32_e32 vcc, v5, v2
	s_waitcnt vmcnt(0)
	v_mul_f32_e32 v9, s3, v7
	v_mul_f32_e32 v7, s2, v7
	v_fma_f32 v9, v6, s2, -v9
	v_fmac_f32_e32 v7, s3, v6
	v_add_f32_e32 v6, v1, v9
	v_add_f32_e32 v7, v8, v7
	global_store_dwordx2 v[3:4], v[6:7], off
	s_and_b64 exec, exec, vcc
	s_cbranch_execz .LBB345_10
; %bb.9:
	v_mov_b32_e32 v1, 0
	global_store_dword v[3:4], v1, off offset:4
.LBB345_10:
	s_or_b64 exec, exec, s[0:1]
	v_add_u32_e32 v8, 16, v5
	v_mad_i64_i32 v[3:4], s[0:1], v8, s6, 0
	v_mov_b32_e32 v1, s8
	v_cmp_gt_i32_e32 vcc, s10, v8
	v_lshlrev_b64 v[3:4], 3, v[3:4]
	v_add_co_u32_e64 v6, s[0:1], s7, v3
	v_addc_co_u32_e64 v7, s[0:1], v1, v4, s[0:1]
	v_cmp_le_i32_e64 s[0:1], v0, v8
	s_and_b64 s[0:1], vcc, s[0:1]
	s_and_saveexec_b64 s[4:5], s[0:1]
	s_cbranch_execz .LBB345_13
; %bb.11:
	v_ashrrev_i32_e32 v1, 31, v0
	v_lshlrev_b64 v[3:4], 3, v[0:1]
	v_mul_f32_e32 v1, s13, v19
	v_add_co_u32_e64 v3, s[0:1], v6, v3
	v_addc_co_u32_e64 v4, s[0:1], v7, v4, s[0:1]
	global_load_dwordx2 v[9:10], v[3:4], off
	v_mul_f32_e32 v11, s12, v19
	v_fma_f32 v1, v18, s12, -v1
	v_fmac_f32_e32 v11, s13, v18
	v_cmp_eq_u32_e64 s[0:1], v8, v0
	s_waitcnt vmcnt(0)
	v_mul_f32_e32 v12, s3, v10
	v_mul_f32_e32 v10, s2, v10
	v_fma_f32 v12, v9, s2, -v12
	v_fmac_f32_e32 v10, s3, v9
	v_add_f32_e32 v9, v1, v12
	v_add_f32_e32 v10, v11, v10
	global_store_dwordx2 v[3:4], v[9:10], off
	s_and_b64 exec, exec, s[0:1]
	s_cbranch_execz .LBB345_13
; %bb.12:
	v_mov_b32_e32 v1, 0
	global_store_dword v[3:4], v1, off offset:4
.LBB345_13:
	s_or_b64 exec, exec, s[4:5]
	v_cmp_le_i32_e64 s[0:1], v2, v8
	s_and_b64 s[0:1], vcc, s[0:1]
	s_and_saveexec_b64 s[4:5], s[0:1]
	s_cbranch_execz .LBB345_16
; %bb.14:
	v_ashrrev_i32_e32 v3, 31, v2
	v_lshlrev_b64 v[1:2], 3, v[2:3]
	v_add_co_u32_e32 v1, vcc, v6, v1
	v_addc_co_u32_e32 v2, vcc, v7, v2, vcc
	global_load_dwordx2 v[3:4], v[1:2], off
	v_mul_f32_e32 v6, s13, v16
	v_mul_f32_e32 v7, s12, v16
	v_fma_f32 v6, v17, s12, -v6
	v_fmac_f32_e32 v7, s13, v17
	v_cmp_eq_u32_e32 vcc, v5, v0
	s_waitcnt vmcnt(0)
	v_mul_f32_e32 v8, s3, v4
	v_mul_f32_e32 v4, s2, v4
	v_fma_f32 v8, v3, s2, -v8
	v_fmac_f32_e32 v4, s3, v3
	v_add_f32_e32 v3, v6, v8
	v_add_f32_e32 v4, v7, v4
	global_store_dwordx2 v[1:2], v[3:4], off
	s_and_b64 exec, exec, vcc
	s_cbranch_execz .LBB345_16
; %bb.15:
	v_mov_b32_e32 v0, 0
	global_store_dword v[1:2], v0, off offset:4
.LBB345_16:
	s_endpgm
	.section	.rodata,"a",@progbits
	.p2align	6, 0x0
	.amdhsa_kernel _ZL37rocblas_syrkx_herkx_restricted_kernelIi19rocblas_complex_numIfELi16ELi32ELi8ELb0ELb1ELc78ELc85EKS1_S1_EviT_T0_PT8_S3_lS6_S3_lS4_PT9_S3_li
		.amdhsa_group_segment_fixed_size 4096
		.amdhsa_private_segment_fixed_size 0
		.amdhsa_kernarg_size 100
		.amdhsa_user_sgpr_count 6
		.amdhsa_user_sgpr_private_segment_buffer 1
		.amdhsa_user_sgpr_dispatch_ptr 0
		.amdhsa_user_sgpr_queue_ptr 0
		.amdhsa_user_sgpr_kernarg_segment_ptr 1
		.amdhsa_user_sgpr_dispatch_id 0
		.amdhsa_user_sgpr_flat_scratch_init 0
		.amdhsa_user_sgpr_private_segment_size 0
		.amdhsa_uses_dynamic_stack 0
		.amdhsa_system_sgpr_private_segment_wavefront_offset 0
		.amdhsa_system_sgpr_workgroup_id_x 1
		.amdhsa_system_sgpr_workgroup_id_y 1
		.amdhsa_system_sgpr_workgroup_id_z 1
		.amdhsa_system_sgpr_workgroup_info 0
		.amdhsa_system_vgpr_workitem_id 1
		.amdhsa_next_free_vgpr 43
		.amdhsa_next_free_sgpr 29
		.amdhsa_reserve_vcc 1
		.amdhsa_reserve_flat_scratch 0
		.amdhsa_float_round_mode_32 0
		.amdhsa_float_round_mode_16_64 0
		.amdhsa_float_denorm_mode_32 3
		.amdhsa_float_denorm_mode_16_64 3
		.amdhsa_dx10_clamp 1
		.amdhsa_ieee_mode 1
		.amdhsa_fp16_overflow 0
		.amdhsa_exception_fp_ieee_invalid_op 0
		.amdhsa_exception_fp_denorm_src 0
		.amdhsa_exception_fp_ieee_div_zero 0
		.amdhsa_exception_fp_ieee_overflow 0
		.amdhsa_exception_fp_ieee_underflow 0
		.amdhsa_exception_fp_ieee_inexact 0
		.amdhsa_exception_int_div_zero 0
	.end_amdhsa_kernel
	.section	.text._ZL37rocblas_syrkx_herkx_restricted_kernelIi19rocblas_complex_numIfELi16ELi32ELi8ELb0ELb1ELc78ELc85EKS1_S1_EviT_T0_PT8_S3_lS6_S3_lS4_PT9_S3_li,"axG",@progbits,_ZL37rocblas_syrkx_herkx_restricted_kernelIi19rocblas_complex_numIfELi16ELi32ELi8ELb0ELb1ELc78ELc85EKS1_S1_EviT_T0_PT8_S3_lS6_S3_lS4_PT9_S3_li,comdat
.Lfunc_end345:
	.size	_ZL37rocblas_syrkx_herkx_restricted_kernelIi19rocblas_complex_numIfELi16ELi32ELi8ELb0ELb1ELc78ELc85EKS1_S1_EviT_T0_PT8_S3_lS6_S3_lS4_PT9_S3_li, .Lfunc_end345-_ZL37rocblas_syrkx_herkx_restricted_kernelIi19rocblas_complex_numIfELi16ELi32ELi8ELb0ELb1ELc78ELc85EKS1_S1_EviT_T0_PT8_S3_lS6_S3_lS4_PT9_S3_li
                                        ; -- End function
	.set _ZL37rocblas_syrkx_herkx_restricted_kernelIi19rocblas_complex_numIfELi16ELi32ELi8ELb0ELb1ELc78ELc85EKS1_S1_EviT_T0_PT8_S3_lS6_S3_lS4_PT9_S3_li.num_vgpr, 43
	.set _ZL37rocblas_syrkx_herkx_restricted_kernelIi19rocblas_complex_numIfELi16ELi32ELi8ELb0ELb1ELc78ELc85EKS1_S1_EviT_T0_PT8_S3_lS6_S3_lS4_PT9_S3_li.num_agpr, 0
	.set _ZL37rocblas_syrkx_herkx_restricted_kernelIi19rocblas_complex_numIfELi16ELi32ELi8ELb0ELb1ELc78ELc85EKS1_S1_EviT_T0_PT8_S3_lS6_S3_lS4_PT9_S3_li.numbered_sgpr, 29
	.set _ZL37rocblas_syrkx_herkx_restricted_kernelIi19rocblas_complex_numIfELi16ELi32ELi8ELb0ELb1ELc78ELc85EKS1_S1_EviT_T0_PT8_S3_lS6_S3_lS4_PT9_S3_li.num_named_barrier, 0
	.set _ZL37rocblas_syrkx_herkx_restricted_kernelIi19rocblas_complex_numIfELi16ELi32ELi8ELb0ELb1ELc78ELc85EKS1_S1_EviT_T0_PT8_S3_lS6_S3_lS4_PT9_S3_li.private_seg_size, 0
	.set _ZL37rocblas_syrkx_herkx_restricted_kernelIi19rocblas_complex_numIfELi16ELi32ELi8ELb0ELb1ELc78ELc85EKS1_S1_EviT_T0_PT8_S3_lS6_S3_lS4_PT9_S3_li.uses_vcc, 1
	.set _ZL37rocblas_syrkx_herkx_restricted_kernelIi19rocblas_complex_numIfELi16ELi32ELi8ELb0ELb1ELc78ELc85EKS1_S1_EviT_T0_PT8_S3_lS6_S3_lS4_PT9_S3_li.uses_flat_scratch, 0
	.set _ZL37rocblas_syrkx_herkx_restricted_kernelIi19rocblas_complex_numIfELi16ELi32ELi8ELb0ELb1ELc78ELc85EKS1_S1_EviT_T0_PT8_S3_lS6_S3_lS4_PT9_S3_li.has_dyn_sized_stack, 0
	.set _ZL37rocblas_syrkx_herkx_restricted_kernelIi19rocblas_complex_numIfELi16ELi32ELi8ELb0ELb1ELc78ELc85EKS1_S1_EviT_T0_PT8_S3_lS6_S3_lS4_PT9_S3_li.has_recursion, 0
	.set _ZL37rocblas_syrkx_herkx_restricted_kernelIi19rocblas_complex_numIfELi16ELi32ELi8ELb0ELb1ELc78ELc85EKS1_S1_EviT_T0_PT8_S3_lS6_S3_lS4_PT9_S3_li.has_indirect_call, 0
	.section	.AMDGPU.csdata,"",@progbits
; Kernel info:
; codeLenInByte = 2268
; TotalNumSgprs: 33
; NumVgprs: 43
; ScratchSize: 0
; MemoryBound: 0
; FloatMode: 240
; IeeeMode: 1
; LDSByteSize: 4096 bytes/workgroup (compile time only)
; SGPRBlocks: 4
; VGPRBlocks: 10
; NumSGPRsForWavesPerEU: 33
; NumVGPRsForWavesPerEU: 43
; Occupancy: 5
; WaveLimiterHint : 0
; COMPUTE_PGM_RSRC2:SCRATCH_EN: 0
; COMPUTE_PGM_RSRC2:USER_SGPR: 6
; COMPUTE_PGM_RSRC2:TRAP_HANDLER: 0
; COMPUTE_PGM_RSRC2:TGID_X_EN: 1
; COMPUTE_PGM_RSRC2:TGID_Y_EN: 1
; COMPUTE_PGM_RSRC2:TGID_Z_EN: 1
; COMPUTE_PGM_RSRC2:TIDIG_COMP_CNT: 1
	.section	.text._ZL41rocblas_syrkx_herkx_small_restrict_kernelIi19rocblas_complex_numIfELi16ELb1ELb1ELc84ELc76EKS1_S1_EviT_T0_PT6_S3_lS6_S3_lS4_PT7_S3_li,"axG",@progbits,_ZL41rocblas_syrkx_herkx_small_restrict_kernelIi19rocblas_complex_numIfELi16ELb1ELb1ELc84ELc76EKS1_S1_EviT_T0_PT6_S3_lS6_S3_lS4_PT7_S3_li,comdat
	.globl	_ZL41rocblas_syrkx_herkx_small_restrict_kernelIi19rocblas_complex_numIfELi16ELb1ELb1ELc84ELc76EKS1_S1_EviT_T0_PT6_S3_lS6_S3_lS4_PT7_S3_li ; -- Begin function _ZL41rocblas_syrkx_herkx_small_restrict_kernelIi19rocblas_complex_numIfELi16ELb1ELb1ELc84ELc76EKS1_S1_EviT_T0_PT6_S3_lS6_S3_lS4_PT7_S3_li
	.p2align	8
	.type	_ZL41rocblas_syrkx_herkx_small_restrict_kernelIi19rocblas_complex_numIfELi16ELb1ELb1ELc84ELc76EKS1_S1_EviT_T0_PT6_S3_lS6_S3_lS4_PT7_S3_li,@function
_ZL41rocblas_syrkx_herkx_small_restrict_kernelIi19rocblas_complex_numIfELi16ELb1ELb1ELc84ELc76EKS1_S1_EviT_T0_PT6_S3_lS6_S3_lS4_PT7_S3_li: ; @_ZL41rocblas_syrkx_herkx_small_restrict_kernelIi19rocblas_complex_numIfELi16ELb1ELb1ELc84ELc76EKS1_S1_EviT_T0_PT6_S3_lS6_S3_lS4_PT7_S3_li
; %bb.0:
	s_load_dword s9, s[4:5], 0x4
	s_load_dwordx4 s[0:3], s[4:5], 0x8
	s_mov_b32 s10, 0
	v_lshl_add_u32 v2, s6, 4, v0
	v_lshl_add_u32 v5, s7, 4, v1
	s_waitcnt lgkmcnt(0)
	s_cmp_lt_i32 s9, 1
	s_cbranch_scc1 .LBB346_5
; %bb.1:
	s_load_dword s11, s[4:5], 0x18
	s_load_dwordx4 s[12:15], s[4:5], 0x20
	s_load_dword s16, s[4:5], 0x30
	s_load_dwordx2 s[6:7], s[4:5], 0x38
	v_lshlrev_b32_e32 v6, 3, v0
	v_lshlrev_b32_e32 v8, 7, v1
	;; [unrolled: 1-line block ×3, first 2 shown]
	s_waitcnt lgkmcnt(0)
	v_mad_i64_i32 v[3:4], s[16:17], s16, v5, 0
	s_mul_i32 s7, s7, s8
	s_mul_hi_u32 s16, s6, s8
	v_lshlrev_b64 v[3:4], 3, v[3:4]
	s_add_i32 s7, s16, s7
	s_mul_i32 s6, s6, s8
	s_lshl_b64 s[6:7], s[6:7], 3
	v_mov_b32_e32 v0, s7
	v_add_co_u32_e32 v3, vcc, s6, v3
	v_mad_i64_i32 v[11:12], s[6:7], s11, v2, 0
	v_addc_co_u32_e32 v0, vcc, v4, v0, vcc
	v_add_co_u32_e32 v3, vcc, v3, v6
	v_addc_co_u32_e32 v0, vcc, 0, v0, vcc
	s_mul_i32 s6, s13, s8
	s_mul_hi_u32 s7, s12, s8
	v_mov_b32_e32 v4, s15
	v_add_co_u32_e32 v3, vcc, s14, v3
	v_lshlrev_b64 v[11:12], 3, v[11:12]
	s_add_i32 s7, s7, s6
	s_mul_i32 s6, s12, s8
	v_addc_co_u32_e32 v4, vcc, v4, v0, vcc
	s_lshl_b64 s[6:7], s[6:7], 3
	v_mov_b32_e32 v0, s7
	v_add_co_u32_e32 v11, vcc, s6, v11
	v_addc_co_u32_e32 v0, vcc, v12, v0, vcc
	v_add_co_u32_e32 v1, vcc, v11, v1
	v_addc_co_u32_e32 v11, vcc, 0, v0, vcc
	v_add_u32_e32 v7, v6, v8
	v_add_u32_e32 v8, 0x800, v8
	v_mov_b32_e32 v12, s3
	v_add_co_u32_e32 v0, vcc, s2, v1
	v_add_u32_e32 v9, v8, v6
	v_mov_b32_e32 v10, 0
	v_addc_co_u32_e32 v1, vcc, v12, v11, vcc
	v_mov_b32_e32 v11, 0
.LBB346_2:                              ; =>This Inner Loop Header: Depth=1
	global_load_dwordx2 v[12:13], v[0:1], off
	s_add_i32 s10, s10, 16
	s_cmp_lt_i32 s10, s9
	s_waitcnt vmcnt(0)
	ds_write_b64 v7, v[12:13]
	global_load_dwordx2 v[12:13], v[3:4], off
	v_add_co_u32_e32 v3, vcc, 0x80, v3
	v_addc_co_u32_e32 v4, vcc, 0, v4, vcc
	v_add_co_u32_e32 v0, vcc, 0x80, v0
	v_addc_co_u32_e32 v1, vcc, 0, v1, vcc
	s_waitcnt vmcnt(0)
	ds_write_b64 v9, v[12:13]
	s_waitcnt lgkmcnt(0)
	s_barrier
	ds_read2_b64 v[12:15], v6 offset1:16
	ds_read_b128 v[16:19], v8
	ds_read_b128 v[20:23], v8 offset:16
	ds_read_b128 v[24:27], v8 offset:32
	;; [unrolled: 1-line block ×3, first 2 shown]
	s_waitcnt lgkmcnt(3)
	v_mul_f32_e32 v32, v17, v13
	v_mul_f32_e32 v13, v16, v13
	v_fmac_f32_e32 v13, v17, v12
	v_fma_f32 v32, v16, v12, -v32
	v_add_f32_e32 v10, v10, v13
	v_mul_f32_e32 v12, v19, v15
	v_mul_f32_e32 v13, v18, v15
	v_add_f32_e32 v11, v11, v32
	v_fma_f32 v12, v18, v14, -v12
	v_fmac_f32_e32 v13, v19, v14
	v_add_f32_e32 v14, v11, v12
	v_add_f32_e32 v15, v10, v13
	ds_read2_b64 v[10:13], v6 offset0:32 offset1:48
	s_waitcnt lgkmcnt(0)
	v_mul_f32_e32 v16, v21, v11
	v_fma_f32 v16, v20, v10, -v16
	v_mul_f32_e32 v11, v20, v11
	v_fmac_f32_e32 v11, v21, v10
	v_add_f32_e32 v10, v14, v16
	v_mul_f32_e32 v14, v23, v13
	v_mul_f32_e32 v13, v22, v13
	v_add_f32_e32 v11, v15, v11
	v_fma_f32 v14, v22, v12, -v14
	v_fmac_f32_e32 v13, v23, v12
	v_add_f32_e32 v14, v10, v14
	v_add_f32_e32 v15, v11, v13
	ds_read2_b64 v[10:13], v6 offset0:64 offset1:80
	s_waitcnt lgkmcnt(0)
	v_mul_f32_e32 v16, v25, v11
	v_fma_f32 v16, v24, v10, -v16
	v_mul_f32_e32 v11, v24, v11
	v_fmac_f32_e32 v11, v25, v10
	v_add_f32_e32 v10, v14, v16
	v_mul_f32_e32 v14, v27, v13
	v_mul_f32_e32 v13, v26, v13
	v_add_f32_e32 v11, v15, v11
	v_fma_f32 v14, v26, v12, -v14
	v_fmac_f32_e32 v13, v27, v12
	v_add_f32_e32 v14, v10, v14
	v_add_f32_e32 v15, v11, v13
	ds_read2_b64 v[10:13], v6 offset0:96 offset1:112
	s_waitcnt lgkmcnt(0)
	v_mul_f32_e32 v16, v29, v11
	v_fma_f32 v16, v28, v10, -v16
	v_mul_f32_e32 v11, v28, v11
	v_fmac_f32_e32 v11, v29, v10
	v_add_f32_e32 v10, v14, v16
	v_mul_f32_e32 v14, v31, v13
	v_mul_f32_e32 v13, v30, v13
	v_add_f32_e32 v11, v15, v11
	v_fma_f32 v14, v30, v12, -v14
	v_fmac_f32_e32 v13, v31, v12
	v_add_f32_e32 v18, v10, v14
	v_add_f32_e32 v19, v11, v13
	ds_read2_b64 v[10:13], v6 offset0:128 offset1:144
	ds_read_b128 v[14:17], v8 offset:64
	s_waitcnt lgkmcnt(0)
	v_mul_f32_e32 v20, v15, v11
	v_mul_f32_e32 v11, v14, v11
	v_fma_f32 v20, v14, v10, -v20
	v_fmac_f32_e32 v11, v15, v10
	v_mul_f32_e32 v14, v17, v13
	v_mul_f32_e32 v13, v16, v13
	v_add_f32_e32 v10, v18, v20
	v_add_f32_e32 v11, v19, v11
	v_fma_f32 v14, v16, v12, -v14
	v_fmac_f32_e32 v13, v17, v12
	v_add_f32_e32 v18, v10, v14
	v_add_f32_e32 v19, v11, v13
	ds_read2_b64 v[10:13], v6 offset0:160 offset1:176
	ds_read_b128 v[14:17], v8 offset:80
	s_waitcnt lgkmcnt(0)
	v_mul_f32_e32 v20, v15, v11
	v_mul_f32_e32 v11, v14, v11
	v_fma_f32 v20, v14, v10, -v20
	v_fmac_f32_e32 v11, v15, v10
	v_mul_f32_e32 v14, v17, v13
	v_mul_f32_e32 v13, v16, v13
	v_add_f32_e32 v10, v18, v20
	;; [unrolled: 15-line block ×3, first 2 shown]
	v_add_f32_e32 v11, v19, v11
	v_fma_f32 v14, v16, v12, -v14
	v_fmac_f32_e32 v13, v17, v12
	v_add_f32_e32 v18, v10, v14
	v_add_f32_e32 v19, v11, v13
	ds_read2_b64 v[10:13], v6 offset0:224 offset1:240
	ds_read_b128 v[14:17], v8 offset:112
	s_waitcnt lgkmcnt(0)
	s_barrier
	v_mul_f32_e32 v20, v15, v11
	v_mul_f32_e32 v11, v14, v11
	v_fmac_f32_e32 v11, v15, v10
	v_fma_f32 v20, v14, v10, -v20
	v_add_f32_e32 v14, v19, v11
	v_mul_f32_e32 v11, v17, v13
	v_mul_f32_e32 v13, v16, v13
	v_add_f32_e32 v10, v18, v20
	v_fma_f32 v11, v16, v12, -v11
	v_fmac_f32_e32 v13, v17, v12
	v_add_f32_e32 v11, v10, v11
	v_add_f32_e32 v10, v14, v13
	s_cbranch_scc1 .LBB346_2
; %bb.3:
	v_cmp_le_i32_e32 vcc, v5, v2
	s_and_saveexec_b64 s[2:3], vcc
	s_cbranch_execnz .LBB346_6
.LBB346_4:
	s_endpgm
.LBB346_5:
	v_mov_b32_e32 v10, 0
	v_mov_b32_e32 v11, 0
	v_cmp_le_i32_e32 vcc, v5, v2
	s_and_saveexec_b64 s[2:3], vcc
	s_cbranch_execz .LBB346_4
.LBB346_6:
	s_load_dwordx2 s[2:3], s[4:5], 0x58
	s_load_dwordx2 s[6:7], s[4:5], 0x48
	s_load_dword s9, s[4:5], 0x50
	v_mul_f32_e32 v0, s1, v10
	v_fma_f32 v6, v11, s0, -v0
	s_waitcnt lgkmcnt(0)
	s_mul_i32 s3, s3, s8
	s_mul_hi_u32 s4, s2, s8
	s_mul_i32 s2, s2, s8
	s_add_i32 s3, s4, s3
	s_lshl_b64 s[2:3], s[2:3], 3
	s_add_u32 s4, s6, s2
	s_addc_u32 s5, s7, s3
	v_mad_i64_i32 v[0:1], s[2:3], s9, v5, 0
	v_ashrrev_i32_e32 v3, 31, v2
	v_mov_b32_e32 v4, s5
	v_lshlrev_b64 v[0:1], 3, v[0:1]
	v_mul_f32_e32 v7, s0, v10
	v_add_co_u32_e32 v8, vcc, s4, v0
	v_addc_co_u32_e32 v4, vcc, v4, v1, vcc
	v_lshlrev_b64 v[0:1], 3, v[2:3]
	v_fmac_f32_e32 v7, s1, v11
	v_add_co_u32_e32 v0, vcc, v8, v0
	v_addc_co_u32_e32 v1, vcc, v4, v1, vcc
	v_cmp_eq_u32_e32 vcc, v2, v5
	global_store_dwordx2 v[0:1], v[6:7], off
	s_and_b64 exec, exec, vcc
	s_cbranch_execz .LBB346_4
; %bb.7:
	v_mov_b32_e32 v2, 0
	global_store_dword v[0:1], v2, off offset:4
	s_endpgm
	.section	.rodata,"a",@progbits
	.p2align	6, 0x0
	.amdhsa_kernel _ZL41rocblas_syrkx_herkx_small_restrict_kernelIi19rocblas_complex_numIfELi16ELb1ELb1ELc84ELc76EKS1_S1_EviT_T0_PT6_S3_lS6_S3_lS4_PT7_S3_li
		.amdhsa_group_segment_fixed_size 4096
		.amdhsa_private_segment_fixed_size 0
		.amdhsa_kernarg_size 100
		.amdhsa_user_sgpr_count 6
		.amdhsa_user_sgpr_private_segment_buffer 1
		.amdhsa_user_sgpr_dispatch_ptr 0
		.amdhsa_user_sgpr_queue_ptr 0
		.amdhsa_user_sgpr_kernarg_segment_ptr 1
		.amdhsa_user_sgpr_dispatch_id 0
		.amdhsa_user_sgpr_flat_scratch_init 0
		.amdhsa_user_sgpr_private_segment_size 0
		.amdhsa_uses_dynamic_stack 0
		.amdhsa_system_sgpr_private_segment_wavefront_offset 0
		.amdhsa_system_sgpr_workgroup_id_x 1
		.amdhsa_system_sgpr_workgroup_id_y 1
		.amdhsa_system_sgpr_workgroup_id_z 1
		.amdhsa_system_sgpr_workgroup_info 0
		.amdhsa_system_vgpr_workitem_id 1
		.amdhsa_next_free_vgpr 33
		.amdhsa_next_free_sgpr 18
		.amdhsa_reserve_vcc 1
		.amdhsa_reserve_flat_scratch 0
		.amdhsa_float_round_mode_32 0
		.amdhsa_float_round_mode_16_64 0
		.amdhsa_float_denorm_mode_32 3
		.amdhsa_float_denorm_mode_16_64 3
		.amdhsa_dx10_clamp 1
		.amdhsa_ieee_mode 1
		.amdhsa_fp16_overflow 0
		.amdhsa_exception_fp_ieee_invalid_op 0
		.amdhsa_exception_fp_denorm_src 0
		.amdhsa_exception_fp_ieee_div_zero 0
		.amdhsa_exception_fp_ieee_overflow 0
		.amdhsa_exception_fp_ieee_underflow 0
		.amdhsa_exception_fp_ieee_inexact 0
		.amdhsa_exception_int_div_zero 0
	.end_amdhsa_kernel
	.section	.text._ZL41rocblas_syrkx_herkx_small_restrict_kernelIi19rocblas_complex_numIfELi16ELb1ELb1ELc84ELc76EKS1_S1_EviT_T0_PT6_S3_lS6_S3_lS4_PT7_S3_li,"axG",@progbits,_ZL41rocblas_syrkx_herkx_small_restrict_kernelIi19rocblas_complex_numIfELi16ELb1ELb1ELc84ELc76EKS1_S1_EviT_T0_PT6_S3_lS6_S3_lS4_PT7_S3_li,comdat
.Lfunc_end346:
	.size	_ZL41rocblas_syrkx_herkx_small_restrict_kernelIi19rocblas_complex_numIfELi16ELb1ELb1ELc84ELc76EKS1_S1_EviT_T0_PT6_S3_lS6_S3_lS4_PT7_S3_li, .Lfunc_end346-_ZL41rocblas_syrkx_herkx_small_restrict_kernelIi19rocblas_complex_numIfELi16ELb1ELb1ELc84ELc76EKS1_S1_EviT_T0_PT6_S3_lS6_S3_lS4_PT7_S3_li
                                        ; -- End function
	.set _ZL41rocblas_syrkx_herkx_small_restrict_kernelIi19rocblas_complex_numIfELi16ELb1ELb1ELc84ELc76EKS1_S1_EviT_T0_PT6_S3_lS6_S3_lS4_PT7_S3_li.num_vgpr, 33
	.set _ZL41rocblas_syrkx_herkx_small_restrict_kernelIi19rocblas_complex_numIfELi16ELb1ELb1ELc84ELc76EKS1_S1_EviT_T0_PT6_S3_lS6_S3_lS4_PT7_S3_li.num_agpr, 0
	.set _ZL41rocblas_syrkx_herkx_small_restrict_kernelIi19rocblas_complex_numIfELi16ELb1ELb1ELc84ELc76EKS1_S1_EviT_T0_PT6_S3_lS6_S3_lS4_PT7_S3_li.numbered_sgpr, 18
	.set _ZL41rocblas_syrkx_herkx_small_restrict_kernelIi19rocblas_complex_numIfELi16ELb1ELb1ELc84ELc76EKS1_S1_EviT_T0_PT6_S3_lS6_S3_lS4_PT7_S3_li.num_named_barrier, 0
	.set _ZL41rocblas_syrkx_herkx_small_restrict_kernelIi19rocblas_complex_numIfELi16ELb1ELb1ELc84ELc76EKS1_S1_EviT_T0_PT6_S3_lS6_S3_lS4_PT7_S3_li.private_seg_size, 0
	.set _ZL41rocblas_syrkx_herkx_small_restrict_kernelIi19rocblas_complex_numIfELi16ELb1ELb1ELc84ELc76EKS1_S1_EviT_T0_PT6_S3_lS6_S3_lS4_PT7_S3_li.uses_vcc, 1
	.set _ZL41rocblas_syrkx_herkx_small_restrict_kernelIi19rocblas_complex_numIfELi16ELb1ELb1ELc84ELc76EKS1_S1_EviT_T0_PT6_S3_lS6_S3_lS4_PT7_S3_li.uses_flat_scratch, 0
	.set _ZL41rocblas_syrkx_herkx_small_restrict_kernelIi19rocblas_complex_numIfELi16ELb1ELb1ELc84ELc76EKS1_S1_EviT_T0_PT6_S3_lS6_S3_lS4_PT7_S3_li.has_dyn_sized_stack, 0
	.set _ZL41rocblas_syrkx_herkx_small_restrict_kernelIi19rocblas_complex_numIfELi16ELb1ELb1ELc84ELc76EKS1_S1_EviT_T0_PT6_S3_lS6_S3_lS4_PT7_S3_li.has_recursion, 0
	.set _ZL41rocblas_syrkx_herkx_small_restrict_kernelIi19rocblas_complex_numIfELi16ELb1ELb1ELc84ELc76EKS1_S1_EviT_T0_PT6_S3_lS6_S3_lS4_PT7_S3_li.has_indirect_call, 0
	.section	.AMDGPU.csdata,"",@progbits
; Kernel info:
; codeLenInByte = 1148
; TotalNumSgprs: 22
; NumVgprs: 33
; ScratchSize: 0
; MemoryBound: 0
; FloatMode: 240
; IeeeMode: 1
; LDSByteSize: 4096 bytes/workgroup (compile time only)
; SGPRBlocks: 2
; VGPRBlocks: 8
; NumSGPRsForWavesPerEU: 22
; NumVGPRsForWavesPerEU: 33
; Occupancy: 7
; WaveLimiterHint : 0
; COMPUTE_PGM_RSRC2:SCRATCH_EN: 0
; COMPUTE_PGM_RSRC2:USER_SGPR: 6
; COMPUTE_PGM_RSRC2:TRAP_HANDLER: 0
; COMPUTE_PGM_RSRC2:TGID_X_EN: 1
; COMPUTE_PGM_RSRC2:TGID_Y_EN: 1
; COMPUTE_PGM_RSRC2:TGID_Z_EN: 1
; COMPUTE_PGM_RSRC2:TIDIG_COMP_CNT: 1
	.section	.text._ZL41rocblas_syrkx_herkx_small_restrict_kernelIi19rocblas_complex_numIfELi16ELb1ELb1ELc67ELc76EKS1_S1_EviT_T0_PT6_S3_lS6_S3_lS4_PT7_S3_li,"axG",@progbits,_ZL41rocblas_syrkx_herkx_small_restrict_kernelIi19rocblas_complex_numIfELi16ELb1ELb1ELc67ELc76EKS1_S1_EviT_T0_PT6_S3_lS6_S3_lS4_PT7_S3_li,comdat
	.globl	_ZL41rocblas_syrkx_herkx_small_restrict_kernelIi19rocblas_complex_numIfELi16ELb1ELb1ELc67ELc76EKS1_S1_EviT_T0_PT6_S3_lS6_S3_lS4_PT7_S3_li ; -- Begin function _ZL41rocblas_syrkx_herkx_small_restrict_kernelIi19rocblas_complex_numIfELi16ELb1ELb1ELc67ELc76EKS1_S1_EviT_T0_PT6_S3_lS6_S3_lS4_PT7_S3_li
	.p2align	8
	.type	_ZL41rocblas_syrkx_herkx_small_restrict_kernelIi19rocblas_complex_numIfELi16ELb1ELb1ELc67ELc76EKS1_S1_EviT_T0_PT6_S3_lS6_S3_lS4_PT7_S3_li,@function
_ZL41rocblas_syrkx_herkx_small_restrict_kernelIi19rocblas_complex_numIfELi16ELb1ELb1ELc67ELc76EKS1_S1_EviT_T0_PT6_S3_lS6_S3_lS4_PT7_S3_li: ; @_ZL41rocblas_syrkx_herkx_small_restrict_kernelIi19rocblas_complex_numIfELi16ELb1ELb1ELc67ELc76EKS1_S1_EviT_T0_PT6_S3_lS6_S3_lS4_PT7_S3_li
; %bb.0:
	s_load_dword s9, s[4:5], 0x4
	s_load_dwordx4 s[0:3], s[4:5], 0x8
	s_mov_b32 s10, 0
	v_lshl_add_u32 v2, s6, 4, v0
	v_lshl_add_u32 v5, s7, 4, v1
	s_waitcnt lgkmcnt(0)
	s_cmp_lt_i32 s9, 1
	s_cbranch_scc1 .LBB347_5
; %bb.1:
	s_load_dword s11, s[4:5], 0x18
	s_load_dwordx4 s[12:15], s[4:5], 0x20
	s_load_dword s16, s[4:5], 0x30
	s_load_dwordx2 s[6:7], s[4:5], 0x38
	v_lshlrev_b32_e32 v6, 3, v0
	v_lshlrev_b32_e32 v8, 7, v1
	;; [unrolled: 1-line block ×3, first 2 shown]
	s_waitcnt lgkmcnt(0)
	v_mad_i64_i32 v[3:4], s[16:17], s16, v5, 0
	s_mul_i32 s7, s7, s8
	s_mul_hi_u32 s16, s6, s8
	v_lshlrev_b64 v[3:4], 3, v[3:4]
	s_add_i32 s7, s16, s7
	s_mul_i32 s6, s6, s8
	s_lshl_b64 s[6:7], s[6:7], 3
	v_mov_b32_e32 v0, s7
	v_add_co_u32_e32 v3, vcc, s6, v3
	v_mad_i64_i32 v[11:12], s[6:7], s11, v2, 0
	v_addc_co_u32_e32 v0, vcc, v4, v0, vcc
	v_add_co_u32_e32 v3, vcc, v3, v6
	v_addc_co_u32_e32 v0, vcc, 0, v0, vcc
	s_mul_i32 s6, s13, s8
	s_mul_hi_u32 s7, s12, s8
	v_mov_b32_e32 v4, s15
	v_add_co_u32_e32 v3, vcc, s14, v3
	v_lshlrev_b64 v[11:12], 3, v[11:12]
	s_add_i32 s7, s7, s6
	s_mul_i32 s6, s12, s8
	v_addc_co_u32_e32 v4, vcc, v4, v0, vcc
	s_lshl_b64 s[6:7], s[6:7], 3
	v_mov_b32_e32 v0, s7
	v_add_co_u32_e32 v11, vcc, s6, v11
	v_addc_co_u32_e32 v0, vcc, v12, v0, vcc
	v_add_co_u32_e32 v1, vcc, v11, v1
	v_addc_co_u32_e32 v0, vcc, 0, v0, vcc
	v_mov_b32_e32 v11, s3
	v_add_co_u32_e32 v1, vcc, s2, v1
	v_addc_co_u32_e32 v11, vcc, v11, v0, vcc
	v_add_u32_e32 v7, v6, v8
	v_add_u32_e32 v8, 0x800, v8
	v_add_co_u32_e32 v0, vcc, 4, v1
	v_add_u32_e32 v9, v8, v6
	v_mov_b32_e32 v10, 0
	v_addc_co_u32_e32 v1, vcc, 0, v11, vcc
	v_mov_b32_e32 v11, 0
.LBB347_2:                              ; =>This Inner Loop Header: Depth=1
	global_load_dwordx2 v[12:13], v[0:1], off offset:-4
	s_add_i32 s10, s10, 16
	s_cmp_lt_i32 s10, s9
	s_waitcnt vmcnt(0)
	v_xor_b32_e32 v13, 0x80000000, v13
	ds_write_b64 v7, v[12:13]
	global_load_dwordx2 v[12:13], v[3:4], off
	v_add_co_u32_e32 v3, vcc, 0x80, v3
	v_addc_co_u32_e32 v4, vcc, 0, v4, vcc
	v_add_co_u32_e32 v0, vcc, 0x80, v0
	v_addc_co_u32_e32 v1, vcc, 0, v1, vcc
	s_waitcnt vmcnt(0)
	ds_write_b64 v9, v[12:13]
	s_waitcnt lgkmcnt(0)
	s_barrier
	ds_read2_b64 v[12:15], v6 offset1:16
	ds_read_b128 v[16:19], v8
	ds_read_b128 v[20:23], v8 offset:16
	ds_read_b128 v[24:27], v8 offset:32
	;; [unrolled: 1-line block ×3, first 2 shown]
	s_waitcnt lgkmcnt(3)
	v_mul_f32_e32 v32, v17, v13
	v_mul_f32_e32 v13, v16, v13
	v_fmac_f32_e32 v13, v17, v12
	v_fma_f32 v32, v16, v12, -v32
	v_add_f32_e32 v10, v10, v13
	v_mul_f32_e32 v12, v19, v15
	v_mul_f32_e32 v13, v18, v15
	v_add_f32_e32 v11, v11, v32
	v_fma_f32 v12, v18, v14, -v12
	v_fmac_f32_e32 v13, v19, v14
	v_add_f32_e32 v14, v11, v12
	v_add_f32_e32 v15, v10, v13
	ds_read2_b64 v[10:13], v6 offset0:32 offset1:48
	s_waitcnt lgkmcnt(0)
	v_mul_f32_e32 v16, v21, v11
	v_fma_f32 v16, v20, v10, -v16
	v_mul_f32_e32 v11, v20, v11
	v_fmac_f32_e32 v11, v21, v10
	v_add_f32_e32 v10, v14, v16
	v_mul_f32_e32 v14, v23, v13
	v_mul_f32_e32 v13, v22, v13
	v_add_f32_e32 v11, v15, v11
	v_fma_f32 v14, v22, v12, -v14
	v_fmac_f32_e32 v13, v23, v12
	v_add_f32_e32 v14, v10, v14
	v_add_f32_e32 v15, v11, v13
	ds_read2_b64 v[10:13], v6 offset0:64 offset1:80
	s_waitcnt lgkmcnt(0)
	v_mul_f32_e32 v16, v25, v11
	v_fma_f32 v16, v24, v10, -v16
	v_mul_f32_e32 v11, v24, v11
	v_fmac_f32_e32 v11, v25, v10
	;; [unrolled: 14-line block ×3, first 2 shown]
	v_add_f32_e32 v10, v14, v16
	v_mul_f32_e32 v14, v31, v13
	v_mul_f32_e32 v13, v30, v13
	v_add_f32_e32 v11, v15, v11
	v_fma_f32 v14, v30, v12, -v14
	v_fmac_f32_e32 v13, v31, v12
	v_add_f32_e32 v18, v10, v14
	v_add_f32_e32 v19, v11, v13
	ds_read2_b64 v[10:13], v6 offset0:128 offset1:144
	ds_read_b128 v[14:17], v8 offset:64
	s_waitcnt lgkmcnt(0)
	v_mul_f32_e32 v20, v15, v11
	v_mul_f32_e32 v11, v14, v11
	v_fma_f32 v20, v14, v10, -v20
	v_fmac_f32_e32 v11, v15, v10
	v_mul_f32_e32 v14, v17, v13
	v_mul_f32_e32 v13, v16, v13
	v_add_f32_e32 v10, v18, v20
	v_add_f32_e32 v11, v19, v11
	v_fma_f32 v14, v16, v12, -v14
	v_fmac_f32_e32 v13, v17, v12
	v_add_f32_e32 v18, v10, v14
	v_add_f32_e32 v19, v11, v13
	ds_read2_b64 v[10:13], v6 offset0:160 offset1:176
	ds_read_b128 v[14:17], v8 offset:80
	s_waitcnt lgkmcnt(0)
	v_mul_f32_e32 v20, v15, v11
	v_mul_f32_e32 v11, v14, v11
	v_fma_f32 v20, v14, v10, -v20
	v_fmac_f32_e32 v11, v15, v10
	v_mul_f32_e32 v14, v17, v13
	v_mul_f32_e32 v13, v16, v13
	v_add_f32_e32 v10, v18, v20
	;; [unrolled: 15-line block ×3, first 2 shown]
	v_add_f32_e32 v11, v19, v11
	v_fma_f32 v14, v16, v12, -v14
	v_fmac_f32_e32 v13, v17, v12
	v_add_f32_e32 v18, v10, v14
	v_add_f32_e32 v19, v11, v13
	ds_read2_b64 v[10:13], v6 offset0:224 offset1:240
	ds_read_b128 v[14:17], v8 offset:112
	s_waitcnt lgkmcnt(0)
	s_barrier
	v_mul_f32_e32 v20, v15, v11
	v_mul_f32_e32 v11, v14, v11
	v_fmac_f32_e32 v11, v15, v10
	v_fma_f32 v20, v14, v10, -v20
	v_add_f32_e32 v14, v19, v11
	v_mul_f32_e32 v11, v17, v13
	v_mul_f32_e32 v13, v16, v13
	v_add_f32_e32 v10, v18, v20
	v_fma_f32 v11, v16, v12, -v11
	v_fmac_f32_e32 v13, v17, v12
	v_add_f32_e32 v11, v10, v11
	v_add_f32_e32 v10, v14, v13
	s_cbranch_scc1 .LBB347_2
; %bb.3:
	v_cmp_le_i32_e32 vcc, v5, v2
	s_and_saveexec_b64 s[2:3], vcc
	s_cbranch_execnz .LBB347_6
.LBB347_4:
	s_endpgm
.LBB347_5:
	v_mov_b32_e32 v10, 0
	v_mov_b32_e32 v11, 0
	v_cmp_le_i32_e32 vcc, v5, v2
	s_and_saveexec_b64 s[2:3], vcc
	s_cbranch_execz .LBB347_4
.LBB347_6:
	s_load_dwordx2 s[2:3], s[4:5], 0x58
	s_load_dwordx2 s[6:7], s[4:5], 0x48
	s_load_dword s9, s[4:5], 0x50
	v_mul_f32_e32 v0, s1, v10
	v_fma_f32 v6, v11, s0, -v0
	s_waitcnt lgkmcnt(0)
	s_mul_i32 s3, s3, s8
	s_mul_hi_u32 s4, s2, s8
	s_mul_i32 s2, s2, s8
	s_add_i32 s3, s4, s3
	s_lshl_b64 s[2:3], s[2:3], 3
	s_add_u32 s4, s6, s2
	s_addc_u32 s5, s7, s3
	v_mad_i64_i32 v[0:1], s[2:3], s9, v5, 0
	v_ashrrev_i32_e32 v3, 31, v2
	v_mov_b32_e32 v4, s5
	v_lshlrev_b64 v[0:1], 3, v[0:1]
	v_mul_f32_e32 v7, s0, v10
	v_add_co_u32_e32 v8, vcc, s4, v0
	v_addc_co_u32_e32 v4, vcc, v4, v1, vcc
	v_lshlrev_b64 v[0:1], 3, v[2:3]
	v_fmac_f32_e32 v7, s1, v11
	v_add_co_u32_e32 v0, vcc, v8, v0
	v_addc_co_u32_e32 v1, vcc, v4, v1, vcc
	v_cmp_eq_u32_e32 vcc, v2, v5
	global_store_dwordx2 v[0:1], v[6:7], off
	s_and_b64 exec, exec, vcc
	s_cbranch_execz .LBB347_4
; %bb.7:
	v_mov_b32_e32 v2, 0
	global_store_dword v[0:1], v2, off offset:4
	s_endpgm
	.section	.rodata,"a",@progbits
	.p2align	6, 0x0
	.amdhsa_kernel _ZL41rocblas_syrkx_herkx_small_restrict_kernelIi19rocblas_complex_numIfELi16ELb1ELb1ELc67ELc76EKS1_S1_EviT_T0_PT6_S3_lS6_S3_lS4_PT7_S3_li
		.amdhsa_group_segment_fixed_size 4096
		.amdhsa_private_segment_fixed_size 0
		.amdhsa_kernarg_size 100
		.amdhsa_user_sgpr_count 6
		.amdhsa_user_sgpr_private_segment_buffer 1
		.amdhsa_user_sgpr_dispatch_ptr 0
		.amdhsa_user_sgpr_queue_ptr 0
		.amdhsa_user_sgpr_kernarg_segment_ptr 1
		.amdhsa_user_sgpr_dispatch_id 0
		.amdhsa_user_sgpr_flat_scratch_init 0
		.amdhsa_user_sgpr_private_segment_size 0
		.amdhsa_uses_dynamic_stack 0
		.amdhsa_system_sgpr_private_segment_wavefront_offset 0
		.amdhsa_system_sgpr_workgroup_id_x 1
		.amdhsa_system_sgpr_workgroup_id_y 1
		.amdhsa_system_sgpr_workgroup_id_z 1
		.amdhsa_system_sgpr_workgroup_info 0
		.amdhsa_system_vgpr_workitem_id 1
		.amdhsa_next_free_vgpr 33
		.amdhsa_next_free_sgpr 18
		.amdhsa_reserve_vcc 1
		.amdhsa_reserve_flat_scratch 0
		.amdhsa_float_round_mode_32 0
		.amdhsa_float_round_mode_16_64 0
		.amdhsa_float_denorm_mode_32 3
		.amdhsa_float_denorm_mode_16_64 3
		.amdhsa_dx10_clamp 1
		.amdhsa_ieee_mode 1
		.amdhsa_fp16_overflow 0
		.amdhsa_exception_fp_ieee_invalid_op 0
		.amdhsa_exception_fp_denorm_src 0
		.amdhsa_exception_fp_ieee_div_zero 0
		.amdhsa_exception_fp_ieee_overflow 0
		.amdhsa_exception_fp_ieee_underflow 0
		.amdhsa_exception_fp_ieee_inexact 0
		.amdhsa_exception_int_div_zero 0
	.end_amdhsa_kernel
	.section	.text._ZL41rocblas_syrkx_herkx_small_restrict_kernelIi19rocblas_complex_numIfELi16ELb1ELb1ELc67ELc76EKS1_S1_EviT_T0_PT6_S3_lS6_S3_lS4_PT7_S3_li,"axG",@progbits,_ZL41rocblas_syrkx_herkx_small_restrict_kernelIi19rocblas_complex_numIfELi16ELb1ELb1ELc67ELc76EKS1_S1_EviT_T0_PT6_S3_lS6_S3_lS4_PT7_S3_li,comdat
.Lfunc_end347:
	.size	_ZL41rocblas_syrkx_herkx_small_restrict_kernelIi19rocblas_complex_numIfELi16ELb1ELb1ELc67ELc76EKS1_S1_EviT_T0_PT6_S3_lS6_S3_lS4_PT7_S3_li, .Lfunc_end347-_ZL41rocblas_syrkx_herkx_small_restrict_kernelIi19rocblas_complex_numIfELi16ELb1ELb1ELc67ELc76EKS1_S1_EviT_T0_PT6_S3_lS6_S3_lS4_PT7_S3_li
                                        ; -- End function
	.set _ZL41rocblas_syrkx_herkx_small_restrict_kernelIi19rocblas_complex_numIfELi16ELb1ELb1ELc67ELc76EKS1_S1_EviT_T0_PT6_S3_lS6_S3_lS4_PT7_S3_li.num_vgpr, 33
	.set _ZL41rocblas_syrkx_herkx_small_restrict_kernelIi19rocblas_complex_numIfELi16ELb1ELb1ELc67ELc76EKS1_S1_EviT_T0_PT6_S3_lS6_S3_lS4_PT7_S3_li.num_agpr, 0
	.set _ZL41rocblas_syrkx_herkx_small_restrict_kernelIi19rocblas_complex_numIfELi16ELb1ELb1ELc67ELc76EKS1_S1_EviT_T0_PT6_S3_lS6_S3_lS4_PT7_S3_li.numbered_sgpr, 18
	.set _ZL41rocblas_syrkx_herkx_small_restrict_kernelIi19rocblas_complex_numIfELi16ELb1ELb1ELc67ELc76EKS1_S1_EviT_T0_PT6_S3_lS6_S3_lS4_PT7_S3_li.num_named_barrier, 0
	.set _ZL41rocblas_syrkx_herkx_small_restrict_kernelIi19rocblas_complex_numIfELi16ELb1ELb1ELc67ELc76EKS1_S1_EviT_T0_PT6_S3_lS6_S3_lS4_PT7_S3_li.private_seg_size, 0
	.set _ZL41rocblas_syrkx_herkx_small_restrict_kernelIi19rocblas_complex_numIfELi16ELb1ELb1ELc67ELc76EKS1_S1_EviT_T0_PT6_S3_lS6_S3_lS4_PT7_S3_li.uses_vcc, 1
	.set _ZL41rocblas_syrkx_herkx_small_restrict_kernelIi19rocblas_complex_numIfELi16ELb1ELb1ELc67ELc76EKS1_S1_EviT_T0_PT6_S3_lS6_S3_lS4_PT7_S3_li.uses_flat_scratch, 0
	.set _ZL41rocblas_syrkx_herkx_small_restrict_kernelIi19rocblas_complex_numIfELi16ELb1ELb1ELc67ELc76EKS1_S1_EviT_T0_PT6_S3_lS6_S3_lS4_PT7_S3_li.has_dyn_sized_stack, 0
	.set _ZL41rocblas_syrkx_herkx_small_restrict_kernelIi19rocblas_complex_numIfELi16ELb1ELb1ELc67ELc76EKS1_S1_EviT_T0_PT6_S3_lS6_S3_lS4_PT7_S3_li.has_recursion, 0
	.set _ZL41rocblas_syrkx_herkx_small_restrict_kernelIi19rocblas_complex_numIfELi16ELb1ELb1ELc67ELc76EKS1_S1_EviT_T0_PT6_S3_lS6_S3_lS4_PT7_S3_li.has_indirect_call, 0
	.section	.AMDGPU.csdata,"",@progbits
; Kernel info:
; codeLenInByte = 1164
; TotalNumSgprs: 22
; NumVgprs: 33
; ScratchSize: 0
; MemoryBound: 0
; FloatMode: 240
; IeeeMode: 1
; LDSByteSize: 4096 bytes/workgroup (compile time only)
; SGPRBlocks: 2
; VGPRBlocks: 8
; NumSGPRsForWavesPerEU: 22
; NumVGPRsForWavesPerEU: 33
; Occupancy: 7
; WaveLimiterHint : 0
; COMPUTE_PGM_RSRC2:SCRATCH_EN: 0
; COMPUTE_PGM_RSRC2:USER_SGPR: 6
; COMPUTE_PGM_RSRC2:TRAP_HANDLER: 0
; COMPUTE_PGM_RSRC2:TGID_X_EN: 1
; COMPUTE_PGM_RSRC2:TGID_Y_EN: 1
; COMPUTE_PGM_RSRC2:TGID_Z_EN: 1
; COMPUTE_PGM_RSRC2:TIDIG_COMP_CNT: 1
	.section	.text._ZL41rocblas_syrkx_herkx_small_restrict_kernelIi19rocblas_complex_numIfELi16ELb1ELb1ELc78ELc76EKS1_S1_EviT_T0_PT6_S3_lS6_S3_lS4_PT7_S3_li,"axG",@progbits,_ZL41rocblas_syrkx_herkx_small_restrict_kernelIi19rocblas_complex_numIfELi16ELb1ELb1ELc78ELc76EKS1_S1_EviT_T0_PT6_S3_lS6_S3_lS4_PT7_S3_li,comdat
	.globl	_ZL41rocblas_syrkx_herkx_small_restrict_kernelIi19rocblas_complex_numIfELi16ELb1ELb1ELc78ELc76EKS1_S1_EviT_T0_PT6_S3_lS6_S3_lS4_PT7_S3_li ; -- Begin function _ZL41rocblas_syrkx_herkx_small_restrict_kernelIi19rocblas_complex_numIfELi16ELb1ELb1ELc78ELc76EKS1_S1_EviT_T0_PT6_S3_lS6_S3_lS4_PT7_S3_li
	.p2align	8
	.type	_ZL41rocblas_syrkx_herkx_small_restrict_kernelIi19rocblas_complex_numIfELi16ELb1ELb1ELc78ELc76EKS1_S1_EviT_T0_PT6_S3_lS6_S3_lS4_PT7_S3_li,@function
_ZL41rocblas_syrkx_herkx_small_restrict_kernelIi19rocblas_complex_numIfELi16ELb1ELb1ELc78ELc76EKS1_S1_EviT_T0_PT6_S3_lS6_S3_lS4_PT7_S3_li: ; @_ZL41rocblas_syrkx_herkx_small_restrict_kernelIi19rocblas_complex_numIfELi16ELb1ELb1ELc78ELc76EKS1_S1_EviT_T0_PT6_S3_lS6_S3_lS4_PT7_S3_li
; %bb.0:
	s_load_dword s9, s[4:5], 0x4
	s_load_dwordx4 s[0:3], s[4:5], 0x8
	v_lshl_add_u32 v2, s6, 4, v0
	s_mov_b32 s10, 0
	v_lshl_add_u32 v4, s7, 4, v1
	s_waitcnt lgkmcnt(0)
	s_cmp_lt_i32 s9, 1
	v_ashrrev_i32_e32 v3, 31, v2
	s_cbranch_scc1 .LBB348_5
; %bb.1:
	s_load_dword s16, s[4:5], 0x18
	s_load_dword s6, s[4:5], 0x30
	s_load_dwordx2 s[18:19], s[4:5], 0x38
	s_load_dwordx4 s[12:15], s[4:5], 0x20
	v_lshlrev_b32_e32 v6, 7, v1
	v_lshlrev_b32_e32 v7, 3, v0
	s_waitcnt lgkmcnt(0)
	v_mad_i64_i32 v[10:11], s[20:21], s6, v0, 0
	s_mul_i32 s11, s19, s8
	s_mul_hi_u32 s19, s18, s8
	s_add_i32 s19, s19, s11
	s_mul_i32 s18, s18, s8
	v_lshlrev_b64 v[10:11], 3, v[10:11]
	v_ashrrev_i32_e32 v5, 31, v4
	s_lshl_b64 s[18:19], s[18:19], 3
	v_add_u32_e32 v8, v7, v6
	v_add_u32_e32 v9, 0x800, v6
	v_mov_b32_e32 v0, s19
	v_add_co_u32_e32 v10, vcc, s18, v10
	v_lshlrev_b64 v[5:6], 3, v[4:5]
	v_addc_co_u32_e32 v0, vcc, v0, v11, vcc
	v_add_co_u32_e32 v5, vcc, v10, v5
	v_addc_co_u32_e32 v0, vcc, v0, v6, vcc
	v_mov_b32_e32 v6, s15
	v_add_co_u32_e32 v5, vcc, s14, v5
	v_addc_co_u32_e32 v0, vcc, v6, v0, vcc
	v_add_co_u32_e32 v5, vcc, 4, v5
	v_addc_co_u32_e32 v6, vcc, 0, v0, vcc
	v_mad_i64_i32 v[0:1], s[14:15], s16, v1, 0
	s_mul_i32 s11, s13, s8
	s_mul_hi_u32 s13, s12, s8
	s_add_i32 s13, s13, s11
	s_mul_i32 s12, s12, s8
	v_lshlrev_b64 v[0:1], 3, v[0:1]
	s_lshl_b64 s[12:13], s[12:13], 3
	v_mov_b32_e32 v10, s13
	v_add_co_u32_e32 v11, vcc, s12, v0
	v_addc_co_u32_e32 v10, vcc, v10, v1, vcc
	v_lshlrev_b64 v[0:1], 3, v[2:3]
	s_ashr_i32 s17, s16, 31
	v_add_co_u32_e32 v0, vcc, v11, v0
	s_ashr_i32 s7, s6, 31
	v_addc_co_u32_e32 v1, vcc, v10, v1, vcc
	s_lshl_b64 s[6:7], s[6:7], 7
	v_mov_b32_e32 v10, s3
	v_add_co_u32_e32 v0, vcc, s2, v0
	s_lshl_b64 s[2:3], s[16:17], 7
	v_addc_co_u32_e32 v1, vcc, v10, v1, vcc
	v_mov_b32_e32 v12, 0
	v_mov_b32_e32 v10, s7
	;; [unrolled: 1-line block ×4, first 2 shown]
.LBB348_2:                              ; =>This Inner Loop Header: Depth=1
	global_load_dwordx2 v[14:15], v[0:1], off
	v_add_u32_e32 v16, v9, v7
	s_add_i32 s10, s10, 16
	s_cmp_lt_i32 s10, s9
	s_waitcnt vmcnt(0)
	ds_write_b64 v8, v[14:15]
	global_load_dwordx2 v[14:15], v[5:6], off offset:-4
	v_add_co_u32_e32 v5, vcc, s6, v5
	v_addc_co_u32_e32 v6, vcc, v6, v10, vcc
	v_add_co_u32_e32 v0, vcc, s2, v0
	v_addc_co_u32_e32 v1, vcc, v1, v11, vcc
	s_waitcnt vmcnt(0)
	v_xor_b32_e32 v15, 0x80000000, v15
	ds_write_b64 v16, v[14:15]
	s_waitcnt lgkmcnt(0)
	s_barrier
	ds_read2_b64 v[14:17], v7 offset1:16
	ds_read_b128 v[18:21], v9
	ds_read_b128 v[22:25], v9 offset:16
	ds_read_b128 v[26:29], v9 offset:32
	;; [unrolled: 1-line block ×3, first 2 shown]
	s_waitcnt lgkmcnt(3)
	v_mul_f32_e32 v34, v19, v15
	v_mul_f32_e32 v15, v18, v15
	v_fmac_f32_e32 v15, v19, v14
	v_fma_f32 v34, v18, v14, -v34
	v_add_f32_e32 v12, v12, v15
	v_mul_f32_e32 v14, v21, v17
	v_mul_f32_e32 v15, v20, v17
	v_add_f32_e32 v13, v13, v34
	v_fma_f32 v14, v20, v16, -v14
	v_fmac_f32_e32 v15, v21, v16
	v_add_f32_e32 v16, v13, v14
	v_add_f32_e32 v17, v12, v15
	ds_read2_b64 v[12:15], v7 offset0:32 offset1:48
	s_waitcnt lgkmcnt(0)
	v_mul_f32_e32 v18, v23, v13
	v_fma_f32 v18, v22, v12, -v18
	v_mul_f32_e32 v13, v22, v13
	v_fmac_f32_e32 v13, v23, v12
	v_add_f32_e32 v12, v16, v18
	v_mul_f32_e32 v16, v25, v15
	v_mul_f32_e32 v15, v24, v15
	v_add_f32_e32 v13, v17, v13
	v_fma_f32 v16, v24, v14, -v16
	v_fmac_f32_e32 v15, v25, v14
	v_add_f32_e32 v16, v12, v16
	v_add_f32_e32 v17, v13, v15
	ds_read2_b64 v[12:15], v7 offset0:64 offset1:80
	s_waitcnt lgkmcnt(0)
	v_mul_f32_e32 v18, v27, v13
	v_fma_f32 v18, v26, v12, -v18
	v_mul_f32_e32 v13, v26, v13
	v_fmac_f32_e32 v13, v27, v12
	;; [unrolled: 14-line block ×3, first 2 shown]
	v_add_f32_e32 v12, v16, v18
	v_mul_f32_e32 v16, v33, v15
	v_mul_f32_e32 v15, v32, v15
	v_add_f32_e32 v13, v17, v13
	v_fma_f32 v16, v32, v14, -v16
	v_fmac_f32_e32 v15, v33, v14
	v_add_f32_e32 v20, v12, v16
	v_add_f32_e32 v21, v13, v15
	ds_read2_b64 v[12:15], v7 offset0:128 offset1:144
	ds_read_b128 v[16:19], v9 offset:64
	s_waitcnt lgkmcnt(0)
	v_mul_f32_e32 v22, v17, v13
	v_mul_f32_e32 v13, v16, v13
	v_fma_f32 v22, v16, v12, -v22
	v_fmac_f32_e32 v13, v17, v12
	v_mul_f32_e32 v16, v19, v15
	v_mul_f32_e32 v15, v18, v15
	v_add_f32_e32 v12, v20, v22
	v_add_f32_e32 v13, v21, v13
	v_fma_f32 v16, v18, v14, -v16
	v_fmac_f32_e32 v15, v19, v14
	v_add_f32_e32 v20, v12, v16
	v_add_f32_e32 v21, v13, v15
	ds_read2_b64 v[12:15], v7 offset0:160 offset1:176
	ds_read_b128 v[16:19], v9 offset:80
	s_waitcnt lgkmcnt(0)
	v_mul_f32_e32 v22, v17, v13
	v_mul_f32_e32 v13, v16, v13
	v_fma_f32 v22, v16, v12, -v22
	v_fmac_f32_e32 v13, v17, v12
	v_mul_f32_e32 v16, v19, v15
	v_mul_f32_e32 v15, v18, v15
	v_add_f32_e32 v12, v20, v22
	;; [unrolled: 15-line block ×3, first 2 shown]
	v_add_f32_e32 v13, v21, v13
	v_fma_f32 v16, v18, v14, -v16
	v_fmac_f32_e32 v15, v19, v14
	v_add_f32_e32 v20, v12, v16
	v_add_f32_e32 v21, v13, v15
	ds_read2_b64 v[12:15], v7 offset0:224 offset1:240
	ds_read_b128 v[16:19], v9 offset:112
	s_waitcnt lgkmcnt(0)
	s_barrier
	v_mul_f32_e32 v22, v17, v13
	v_mul_f32_e32 v13, v16, v13
	v_fmac_f32_e32 v13, v17, v12
	v_fma_f32 v22, v16, v12, -v22
	v_add_f32_e32 v16, v21, v13
	v_mul_f32_e32 v13, v19, v15
	v_mul_f32_e32 v15, v18, v15
	v_add_f32_e32 v12, v20, v22
	v_fma_f32 v13, v18, v14, -v13
	v_fmac_f32_e32 v15, v19, v14
	v_add_f32_e32 v13, v12, v13
	v_add_f32_e32 v12, v16, v15
	s_cbranch_scc1 .LBB348_2
; %bb.3:
	v_cmp_le_i32_e32 vcc, v4, v2
	s_and_saveexec_b64 s[2:3], vcc
	s_cbranch_execnz .LBB348_6
.LBB348_4:
	s_endpgm
.LBB348_5:
	v_mov_b32_e32 v12, 0
	v_mov_b32_e32 v13, 0
	v_cmp_le_i32_e32 vcc, v4, v2
	s_and_saveexec_b64 s[2:3], vcc
	s_cbranch_execz .LBB348_4
.LBB348_6:
	s_load_dwordx2 s[2:3], s[4:5], 0x58
	s_load_dwordx2 s[6:7], s[4:5], 0x48
	s_load_dword s9, s[4:5], 0x50
	v_mul_f32_e32 v5, s1, v12
	v_mul_f32_e32 v6, s0, v12
	s_waitcnt lgkmcnt(0)
	s_mul_i32 s3, s3, s8
	s_mul_hi_u32 s4, s2, s8
	s_mul_i32 s2, s2, s8
	s_add_i32 s3, s4, s3
	s_lshl_b64 s[2:3], s[2:3], 3
	s_add_u32 s4, s6, s2
	s_addc_u32 s5, s7, s3
	v_mad_i64_i32 v[0:1], s[2:3], s9, v4, 0
	v_mov_b32_e32 v7, s5
	v_fma_f32 v5, v13, s0, -v5
	v_lshlrev_b64 v[0:1], 3, v[0:1]
	v_fmac_f32_e32 v6, s1, v13
	v_add_co_u32_e32 v8, vcc, s4, v0
	v_addc_co_u32_e32 v7, vcc, v7, v1, vcc
	v_lshlrev_b64 v[0:1], 3, v[2:3]
	v_add_co_u32_e32 v0, vcc, v8, v0
	v_addc_co_u32_e32 v1, vcc, v7, v1, vcc
	v_cmp_eq_u32_e32 vcc, v2, v4
	global_store_dwordx2 v[0:1], v[5:6], off
	s_and_b64 exec, exec, vcc
	s_cbranch_execz .LBB348_4
; %bb.7:
	v_mov_b32_e32 v2, 0
	global_store_dword v[0:1], v2, off offset:4
	s_endpgm
	.section	.rodata,"a",@progbits
	.p2align	6, 0x0
	.amdhsa_kernel _ZL41rocblas_syrkx_herkx_small_restrict_kernelIi19rocblas_complex_numIfELi16ELb1ELb1ELc78ELc76EKS1_S1_EviT_T0_PT6_S3_lS6_S3_lS4_PT7_S3_li
		.amdhsa_group_segment_fixed_size 4096
		.amdhsa_private_segment_fixed_size 0
		.amdhsa_kernarg_size 100
		.amdhsa_user_sgpr_count 6
		.amdhsa_user_sgpr_private_segment_buffer 1
		.amdhsa_user_sgpr_dispatch_ptr 0
		.amdhsa_user_sgpr_queue_ptr 0
		.amdhsa_user_sgpr_kernarg_segment_ptr 1
		.amdhsa_user_sgpr_dispatch_id 0
		.amdhsa_user_sgpr_flat_scratch_init 0
		.amdhsa_user_sgpr_private_segment_size 0
		.amdhsa_uses_dynamic_stack 0
		.amdhsa_system_sgpr_private_segment_wavefront_offset 0
		.amdhsa_system_sgpr_workgroup_id_x 1
		.amdhsa_system_sgpr_workgroup_id_y 1
		.amdhsa_system_sgpr_workgroup_id_z 1
		.amdhsa_system_sgpr_workgroup_info 0
		.amdhsa_system_vgpr_workitem_id 1
		.amdhsa_next_free_vgpr 35
		.amdhsa_next_free_sgpr 22
		.amdhsa_reserve_vcc 1
		.amdhsa_reserve_flat_scratch 0
		.amdhsa_float_round_mode_32 0
		.amdhsa_float_round_mode_16_64 0
		.amdhsa_float_denorm_mode_32 3
		.amdhsa_float_denorm_mode_16_64 3
		.amdhsa_dx10_clamp 1
		.amdhsa_ieee_mode 1
		.amdhsa_fp16_overflow 0
		.amdhsa_exception_fp_ieee_invalid_op 0
		.amdhsa_exception_fp_denorm_src 0
		.amdhsa_exception_fp_ieee_div_zero 0
		.amdhsa_exception_fp_ieee_overflow 0
		.amdhsa_exception_fp_ieee_underflow 0
		.amdhsa_exception_fp_ieee_inexact 0
		.amdhsa_exception_int_div_zero 0
	.end_amdhsa_kernel
	.section	.text._ZL41rocblas_syrkx_herkx_small_restrict_kernelIi19rocblas_complex_numIfELi16ELb1ELb1ELc78ELc76EKS1_S1_EviT_T0_PT6_S3_lS6_S3_lS4_PT7_S3_li,"axG",@progbits,_ZL41rocblas_syrkx_herkx_small_restrict_kernelIi19rocblas_complex_numIfELi16ELb1ELb1ELc78ELc76EKS1_S1_EviT_T0_PT6_S3_lS6_S3_lS4_PT7_S3_li,comdat
.Lfunc_end348:
	.size	_ZL41rocblas_syrkx_herkx_small_restrict_kernelIi19rocblas_complex_numIfELi16ELb1ELb1ELc78ELc76EKS1_S1_EviT_T0_PT6_S3_lS6_S3_lS4_PT7_S3_li, .Lfunc_end348-_ZL41rocblas_syrkx_herkx_small_restrict_kernelIi19rocblas_complex_numIfELi16ELb1ELb1ELc78ELc76EKS1_S1_EviT_T0_PT6_S3_lS6_S3_lS4_PT7_S3_li
                                        ; -- End function
	.set _ZL41rocblas_syrkx_herkx_small_restrict_kernelIi19rocblas_complex_numIfELi16ELb1ELb1ELc78ELc76EKS1_S1_EviT_T0_PT6_S3_lS6_S3_lS4_PT7_S3_li.num_vgpr, 35
	.set _ZL41rocblas_syrkx_herkx_small_restrict_kernelIi19rocblas_complex_numIfELi16ELb1ELb1ELc78ELc76EKS1_S1_EviT_T0_PT6_S3_lS6_S3_lS4_PT7_S3_li.num_agpr, 0
	.set _ZL41rocblas_syrkx_herkx_small_restrict_kernelIi19rocblas_complex_numIfELi16ELb1ELb1ELc78ELc76EKS1_S1_EviT_T0_PT6_S3_lS6_S3_lS4_PT7_S3_li.numbered_sgpr, 22
	.set _ZL41rocblas_syrkx_herkx_small_restrict_kernelIi19rocblas_complex_numIfELi16ELb1ELb1ELc78ELc76EKS1_S1_EviT_T0_PT6_S3_lS6_S3_lS4_PT7_S3_li.num_named_barrier, 0
	.set _ZL41rocblas_syrkx_herkx_small_restrict_kernelIi19rocblas_complex_numIfELi16ELb1ELb1ELc78ELc76EKS1_S1_EviT_T0_PT6_S3_lS6_S3_lS4_PT7_S3_li.private_seg_size, 0
	.set _ZL41rocblas_syrkx_herkx_small_restrict_kernelIi19rocblas_complex_numIfELi16ELb1ELb1ELc78ELc76EKS1_S1_EviT_T0_PT6_S3_lS6_S3_lS4_PT7_S3_li.uses_vcc, 1
	.set _ZL41rocblas_syrkx_herkx_small_restrict_kernelIi19rocblas_complex_numIfELi16ELb1ELb1ELc78ELc76EKS1_S1_EviT_T0_PT6_S3_lS6_S3_lS4_PT7_S3_li.uses_flat_scratch, 0
	.set _ZL41rocblas_syrkx_herkx_small_restrict_kernelIi19rocblas_complex_numIfELi16ELb1ELb1ELc78ELc76EKS1_S1_EviT_T0_PT6_S3_lS6_S3_lS4_PT7_S3_li.has_dyn_sized_stack, 0
	.set _ZL41rocblas_syrkx_herkx_small_restrict_kernelIi19rocblas_complex_numIfELi16ELb1ELb1ELc78ELc76EKS1_S1_EviT_T0_PT6_S3_lS6_S3_lS4_PT7_S3_li.has_recursion, 0
	.set _ZL41rocblas_syrkx_herkx_small_restrict_kernelIi19rocblas_complex_numIfELi16ELb1ELb1ELc78ELc76EKS1_S1_EviT_T0_PT6_S3_lS6_S3_lS4_PT7_S3_li.has_indirect_call, 0
	.section	.AMDGPU.csdata,"",@progbits
; Kernel info:
; codeLenInByte = 1196
; TotalNumSgprs: 26
; NumVgprs: 35
; ScratchSize: 0
; MemoryBound: 0
; FloatMode: 240
; IeeeMode: 1
; LDSByteSize: 4096 bytes/workgroup (compile time only)
; SGPRBlocks: 3
; VGPRBlocks: 8
; NumSGPRsForWavesPerEU: 26
; NumVGPRsForWavesPerEU: 35
; Occupancy: 7
; WaveLimiterHint : 0
; COMPUTE_PGM_RSRC2:SCRATCH_EN: 0
; COMPUTE_PGM_RSRC2:USER_SGPR: 6
; COMPUTE_PGM_RSRC2:TRAP_HANDLER: 0
; COMPUTE_PGM_RSRC2:TGID_X_EN: 1
; COMPUTE_PGM_RSRC2:TGID_Y_EN: 1
; COMPUTE_PGM_RSRC2:TGID_Z_EN: 1
; COMPUTE_PGM_RSRC2:TIDIG_COMP_CNT: 1
	.section	.text._ZL41rocblas_syrkx_herkx_small_restrict_kernelIi19rocblas_complex_numIfELi16ELb1ELb1ELc84ELc85EKS1_S1_EviT_T0_PT6_S3_lS6_S3_lS4_PT7_S3_li,"axG",@progbits,_ZL41rocblas_syrkx_herkx_small_restrict_kernelIi19rocblas_complex_numIfELi16ELb1ELb1ELc84ELc85EKS1_S1_EviT_T0_PT6_S3_lS6_S3_lS4_PT7_S3_li,comdat
	.globl	_ZL41rocblas_syrkx_herkx_small_restrict_kernelIi19rocblas_complex_numIfELi16ELb1ELb1ELc84ELc85EKS1_S1_EviT_T0_PT6_S3_lS6_S3_lS4_PT7_S3_li ; -- Begin function _ZL41rocblas_syrkx_herkx_small_restrict_kernelIi19rocblas_complex_numIfELi16ELb1ELb1ELc84ELc85EKS1_S1_EviT_T0_PT6_S3_lS6_S3_lS4_PT7_S3_li
	.p2align	8
	.type	_ZL41rocblas_syrkx_herkx_small_restrict_kernelIi19rocblas_complex_numIfELi16ELb1ELb1ELc84ELc85EKS1_S1_EviT_T0_PT6_S3_lS6_S3_lS4_PT7_S3_li,@function
_ZL41rocblas_syrkx_herkx_small_restrict_kernelIi19rocblas_complex_numIfELi16ELb1ELb1ELc84ELc85EKS1_S1_EviT_T0_PT6_S3_lS6_S3_lS4_PT7_S3_li: ; @_ZL41rocblas_syrkx_herkx_small_restrict_kernelIi19rocblas_complex_numIfELi16ELb1ELb1ELc84ELc85EKS1_S1_EviT_T0_PT6_S3_lS6_S3_lS4_PT7_S3_li
; %bb.0:
	s_load_dword s9, s[4:5], 0x4
	s_load_dwordx4 s[0:3], s[4:5], 0x8
	s_mov_b32 s10, 0
	v_lshl_add_u32 v2, s6, 4, v0
	v_lshl_add_u32 v5, s7, 4, v1
	s_waitcnt lgkmcnt(0)
	s_cmp_lt_i32 s9, 1
	s_cbranch_scc1 .LBB349_5
; %bb.1:
	s_load_dword s11, s[4:5], 0x18
	s_load_dwordx4 s[12:15], s[4:5], 0x20
	s_load_dword s16, s[4:5], 0x30
	s_load_dwordx2 s[6:7], s[4:5], 0x38
	v_lshlrev_b32_e32 v6, 3, v0
	v_lshlrev_b32_e32 v8, 7, v1
	;; [unrolled: 1-line block ×3, first 2 shown]
	s_waitcnt lgkmcnt(0)
	v_mad_i64_i32 v[3:4], s[16:17], s16, v5, 0
	s_mul_i32 s7, s7, s8
	s_mul_hi_u32 s16, s6, s8
	v_lshlrev_b64 v[3:4], 3, v[3:4]
	s_add_i32 s7, s16, s7
	s_mul_i32 s6, s6, s8
	s_lshl_b64 s[6:7], s[6:7], 3
	v_mov_b32_e32 v0, s7
	v_add_co_u32_e32 v3, vcc, s6, v3
	v_mad_i64_i32 v[11:12], s[6:7], s11, v2, 0
	v_addc_co_u32_e32 v0, vcc, v4, v0, vcc
	v_add_co_u32_e32 v3, vcc, v3, v6
	v_addc_co_u32_e32 v0, vcc, 0, v0, vcc
	s_mul_i32 s6, s13, s8
	s_mul_hi_u32 s7, s12, s8
	v_mov_b32_e32 v4, s15
	v_add_co_u32_e32 v3, vcc, s14, v3
	v_lshlrev_b64 v[11:12], 3, v[11:12]
	s_add_i32 s7, s7, s6
	s_mul_i32 s6, s12, s8
	v_addc_co_u32_e32 v4, vcc, v4, v0, vcc
	s_lshl_b64 s[6:7], s[6:7], 3
	v_mov_b32_e32 v0, s7
	v_add_co_u32_e32 v11, vcc, s6, v11
	v_addc_co_u32_e32 v0, vcc, v12, v0, vcc
	v_add_co_u32_e32 v1, vcc, v11, v1
	v_addc_co_u32_e32 v11, vcc, 0, v0, vcc
	v_add_u32_e32 v7, v6, v8
	v_add_u32_e32 v8, 0x800, v8
	v_mov_b32_e32 v12, s3
	v_add_co_u32_e32 v0, vcc, s2, v1
	v_add_u32_e32 v9, v8, v6
	v_mov_b32_e32 v10, 0
	v_addc_co_u32_e32 v1, vcc, v12, v11, vcc
	v_mov_b32_e32 v11, 0
.LBB349_2:                              ; =>This Inner Loop Header: Depth=1
	global_load_dwordx2 v[12:13], v[0:1], off
	s_add_i32 s10, s10, 16
	s_cmp_lt_i32 s10, s9
	s_waitcnt vmcnt(0)
	ds_write_b64 v7, v[12:13]
	global_load_dwordx2 v[12:13], v[3:4], off
	v_add_co_u32_e32 v3, vcc, 0x80, v3
	v_addc_co_u32_e32 v4, vcc, 0, v4, vcc
	v_add_co_u32_e32 v0, vcc, 0x80, v0
	v_addc_co_u32_e32 v1, vcc, 0, v1, vcc
	s_waitcnt vmcnt(0)
	ds_write_b64 v9, v[12:13]
	s_waitcnt lgkmcnt(0)
	s_barrier
	ds_read2_b64 v[12:15], v6 offset1:16
	ds_read_b128 v[16:19], v8
	ds_read_b128 v[20:23], v8 offset:16
	ds_read_b128 v[24:27], v8 offset:32
	;; [unrolled: 1-line block ×3, first 2 shown]
	s_waitcnt lgkmcnt(3)
	v_mul_f32_e32 v32, v17, v13
	v_mul_f32_e32 v13, v16, v13
	v_fmac_f32_e32 v13, v17, v12
	v_fma_f32 v32, v16, v12, -v32
	v_add_f32_e32 v10, v10, v13
	v_mul_f32_e32 v12, v19, v15
	v_mul_f32_e32 v13, v18, v15
	v_add_f32_e32 v11, v11, v32
	v_fma_f32 v12, v18, v14, -v12
	v_fmac_f32_e32 v13, v19, v14
	v_add_f32_e32 v14, v11, v12
	v_add_f32_e32 v15, v10, v13
	ds_read2_b64 v[10:13], v6 offset0:32 offset1:48
	s_waitcnt lgkmcnt(0)
	v_mul_f32_e32 v16, v21, v11
	v_fma_f32 v16, v20, v10, -v16
	v_mul_f32_e32 v11, v20, v11
	v_fmac_f32_e32 v11, v21, v10
	v_add_f32_e32 v10, v14, v16
	v_mul_f32_e32 v14, v23, v13
	v_mul_f32_e32 v13, v22, v13
	v_add_f32_e32 v11, v15, v11
	v_fma_f32 v14, v22, v12, -v14
	v_fmac_f32_e32 v13, v23, v12
	v_add_f32_e32 v14, v10, v14
	v_add_f32_e32 v15, v11, v13
	ds_read2_b64 v[10:13], v6 offset0:64 offset1:80
	s_waitcnt lgkmcnt(0)
	v_mul_f32_e32 v16, v25, v11
	v_fma_f32 v16, v24, v10, -v16
	v_mul_f32_e32 v11, v24, v11
	v_fmac_f32_e32 v11, v25, v10
	;; [unrolled: 14-line block ×3, first 2 shown]
	v_add_f32_e32 v10, v14, v16
	v_mul_f32_e32 v14, v31, v13
	v_mul_f32_e32 v13, v30, v13
	v_add_f32_e32 v11, v15, v11
	v_fma_f32 v14, v30, v12, -v14
	v_fmac_f32_e32 v13, v31, v12
	v_add_f32_e32 v18, v10, v14
	v_add_f32_e32 v19, v11, v13
	ds_read2_b64 v[10:13], v6 offset0:128 offset1:144
	ds_read_b128 v[14:17], v8 offset:64
	s_waitcnt lgkmcnt(0)
	v_mul_f32_e32 v20, v15, v11
	v_mul_f32_e32 v11, v14, v11
	v_fma_f32 v20, v14, v10, -v20
	v_fmac_f32_e32 v11, v15, v10
	v_mul_f32_e32 v14, v17, v13
	v_mul_f32_e32 v13, v16, v13
	v_add_f32_e32 v10, v18, v20
	v_add_f32_e32 v11, v19, v11
	v_fma_f32 v14, v16, v12, -v14
	v_fmac_f32_e32 v13, v17, v12
	v_add_f32_e32 v18, v10, v14
	v_add_f32_e32 v19, v11, v13
	ds_read2_b64 v[10:13], v6 offset0:160 offset1:176
	ds_read_b128 v[14:17], v8 offset:80
	s_waitcnt lgkmcnt(0)
	v_mul_f32_e32 v20, v15, v11
	v_mul_f32_e32 v11, v14, v11
	v_fma_f32 v20, v14, v10, -v20
	v_fmac_f32_e32 v11, v15, v10
	v_mul_f32_e32 v14, v17, v13
	v_mul_f32_e32 v13, v16, v13
	v_add_f32_e32 v10, v18, v20
	;; [unrolled: 15-line block ×3, first 2 shown]
	v_add_f32_e32 v11, v19, v11
	v_fma_f32 v14, v16, v12, -v14
	v_fmac_f32_e32 v13, v17, v12
	v_add_f32_e32 v18, v10, v14
	v_add_f32_e32 v19, v11, v13
	ds_read2_b64 v[10:13], v6 offset0:224 offset1:240
	ds_read_b128 v[14:17], v8 offset:112
	s_waitcnt lgkmcnt(0)
	s_barrier
	v_mul_f32_e32 v20, v15, v11
	v_mul_f32_e32 v11, v14, v11
	v_fmac_f32_e32 v11, v15, v10
	v_fma_f32 v20, v14, v10, -v20
	v_add_f32_e32 v14, v19, v11
	v_mul_f32_e32 v11, v17, v13
	v_mul_f32_e32 v13, v16, v13
	v_add_f32_e32 v10, v18, v20
	v_fma_f32 v11, v16, v12, -v11
	v_fmac_f32_e32 v13, v17, v12
	v_add_f32_e32 v11, v10, v11
	v_add_f32_e32 v10, v14, v13
	s_cbranch_scc1 .LBB349_2
; %bb.3:
	v_cmp_le_i32_e32 vcc, v2, v5
	s_and_saveexec_b64 s[2:3], vcc
	s_cbranch_execnz .LBB349_6
.LBB349_4:
	s_endpgm
.LBB349_5:
	v_mov_b32_e32 v10, 0
	v_mov_b32_e32 v11, 0
	v_cmp_le_i32_e32 vcc, v2, v5
	s_and_saveexec_b64 s[2:3], vcc
	s_cbranch_execz .LBB349_4
.LBB349_6:
	s_load_dwordx2 s[2:3], s[4:5], 0x58
	s_load_dwordx2 s[6:7], s[4:5], 0x48
	s_load_dword s9, s[4:5], 0x50
	v_mul_f32_e32 v0, s1, v10
	v_fma_f32 v6, v11, s0, -v0
	s_waitcnt lgkmcnt(0)
	s_mul_i32 s3, s3, s8
	s_mul_hi_u32 s4, s2, s8
	s_mul_i32 s2, s2, s8
	s_add_i32 s3, s4, s3
	s_lshl_b64 s[2:3], s[2:3], 3
	s_add_u32 s4, s6, s2
	s_addc_u32 s5, s7, s3
	v_mad_i64_i32 v[0:1], s[2:3], s9, v5, 0
	v_ashrrev_i32_e32 v3, 31, v2
	v_mov_b32_e32 v4, s5
	v_lshlrev_b64 v[0:1], 3, v[0:1]
	v_mul_f32_e32 v7, s0, v10
	v_add_co_u32_e32 v8, vcc, s4, v0
	v_addc_co_u32_e32 v4, vcc, v4, v1, vcc
	v_lshlrev_b64 v[0:1], 3, v[2:3]
	v_fmac_f32_e32 v7, s1, v11
	v_add_co_u32_e32 v0, vcc, v8, v0
	v_addc_co_u32_e32 v1, vcc, v4, v1, vcc
	v_cmp_eq_u32_e32 vcc, v2, v5
	global_store_dwordx2 v[0:1], v[6:7], off
	s_and_b64 exec, exec, vcc
	s_cbranch_execz .LBB349_4
; %bb.7:
	v_mov_b32_e32 v2, 0
	global_store_dword v[0:1], v2, off offset:4
	s_endpgm
	.section	.rodata,"a",@progbits
	.p2align	6, 0x0
	.amdhsa_kernel _ZL41rocblas_syrkx_herkx_small_restrict_kernelIi19rocblas_complex_numIfELi16ELb1ELb1ELc84ELc85EKS1_S1_EviT_T0_PT6_S3_lS6_S3_lS4_PT7_S3_li
		.amdhsa_group_segment_fixed_size 4096
		.amdhsa_private_segment_fixed_size 0
		.amdhsa_kernarg_size 100
		.amdhsa_user_sgpr_count 6
		.amdhsa_user_sgpr_private_segment_buffer 1
		.amdhsa_user_sgpr_dispatch_ptr 0
		.amdhsa_user_sgpr_queue_ptr 0
		.amdhsa_user_sgpr_kernarg_segment_ptr 1
		.amdhsa_user_sgpr_dispatch_id 0
		.amdhsa_user_sgpr_flat_scratch_init 0
		.amdhsa_user_sgpr_private_segment_size 0
		.amdhsa_uses_dynamic_stack 0
		.amdhsa_system_sgpr_private_segment_wavefront_offset 0
		.amdhsa_system_sgpr_workgroup_id_x 1
		.amdhsa_system_sgpr_workgroup_id_y 1
		.amdhsa_system_sgpr_workgroup_id_z 1
		.amdhsa_system_sgpr_workgroup_info 0
		.amdhsa_system_vgpr_workitem_id 1
		.amdhsa_next_free_vgpr 33
		.amdhsa_next_free_sgpr 18
		.amdhsa_reserve_vcc 1
		.amdhsa_reserve_flat_scratch 0
		.amdhsa_float_round_mode_32 0
		.amdhsa_float_round_mode_16_64 0
		.amdhsa_float_denorm_mode_32 3
		.amdhsa_float_denorm_mode_16_64 3
		.amdhsa_dx10_clamp 1
		.amdhsa_ieee_mode 1
		.amdhsa_fp16_overflow 0
		.amdhsa_exception_fp_ieee_invalid_op 0
		.amdhsa_exception_fp_denorm_src 0
		.amdhsa_exception_fp_ieee_div_zero 0
		.amdhsa_exception_fp_ieee_overflow 0
		.amdhsa_exception_fp_ieee_underflow 0
		.amdhsa_exception_fp_ieee_inexact 0
		.amdhsa_exception_int_div_zero 0
	.end_amdhsa_kernel
	.section	.text._ZL41rocblas_syrkx_herkx_small_restrict_kernelIi19rocblas_complex_numIfELi16ELb1ELb1ELc84ELc85EKS1_S1_EviT_T0_PT6_S3_lS6_S3_lS4_PT7_S3_li,"axG",@progbits,_ZL41rocblas_syrkx_herkx_small_restrict_kernelIi19rocblas_complex_numIfELi16ELb1ELb1ELc84ELc85EKS1_S1_EviT_T0_PT6_S3_lS6_S3_lS4_PT7_S3_li,comdat
.Lfunc_end349:
	.size	_ZL41rocblas_syrkx_herkx_small_restrict_kernelIi19rocblas_complex_numIfELi16ELb1ELb1ELc84ELc85EKS1_S1_EviT_T0_PT6_S3_lS6_S3_lS4_PT7_S3_li, .Lfunc_end349-_ZL41rocblas_syrkx_herkx_small_restrict_kernelIi19rocblas_complex_numIfELi16ELb1ELb1ELc84ELc85EKS1_S1_EviT_T0_PT6_S3_lS6_S3_lS4_PT7_S3_li
                                        ; -- End function
	.set _ZL41rocblas_syrkx_herkx_small_restrict_kernelIi19rocblas_complex_numIfELi16ELb1ELb1ELc84ELc85EKS1_S1_EviT_T0_PT6_S3_lS6_S3_lS4_PT7_S3_li.num_vgpr, 33
	.set _ZL41rocblas_syrkx_herkx_small_restrict_kernelIi19rocblas_complex_numIfELi16ELb1ELb1ELc84ELc85EKS1_S1_EviT_T0_PT6_S3_lS6_S3_lS4_PT7_S3_li.num_agpr, 0
	.set _ZL41rocblas_syrkx_herkx_small_restrict_kernelIi19rocblas_complex_numIfELi16ELb1ELb1ELc84ELc85EKS1_S1_EviT_T0_PT6_S3_lS6_S3_lS4_PT7_S3_li.numbered_sgpr, 18
	.set _ZL41rocblas_syrkx_herkx_small_restrict_kernelIi19rocblas_complex_numIfELi16ELb1ELb1ELc84ELc85EKS1_S1_EviT_T0_PT6_S3_lS6_S3_lS4_PT7_S3_li.num_named_barrier, 0
	.set _ZL41rocblas_syrkx_herkx_small_restrict_kernelIi19rocblas_complex_numIfELi16ELb1ELb1ELc84ELc85EKS1_S1_EviT_T0_PT6_S3_lS6_S3_lS4_PT7_S3_li.private_seg_size, 0
	.set _ZL41rocblas_syrkx_herkx_small_restrict_kernelIi19rocblas_complex_numIfELi16ELb1ELb1ELc84ELc85EKS1_S1_EviT_T0_PT6_S3_lS6_S3_lS4_PT7_S3_li.uses_vcc, 1
	.set _ZL41rocblas_syrkx_herkx_small_restrict_kernelIi19rocblas_complex_numIfELi16ELb1ELb1ELc84ELc85EKS1_S1_EviT_T0_PT6_S3_lS6_S3_lS4_PT7_S3_li.uses_flat_scratch, 0
	.set _ZL41rocblas_syrkx_herkx_small_restrict_kernelIi19rocblas_complex_numIfELi16ELb1ELb1ELc84ELc85EKS1_S1_EviT_T0_PT6_S3_lS6_S3_lS4_PT7_S3_li.has_dyn_sized_stack, 0
	.set _ZL41rocblas_syrkx_herkx_small_restrict_kernelIi19rocblas_complex_numIfELi16ELb1ELb1ELc84ELc85EKS1_S1_EviT_T0_PT6_S3_lS6_S3_lS4_PT7_S3_li.has_recursion, 0
	.set _ZL41rocblas_syrkx_herkx_small_restrict_kernelIi19rocblas_complex_numIfELi16ELb1ELb1ELc84ELc85EKS1_S1_EviT_T0_PT6_S3_lS6_S3_lS4_PT7_S3_li.has_indirect_call, 0
	.section	.AMDGPU.csdata,"",@progbits
; Kernel info:
; codeLenInByte = 1148
; TotalNumSgprs: 22
; NumVgprs: 33
; ScratchSize: 0
; MemoryBound: 0
; FloatMode: 240
; IeeeMode: 1
; LDSByteSize: 4096 bytes/workgroup (compile time only)
; SGPRBlocks: 2
; VGPRBlocks: 8
; NumSGPRsForWavesPerEU: 22
; NumVGPRsForWavesPerEU: 33
; Occupancy: 7
; WaveLimiterHint : 0
; COMPUTE_PGM_RSRC2:SCRATCH_EN: 0
; COMPUTE_PGM_RSRC2:USER_SGPR: 6
; COMPUTE_PGM_RSRC2:TRAP_HANDLER: 0
; COMPUTE_PGM_RSRC2:TGID_X_EN: 1
; COMPUTE_PGM_RSRC2:TGID_Y_EN: 1
; COMPUTE_PGM_RSRC2:TGID_Z_EN: 1
; COMPUTE_PGM_RSRC2:TIDIG_COMP_CNT: 1
	.section	.text._ZL41rocblas_syrkx_herkx_small_restrict_kernelIi19rocblas_complex_numIfELi16ELb1ELb1ELc67ELc85EKS1_S1_EviT_T0_PT6_S3_lS6_S3_lS4_PT7_S3_li,"axG",@progbits,_ZL41rocblas_syrkx_herkx_small_restrict_kernelIi19rocblas_complex_numIfELi16ELb1ELb1ELc67ELc85EKS1_S1_EviT_T0_PT6_S3_lS6_S3_lS4_PT7_S3_li,comdat
	.globl	_ZL41rocblas_syrkx_herkx_small_restrict_kernelIi19rocblas_complex_numIfELi16ELb1ELb1ELc67ELc85EKS1_S1_EviT_T0_PT6_S3_lS6_S3_lS4_PT7_S3_li ; -- Begin function _ZL41rocblas_syrkx_herkx_small_restrict_kernelIi19rocblas_complex_numIfELi16ELb1ELb1ELc67ELc85EKS1_S1_EviT_T0_PT6_S3_lS6_S3_lS4_PT7_S3_li
	.p2align	8
	.type	_ZL41rocblas_syrkx_herkx_small_restrict_kernelIi19rocblas_complex_numIfELi16ELb1ELb1ELc67ELc85EKS1_S1_EviT_T0_PT6_S3_lS6_S3_lS4_PT7_S3_li,@function
_ZL41rocblas_syrkx_herkx_small_restrict_kernelIi19rocblas_complex_numIfELi16ELb1ELb1ELc67ELc85EKS1_S1_EviT_T0_PT6_S3_lS6_S3_lS4_PT7_S3_li: ; @_ZL41rocblas_syrkx_herkx_small_restrict_kernelIi19rocblas_complex_numIfELi16ELb1ELb1ELc67ELc85EKS1_S1_EviT_T0_PT6_S3_lS6_S3_lS4_PT7_S3_li
; %bb.0:
	s_load_dword s9, s[4:5], 0x4
	s_load_dwordx4 s[0:3], s[4:5], 0x8
	s_mov_b32 s10, 0
	v_lshl_add_u32 v2, s6, 4, v0
	v_lshl_add_u32 v5, s7, 4, v1
	s_waitcnt lgkmcnt(0)
	s_cmp_lt_i32 s9, 1
	s_cbranch_scc1 .LBB350_5
; %bb.1:
	s_load_dword s11, s[4:5], 0x18
	s_load_dwordx4 s[12:15], s[4:5], 0x20
	s_load_dword s16, s[4:5], 0x30
	s_load_dwordx2 s[6:7], s[4:5], 0x38
	v_lshlrev_b32_e32 v6, 3, v0
	v_lshlrev_b32_e32 v8, 7, v1
	;; [unrolled: 1-line block ×3, first 2 shown]
	s_waitcnt lgkmcnt(0)
	v_mad_i64_i32 v[3:4], s[16:17], s16, v5, 0
	s_mul_i32 s7, s7, s8
	s_mul_hi_u32 s16, s6, s8
	v_lshlrev_b64 v[3:4], 3, v[3:4]
	s_add_i32 s7, s16, s7
	s_mul_i32 s6, s6, s8
	s_lshl_b64 s[6:7], s[6:7], 3
	v_mov_b32_e32 v0, s7
	v_add_co_u32_e32 v3, vcc, s6, v3
	v_mad_i64_i32 v[11:12], s[6:7], s11, v2, 0
	v_addc_co_u32_e32 v0, vcc, v4, v0, vcc
	v_add_co_u32_e32 v3, vcc, v3, v6
	v_addc_co_u32_e32 v0, vcc, 0, v0, vcc
	s_mul_i32 s6, s13, s8
	s_mul_hi_u32 s7, s12, s8
	v_mov_b32_e32 v4, s15
	v_add_co_u32_e32 v3, vcc, s14, v3
	v_lshlrev_b64 v[11:12], 3, v[11:12]
	s_add_i32 s7, s7, s6
	s_mul_i32 s6, s12, s8
	v_addc_co_u32_e32 v4, vcc, v4, v0, vcc
	s_lshl_b64 s[6:7], s[6:7], 3
	v_mov_b32_e32 v0, s7
	v_add_co_u32_e32 v11, vcc, s6, v11
	v_addc_co_u32_e32 v0, vcc, v12, v0, vcc
	v_add_co_u32_e32 v1, vcc, v11, v1
	v_addc_co_u32_e32 v0, vcc, 0, v0, vcc
	v_mov_b32_e32 v11, s3
	v_add_co_u32_e32 v1, vcc, s2, v1
	v_addc_co_u32_e32 v11, vcc, v11, v0, vcc
	v_add_u32_e32 v7, v6, v8
	v_add_u32_e32 v8, 0x800, v8
	v_add_co_u32_e32 v0, vcc, 4, v1
	v_add_u32_e32 v9, v8, v6
	v_mov_b32_e32 v10, 0
	v_addc_co_u32_e32 v1, vcc, 0, v11, vcc
	v_mov_b32_e32 v11, 0
.LBB350_2:                              ; =>This Inner Loop Header: Depth=1
	global_load_dwordx2 v[12:13], v[0:1], off offset:-4
	s_add_i32 s10, s10, 16
	s_cmp_lt_i32 s10, s9
	s_waitcnt vmcnt(0)
	v_xor_b32_e32 v13, 0x80000000, v13
	ds_write_b64 v7, v[12:13]
	global_load_dwordx2 v[12:13], v[3:4], off
	v_add_co_u32_e32 v3, vcc, 0x80, v3
	v_addc_co_u32_e32 v4, vcc, 0, v4, vcc
	v_add_co_u32_e32 v0, vcc, 0x80, v0
	v_addc_co_u32_e32 v1, vcc, 0, v1, vcc
	s_waitcnt vmcnt(0)
	ds_write_b64 v9, v[12:13]
	s_waitcnt lgkmcnt(0)
	s_barrier
	ds_read2_b64 v[12:15], v6 offset1:16
	ds_read_b128 v[16:19], v8
	ds_read_b128 v[20:23], v8 offset:16
	ds_read_b128 v[24:27], v8 offset:32
	;; [unrolled: 1-line block ×3, first 2 shown]
	s_waitcnt lgkmcnt(3)
	v_mul_f32_e32 v32, v17, v13
	v_mul_f32_e32 v13, v16, v13
	v_fmac_f32_e32 v13, v17, v12
	v_fma_f32 v32, v16, v12, -v32
	v_add_f32_e32 v10, v10, v13
	v_mul_f32_e32 v12, v19, v15
	v_mul_f32_e32 v13, v18, v15
	v_add_f32_e32 v11, v11, v32
	v_fma_f32 v12, v18, v14, -v12
	v_fmac_f32_e32 v13, v19, v14
	v_add_f32_e32 v14, v11, v12
	v_add_f32_e32 v15, v10, v13
	ds_read2_b64 v[10:13], v6 offset0:32 offset1:48
	s_waitcnt lgkmcnt(0)
	v_mul_f32_e32 v16, v21, v11
	v_fma_f32 v16, v20, v10, -v16
	v_mul_f32_e32 v11, v20, v11
	v_fmac_f32_e32 v11, v21, v10
	v_add_f32_e32 v10, v14, v16
	v_mul_f32_e32 v14, v23, v13
	v_mul_f32_e32 v13, v22, v13
	v_add_f32_e32 v11, v15, v11
	v_fma_f32 v14, v22, v12, -v14
	v_fmac_f32_e32 v13, v23, v12
	v_add_f32_e32 v14, v10, v14
	v_add_f32_e32 v15, v11, v13
	ds_read2_b64 v[10:13], v6 offset0:64 offset1:80
	s_waitcnt lgkmcnt(0)
	v_mul_f32_e32 v16, v25, v11
	v_fma_f32 v16, v24, v10, -v16
	v_mul_f32_e32 v11, v24, v11
	v_fmac_f32_e32 v11, v25, v10
	;; [unrolled: 14-line block ×3, first 2 shown]
	v_add_f32_e32 v10, v14, v16
	v_mul_f32_e32 v14, v31, v13
	v_mul_f32_e32 v13, v30, v13
	v_add_f32_e32 v11, v15, v11
	v_fma_f32 v14, v30, v12, -v14
	v_fmac_f32_e32 v13, v31, v12
	v_add_f32_e32 v18, v10, v14
	v_add_f32_e32 v19, v11, v13
	ds_read2_b64 v[10:13], v6 offset0:128 offset1:144
	ds_read_b128 v[14:17], v8 offset:64
	s_waitcnt lgkmcnt(0)
	v_mul_f32_e32 v20, v15, v11
	v_mul_f32_e32 v11, v14, v11
	v_fma_f32 v20, v14, v10, -v20
	v_fmac_f32_e32 v11, v15, v10
	v_mul_f32_e32 v14, v17, v13
	v_mul_f32_e32 v13, v16, v13
	v_add_f32_e32 v10, v18, v20
	v_add_f32_e32 v11, v19, v11
	v_fma_f32 v14, v16, v12, -v14
	v_fmac_f32_e32 v13, v17, v12
	v_add_f32_e32 v18, v10, v14
	v_add_f32_e32 v19, v11, v13
	ds_read2_b64 v[10:13], v6 offset0:160 offset1:176
	ds_read_b128 v[14:17], v8 offset:80
	s_waitcnt lgkmcnt(0)
	v_mul_f32_e32 v20, v15, v11
	v_mul_f32_e32 v11, v14, v11
	v_fma_f32 v20, v14, v10, -v20
	v_fmac_f32_e32 v11, v15, v10
	v_mul_f32_e32 v14, v17, v13
	v_mul_f32_e32 v13, v16, v13
	v_add_f32_e32 v10, v18, v20
	;; [unrolled: 15-line block ×3, first 2 shown]
	v_add_f32_e32 v11, v19, v11
	v_fma_f32 v14, v16, v12, -v14
	v_fmac_f32_e32 v13, v17, v12
	v_add_f32_e32 v18, v10, v14
	v_add_f32_e32 v19, v11, v13
	ds_read2_b64 v[10:13], v6 offset0:224 offset1:240
	ds_read_b128 v[14:17], v8 offset:112
	s_waitcnt lgkmcnt(0)
	s_barrier
	v_mul_f32_e32 v20, v15, v11
	v_mul_f32_e32 v11, v14, v11
	v_fmac_f32_e32 v11, v15, v10
	v_fma_f32 v20, v14, v10, -v20
	v_add_f32_e32 v14, v19, v11
	v_mul_f32_e32 v11, v17, v13
	v_mul_f32_e32 v13, v16, v13
	v_add_f32_e32 v10, v18, v20
	v_fma_f32 v11, v16, v12, -v11
	v_fmac_f32_e32 v13, v17, v12
	v_add_f32_e32 v11, v10, v11
	v_add_f32_e32 v10, v14, v13
	s_cbranch_scc1 .LBB350_2
; %bb.3:
	v_cmp_le_i32_e32 vcc, v2, v5
	s_and_saveexec_b64 s[2:3], vcc
	s_cbranch_execnz .LBB350_6
.LBB350_4:
	s_endpgm
.LBB350_5:
	v_mov_b32_e32 v10, 0
	v_mov_b32_e32 v11, 0
	v_cmp_le_i32_e32 vcc, v2, v5
	s_and_saveexec_b64 s[2:3], vcc
	s_cbranch_execz .LBB350_4
.LBB350_6:
	s_load_dwordx2 s[2:3], s[4:5], 0x58
	s_load_dwordx2 s[6:7], s[4:5], 0x48
	s_load_dword s9, s[4:5], 0x50
	v_mul_f32_e32 v0, s1, v10
	v_fma_f32 v6, v11, s0, -v0
	s_waitcnt lgkmcnt(0)
	s_mul_i32 s3, s3, s8
	s_mul_hi_u32 s4, s2, s8
	s_mul_i32 s2, s2, s8
	s_add_i32 s3, s4, s3
	s_lshl_b64 s[2:3], s[2:3], 3
	s_add_u32 s4, s6, s2
	s_addc_u32 s5, s7, s3
	v_mad_i64_i32 v[0:1], s[2:3], s9, v5, 0
	v_ashrrev_i32_e32 v3, 31, v2
	v_mov_b32_e32 v4, s5
	v_lshlrev_b64 v[0:1], 3, v[0:1]
	v_mul_f32_e32 v7, s0, v10
	v_add_co_u32_e32 v8, vcc, s4, v0
	v_addc_co_u32_e32 v4, vcc, v4, v1, vcc
	v_lshlrev_b64 v[0:1], 3, v[2:3]
	v_fmac_f32_e32 v7, s1, v11
	v_add_co_u32_e32 v0, vcc, v8, v0
	v_addc_co_u32_e32 v1, vcc, v4, v1, vcc
	v_cmp_eq_u32_e32 vcc, v2, v5
	global_store_dwordx2 v[0:1], v[6:7], off
	s_and_b64 exec, exec, vcc
	s_cbranch_execz .LBB350_4
; %bb.7:
	v_mov_b32_e32 v2, 0
	global_store_dword v[0:1], v2, off offset:4
	s_endpgm
	.section	.rodata,"a",@progbits
	.p2align	6, 0x0
	.amdhsa_kernel _ZL41rocblas_syrkx_herkx_small_restrict_kernelIi19rocblas_complex_numIfELi16ELb1ELb1ELc67ELc85EKS1_S1_EviT_T0_PT6_S3_lS6_S3_lS4_PT7_S3_li
		.amdhsa_group_segment_fixed_size 4096
		.amdhsa_private_segment_fixed_size 0
		.amdhsa_kernarg_size 100
		.amdhsa_user_sgpr_count 6
		.amdhsa_user_sgpr_private_segment_buffer 1
		.amdhsa_user_sgpr_dispatch_ptr 0
		.amdhsa_user_sgpr_queue_ptr 0
		.amdhsa_user_sgpr_kernarg_segment_ptr 1
		.amdhsa_user_sgpr_dispatch_id 0
		.amdhsa_user_sgpr_flat_scratch_init 0
		.amdhsa_user_sgpr_private_segment_size 0
		.amdhsa_uses_dynamic_stack 0
		.amdhsa_system_sgpr_private_segment_wavefront_offset 0
		.amdhsa_system_sgpr_workgroup_id_x 1
		.amdhsa_system_sgpr_workgroup_id_y 1
		.amdhsa_system_sgpr_workgroup_id_z 1
		.amdhsa_system_sgpr_workgroup_info 0
		.amdhsa_system_vgpr_workitem_id 1
		.amdhsa_next_free_vgpr 33
		.amdhsa_next_free_sgpr 18
		.amdhsa_reserve_vcc 1
		.amdhsa_reserve_flat_scratch 0
		.amdhsa_float_round_mode_32 0
		.amdhsa_float_round_mode_16_64 0
		.amdhsa_float_denorm_mode_32 3
		.amdhsa_float_denorm_mode_16_64 3
		.amdhsa_dx10_clamp 1
		.amdhsa_ieee_mode 1
		.amdhsa_fp16_overflow 0
		.amdhsa_exception_fp_ieee_invalid_op 0
		.amdhsa_exception_fp_denorm_src 0
		.amdhsa_exception_fp_ieee_div_zero 0
		.amdhsa_exception_fp_ieee_overflow 0
		.amdhsa_exception_fp_ieee_underflow 0
		.amdhsa_exception_fp_ieee_inexact 0
		.amdhsa_exception_int_div_zero 0
	.end_amdhsa_kernel
	.section	.text._ZL41rocblas_syrkx_herkx_small_restrict_kernelIi19rocblas_complex_numIfELi16ELb1ELb1ELc67ELc85EKS1_S1_EviT_T0_PT6_S3_lS6_S3_lS4_PT7_S3_li,"axG",@progbits,_ZL41rocblas_syrkx_herkx_small_restrict_kernelIi19rocblas_complex_numIfELi16ELb1ELb1ELc67ELc85EKS1_S1_EviT_T0_PT6_S3_lS6_S3_lS4_PT7_S3_li,comdat
.Lfunc_end350:
	.size	_ZL41rocblas_syrkx_herkx_small_restrict_kernelIi19rocblas_complex_numIfELi16ELb1ELb1ELc67ELc85EKS1_S1_EviT_T0_PT6_S3_lS6_S3_lS4_PT7_S3_li, .Lfunc_end350-_ZL41rocblas_syrkx_herkx_small_restrict_kernelIi19rocblas_complex_numIfELi16ELb1ELb1ELc67ELc85EKS1_S1_EviT_T0_PT6_S3_lS6_S3_lS4_PT7_S3_li
                                        ; -- End function
	.set _ZL41rocblas_syrkx_herkx_small_restrict_kernelIi19rocblas_complex_numIfELi16ELb1ELb1ELc67ELc85EKS1_S1_EviT_T0_PT6_S3_lS6_S3_lS4_PT7_S3_li.num_vgpr, 33
	.set _ZL41rocblas_syrkx_herkx_small_restrict_kernelIi19rocblas_complex_numIfELi16ELb1ELb1ELc67ELc85EKS1_S1_EviT_T0_PT6_S3_lS6_S3_lS4_PT7_S3_li.num_agpr, 0
	.set _ZL41rocblas_syrkx_herkx_small_restrict_kernelIi19rocblas_complex_numIfELi16ELb1ELb1ELc67ELc85EKS1_S1_EviT_T0_PT6_S3_lS6_S3_lS4_PT7_S3_li.numbered_sgpr, 18
	.set _ZL41rocblas_syrkx_herkx_small_restrict_kernelIi19rocblas_complex_numIfELi16ELb1ELb1ELc67ELc85EKS1_S1_EviT_T0_PT6_S3_lS6_S3_lS4_PT7_S3_li.num_named_barrier, 0
	.set _ZL41rocblas_syrkx_herkx_small_restrict_kernelIi19rocblas_complex_numIfELi16ELb1ELb1ELc67ELc85EKS1_S1_EviT_T0_PT6_S3_lS6_S3_lS4_PT7_S3_li.private_seg_size, 0
	.set _ZL41rocblas_syrkx_herkx_small_restrict_kernelIi19rocblas_complex_numIfELi16ELb1ELb1ELc67ELc85EKS1_S1_EviT_T0_PT6_S3_lS6_S3_lS4_PT7_S3_li.uses_vcc, 1
	.set _ZL41rocblas_syrkx_herkx_small_restrict_kernelIi19rocblas_complex_numIfELi16ELb1ELb1ELc67ELc85EKS1_S1_EviT_T0_PT6_S3_lS6_S3_lS4_PT7_S3_li.uses_flat_scratch, 0
	.set _ZL41rocblas_syrkx_herkx_small_restrict_kernelIi19rocblas_complex_numIfELi16ELb1ELb1ELc67ELc85EKS1_S1_EviT_T0_PT6_S3_lS6_S3_lS4_PT7_S3_li.has_dyn_sized_stack, 0
	.set _ZL41rocblas_syrkx_herkx_small_restrict_kernelIi19rocblas_complex_numIfELi16ELb1ELb1ELc67ELc85EKS1_S1_EviT_T0_PT6_S3_lS6_S3_lS4_PT7_S3_li.has_recursion, 0
	.set _ZL41rocblas_syrkx_herkx_small_restrict_kernelIi19rocblas_complex_numIfELi16ELb1ELb1ELc67ELc85EKS1_S1_EviT_T0_PT6_S3_lS6_S3_lS4_PT7_S3_li.has_indirect_call, 0
	.section	.AMDGPU.csdata,"",@progbits
; Kernel info:
; codeLenInByte = 1164
; TotalNumSgprs: 22
; NumVgprs: 33
; ScratchSize: 0
; MemoryBound: 0
; FloatMode: 240
; IeeeMode: 1
; LDSByteSize: 4096 bytes/workgroup (compile time only)
; SGPRBlocks: 2
; VGPRBlocks: 8
; NumSGPRsForWavesPerEU: 22
; NumVGPRsForWavesPerEU: 33
; Occupancy: 7
; WaveLimiterHint : 0
; COMPUTE_PGM_RSRC2:SCRATCH_EN: 0
; COMPUTE_PGM_RSRC2:USER_SGPR: 6
; COMPUTE_PGM_RSRC2:TRAP_HANDLER: 0
; COMPUTE_PGM_RSRC2:TGID_X_EN: 1
; COMPUTE_PGM_RSRC2:TGID_Y_EN: 1
; COMPUTE_PGM_RSRC2:TGID_Z_EN: 1
; COMPUTE_PGM_RSRC2:TIDIG_COMP_CNT: 1
	.section	.text._ZL41rocblas_syrkx_herkx_small_restrict_kernelIi19rocblas_complex_numIfELi16ELb1ELb1ELc78ELc85EKS1_S1_EviT_T0_PT6_S3_lS6_S3_lS4_PT7_S3_li,"axG",@progbits,_ZL41rocblas_syrkx_herkx_small_restrict_kernelIi19rocblas_complex_numIfELi16ELb1ELb1ELc78ELc85EKS1_S1_EviT_T0_PT6_S3_lS6_S3_lS4_PT7_S3_li,comdat
	.globl	_ZL41rocblas_syrkx_herkx_small_restrict_kernelIi19rocblas_complex_numIfELi16ELb1ELb1ELc78ELc85EKS1_S1_EviT_T0_PT6_S3_lS6_S3_lS4_PT7_S3_li ; -- Begin function _ZL41rocblas_syrkx_herkx_small_restrict_kernelIi19rocblas_complex_numIfELi16ELb1ELb1ELc78ELc85EKS1_S1_EviT_T0_PT6_S3_lS6_S3_lS4_PT7_S3_li
	.p2align	8
	.type	_ZL41rocblas_syrkx_herkx_small_restrict_kernelIi19rocblas_complex_numIfELi16ELb1ELb1ELc78ELc85EKS1_S1_EviT_T0_PT6_S3_lS6_S3_lS4_PT7_S3_li,@function
_ZL41rocblas_syrkx_herkx_small_restrict_kernelIi19rocblas_complex_numIfELi16ELb1ELb1ELc78ELc85EKS1_S1_EviT_T0_PT6_S3_lS6_S3_lS4_PT7_S3_li: ; @_ZL41rocblas_syrkx_herkx_small_restrict_kernelIi19rocblas_complex_numIfELi16ELb1ELb1ELc78ELc85EKS1_S1_EviT_T0_PT6_S3_lS6_S3_lS4_PT7_S3_li
; %bb.0:
	s_load_dword s9, s[4:5], 0x4
	s_load_dwordx4 s[0:3], s[4:5], 0x8
	v_lshl_add_u32 v2, s6, 4, v0
	s_mov_b32 s10, 0
	v_lshl_add_u32 v4, s7, 4, v1
	s_waitcnt lgkmcnt(0)
	s_cmp_lt_i32 s9, 1
	v_ashrrev_i32_e32 v3, 31, v2
	s_cbranch_scc1 .LBB351_5
; %bb.1:
	s_load_dword s16, s[4:5], 0x18
	s_load_dword s6, s[4:5], 0x30
	s_load_dwordx2 s[18:19], s[4:5], 0x38
	s_load_dwordx4 s[12:15], s[4:5], 0x20
	v_lshlrev_b32_e32 v6, 7, v1
	v_lshlrev_b32_e32 v7, 3, v0
	s_waitcnt lgkmcnt(0)
	v_mad_i64_i32 v[10:11], s[20:21], s6, v0, 0
	s_mul_i32 s11, s19, s8
	s_mul_hi_u32 s19, s18, s8
	s_add_i32 s19, s19, s11
	s_mul_i32 s18, s18, s8
	v_lshlrev_b64 v[10:11], 3, v[10:11]
	v_ashrrev_i32_e32 v5, 31, v4
	s_lshl_b64 s[18:19], s[18:19], 3
	v_add_u32_e32 v8, v7, v6
	v_add_u32_e32 v9, 0x800, v6
	v_mov_b32_e32 v0, s19
	v_add_co_u32_e32 v10, vcc, s18, v10
	v_lshlrev_b64 v[5:6], 3, v[4:5]
	v_addc_co_u32_e32 v0, vcc, v0, v11, vcc
	v_add_co_u32_e32 v5, vcc, v10, v5
	v_addc_co_u32_e32 v0, vcc, v0, v6, vcc
	v_mov_b32_e32 v6, s15
	v_add_co_u32_e32 v5, vcc, s14, v5
	v_addc_co_u32_e32 v0, vcc, v6, v0, vcc
	v_add_co_u32_e32 v5, vcc, 4, v5
	v_addc_co_u32_e32 v6, vcc, 0, v0, vcc
	v_mad_i64_i32 v[0:1], s[14:15], s16, v1, 0
	s_mul_i32 s11, s13, s8
	s_mul_hi_u32 s13, s12, s8
	s_add_i32 s13, s13, s11
	s_mul_i32 s12, s12, s8
	v_lshlrev_b64 v[0:1], 3, v[0:1]
	s_lshl_b64 s[12:13], s[12:13], 3
	v_mov_b32_e32 v10, s13
	v_add_co_u32_e32 v11, vcc, s12, v0
	v_addc_co_u32_e32 v10, vcc, v10, v1, vcc
	v_lshlrev_b64 v[0:1], 3, v[2:3]
	s_ashr_i32 s17, s16, 31
	v_add_co_u32_e32 v0, vcc, v11, v0
	s_ashr_i32 s7, s6, 31
	v_addc_co_u32_e32 v1, vcc, v10, v1, vcc
	s_lshl_b64 s[6:7], s[6:7], 7
	v_mov_b32_e32 v10, s3
	v_add_co_u32_e32 v0, vcc, s2, v0
	s_lshl_b64 s[2:3], s[16:17], 7
	v_addc_co_u32_e32 v1, vcc, v10, v1, vcc
	v_mov_b32_e32 v12, 0
	v_mov_b32_e32 v10, s7
	;; [unrolled: 1-line block ×4, first 2 shown]
.LBB351_2:                              ; =>This Inner Loop Header: Depth=1
	global_load_dwordx2 v[14:15], v[0:1], off
	v_add_u32_e32 v16, v9, v7
	s_add_i32 s10, s10, 16
	s_cmp_lt_i32 s10, s9
	s_waitcnt vmcnt(0)
	ds_write_b64 v8, v[14:15]
	global_load_dwordx2 v[14:15], v[5:6], off offset:-4
	v_add_co_u32_e32 v5, vcc, s6, v5
	v_addc_co_u32_e32 v6, vcc, v6, v10, vcc
	v_add_co_u32_e32 v0, vcc, s2, v0
	v_addc_co_u32_e32 v1, vcc, v1, v11, vcc
	s_waitcnt vmcnt(0)
	v_xor_b32_e32 v15, 0x80000000, v15
	ds_write_b64 v16, v[14:15]
	s_waitcnt lgkmcnt(0)
	s_barrier
	ds_read2_b64 v[14:17], v7 offset1:16
	ds_read_b128 v[18:21], v9
	ds_read_b128 v[22:25], v9 offset:16
	ds_read_b128 v[26:29], v9 offset:32
	;; [unrolled: 1-line block ×3, first 2 shown]
	s_waitcnt lgkmcnt(3)
	v_mul_f32_e32 v34, v19, v15
	v_mul_f32_e32 v15, v18, v15
	v_fmac_f32_e32 v15, v19, v14
	v_fma_f32 v34, v18, v14, -v34
	v_add_f32_e32 v12, v12, v15
	v_mul_f32_e32 v14, v21, v17
	v_mul_f32_e32 v15, v20, v17
	v_add_f32_e32 v13, v13, v34
	v_fma_f32 v14, v20, v16, -v14
	v_fmac_f32_e32 v15, v21, v16
	v_add_f32_e32 v16, v13, v14
	v_add_f32_e32 v17, v12, v15
	ds_read2_b64 v[12:15], v7 offset0:32 offset1:48
	s_waitcnt lgkmcnt(0)
	v_mul_f32_e32 v18, v23, v13
	v_fma_f32 v18, v22, v12, -v18
	v_mul_f32_e32 v13, v22, v13
	v_fmac_f32_e32 v13, v23, v12
	v_add_f32_e32 v12, v16, v18
	v_mul_f32_e32 v16, v25, v15
	v_mul_f32_e32 v15, v24, v15
	v_add_f32_e32 v13, v17, v13
	v_fma_f32 v16, v24, v14, -v16
	v_fmac_f32_e32 v15, v25, v14
	v_add_f32_e32 v16, v12, v16
	v_add_f32_e32 v17, v13, v15
	ds_read2_b64 v[12:15], v7 offset0:64 offset1:80
	s_waitcnt lgkmcnt(0)
	v_mul_f32_e32 v18, v27, v13
	v_fma_f32 v18, v26, v12, -v18
	v_mul_f32_e32 v13, v26, v13
	v_fmac_f32_e32 v13, v27, v12
	;; [unrolled: 14-line block ×3, first 2 shown]
	v_add_f32_e32 v12, v16, v18
	v_mul_f32_e32 v16, v33, v15
	v_mul_f32_e32 v15, v32, v15
	v_add_f32_e32 v13, v17, v13
	v_fma_f32 v16, v32, v14, -v16
	v_fmac_f32_e32 v15, v33, v14
	v_add_f32_e32 v20, v12, v16
	v_add_f32_e32 v21, v13, v15
	ds_read2_b64 v[12:15], v7 offset0:128 offset1:144
	ds_read_b128 v[16:19], v9 offset:64
	s_waitcnt lgkmcnt(0)
	v_mul_f32_e32 v22, v17, v13
	v_mul_f32_e32 v13, v16, v13
	v_fma_f32 v22, v16, v12, -v22
	v_fmac_f32_e32 v13, v17, v12
	v_mul_f32_e32 v16, v19, v15
	v_mul_f32_e32 v15, v18, v15
	v_add_f32_e32 v12, v20, v22
	v_add_f32_e32 v13, v21, v13
	v_fma_f32 v16, v18, v14, -v16
	v_fmac_f32_e32 v15, v19, v14
	v_add_f32_e32 v20, v12, v16
	v_add_f32_e32 v21, v13, v15
	ds_read2_b64 v[12:15], v7 offset0:160 offset1:176
	ds_read_b128 v[16:19], v9 offset:80
	s_waitcnt lgkmcnt(0)
	v_mul_f32_e32 v22, v17, v13
	v_mul_f32_e32 v13, v16, v13
	v_fma_f32 v22, v16, v12, -v22
	v_fmac_f32_e32 v13, v17, v12
	v_mul_f32_e32 v16, v19, v15
	v_mul_f32_e32 v15, v18, v15
	v_add_f32_e32 v12, v20, v22
	;; [unrolled: 15-line block ×3, first 2 shown]
	v_add_f32_e32 v13, v21, v13
	v_fma_f32 v16, v18, v14, -v16
	v_fmac_f32_e32 v15, v19, v14
	v_add_f32_e32 v20, v12, v16
	v_add_f32_e32 v21, v13, v15
	ds_read2_b64 v[12:15], v7 offset0:224 offset1:240
	ds_read_b128 v[16:19], v9 offset:112
	s_waitcnt lgkmcnt(0)
	s_barrier
	v_mul_f32_e32 v22, v17, v13
	v_mul_f32_e32 v13, v16, v13
	v_fmac_f32_e32 v13, v17, v12
	v_fma_f32 v22, v16, v12, -v22
	v_add_f32_e32 v16, v21, v13
	v_mul_f32_e32 v13, v19, v15
	v_mul_f32_e32 v15, v18, v15
	v_add_f32_e32 v12, v20, v22
	v_fma_f32 v13, v18, v14, -v13
	v_fmac_f32_e32 v15, v19, v14
	v_add_f32_e32 v13, v12, v13
	v_add_f32_e32 v12, v16, v15
	s_cbranch_scc1 .LBB351_2
; %bb.3:
	v_cmp_le_i32_e32 vcc, v2, v4
	s_and_saveexec_b64 s[2:3], vcc
	s_cbranch_execnz .LBB351_6
.LBB351_4:
	s_endpgm
.LBB351_5:
	v_mov_b32_e32 v12, 0
	v_mov_b32_e32 v13, 0
	v_cmp_le_i32_e32 vcc, v2, v4
	s_and_saveexec_b64 s[2:3], vcc
	s_cbranch_execz .LBB351_4
.LBB351_6:
	s_load_dwordx2 s[2:3], s[4:5], 0x58
	s_load_dwordx2 s[6:7], s[4:5], 0x48
	s_load_dword s9, s[4:5], 0x50
	v_mul_f32_e32 v5, s1, v12
	v_mul_f32_e32 v6, s0, v12
	s_waitcnt lgkmcnt(0)
	s_mul_i32 s3, s3, s8
	s_mul_hi_u32 s4, s2, s8
	s_mul_i32 s2, s2, s8
	s_add_i32 s3, s4, s3
	s_lshl_b64 s[2:3], s[2:3], 3
	s_add_u32 s4, s6, s2
	s_addc_u32 s5, s7, s3
	v_mad_i64_i32 v[0:1], s[2:3], s9, v4, 0
	v_mov_b32_e32 v7, s5
	v_fma_f32 v5, v13, s0, -v5
	v_lshlrev_b64 v[0:1], 3, v[0:1]
	v_fmac_f32_e32 v6, s1, v13
	v_add_co_u32_e32 v8, vcc, s4, v0
	v_addc_co_u32_e32 v7, vcc, v7, v1, vcc
	v_lshlrev_b64 v[0:1], 3, v[2:3]
	v_add_co_u32_e32 v0, vcc, v8, v0
	v_addc_co_u32_e32 v1, vcc, v7, v1, vcc
	v_cmp_eq_u32_e32 vcc, v2, v4
	global_store_dwordx2 v[0:1], v[5:6], off
	s_and_b64 exec, exec, vcc
	s_cbranch_execz .LBB351_4
; %bb.7:
	v_mov_b32_e32 v2, 0
	global_store_dword v[0:1], v2, off offset:4
	s_endpgm
	.section	.rodata,"a",@progbits
	.p2align	6, 0x0
	.amdhsa_kernel _ZL41rocblas_syrkx_herkx_small_restrict_kernelIi19rocblas_complex_numIfELi16ELb1ELb1ELc78ELc85EKS1_S1_EviT_T0_PT6_S3_lS6_S3_lS4_PT7_S3_li
		.amdhsa_group_segment_fixed_size 4096
		.amdhsa_private_segment_fixed_size 0
		.amdhsa_kernarg_size 100
		.amdhsa_user_sgpr_count 6
		.amdhsa_user_sgpr_private_segment_buffer 1
		.amdhsa_user_sgpr_dispatch_ptr 0
		.amdhsa_user_sgpr_queue_ptr 0
		.amdhsa_user_sgpr_kernarg_segment_ptr 1
		.amdhsa_user_sgpr_dispatch_id 0
		.amdhsa_user_sgpr_flat_scratch_init 0
		.amdhsa_user_sgpr_private_segment_size 0
		.amdhsa_uses_dynamic_stack 0
		.amdhsa_system_sgpr_private_segment_wavefront_offset 0
		.amdhsa_system_sgpr_workgroup_id_x 1
		.amdhsa_system_sgpr_workgroup_id_y 1
		.amdhsa_system_sgpr_workgroup_id_z 1
		.amdhsa_system_sgpr_workgroup_info 0
		.amdhsa_system_vgpr_workitem_id 1
		.amdhsa_next_free_vgpr 35
		.amdhsa_next_free_sgpr 22
		.amdhsa_reserve_vcc 1
		.amdhsa_reserve_flat_scratch 0
		.amdhsa_float_round_mode_32 0
		.amdhsa_float_round_mode_16_64 0
		.amdhsa_float_denorm_mode_32 3
		.amdhsa_float_denorm_mode_16_64 3
		.amdhsa_dx10_clamp 1
		.amdhsa_ieee_mode 1
		.amdhsa_fp16_overflow 0
		.amdhsa_exception_fp_ieee_invalid_op 0
		.amdhsa_exception_fp_denorm_src 0
		.amdhsa_exception_fp_ieee_div_zero 0
		.amdhsa_exception_fp_ieee_overflow 0
		.amdhsa_exception_fp_ieee_underflow 0
		.amdhsa_exception_fp_ieee_inexact 0
		.amdhsa_exception_int_div_zero 0
	.end_amdhsa_kernel
	.section	.text._ZL41rocblas_syrkx_herkx_small_restrict_kernelIi19rocblas_complex_numIfELi16ELb1ELb1ELc78ELc85EKS1_S1_EviT_T0_PT6_S3_lS6_S3_lS4_PT7_S3_li,"axG",@progbits,_ZL41rocblas_syrkx_herkx_small_restrict_kernelIi19rocblas_complex_numIfELi16ELb1ELb1ELc78ELc85EKS1_S1_EviT_T0_PT6_S3_lS6_S3_lS4_PT7_S3_li,comdat
.Lfunc_end351:
	.size	_ZL41rocblas_syrkx_herkx_small_restrict_kernelIi19rocblas_complex_numIfELi16ELb1ELb1ELc78ELc85EKS1_S1_EviT_T0_PT6_S3_lS6_S3_lS4_PT7_S3_li, .Lfunc_end351-_ZL41rocblas_syrkx_herkx_small_restrict_kernelIi19rocblas_complex_numIfELi16ELb1ELb1ELc78ELc85EKS1_S1_EviT_T0_PT6_S3_lS6_S3_lS4_PT7_S3_li
                                        ; -- End function
	.set _ZL41rocblas_syrkx_herkx_small_restrict_kernelIi19rocblas_complex_numIfELi16ELb1ELb1ELc78ELc85EKS1_S1_EviT_T0_PT6_S3_lS6_S3_lS4_PT7_S3_li.num_vgpr, 35
	.set _ZL41rocblas_syrkx_herkx_small_restrict_kernelIi19rocblas_complex_numIfELi16ELb1ELb1ELc78ELc85EKS1_S1_EviT_T0_PT6_S3_lS6_S3_lS4_PT7_S3_li.num_agpr, 0
	.set _ZL41rocblas_syrkx_herkx_small_restrict_kernelIi19rocblas_complex_numIfELi16ELb1ELb1ELc78ELc85EKS1_S1_EviT_T0_PT6_S3_lS6_S3_lS4_PT7_S3_li.numbered_sgpr, 22
	.set _ZL41rocblas_syrkx_herkx_small_restrict_kernelIi19rocblas_complex_numIfELi16ELb1ELb1ELc78ELc85EKS1_S1_EviT_T0_PT6_S3_lS6_S3_lS4_PT7_S3_li.num_named_barrier, 0
	.set _ZL41rocblas_syrkx_herkx_small_restrict_kernelIi19rocblas_complex_numIfELi16ELb1ELb1ELc78ELc85EKS1_S1_EviT_T0_PT6_S3_lS6_S3_lS4_PT7_S3_li.private_seg_size, 0
	.set _ZL41rocblas_syrkx_herkx_small_restrict_kernelIi19rocblas_complex_numIfELi16ELb1ELb1ELc78ELc85EKS1_S1_EviT_T0_PT6_S3_lS6_S3_lS4_PT7_S3_li.uses_vcc, 1
	.set _ZL41rocblas_syrkx_herkx_small_restrict_kernelIi19rocblas_complex_numIfELi16ELb1ELb1ELc78ELc85EKS1_S1_EviT_T0_PT6_S3_lS6_S3_lS4_PT7_S3_li.uses_flat_scratch, 0
	.set _ZL41rocblas_syrkx_herkx_small_restrict_kernelIi19rocblas_complex_numIfELi16ELb1ELb1ELc78ELc85EKS1_S1_EviT_T0_PT6_S3_lS6_S3_lS4_PT7_S3_li.has_dyn_sized_stack, 0
	.set _ZL41rocblas_syrkx_herkx_small_restrict_kernelIi19rocblas_complex_numIfELi16ELb1ELb1ELc78ELc85EKS1_S1_EviT_T0_PT6_S3_lS6_S3_lS4_PT7_S3_li.has_recursion, 0
	.set _ZL41rocblas_syrkx_herkx_small_restrict_kernelIi19rocblas_complex_numIfELi16ELb1ELb1ELc78ELc85EKS1_S1_EviT_T0_PT6_S3_lS6_S3_lS4_PT7_S3_li.has_indirect_call, 0
	.section	.AMDGPU.csdata,"",@progbits
; Kernel info:
; codeLenInByte = 1196
; TotalNumSgprs: 26
; NumVgprs: 35
; ScratchSize: 0
; MemoryBound: 0
; FloatMode: 240
; IeeeMode: 1
; LDSByteSize: 4096 bytes/workgroup (compile time only)
; SGPRBlocks: 3
; VGPRBlocks: 8
; NumSGPRsForWavesPerEU: 26
; NumVGPRsForWavesPerEU: 35
; Occupancy: 7
; WaveLimiterHint : 0
; COMPUTE_PGM_RSRC2:SCRATCH_EN: 0
; COMPUTE_PGM_RSRC2:USER_SGPR: 6
; COMPUTE_PGM_RSRC2:TRAP_HANDLER: 0
; COMPUTE_PGM_RSRC2:TGID_X_EN: 1
; COMPUTE_PGM_RSRC2:TGID_Y_EN: 1
; COMPUTE_PGM_RSRC2:TGID_Z_EN: 1
; COMPUTE_PGM_RSRC2:TIDIG_COMP_CNT: 1
	.section	.text._ZL41rocblas_syrkx_herkx_small_restrict_kernelIi19rocblas_complex_numIfELi16ELb0ELb1ELc84ELc76EKS1_S1_EviT_T0_PT6_S3_lS6_S3_lS4_PT7_S3_li,"axG",@progbits,_ZL41rocblas_syrkx_herkx_small_restrict_kernelIi19rocblas_complex_numIfELi16ELb0ELb1ELc84ELc76EKS1_S1_EviT_T0_PT6_S3_lS6_S3_lS4_PT7_S3_li,comdat
	.globl	_ZL41rocblas_syrkx_herkx_small_restrict_kernelIi19rocblas_complex_numIfELi16ELb0ELb1ELc84ELc76EKS1_S1_EviT_T0_PT6_S3_lS6_S3_lS4_PT7_S3_li ; -- Begin function _ZL41rocblas_syrkx_herkx_small_restrict_kernelIi19rocblas_complex_numIfELi16ELb0ELb1ELc84ELc76EKS1_S1_EviT_T0_PT6_S3_lS6_S3_lS4_PT7_S3_li
	.p2align	8
	.type	_ZL41rocblas_syrkx_herkx_small_restrict_kernelIi19rocblas_complex_numIfELi16ELb0ELb1ELc84ELc76EKS1_S1_EviT_T0_PT6_S3_lS6_S3_lS4_PT7_S3_li,@function
_ZL41rocblas_syrkx_herkx_small_restrict_kernelIi19rocblas_complex_numIfELi16ELb0ELb1ELc84ELc76EKS1_S1_EviT_T0_PT6_S3_lS6_S3_lS4_PT7_S3_li: ; @_ZL41rocblas_syrkx_herkx_small_restrict_kernelIi19rocblas_complex_numIfELi16ELb0ELb1ELc84ELc76EKS1_S1_EviT_T0_PT6_S3_lS6_S3_lS4_PT7_S3_li
; %bb.0:
	s_load_dword s9, s[4:5], 0x4
	s_load_dwordx4 s[12:15], s[4:5], 0x8
	s_load_dwordx4 s[0:3], s[4:5], 0x38
	s_load_dwordx2 s[10:11], s[4:5], 0x48
	s_mov_b32 s16, 0
	v_lshl_add_u32 v2, s6, 4, v0
	s_waitcnt lgkmcnt(0)
	s_cmp_lt_i32 s9, 1
	v_lshl_add_u32 v5, s7, 4, v1
	s_cbranch_scc1 .LBB352_5
; %bb.1:
	s_load_dword s17, s[4:5], 0x18
	s_load_dword s6, s[4:5], 0x30
	s_load_dwordx4 s[20:23], s[4:5], 0x20
	s_mul_i32 s1, s1, s8
	v_lshlrev_b32_e32 v6, 3, v0
	v_lshlrev_b32_e32 v8, 7, v1
	s_waitcnt lgkmcnt(0)
	v_mad_i64_i32 v[3:4], s[6:7], s6, v5, 0
	s_mul_hi_u32 s6, s0, s8
	s_add_i32 s1, s6, s1
	v_lshlrev_b64 v[3:4], 3, v[3:4]
	s_mul_i32 s0, s0, s8
	s_lshl_b64 s[0:1], s[0:1], 3
	v_mov_b32_e32 v0, s1
	v_add_co_u32_e32 v3, vcc, s0, v3
	v_mad_i64_i32 v[11:12], s[0:1], s17, v2, 0
	v_addc_co_u32_e32 v0, vcc, v4, v0, vcc
	v_add_co_u32_e32 v3, vcc, v3, v6
	v_addc_co_u32_e32 v0, vcc, 0, v0, vcc
	s_mul_i32 s0, s21, s8
	s_mul_hi_u32 s1, s20, s8
	v_mov_b32_e32 v4, s23
	v_add_co_u32_e32 v3, vcc, s22, v3
	v_lshlrev_b64 v[11:12], 3, v[11:12]
	s_add_i32 s1, s1, s0
	s_mul_i32 s0, s20, s8
	v_addc_co_u32_e32 v4, vcc, v4, v0, vcc
	s_lshl_b64 s[0:1], s[0:1], 3
	v_mov_b32_e32 v0, s1
	v_add_co_u32_e32 v11, vcc, s0, v11
	v_addc_co_u32_e32 v0, vcc, v12, v0, vcc
	v_lshlrev_b32_e32 v1, 3, v1
	v_add_co_u32_e32 v1, vcc, v11, v1
	v_addc_co_u32_e32 v11, vcc, 0, v0, vcc
	v_add_u32_e32 v7, v6, v8
	v_add_u32_e32 v8, 0x800, v8
	v_mov_b32_e32 v12, s15
	v_add_co_u32_e32 v0, vcc, s14, v1
	v_add_u32_e32 v9, v8, v6
	v_mov_b32_e32 v10, 0
	v_addc_co_u32_e32 v1, vcc, v12, v11, vcc
	v_mov_b32_e32 v11, 0
.LBB352_2:                              ; =>This Inner Loop Header: Depth=1
	global_load_dwordx2 v[12:13], v[0:1], off
	s_add_i32 s16, s16, 16
	s_cmp_lt_i32 s16, s9
	s_waitcnt vmcnt(0)
	ds_write_b64 v7, v[12:13]
	global_load_dwordx2 v[12:13], v[3:4], off
	v_add_co_u32_e32 v3, vcc, 0x80, v3
	v_addc_co_u32_e32 v4, vcc, 0, v4, vcc
	v_add_co_u32_e32 v0, vcc, 0x80, v0
	v_addc_co_u32_e32 v1, vcc, 0, v1, vcc
	s_waitcnt vmcnt(0)
	ds_write_b64 v9, v[12:13]
	s_waitcnt lgkmcnt(0)
	s_barrier
	ds_read2_b64 v[12:15], v6 offset1:16
	ds_read_b128 v[16:19], v8
	ds_read_b128 v[20:23], v8 offset:16
	ds_read_b128 v[24:27], v8 offset:32
	;; [unrolled: 1-line block ×3, first 2 shown]
	s_waitcnt lgkmcnt(3)
	v_mul_f32_e32 v32, v17, v13
	v_mul_f32_e32 v13, v16, v13
	v_fmac_f32_e32 v13, v17, v12
	v_fma_f32 v32, v16, v12, -v32
	v_add_f32_e32 v10, v10, v13
	v_mul_f32_e32 v12, v19, v15
	v_mul_f32_e32 v13, v18, v15
	v_add_f32_e32 v11, v11, v32
	v_fma_f32 v12, v18, v14, -v12
	v_fmac_f32_e32 v13, v19, v14
	v_add_f32_e32 v14, v11, v12
	v_add_f32_e32 v15, v10, v13
	ds_read2_b64 v[10:13], v6 offset0:32 offset1:48
	s_waitcnt lgkmcnt(0)
	v_mul_f32_e32 v16, v21, v11
	v_fma_f32 v16, v20, v10, -v16
	v_mul_f32_e32 v11, v20, v11
	v_fmac_f32_e32 v11, v21, v10
	v_add_f32_e32 v10, v14, v16
	v_mul_f32_e32 v14, v23, v13
	v_mul_f32_e32 v13, v22, v13
	v_add_f32_e32 v11, v15, v11
	v_fma_f32 v14, v22, v12, -v14
	v_fmac_f32_e32 v13, v23, v12
	v_add_f32_e32 v14, v10, v14
	v_add_f32_e32 v15, v11, v13
	ds_read2_b64 v[10:13], v6 offset0:64 offset1:80
	s_waitcnt lgkmcnt(0)
	v_mul_f32_e32 v16, v25, v11
	v_fma_f32 v16, v24, v10, -v16
	v_mul_f32_e32 v11, v24, v11
	v_fmac_f32_e32 v11, v25, v10
	;; [unrolled: 14-line block ×3, first 2 shown]
	v_add_f32_e32 v10, v14, v16
	v_mul_f32_e32 v14, v31, v13
	v_mul_f32_e32 v13, v30, v13
	v_add_f32_e32 v11, v15, v11
	v_fma_f32 v14, v30, v12, -v14
	v_fmac_f32_e32 v13, v31, v12
	v_add_f32_e32 v18, v10, v14
	v_add_f32_e32 v19, v11, v13
	ds_read2_b64 v[10:13], v6 offset0:128 offset1:144
	ds_read_b128 v[14:17], v8 offset:64
	s_waitcnt lgkmcnt(0)
	v_mul_f32_e32 v20, v15, v11
	v_mul_f32_e32 v11, v14, v11
	v_fma_f32 v20, v14, v10, -v20
	v_fmac_f32_e32 v11, v15, v10
	v_mul_f32_e32 v14, v17, v13
	v_mul_f32_e32 v13, v16, v13
	v_add_f32_e32 v10, v18, v20
	v_add_f32_e32 v11, v19, v11
	v_fma_f32 v14, v16, v12, -v14
	v_fmac_f32_e32 v13, v17, v12
	v_add_f32_e32 v18, v10, v14
	v_add_f32_e32 v19, v11, v13
	ds_read2_b64 v[10:13], v6 offset0:160 offset1:176
	ds_read_b128 v[14:17], v8 offset:80
	s_waitcnt lgkmcnt(0)
	v_mul_f32_e32 v20, v15, v11
	v_mul_f32_e32 v11, v14, v11
	v_fma_f32 v20, v14, v10, -v20
	v_fmac_f32_e32 v11, v15, v10
	v_mul_f32_e32 v14, v17, v13
	v_mul_f32_e32 v13, v16, v13
	v_add_f32_e32 v10, v18, v20
	;; [unrolled: 15-line block ×3, first 2 shown]
	v_add_f32_e32 v11, v19, v11
	v_fma_f32 v14, v16, v12, -v14
	v_fmac_f32_e32 v13, v17, v12
	v_add_f32_e32 v18, v10, v14
	v_add_f32_e32 v19, v11, v13
	ds_read2_b64 v[10:13], v6 offset0:224 offset1:240
	ds_read_b128 v[14:17], v8 offset:112
	s_waitcnt lgkmcnt(0)
	s_barrier
	v_mul_f32_e32 v20, v15, v11
	v_mul_f32_e32 v11, v14, v11
	v_fmac_f32_e32 v11, v15, v10
	v_fma_f32 v20, v14, v10, -v20
	v_add_f32_e32 v14, v19, v11
	v_mul_f32_e32 v11, v17, v13
	v_mul_f32_e32 v13, v16, v13
	v_add_f32_e32 v10, v18, v20
	v_fma_f32 v11, v16, v12, -v11
	v_fmac_f32_e32 v13, v17, v12
	v_add_f32_e32 v11, v10, v11
	v_add_f32_e32 v10, v14, v13
	s_cbranch_scc1 .LBB352_2
; %bb.3:
	v_cmp_le_i32_e32 vcc, v5, v2
	s_and_saveexec_b64 s[0:1], vcc
	s_cbranch_execnz .LBB352_6
.LBB352_4:
	s_endpgm
.LBB352_5:
	v_mov_b32_e32 v10, 0
	v_mov_b32_e32 v11, 0
	v_cmp_le_i32_e32 vcc, v5, v2
	s_and_saveexec_b64 s[0:1], vcc
	s_cbranch_execz .LBB352_4
.LBB352_6:
	s_load_dwordx2 s[0:1], s[4:5], 0x58
	s_load_dword s6, s[4:5], 0x50
	v_ashrrev_i32_e32 v3, 31, v2
	v_mul_f32_e32 v7, s12, v10
	v_fmac_f32_e32 v7, s13, v11
	s_waitcnt lgkmcnt(0)
	s_mul_i32 s1, s1, s8
	s_mul_hi_u32 s4, s0, s8
	s_add_i32 s1, s4, s1
	v_mad_i64_i32 v[0:1], s[4:5], s6, v5, 0
	s_mul_i32 s0, s0, s8
	s_lshl_b64 s[0:1], s[0:1], 3
	s_add_u32 s0, s10, s0
	v_lshlrev_b64 v[0:1], 3, v[0:1]
	s_addc_u32 s1, s11, s1
	v_mov_b32_e32 v4, s1
	v_add_co_u32_e32 v6, vcc, s0, v0
	v_addc_co_u32_e32 v4, vcc, v4, v1, vcc
	v_lshlrev_b64 v[0:1], 3, v[2:3]
	v_add_co_u32_e32 v0, vcc, v6, v0
	v_addc_co_u32_e32 v1, vcc, v4, v1, vcc
	global_load_dwordx2 v[3:4], v[0:1], off
	v_mul_f32_e32 v6, s13, v10
	v_fma_f32 v6, v11, s12, -v6
	v_cmp_eq_u32_e32 vcc, v2, v5
	s_waitcnt vmcnt(0)
	v_mul_f32_e32 v8, s3, v4
	v_mul_f32_e32 v4, s2, v4
	v_fma_f32 v8, v3, s2, -v8
	v_fmac_f32_e32 v4, s3, v3
	v_add_f32_e32 v3, v6, v8
	v_add_f32_e32 v4, v7, v4
	global_store_dwordx2 v[0:1], v[3:4], off
	s_and_b64 exec, exec, vcc
	s_cbranch_execz .LBB352_4
; %bb.7:
	v_mov_b32_e32 v2, 0
	global_store_dword v[0:1], v2, off offset:4
	s_endpgm
	.section	.rodata,"a",@progbits
	.p2align	6, 0x0
	.amdhsa_kernel _ZL41rocblas_syrkx_herkx_small_restrict_kernelIi19rocblas_complex_numIfELi16ELb0ELb1ELc84ELc76EKS1_S1_EviT_T0_PT6_S3_lS6_S3_lS4_PT7_S3_li
		.amdhsa_group_segment_fixed_size 4096
		.amdhsa_private_segment_fixed_size 0
		.amdhsa_kernarg_size 100
		.amdhsa_user_sgpr_count 6
		.amdhsa_user_sgpr_private_segment_buffer 1
		.amdhsa_user_sgpr_dispatch_ptr 0
		.amdhsa_user_sgpr_queue_ptr 0
		.amdhsa_user_sgpr_kernarg_segment_ptr 1
		.amdhsa_user_sgpr_dispatch_id 0
		.amdhsa_user_sgpr_flat_scratch_init 0
		.amdhsa_user_sgpr_private_segment_size 0
		.amdhsa_uses_dynamic_stack 0
		.amdhsa_system_sgpr_private_segment_wavefront_offset 0
		.amdhsa_system_sgpr_workgroup_id_x 1
		.amdhsa_system_sgpr_workgroup_id_y 1
		.amdhsa_system_sgpr_workgroup_id_z 1
		.amdhsa_system_sgpr_workgroup_info 0
		.amdhsa_system_vgpr_workitem_id 1
		.amdhsa_next_free_vgpr 33
		.amdhsa_next_free_sgpr 24
		.amdhsa_reserve_vcc 1
		.amdhsa_reserve_flat_scratch 0
		.amdhsa_float_round_mode_32 0
		.amdhsa_float_round_mode_16_64 0
		.amdhsa_float_denorm_mode_32 3
		.amdhsa_float_denorm_mode_16_64 3
		.amdhsa_dx10_clamp 1
		.amdhsa_ieee_mode 1
		.amdhsa_fp16_overflow 0
		.amdhsa_exception_fp_ieee_invalid_op 0
		.amdhsa_exception_fp_denorm_src 0
		.amdhsa_exception_fp_ieee_div_zero 0
		.amdhsa_exception_fp_ieee_overflow 0
		.amdhsa_exception_fp_ieee_underflow 0
		.amdhsa_exception_fp_ieee_inexact 0
		.amdhsa_exception_int_div_zero 0
	.end_amdhsa_kernel
	.section	.text._ZL41rocblas_syrkx_herkx_small_restrict_kernelIi19rocblas_complex_numIfELi16ELb0ELb1ELc84ELc76EKS1_S1_EviT_T0_PT6_S3_lS6_S3_lS4_PT7_S3_li,"axG",@progbits,_ZL41rocblas_syrkx_herkx_small_restrict_kernelIi19rocblas_complex_numIfELi16ELb0ELb1ELc84ELc76EKS1_S1_EviT_T0_PT6_S3_lS6_S3_lS4_PT7_S3_li,comdat
.Lfunc_end352:
	.size	_ZL41rocblas_syrkx_herkx_small_restrict_kernelIi19rocblas_complex_numIfELi16ELb0ELb1ELc84ELc76EKS1_S1_EviT_T0_PT6_S3_lS6_S3_lS4_PT7_S3_li, .Lfunc_end352-_ZL41rocblas_syrkx_herkx_small_restrict_kernelIi19rocblas_complex_numIfELi16ELb0ELb1ELc84ELc76EKS1_S1_EviT_T0_PT6_S3_lS6_S3_lS4_PT7_S3_li
                                        ; -- End function
	.set _ZL41rocblas_syrkx_herkx_small_restrict_kernelIi19rocblas_complex_numIfELi16ELb0ELb1ELc84ELc76EKS1_S1_EviT_T0_PT6_S3_lS6_S3_lS4_PT7_S3_li.num_vgpr, 33
	.set _ZL41rocblas_syrkx_herkx_small_restrict_kernelIi19rocblas_complex_numIfELi16ELb0ELb1ELc84ELc76EKS1_S1_EviT_T0_PT6_S3_lS6_S3_lS4_PT7_S3_li.num_agpr, 0
	.set _ZL41rocblas_syrkx_herkx_small_restrict_kernelIi19rocblas_complex_numIfELi16ELb0ELb1ELc84ELc76EKS1_S1_EviT_T0_PT6_S3_lS6_S3_lS4_PT7_S3_li.numbered_sgpr, 24
	.set _ZL41rocblas_syrkx_herkx_small_restrict_kernelIi19rocblas_complex_numIfELi16ELb0ELb1ELc84ELc76EKS1_S1_EviT_T0_PT6_S3_lS6_S3_lS4_PT7_S3_li.num_named_barrier, 0
	.set _ZL41rocblas_syrkx_herkx_small_restrict_kernelIi19rocblas_complex_numIfELi16ELb0ELb1ELc84ELc76EKS1_S1_EviT_T0_PT6_S3_lS6_S3_lS4_PT7_S3_li.private_seg_size, 0
	.set _ZL41rocblas_syrkx_herkx_small_restrict_kernelIi19rocblas_complex_numIfELi16ELb0ELb1ELc84ELc76EKS1_S1_EviT_T0_PT6_S3_lS6_S3_lS4_PT7_S3_li.uses_vcc, 1
	.set _ZL41rocblas_syrkx_herkx_small_restrict_kernelIi19rocblas_complex_numIfELi16ELb0ELb1ELc84ELc76EKS1_S1_EviT_T0_PT6_S3_lS6_S3_lS4_PT7_S3_li.uses_flat_scratch, 0
	.set _ZL41rocblas_syrkx_herkx_small_restrict_kernelIi19rocblas_complex_numIfELi16ELb0ELb1ELc84ELc76EKS1_S1_EviT_T0_PT6_S3_lS6_S3_lS4_PT7_S3_li.has_dyn_sized_stack, 0
	.set _ZL41rocblas_syrkx_herkx_small_restrict_kernelIi19rocblas_complex_numIfELi16ELb0ELb1ELc84ELc76EKS1_S1_EviT_T0_PT6_S3_lS6_S3_lS4_PT7_S3_li.has_recursion, 0
	.set _ZL41rocblas_syrkx_herkx_small_restrict_kernelIi19rocblas_complex_numIfELi16ELb0ELb1ELc84ELc76EKS1_S1_EviT_T0_PT6_S3_lS6_S3_lS4_PT7_S3_li.has_indirect_call, 0
	.section	.AMDGPU.csdata,"",@progbits
; Kernel info:
; codeLenInByte = 1188
; TotalNumSgprs: 28
; NumVgprs: 33
; ScratchSize: 0
; MemoryBound: 0
; FloatMode: 240
; IeeeMode: 1
; LDSByteSize: 4096 bytes/workgroup (compile time only)
; SGPRBlocks: 3
; VGPRBlocks: 8
; NumSGPRsForWavesPerEU: 28
; NumVGPRsForWavesPerEU: 33
; Occupancy: 7
; WaveLimiterHint : 0
; COMPUTE_PGM_RSRC2:SCRATCH_EN: 0
; COMPUTE_PGM_RSRC2:USER_SGPR: 6
; COMPUTE_PGM_RSRC2:TRAP_HANDLER: 0
; COMPUTE_PGM_RSRC2:TGID_X_EN: 1
; COMPUTE_PGM_RSRC2:TGID_Y_EN: 1
; COMPUTE_PGM_RSRC2:TGID_Z_EN: 1
; COMPUTE_PGM_RSRC2:TIDIG_COMP_CNT: 1
	.section	.text._ZL41rocblas_syrkx_herkx_small_restrict_kernelIi19rocblas_complex_numIfELi16ELb0ELb1ELc67ELc76EKS1_S1_EviT_T0_PT6_S3_lS6_S3_lS4_PT7_S3_li,"axG",@progbits,_ZL41rocblas_syrkx_herkx_small_restrict_kernelIi19rocblas_complex_numIfELi16ELb0ELb1ELc67ELc76EKS1_S1_EviT_T0_PT6_S3_lS6_S3_lS4_PT7_S3_li,comdat
	.globl	_ZL41rocblas_syrkx_herkx_small_restrict_kernelIi19rocblas_complex_numIfELi16ELb0ELb1ELc67ELc76EKS1_S1_EviT_T0_PT6_S3_lS6_S3_lS4_PT7_S3_li ; -- Begin function _ZL41rocblas_syrkx_herkx_small_restrict_kernelIi19rocblas_complex_numIfELi16ELb0ELb1ELc67ELc76EKS1_S1_EviT_T0_PT6_S3_lS6_S3_lS4_PT7_S3_li
	.p2align	8
	.type	_ZL41rocblas_syrkx_herkx_small_restrict_kernelIi19rocblas_complex_numIfELi16ELb0ELb1ELc67ELc76EKS1_S1_EviT_T0_PT6_S3_lS6_S3_lS4_PT7_S3_li,@function
_ZL41rocblas_syrkx_herkx_small_restrict_kernelIi19rocblas_complex_numIfELi16ELb0ELb1ELc67ELc76EKS1_S1_EviT_T0_PT6_S3_lS6_S3_lS4_PT7_S3_li: ; @_ZL41rocblas_syrkx_herkx_small_restrict_kernelIi19rocblas_complex_numIfELi16ELb0ELb1ELc67ELc76EKS1_S1_EviT_T0_PT6_S3_lS6_S3_lS4_PT7_S3_li
; %bb.0:
	s_load_dword s9, s[4:5], 0x4
	s_load_dwordx4 s[12:15], s[4:5], 0x8
	s_load_dwordx4 s[0:3], s[4:5], 0x38
	s_load_dwordx2 s[10:11], s[4:5], 0x48
	s_mov_b32 s16, 0
	v_lshl_add_u32 v2, s6, 4, v0
	s_waitcnt lgkmcnt(0)
	s_cmp_lt_i32 s9, 1
	v_lshl_add_u32 v5, s7, 4, v1
	s_cbranch_scc1 .LBB353_5
; %bb.1:
	s_load_dword s17, s[4:5], 0x18
	s_load_dword s6, s[4:5], 0x30
	s_load_dwordx4 s[20:23], s[4:5], 0x20
	s_mul_i32 s1, s1, s8
	v_lshlrev_b32_e32 v6, 3, v0
	v_lshlrev_b32_e32 v8, 7, v1
	s_waitcnt lgkmcnt(0)
	v_mad_i64_i32 v[3:4], s[6:7], s6, v5, 0
	s_mul_hi_u32 s6, s0, s8
	s_add_i32 s1, s6, s1
	v_lshlrev_b64 v[3:4], 3, v[3:4]
	s_mul_i32 s0, s0, s8
	s_lshl_b64 s[0:1], s[0:1], 3
	v_mov_b32_e32 v0, s1
	v_add_co_u32_e32 v3, vcc, s0, v3
	v_mad_i64_i32 v[11:12], s[0:1], s17, v2, 0
	v_addc_co_u32_e32 v0, vcc, v4, v0, vcc
	v_add_co_u32_e32 v3, vcc, v3, v6
	v_addc_co_u32_e32 v0, vcc, 0, v0, vcc
	s_mul_i32 s0, s21, s8
	s_mul_hi_u32 s1, s20, s8
	v_mov_b32_e32 v4, s23
	v_add_co_u32_e32 v3, vcc, s22, v3
	v_lshlrev_b64 v[11:12], 3, v[11:12]
	s_add_i32 s1, s1, s0
	s_mul_i32 s0, s20, s8
	v_addc_co_u32_e32 v4, vcc, v4, v0, vcc
	s_lshl_b64 s[0:1], s[0:1], 3
	v_mov_b32_e32 v0, s1
	v_add_co_u32_e32 v11, vcc, s0, v11
	v_addc_co_u32_e32 v0, vcc, v12, v0, vcc
	v_lshlrev_b32_e32 v1, 3, v1
	v_add_co_u32_e32 v1, vcc, v11, v1
	v_addc_co_u32_e32 v0, vcc, 0, v0, vcc
	v_mov_b32_e32 v11, s15
	v_add_co_u32_e32 v1, vcc, s14, v1
	v_addc_co_u32_e32 v11, vcc, v11, v0, vcc
	v_add_u32_e32 v7, v6, v8
	v_add_u32_e32 v8, 0x800, v8
	v_add_co_u32_e32 v0, vcc, 4, v1
	v_add_u32_e32 v9, v8, v6
	v_mov_b32_e32 v10, 0
	v_addc_co_u32_e32 v1, vcc, 0, v11, vcc
	v_mov_b32_e32 v11, 0
.LBB353_2:                              ; =>This Inner Loop Header: Depth=1
	global_load_dwordx2 v[12:13], v[0:1], off offset:-4
	s_add_i32 s16, s16, 16
	s_cmp_lt_i32 s16, s9
	s_waitcnt vmcnt(0)
	v_xor_b32_e32 v13, 0x80000000, v13
	ds_write_b64 v7, v[12:13]
	global_load_dwordx2 v[12:13], v[3:4], off
	v_add_co_u32_e32 v3, vcc, 0x80, v3
	v_addc_co_u32_e32 v4, vcc, 0, v4, vcc
	v_add_co_u32_e32 v0, vcc, 0x80, v0
	v_addc_co_u32_e32 v1, vcc, 0, v1, vcc
	s_waitcnt vmcnt(0)
	ds_write_b64 v9, v[12:13]
	s_waitcnt lgkmcnt(0)
	s_barrier
	ds_read2_b64 v[12:15], v6 offset1:16
	ds_read_b128 v[16:19], v8
	ds_read_b128 v[20:23], v8 offset:16
	ds_read_b128 v[24:27], v8 offset:32
	;; [unrolled: 1-line block ×3, first 2 shown]
	s_waitcnt lgkmcnt(3)
	v_mul_f32_e32 v32, v17, v13
	v_mul_f32_e32 v13, v16, v13
	v_fmac_f32_e32 v13, v17, v12
	v_fma_f32 v32, v16, v12, -v32
	v_add_f32_e32 v10, v10, v13
	v_mul_f32_e32 v12, v19, v15
	v_mul_f32_e32 v13, v18, v15
	v_add_f32_e32 v11, v11, v32
	v_fma_f32 v12, v18, v14, -v12
	v_fmac_f32_e32 v13, v19, v14
	v_add_f32_e32 v14, v11, v12
	v_add_f32_e32 v15, v10, v13
	ds_read2_b64 v[10:13], v6 offset0:32 offset1:48
	s_waitcnt lgkmcnt(0)
	v_mul_f32_e32 v16, v21, v11
	v_fma_f32 v16, v20, v10, -v16
	v_mul_f32_e32 v11, v20, v11
	v_fmac_f32_e32 v11, v21, v10
	v_add_f32_e32 v10, v14, v16
	v_mul_f32_e32 v14, v23, v13
	v_mul_f32_e32 v13, v22, v13
	v_add_f32_e32 v11, v15, v11
	v_fma_f32 v14, v22, v12, -v14
	v_fmac_f32_e32 v13, v23, v12
	v_add_f32_e32 v14, v10, v14
	v_add_f32_e32 v15, v11, v13
	ds_read2_b64 v[10:13], v6 offset0:64 offset1:80
	s_waitcnt lgkmcnt(0)
	v_mul_f32_e32 v16, v25, v11
	v_fma_f32 v16, v24, v10, -v16
	v_mul_f32_e32 v11, v24, v11
	v_fmac_f32_e32 v11, v25, v10
	;; [unrolled: 14-line block ×3, first 2 shown]
	v_add_f32_e32 v10, v14, v16
	v_mul_f32_e32 v14, v31, v13
	v_mul_f32_e32 v13, v30, v13
	v_add_f32_e32 v11, v15, v11
	v_fma_f32 v14, v30, v12, -v14
	v_fmac_f32_e32 v13, v31, v12
	v_add_f32_e32 v18, v10, v14
	v_add_f32_e32 v19, v11, v13
	ds_read2_b64 v[10:13], v6 offset0:128 offset1:144
	ds_read_b128 v[14:17], v8 offset:64
	s_waitcnt lgkmcnt(0)
	v_mul_f32_e32 v20, v15, v11
	v_mul_f32_e32 v11, v14, v11
	v_fma_f32 v20, v14, v10, -v20
	v_fmac_f32_e32 v11, v15, v10
	v_mul_f32_e32 v14, v17, v13
	v_mul_f32_e32 v13, v16, v13
	v_add_f32_e32 v10, v18, v20
	v_add_f32_e32 v11, v19, v11
	v_fma_f32 v14, v16, v12, -v14
	v_fmac_f32_e32 v13, v17, v12
	v_add_f32_e32 v18, v10, v14
	v_add_f32_e32 v19, v11, v13
	ds_read2_b64 v[10:13], v6 offset0:160 offset1:176
	ds_read_b128 v[14:17], v8 offset:80
	s_waitcnt lgkmcnt(0)
	v_mul_f32_e32 v20, v15, v11
	v_mul_f32_e32 v11, v14, v11
	v_fma_f32 v20, v14, v10, -v20
	v_fmac_f32_e32 v11, v15, v10
	v_mul_f32_e32 v14, v17, v13
	v_mul_f32_e32 v13, v16, v13
	v_add_f32_e32 v10, v18, v20
	;; [unrolled: 15-line block ×3, first 2 shown]
	v_add_f32_e32 v11, v19, v11
	v_fma_f32 v14, v16, v12, -v14
	v_fmac_f32_e32 v13, v17, v12
	v_add_f32_e32 v18, v10, v14
	v_add_f32_e32 v19, v11, v13
	ds_read2_b64 v[10:13], v6 offset0:224 offset1:240
	ds_read_b128 v[14:17], v8 offset:112
	s_waitcnt lgkmcnt(0)
	s_barrier
	v_mul_f32_e32 v20, v15, v11
	v_mul_f32_e32 v11, v14, v11
	v_fmac_f32_e32 v11, v15, v10
	v_fma_f32 v20, v14, v10, -v20
	v_add_f32_e32 v14, v19, v11
	v_mul_f32_e32 v11, v17, v13
	v_mul_f32_e32 v13, v16, v13
	v_add_f32_e32 v10, v18, v20
	v_fma_f32 v11, v16, v12, -v11
	v_fmac_f32_e32 v13, v17, v12
	v_add_f32_e32 v11, v10, v11
	v_add_f32_e32 v10, v14, v13
	s_cbranch_scc1 .LBB353_2
; %bb.3:
	v_cmp_le_i32_e32 vcc, v5, v2
	s_and_saveexec_b64 s[0:1], vcc
	s_cbranch_execnz .LBB353_6
.LBB353_4:
	s_endpgm
.LBB353_5:
	v_mov_b32_e32 v10, 0
	v_mov_b32_e32 v11, 0
	v_cmp_le_i32_e32 vcc, v5, v2
	s_and_saveexec_b64 s[0:1], vcc
	s_cbranch_execz .LBB353_4
.LBB353_6:
	s_load_dwordx2 s[0:1], s[4:5], 0x58
	s_load_dword s6, s[4:5], 0x50
	v_ashrrev_i32_e32 v3, 31, v2
	v_mul_f32_e32 v7, s12, v10
	v_fmac_f32_e32 v7, s13, v11
	s_waitcnt lgkmcnt(0)
	s_mul_i32 s1, s1, s8
	s_mul_hi_u32 s4, s0, s8
	s_add_i32 s1, s4, s1
	v_mad_i64_i32 v[0:1], s[4:5], s6, v5, 0
	s_mul_i32 s0, s0, s8
	s_lshl_b64 s[0:1], s[0:1], 3
	s_add_u32 s0, s10, s0
	v_lshlrev_b64 v[0:1], 3, v[0:1]
	s_addc_u32 s1, s11, s1
	v_mov_b32_e32 v4, s1
	v_add_co_u32_e32 v6, vcc, s0, v0
	v_addc_co_u32_e32 v4, vcc, v4, v1, vcc
	v_lshlrev_b64 v[0:1], 3, v[2:3]
	v_add_co_u32_e32 v0, vcc, v6, v0
	v_addc_co_u32_e32 v1, vcc, v4, v1, vcc
	global_load_dwordx2 v[3:4], v[0:1], off
	v_mul_f32_e32 v6, s13, v10
	v_fma_f32 v6, v11, s12, -v6
	v_cmp_eq_u32_e32 vcc, v2, v5
	s_waitcnt vmcnt(0)
	v_mul_f32_e32 v8, s3, v4
	v_mul_f32_e32 v4, s2, v4
	v_fma_f32 v8, v3, s2, -v8
	v_fmac_f32_e32 v4, s3, v3
	v_add_f32_e32 v3, v6, v8
	v_add_f32_e32 v4, v7, v4
	global_store_dwordx2 v[0:1], v[3:4], off
	s_and_b64 exec, exec, vcc
	s_cbranch_execz .LBB353_4
; %bb.7:
	v_mov_b32_e32 v2, 0
	global_store_dword v[0:1], v2, off offset:4
	s_endpgm
	.section	.rodata,"a",@progbits
	.p2align	6, 0x0
	.amdhsa_kernel _ZL41rocblas_syrkx_herkx_small_restrict_kernelIi19rocblas_complex_numIfELi16ELb0ELb1ELc67ELc76EKS1_S1_EviT_T0_PT6_S3_lS6_S3_lS4_PT7_S3_li
		.amdhsa_group_segment_fixed_size 4096
		.amdhsa_private_segment_fixed_size 0
		.amdhsa_kernarg_size 100
		.amdhsa_user_sgpr_count 6
		.amdhsa_user_sgpr_private_segment_buffer 1
		.amdhsa_user_sgpr_dispatch_ptr 0
		.amdhsa_user_sgpr_queue_ptr 0
		.amdhsa_user_sgpr_kernarg_segment_ptr 1
		.amdhsa_user_sgpr_dispatch_id 0
		.amdhsa_user_sgpr_flat_scratch_init 0
		.amdhsa_user_sgpr_private_segment_size 0
		.amdhsa_uses_dynamic_stack 0
		.amdhsa_system_sgpr_private_segment_wavefront_offset 0
		.amdhsa_system_sgpr_workgroup_id_x 1
		.amdhsa_system_sgpr_workgroup_id_y 1
		.amdhsa_system_sgpr_workgroup_id_z 1
		.amdhsa_system_sgpr_workgroup_info 0
		.amdhsa_system_vgpr_workitem_id 1
		.amdhsa_next_free_vgpr 33
		.amdhsa_next_free_sgpr 24
		.amdhsa_reserve_vcc 1
		.amdhsa_reserve_flat_scratch 0
		.amdhsa_float_round_mode_32 0
		.amdhsa_float_round_mode_16_64 0
		.amdhsa_float_denorm_mode_32 3
		.amdhsa_float_denorm_mode_16_64 3
		.amdhsa_dx10_clamp 1
		.amdhsa_ieee_mode 1
		.amdhsa_fp16_overflow 0
		.amdhsa_exception_fp_ieee_invalid_op 0
		.amdhsa_exception_fp_denorm_src 0
		.amdhsa_exception_fp_ieee_div_zero 0
		.amdhsa_exception_fp_ieee_overflow 0
		.amdhsa_exception_fp_ieee_underflow 0
		.amdhsa_exception_fp_ieee_inexact 0
		.amdhsa_exception_int_div_zero 0
	.end_amdhsa_kernel
	.section	.text._ZL41rocblas_syrkx_herkx_small_restrict_kernelIi19rocblas_complex_numIfELi16ELb0ELb1ELc67ELc76EKS1_S1_EviT_T0_PT6_S3_lS6_S3_lS4_PT7_S3_li,"axG",@progbits,_ZL41rocblas_syrkx_herkx_small_restrict_kernelIi19rocblas_complex_numIfELi16ELb0ELb1ELc67ELc76EKS1_S1_EviT_T0_PT6_S3_lS6_S3_lS4_PT7_S3_li,comdat
.Lfunc_end353:
	.size	_ZL41rocblas_syrkx_herkx_small_restrict_kernelIi19rocblas_complex_numIfELi16ELb0ELb1ELc67ELc76EKS1_S1_EviT_T0_PT6_S3_lS6_S3_lS4_PT7_S3_li, .Lfunc_end353-_ZL41rocblas_syrkx_herkx_small_restrict_kernelIi19rocblas_complex_numIfELi16ELb0ELb1ELc67ELc76EKS1_S1_EviT_T0_PT6_S3_lS6_S3_lS4_PT7_S3_li
                                        ; -- End function
	.set _ZL41rocblas_syrkx_herkx_small_restrict_kernelIi19rocblas_complex_numIfELi16ELb0ELb1ELc67ELc76EKS1_S1_EviT_T0_PT6_S3_lS6_S3_lS4_PT7_S3_li.num_vgpr, 33
	.set _ZL41rocblas_syrkx_herkx_small_restrict_kernelIi19rocblas_complex_numIfELi16ELb0ELb1ELc67ELc76EKS1_S1_EviT_T0_PT6_S3_lS6_S3_lS4_PT7_S3_li.num_agpr, 0
	.set _ZL41rocblas_syrkx_herkx_small_restrict_kernelIi19rocblas_complex_numIfELi16ELb0ELb1ELc67ELc76EKS1_S1_EviT_T0_PT6_S3_lS6_S3_lS4_PT7_S3_li.numbered_sgpr, 24
	.set _ZL41rocblas_syrkx_herkx_small_restrict_kernelIi19rocblas_complex_numIfELi16ELb0ELb1ELc67ELc76EKS1_S1_EviT_T0_PT6_S3_lS6_S3_lS4_PT7_S3_li.num_named_barrier, 0
	.set _ZL41rocblas_syrkx_herkx_small_restrict_kernelIi19rocblas_complex_numIfELi16ELb0ELb1ELc67ELc76EKS1_S1_EviT_T0_PT6_S3_lS6_S3_lS4_PT7_S3_li.private_seg_size, 0
	.set _ZL41rocblas_syrkx_herkx_small_restrict_kernelIi19rocblas_complex_numIfELi16ELb0ELb1ELc67ELc76EKS1_S1_EviT_T0_PT6_S3_lS6_S3_lS4_PT7_S3_li.uses_vcc, 1
	.set _ZL41rocblas_syrkx_herkx_small_restrict_kernelIi19rocblas_complex_numIfELi16ELb0ELb1ELc67ELc76EKS1_S1_EviT_T0_PT6_S3_lS6_S3_lS4_PT7_S3_li.uses_flat_scratch, 0
	.set _ZL41rocblas_syrkx_herkx_small_restrict_kernelIi19rocblas_complex_numIfELi16ELb0ELb1ELc67ELc76EKS1_S1_EviT_T0_PT6_S3_lS6_S3_lS4_PT7_S3_li.has_dyn_sized_stack, 0
	.set _ZL41rocblas_syrkx_herkx_small_restrict_kernelIi19rocblas_complex_numIfELi16ELb0ELb1ELc67ELc76EKS1_S1_EviT_T0_PT6_S3_lS6_S3_lS4_PT7_S3_li.has_recursion, 0
	.set _ZL41rocblas_syrkx_herkx_small_restrict_kernelIi19rocblas_complex_numIfELi16ELb0ELb1ELc67ELc76EKS1_S1_EviT_T0_PT6_S3_lS6_S3_lS4_PT7_S3_li.has_indirect_call, 0
	.section	.AMDGPU.csdata,"",@progbits
; Kernel info:
; codeLenInByte = 1204
; TotalNumSgprs: 28
; NumVgprs: 33
; ScratchSize: 0
; MemoryBound: 0
; FloatMode: 240
; IeeeMode: 1
; LDSByteSize: 4096 bytes/workgroup (compile time only)
; SGPRBlocks: 3
; VGPRBlocks: 8
; NumSGPRsForWavesPerEU: 28
; NumVGPRsForWavesPerEU: 33
; Occupancy: 7
; WaveLimiterHint : 0
; COMPUTE_PGM_RSRC2:SCRATCH_EN: 0
; COMPUTE_PGM_RSRC2:USER_SGPR: 6
; COMPUTE_PGM_RSRC2:TRAP_HANDLER: 0
; COMPUTE_PGM_RSRC2:TGID_X_EN: 1
; COMPUTE_PGM_RSRC2:TGID_Y_EN: 1
; COMPUTE_PGM_RSRC2:TGID_Z_EN: 1
; COMPUTE_PGM_RSRC2:TIDIG_COMP_CNT: 1
	.section	.text._ZL41rocblas_syrkx_herkx_small_restrict_kernelIi19rocblas_complex_numIfELi16ELb0ELb1ELc78ELc76EKS1_S1_EviT_T0_PT6_S3_lS6_S3_lS4_PT7_S3_li,"axG",@progbits,_ZL41rocblas_syrkx_herkx_small_restrict_kernelIi19rocblas_complex_numIfELi16ELb0ELb1ELc78ELc76EKS1_S1_EviT_T0_PT6_S3_lS6_S3_lS4_PT7_S3_li,comdat
	.globl	_ZL41rocblas_syrkx_herkx_small_restrict_kernelIi19rocblas_complex_numIfELi16ELb0ELb1ELc78ELc76EKS1_S1_EviT_T0_PT6_S3_lS6_S3_lS4_PT7_S3_li ; -- Begin function _ZL41rocblas_syrkx_herkx_small_restrict_kernelIi19rocblas_complex_numIfELi16ELb0ELb1ELc78ELc76EKS1_S1_EviT_T0_PT6_S3_lS6_S3_lS4_PT7_S3_li
	.p2align	8
	.type	_ZL41rocblas_syrkx_herkx_small_restrict_kernelIi19rocblas_complex_numIfELi16ELb0ELb1ELc78ELc76EKS1_S1_EviT_T0_PT6_S3_lS6_S3_lS4_PT7_S3_li,@function
_ZL41rocblas_syrkx_herkx_small_restrict_kernelIi19rocblas_complex_numIfELi16ELb0ELb1ELc78ELc76EKS1_S1_EviT_T0_PT6_S3_lS6_S3_lS4_PT7_S3_li: ; @_ZL41rocblas_syrkx_herkx_small_restrict_kernelIi19rocblas_complex_numIfELi16ELb0ELb1ELc78ELc76EKS1_S1_EviT_T0_PT6_S3_lS6_S3_lS4_PT7_S3_li
; %bb.0:
	s_load_dword s9, s[4:5], 0x4
	s_load_dwordx4 s[12:15], s[4:5], 0x8
	s_load_dwordx4 s[0:3], s[4:5], 0x38
	s_load_dwordx2 s[10:11], s[4:5], 0x48
	v_lshl_add_u32 v2, s6, 4, v0
	s_mov_b32 s20, 0
	v_lshl_add_u32 v4, s7, 4, v1
	s_waitcnt lgkmcnt(0)
	s_cmp_lt_i32 s9, 1
	v_ashrrev_i32_e32 v3, 31, v2
	s_cbranch_scc1 .LBB354_5
; %bb.1:
	s_load_dword s6, s[4:5], 0x18
	s_load_dword s22, s[4:5], 0x30
	s_load_dwordx4 s[16:19], s[4:5], 0x20
	s_mul_i32 s1, s1, s8
	s_mul_hi_u32 s21, s0, s8
	s_add_i32 s1, s21, s1
	s_waitcnt lgkmcnt(0)
	v_mad_i64_i32 v[10:11], s[24:25], s22, v0, 0
	s_mul_i32 s0, s0, s8
	v_lshlrev_b32_e32 v6, 7, v1
	v_lshlrev_b64 v[10:11], 3, v[10:11]
	v_lshlrev_b32_e32 v7, 3, v0
	v_ashrrev_i32_e32 v5, 31, v4
	s_lshl_b64 s[0:1], s[0:1], 3
	v_add_u32_e32 v8, v7, v6
	v_add_u32_e32 v9, 0x800, v6
	v_mov_b32_e32 v0, s1
	v_add_co_u32_e32 v10, vcc, s0, v10
	v_lshlrev_b64 v[5:6], 3, v[4:5]
	v_addc_co_u32_e32 v0, vcc, v0, v11, vcc
	v_add_co_u32_e32 v5, vcc, v10, v5
	v_addc_co_u32_e32 v0, vcc, v0, v6, vcc
	v_mov_b32_e32 v6, s19
	v_add_co_u32_e32 v5, vcc, s18, v5
	v_addc_co_u32_e32 v0, vcc, v6, v0, vcc
	v_add_co_u32_e32 v5, vcc, 4, v5
	v_addc_co_u32_e32 v6, vcc, 0, v0, vcc
	v_mad_i64_i32 v[0:1], s[18:19], s6, v1, 0
	s_mul_i32 s17, s17, s8
	s_mul_hi_u32 s21, s16, s8
	s_add_i32 s17, s21, s17
	s_mul_i32 s16, s16, s8
	v_lshlrev_b64 v[0:1], 3, v[0:1]
	s_lshl_b64 s[16:17], s[16:17], 3
	v_mov_b32_e32 v10, s17
	v_add_co_u32_e32 v11, vcc, s16, v0
	v_addc_co_u32_e32 v10, vcc, v10, v1, vcc
	v_lshlrev_b64 v[0:1], 3, v[2:3]
	s_ashr_i32 s7, s6, 31
	v_add_co_u32_e32 v0, vcc, v11, v0
	s_ashr_i32 s23, s22, 31
	v_addc_co_u32_e32 v1, vcc, v10, v1, vcc
	s_lshl_b64 s[0:1], s[22:23], 7
	v_mov_b32_e32 v10, s15
	v_add_co_u32_e32 v0, vcc, s14, v0
	s_lshl_b64 s[6:7], s[6:7], 7
	v_addc_co_u32_e32 v1, vcc, v10, v1, vcc
	v_mov_b32_e32 v12, 0
	v_mov_b32_e32 v10, s1
	;; [unrolled: 1-line block ×4, first 2 shown]
.LBB354_2:                              ; =>This Inner Loop Header: Depth=1
	global_load_dwordx2 v[14:15], v[0:1], off
	v_add_u32_e32 v16, v9, v7
	s_add_i32 s20, s20, 16
	s_cmp_lt_i32 s20, s9
	s_waitcnt vmcnt(0)
	ds_write_b64 v8, v[14:15]
	global_load_dwordx2 v[14:15], v[5:6], off offset:-4
	v_add_co_u32_e32 v5, vcc, s0, v5
	v_addc_co_u32_e32 v6, vcc, v6, v10, vcc
	v_add_co_u32_e32 v0, vcc, s6, v0
	v_addc_co_u32_e32 v1, vcc, v1, v11, vcc
	s_waitcnt vmcnt(0)
	v_xor_b32_e32 v15, 0x80000000, v15
	ds_write_b64 v16, v[14:15]
	s_waitcnt lgkmcnt(0)
	s_barrier
	ds_read2_b64 v[14:17], v7 offset1:16
	ds_read_b128 v[18:21], v9
	ds_read_b128 v[22:25], v9 offset:16
	ds_read_b128 v[26:29], v9 offset:32
	;; [unrolled: 1-line block ×3, first 2 shown]
	s_waitcnt lgkmcnt(3)
	v_mul_f32_e32 v34, v19, v15
	v_mul_f32_e32 v15, v18, v15
	v_fmac_f32_e32 v15, v19, v14
	v_fma_f32 v34, v18, v14, -v34
	v_add_f32_e32 v12, v12, v15
	v_mul_f32_e32 v14, v21, v17
	v_mul_f32_e32 v15, v20, v17
	v_add_f32_e32 v13, v13, v34
	v_fma_f32 v14, v20, v16, -v14
	v_fmac_f32_e32 v15, v21, v16
	v_add_f32_e32 v16, v13, v14
	v_add_f32_e32 v17, v12, v15
	ds_read2_b64 v[12:15], v7 offset0:32 offset1:48
	s_waitcnt lgkmcnt(0)
	v_mul_f32_e32 v18, v23, v13
	v_fma_f32 v18, v22, v12, -v18
	v_mul_f32_e32 v13, v22, v13
	v_fmac_f32_e32 v13, v23, v12
	v_add_f32_e32 v12, v16, v18
	v_mul_f32_e32 v16, v25, v15
	v_mul_f32_e32 v15, v24, v15
	v_add_f32_e32 v13, v17, v13
	v_fma_f32 v16, v24, v14, -v16
	v_fmac_f32_e32 v15, v25, v14
	v_add_f32_e32 v16, v12, v16
	v_add_f32_e32 v17, v13, v15
	ds_read2_b64 v[12:15], v7 offset0:64 offset1:80
	s_waitcnt lgkmcnt(0)
	v_mul_f32_e32 v18, v27, v13
	v_fma_f32 v18, v26, v12, -v18
	v_mul_f32_e32 v13, v26, v13
	v_fmac_f32_e32 v13, v27, v12
	;; [unrolled: 14-line block ×3, first 2 shown]
	v_add_f32_e32 v12, v16, v18
	v_mul_f32_e32 v16, v33, v15
	v_mul_f32_e32 v15, v32, v15
	v_add_f32_e32 v13, v17, v13
	v_fma_f32 v16, v32, v14, -v16
	v_fmac_f32_e32 v15, v33, v14
	v_add_f32_e32 v20, v12, v16
	v_add_f32_e32 v21, v13, v15
	ds_read2_b64 v[12:15], v7 offset0:128 offset1:144
	ds_read_b128 v[16:19], v9 offset:64
	s_waitcnt lgkmcnt(0)
	v_mul_f32_e32 v22, v17, v13
	v_mul_f32_e32 v13, v16, v13
	v_fma_f32 v22, v16, v12, -v22
	v_fmac_f32_e32 v13, v17, v12
	v_mul_f32_e32 v16, v19, v15
	v_mul_f32_e32 v15, v18, v15
	v_add_f32_e32 v12, v20, v22
	v_add_f32_e32 v13, v21, v13
	v_fma_f32 v16, v18, v14, -v16
	v_fmac_f32_e32 v15, v19, v14
	v_add_f32_e32 v20, v12, v16
	v_add_f32_e32 v21, v13, v15
	ds_read2_b64 v[12:15], v7 offset0:160 offset1:176
	ds_read_b128 v[16:19], v9 offset:80
	s_waitcnt lgkmcnt(0)
	v_mul_f32_e32 v22, v17, v13
	v_mul_f32_e32 v13, v16, v13
	v_fma_f32 v22, v16, v12, -v22
	v_fmac_f32_e32 v13, v17, v12
	v_mul_f32_e32 v16, v19, v15
	v_mul_f32_e32 v15, v18, v15
	v_add_f32_e32 v12, v20, v22
	;; [unrolled: 15-line block ×3, first 2 shown]
	v_add_f32_e32 v13, v21, v13
	v_fma_f32 v16, v18, v14, -v16
	v_fmac_f32_e32 v15, v19, v14
	v_add_f32_e32 v20, v12, v16
	v_add_f32_e32 v21, v13, v15
	ds_read2_b64 v[12:15], v7 offset0:224 offset1:240
	ds_read_b128 v[16:19], v9 offset:112
	s_waitcnt lgkmcnt(0)
	s_barrier
	v_mul_f32_e32 v22, v17, v13
	v_mul_f32_e32 v13, v16, v13
	v_fmac_f32_e32 v13, v17, v12
	v_fma_f32 v22, v16, v12, -v22
	v_add_f32_e32 v16, v21, v13
	v_mul_f32_e32 v13, v19, v15
	v_mul_f32_e32 v15, v18, v15
	v_add_f32_e32 v12, v20, v22
	v_fma_f32 v13, v18, v14, -v13
	v_fmac_f32_e32 v15, v19, v14
	v_add_f32_e32 v13, v12, v13
	v_add_f32_e32 v12, v16, v15
	s_cbranch_scc1 .LBB354_2
; %bb.3:
	v_cmp_le_i32_e32 vcc, v4, v2
	s_and_saveexec_b64 s[0:1], vcc
	s_cbranch_execnz .LBB354_6
.LBB354_4:
	s_endpgm
.LBB354_5:
	v_mov_b32_e32 v12, 0
	v_mov_b32_e32 v13, 0
	v_cmp_le_i32_e32 vcc, v4, v2
	s_and_saveexec_b64 s[0:1], vcc
	s_cbranch_execz .LBB354_4
.LBB354_6:
	s_load_dwordx2 s[0:1], s[4:5], 0x58
	s_load_dword s6, s[4:5], 0x50
	v_mul_f32_e32 v7, s12, v12
	v_fmac_f32_e32 v7, s13, v13
	s_waitcnt lgkmcnt(0)
	s_mul_i32 s1, s1, s8
	s_mul_hi_u32 s4, s0, s8
	s_add_i32 s1, s4, s1
	v_mad_i64_i32 v[0:1], s[4:5], s6, v4, 0
	s_mul_i32 s0, s0, s8
	s_lshl_b64 s[0:1], s[0:1], 3
	s_add_u32 s0, s10, s0
	v_lshlrev_b64 v[0:1], 3, v[0:1]
	s_addc_u32 s1, s11, s1
	v_mov_b32_e32 v5, s1
	v_add_co_u32_e32 v6, vcc, s0, v0
	v_addc_co_u32_e32 v5, vcc, v5, v1, vcc
	v_lshlrev_b64 v[0:1], 3, v[2:3]
	v_mul_f32_e32 v3, s13, v12
	v_add_co_u32_e32 v0, vcc, v6, v0
	v_addc_co_u32_e32 v1, vcc, v5, v1, vcc
	global_load_dwordx2 v[5:6], v[0:1], off
	v_fma_f32 v3, v13, s12, -v3
	v_cmp_eq_u32_e32 vcc, v2, v4
	s_waitcnt vmcnt(0)
	v_mul_f32_e32 v8, s3, v6
	v_mul_f32_e32 v6, s2, v6
	v_fma_f32 v8, v5, s2, -v8
	v_fmac_f32_e32 v6, s3, v5
	v_add_f32_e32 v5, v3, v8
	v_add_f32_e32 v6, v7, v6
	global_store_dwordx2 v[0:1], v[5:6], off
	s_and_b64 exec, exec, vcc
	s_cbranch_execz .LBB354_4
; %bb.7:
	v_mov_b32_e32 v2, 0
	global_store_dword v[0:1], v2, off offset:4
	s_endpgm
	.section	.rodata,"a",@progbits
	.p2align	6, 0x0
	.amdhsa_kernel _ZL41rocblas_syrkx_herkx_small_restrict_kernelIi19rocblas_complex_numIfELi16ELb0ELb1ELc78ELc76EKS1_S1_EviT_T0_PT6_S3_lS6_S3_lS4_PT7_S3_li
		.amdhsa_group_segment_fixed_size 4096
		.amdhsa_private_segment_fixed_size 0
		.amdhsa_kernarg_size 100
		.amdhsa_user_sgpr_count 6
		.amdhsa_user_sgpr_private_segment_buffer 1
		.amdhsa_user_sgpr_dispatch_ptr 0
		.amdhsa_user_sgpr_queue_ptr 0
		.amdhsa_user_sgpr_kernarg_segment_ptr 1
		.amdhsa_user_sgpr_dispatch_id 0
		.amdhsa_user_sgpr_flat_scratch_init 0
		.amdhsa_user_sgpr_private_segment_size 0
		.amdhsa_uses_dynamic_stack 0
		.amdhsa_system_sgpr_private_segment_wavefront_offset 0
		.amdhsa_system_sgpr_workgroup_id_x 1
		.amdhsa_system_sgpr_workgroup_id_y 1
		.amdhsa_system_sgpr_workgroup_id_z 1
		.amdhsa_system_sgpr_workgroup_info 0
		.amdhsa_system_vgpr_workitem_id 1
		.amdhsa_next_free_vgpr 35
		.amdhsa_next_free_sgpr 26
		.amdhsa_reserve_vcc 1
		.amdhsa_reserve_flat_scratch 0
		.amdhsa_float_round_mode_32 0
		.amdhsa_float_round_mode_16_64 0
		.amdhsa_float_denorm_mode_32 3
		.amdhsa_float_denorm_mode_16_64 3
		.amdhsa_dx10_clamp 1
		.amdhsa_ieee_mode 1
		.amdhsa_fp16_overflow 0
		.amdhsa_exception_fp_ieee_invalid_op 0
		.amdhsa_exception_fp_denorm_src 0
		.amdhsa_exception_fp_ieee_div_zero 0
		.amdhsa_exception_fp_ieee_overflow 0
		.amdhsa_exception_fp_ieee_underflow 0
		.amdhsa_exception_fp_ieee_inexact 0
		.amdhsa_exception_int_div_zero 0
	.end_amdhsa_kernel
	.section	.text._ZL41rocblas_syrkx_herkx_small_restrict_kernelIi19rocblas_complex_numIfELi16ELb0ELb1ELc78ELc76EKS1_S1_EviT_T0_PT6_S3_lS6_S3_lS4_PT7_S3_li,"axG",@progbits,_ZL41rocblas_syrkx_herkx_small_restrict_kernelIi19rocblas_complex_numIfELi16ELb0ELb1ELc78ELc76EKS1_S1_EviT_T0_PT6_S3_lS6_S3_lS4_PT7_S3_li,comdat
.Lfunc_end354:
	.size	_ZL41rocblas_syrkx_herkx_small_restrict_kernelIi19rocblas_complex_numIfELi16ELb0ELb1ELc78ELc76EKS1_S1_EviT_T0_PT6_S3_lS6_S3_lS4_PT7_S3_li, .Lfunc_end354-_ZL41rocblas_syrkx_herkx_small_restrict_kernelIi19rocblas_complex_numIfELi16ELb0ELb1ELc78ELc76EKS1_S1_EviT_T0_PT6_S3_lS6_S3_lS4_PT7_S3_li
                                        ; -- End function
	.set _ZL41rocblas_syrkx_herkx_small_restrict_kernelIi19rocblas_complex_numIfELi16ELb0ELb1ELc78ELc76EKS1_S1_EviT_T0_PT6_S3_lS6_S3_lS4_PT7_S3_li.num_vgpr, 35
	.set _ZL41rocblas_syrkx_herkx_small_restrict_kernelIi19rocblas_complex_numIfELi16ELb0ELb1ELc78ELc76EKS1_S1_EviT_T0_PT6_S3_lS6_S3_lS4_PT7_S3_li.num_agpr, 0
	.set _ZL41rocblas_syrkx_herkx_small_restrict_kernelIi19rocblas_complex_numIfELi16ELb0ELb1ELc78ELc76EKS1_S1_EviT_T0_PT6_S3_lS6_S3_lS4_PT7_S3_li.numbered_sgpr, 26
	.set _ZL41rocblas_syrkx_herkx_small_restrict_kernelIi19rocblas_complex_numIfELi16ELb0ELb1ELc78ELc76EKS1_S1_EviT_T0_PT6_S3_lS6_S3_lS4_PT7_S3_li.num_named_barrier, 0
	.set _ZL41rocblas_syrkx_herkx_small_restrict_kernelIi19rocblas_complex_numIfELi16ELb0ELb1ELc78ELc76EKS1_S1_EviT_T0_PT6_S3_lS6_S3_lS4_PT7_S3_li.private_seg_size, 0
	.set _ZL41rocblas_syrkx_herkx_small_restrict_kernelIi19rocblas_complex_numIfELi16ELb0ELb1ELc78ELc76EKS1_S1_EviT_T0_PT6_S3_lS6_S3_lS4_PT7_S3_li.uses_vcc, 1
	.set _ZL41rocblas_syrkx_herkx_small_restrict_kernelIi19rocblas_complex_numIfELi16ELb0ELb1ELc78ELc76EKS1_S1_EviT_T0_PT6_S3_lS6_S3_lS4_PT7_S3_li.uses_flat_scratch, 0
	.set _ZL41rocblas_syrkx_herkx_small_restrict_kernelIi19rocblas_complex_numIfELi16ELb0ELb1ELc78ELc76EKS1_S1_EviT_T0_PT6_S3_lS6_S3_lS4_PT7_S3_li.has_dyn_sized_stack, 0
	.set _ZL41rocblas_syrkx_herkx_small_restrict_kernelIi19rocblas_complex_numIfELi16ELb0ELb1ELc78ELc76EKS1_S1_EviT_T0_PT6_S3_lS6_S3_lS4_PT7_S3_li.has_recursion, 0
	.set _ZL41rocblas_syrkx_herkx_small_restrict_kernelIi19rocblas_complex_numIfELi16ELb0ELb1ELc78ELc76EKS1_S1_EviT_T0_PT6_S3_lS6_S3_lS4_PT7_S3_li.has_indirect_call, 0
	.section	.AMDGPU.csdata,"",@progbits
; Kernel info:
; codeLenInByte = 1236
; TotalNumSgprs: 30
; NumVgprs: 35
; ScratchSize: 0
; MemoryBound: 0
; FloatMode: 240
; IeeeMode: 1
; LDSByteSize: 4096 bytes/workgroup (compile time only)
; SGPRBlocks: 3
; VGPRBlocks: 8
; NumSGPRsForWavesPerEU: 30
; NumVGPRsForWavesPerEU: 35
; Occupancy: 7
; WaveLimiterHint : 0
; COMPUTE_PGM_RSRC2:SCRATCH_EN: 0
; COMPUTE_PGM_RSRC2:USER_SGPR: 6
; COMPUTE_PGM_RSRC2:TRAP_HANDLER: 0
; COMPUTE_PGM_RSRC2:TGID_X_EN: 1
; COMPUTE_PGM_RSRC2:TGID_Y_EN: 1
; COMPUTE_PGM_RSRC2:TGID_Z_EN: 1
; COMPUTE_PGM_RSRC2:TIDIG_COMP_CNT: 1
	.section	.text._ZL41rocblas_syrkx_herkx_small_restrict_kernelIi19rocblas_complex_numIfELi16ELb0ELb1ELc84ELc85EKS1_S1_EviT_T0_PT6_S3_lS6_S3_lS4_PT7_S3_li,"axG",@progbits,_ZL41rocblas_syrkx_herkx_small_restrict_kernelIi19rocblas_complex_numIfELi16ELb0ELb1ELc84ELc85EKS1_S1_EviT_T0_PT6_S3_lS6_S3_lS4_PT7_S3_li,comdat
	.globl	_ZL41rocblas_syrkx_herkx_small_restrict_kernelIi19rocblas_complex_numIfELi16ELb0ELb1ELc84ELc85EKS1_S1_EviT_T0_PT6_S3_lS6_S3_lS4_PT7_S3_li ; -- Begin function _ZL41rocblas_syrkx_herkx_small_restrict_kernelIi19rocblas_complex_numIfELi16ELb0ELb1ELc84ELc85EKS1_S1_EviT_T0_PT6_S3_lS6_S3_lS4_PT7_S3_li
	.p2align	8
	.type	_ZL41rocblas_syrkx_herkx_small_restrict_kernelIi19rocblas_complex_numIfELi16ELb0ELb1ELc84ELc85EKS1_S1_EviT_T0_PT6_S3_lS6_S3_lS4_PT7_S3_li,@function
_ZL41rocblas_syrkx_herkx_small_restrict_kernelIi19rocblas_complex_numIfELi16ELb0ELb1ELc84ELc85EKS1_S1_EviT_T0_PT6_S3_lS6_S3_lS4_PT7_S3_li: ; @_ZL41rocblas_syrkx_herkx_small_restrict_kernelIi19rocblas_complex_numIfELi16ELb0ELb1ELc84ELc85EKS1_S1_EviT_T0_PT6_S3_lS6_S3_lS4_PT7_S3_li
; %bb.0:
	s_load_dword s9, s[4:5], 0x4
	s_load_dwordx4 s[12:15], s[4:5], 0x8
	s_load_dwordx4 s[0:3], s[4:5], 0x38
	s_load_dwordx2 s[10:11], s[4:5], 0x48
	s_mov_b32 s16, 0
	v_lshl_add_u32 v2, s6, 4, v0
	s_waitcnt lgkmcnt(0)
	s_cmp_lt_i32 s9, 1
	v_lshl_add_u32 v5, s7, 4, v1
	s_cbranch_scc1 .LBB355_5
; %bb.1:
	s_load_dword s17, s[4:5], 0x18
	s_load_dword s6, s[4:5], 0x30
	s_load_dwordx4 s[20:23], s[4:5], 0x20
	s_mul_i32 s1, s1, s8
	v_lshlrev_b32_e32 v6, 3, v0
	v_lshlrev_b32_e32 v8, 7, v1
	s_waitcnt lgkmcnt(0)
	v_mad_i64_i32 v[3:4], s[6:7], s6, v5, 0
	s_mul_hi_u32 s6, s0, s8
	s_add_i32 s1, s6, s1
	v_lshlrev_b64 v[3:4], 3, v[3:4]
	s_mul_i32 s0, s0, s8
	s_lshl_b64 s[0:1], s[0:1], 3
	v_mov_b32_e32 v0, s1
	v_add_co_u32_e32 v3, vcc, s0, v3
	v_mad_i64_i32 v[11:12], s[0:1], s17, v2, 0
	v_addc_co_u32_e32 v0, vcc, v4, v0, vcc
	v_add_co_u32_e32 v3, vcc, v3, v6
	v_addc_co_u32_e32 v0, vcc, 0, v0, vcc
	s_mul_i32 s0, s21, s8
	s_mul_hi_u32 s1, s20, s8
	v_mov_b32_e32 v4, s23
	v_add_co_u32_e32 v3, vcc, s22, v3
	v_lshlrev_b64 v[11:12], 3, v[11:12]
	s_add_i32 s1, s1, s0
	s_mul_i32 s0, s20, s8
	v_addc_co_u32_e32 v4, vcc, v4, v0, vcc
	s_lshl_b64 s[0:1], s[0:1], 3
	v_mov_b32_e32 v0, s1
	v_add_co_u32_e32 v11, vcc, s0, v11
	v_addc_co_u32_e32 v0, vcc, v12, v0, vcc
	v_lshlrev_b32_e32 v1, 3, v1
	v_add_co_u32_e32 v1, vcc, v11, v1
	v_addc_co_u32_e32 v11, vcc, 0, v0, vcc
	v_add_u32_e32 v7, v6, v8
	v_add_u32_e32 v8, 0x800, v8
	v_mov_b32_e32 v12, s15
	v_add_co_u32_e32 v0, vcc, s14, v1
	v_add_u32_e32 v9, v8, v6
	v_mov_b32_e32 v10, 0
	v_addc_co_u32_e32 v1, vcc, v12, v11, vcc
	v_mov_b32_e32 v11, 0
.LBB355_2:                              ; =>This Inner Loop Header: Depth=1
	global_load_dwordx2 v[12:13], v[0:1], off
	s_add_i32 s16, s16, 16
	s_cmp_lt_i32 s16, s9
	s_waitcnt vmcnt(0)
	ds_write_b64 v7, v[12:13]
	global_load_dwordx2 v[12:13], v[3:4], off
	v_add_co_u32_e32 v3, vcc, 0x80, v3
	v_addc_co_u32_e32 v4, vcc, 0, v4, vcc
	v_add_co_u32_e32 v0, vcc, 0x80, v0
	v_addc_co_u32_e32 v1, vcc, 0, v1, vcc
	s_waitcnt vmcnt(0)
	ds_write_b64 v9, v[12:13]
	s_waitcnt lgkmcnt(0)
	s_barrier
	ds_read2_b64 v[12:15], v6 offset1:16
	ds_read_b128 v[16:19], v8
	ds_read_b128 v[20:23], v8 offset:16
	ds_read_b128 v[24:27], v8 offset:32
	;; [unrolled: 1-line block ×3, first 2 shown]
	s_waitcnt lgkmcnt(3)
	v_mul_f32_e32 v32, v17, v13
	v_mul_f32_e32 v13, v16, v13
	v_fmac_f32_e32 v13, v17, v12
	v_fma_f32 v32, v16, v12, -v32
	v_add_f32_e32 v10, v10, v13
	v_mul_f32_e32 v12, v19, v15
	v_mul_f32_e32 v13, v18, v15
	v_add_f32_e32 v11, v11, v32
	v_fma_f32 v12, v18, v14, -v12
	v_fmac_f32_e32 v13, v19, v14
	v_add_f32_e32 v14, v11, v12
	v_add_f32_e32 v15, v10, v13
	ds_read2_b64 v[10:13], v6 offset0:32 offset1:48
	s_waitcnt lgkmcnt(0)
	v_mul_f32_e32 v16, v21, v11
	v_fma_f32 v16, v20, v10, -v16
	v_mul_f32_e32 v11, v20, v11
	v_fmac_f32_e32 v11, v21, v10
	v_add_f32_e32 v10, v14, v16
	v_mul_f32_e32 v14, v23, v13
	v_mul_f32_e32 v13, v22, v13
	v_add_f32_e32 v11, v15, v11
	v_fma_f32 v14, v22, v12, -v14
	v_fmac_f32_e32 v13, v23, v12
	v_add_f32_e32 v14, v10, v14
	v_add_f32_e32 v15, v11, v13
	ds_read2_b64 v[10:13], v6 offset0:64 offset1:80
	s_waitcnt lgkmcnt(0)
	v_mul_f32_e32 v16, v25, v11
	v_fma_f32 v16, v24, v10, -v16
	v_mul_f32_e32 v11, v24, v11
	v_fmac_f32_e32 v11, v25, v10
	v_add_f32_e32 v10, v14, v16
	v_mul_f32_e32 v14, v27, v13
	v_mul_f32_e32 v13, v26, v13
	v_add_f32_e32 v11, v15, v11
	v_fma_f32 v14, v26, v12, -v14
	v_fmac_f32_e32 v13, v27, v12
	v_add_f32_e32 v14, v10, v14
	v_add_f32_e32 v15, v11, v13
	ds_read2_b64 v[10:13], v6 offset0:96 offset1:112
	s_waitcnt lgkmcnt(0)
	v_mul_f32_e32 v16, v29, v11
	v_fma_f32 v16, v28, v10, -v16
	v_mul_f32_e32 v11, v28, v11
	v_fmac_f32_e32 v11, v29, v10
	v_add_f32_e32 v10, v14, v16
	v_mul_f32_e32 v14, v31, v13
	v_mul_f32_e32 v13, v30, v13
	v_add_f32_e32 v11, v15, v11
	v_fma_f32 v14, v30, v12, -v14
	v_fmac_f32_e32 v13, v31, v12
	v_add_f32_e32 v18, v10, v14
	v_add_f32_e32 v19, v11, v13
	ds_read2_b64 v[10:13], v6 offset0:128 offset1:144
	ds_read_b128 v[14:17], v8 offset:64
	s_waitcnt lgkmcnt(0)
	v_mul_f32_e32 v20, v15, v11
	v_mul_f32_e32 v11, v14, v11
	v_fma_f32 v20, v14, v10, -v20
	v_fmac_f32_e32 v11, v15, v10
	v_mul_f32_e32 v14, v17, v13
	v_mul_f32_e32 v13, v16, v13
	v_add_f32_e32 v10, v18, v20
	v_add_f32_e32 v11, v19, v11
	v_fma_f32 v14, v16, v12, -v14
	v_fmac_f32_e32 v13, v17, v12
	v_add_f32_e32 v18, v10, v14
	v_add_f32_e32 v19, v11, v13
	ds_read2_b64 v[10:13], v6 offset0:160 offset1:176
	ds_read_b128 v[14:17], v8 offset:80
	s_waitcnt lgkmcnt(0)
	v_mul_f32_e32 v20, v15, v11
	v_mul_f32_e32 v11, v14, v11
	v_fma_f32 v20, v14, v10, -v20
	v_fmac_f32_e32 v11, v15, v10
	v_mul_f32_e32 v14, v17, v13
	v_mul_f32_e32 v13, v16, v13
	v_add_f32_e32 v10, v18, v20
	;; [unrolled: 15-line block ×3, first 2 shown]
	v_add_f32_e32 v11, v19, v11
	v_fma_f32 v14, v16, v12, -v14
	v_fmac_f32_e32 v13, v17, v12
	v_add_f32_e32 v18, v10, v14
	v_add_f32_e32 v19, v11, v13
	ds_read2_b64 v[10:13], v6 offset0:224 offset1:240
	ds_read_b128 v[14:17], v8 offset:112
	s_waitcnt lgkmcnt(0)
	s_barrier
	v_mul_f32_e32 v20, v15, v11
	v_mul_f32_e32 v11, v14, v11
	v_fmac_f32_e32 v11, v15, v10
	v_fma_f32 v20, v14, v10, -v20
	v_add_f32_e32 v14, v19, v11
	v_mul_f32_e32 v11, v17, v13
	v_mul_f32_e32 v13, v16, v13
	v_add_f32_e32 v10, v18, v20
	v_fma_f32 v11, v16, v12, -v11
	v_fmac_f32_e32 v13, v17, v12
	v_add_f32_e32 v11, v10, v11
	v_add_f32_e32 v10, v14, v13
	s_cbranch_scc1 .LBB355_2
; %bb.3:
	v_cmp_le_i32_e32 vcc, v2, v5
	s_and_saveexec_b64 s[0:1], vcc
	s_cbranch_execnz .LBB355_6
.LBB355_4:
	s_endpgm
.LBB355_5:
	v_mov_b32_e32 v10, 0
	v_mov_b32_e32 v11, 0
	v_cmp_le_i32_e32 vcc, v2, v5
	s_and_saveexec_b64 s[0:1], vcc
	s_cbranch_execz .LBB355_4
.LBB355_6:
	s_load_dwordx2 s[0:1], s[4:5], 0x58
	s_load_dword s6, s[4:5], 0x50
	v_ashrrev_i32_e32 v3, 31, v2
	v_mul_f32_e32 v7, s12, v10
	v_fmac_f32_e32 v7, s13, v11
	s_waitcnt lgkmcnt(0)
	s_mul_i32 s1, s1, s8
	s_mul_hi_u32 s4, s0, s8
	s_add_i32 s1, s4, s1
	v_mad_i64_i32 v[0:1], s[4:5], s6, v5, 0
	s_mul_i32 s0, s0, s8
	s_lshl_b64 s[0:1], s[0:1], 3
	s_add_u32 s0, s10, s0
	v_lshlrev_b64 v[0:1], 3, v[0:1]
	s_addc_u32 s1, s11, s1
	v_mov_b32_e32 v4, s1
	v_add_co_u32_e32 v6, vcc, s0, v0
	v_addc_co_u32_e32 v4, vcc, v4, v1, vcc
	v_lshlrev_b64 v[0:1], 3, v[2:3]
	v_add_co_u32_e32 v0, vcc, v6, v0
	v_addc_co_u32_e32 v1, vcc, v4, v1, vcc
	global_load_dwordx2 v[3:4], v[0:1], off
	v_mul_f32_e32 v6, s13, v10
	v_fma_f32 v6, v11, s12, -v6
	v_cmp_eq_u32_e32 vcc, v2, v5
	s_waitcnt vmcnt(0)
	v_mul_f32_e32 v8, s3, v4
	v_mul_f32_e32 v4, s2, v4
	v_fma_f32 v8, v3, s2, -v8
	v_fmac_f32_e32 v4, s3, v3
	v_add_f32_e32 v3, v6, v8
	v_add_f32_e32 v4, v7, v4
	global_store_dwordx2 v[0:1], v[3:4], off
	s_and_b64 exec, exec, vcc
	s_cbranch_execz .LBB355_4
; %bb.7:
	v_mov_b32_e32 v2, 0
	global_store_dword v[0:1], v2, off offset:4
	s_endpgm
	.section	.rodata,"a",@progbits
	.p2align	6, 0x0
	.amdhsa_kernel _ZL41rocblas_syrkx_herkx_small_restrict_kernelIi19rocblas_complex_numIfELi16ELb0ELb1ELc84ELc85EKS1_S1_EviT_T0_PT6_S3_lS6_S3_lS4_PT7_S3_li
		.amdhsa_group_segment_fixed_size 4096
		.amdhsa_private_segment_fixed_size 0
		.amdhsa_kernarg_size 100
		.amdhsa_user_sgpr_count 6
		.amdhsa_user_sgpr_private_segment_buffer 1
		.amdhsa_user_sgpr_dispatch_ptr 0
		.amdhsa_user_sgpr_queue_ptr 0
		.amdhsa_user_sgpr_kernarg_segment_ptr 1
		.amdhsa_user_sgpr_dispatch_id 0
		.amdhsa_user_sgpr_flat_scratch_init 0
		.amdhsa_user_sgpr_private_segment_size 0
		.amdhsa_uses_dynamic_stack 0
		.amdhsa_system_sgpr_private_segment_wavefront_offset 0
		.amdhsa_system_sgpr_workgroup_id_x 1
		.amdhsa_system_sgpr_workgroup_id_y 1
		.amdhsa_system_sgpr_workgroup_id_z 1
		.amdhsa_system_sgpr_workgroup_info 0
		.amdhsa_system_vgpr_workitem_id 1
		.amdhsa_next_free_vgpr 33
		.amdhsa_next_free_sgpr 24
		.amdhsa_reserve_vcc 1
		.amdhsa_reserve_flat_scratch 0
		.amdhsa_float_round_mode_32 0
		.amdhsa_float_round_mode_16_64 0
		.amdhsa_float_denorm_mode_32 3
		.amdhsa_float_denorm_mode_16_64 3
		.amdhsa_dx10_clamp 1
		.amdhsa_ieee_mode 1
		.amdhsa_fp16_overflow 0
		.amdhsa_exception_fp_ieee_invalid_op 0
		.amdhsa_exception_fp_denorm_src 0
		.amdhsa_exception_fp_ieee_div_zero 0
		.amdhsa_exception_fp_ieee_overflow 0
		.amdhsa_exception_fp_ieee_underflow 0
		.amdhsa_exception_fp_ieee_inexact 0
		.amdhsa_exception_int_div_zero 0
	.end_amdhsa_kernel
	.section	.text._ZL41rocblas_syrkx_herkx_small_restrict_kernelIi19rocblas_complex_numIfELi16ELb0ELb1ELc84ELc85EKS1_S1_EviT_T0_PT6_S3_lS6_S3_lS4_PT7_S3_li,"axG",@progbits,_ZL41rocblas_syrkx_herkx_small_restrict_kernelIi19rocblas_complex_numIfELi16ELb0ELb1ELc84ELc85EKS1_S1_EviT_T0_PT6_S3_lS6_S3_lS4_PT7_S3_li,comdat
.Lfunc_end355:
	.size	_ZL41rocblas_syrkx_herkx_small_restrict_kernelIi19rocblas_complex_numIfELi16ELb0ELb1ELc84ELc85EKS1_S1_EviT_T0_PT6_S3_lS6_S3_lS4_PT7_S3_li, .Lfunc_end355-_ZL41rocblas_syrkx_herkx_small_restrict_kernelIi19rocblas_complex_numIfELi16ELb0ELb1ELc84ELc85EKS1_S1_EviT_T0_PT6_S3_lS6_S3_lS4_PT7_S3_li
                                        ; -- End function
	.set _ZL41rocblas_syrkx_herkx_small_restrict_kernelIi19rocblas_complex_numIfELi16ELb0ELb1ELc84ELc85EKS1_S1_EviT_T0_PT6_S3_lS6_S3_lS4_PT7_S3_li.num_vgpr, 33
	.set _ZL41rocblas_syrkx_herkx_small_restrict_kernelIi19rocblas_complex_numIfELi16ELb0ELb1ELc84ELc85EKS1_S1_EviT_T0_PT6_S3_lS6_S3_lS4_PT7_S3_li.num_agpr, 0
	.set _ZL41rocblas_syrkx_herkx_small_restrict_kernelIi19rocblas_complex_numIfELi16ELb0ELb1ELc84ELc85EKS1_S1_EviT_T0_PT6_S3_lS6_S3_lS4_PT7_S3_li.numbered_sgpr, 24
	.set _ZL41rocblas_syrkx_herkx_small_restrict_kernelIi19rocblas_complex_numIfELi16ELb0ELb1ELc84ELc85EKS1_S1_EviT_T0_PT6_S3_lS6_S3_lS4_PT7_S3_li.num_named_barrier, 0
	.set _ZL41rocblas_syrkx_herkx_small_restrict_kernelIi19rocblas_complex_numIfELi16ELb0ELb1ELc84ELc85EKS1_S1_EviT_T0_PT6_S3_lS6_S3_lS4_PT7_S3_li.private_seg_size, 0
	.set _ZL41rocblas_syrkx_herkx_small_restrict_kernelIi19rocblas_complex_numIfELi16ELb0ELb1ELc84ELc85EKS1_S1_EviT_T0_PT6_S3_lS6_S3_lS4_PT7_S3_li.uses_vcc, 1
	.set _ZL41rocblas_syrkx_herkx_small_restrict_kernelIi19rocblas_complex_numIfELi16ELb0ELb1ELc84ELc85EKS1_S1_EviT_T0_PT6_S3_lS6_S3_lS4_PT7_S3_li.uses_flat_scratch, 0
	.set _ZL41rocblas_syrkx_herkx_small_restrict_kernelIi19rocblas_complex_numIfELi16ELb0ELb1ELc84ELc85EKS1_S1_EviT_T0_PT6_S3_lS6_S3_lS4_PT7_S3_li.has_dyn_sized_stack, 0
	.set _ZL41rocblas_syrkx_herkx_small_restrict_kernelIi19rocblas_complex_numIfELi16ELb0ELb1ELc84ELc85EKS1_S1_EviT_T0_PT6_S3_lS6_S3_lS4_PT7_S3_li.has_recursion, 0
	.set _ZL41rocblas_syrkx_herkx_small_restrict_kernelIi19rocblas_complex_numIfELi16ELb0ELb1ELc84ELc85EKS1_S1_EviT_T0_PT6_S3_lS6_S3_lS4_PT7_S3_li.has_indirect_call, 0
	.section	.AMDGPU.csdata,"",@progbits
; Kernel info:
; codeLenInByte = 1188
; TotalNumSgprs: 28
; NumVgprs: 33
; ScratchSize: 0
; MemoryBound: 0
; FloatMode: 240
; IeeeMode: 1
; LDSByteSize: 4096 bytes/workgroup (compile time only)
; SGPRBlocks: 3
; VGPRBlocks: 8
; NumSGPRsForWavesPerEU: 28
; NumVGPRsForWavesPerEU: 33
; Occupancy: 7
; WaveLimiterHint : 0
; COMPUTE_PGM_RSRC2:SCRATCH_EN: 0
; COMPUTE_PGM_RSRC2:USER_SGPR: 6
; COMPUTE_PGM_RSRC2:TRAP_HANDLER: 0
; COMPUTE_PGM_RSRC2:TGID_X_EN: 1
; COMPUTE_PGM_RSRC2:TGID_Y_EN: 1
; COMPUTE_PGM_RSRC2:TGID_Z_EN: 1
; COMPUTE_PGM_RSRC2:TIDIG_COMP_CNT: 1
	.section	.text._ZL41rocblas_syrkx_herkx_small_restrict_kernelIi19rocblas_complex_numIfELi16ELb0ELb1ELc67ELc85EKS1_S1_EviT_T0_PT6_S3_lS6_S3_lS4_PT7_S3_li,"axG",@progbits,_ZL41rocblas_syrkx_herkx_small_restrict_kernelIi19rocblas_complex_numIfELi16ELb0ELb1ELc67ELc85EKS1_S1_EviT_T0_PT6_S3_lS6_S3_lS4_PT7_S3_li,comdat
	.globl	_ZL41rocblas_syrkx_herkx_small_restrict_kernelIi19rocblas_complex_numIfELi16ELb0ELb1ELc67ELc85EKS1_S1_EviT_T0_PT6_S3_lS6_S3_lS4_PT7_S3_li ; -- Begin function _ZL41rocblas_syrkx_herkx_small_restrict_kernelIi19rocblas_complex_numIfELi16ELb0ELb1ELc67ELc85EKS1_S1_EviT_T0_PT6_S3_lS6_S3_lS4_PT7_S3_li
	.p2align	8
	.type	_ZL41rocblas_syrkx_herkx_small_restrict_kernelIi19rocblas_complex_numIfELi16ELb0ELb1ELc67ELc85EKS1_S1_EviT_T0_PT6_S3_lS6_S3_lS4_PT7_S3_li,@function
_ZL41rocblas_syrkx_herkx_small_restrict_kernelIi19rocblas_complex_numIfELi16ELb0ELb1ELc67ELc85EKS1_S1_EviT_T0_PT6_S3_lS6_S3_lS4_PT7_S3_li: ; @_ZL41rocblas_syrkx_herkx_small_restrict_kernelIi19rocblas_complex_numIfELi16ELb0ELb1ELc67ELc85EKS1_S1_EviT_T0_PT6_S3_lS6_S3_lS4_PT7_S3_li
; %bb.0:
	s_load_dword s9, s[4:5], 0x4
	s_load_dwordx4 s[12:15], s[4:5], 0x8
	s_load_dwordx4 s[0:3], s[4:5], 0x38
	s_load_dwordx2 s[10:11], s[4:5], 0x48
	s_mov_b32 s16, 0
	v_lshl_add_u32 v2, s6, 4, v0
	s_waitcnt lgkmcnt(0)
	s_cmp_lt_i32 s9, 1
	v_lshl_add_u32 v5, s7, 4, v1
	s_cbranch_scc1 .LBB356_5
; %bb.1:
	s_load_dword s17, s[4:5], 0x18
	s_load_dword s6, s[4:5], 0x30
	s_load_dwordx4 s[20:23], s[4:5], 0x20
	s_mul_i32 s1, s1, s8
	v_lshlrev_b32_e32 v6, 3, v0
	v_lshlrev_b32_e32 v8, 7, v1
	s_waitcnt lgkmcnt(0)
	v_mad_i64_i32 v[3:4], s[6:7], s6, v5, 0
	s_mul_hi_u32 s6, s0, s8
	s_add_i32 s1, s6, s1
	v_lshlrev_b64 v[3:4], 3, v[3:4]
	s_mul_i32 s0, s0, s8
	s_lshl_b64 s[0:1], s[0:1], 3
	v_mov_b32_e32 v0, s1
	v_add_co_u32_e32 v3, vcc, s0, v3
	v_mad_i64_i32 v[11:12], s[0:1], s17, v2, 0
	v_addc_co_u32_e32 v0, vcc, v4, v0, vcc
	v_add_co_u32_e32 v3, vcc, v3, v6
	v_addc_co_u32_e32 v0, vcc, 0, v0, vcc
	s_mul_i32 s0, s21, s8
	s_mul_hi_u32 s1, s20, s8
	v_mov_b32_e32 v4, s23
	v_add_co_u32_e32 v3, vcc, s22, v3
	v_lshlrev_b64 v[11:12], 3, v[11:12]
	s_add_i32 s1, s1, s0
	s_mul_i32 s0, s20, s8
	v_addc_co_u32_e32 v4, vcc, v4, v0, vcc
	s_lshl_b64 s[0:1], s[0:1], 3
	v_mov_b32_e32 v0, s1
	v_add_co_u32_e32 v11, vcc, s0, v11
	v_addc_co_u32_e32 v0, vcc, v12, v0, vcc
	v_lshlrev_b32_e32 v1, 3, v1
	v_add_co_u32_e32 v1, vcc, v11, v1
	v_addc_co_u32_e32 v0, vcc, 0, v0, vcc
	v_mov_b32_e32 v11, s15
	v_add_co_u32_e32 v1, vcc, s14, v1
	v_addc_co_u32_e32 v11, vcc, v11, v0, vcc
	v_add_u32_e32 v7, v6, v8
	v_add_u32_e32 v8, 0x800, v8
	v_add_co_u32_e32 v0, vcc, 4, v1
	v_add_u32_e32 v9, v8, v6
	v_mov_b32_e32 v10, 0
	v_addc_co_u32_e32 v1, vcc, 0, v11, vcc
	v_mov_b32_e32 v11, 0
.LBB356_2:                              ; =>This Inner Loop Header: Depth=1
	global_load_dwordx2 v[12:13], v[0:1], off offset:-4
	s_add_i32 s16, s16, 16
	s_cmp_lt_i32 s16, s9
	s_waitcnt vmcnt(0)
	v_xor_b32_e32 v13, 0x80000000, v13
	ds_write_b64 v7, v[12:13]
	global_load_dwordx2 v[12:13], v[3:4], off
	v_add_co_u32_e32 v3, vcc, 0x80, v3
	v_addc_co_u32_e32 v4, vcc, 0, v4, vcc
	v_add_co_u32_e32 v0, vcc, 0x80, v0
	v_addc_co_u32_e32 v1, vcc, 0, v1, vcc
	s_waitcnt vmcnt(0)
	ds_write_b64 v9, v[12:13]
	s_waitcnt lgkmcnt(0)
	s_barrier
	ds_read2_b64 v[12:15], v6 offset1:16
	ds_read_b128 v[16:19], v8
	ds_read_b128 v[20:23], v8 offset:16
	ds_read_b128 v[24:27], v8 offset:32
	;; [unrolled: 1-line block ×3, first 2 shown]
	s_waitcnt lgkmcnt(3)
	v_mul_f32_e32 v32, v17, v13
	v_mul_f32_e32 v13, v16, v13
	v_fmac_f32_e32 v13, v17, v12
	v_fma_f32 v32, v16, v12, -v32
	v_add_f32_e32 v10, v10, v13
	v_mul_f32_e32 v12, v19, v15
	v_mul_f32_e32 v13, v18, v15
	v_add_f32_e32 v11, v11, v32
	v_fma_f32 v12, v18, v14, -v12
	v_fmac_f32_e32 v13, v19, v14
	v_add_f32_e32 v14, v11, v12
	v_add_f32_e32 v15, v10, v13
	ds_read2_b64 v[10:13], v6 offset0:32 offset1:48
	s_waitcnt lgkmcnt(0)
	v_mul_f32_e32 v16, v21, v11
	v_fma_f32 v16, v20, v10, -v16
	v_mul_f32_e32 v11, v20, v11
	v_fmac_f32_e32 v11, v21, v10
	v_add_f32_e32 v10, v14, v16
	v_mul_f32_e32 v14, v23, v13
	v_mul_f32_e32 v13, v22, v13
	v_add_f32_e32 v11, v15, v11
	v_fma_f32 v14, v22, v12, -v14
	v_fmac_f32_e32 v13, v23, v12
	v_add_f32_e32 v14, v10, v14
	v_add_f32_e32 v15, v11, v13
	ds_read2_b64 v[10:13], v6 offset0:64 offset1:80
	s_waitcnt lgkmcnt(0)
	v_mul_f32_e32 v16, v25, v11
	v_fma_f32 v16, v24, v10, -v16
	v_mul_f32_e32 v11, v24, v11
	v_fmac_f32_e32 v11, v25, v10
	;; [unrolled: 14-line block ×3, first 2 shown]
	v_add_f32_e32 v10, v14, v16
	v_mul_f32_e32 v14, v31, v13
	v_mul_f32_e32 v13, v30, v13
	v_add_f32_e32 v11, v15, v11
	v_fma_f32 v14, v30, v12, -v14
	v_fmac_f32_e32 v13, v31, v12
	v_add_f32_e32 v18, v10, v14
	v_add_f32_e32 v19, v11, v13
	ds_read2_b64 v[10:13], v6 offset0:128 offset1:144
	ds_read_b128 v[14:17], v8 offset:64
	s_waitcnt lgkmcnt(0)
	v_mul_f32_e32 v20, v15, v11
	v_mul_f32_e32 v11, v14, v11
	v_fma_f32 v20, v14, v10, -v20
	v_fmac_f32_e32 v11, v15, v10
	v_mul_f32_e32 v14, v17, v13
	v_mul_f32_e32 v13, v16, v13
	v_add_f32_e32 v10, v18, v20
	v_add_f32_e32 v11, v19, v11
	v_fma_f32 v14, v16, v12, -v14
	v_fmac_f32_e32 v13, v17, v12
	v_add_f32_e32 v18, v10, v14
	v_add_f32_e32 v19, v11, v13
	ds_read2_b64 v[10:13], v6 offset0:160 offset1:176
	ds_read_b128 v[14:17], v8 offset:80
	s_waitcnt lgkmcnt(0)
	v_mul_f32_e32 v20, v15, v11
	v_mul_f32_e32 v11, v14, v11
	v_fma_f32 v20, v14, v10, -v20
	v_fmac_f32_e32 v11, v15, v10
	v_mul_f32_e32 v14, v17, v13
	v_mul_f32_e32 v13, v16, v13
	v_add_f32_e32 v10, v18, v20
	;; [unrolled: 15-line block ×3, first 2 shown]
	v_add_f32_e32 v11, v19, v11
	v_fma_f32 v14, v16, v12, -v14
	v_fmac_f32_e32 v13, v17, v12
	v_add_f32_e32 v18, v10, v14
	v_add_f32_e32 v19, v11, v13
	ds_read2_b64 v[10:13], v6 offset0:224 offset1:240
	ds_read_b128 v[14:17], v8 offset:112
	s_waitcnt lgkmcnt(0)
	s_barrier
	v_mul_f32_e32 v20, v15, v11
	v_mul_f32_e32 v11, v14, v11
	v_fmac_f32_e32 v11, v15, v10
	v_fma_f32 v20, v14, v10, -v20
	v_add_f32_e32 v14, v19, v11
	v_mul_f32_e32 v11, v17, v13
	v_mul_f32_e32 v13, v16, v13
	v_add_f32_e32 v10, v18, v20
	v_fma_f32 v11, v16, v12, -v11
	v_fmac_f32_e32 v13, v17, v12
	v_add_f32_e32 v11, v10, v11
	v_add_f32_e32 v10, v14, v13
	s_cbranch_scc1 .LBB356_2
; %bb.3:
	v_cmp_le_i32_e32 vcc, v2, v5
	s_and_saveexec_b64 s[0:1], vcc
	s_cbranch_execnz .LBB356_6
.LBB356_4:
	s_endpgm
.LBB356_5:
	v_mov_b32_e32 v10, 0
	v_mov_b32_e32 v11, 0
	v_cmp_le_i32_e32 vcc, v2, v5
	s_and_saveexec_b64 s[0:1], vcc
	s_cbranch_execz .LBB356_4
.LBB356_6:
	s_load_dwordx2 s[0:1], s[4:5], 0x58
	s_load_dword s6, s[4:5], 0x50
	v_ashrrev_i32_e32 v3, 31, v2
	v_mul_f32_e32 v7, s12, v10
	v_fmac_f32_e32 v7, s13, v11
	s_waitcnt lgkmcnt(0)
	s_mul_i32 s1, s1, s8
	s_mul_hi_u32 s4, s0, s8
	s_add_i32 s1, s4, s1
	v_mad_i64_i32 v[0:1], s[4:5], s6, v5, 0
	s_mul_i32 s0, s0, s8
	s_lshl_b64 s[0:1], s[0:1], 3
	s_add_u32 s0, s10, s0
	v_lshlrev_b64 v[0:1], 3, v[0:1]
	s_addc_u32 s1, s11, s1
	v_mov_b32_e32 v4, s1
	v_add_co_u32_e32 v6, vcc, s0, v0
	v_addc_co_u32_e32 v4, vcc, v4, v1, vcc
	v_lshlrev_b64 v[0:1], 3, v[2:3]
	v_add_co_u32_e32 v0, vcc, v6, v0
	v_addc_co_u32_e32 v1, vcc, v4, v1, vcc
	global_load_dwordx2 v[3:4], v[0:1], off
	v_mul_f32_e32 v6, s13, v10
	v_fma_f32 v6, v11, s12, -v6
	v_cmp_eq_u32_e32 vcc, v2, v5
	s_waitcnt vmcnt(0)
	v_mul_f32_e32 v8, s3, v4
	v_mul_f32_e32 v4, s2, v4
	v_fma_f32 v8, v3, s2, -v8
	v_fmac_f32_e32 v4, s3, v3
	v_add_f32_e32 v3, v6, v8
	v_add_f32_e32 v4, v7, v4
	global_store_dwordx2 v[0:1], v[3:4], off
	s_and_b64 exec, exec, vcc
	s_cbranch_execz .LBB356_4
; %bb.7:
	v_mov_b32_e32 v2, 0
	global_store_dword v[0:1], v2, off offset:4
	s_endpgm
	.section	.rodata,"a",@progbits
	.p2align	6, 0x0
	.amdhsa_kernel _ZL41rocblas_syrkx_herkx_small_restrict_kernelIi19rocblas_complex_numIfELi16ELb0ELb1ELc67ELc85EKS1_S1_EviT_T0_PT6_S3_lS6_S3_lS4_PT7_S3_li
		.amdhsa_group_segment_fixed_size 4096
		.amdhsa_private_segment_fixed_size 0
		.amdhsa_kernarg_size 100
		.amdhsa_user_sgpr_count 6
		.amdhsa_user_sgpr_private_segment_buffer 1
		.amdhsa_user_sgpr_dispatch_ptr 0
		.amdhsa_user_sgpr_queue_ptr 0
		.amdhsa_user_sgpr_kernarg_segment_ptr 1
		.amdhsa_user_sgpr_dispatch_id 0
		.amdhsa_user_sgpr_flat_scratch_init 0
		.amdhsa_user_sgpr_private_segment_size 0
		.amdhsa_uses_dynamic_stack 0
		.amdhsa_system_sgpr_private_segment_wavefront_offset 0
		.amdhsa_system_sgpr_workgroup_id_x 1
		.amdhsa_system_sgpr_workgroup_id_y 1
		.amdhsa_system_sgpr_workgroup_id_z 1
		.amdhsa_system_sgpr_workgroup_info 0
		.amdhsa_system_vgpr_workitem_id 1
		.amdhsa_next_free_vgpr 33
		.amdhsa_next_free_sgpr 24
		.amdhsa_reserve_vcc 1
		.amdhsa_reserve_flat_scratch 0
		.amdhsa_float_round_mode_32 0
		.amdhsa_float_round_mode_16_64 0
		.amdhsa_float_denorm_mode_32 3
		.amdhsa_float_denorm_mode_16_64 3
		.amdhsa_dx10_clamp 1
		.amdhsa_ieee_mode 1
		.amdhsa_fp16_overflow 0
		.amdhsa_exception_fp_ieee_invalid_op 0
		.amdhsa_exception_fp_denorm_src 0
		.amdhsa_exception_fp_ieee_div_zero 0
		.amdhsa_exception_fp_ieee_overflow 0
		.amdhsa_exception_fp_ieee_underflow 0
		.amdhsa_exception_fp_ieee_inexact 0
		.amdhsa_exception_int_div_zero 0
	.end_amdhsa_kernel
	.section	.text._ZL41rocblas_syrkx_herkx_small_restrict_kernelIi19rocblas_complex_numIfELi16ELb0ELb1ELc67ELc85EKS1_S1_EviT_T0_PT6_S3_lS6_S3_lS4_PT7_S3_li,"axG",@progbits,_ZL41rocblas_syrkx_herkx_small_restrict_kernelIi19rocblas_complex_numIfELi16ELb0ELb1ELc67ELc85EKS1_S1_EviT_T0_PT6_S3_lS6_S3_lS4_PT7_S3_li,comdat
.Lfunc_end356:
	.size	_ZL41rocblas_syrkx_herkx_small_restrict_kernelIi19rocblas_complex_numIfELi16ELb0ELb1ELc67ELc85EKS1_S1_EviT_T0_PT6_S3_lS6_S3_lS4_PT7_S3_li, .Lfunc_end356-_ZL41rocblas_syrkx_herkx_small_restrict_kernelIi19rocblas_complex_numIfELi16ELb0ELb1ELc67ELc85EKS1_S1_EviT_T0_PT6_S3_lS6_S3_lS4_PT7_S3_li
                                        ; -- End function
	.set _ZL41rocblas_syrkx_herkx_small_restrict_kernelIi19rocblas_complex_numIfELi16ELb0ELb1ELc67ELc85EKS1_S1_EviT_T0_PT6_S3_lS6_S3_lS4_PT7_S3_li.num_vgpr, 33
	.set _ZL41rocblas_syrkx_herkx_small_restrict_kernelIi19rocblas_complex_numIfELi16ELb0ELb1ELc67ELc85EKS1_S1_EviT_T0_PT6_S3_lS6_S3_lS4_PT7_S3_li.num_agpr, 0
	.set _ZL41rocblas_syrkx_herkx_small_restrict_kernelIi19rocblas_complex_numIfELi16ELb0ELb1ELc67ELc85EKS1_S1_EviT_T0_PT6_S3_lS6_S3_lS4_PT7_S3_li.numbered_sgpr, 24
	.set _ZL41rocblas_syrkx_herkx_small_restrict_kernelIi19rocblas_complex_numIfELi16ELb0ELb1ELc67ELc85EKS1_S1_EviT_T0_PT6_S3_lS6_S3_lS4_PT7_S3_li.num_named_barrier, 0
	.set _ZL41rocblas_syrkx_herkx_small_restrict_kernelIi19rocblas_complex_numIfELi16ELb0ELb1ELc67ELc85EKS1_S1_EviT_T0_PT6_S3_lS6_S3_lS4_PT7_S3_li.private_seg_size, 0
	.set _ZL41rocblas_syrkx_herkx_small_restrict_kernelIi19rocblas_complex_numIfELi16ELb0ELb1ELc67ELc85EKS1_S1_EviT_T0_PT6_S3_lS6_S3_lS4_PT7_S3_li.uses_vcc, 1
	.set _ZL41rocblas_syrkx_herkx_small_restrict_kernelIi19rocblas_complex_numIfELi16ELb0ELb1ELc67ELc85EKS1_S1_EviT_T0_PT6_S3_lS6_S3_lS4_PT7_S3_li.uses_flat_scratch, 0
	.set _ZL41rocblas_syrkx_herkx_small_restrict_kernelIi19rocblas_complex_numIfELi16ELb0ELb1ELc67ELc85EKS1_S1_EviT_T0_PT6_S3_lS6_S3_lS4_PT7_S3_li.has_dyn_sized_stack, 0
	.set _ZL41rocblas_syrkx_herkx_small_restrict_kernelIi19rocblas_complex_numIfELi16ELb0ELb1ELc67ELc85EKS1_S1_EviT_T0_PT6_S3_lS6_S3_lS4_PT7_S3_li.has_recursion, 0
	.set _ZL41rocblas_syrkx_herkx_small_restrict_kernelIi19rocblas_complex_numIfELi16ELb0ELb1ELc67ELc85EKS1_S1_EviT_T0_PT6_S3_lS6_S3_lS4_PT7_S3_li.has_indirect_call, 0
	.section	.AMDGPU.csdata,"",@progbits
; Kernel info:
; codeLenInByte = 1204
; TotalNumSgprs: 28
; NumVgprs: 33
; ScratchSize: 0
; MemoryBound: 0
; FloatMode: 240
; IeeeMode: 1
; LDSByteSize: 4096 bytes/workgroup (compile time only)
; SGPRBlocks: 3
; VGPRBlocks: 8
; NumSGPRsForWavesPerEU: 28
; NumVGPRsForWavesPerEU: 33
; Occupancy: 7
; WaveLimiterHint : 0
; COMPUTE_PGM_RSRC2:SCRATCH_EN: 0
; COMPUTE_PGM_RSRC2:USER_SGPR: 6
; COMPUTE_PGM_RSRC2:TRAP_HANDLER: 0
; COMPUTE_PGM_RSRC2:TGID_X_EN: 1
; COMPUTE_PGM_RSRC2:TGID_Y_EN: 1
; COMPUTE_PGM_RSRC2:TGID_Z_EN: 1
; COMPUTE_PGM_RSRC2:TIDIG_COMP_CNT: 1
	.section	.text._ZL41rocblas_syrkx_herkx_small_restrict_kernelIi19rocblas_complex_numIfELi16ELb0ELb1ELc78ELc85EKS1_S1_EviT_T0_PT6_S3_lS6_S3_lS4_PT7_S3_li,"axG",@progbits,_ZL41rocblas_syrkx_herkx_small_restrict_kernelIi19rocblas_complex_numIfELi16ELb0ELb1ELc78ELc85EKS1_S1_EviT_T0_PT6_S3_lS6_S3_lS4_PT7_S3_li,comdat
	.globl	_ZL41rocblas_syrkx_herkx_small_restrict_kernelIi19rocblas_complex_numIfELi16ELb0ELb1ELc78ELc85EKS1_S1_EviT_T0_PT6_S3_lS6_S3_lS4_PT7_S3_li ; -- Begin function _ZL41rocblas_syrkx_herkx_small_restrict_kernelIi19rocblas_complex_numIfELi16ELb0ELb1ELc78ELc85EKS1_S1_EviT_T0_PT6_S3_lS6_S3_lS4_PT7_S3_li
	.p2align	8
	.type	_ZL41rocblas_syrkx_herkx_small_restrict_kernelIi19rocblas_complex_numIfELi16ELb0ELb1ELc78ELc85EKS1_S1_EviT_T0_PT6_S3_lS6_S3_lS4_PT7_S3_li,@function
_ZL41rocblas_syrkx_herkx_small_restrict_kernelIi19rocblas_complex_numIfELi16ELb0ELb1ELc78ELc85EKS1_S1_EviT_T0_PT6_S3_lS6_S3_lS4_PT7_S3_li: ; @_ZL41rocblas_syrkx_herkx_small_restrict_kernelIi19rocblas_complex_numIfELi16ELb0ELb1ELc78ELc85EKS1_S1_EviT_T0_PT6_S3_lS6_S3_lS4_PT7_S3_li
; %bb.0:
	s_load_dword s9, s[4:5], 0x4
	s_load_dwordx4 s[12:15], s[4:5], 0x8
	s_load_dwordx4 s[0:3], s[4:5], 0x38
	s_load_dwordx2 s[10:11], s[4:5], 0x48
	v_lshl_add_u32 v2, s6, 4, v0
	s_mov_b32 s20, 0
	v_lshl_add_u32 v4, s7, 4, v1
	s_waitcnt lgkmcnt(0)
	s_cmp_lt_i32 s9, 1
	v_ashrrev_i32_e32 v3, 31, v2
	s_cbranch_scc1 .LBB357_5
; %bb.1:
	s_load_dword s6, s[4:5], 0x18
	s_load_dword s22, s[4:5], 0x30
	s_load_dwordx4 s[16:19], s[4:5], 0x20
	s_mul_i32 s1, s1, s8
	s_mul_hi_u32 s21, s0, s8
	s_add_i32 s1, s21, s1
	s_waitcnt lgkmcnt(0)
	v_mad_i64_i32 v[10:11], s[24:25], s22, v0, 0
	s_mul_i32 s0, s0, s8
	v_lshlrev_b32_e32 v6, 7, v1
	v_lshlrev_b64 v[10:11], 3, v[10:11]
	v_lshlrev_b32_e32 v7, 3, v0
	v_ashrrev_i32_e32 v5, 31, v4
	s_lshl_b64 s[0:1], s[0:1], 3
	v_add_u32_e32 v8, v7, v6
	v_add_u32_e32 v9, 0x800, v6
	v_mov_b32_e32 v0, s1
	v_add_co_u32_e32 v10, vcc, s0, v10
	v_lshlrev_b64 v[5:6], 3, v[4:5]
	v_addc_co_u32_e32 v0, vcc, v0, v11, vcc
	v_add_co_u32_e32 v5, vcc, v10, v5
	v_addc_co_u32_e32 v0, vcc, v0, v6, vcc
	v_mov_b32_e32 v6, s19
	v_add_co_u32_e32 v5, vcc, s18, v5
	v_addc_co_u32_e32 v0, vcc, v6, v0, vcc
	v_add_co_u32_e32 v5, vcc, 4, v5
	v_addc_co_u32_e32 v6, vcc, 0, v0, vcc
	v_mad_i64_i32 v[0:1], s[18:19], s6, v1, 0
	s_mul_i32 s17, s17, s8
	s_mul_hi_u32 s21, s16, s8
	s_add_i32 s17, s21, s17
	s_mul_i32 s16, s16, s8
	v_lshlrev_b64 v[0:1], 3, v[0:1]
	s_lshl_b64 s[16:17], s[16:17], 3
	v_mov_b32_e32 v10, s17
	v_add_co_u32_e32 v11, vcc, s16, v0
	v_addc_co_u32_e32 v10, vcc, v10, v1, vcc
	v_lshlrev_b64 v[0:1], 3, v[2:3]
	s_ashr_i32 s7, s6, 31
	v_add_co_u32_e32 v0, vcc, v11, v0
	s_ashr_i32 s23, s22, 31
	v_addc_co_u32_e32 v1, vcc, v10, v1, vcc
	s_lshl_b64 s[0:1], s[22:23], 7
	v_mov_b32_e32 v10, s15
	v_add_co_u32_e32 v0, vcc, s14, v0
	s_lshl_b64 s[6:7], s[6:7], 7
	v_addc_co_u32_e32 v1, vcc, v10, v1, vcc
	v_mov_b32_e32 v12, 0
	v_mov_b32_e32 v10, s1
	;; [unrolled: 1-line block ×4, first 2 shown]
.LBB357_2:                              ; =>This Inner Loop Header: Depth=1
	global_load_dwordx2 v[14:15], v[0:1], off
	v_add_u32_e32 v16, v9, v7
	s_add_i32 s20, s20, 16
	s_cmp_lt_i32 s20, s9
	s_waitcnt vmcnt(0)
	ds_write_b64 v8, v[14:15]
	global_load_dwordx2 v[14:15], v[5:6], off offset:-4
	v_add_co_u32_e32 v5, vcc, s0, v5
	v_addc_co_u32_e32 v6, vcc, v6, v10, vcc
	v_add_co_u32_e32 v0, vcc, s6, v0
	v_addc_co_u32_e32 v1, vcc, v1, v11, vcc
	s_waitcnt vmcnt(0)
	v_xor_b32_e32 v15, 0x80000000, v15
	ds_write_b64 v16, v[14:15]
	s_waitcnt lgkmcnt(0)
	s_barrier
	ds_read2_b64 v[14:17], v7 offset1:16
	ds_read_b128 v[18:21], v9
	ds_read_b128 v[22:25], v9 offset:16
	ds_read_b128 v[26:29], v9 offset:32
	;; [unrolled: 1-line block ×3, first 2 shown]
	s_waitcnt lgkmcnt(3)
	v_mul_f32_e32 v34, v19, v15
	v_mul_f32_e32 v15, v18, v15
	v_fmac_f32_e32 v15, v19, v14
	v_fma_f32 v34, v18, v14, -v34
	v_add_f32_e32 v12, v12, v15
	v_mul_f32_e32 v14, v21, v17
	v_mul_f32_e32 v15, v20, v17
	v_add_f32_e32 v13, v13, v34
	v_fma_f32 v14, v20, v16, -v14
	v_fmac_f32_e32 v15, v21, v16
	v_add_f32_e32 v16, v13, v14
	v_add_f32_e32 v17, v12, v15
	ds_read2_b64 v[12:15], v7 offset0:32 offset1:48
	s_waitcnt lgkmcnt(0)
	v_mul_f32_e32 v18, v23, v13
	v_fma_f32 v18, v22, v12, -v18
	v_mul_f32_e32 v13, v22, v13
	v_fmac_f32_e32 v13, v23, v12
	v_add_f32_e32 v12, v16, v18
	v_mul_f32_e32 v16, v25, v15
	v_mul_f32_e32 v15, v24, v15
	v_add_f32_e32 v13, v17, v13
	v_fma_f32 v16, v24, v14, -v16
	v_fmac_f32_e32 v15, v25, v14
	v_add_f32_e32 v16, v12, v16
	v_add_f32_e32 v17, v13, v15
	ds_read2_b64 v[12:15], v7 offset0:64 offset1:80
	s_waitcnt lgkmcnt(0)
	v_mul_f32_e32 v18, v27, v13
	v_fma_f32 v18, v26, v12, -v18
	v_mul_f32_e32 v13, v26, v13
	v_fmac_f32_e32 v13, v27, v12
	;; [unrolled: 14-line block ×3, first 2 shown]
	v_add_f32_e32 v12, v16, v18
	v_mul_f32_e32 v16, v33, v15
	v_mul_f32_e32 v15, v32, v15
	v_add_f32_e32 v13, v17, v13
	v_fma_f32 v16, v32, v14, -v16
	v_fmac_f32_e32 v15, v33, v14
	v_add_f32_e32 v20, v12, v16
	v_add_f32_e32 v21, v13, v15
	ds_read2_b64 v[12:15], v7 offset0:128 offset1:144
	ds_read_b128 v[16:19], v9 offset:64
	s_waitcnt lgkmcnt(0)
	v_mul_f32_e32 v22, v17, v13
	v_mul_f32_e32 v13, v16, v13
	v_fma_f32 v22, v16, v12, -v22
	v_fmac_f32_e32 v13, v17, v12
	v_mul_f32_e32 v16, v19, v15
	v_mul_f32_e32 v15, v18, v15
	v_add_f32_e32 v12, v20, v22
	v_add_f32_e32 v13, v21, v13
	v_fma_f32 v16, v18, v14, -v16
	v_fmac_f32_e32 v15, v19, v14
	v_add_f32_e32 v20, v12, v16
	v_add_f32_e32 v21, v13, v15
	ds_read2_b64 v[12:15], v7 offset0:160 offset1:176
	ds_read_b128 v[16:19], v9 offset:80
	s_waitcnt lgkmcnt(0)
	v_mul_f32_e32 v22, v17, v13
	v_mul_f32_e32 v13, v16, v13
	v_fma_f32 v22, v16, v12, -v22
	v_fmac_f32_e32 v13, v17, v12
	v_mul_f32_e32 v16, v19, v15
	v_mul_f32_e32 v15, v18, v15
	v_add_f32_e32 v12, v20, v22
	;; [unrolled: 15-line block ×3, first 2 shown]
	v_add_f32_e32 v13, v21, v13
	v_fma_f32 v16, v18, v14, -v16
	v_fmac_f32_e32 v15, v19, v14
	v_add_f32_e32 v20, v12, v16
	v_add_f32_e32 v21, v13, v15
	ds_read2_b64 v[12:15], v7 offset0:224 offset1:240
	ds_read_b128 v[16:19], v9 offset:112
	s_waitcnt lgkmcnt(0)
	s_barrier
	v_mul_f32_e32 v22, v17, v13
	v_mul_f32_e32 v13, v16, v13
	v_fmac_f32_e32 v13, v17, v12
	v_fma_f32 v22, v16, v12, -v22
	v_add_f32_e32 v16, v21, v13
	v_mul_f32_e32 v13, v19, v15
	v_mul_f32_e32 v15, v18, v15
	v_add_f32_e32 v12, v20, v22
	v_fma_f32 v13, v18, v14, -v13
	v_fmac_f32_e32 v15, v19, v14
	v_add_f32_e32 v13, v12, v13
	v_add_f32_e32 v12, v16, v15
	s_cbranch_scc1 .LBB357_2
; %bb.3:
	v_cmp_le_i32_e32 vcc, v2, v4
	s_and_saveexec_b64 s[0:1], vcc
	s_cbranch_execnz .LBB357_6
.LBB357_4:
	s_endpgm
.LBB357_5:
	v_mov_b32_e32 v12, 0
	v_mov_b32_e32 v13, 0
	v_cmp_le_i32_e32 vcc, v2, v4
	s_and_saveexec_b64 s[0:1], vcc
	s_cbranch_execz .LBB357_4
.LBB357_6:
	s_load_dwordx2 s[0:1], s[4:5], 0x58
	s_load_dword s6, s[4:5], 0x50
	v_mul_f32_e32 v7, s12, v12
	v_fmac_f32_e32 v7, s13, v13
	s_waitcnt lgkmcnt(0)
	s_mul_i32 s1, s1, s8
	s_mul_hi_u32 s4, s0, s8
	s_add_i32 s1, s4, s1
	v_mad_i64_i32 v[0:1], s[4:5], s6, v4, 0
	s_mul_i32 s0, s0, s8
	s_lshl_b64 s[0:1], s[0:1], 3
	s_add_u32 s0, s10, s0
	v_lshlrev_b64 v[0:1], 3, v[0:1]
	s_addc_u32 s1, s11, s1
	v_mov_b32_e32 v5, s1
	v_add_co_u32_e32 v6, vcc, s0, v0
	v_addc_co_u32_e32 v5, vcc, v5, v1, vcc
	v_lshlrev_b64 v[0:1], 3, v[2:3]
	v_mul_f32_e32 v3, s13, v12
	v_add_co_u32_e32 v0, vcc, v6, v0
	v_addc_co_u32_e32 v1, vcc, v5, v1, vcc
	global_load_dwordx2 v[5:6], v[0:1], off
	v_fma_f32 v3, v13, s12, -v3
	v_cmp_eq_u32_e32 vcc, v2, v4
	s_waitcnt vmcnt(0)
	v_mul_f32_e32 v8, s3, v6
	v_mul_f32_e32 v6, s2, v6
	v_fma_f32 v8, v5, s2, -v8
	v_fmac_f32_e32 v6, s3, v5
	v_add_f32_e32 v5, v3, v8
	v_add_f32_e32 v6, v7, v6
	global_store_dwordx2 v[0:1], v[5:6], off
	s_and_b64 exec, exec, vcc
	s_cbranch_execz .LBB357_4
; %bb.7:
	v_mov_b32_e32 v2, 0
	global_store_dword v[0:1], v2, off offset:4
	s_endpgm
	.section	.rodata,"a",@progbits
	.p2align	6, 0x0
	.amdhsa_kernel _ZL41rocblas_syrkx_herkx_small_restrict_kernelIi19rocblas_complex_numIfELi16ELb0ELb1ELc78ELc85EKS1_S1_EviT_T0_PT6_S3_lS6_S3_lS4_PT7_S3_li
		.amdhsa_group_segment_fixed_size 4096
		.amdhsa_private_segment_fixed_size 0
		.amdhsa_kernarg_size 100
		.amdhsa_user_sgpr_count 6
		.amdhsa_user_sgpr_private_segment_buffer 1
		.amdhsa_user_sgpr_dispatch_ptr 0
		.amdhsa_user_sgpr_queue_ptr 0
		.amdhsa_user_sgpr_kernarg_segment_ptr 1
		.amdhsa_user_sgpr_dispatch_id 0
		.amdhsa_user_sgpr_flat_scratch_init 0
		.amdhsa_user_sgpr_private_segment_size 0
		.amdhsa_uses_dynamic_stack 0
		.amdhsa_system_sgpr_private_segment_wavefront_offset 0
		.amdhsa_system_sgpr_workgroup_id_x 1
		.amdhsa_system_sgpr_workgroup_id_y 1
		.amdhsa_system_sgpr_workgroup_id_z 1
		.amdhsa_system_sgpr_workgroup_info 0
		.amdhsa_system_vgpr_workitem_id 1
		.amdhsa_next_free_vgpr 35
		.amdhsa_next_free_sgpr 26
		.amdhsa_reserve_vcc 1
		.amdhsa_reserve_flat_scratch 0
		.amdhsa_float_round_mode_32 0
		.amdhsa_float_round_mode_16_64 0
		.amdhsa_float_denorm_mode_32 3
		.amdhsa_float_denorm_mode_16_64 3
		.amdhsa_dx10_clamp 1
		.amdhsa_ieee_mode 1
		.amdhsa_fp16_overflow 0
		.amdhsa_exception_fp_ieee_invalid_op 0
		.amdhsa_exception_fp_denorm_src 0
		.amdhsa_exception_fp_ieee_div_zero 0
		.amdhsa_exception_fp_ieee_overflow 0
		.amdhsa_exception_fp_ieee_underflow 0
		.amdhsa_exception_fp_ieee_inexact 0
		.amdhsa_exception_int_div_zero 0
	.end_amdhsa_kernel
	.section	.text._ZL41rocblas_syrkx_herkx_small_restrict_kernelIi19rocblas_complex_numIfELi16ELb0ELb1ELc78ELc85EKS1_S1_EviT_T0_PT6_S3_lS6_S3_lS4_PT7_S3_li,"axG",@progbits,_ZL41rocblas_syrkx_herkx_small_restrict_kernelIi19rocblas_complex_numIfELi16ELb0ELb1ELc78ELc85EKS1_S1_EviT_T0_PT6_S3_lS6_S3_lS4_PT7_S3_li,comdat
.Lfunc_end357:
	.size	_ZL41rocblas_syrkx_herkx_small_restrict_kernelIi19rocblas_complex_numIfELi16ELb0ELb1ELc78ELc85EKS1_S1_EviT_T0_PT6_S3_lS6_S3_lS4_PT7_S3_li, .Lfunc_end357-_ZL41rocblas_syrkx_herkx_small_restrict_kernelIi19rocblas_complex_numIfELi16ELb0ELb1ELc78ELc85EKS1_S1_EviT_T0_PT6_S3_lS6_S3_lS4_PT7_S3_li
                                        ; -- End function
	.set _ZL41rocblas_syrkx_herkx_small_restrict_kernelIi19rocblas_complex_numIfELi16ELb0ELb1ELc78ELc85EKS1_S1_EviT_T0_PT6_S3_lS6_S3_lS4_PT7_S3_li.num_vgpr, 35
	.set _ZL41rocblas_syrkx_herkx_small_restrict_kernelIi19rocblas_complex_numIfELi16ELb0ELb1ELc78ELc85EKS1_S1_EviT_T0_PT6_S3_lS6_S3_lS4_PT7_S3_li.num_agpr, 0
	.set _ZL41rocblas_syrkx_herkx_small_restrict_kernelIi19rocblas_complex_numIfELi16ELb0ELb1ELc78ELc85EKS1_S1_EviT_T0_PT6_S3_lS6_S3_lS4_PT7_S3_li.numbered_sgpr, 26
	.set _ZL41rocblas_syrkx_herkx_small_restrict_kernelIi19rocblas_complex_numIfELi16ELb0ELb1ELc78ELc85EKS1_S1_EviT_T0_PT6_S3_lS6_S3_lS4_PT7_S3_li.num_named_barrier, 0
	.set _ZL41rocblas_syrkx_herkx_small_restrict_kernelIi19rocblas_complex_numIfELi16ELb0ELb1ELc78ELc85EKS1_S1_EviT_T0_PT6_S3_lS6_S3_lS4_PT7_S3_li.private_seg_size, 0
	.set _ZL41rocblas_syrkx_herkx_small_restrict_kernelIi19rocblas_complex_numIfELi16ELb0ELb1ELc78ELc85EKS1_S1_EviT_T0_PT6_S3_lS6_S3_lS4_PT7_S3_li.uses_vcc, 1
	.set _ZL41rocblas_syrkx_herkx_small_restrict_kernelIi19rocblas_complex_numIfELi16ELb0ELb1ELc78ELc85EKS1_S1_EviT_T0_PT6_S3_lS6_S3_lS4_PT7_S3_li.uses_flat_scratch, 0
	.set _ZL41rocblas_syrkx_herkx_small_restrict_kernelIi19rocblas_complex_numIfELi16ELb0ELb1ELc78ELc85EKS1_S1_EviT_T0_PT6_S3_lS6_S3_lS4_PT7_S3_li.has_dyn_sized_stack, 0
	.set _ZL41rocblas_syrkx_herkx_small_restrict_kernelIi19rocblas_complex_numIfELi16ELb0ELb1ELc78ELc85EKS1_S1_EviT_T0_PT6_S3_lS6_S3_lS4_PT7_S3_li.has_recursion, 0
	.set _ZL41rocblas_syrkx_herkx_small_restrict_kernelIi19rocblas_complex_numIfELi16ELb0ELb1ELc78ELc85EKS1_S1_EviT_T0_PT6_S3_lS6_S3_lS4_PT7_S3_li.has_indirect_call, 0
	.section	.AMDGPU.csdata,"",@progbits
; Kernel info:
; codeLenInByte = 1236
; TotalNumSgprs: 30
; NumVgprs: 35
; ScratchSize: 0
; MemoryBound: 0
; FloatMode: 240
; IeeeMode: 1
; LDSByteSize: 4096 bytes/workgroup (compile time only)
; SGPRBlocks: 3
; VGPRBlocks: 8
; NumSGPRsForWavesPerEU: 30
; NumVGPRsForWavesPerEU: 35
; Occupancy: 7
; WaveLimiterHint : 0
; COMPUTE_PGM_RSRC2:SCRATCH_EN: 0
; COMPUTE_PGM_RSRC2:USER_SGPR: 6
; COMPUTE_PGM_RSRC2:TRAP_HANDLER: 0
; COMPUTE_PGM_RSRC2:TGID_X_EN: 1
; COMPUTE_PGM_RSRC2:TGID_Y_EN: 1
; COMPUTE_PGM_RSRC2:TGID_Z_EN: 1
; COMPUTE_PGM_RSRC2:TIDIG_COMP_CNT: 1
	.section	.text._ZL32rocblas_syrkx_herkx_small_kernelIi19rocblas_complex_numIfELi16ELb1ELb1ELc84ELc76EKS1_S1_EviT_T0_PT6_S3_lS6_S3_lS4_PT7_S3_li,"axG",@progbits,_ZL32rocblas_syrkx_herkx_small_kernelIi19rocblas_complex_numIfELi16ELb1ELb1ELc84ELc76EKS1_S1_EviT_T0_PT6_S3_lS6_S3_lS4_PT7_S3_li,comdat
	.globl	_ZL32rocblas_syrkx_herkx_small_kernelIi19rocblas_complex_numIfELi16ELb1ELb1ELc84ELc76EKS1_S1_EviT_T0_PT6_S3_lS6_S3_lS4_PT7_S3_li ; -- Begin function _ZL32rocblas_syrkx_herkx_small_kernelIi19rocblas_complex_numIfELi16ELb1ELb1ELc84ELc76EKS1_S1_EviT_T0_PT6_S3_lS6_S3_lS4_PT7_S3_li
	.p2align	8
	.type	_ZL32rocblas_syrkx_herkx_small_kernelIi19rocblas_complex_numIfELi16ELb1ELb1ELc84ELc76EKS1_S1_EviT_T0_PT6_S3_lS6_S3_lS4_PT7_S3_li,@function
_ZL32rocblas_syrkx_herkx_small_kernelIi19rocblas_complex_numIfELi16ELb1ELb1ELc84ELc76EKS1_S1_EviT_T0_PT6_S3_lS6_S3_lS4_PT7_S3_li: ; @_ZL32rocblas_syrkx_herkx_small_kernelIi19rocblas_complex_numIfELi16ELb1ELb1ELc84ELc76EKS1_S1_EviT_T0_PT6_S3_lS6_S3_lS4_PT7_S3_li
; %bb.0:
	s_load_dwordx2 s[10:11], s[4:5], 0x0
	s_load_dwordx4 s[12:15], s[4:5], 0x8
	v_lshl_add_u32 v2, s6, 4, v0
	s_mov_b32 s9, 0
	v_lshl_add_u32 v9, s7, 4, v1
	s_waitcnt lgkmcnt(0)
	s_cmp_lt_i32 s11, 1
	v_cmp_gt_i32_e32 vcc, s10, v2
	s_cbranch_scc1 .LBB358_11
; %bb.1:
	s_load_dword s6, s[4:5], 0x18
	s_load_dwordx4 s[16:19], s[4:5], 0x20
	s_load_dword s0, s[4:5], 0x30
	s_load_dwordx2 s[2:3], s[4:5], 0x38
	v_lshlrev_b32_e32 v5, 7, v1
	v_lshlrev_b32_e32 v10, 3, v0
	v_add_u32_e32 v11, v10, v5
	s_waitcnt lgkmcnt(0)
	v_mad_i64_i32 v[3:4], s[0:1], s0, v9, 0
	s_mul_i32 s3, s3, s8
	s_mul_hi_u32 s7, s2, s8
	v_lshlrev_b64 v[3:4], 3, v[3:4]
	s_add_i32 s3, s7, s3
	s_mul_i32 s2, s2, s8
	s_lshl_b64 s[2:3], s[2:3], 3
	v_add_u32_e32 v12, 0x800, v5
	v_mov_b32_e32 v5, s3
	v_add_co_u32_e64 v6, s[2:3], s2, v3
	v_addc_co_u32_e64 v4, s[2:3], v4, v5, s[2:3]
	v_add_co_u32_e64 v5, s[2:3], v6, v10
	v_addc_co_u32_e64 v4, s[2:3], 0, v4, s[2:3]
	v_mad_i64_i32 v[7:8], s[2:3], s6, v2, 0
	v_mov_b32_e32 v6, s19
	v_add_co_u32_e64 v5, s[2:3], s18, v5
	v_addc_co_u32_e64 v6, s[2:3], v6, v4, s[2:3]
	s_mul_i32 s2, s17, s8
	s_mul_hi_u32 s3, s16, s8
	v_lshlrev_b64 v[7:8], 3, v[7:8]
	s_add_i32 s3, s3, s2
	s_mul_i32 s2, s16, s8
	s_lshl_b64 s[2:3], s[2:3], 3
	v_mov_b32_e32 v4, s3
	v_add_co_u32_e64 v7, s[2:3], s2, v7
	v_addc_co_u32_e64 v4, s[2:3], v8, v4, s[2:3]
	v_lshlrev_b32_e32 v8, 3, v1
	v_add_co_u32_e64 v7, s[2:3], v7, v8
	v_addc_co_u32_e64 v4, s[2:3], 0, v4, s[2:3]
	v_mov_b32_e32 v8, s15
	v_add_co_u32_e64 v7, s[2:3], s14, v7
	v_cmp_gt_i32_e64 s[0:1], s10, v9
	v_addc_co_u32_e64 v8, s[2:3], v8, v4, s[2:3]
	v_add_u32_e32 v13, v12, v10
	v_mov_b32_e32 v3, 0
	s_xor_b64 s[2:3], vcc, -1
	s_xor_b64 s[0:1], s[0:1], -1
	v_mov_b32_e32 v14, 0
	v_mov_b32_e32 v15, 0
	s_branch .LBB358_3
.LBB358_2:                              ;   in Loop: Header=BB358_3 Depth=1
	s_or_b64 exec, exec, s[6:7]
	s_waitcnt lgkmcnt(0)
	s_barrier
	ds_read2_b64 v[16:19], v10 offset1:16
	ds_read_b128 v[20:23], v12
	ds_read_b128 v[24:27], v12 offset:16
	ds_read2_b64 v[28:31], v10 offset0:32 offset1:48
	v_add_co_u32_e32 v5, vcc, 0x80, v5
	s_waitcnt lgkmcnt(2)
	v_mul_f32_e32 v4, v21, v17
	v_mul_f32_e32 v32, v20, v17
	v_fma_f32 v4, v20, v16, -v4
	v_fmac_f32_e32 v32, v21, v16
	v_mul_f32_e32 v16, v23, v19
	v_fma_f32 v33, v22, v18, -v16
	v_mul_f32_e32 v34, v22, v19
	s_waitcnt lgkmcnt(0)
	v_mul_f32_e32 v16, v25, v29
	v_fmac_f32_e32 v34, v23, v18
	v_fma_f32 v35, v24, v28, -v16
	ds_read2_b64 v[16:19], v10 offset0:64 offset1:80
	ds_read_b128 v[20:23], v12 offset:32
	v_mul_f32_e32 v36, v24, v29
	v_fmac_f32_e32 v36, v25, v28
	v_mul_f32_e32 v24, v27, v31
	v_mul_f32_e32 v38, v26, v31
	s_waitcnt lgkmcnt(0)
	v_mul_f32_e32 v28, v21, v17
	v_fma_f32 v37, v26, v30, -v24
	v_fmac_f32_e32 v38, v27, v30
	ds_read_b128 v[24:27], v12 offset:48
	v_fma_f32 v39, v20, v16, -v28
	ds_read2_b64 v[28:31], v10 offset0:96 offset1:112
	v_mul_f32_e32 v40, v20, v17
	v_fmac_f32_e32 v40, v21, v16
	v_mul_f32_e32 v16, v23, v19
	v_fma_f32 v41, v22, v18, -v16
	v_mul_f32_e32 v42, v22, v19
	s_waitcnt lgkmcnt(0)
	v_mul_f32_e32 v16, v25, v29
	v_fmac_f32_e32 v42, v23, v18
	v_fma_f32 v43, v24, v28, -v16
	ds_read2_b64 v[16:19], v10 offset0:128 offset1:144
	ds_read_b128 v[20:23], v12 offset:64
	v_mul_f32_e32 v44, v24, v29
	v_fmac_f32_e32 v44, v25, v28
	v_mul_f32_e32 v24, v27, v31
	v_mul_f32_e32 v46, v26, v31
	s_waitcnt lgkmcnt(0)
	v_mul_f32_e32 v28, v21, v17
	v_fma_f32 v45, v26, v30, -v24
	v_fmac_f32_e32 v46, v27, v30
	ds_read_b128 v[24:27], v12 offset:80
	v_fma_f32 v47, v20, v16, -v28
	ds_read2_b64 v[28:31], v10 offset0:160 offset1:176
	v_mul_f32_e32 v48, v20, v17
	v_add_f32_e32 v14, v14, v32
	v_fmac_f32_e32 v48, v21, v16
	v_mul_f32_e32 v16, v23, v19
	v_add_f32_e32 v14, v14, v34
	v_fma_f32 v49, v22, v18, -v16
	v_mul_f32_e32 v50, v22, v19
	s_waitcnt lgkmcnt(0)
	v_mul_f32_e32 v16, v25, v29
	v_add_f32_e32 v14, v14, v36
	v_fmac_f32_e32 v50, v23, v18
	v_fma_f32 v51, v24, v28, -v16
	ds_read2_b64 v[16:19], v10 offset0:192 offset1:208
	ds_read_b128 v[20:23], v12 offset:96
	v_add_f32_e32 v14, v14, v38
	v_add_f32_e32 v14, v14, v40
	;; [unrolled: 1-line block ×6, first 2 shown]
	v_mul_f32_e32 v29, v24, v29
	v_mul_f32_e32 v24, v27, v31
	;; [unrolled: 1-line block ×3, first 2 shown]
	v_add_f32_e32 v4, v4, v35
	v_add_f32_e32 v14, v14, v46
	v_fmac_f32_e32 v29, v25, v28
	v_fma_f32 v28, v26, v30, -v24
	v_fmac_f32_e32 v31, v27, v30
	s_waitcnt lgkmcnt(0)
	v_mul_f32_e32 v30, v21, v17
	v_add_f32_e32 v4, v4, v37
	v_add_f32_e32 v14, v14, v48
	v_fma_f32 v30, v20, v16, -v30
	v_mul_f32_e32 v20, v20, v17
	v_add_f32_e32 v4, v4, v39
	v_add_f32_e32 v14, v14, v50
	v_fmac_f32_e32 v20, v21, v16
	v_mul_f32_e32 v16, v23, v19
	v_mul_f32_e32 v19, v22, v19
	v_add_f32_e32 v4, v4, v41
	v_add_f32_e32 v14, v14, v29
	ds_read_b128 v[24:27], v12 offset:112
	v_fma_f32 v21, v22, v18, -v16
	v_fmac_f32_e32 v19, v23, v18
	v_add_f32_e32 v4, v4, v43
	v_add_f32_e32 v18, v14, v31
	ds_read2_b64 v[14:17], v10 offset0:224 offset1:240
	v_add_f32_e32 v4, v4, v45
	v_add_f32_e32 v4, v4, v47
	v_add_f32_e32 v4, v4, v49
	v_add_f32_e32 v4, v4, v51
	v_add_f32_e32 v18, v18, v20
	v_add_f32_e32 v4, v4, v28
	v_add_f32_e32 v18, v18, v19
	s_waitcnt lgkmcnt(0)
	v_mul_f32_e32 v19, v25, v15
	v_mul_f32_e32 v15, v24, v15
	v_add_f32_e32 v4, v4, v30
	v_fmac_f32_e32 v15, v25, v14
	v_add_f32_e32 v4, v4, v21
	v_fma_f32 v19, v24, v14, -v19
	v_add_f32_e32 v14, v18, v15
	v_mul_f32_e32 v15, v27, v17
	v_mul_f32_e32 v17, v26, v17
	v_addc_co_u32_e32 v6, vcc, 0, v6, vcc
	v_add_f32_e32 v4, v4, v19
	v_fma_f32 v15, v26, v16, -v15
	v_fmac_f32_e32 v17, v27, v16
	s_add_i32 s9, s9, 16
	v_add_co_u32_e32 v7, vcc, 0x80, v7
	v_add_f32_e32 v15, v4, v15
	v_add_f32_e32 v14, v14, v17
	s_cmp_ge_i32 s9, s11
	v_addc_co_u32_e32 v8, vcc, 0, v8, vcc
	s_barrier
	s_cbranch_scc1 .LBB358_12
.LBB358_3:                              ; =>This Inner Loop Header: Depth=1
	v_add_u32_e32 v4, s9, v1
	v_cmp_le_i32_e32 vcc, s11, v4
	s_or_b64 s[6:7], s[2:3], vcc
	s_and_saveexec_b64 s[14:15], s[6:7]
	s_xor_b64 s[6:7], exec, s[14:15]
; %bb.4:                                ;   in Loop: Header=BB358_3 Depth=1
	v_mov_b32_e32 v4, v3
	ds_write_b64 v11, v[3:4]
; %bb.5:                                ;   in Loop: Header=BB358_3 Depth=1
	s_andn2_saveexec_b64 s[6:7], s[6:7]
	s_cbranch_execz .LBB358_7
; %bb.6:                                ;   in Loop: Header=BB358_3 Depth=1
	global_load_dwordx2 v[16:17], v[7:8], off
	s_waitcnt vmcnt(0)
	ds_write_b64 v11, v[16:17]
.LBB358_7:                              ;   in Loop: Header=BB358_3 Depth=1
	s_or_b64 exec, exec, s[6:7]
	v_add_u32_e32 v4, s9, v0
	v_cmp_le_i32_e32 vcc, s11, v4
	s_or_b64 s[6:7], s[0:1], vcc
	s_and_saveexec_b64 s[14:15], s[6:7]
	s_xor_b64 s[6:7], exec, s[14:15]
; %bb.8:                                ;   in Loop: Header=BB358_3 Depth=1
	v_mov_b32_e32 v4, v3
	ds_write_b64 v13, v[3:4]
; %bb.9:                                ;   in Loop: Header=BB358_3 Depth=1
	s_andn2_saveexec_b64 s[6:7], s[6:7]
	s_cbranch_execz .LBB358_2
; %bb.10:                               ;   in Loop: Header=BB358_3 Depth=1
	global_load_dwordx2 v[16:17], v[5:6], off
	s_waitcnt vmcnt(0)
	ds_write_b64 v13, v[16:17]
	s_branch .LBB358_2
.LBB358_11:
	v_mov_b32_e32 v14, 0
	v_mov_b32_e32 v15, 0
.LBB358_12:
	v_cmp_le_i32_e32 vcc, v9, v2
	v_cmp_gt_i32_e64 s[0:1], s10, v2
	s_and_b64 s[0:1], vcc, s[0:1]
	s_and_saveexec_b64 s[2:3], s[0:1]
	s_cbranch_execz .LBB358_15
; %bb.13:
	s_load_dwordx2 s[0:1], s[4:5], 0x58
	s_load_dwordx2 s[2:3], s[4:5], 0x48
	s_load_dword s6, s[4:5], 0x50
	v_mul_f32_e32 v0, s13, v14
	v_fma_f32 v4, v15, s12, -v0
	s_waitcnt lgkmcnt(0)
	s_mul_i32 s1, s1, s8
	s_mul_hi_u32 s4, s0, s8
	s_mul_i32 s0, s0, s8
	s_add_i32 s1, s4, s1
	s_lshl_b64 s[0:1], s[0:1], 3
	s_add_u32 s2, s2, s0
	s_addc_u32 s3, s3, s1
	v_mad_i64_i32 v[0:1], s[0:1], s6, v9, 0
	v_ashrrev_i32_e32 v3, 31, v2
	v_mov_b32_e32 v6, s3
	v_lshlrev_b64 v[0:1], 3, v[0:1]
	v_mul_f32_e32 v5, s12, v14
	v_add_co_u32_e32 v7, vcc, s2, v0
	v_addc_co_u32_e32 v6, vcc, v6, v1, vcc
	v_lshlrev_b64 v[0:1], 3, v[2:3]
	v_fmac_f32_e32 v5, s13, v15
	v_add_co_u32_e32 v0, vcc, v7, v0
	v_addc_co_u32_e32 v1, vcc, v6, v1, vcc
	v_cmp_eq_u32_e32 vcc, v2, v9
	global_store_dwordx2 v[0:1], v[4:5], off
	s_and_b64 exec, exec, vcc
	s_cbranch_execz .LBB358_15
; %bb.14:
	v_mov_b32_e32 v2, 0
	global_store_dword v[0:1], v2, off offset:4
.LBB358_15:
	s_endpgm
	.section	.rodata,"a",@progbits
	.p2align	6, 0x0
	.amdhsa_kernel _ZL32rocblas_syrkx_herkx_small_kernelIi19rocblas_complex_numIfELi16ELb1ELb1ELc84ELc76EKS1_S1_EviT_T0_PT6_S3_lS6_S3_lS4_PT7_S3_li
		.amdhsa_group_segment_fixed_size 4096
		.amdhsa_private_segment_fixed_size 0
		.amdhsa_kernarg_size 100
		.amdhsa_user_sgpr_count 6
		.amdhsa_user_sgpr_private_segment_buffer 1
		.amdhsa_user_sgpr_dispatch_ptr 0
		.amdhsa_user_sgpr_queue_ptr 0
		.amdhsa_user_sgpr_kernarg_segment_ptr 1
		.amdhsa_user_sgpr_dispatch_id 0
		.amdhsa_user_sgpr_flat_scratch_init 0
		.amdhsa_user_sgpr_private_segment_size 0
		.amdhsa_uses_dynamic_stack 0
		.amdhsa_system_sgpr_private_segment_wavefront_offset 0
		.amdhsa_system_sgpr_workgroup_id_x 1
		.amdhsa_system_sgpr_workgroup_id_y 1
		.amdhsa_system_sgpr_workgroup_id_z 1
		.amdhsa_system_sgpr_workgroup_info 0
		.amdhsa_system_vgpr_workitem_id 1
		.amdhsa_next_free_vgpr 52
		.amdhsa_next_free_sgpr 20
		.amdhsa_reserve_vcc 1
		.amdhsa_reserve_flat_scratch 0
		.amdhsa_float_round_mode_32 0
		.amdhsa_float_round_mode_16_64 0
		.amdhsa_float_denorm_mode_32 3
		.amdhsa_float_denorm_mode_16_64 3
		.amdhsa_dx10_clamp 1
		.amdhsa_ieee_mode 1
		.amdhsa_fp16_overflow 0
		.amdhsa_exception_fp_ieee_invalid_op 0
		.amdhsa_exception_fp_denorm_src 0
		.amdhsa_exception_fp_ieee_div_zero 0
		.amdhsa_exception_fp_ieee_overflow 0
		.amdhsa_exception_fp_ieee_underflow 0
		.amdhsa_exception_fp_ieee_inexact 0
		.amdhsa_exception_int_div_zero 0
	.end_amdhsa_kernel
	.section	.text._ZL32rocblas_syrkx_herkx_small_kernelIi19rocblas_complex_numIfELi16ELb1ELb1ELc84ELc76EKS1_S1_EviT_T0_PT6_S3_lS6_S3_lS4_PT7_S3_li,"axG",@progbits,_ZL32rocblas_syrkx_herkx_small_kernelIi19rocblas_complex_numIfELi16ELb1ELb1ELc84ELc76EKS1_S1_EviT_T0_PT6_S3_lS6_S3_lS4_PT7_S3_li,comdat
.Lfunc_end358:
	.size	_ZL32rocblas_syrkx_herkx_small_kernelIi19rocblas_complex_numIfELi16ELb1ELb1ELc84ELc76EKS1_S1_EviT_T0_PT6_S3_lS6_S3_lS4_PT7_S3_li, .Lfunc_end358-_ZL32rocblas_syrkx_herkx_small_kernelIi19rocblas_complex_numIfELi16ELb1ELb1ELc84ELc76EKS1_S1_EviT_T0_PT6_S3_lS6_S3_lS4_PT7_S3_li
                                        ; -- End function
	.set _ZL32rocblas_syrkx_herkx_small_kernelIi19rocblas_complex_numIfELi16ELb1ELb1ELc84ELc76EKS1_S1_EviT_T0_PT6_S3_lS6_S3_lS4_PT7_S3_li.num_vgpr, 52
	.set _ZL32rocblas_syrkx_herkx_small_kernelIi19rocblas_complex_numIfELi16ELb1ELb1ELc84ELc76EKS1_S1_EviT_T0_PT6_S3_lS6_S3_lS4_PT7_S3_li.num_agpr, 0
	.set _ZL32rocblas_syrkx_herkx_small_kernelIi19rocblas_complex_numIfELi16ELb1ELb1ELc84ELc76EKS1_S1_EviT_T0_PT6_S3_lS6_S3_lS4_PT7_S3_li.numbered_sgpr, 20
	.set _ZL32rocblas_syrkx_herkx_small_kernelIi19rocblas_complex_numIfELi16ELb1ELb1ELc84ELc76EKS1_S1_EviT_T0_PT6_S3_lS6_S3_lS4_PT7_S3_li.num_named_barrier, 0
	.set _ZL32rocblas_syrkx_herkx_small_kernelIi19rocblas_complex_numIfELi16ELb1ELb1ELc84ELc76EKS1_S1_EviT_T0_PT6_S3_lS6_S3_lS4_PT7_S3_li.private_seg_size, 0
	.set _ZL32rocblas_syrkx_herkx_small_kernelIi19rocblas_complex_numIfELi16ELb1ELb1ELc84ELc76EKS1_S1_EviT_T0_PT6_S3_lS6_S3_lS4_PT7_S3_li.uses_vcc, 1
	.set _ZL32rocblas_syrkx_herkx_small_kernelIi19rocblas_complex_numIfELi16ELb1ELb1ELc84ELc76EKS1_S1_EviT_T0_PT6_S3_lS6_S3_lS4_PT7_S3_li.uses_flat_scratch, 0
	.set _ZL32rocblas_syrkx_herkx_small_kernelIi19rocblas_complex_numIfELi16ELb1ELb1ELc84ELc76EKS1_S1_EviT_T0_PT6_S3_lS6_S3_lS4_PT7_S3_li.has_dyn_sized_stack, 0
	.set _ZL32rocblas_syrkx_herkx_small_kernelIi19rocblas_complex_numIfELi16ELb1ELb1ELc84ELc76EKS1_S1_EviT_T0_PT6_S3_lS6_S3_lS4_PT7_S3_li.has_recursion, 0
	.set _ZL32rocblas_syrkx_herkx_small_kernelIi19rocblas_complex_numIfELi16ELb1ELb1ELc84ELc76EKS1_S1_EviT_T0_PT6_S3_lS6_S3_lS4_PT7_S3_li.has_indirect_call, 0
	.section	.AMDGPU.csdata,"",@progbits
; Kernel info:
; codeLenInByte = 1312
; TotalNumSgprs: 24
; NumVgprs: 52
; ScratchSize: 0
; MemoryBound: 1
; FloatMode: 240
; IeeeMode: 1
; LDSByteSize: 4096 bytes/workgroup (compile time only)
; SGPRBlocks: 2
; VGPRBlocks: 12
; NumSGPRsForWavesPerEU: 24
; NumVGPRsForWavesPerEU: 52
; Occupancy: 4
; WaveLimiterHint : 0
; COMPUTE_PGM_RSRC2:SCRATCH_EN: 0
; COMPUTE_PGM_RSRC2:USER_SGPR: 6
; COMPUTE_PGM_RSRC2:TRAP_HANDLER: 0
; COMPUTE_PGM_RSRC2:TGID_X_EN: 1
; COMPUTE_PGM_RSRC2:TGID_Y_EN: 1
; COMPUTE_PGM_RSRC2:TGID_Z_EN: 1
; COMPUTE_PGM_RSRC2:TIDIG_COMP_CNT: 1
	.section	.text._ZL32rocblas_syrkx_herkx_small_kernelIi19rocblas_complex_numIfELi16ELb1ELb1ELc67ELc76EKS1_S1_EviT_T0_PT6_S3_lS6_S3_lS4_PT7_S3_li,"axG",@progbits,_ZL32rocblas_syrkx_herkx_small_kernelIi19rocblas_complex_numIfELi16ELb1ELb1ELc67ELc76EKS1_S1_EviT_T0_PT6_S3_lS6_S3_lS4_PT7_S3_li,comdat
	.globl	_ZL32rocblas_syrkx_herkx_small_kernelIi19rocblas_complex_numIfELi16ELb1ELb1ELc67ELc76EKS1_S1_EviT_T0_PT6_S3_lS6_S3_lS4_PT7_S3_li ; -- Begin function _ZL32rocblas_syrkx_herkx_small_kernelIi19rocblas_complex_numIfELi16ELb1ELb1ELc67ELc76EKS1_S1_EviT_T0_PT6_S3_lS6_S3_lS4_PT7_S3_li
	.p2align	8
	.type	_ZL32rocblas_syrkx_herkx_small_kernelIi19rocblas_complex_numIfELi16ELb1ELb1ELc67ELc76EKS1_S1_EviT_T0_PT6_S3_lS6_S3_lS4_PT7_S3_li,@function
_ZL32rocblas_syrkx_herkx_small_kernelIi19rocblas_complex_numIfELi16ELb1ELb1ELc67ELc76EKS1_S1_EviT_T0_PT6_S3_lS6_S3_lS4_PT7_S3_li: ; @_ZL32rocblas_syrkx_herkx_small_kernelIi19rocblas_complex_numIfELi16ELb1ELb1ELc67ELc76EKS1_S1_EviT_T0_PT6_S3_lS6_S3_lS4_PT7_S3_li
; %bb.0:
	s_load_dwordx2 s[10:11], s[4:5], 0x0
	s_load_dwordx4 s[12:15], s[4:5], 0x8
	v_lshl_add_u32 v2, s6, 4, v0
	s_mov_b32 s9, 0
	v_lshl_add_u32 v9, s7, 4, v1
	s_waitcnt lgkmcnt(0)
	s_cmp_lt_i32 s11, 1
	v_cmp_gt_i32_e32 vcc, s10, v2
	s_cbranch_scc1 .LBB359_11
; %bb.1:
	s_load_dword s6, s[4:5], 0x18
	s_load_dwordx4 s[16:19], s[4:5], 0x20
	s_load_dword s0, s[4:5], 0x30
	s_load_dwordx2 s[2:3], s[4:5], 0x38
	v_lshlrev_b32_e32 v5, 7, v1
	v_lshlrev_b32_e32 v10, 3, v0
	v_add_u32_e32 v11, v10, v5
	s_waitcnt lgkmcnt(0)
	v_mad_i64_i32 v[3:4], s[0:1], s0, v9, 0
	s_mul_i32 s3, s3, s8
	s_mul_hi_u32 s7, s2, s8
	v_lshlrev_b64 v[3:4], 3, v[3:4]
	s_add_i32 s3, s7, s3
	s_mul_i32 s2, s2, s8
	s_lshl_b64 s[2:3], s[2:3], 3
	v_add_u32_e32 v12, 0x800, v5
	v_mov_b32_e32 v5, s3
	v_add_co_u32_e64 v6, s[2:3], s2, v3
	v_addc_co_u32_e64 v4, s[2:3], v4, v5, s[2:3]
	v_add_co_u32_e64 v5, s[2:3], v6, v10
	v_addc_co_u32_e64 v4, s[2:3], 0, v4, s[2:3]
	v_mad_i64_i32 v[7:8], s[2:3], s6, v2, 0
	v_mov_b32_e32 v6, s19
	v_add_co_u32_e64 v5, s[2:3], s18, v5
	v_addc_co_u32_e64 v6, s[2:3], v6, v4, s[2:3]
	s_mul_i32 s2, s17, s8
	s_mul_hi_u32 s3, s16, s8
	v_lshlrev_b64 v[7:8], 3, v[7:8]
	s_add_i32 s3, s3, s2
	s_mul_i32 s2, s16, s8
	s_lshl_b64 s[2:3], s[2:3], 3
	v_mov_b32_e32 v4, s3
	v_add_co_u32_e64 v7, s[2:3], s2, v7
	v_addc_co_u32_e64 v4, s[2:3], v8, v4, s[2:3]
	v_lshlrev_b32_e32 v8, 3, v1
	v_add_co_u32_e64 v7, s[2:3], v7, v8
	v_addc_co_u32_e64 v4, s[2:3], 0, v4, s[2:3]
	v_mov_b32_e32 v8, s15
	v_add_co_u32_e64 v7, s[2:3], s14, v7
	v_addc_co_u32_e64 v4, s[2:3], v8, v4, s[2:3]
	v_add_co_u32_e64 v7, s[2:3], 4, v7
	v_cmp_gt_i32_e64 s[0:1], s10, v9
	v_addc_co_u32_e64 v8, s[2:3], 0, v4, s[2:3]
	v_add_u32_e32 v13, v12, v10
	v_mov_b32_e32 v3, 0
	s_xor_b64 s[2:3], vcc, -1
	s_xor_b64 s[0:1], s[0:1], -1
	v_mov_b32_e32 v14, 0
	v_mov_b32_e32 v15, 0
	s_branch .LBB359_3
.LBB359_2:                              ;   in Loop: Header=BB359_3 Depth=1
	s_or_b64 exec, exec, s[6:7]
	s_waitcnt lgkmcnt(0)
	s_barrier
	ds_read2_b64 v[16:19], v10 offset1:16
	ds_read_b128 v[20:23], v12
	ds_read_b128 v[24:27], v12 offset:16
	ds_read2_b64 v[28:31], v10 offset0:32 offset1:48
	v_add_co_u32_e32 v5, vcc, 0x80, v5
	s_waitcnt lgkmcnt(2)
	v_mul_f32_e32 v4, v21, v17
	v_mul_f32_e32 v32, v20, v17
	v_fma_f32 v4, v20, v16, -v4
	v_fmac_f32_e32 v32, v21, v16
	v_mul_f32_e32 v16, v23, v19
	v_fma_f32 v33, v22, v18, -v16
	v_mul_f32_e32 v34, v22, v19
	s_waitcnt lgkmcnt(0)
	v_mul_f32_e32 v16, v25, v29
	v_fmac_f32_e32 v34, v23, v18
	v_fma_f32 v35, v24, v28, -v16
	ds_read2_b64 v[16:19], v10 offset0:64 offset1:80
	ds_read_b128 v[20:23], v12 offset:32
	v_mul_f32_e32 v36, v24, v29
	v_fmac_f32_e32 v36, v25, v28
	v_mul_f32_e32 v24, v27, v31
	v_mul_f32_e32 v38, v26, v31
	s_waitcnt lgkmcnt(0)
	v_mul_f32_e32 v28, v21, v17
	v_fma_f32 v37, v26, v30, -v24
	v_fmac_f32_e32 v38, v27, v30
	ds_read_b128 v[24:27], v12 offset:48
	v_fma_f32 v39, v20, v16, -v28
	ds_read2_b64 v[28:31], v10 offset0:96 offset1:112
	v_mul_f32_e32 v40, v20, v17
	v_fmac_f32_e32 v40, v21, v16
	v_mul_f32_e32 v16, v23, v19
	v_fma_f32 v41, v22, v18, -v16
	v_mul_f32_e32 v42, v22, v19
	s_waitcnt lgkmcnt(0)
	v_mul_f32_e32 v16, v25, v29
	v_fmac_f32_e32 v42, v23, v18
	v_fma_f32 v43, v24, v28, -v16
	ds_read2_b64 v[16:19], v10 offset0:128 offset1:144
	ds_read_b128 v[20:23], v12 offset:64
	v_mul_f32_e32 v44, v24, v29
	v_fmac_f32_e32 v44, v25, v28
	v_mul_f32_e32 v24, v27, v31
	v_mul_f32_e32 v46, v26, v31
	s_waitcnt lgkmcnt(0)
	v_mul_f32_e32 v28, v21, v17
	v_fma_f32 v45, v26, v30, -v24
	v_fmac_f32_e32 v46, v27, v30
	ds_read_b128 v[24:27], v12 offset:80
	v_fma_f32 v47, v20, v16, -v28
	ds_read2_b64 v[28:31], v10 offset0:160 offset1:176
	v_mul_f32_e32 v48, v20, v17
	v_add_f32_e32 v14, v14, v32
	v_fmac_f32_e32 v48, v21, v16
	v_mul_f32_e32 v16, v23, v19
	v_add_f32_e32 v14, v14, v34
	v_fma_f32 v49, v22, v18, -v16
	v_mul_f32_e32 v50, v22, v19
	s_waitcnt lgkmcnt(0)
	v_mul_f32_e32 v16, v25, v29
	v_add_f32_e32 v14, v14, v36
	v_fmac_f32_e32 v50, v23, v18
	v_fma_f32 v51, v24, v28, -v16
	ds_read2_b64 v[16:19], v10 offset0:192 offset1:208
	ds_read_b128 v[20:23], v12 offset:96
	v_add_f32_e32 v14, v14, v38
	v_add_f32_e32 v14, v14, v40
	;; [unrolled: 1-line block ×6, first 2 shown]
	v_mul_f32_e32 v29, v24, v29
	v_mul_f32_e32 v24, v27, v31
	;; [unrolled: 1-line block ×3, first 2 shown]
	v_add_f32_e32 v4, v4, v35
	v_add_f32_e32 v14, v14, v46
	v_fmac_f32_e32 v29, v25, v28
	v_fma_f32 v28, v26, v30, -v24
	v_fmac_f32_e32 v31, v27, v30
	s_waitcnt lgkmcnt(0)
	v_mul_f32_e32 v30, v21, v17
	v_add_f32_e32 v4, v4, v37
	v_add_f32_e32 v14, v14, v48
	v_fma_f32 v30, v20, v16, -v30
	v_mul_f32_e32 v20, v20, v17
	v_add_f32_e32 v4, v4, v39
	v_add_f32_e32 v14, v14, v50
	v_fmac_f32_e32 v20, v21, v16
	v_mul_f32_e32 v16, v23, v19
	v_mul_f32_e32 v19, v22, v19
	v_add_f32_e32 v4, v4, v41
	v_add_f32_e32 v14, v14, v29
	ds_read_b128 v[24:27], v12 offset:112
	v_fma_f32 v21, v22, v18, -v16
	v_fmac_f32_e32 v19, v23, v18
	v_add_f32_e32 v4, v4, v43
	v_add_f32_e32 v18, v14, v31
	ds_read2_b64 v[14:17], v10 offset0:224 offset1:240
	v_add_f32_e32 v4, v4, v45
	v_add_f32_e32 v4, v4, v47
	;; [unrolled: 1-line block ×7, first 2 shown]
	s_waitcnt lgkmcnt(0)
	v_mul_f32_e32 v19, v25, v15
	v_mul_f32_e32 v15, v24, v15
	v_add_f32_e32 v4, v4, v30
	v_fmac_f32_e32 v15, v25, v14
	v_add_f32_e32 v4, v4, v21
	v_fma_f32 v19, v24, v14, -v19
	v_add_f32_e32 v14, v18, v15
	v_mul_f32_e32 v15, v27, v17
	v_mul_f32_e32 v17, v26, v17
	v_addc_co_u32_e32 v6, vcc, 0, v6, vcc
	v_add_f32_e32 v4, v4, v19
	v_fma_f32 v15, v26, v16, -v15
	v_fmac_f32_e32 v17, v27, v16
	s_add_i32 s9, s9, 16
	v_add_co_u32_e32 v7, vcc, 0x80, v7
	v_add_f32_e32 v15, v4, v15
	v_add_f32_e32 v14, v14, v17
	s_cmp_ge_i32 s9, s11
	v_addc_co_u32_e32 v8, vcc, 0, v8, vcc
	s_barrier
	s_cbranch_scc1 .LBB359_12
.LBB359_3:                              ; =>This Inner Loop Header: Depth=1
	v_add_u32_e32 v4, s9, v1
	v_cmp_le_i32_e32 vcc, s11, v4
	s_or_b64 s[6:7], s[2:3], vcc
	s_and_saveexec_b64 s[14:15], s[6:7]
	s_xor_b64 s[6:7], exec, s[14:15]
; %bb.4:                                ;   in Loop: Header=BB359_3 Depth=1
	ds_write_b32 v11, v3
; %bb.5:                                ;   in Loop: Header=BB359_3 Depth=1
	s_or_saveexec_b64 s[6:7], s[6:7]
	v_mov_b32_e32 v4, 0
	s_xor_b64 exec, exec, s[6:7]
	s_cbranch_execz .LBB359_7
; %bb.6:                                ;   in Loop: Header=BB359_3 Depth=1
	global_load_dwordx2 v[16:17], v[7:8], off offset:-4
	s_waitcnt vmcnt(0)
	v_xor_b32_e32 v4, 0x80000000, v17
	ds_write_b32 v11, v16
.LBB359_7:                              ;   in Loop: Header=BB359_3 Depth=1
	s_or_b64 exec, exec, s[6:7]
	ds_write_b32 v11, v4 offset:4
	v_add_u32_e32 v4, s9, v0
	v_cmp_le_i32_e32 vcc, s11, v4
	s_or_b64 s[6:7], s[0:1], vcc
	s_and_saveexec_b64 s[14:15], s[6:7]
	s_xor_b64 s[6:7], exec, s[14:15]
; %bb.8:                                ;   in Loop: Header=BB359_3 Depth=1
	v_mov_b32_e32 v4, v3
	ds_write_b64 v13, v[3:4]
; %bb.9:                                ;   in Loop: Header=BB359_3 Depth=1
	s_andn2_saveexec_b64 s[6:7], s[6:7]
	s_cbranch_execz .LBB359_2
; %bb.10:                               ;   in Loop: Header=BB359_3 Depth=1
	global_load_dwordx2 v[16:17], v[5:6], off
	s_waitcnt vmcnt(0)
	ds_write_b64 v13, v[16:17]
	s_branch .LBB359_2
.LBB359_11:
	v_mov_b32_e32 v14, 0
	v_mov_b32_e32 v15, 0
.LBB359_12:
	v_cmp_le_i32_e32 vcc, v9, v2
	v_cmp_gt_i32_e64 s[0:1], s10, v2
	s_and_b64 s[0:1], vcc, s[0:1]
	s_and_saveexec_b64 s[2:3], s[0:1]
	s_cbranch_execz .LBB359_15
; %bb.13:
	s_load_dwordx2 s[0:1], s[4:5], 0x58
	s_load_dwordx2 s[2:3], s[4:5], 0x48
	s_load_dword s6, s[4:5], 0x50
	v_mul_f32_e32 v0, s13, v14
	v_fma_f32 v4, v15, s12, -v0
	s_waitcnt lgkmcnt(0)
	s_mul_i32 s1, s1, s8
	s_mul_hi_u32 s4, s0, s8
	s_mul_i32 s0, s0, s8
	s_add_i32 s1, s4, s1
	s_lshl_b64 s[0:1], s[0:1], 3
	s_add_u32 s2, s2, s0
	s_addc_u32 s3, s3, s1
	v_mad_i64_i32 v[0:1], s[0:1], s6, v9, 0
	v_ashrrev_i32_e32 v3, 31, v2
	v_mov_b32_e32 v6, s3
	v_lshlrev_b64 v[0:1], 3, v[0:1]
	v_mul_f32_e32 v5, s12, v14
	v_add_co_u32_e32 v7, vcc, s2, v0
	v_addc_co_u32_e32 v6, vcc, v6, v1, vcc
	v_lshlrev_b64 v[0:1], 3, v[2:3]
	v_fmac_f32_e32 v5, s13, v15
	v_add_co_u32_e32 v0, vcc, v7, v0
	v_addc_co_u32_e32 v1, vcc, v6, v1, vcc
	v_cmp_eq_u32_e32 vcc, v2, v9
	global_store_dwordx2 v[0:1], v[4:5], off
	s_and_b64 exec, exec, vcc
	s_cbranch_execz .LBB359_15
; %bb.14:
	v_mov_b32_e32 v2, 0
	global_store_dword v[0:1], v2, off offset:4
.LBB359_15:
	s_endpgm
	.section	.rodata,"a",@progbits
	.p2align	6, 0x0
	.amdhsa_kernel _ZL32rocblas_syrkx_herkx_small_kernelIi19rocblas_complex_numIfELi16ELb1ELb1ELc67ELc76EKS1_S1_EviT_T0_PT6_S3_lS6_S3_lS4_PT7_S3_li
		.amdhsa_group_segment_fixed_size 4096
		.amdhsa_private_segment_fixed_size 0
		.amdhsa_kernarg_size 100
		.amdhsa_user_sgpr_count 6
		.amdhsa_user_sgpr_private_segment_buffer 1
		.amdhsa_user_sgpr_dispatch_ptr 0
		.amdhsa_user_sgpr_queue_ptr 0
		.amdhsa_user_sgpr_kernarg_segment_ptr 1
		.amdhsa_user_sgpr_dispatch_id 0
		.amdhsa_user_sgpr_flat_scratch_init 0
		.amdhsa_user_sgpr_private_segment_size 0
		.amdhsa_uses_dynamic_stack 0
		.amdhsa_system_sgpr_private_segment_wavefront_offset 0
		.amdhsa_system_sgpr_workgroup_id_x 1
		.amdhsa_system_sgpr_workgroup_id_y 1
		.amdhsa_system_sgpr_workgroup_id_z 1
		.amdhsa_system_sgpr_workgroup_info 0
		.amdhsa_system_vgpr_workitem_id 1
		.amdhsa_next_free_vgpr 52
		.amdhsa_next_free_sgpr 20
		.amdhsa_reserve_vcc 1
		.amdhsa_reserve_flat_scratch 0
		.amdhsa_float_round_mode_32 0
		.amdhsa_float_round_mode_16_64 0
		.amdhsa_float_denorm_mode_32 3
		.amdhsa_float_denorm_mode_16_64 3
		.amdhsa_dx10_clamp 1
		.amdhsa_ieee_mode 1
		.amdhsa_fp16_overflow 0
		.amdhsa_exception_fp_ieee_invalid_op 0
		.amdhsa_exception_fp_denorm_src 0
		.amdhsa_exception_fp_ieee_div_zero 0
		.amdhsa_exception_fp_ieee_overflow 0
		.amdhsa_exception_fp_ieee_underflow 0
		.amdhsa_exception_fp_ieee_inexact 0
		.amdhsa_exception_int_div_zero 0
	.end_amdhsa_kernel
	.section	.text._ZL32rocblas_syrkx_herkx_small_kernelIi19rocblas_complex_numIfELi16ELb1ELb1ELc67ELc76EKS1_S1_EviT_T0_PT6_S3_lS6_S3_lS4_PT7_S3_li,"axG",@progbits,_ZL32rocblas_syrkx_herkx_small_kernelIi19rocblas_complex_numIfELi16ELb1ELb1ELc67ELc76EKS1_S1_EviT_T0_PT6_S3_lS6_S3_lS4_PT7_S3_li,comdat
.Lfunc_end359:
	.size	_ZL32rocblas_syrkx_herkx_small_kernelIi19rocblas_complex_numIfELi16ELb1ELb1ELc67ELc76EKS1_S1_EviT_T0_PT6_S3_lS6_S3_lS4_PT7_S3_li, .Lfunc_end359-_ZL32rocblas_syrkx_herkx_small_kernelIi19rocblas_complex_numIfELi16ELb1ELb1ELc67ELc76EKS1_S1_EviT_T0_PT6_S3_lS6_S3_lS4_PT7_S3_li
                                        ; -- End function
	.set _ZL32rocblas_syrkx_herkx_small_kernelIi19rocblas_complex_numIfELi16ELb1ELb1ELc67ELc76EKS1_S1_EviT_T0_PT6_S3_lS6_S3_lS4_PT7_S3_li.num_vgpr, 52
	.set _ZL32rocblas_syrkx_herkx_small_kernelIi19rocblas_complex_numIfELi16ELb1ELb1ELc67ELc76EKS1_S1_EviT_T0_PT6_S3_lS6_S3_lS4_PT7_S3_li.num_agpr, 0
	.set _ZL32rocblas_syrkx_herkx_small_kernelIi19rocblas_complex_numIfELi16ELb1ELb1ELc67ELc76EKS1_S1_EviT_T0_PT6_S3_lS6_S3_lS4_PT7_S3_li.numbered_sgpr, 20
	.set _ZL32rocblas_syrkx_herkx_small_kernelIi19rocblas_complex_numIfELi16ELb1ELb1ELc67ELc76EKS1_S1_EviT_T0_PT6_S3_lS6_S3_lS4_PT7_S3_li.num_named_barrier, 0
	.set _ZL32rocblas_syrkx_herkx_small_kernelIi19rocblas_complex_numIfELi16ELb1ELb1ELc67ELc76EKS1_S1_EviT_T0_PT6_S3_lS6_S3_lS4_PT7_S3_li.private_seg_size, 0
	.set _ZL32rocblas_syrkx_herkx_small_kernelIi19rocblas_complex_numIfELi16ELb1ELb1ELc67ELc76EKS1_S1_EviT_T0_PT6_S3_lS6_S3_lS4_PT7_S3_li.uses_vcc, 1
	.set _ZL32rocblas_syrkx_herkx_small_kernelIi19rocblas_complex_numIfELi16ELb1ELb1ELc67ELc76EKS1_S1_EviT_T0_PT6_S3_lS6_S3_lS4_PT7_S3_li.uses_flat_scratch, 0
	.set _ZL32rocblas_syrkx_herkx_small_kernelIi19rocblas_complex_numIfELi16ELb1ELb1ELc67ELc76EKS1_S1_EviT_T0_PT6_S3_lS6_S3_lS4_PT7_S3_li.has_dyn_sized_stack, 0
	.set _ZL32rocblas_syrkx_herkx_small_kernelIi19rocblas_complex_numIfELi16ELb1ELb1ELc67ELc76EKS1_S1_EviT_T0_PT6_S3_lS6_S3_lS4_PT7_S3_li.has_recursion, 0
	.set _ZL32rocblas_syrkx_herkx_small_kernelIi19rocblas_complex_numIfELi16ELb1ELb1ELc67ELc76EKS1_S1_EviT_T0_PT6_S3_lS6_S3_lS4_PT7_S3_li.has_indirect_call, 0
	.section	.AMDGPU.csdata,"",@progbits
; Kernel info:
; codeLenInByte = 1348
; TotalNumSgprs: 24
; NumVgprs: 52
; ScratchSize: 0
; MemoryBound: 1
; FloatMode: 240
; IeeeMode: 1
; LDSByteSize: 4096 bytes/workgroup (compile time only)
; SGPRBlocks: 2
; VGPRBlocks: 12
; NumSGPRsForWavesPerEU: 24
; NumVGPRsForWavesPerEU: 52
; Occupancy: 4
; WaveLimiterHint : 0
; COMPUTE_PGM_RSRC2:SCRATCH_EN: 0
; COMPUTE_PGM_RSRC2:USER_SGPR: 6
; COMPUTE_PGM_RSRC2:TRAP_HANDLER: 0
; COMPUTE_PGM_RSRC2:TGID_X_EN: 1
; COMPUTE_PGM_RSRC2:TGID_Y_EN: 1
; COMPUTE_PGM_RSRC2:TGID_Z_EN: 1
; COMPUTE_PGM_RSRC2:TIDIG_COMP_CNT: 1
	.section	.text._ZL32rocblas_syrkx_herkx_small_kernelIi19rocblas_complex_numIfELi16ELb1ELb1ELc78ELc76EKS1_S1_EviT_T0_PT6_S3_lS6_S3_lS4_PT7_S3_li,"axG",@progbits,_ZL32rocblas_syrkx_herkx_small_kernelIi19rocblas_complex_numIfELi16ELb1ELb1ELc78ELc76EKS1_S1_EviT_T0_PT6_S3_lS6_S3_lS4_PT7_S3_li,comdat
	.globl	_ZL32rocblas_syrkx_herkx_small_kernelIi19rocblas_complex_numIfELi16ELb1ELb1ELc78ELc76EKS1_S1_EviT_T0_PT6_S3_lS6_S3_lS4_PT7_S3_li ; -- Begin function _ZL32rocblas_syrkx_herkx_small_kernelIi19rocblas_complex_numIfELi16ELb1ELb1ELc78ELc76EKS1_S1_EviT_T0_PT6_S3_lS6_S3_lS4_PT7_S3_li
	.p2align	8
	.type	_ZL32rocblas_syrkx_herkx_small_kernelIi19rocblas_complex_numIfELi16ELb1ELb1ELc78ELc76EKS1_S1_EviT_T0_PT6_S3_lS6_S3_lS4_PT7_S3_li,@function
_ZL32rocblas_syrkx_herkx_small_kernelIi19rocblas_complex_numIfELi16ELb1ELb1ELc78ELc76EKS1_S1_EviT_T0_PT6_S3_lS6_S3_lS4_PT7_S3_li: ; @_ZL32rocblas_syrkx_herkx_small_kernelIi19rocblas_complex_numIfELi16ELb1ELb1ELc78ELc76EKS1_S1_EviT_T0_PT6_S3_lS6_S3_lS4_PT7_S3_li
; %bb.0:
	s_load_dwordx2 s[10:11], s[4:5], 0x0
	s_load_dwordx4 s[12:15], s[4:5], 0x8
	v_lshl_add_u32 v2, s6, 4, v0
	s_mov_b32 s9, 0
	v_lshl_add_u32 v4, s7, 4, v1
	s_waitcnt lgkmcnt(0)
	s_cmp_lt_i32 s11, 1
	v_cmp_gt_i32_e32 vcc, s10, v2
	v_ashrrev_i32_e32 v3, 31, v2
	s_cbranch_scc1 .LBB360_11
; %bb.1:
	s_load_dword s20, s[4:5], 0x18
	s_load_dword s6, s[4:5], 0x30
	s_load_dwordx2 s[2:3], s[4:5], 0x38
	s_load_dwordx4 s[16:19], s[4:5], 0x20
	v_lshlrev_b32_e32 v5, 7, v1
	v_lshlrev_b32_e32 v11, 3, v0
	s_waitcnt lgkmcnt(0)
	v_mad_i64_i32 v[6:7], s[22:23], s6, v0, 0
	s_mul_i32 s3, s3, s8
	s_mul_hi_u32 s24, s2, s8
	s_add_i32 s3, s24, s3
	s_mul_i32 s2, s2, s8
	v_lshlrev_b64 v[6:7], 3, v[6:7]
	v_add_u32_e32 v12, v11, v5
	v_add_u32_e32 v13, 0x800, v5
	v_ashrrev_i32_e32 v5, 31, v4
	s_lshl_b64 s[2:3], s[2:3], 3
	v_mov_b32_e32 v8, s3
	v_add_co_u32_e64 v9, s[2:3], s2, v6
	v_lshlrev_b64 v[5:6], 3, v[4:5]
	v_addc_co_u32_e64 v7, s[2:3], v8, v7, s[2:3]
	v_add_co_u32_e64 v5, s[2:3], v9, v5
	v_addc_co_u32_e64 v6, s[2:3], v7, v6, s[2:3]
	v_mov_b32_e32 v7, s19
	v_add_co_u32_e64 v5, s[2:3], s18, v5
	v_addc_co_u32_e64 v6, s[2:3], v7, v6, s[2:3]
	v_add_co_u32_e64 v5, s[2:3], 4, v5
	v_addc_co_u32_e64 v6, s[2:3], 0, v6, s[2:3]
	v_mad_i64_i32 v[7:8], s[2:3], s20, v1, 0
	s_mul_i32 s17, s17, s8
	s_mul_hi_u32 s18, s16, s8
	s_add_i32 s3, s18, s17
	s_mul_i32 s2, s16, s8
	v_lshlrev_b64 v[7:8], 3, v[7:8]
	s_lshl_b64 s[2:3], s[2:3], 3
	v_mov_b32_e32 v9, s3
	v_add_co_u32_e64 v10, s[2:3], s2, v7
	v_addc_co_u32_e64 v9, s[2:3], v9, v8, s[2:3]
	v_lshlrev_b64 v[7:8], 3, v[2:3]
	s_ashr_i32 s21, s20, 31
	v_add_co_u32_e64 v7, s[2:3], v10, v7
	v_addc_co_u32_e64 v8, s[2:3], v9, v8, s[2:3]
	v_mov_b32_e32 v9, s15
	v_add_co_u32_e64 v7, s[2:3], s14, v7
	s_ashr_i32 s7, s6, 31
	v_addc_co_u32_e64 v8, s[2:3], v9, v8, s[2:3]
	v_cmp_gt_i32_e64 s[0:1], s10, v4
	s_lshl_b64 s[6:7], s[6:7], 7
	s_lshl_b64 s[2:3], s[20:21], 7
	v_add_u32_e32 v14, v13, v11
	v_mov_b32_e32 v9, 0
	s_xor_b64 s[14:15], vcc, -1
	s_xor_b64 s[0:1], s[0:1], -1
	v_mov_b32_e32 v17, s7
	v_mov_b32_e32 v18, s3
	;; [unrolled: 1-line block ×4, first 2 shown]
	s_branch .LBB360_3
.LBB360_2:                              ;   in Loop: Header=BB360_3 Depth=1
	s_or_b64 exec, exec, s[16:17]
	ds_write_b32 v14, v10 offset:4
	s_waitcnt lgkmcnt(0)
	s_barrier
	ds_read2_b64 v[19:22], v11 offset1:16
	ds_read_b128 v[23:26], v13
	ds_read_b128 v[27:30], v13 offset:16
	ds_read2_b64 v[31:34], v11 offset0:32 offset1:48
	v_add_co_u32_e32 v5, vcc, s6, v5
	s_waitcnt lgkmcnt(2)
	v_mul_f32_e32 v10, v24, v20
	v_mul_f32_e32 v35, v23, v20
	v_fma_f32 v10, v23, v19, -v10
	v_fmac_f32_e32 v35, v24, v19
	v_mul_f32_e32 v19, v26, v22
	v_fma_f32 v36, v25, v21, -v19
	v_mul_f32_e32 v37, v25, v22
	s_waitcnt lgkmcnt(0)
	v_mul_f32_e32 v19, v28, v32
	v_fmac_f32_e32 v37, v26, v21
	v_fma_f32 v38, v27, v31, -v19
	ds_read2_b64 v[19:22], v11 offset0:64 offset1:80
	ds_read_b128 v[23:26], v13 offset:32
	v_mul_f32_e32 v39, v27, v32
	v_fmac_f32_e32 v39, v28, v31
	v_mul_f32_e32 v27, v30, v34
	v_mul_f32_e32 v41, v29, v34
	s_waitcnt lgkmcnt(0)
	v_mul_f32_e32 v31, v24, v20
	v_fma_f32 v40, v29, v33, -v27
	v_fmac_f32_e32 v41, v30, v33
	ds_read_b128 v[27:30], v13 offset:48
	v_fma_f32 v42, v23, v19, -v31
	ds_read2_b64 v[31:34], v11 offset0:96 offset1:112
	v_mul_f32_e32 v43, v23, v20
	v_fmac_f32_e32 v43, v24, v19
	v_mul_f32_e32 v19, v26, v22
	v_fma_f32 v44, v25, v21, -v19
	v_mul_f32_e32 v45, v25, v22
	s_waitcnt lgkmcnt(0)
	v_mul_f32_e32 v19, v28, v32
	v_fmac_f32_e32 v45, v26, v21
	v_fma_f32 v46, v27, v31, -v19
	ds_read2_b64 v[19:22], v11 offset0:128 offset1:144
	ds_read_b128 v[23:26], v13 offset:64
	v_mul_f32_e32 v47, v27, v32
	v_fmac_f32_e32 v47, v28, v31
	v_mul_f32_e32 v27, v30, v34
	v_mul_f32_e32 v49, v29, v34
	s_waitcnt lgkmcnt(0)
	v_mul_f32_e32 v31, v24, v20
	v_fma_f32 v48, v29, v33, -v27
	v_fmac_f32_e32 v49, v30, v33
	ds_read_b128 v[27:30], v13 offset:80
	v_fma_f32 v50, v23, v19, -v31
	ds_read2_b64 v[31:34], v11 offset0:160 offset1:176
	v_mul_f32_e32 v51, v23, v20
	v_fmac_f32_e32 v51, v24, v19
	v_mul_f32_e32 v19, v26, v22
	v_fma_f32 v52, v25, v21, -v19
	v_mul_f32_e32 v53, v25, v22
	s_waitcnt lgkmcnt(0)
	v_mul_f32_e32 v19, v28, v32
	v_add_f32_e32 v10, v16, v10
	v_add_f32_e32 v15, v15, v35
	v_fmac_f32_e32 v53, v26, v21
	v_fma_f32 v54, v27, v31, -v19
	ds_read2_b64 v[19:22], v11 offset0:192 offset1:208
	ds_read_b128 v[23:26], v13 offset:96
	v_add_f32_e32 v10, v10, v36
	v_add_f32_e32 v15, v15, v37
	;; [unrolled: 1-line block ×8, first 2 shown]
	v_mul_f32_e32 v55, v27, v32
	v_add_f32_e32 v10, v10, v44
	v_add_f32_e32 v15, v15, v45
	v_fmac_f32_e32 v55, v28, v31
	v_mul_f32_e32 v27, v30, v34
	v_mul_f32_e32 v57, v29, v34
	s_waitcnt lgkmcnt(0)
	v_mul_f32_e32 v31, v24, v20
	v_add_f32_e32 v10, v10, v46
	v_add_f32_e32 v15, v15, v47
	v_fma_f32 v56, v29, v33, -v27
	v_fmac_f32_e32 v57, v30, v33
	ds_read_b128 v[27:30], v13 offset:112
	v_fma_f32 v58, v23, v19, -v31
	ds_read2_b64 v[31:34], v11 offset0:224 offset1:240
	v_add_f32_e32 v10, v10, v48
	v_add_f32_e32 v15, v15, v49
	;; [unrolled: 1-line block ×6, first 2 shown]
	v_mul_f32_e32 v20, v23, v20
	v_add_f32_e32 v10, v10, v54
	v_add_f32_e32 v15, v15, v55
	v_fmac_f32_e32 v20, v24, v19
	v_mul_f32_e32 v19, v26, v22
	v_mul_f32_e32 v22, v25, v22
	v_add_f32_e32 v10, v10, v56
	v_add_f32_e32 v15, v15, v57
	v_fma_f32 v19, v25, v21, -v19
	v_fmac_f32_e32 v22, v26, v21
	s_waitcnt lgkmcnt(0)
	v_mul_f32_e32 v21, v28, v32
	v_mul_f32_e32 v23, v27, v32
	v_add_f32_e32 v10, v10, v58
	v_add_f32_e32 v15, v15, v20
	v_fma_f32 v21, v27, v31, -v21
	v_fmac_f32_e32 v23, v28, v31
	v_mul_f32_e32 v24, v30, v34
	v_mul_f32_e32 v25, v29, v34
	v_add_f32_e32 v10, v10, v19
	v_add_f32_e32 v15, v15, v22
	v_addc_co_u32_e32 v6, vcc, v6, v17, vcc
	v_fma_f32 v24, v29, v33, -v24
	v_fmac_f32_e32 v25, v30, v33
	v_add_f32_e32 v10, v10, v21
	v_add_f32_e32 v15, v15, v23
	s_add_i32 s9, s9, 16
	v_add_co_u32_e32 v7, vcc, s2, v7
	v_add_f32_e32 v16, v10, v24
	v_add_f32_e32 v15, v15, v25
	s_cmp_ge_i32 s9, s11
	v_addc_co_u32_e32 v8, vcc, v8, v18, vcc
	s_barrier
	s_cbranch_scc1 .LBB360_12
.LBB360_3:                              ; =>This Inner Loop Header: Depth=1
	v_add_u32_e32 v10, s9, v1
	v_cmp_le_i32_e32 vcc, s11, v10
	s_or_b64 s[16:17], s[14:15], vcc
	s_and_saveexec_b64 s[18:19], s[16:17]
	s_xor_b64 s[16:17], exec, s[18:19]
; %bb.4:                                ;   in Loop: Header=BB360_3 Depth=1
	v_mov_b32_e32 v10, v9
	ds_write_b64 v12, v[9:10]
; %bb.5:                                ;   in Loop: Header=BB360_3 Depth=1
	s_andn2_saveexec_b64 s[16:17], s[16:17]
	s_cbranch_execz .LBB360_7
; %bb.6:                                ;   in Loop: Header=BB360_3 Depth=1
	global_load_dwordx2 v[19:20], v[7:8], off
	s_waitcnt vmcnt(0)
	ds_write_b64 v12, v[19:20]
.LBB360_7:                              ;   in Loop: Header=BB360_3 Depth=1
	s_or_b64 exec, exec, s[16:17]
	v_add_u32_e32 v10, s9, v0
	v_cmp_le_i32_e32 vcc, s11, v10
	s_or_b64 s[16:17], s[0:1], vcc
	s_and_saveexec_b64 s[18:19], s[16:17]
	s_xor_b64 s[16:17], exec, s[18:19]
; %bb.8:                                ;   in Loop: Header=BB360_3 Depth=1
	ds_write_b32 v14, v9
; %bb.9:                                ;   in Loop: Header=BB360_3 Depth=1
	s_or_saveexec_b64 s[16:17], s[16:17]
	v_mov_b32_e32 v10, 0
	s_xor_b64 exec, exec, s[16:17]
	s_cbranch_execz .LBB360_2
; %bb.10:                               ;   in Loop: Header=BB360_3 Depth=1
	global_load_dwordx2 v[19:20], v[5:6], off offset:-4
	s_waitcnt vmcnt(0)
	v_xor_b32_e32 v10, 0x80000000, v20
	ds_write_b32 v14, v19
	s_branch .LBB360_2
.LBB360_11:
	v_mov_b32_e32 v15, 0
	v_mov_b32_e32 v16, 0
.LBB360_12:
	v_cmp_le_i32_e32 vcc, v4, v2
	v_cmp_gt_i32_e64 s[0:1], s10, v2
	s_and_b64 s[0:1], vcc, s[0:1]
	s_and_saveexec_b64 s[2:3], s[0:1]
	s_cbranch_execz .LBB360_15
; %bb.13:
	s_load_dwordx2 s[0:1], s[4:5], 0x58
	s_load_dwordx2 s[2:3], s[4:5], 0x48
	s_load_dword s6, s[4:5], 0x50
	v_mul_f32_e32 v5, s13, v15
	v_mul_f32_e32 v6, s12, v15
	s_waitcnt lgkmcnt(0)
	s_mul_i32 s1, s1, s8
	s_mul_hi_u32 s4, s0, s8
	s_mul_i32 s0, s0, s8
	s_add_i32 s1, s4, s1
	s_lshl_b64 s[0:1], s[0:1], 3
	s_add_u32 s2, s2, s0
	s_addc_u32 s3, s3, s1
	v_mad_i64_i32 v[0:1], s[0:1], s6, v4, 0
	v_mov_b32_e32 v7, s3
	v_fma_f32 v5, v16, s12, -v5
	v_lshlrev_b64 v[0:1], 3, v[0:1]
	v_fmac_f32_e32 v6, s13, v16
	v_add_co_u32_e32 v8, vcc, s2, v0
	v_addc_co_u32_e32 v7, vcc, v7, v1, vcc
	v_lshlrev_b64 v[0:1], 3, v[2:3]
	v_add_co_u32_e32 v0, vcc, v8, v0
	v_addc_co_u32_e32 v1, vcc, v7, v1, vcc
	v_cmp_eq_u32_e32 vcc, v2, v4
	global_store_dwordx2 v[0:1], v[5:6], off
	s_and_b64 exec, exec, vcc
	s_cbranch_execz .LBB360_15
; %bb.14:
	v_mov_b32_e32 v2, 0
	global_store_dword v[0:1], v2, off offset:4
.LBB360_15:
	s_endpgm
	.section	.rodata,"a",@progbits
	.p2align	6, 0x0
	.amdhsa_kernel _ZL32rocblas_syrkx_herkx_small_kernelIi19rocblas_complex_numIfELi16ELb1ELb1ELc78ELc76EKS1_S1_EviT_T0_PT6_S3_lS6_S3_lS4_PT7_S3_li
		.amdhsa_group_segment_fixed_size 4096
		.amdhsa_private_segment_fixed_size 0
		.amdhsa_kernarg_size 100
		.amdhsa_user_sgpr_count 6
		.amdhsa_user_sgpr_private_segment_buffer 1
		.amdhsa_user_sgpr_dispatch_ptr 0
		.amdhsa_user_sgpr_queue_ptr 0
		.amdhsa_user_sgpr_kernarg_segment_ptr 1
		.amdhsa_user_sgpr_dispatch_id 0
		.amdhsa_user_sgpr_flat_scratch_init 0
		.amdhsa_user_sgpr_private_segment_size 0
		.amdhsa_uses_dynamic_stack 0
		.amdhsa_system_sgpr_private_segment_wavefront_offset 0
		.amdhsa_system_sgpr_workgroup_id_x 1
		.amdhsa_system_sgpr_workgroup_id_y 1
		.amdhsa_system_sgpr_workgroup_id_z 1
		.amdhsa_system_sgpr_workgroup_info 0
		.amdhsa_system_vgpr_workitem_id 1
		.amdhsa_next_free_vgpr 59
		.amdhsa_next_free_sgpr 25
		.amdhsa_reserve_vcc 1
		.amdhsa_reserve_flat_scratch 0
		.amdhsa_float_round_mode_32 0
		.amdhsa_float_round_mode_16_64 0
		.amdhsa_float_denorm_mode_32 3
		.amdhsa_float_denorm_mode_16_64 3
		.amdhsa_dx10_clamp 1
		.amdhsa_ieee_mode 1
		.amdhsa_fp16_overflow 0
		.amdhsa_exception_fp_ieee_invalid_op 0
		.amdhsa_exception_fp_denorm_src 0
		.amdhsa_exception_fp_ieee_div_zero 0
		.amdhsa_exception_fp_ieee_overflow 0
		.amdhsa_exception_fp_ieee_underflow 0
		.amdhsa_exception_fp_ieee_inexact 0
		.amdhsa_exception_int_div_zero 0
	.end_amdhsa_kernel
	.section	.text._ZL32rocblas_syrkx_herkx_small_kernelIi19rocblas_complex_numIfELi16ELb1ELb1ELc78ELc76EKS1_S1_EviT_T0_PT6_S3_lS6_S3_lS4_PT7_S3_li,"axG",@progbits,_ZL32rocblas_syrkx_herkx_small_kernelIi19rocblas_complex_numIfELi16ELb1ELb1ELc78ELc76EKS1_S1_EviT_T0_PT6_S3_lS6_S3_lS4_PT7_S3_li,comdat
.Lfunc_end360:
	.size	_ZL32rocblas_syrkx_herkx_small_kernelIi19rocblas_complex_numIfELi16ELb1ELb1ELc78ELc76EKS1_S1_EviT_T0_PT6_S3_lS6_S3_lS4_PT7_S3_li, .Lfunc_end360-_ZL32rocblas_syrkx_herkx_small_kernelIi19rocblas_complex_numIfELi16ELb1ELb1ELc78ELc76EKS1_S1_EviT_T0_PT6_S3_lS6_S3_lS4_PT7_S3_li
                                        ; -- End function
	.set _ZL32rocblas_syrkx_herkx_small_kernelIi19rocblas_complex_numIfELi16ELb1ELb1ELc78ELc76EKS1_S1_EviT_T0_PT6_S3_lS6_S3_lS4_PT7_S3_li.num_vgpr, 59
	.set _ZL32rocblas_syrkx_herkx_small_kernelIi19rocblas_complex_numIfELi16ELb1ELb1ELc78ELc76EKS1_S1_EviT_T0_PT6_S3_lS6_S3_lS4_PT7_S3_li.num_agpr, 0
	.set _ZL32rocblas_syrkx_herkx_small_kernelIi19rocblas_complex_numIfELi16ELb1ELb1ELc78ELc76EKS1_S1_EviT_T0_PT6_S3_lS6_S3_lS4_PT7_S3_li.numbered_sgpr, 25
	.set _ZL32rocblas_syrkx_herkx_small_kernelIi19rocblas_complex_numIfELi16ELb1ELb1ELc78ELc76EKS1_S1_EviT_T0_PT6_S3_lS6_S3_lS4_PT7_S3_li.num_named_barrier, 0
	.set _ZL32rocblas_syrkx_herkx_small_kernelIi19rocblas_complex_numIfELi16ELb1ELb1ELc78ELc76EKS1_S1_EviT_T0_PT6_S3_lS6_S3_lS4_PT7_S3_li.private_seg_size, 0
	.set _ZL32rocblas_syrkx_herkx_small_kernelIi19rocblas_complex_numIfELi16ELb1ELb1ELc78ELc76EKS1_S1_EviT_T0_PT6_S3_lS6_S3_lS4_PT7_S3_li.uses_vcc, 1
	.set _ZL32rocblas_syrkx_herkx_small_kernelIi19rocblas_complex_numIfELi16ELb1ELb1ELc78ELc76EKS1_S1_EviT_T0_PT6_S3_lS6_S3_lS4_PT7_S3_li.uses_flat_scratch, 0
	.set _ZL32rocblas_syrkx_herkx_small_kernelIi19rocblas_complex_numIfELi16ELb1ELb1ELc78ELc76EKS1_S1_EviT_T0_PT6_S3_lS6_S3_lS4_PT7_S3_li.has_dyn_sized_stack, 0
	.set _ZL32rocblas_syrkx_herkx_small_kernelIi19rocblas_complex_numIfELi16ELb1ELb1ELc78ELc76EKS1_S1_EviT_T0_PT6_S3_lS6_S3_lS4_PT7_S3_li.has_recursion, 0
	.set _ZL32rocblas_syrkx_herkx_small_kernelIi19rocblas_complex_numIfELi16ELb1ELb1ELc78ELc76EKS1_S1_EviT_T0_PT6_S3_lS6_S3_lS4_PT7_S3_li.has_indirect_call, 0
	.section	.AMDGPU.csdata,"",@progbits
; Kernel info:
; codeLenInByte = 1380
; TotalNumSgprs: 29
; NumVgprs: 59
; ScratchSize: 0
; MemoryBound: 1
; FloatMode: 240
; IeeeMode: 1
; LDSByteSize: 4096 bytes/workgroup (compile time only)
; SGPRBlocks: 3
; VGPRBlocks: 14
; NumSGPRsForWavesPerEU: 29
; NumVGPRsForWavesPerEU: 59
; Occupancy: 4
; WaveLimiterHint : 0
; COMPUTE_PGM_RSRC2:SCRATCH_EN: 0
; COMPUTE_PGM_RSRC2:USER_SGPR: 6
; COMPUTE_PGM_RSRC2:TRAP_HANDLER: 0
; COMPUTE_PGM_RSRC2:TGID_X_EN: 1
; COMPUTE_PGM_RSRC2:TGID_Y_EN: 1
; COMPUTE_PGM_RSRC2:TGID_Z_EN: 1
; COMPUTE_PGM_RSRC2:TIDIG_COMP_CNT: 1
	.section	.text._ZL32rocblas_syrkx_herkx_small_kernelIi19rocblas_complex_numIfELi16ELb1ELb1ELc84ELc85EKS1_S1_EviT_T0_PT6_S3_lS6_S3_lS4_PT7_S3_li,"axG",@progbits,_ZL32rocblas_syrkx_herkx_small_kernelIi19rocblas_complex_numIfELi16ELb1ELb1ELc84ELc85EKS1_S1_EviT_T0_PT6_S3_lS6_S3_lS4_PT7_S3_li,comdat
	.globl	_ZL32rocblas_syrkx_herkx_small_kernelIi19rocblas_complex_numIfELi16ELb1ELb1ELc84ELc85EKS1_S1_EviT_T0_PT6_S3_lS6_S3_lS4_PT7_S3_li ; -- Begin function _ZL32rocblas_syrkx_herkx_small_kernelIi19rocblas_complex_numIfELi16ELb1ELb1ELc84ELc85EKS1_S1_EviT_T0_PT6_S3_lS6_S3_lS4_PT7_S3_li
	.p2align	8
	.type	_ZL32rocblas_syrkx_herkx_small_kernelIi19rocblas_complex_numIfELi16ELb1ELb1ELc84ELc85EKS1_S1_EviT_T0_PT6_S3_lS6_S3_lS4_PT7_S3_li,@function
_ZL32rocblas_syrkx_herkx_small_kernelIi19rocblas_complex_numIfELi16ELb1ELb1ELc84ELc85EKS1_S1_EviT_T0_PT6_S3_lS6_S3_lS4_PT7_S3_li: ; @_ZL32rocblas_syrkx_herkx_small_kernelIi19rocblas_complex_numIfELi16ELb1ELb1ELc84ELc85EKS1_S1_EviT_T0_PT6_S3_lS6_S3_lS4_PT7_S3_li
; %bb.0:
	s_load_dwordx2 s[10:11], s[4:5], 0x0
	s_load_dwordx4 s[12:15], s[4:5], 0x8
	v_lshl_add_u32 v9, s7, 4, v1
	s_mov_b32 s9, 0
	v_lshl_add_u32 v2, s6, 4, v0
	s_waitcnt lgkmcnt(0)
	s_cmp_lt_i32 s11, 1
	v_cmp_gt_i32_e32 vcc, s10, v9
	s_cbranch_scc1 .LBB361_11
; %bb.1:
	s_load_dword s20, s[4:5], 0x18
	s_load_dwordx4 s[16:19], s[4:5], 0x20
	s_load_dword s6, s[4:5], 0x30
	s_load_dwordx2 s[2:3], s[4:5], 0x38
	v_lshlrev_b32_e32 v5, 7, v1
	v_lshlrev_b32_e32 v10, 3, v0
	v_add_u32_e32 v11, v10, v5
	s_waitcnt lgkmcnt(0)
	v_mad_i64_i32 v[3:4], s[6:7], s6, v9, 0
	s_mul_i32 s3, s3, s8
	s_mul_hi_u32 s6, s2, s8
	v_lshlrev_b64 v[3:4], 3, v[3:4]
	s_add_i32 s3, s6, s3
	s_mul_i32 s2, s2, s8
	s_lshl_b64 s[2:3], s[2:3], 3
	v_add_u32_e32 v12, 0x800, v5
	v_mov_b32_e32 v5, s3
	v_add_co_u32_e64 v6, s[2:3], s2, v3
	v_addc_co_u32_e64 v4, s[2:3], v4, v5, s[2:3]
	v_add_co_u32_e64 v5, s[2:3], v6, v10
	v_addc_co_u32_e64 v4, s[2:3], 0, v4, s[2:3]
	v_mad_i64_i32 v[7:8], s[2:3], s20, v2, 0
	v_mov_b32_e32 v6, s19
	v_add_co_u32_e64 v5, s[2:3], s18, v5
	v_addc_co_u32_e64 v6, s[2:3], v6, v4, s[2:3]
	s_mul_i32 s2, s17, s8
	s_mul_hi_u32 s3, s16, s8
	v_lshlrev_b64 v[7:8], 3, v[7:8]
	s_add_i32 s3, s3, s2
	s_mul_i32 s2, s16, s8
	s_lshl_b64 s[2:3], s[2:3], 3
	v_mov_b32_e32 v4, s3
	v_add_co_u32_e64 v7, s[2:3], s2, v7
	v_addc_co_u32_e64 v4, s[2:3], v8, v4, s[2:3]
	v_lshlrev_b32_e32 v8, 3, v1
	v_add_co_u32_e64 v7, s[2:3], v7, v8
	v_addc_co_u32_e64 v4, s[2:3], 0, v4, s[2:3]
	v_mov_b32_e32 v8, s15
	v_add_co_u32_e64 v7, s[2:3], s14, v7
	v_cmp_gt_i32_e64 s[0:1], s10, v2
	v_addc_co_u32_e64 v8, s[2:3], v8, v4, s[2:3]
	v_add_u32_e32 v13, v12, v10
	v_mov_b32_e32 v3, 0
	s_xor_b64 s[0:1], s[0:1], -1
	s_xor_b64 s[2:3], vcc, -1
	v_mov_b32_e32 v14, 0
	v_mov_b32_e32 v15, 0
	s_branch .LBB361_3
.LBB361_2:                              ;   in Loop: Header=BB361_3 Depth=1
	s_or_b64 exec, exec, s[6:7]
	s_waitcnt lgkmcnt(0)
	s_barrier
	ds_read2_b64 v[16:19], v10 offset1:16
	ds_read_b128 v[20:23], v12
	ds_read_b128 v[24:27], v12 offset:16
	ds_read2_b64 v[28:31], v10 offset0:32 offset1:48
	v_add_co_u32_e32 v5, vcc, 0x80, v5
	s_waitcnt lgkmcnt(2)
	v_mul_f32_e32 v4, v21, v17
	v_mul_f32_e32 v32, v20, v17
	v_fma_f32 v4, v20, v16, -v4
	v_fmac_f32_e32 v32, v21, v16
	v_mul_f32_e32 v16, v23, v19
	v_fma_f32 v33, v22, v18, -v16
	v_mul_f32_e32 v34, v22, v19
	s_waitcnt lgkmcnt(0)
	v_mul_f32_e32 v16, v25, v29
	v_fmac_f32_e32 v34, v23, v18
	v_fma_f32 v35, v24, v28, -v16
	ds_read2_b64 v[16:19], v10 offset0:64 offset1:80
	ds_read_b128 v[20:23], v12 offset:32
	v_mul_f32_e32 v36, v24, v29
	v_fmac_f32_e32 v36, v25, v28
	v_mul_f32_e32 v24, v27, v31
	v_mul_f32_e32 v38, v26, v31
	s_waitcnt lgkmcnt(0)
	v_mul_f32_e32 v28, v21, v17
	v_fma_f32 v37, v26, v30, -v24
	v_fmac_f32_e32 v38, v27, v30
	ds_read_b128 v[24:27], v12 offset:48
	v_fma_f32 v39, v20, v16, -v28
	ds_read2_b64 v[28:31], v10 offset0:96 offset1:112
	v_mul_f32_e32 v40, v20, v17
	v_fmac_f32_e32 v40, v21, v16
	v_mul_f32_e32 v16, v23, v19
	v_fma_f32 v41, v22, v18, -v16
	v_mul_f32_e32 v42, v22, v19
	s_waitcnt lgkmcnt(0)
	v_mul_f32_e32 v16, v25, v29
	v_fmac_f32_e32 v42, v23, v18
	v_fma_f32 v43, v24, v28, -v16
	ds_read2_b64 v[16:19], v10 offset0:128 offset1:144
	ds_read_b128 v[20:23], v12 offset:64
	v_mul_f32_e32 v44, v24, v29
	v_fmac_f32_e32 v44, v25, v28
	v_mul_f32_e32 v24, v27, v31
	v_mul_f32_e32 v46, v26, v31
	s_waitcnt lgkmcnt(0)
	v_mul_f32_e32 v28, v21, v17
	v_fma_f32 v45, v26, v30, -v24
	v_fmac_f32_e32 v46, v27, v30
	ds_read_b128 v[24:27], v12 offset:80
	v_fma_f32 v47, v20, v16, -v28
	ds_read2_b64 v[28:31], v10 offset0:160 offset1:176
	v_mul_f32_e32 v48, v20, v17
	v_add_f32_e32 v14, v14, v32
	v_fmac_f32_e32 v48, v21, v16
	v_mul_f32_e32 v16, v23, v19
	v_add_f32_e32 v14, v14, v34
	v_fma_f32 v49, v22, v18, -v16
	v_mul_f32_e32 v50, v22, v19
	s_waitcnt lgkmcnt(0)
	v_mul_f32_e32 v16, v25, v29
	v_add_f32_e32 v14, v14, v36
	v_fmac_f32_e32 v50, v23, v18
	v_fma_f32 v51, v24, v28, -v16
	ds_read2_b64 v[16:19], v10 offset0:192 offset1:208
	ds_read_b128 v[20:23], v12 offset:96
	v_add_f32_e32 v14, v14, v38
	v_add_f32_e32 v14, v14, v40
	;; [unrolled: 1-line block ×6, first 2 shown]
	v_mul_f32_e32 v29, v24, v29
	v_mul_f32_e32 v24, v27, v31
	v_mul_f32_e32 v31, v26, v31
	v_add_f32_e32 v4, v4, v35
	v_add_f32_e32 v14, v14, v46
	v_fmac_f32_e32 v29, v25, v28
	v_fma_f32 v28, v26, v30, -v24
	v_fmac_f32_e32 v31, v27, v30
	s_waitcnt lgkmcnt(0)
	v_mul_f32_e32 v30, v21, v17
	v_add_f32_e32 v4, v4, v37
	v_add_f32_e32 v14, v14, v48
	v_fma_f32 v30, v20, v16, -v30
	v_mul_f32_e32 v20, v20, v17
	v_add_f32_e32 v4, v4, v39
	v_add_f32_e32 v14, v14, v50
	v_fmac_f32_e32 v20, v21, v16
	v_mul_f32_e32 v16, v23, v19
	v_mul_f32_e32 v19, v22, v19
	v_add_f32_e32 v4, v4, v41
	v_add_f32_e32 v14, v14, v29
	ds_read_b128 v[24:27], v12 offset:112
	v_fma_f32 v21, v22, v18, -v16
	v_fmac_f32_e32 v19, v23, v18
	v_add_f32_e32 v4, v4, v43
	v_add_f32_e32 v18, v14, v31
	ds_read2_b64 v[14:17], v10 offset0:224 offset1:240
	v_add_f32_e32 v4, v4, v45
	v_add_f32_e32 v4, v4, v47
	;; [unrolled: 1-line block ×7, first 2 shown]
	s_waitcnt lgkmcnt(0)
	v_mul_f32_e32 v19, v25, v15
	v_mul_f32_e32 v15, v24, v15
	v_add_f32_e32 v4, v4, v30
	v_fmac_f32_e32 v15, v25, v14
	v_add_f32_e32 v4, v4, v21
	v_fma_f32 v19, v24, v14, -v19
	v_add_f32_e32 v14, v18, v15
	v_mul_f32_e32 v15, v27, v17
	v_mul_f32_e32 v17, v26, v17
	v_addc_co_u32_e32 v6, vcc, 0, v6, vcc
	v_add_f32_e32 v4, v4, v19
	v_fma_f32 v15, v26, v16, -v15
	v_fmac_f32_e32 v17, v27, v16
	s_add_i32 s9, s9, 16
	v_add_co_u32_e32 v7, vcc, 0x80, v7
	v_add_f32_e32 v15, v4, v15
	v_add_f32_e32 v14, v14, v17
	s_cmp_ge_i32 s9, s11
	v_addc_co_u32_e32 v8, vcc, 0, v8, vcc
	s_barrier
	s_cbranch_scc1 .LBB361_12
.LBB361_3:                              ; =>This Inner Loop Header: Depth=1
	v_add_u32_e32 v4, s9, v1
	v_cmp_le_i32_e32 vcc, s11, v4
	s_or_b64 s[6:7], s[0:1], vcc
	s_and_saveexec_b64 s[14:15], s[6:7]
	s_xor_b64 s[6:7], exec, s[14:15]
; %bb.4:                                ;   in Loop: Header=BB361_3 Depth=1
	v_mov_b32_e32 v4, v3
	ds_write_b64 v11, v[3:4]
; %bb.5:                                ;   in Loop: Header=BB361_3 Depth=1
	s_andn2_saveexec_b64 s[6:7], s[6:7]
	s_cbranch_execz .LBB361_7
; %bb.6:                                ;   in Loop: Header=BB361_3 Depth=1
	global_load_dwordx2 v[16:17], v[7:8], off
	s_waitcnt vmcnt(0)
	ds_write_b64 v11, v[16:17]
.LBB361_7:                              ;   in Loop: Header=BB361_3 Depth=1
	s_or_b64 exec, exec, s[6:7]
	v_add_u32_e32 v4, s9, v0
	v_cmp_le_i32_e32 vcc, s11, v4
	s_or_b64 s[6:7], s[2:3], vcc
	s_and_saveexec_b64 s[14:15], s[6:7]
	s_xor_b64 s[6:7], exec, s[14:15]
; %bb.8:                                ;   in Loop: Header=BB361_3 Depth=1
	v_mov_b32_e32 v4, v3
	ds_write_b64 v13, v[3:4]
; %bb.9:                                ;   in Loop: Header=BB361_3 Depth=1
	s_andn2_saveexec_b64 s[6:7], s[6:7]
	s_cbranch_execz .LBB361_2
; %bb.10:                               ;   in Loop: Header=BB361_3 Depth=1
	global_load_dwordx2 v[16:17], v[5:6], off
	s_waitcnt vmcnt(0)
	ds_write_b64 v13, v[16:17]
	s_branch .LBB361_2
.LBB361_11:
	v_mov_b32_e32 v14, 0
	v_mov_b32_e32 v15, 0
.LBB361_12:
	v_cmp_le_i32_e32 vcc, v2, v9
	v_cmp_gt_i32_e64 s[0:1], s10, v9
	s_and_b64 s[0:1], vcc, s[0:1]
	s_and_saveexec_b64 s[2:3], s[0:1]
	s_cbranch_execz .LBB361_15
; %bb.13:
	s_load_dwordx2 s[0:1], s[4:5], 0x58
	s_load_dwordx2 s[2:3], s[4:5], 0x48
	s_load_dword s6, s[4:5], 0x50
	v_mul_f32_e32 v0, s13, v14
	v_fma_f32 v4, v15, s12, -v0
	s_waitcnt lgkmcnt(0)
	s_mul_i32 s1, s1, s8
	s_mul_hi_u32 s4, s0, s8
	s_mul_i32 s0, s0, s8
	s_add_i32 s1, s4, s1
	s_lshl_b64 s[0:1], s[0:1], 3
	s_add_u32 s2, s2, s0
	s_addc_u32 s3, s3, s1
	v_mad_i64_i32 v[0:1], s[0:1], s6, v9, 0
	v_ashrrev_i32_e32 v3, 31, v2
	v_mov_b32_e32 v6, s3
	v_lshlrev_b64 v[0:1], 3, v[0:1]
	v_mul_f32_e32 v5, s12, v14
	v_add_co_u32_e32 v7, vcc, s2, v0
	v_addc_co_u32_e32 v6, vcc, v6, v1, vcc
	v_lshlrev_b64 v[0:1], 3, v[2:3]
	v_fmac_f32_e32 v5, s13, v15
	v_add_co_u32_e32 v0, vcc, v7, v0
	v_addc_co_u32_e32 v1, vcc, v6, v1, vcc
	v_cmp_eq_u32_e32 vcc, v2, v9
	global_store_dwordx2 v[0:1], v[4:5], off
	s_and_b64 exec, exec, vcc
	s_cbranch_execz .LBB361_15
; %bb.14:
	v_mov_b32_e32 v2, 0
	global_store_dword v[0:1], v2, off offset:4
.LBB361_15:
	s_endpgm
	.section	.rodata,"a",@progbits
	.p2align	6, 0x0
	.amdhsa_kernel _ZL32rocblas_syrkx_herkx_small_kernelIi19rocblas_complex_numIfELi16ELb1ELb1ELc84ELc85EKS1_S1_EviT_T0_PT6_S3_lS6_S3_lS4_PT7_S3_li
		.amdhsa_group_segment_fixed_size 4096
		.amdhsa_private_segment_fixed_size 0
		.amdhsa_kernarg_size 100
		.amdhsa_user_sgpr_count 6
		.amdhsa_user_sgpr_private_segment_buffer 1
		.amdhsa_user_sgpr_dispatch_ptr 0
		.amdhsa_user_sgpr_queue_ptr 0
		.amdhsa_user_sgpr_kernarg_segment_ptr 1
		.amdhsa_user_sgpr_dispatch_id 0
		.amdhsa_user_sgpr_flat_scratch_init 0
		.amdhsa_user_sgpr_private_segment_size 0
		.amdhsa_uses_dynamic_stack 0
		.amdhsa_system_sgpr_private_segment_wavefront_offset 0
		.amdhsa_system_sgpr_workgroup_id_x 1
		.amdhsa_system_sgpr_workgroup_id_y 1
		.amdhsa_system_sgpr_workgroup_id_z 1
		.amdhsa_system_sgpr_workgroup_info 0
		.amdhsa_system_vgpr_workitem_id 1
		.amdhsa_next_free_vgpr 52
		.amdhsa_next_free_sgpr 21
		.amdhsa_reserve_vcc 1
		.amdhsa_reserve_flat_scratch 0
		.amdhsa_float_round_mode_32 0
		.amdhsa_float_round_mode_16_64 0
		.amdhsa_float_denorm_mode_32 3
		.amdhsa_float_denorm_mode_16_64 3
		.amdhsa_dx10_clamp 1
		.amdhsa_ieee_mode 1
		.amdhsa_fp16_overflow 0
		.amdhsa_exception_fp_ieee_invalid_op 0
		.amdhsa_exception_fp_denorm_src 0
		.amdhsa_exception_fp_ieee_div_zero 0
		.amdhsa_exception_fp_ieee_overflow 0
		.amdhsa_exception_fp_ieee_underflow 0
		.amdhsa_exception_fp_ieee_inexact 0
		.amdhsa_exception_int_div_zero 0
	.end_amdhsa_kernel
	.section	.text._ZL32rocblas_syrkx_herkx_small_kernelIi19rocblas_complex_numIfELi16ELb1ELb1ELc84ELc85EKS1_S1_EviT_T0_PT6_S3_lS6_S3_lS4_PT7_S3_li,"axG",@progbits,_ZL32rocblas_syrkx_herkx_small_kernelIi19rocblas_complex_numIfELi16ELb1ELb1ELc84ELc85EKS1_S1_EviT_T0_PT6_S3_lS6_S3_lS4_PT7_S3_li,comdat
.Lfunc_end361:
	.size	_ZL32rocblas_syrkx_herkx_small_kernelIi19rocblas_complex_numIfELi16ELb1ELb1ELc84ELc85EKS1_S1_EviT_T0_PT6_S3_lS6_S3_lS4_PT7_S3_li, .Lfunc_end361-_ZL32rocblas_syrkx_herkx_small_kernelIi19rocblas_complex_numIfELi16ELb1ELb1ELc84ELc85EKS1_S1_EviT_T0_PT6_S3_lS6_S3_lS4_PT7_S3_li
                                        ; -- End function
	.set _ZL32rocblas_syrkx_herkx_small_kernelIi19rocblas_complex_numIfELi16ELb1ELb1ELc84ELc85EKS1_S1_EviT_T0_PT6_S3_lS6_S3_lS4_PT7_S3_li.num_vgpr, 52
	.set _ZL32rocblas_syrkx_herkx_small_kernelIi19rocblas_complex_numIfELi16ELb1ELb1ELc84ELc85EKS1_S1_EviT_T0_PT6_S3_lS6_S3_lS4_PT7_S3_li.num_agpr, 0
	.set _ZL32rocblas_syrkx_herkx_small_kernelIi19rocblas_complex_numIfELi16ELb1ELb1ELc84ELc85EKS1_S1_EviT_T0_PT6_S3_lS6_S3_lS4_PT7_S3_li.numbered_sgpr, 21
	.set _ZL32rocblas_syrkx_herkx_small_kernelIi19rocblas_complex_numIfELi16ELb1ELb1ELc84ELc85EKS1_S1_EviT_T0_PT6_S3_lS6_S3_lS4_PT7_S3_li.num_named_barrier, 0
	.set _ZL32rocblas_syrkx_herkx_small_kernelIi19rocblas_complex_numIfELi16ELb1ELb1ELc84ELc85EKS1_S1_EviT_T0_PT6_S3_lS6_S3_lS4_PT7_S3_li.private_seg_size, 0
	.set _ZL32rocblas_syrkx_herkx_small_kernelIi19rocblas_complex_numIfELi16ELb1ELb1ELc84ELc85EKS1_S1_EviT_T0_PT6_S3_lS6_S3_lS4_PT7_S3_li.uses_vcc, 1
	.set _ZL32rocblas_syrkx_herkx_small_kernelIi19rocblas_complex_numIfELi16ELb1ELb1ELc84ELc85EKS1_S1_EviT_T0_PT6_S3_lS6_S3_lS4_PT7_S3_li.uses_flat_scratch, 0
	.set _ZL32rocblas_syrkx_herkx_small_kernelIi19rocblas_complex_numIfELi16ELb1ELb1ELc84ELc85EKS1_S1_EviT_T0_PT6_S3_lS6_S3_lS4_PT7_S3_li.has_dyn_sized_stack, 0
	.set _ZL32rocblas_syrkx_herkx_small_kernelIi19rocblas_complex_numIfELi16ELb1ELb1ELc84ELc85EKS1_S1_EviT_T0_PT6_S3_lS6_S3_lS4_PT7_S3_li.has_recursion, 0
	.set _ZL32rocblas_syrkx_herkx_small_kernelIi19rocblas_complex_numIfELi16ELb1ELb1ELc84ELc85EKS1_S1_EviT_T0_PT6_S3_lS6_S3_lS4_PT7_S3_li.has_indirect_call, 0
	.section	.AMDGPU.csdata,"",@progbits
; Kernel info:
; codeLenInByte = 1312
; TotalNumSgprs: 25
; NumVgprs: 52
; ScratchSize: 0
; MemoryBound: 1
; FloatMode: 240
; IeeeMode: 1
; LDSByteSize: 4096 bytes/workgroup (compile time only)
; SGPRBlocks: 3
; VGPRBlocks: 12
; NumSGPRsForWavesPerEU: 25
; NumVGPRsForWavesPerEU: 52
; Occupancy: 4
; WaveLimiterHint : 0
; COMPUTE_PGM_RSRC2:SCRATCH_EN: 0
; COMPUTE_PGM_RSRC2:USER_SGPR: 6
; COMPUTE_PGM_RSRC2:TRAP_HANDLER: 0
; COMPUTE_PGM_RSRC2:TGID_X_EN: 1
; COMPUTE_PGM_RSRC2:TGID_Y_EN: 1
; COMPUTE_PGM_RSRC2:TGID_Z_EN: 1
; COMPUTE_PGM_RSRC2:TIDIG_COMP_CNT: 1
	.section	.text._ZL32rocblas_syrkx_herkx_small_kernelIi19rocblas_complex_numIfELi16ELb1ELb1ELc67ELc85EKS1_S1_EviT_T0_PT6_S3_lS6_S3_lS4_PT7_S3_li,"axG",@progbits,_ZL32rocblas_syrkx_herkx_small_kernelIi19rocblas_complex_numIfELi16ELb1ELb1ELc67ELc85EKS1_S1_EviT_T0_PT6_S3_lS6_S3_lS4_PT7_S3_li,comdat
	.globl	_ZL32rocblas_syrkx_herkx_small_kernelIi19rocblas_complex_numIfELi16ELb1ELb1ELc67ELc85EKS1_S1_EviT_T0_PT6_S3_lS6_S3_lS4_PT7_S3_li ; -- Begin function _ZL32rocblas_syrkx_herkx_small_kernelIi19rocblas_complex_numIfELi16ELb1ELb1ELc67ELc85EKS1_S1_EviT_T0_PT6_S3_lS6_S3_lS4_PT7_S3_li
	.p2align	8
	.type	_ZL32rocblas_syrkx_herkx_small_kernelIi19rocblas_complex_numIfELi16ELb1ELb1ELc67ELc85EKS1_S1_EviT_T0_PT6_S3_lS6_S3_lS4_PT7_S3_li,@function
_ZL32rocblas_syrkx_herkx_small_kernelIi19rocblas_complex_numIfELi16ELb1ELb1ELc67ELc85EKS1_S1_EviT_T0_PT6_S3_lS6_S3_lS4_PT7_S3_li: ; @_ZL32rocblas_syrkx_herkx_small_kernelIi19rocblas_complex_numIfELi16ELb1ELb1ELc67ELc85EKS1_S1_EviT_T0_PT6_S3_lS6_S3_lS4_PT7_S3_li
; %bb.0:
	s_load_dwordx2 s[10:11], s[4:5], 0x0
	s_load_dwordx4 s[12:15], s[4:5], 0x8
	v_lshl_add_u32 v9, s7, 4, v1
	s_mov_b32 s9, 0
	v_lshl_add_u32 v2, s6, 4, v0
	s_waitcnt lgkmcnt(0)
	s_cmp_lt_i32 s11, 1
	v_cmp_gt_i32_e32 vcc, s10, v9
	s_cbranch_scc1 .LBB362_11
; %bb.1:
	s_load_dword s20, s[4:5], 0x18
	s_load_dwordx4 s[16:19], s[4:5], 0x20
	s_load_dword s6, s[4:5], 0x30
	s_load_dwordx2 s[2:3], s[4:5], 0x38
	v_lshlrev_b32_e32 v5, 7, v1
	v_lshlrev_b32_e32 v10, 3, v0
	v_add_u32_e32 v11, v10, v5
	s_waitcnt lgkmcnt(0)
	v_mad_i64_i32 v[3:4], s[6:7], s6, v9, 0
	s_mul_i32 s3, s3, s8
	s_mul_hi_u32 s6, s2, s8
	v_lshlrev_b64 v[3:4], 3, v[3:4]
	s_add_i32 s3, s6, s3
	s_mul_i32 s2, s2, s8
	s_lshl_b64 s[2:3], s[2:3], 3
	v_add_u32_e32 v12, 0x800, v5
	v_mov_b32_e32 v5, s3
	v_add_co_u32_e64 v6, s[2:3], s2, v3
	v_addc_co_u32_e64 v4, s[2:3], v4, v5, s[2:3]
	v_add_co_u32_e64 v5, s[2:3], v6, v10
	v_addc_co_u32_e64 v4, s[2:3], 0, v4, s[2:3]
	v_mad_i64_i32 v[7:8], s[2:3], s20, v2, 0
	v_mov_b32_e32 v6, s19
	v_add_co_u32_e64 v5, s[2:3], s18, v5
	v_addc_co_u32_e64 v6, s[2:3], v6, v4, s[2:3]
	s_mul_i32 s2, s17, s8
	s_mul_hi_u32 s3, s16, s8
	v_lshlrev_b64 v[7:8], 3, v[7:8]
	s_add_i32 s3, s3, s2
	s_mul_i32 s2, s16, s8
	s_lshl_b64 s[2:3], s[2:3], 3
	v_mov_b32_e32 v4, s3
	v_add_co_u32_e64 v7, s[2:3], s2, v7
	v_addc_co_u32_e64 v4, s[2:3], v8, v4, s[2:3]
	v_lshlrev_b32_e32 v8, 3, v1
	v_add_co_u32_e64 v7, s[2:3], v7, v8
	v_addc_co_u32_e64 v4, s[2:3], 0, v4, s[2:3]
	v_mov_b32_e32 v8, s15
	v_add_co_u32_e64 v7, s[2:3], s14, v7
	v_addc_co_u32_e64 v4, s[2:3], v8, v4, s[2:3]
	v_add_co_u32_e64 v7, s[2:3], 4, v7
	v_cmp_gt_i32_e64 s[0:1], s10, v2
	v_addc_co_u32_e64 v8, s[2:3], 0, v4, s[2:3]
	v_add_u32_e32 v13, v12, v10
	v_mov_b32_e32 v3, 0
	s_xor_b64 s[0:1], s[0:1], -1
	s_xor_b64 s[2:3], vcc, -1
	v_mov_b32_e32 v14, 0
	v_mov_b32_e32 v15, 0
	s_branch .LBB362_3
.LBB362_2:                              ;   in Loop: Header=BB362_3 Depth=1
	s_or_b64 exec, exec, s[6:7]
	s_waitcnt lgkmcnt(0)
	s_barrier
	ds_read2_b64 v[16:19], v10 offset1:16
	ds_read_b128 v[20:23], v12
	ds_read_b128 v[24:27], v12 offset:16
	ds_read2_b64 v[28:31], v10 offset0:32 offset1:48
	v_add_co_u32_e32 v5, vcc, 0x80, v5
	s_waitcnt lgkmcnt(2)
	v_mul_f32_e32 v4, v21, v17
	v_mul_f32_e32 v32, v20, v17
	v_fma_f32 v4, v20, v16, -v4
	v_fmac_f32_e32 v32, v21, v16
	v_mul_f32_e32 v16, v23, v19
	v_fma_f32 v33, v22, v18, -v16
	v_mul_f32_e32 v34, v22, v19
	s_waitcnt lgkmcnt(0)
	v_mul_f32_e32 v16, v25, v29
	v_fmac_f32_e32 v34, v23, v18
	v_fma_f32 v35, v24, v28, -v16
	ds_read2_b64 v[16:19], v10 offset0:64 offset1:80
	ds_read_b128 v[20:23], v12 offset:32
	v_mul_f32_e32 v36, v24, v29
	v_fmac_f32_e32 v36, v25, v28
	v_mul_f32_e32 v24, v27, v31
	v_mul_f32_e32 v38, v26, v31
	s_waitcnt lgkmcnt(0)
	v_mul_f32_e32 v28, v21, v17
	v_fma_f32 v37, v26, v30, -v24
	v_fmac_f32_e32 v38, v27, v30
	ds_read_b128 v[24:27], v12 offset:48
	v_fma_f32 v39, v20, v16, -v28
	ds_read2_b64 v[28:31], v10 offset0:96 offset1:112
	v_mul_f32_e32 v40, v20, v17
	v_fmac_f32_e32 v40, v21, v16
	v_mul_f32_e32 v16, v23, v19
	v_fma_f32 v41, v22, v18, -v16
	v_mul_f32_e32 v42, v22, v19
	s_waitcnt lgkmcnt(0)
	v_mul_f32_e32 v16, v25, v29
	v_fmac_f32_e32 v42, v23, v18
	v_fma_f32 v43, v24, v28, -v16
	ds_read2_b64 v[16:19], v10 offset0:128 offset1:144
	ds_read_b128 v[20:23], v12 offset:64
	v_mul_f32_e32 v44, v24, v29
	v_fmac_f32_e32 v44, v25, v28
	v_mul_f32_e32 v24, v27, v31
	v_mul_f32_e32 v46, v26, v31
	s_waitcnt lgkmcnt(0)
	v_mul_f32_e32 v28, v21, v17
	v_fma_f32 v45, v26, v30, -v24
	v_fmac_f32_e32 v46, v27, v30
	ds_read_b128 v[24:27], v12 offset:80
	v_fma_f32 v47, v20, v16, -v28
	ds_read2_b64 v[28:31], v10 offset0:160 offset1:176
	v_mul_f32_e32 v48, v20, v17
	v_add_f32_e32 v14, v14, v32
	v_fmac_f32_e32 v48, v21, v16
	v_mul_f32_e32 v16, v23, v19
	v_add_f32_e32 v14, v14, v34
	v_fma_f32 v49, v22, v18, -v16
	v_mul_f32_e32 v50, v22, v19
	s_waitcnt lgkmcnt(0)
	v_mul_f32_e32 v16, v25, v29
	v_add_f32_e32 v14, v14, v36
	v_fmac_f32_e32 v50, v23, v18
	v_fma_f32 v51, v24, v28, -v16
	ds_read2_b64 v[16:19], v10 offset0:192 offset1:208
	ds_read_b128 v[20:23], v12 offset:96
	v_add_f32_e32 v14, v14, v38
	v_add_f32_e32 v14, v14, v40
	;; [unrolled: 1-line block ×6, first 2 shown]
	v_mul_f32_e32 v29, v24, v29
	v_mul_f32_e32 v24, v27, v31
	;; [unrolled: 1-line block ×3, first 2 shown]
	v_add_f32_e32 v4, v4, v35
	v_add_f32_e32 v14, v14, v46
	v_fmac_f32_e32 v29, v25, v28
	v_fma_f32 v28, v26, v30, -v24
	v_fmac_f32_e32 v31, v27, v30
	s_waitcnt lgkmcnt(0)
	v_mul_f32_e32 v30, v21, v17
	v_add_f32_e32 v4, v4, v37
	v_add_f32_e32 v14, v14, v48
	v_fma_f32 v30, v20, v16, -v30
	v_mul_f32_e32 v20, v20, v17
	v_add_f32_e32 v4, v4, v39
	v_add_f32_e32 v14, v14, v50
	v_fmac_f32_e32 v20, v21, v16
	v_mul_f32_e32 v16, v23, v19
	v_mul_f32_e32 v19, v22, v19
	v_add_f32_e32 v4, v4, v41
	v_add_f32_e32 v14, v14, v29
	ds_read_b128 v[24:27], v12 offset:112
	v_fma_f32 v21, v22, v18, -v16
	v_fmac_f32_e32 v19, v23, v18
	v_add_f32_e32 v4, v4, v43
	v_add_f32_e32 v18, v14, v31
	ds_read2_b64 v[14:17], v10 offset0:224 offset1:240
	v_add_f32_e32 v4, v4, v45
	v_add_f32_e32 v4, v4, v47
	;; [unrolled: 1-line block ×7, first 2 shown]
	s_waitcnt lgkmcnt(0)
	v_mul_f32_e32 v19, v25, v15
	v_mul_f32_e32 v15, v24, v15
	v_add_f32_e32 v4, v4, v30
	v_fmac_f32_e32 v15, v25, v14
	v_add_f32_e32 v4, v4, v21
	v_fma_f32 v19, v24, v14, -v19
	v_add_f32_e32 v14, v18, v15
	v_mul_f32_e32 v15, v27, v17
	v_mul_f32_e32 v17, v26, v17
	v_addc_co_u32_e32 v6, vcc, 0, v6, vcc
	v_add_f32_e32 v4, v4, v19
	v_fma_f32 v15, v26, v16, -v15
	v_fmac_f32_e32 v17, v27, v16
	s_add_i32 s9, s9, 16
	v_add_co_u32_e32 v7, vcc, 0x80, v7
	v_add_f32_e32 v15, v4, v15
	v_add_f32_e32 v14, v14, v17
	s_cmp_ge_i32 s9, s11
	v_addc_co_u32_e32 v8, vcc, 0, v8, vcc
	s_barrier
	s_cbranch_scc1 .LBB362_12
.LBB362_3:                              ; =>This Inner Loop Header: Depth=1
	v_add_u32_e32 v4, s9, v1
	v_cmp_le_i32_e32 vcc, s11, v4
	s_or_b64 s[6:7], s[0:1], vcc
	s_and_saveexec_b64 s[14:15], s[6:7]
	s_xor_b64 s[6:7], exec, s[14:15]
; %bb.4:                                ;   in Loop: Header=BB362_3 Depth=1
	ds_write_b32 v11, v3
; %bb.5:                                ;   in Loop: Header=BB362_3 Depth=1
	s_or_saveexec_b64 s[6:7], s[6:7]
	v_mov_b32_e32 v4, 0
	s_xor_b64 exec, exec, s[6:7]
	s_cbranch_execz .LBB362_7
; %bb.6:                                ;   in Loop: Header=BB362_3 Depth=1
	global_load_dwordx2 v[16:17], v[7:8], off offset:-4
	s_waitcnt vmcnt(0)
	v_xor_b32_e32 v4, 0x80000000, v17
	ds_write_b32 v11, v16
.LBB362_7:                              ;   in Loop: Header=BB362_3 Depth=1
	s_or_b64 exec, exec, s[6:7]
	ds_write_b32 v11, v4 offset:4
	v_add_u32_e32 v4, s9, v0
	v_cmp_le_i32_e32 vcc, s11, v4
	s_or_b64 s[6:7], s[2:3], vcc
	s_and_saveexec_b64 s[14:15], s[6:7]
	s_xor_b64 s[6:7], exec, s[14:15]
; %bb.8:                                ;   in Loop: Header=BB362_3 Depth=1
	v_mov_b32_e32 v4, v3
	ds_write_b64 v13, v[3:4]
; %bb.9:                                ;   in Loop: Header=BB362_3 Depth=1
	s_andn2_saveexec_b64 s[6:7], s[6:7]
	s_cbranch_execz .LBB362_2
; %bb.10:                               ;   in Loop: Header=BB362_3 Depth=1
	global_load_dwordx2 v[16:17], v[5:6], off
	s_waitcnt vmcnt(0)
	ds_write_b64 v13, v[16:17]
	s_branch .LBB362_2
.LBB362_11:
	v_mov_b32_e32 v14, 0
	v_mov_b32_e32 v15, 0
.LBB362_12:
	v_cmp_le_i32_e32 vcc, v2, v9
	v_cmp_gt_i32_e64 s[0:1], s10, v9
	s_and_b64 s[0:1], vcc, s[0:1]
	s_and_saveexec_b64 s[2:3], s[0:1]
	s_cbranch_execz .LBB362_15
; %bb.13:
	s_load_dwordx2 s[0:1], s[4:5], 0x58
	s_load_dwordx2 s[2:3], s[4:5], 0x48
	s_load_dword s6, s[4:5], 0x50
	v_mul_f32_e32 v0, s13, v14
	v_fma_f32 v4, v15, s12, -v0
	s_waitcnt lgkmcnt(0)
	s_mul_i32 s1, s1, s8
	s_mul_hi_u32 s4, s0, s8
	s_mul_i32 s0, s0, s8
	s_add_i32 s1, s4, s1
	s_lshl_b64 s[0:1], s[0:1], 3
	s_add_u32 s2, s2, s0
	s_addc_u32 s3, s3, s1
	v_mad_i64_i32 v[0:1], s[0:1], s6, v9, 0
	v_ashrrev_i32_e32 v3, 31, v2
	v_mov_b32_e32 v6, s3
	v_lshlrev_b64 v[0:1], 3, v[0:1]
	v_mul_f32_e32 v5, s12, v14
	v_add_co_u32_e32 v7, vcc, s2, v0
	v_addc_co_u32_e32 v6, vcc, v6, v1, vcc
	v_lshlrev_b64 v[0:1], 3, v[2:3]
	v_fmac_f32_e32 v5, s13, v15
	v_add_co_u32_e32 v0, vcc, v7, v0
	v_addc_co_u32_e32 v1, vcc, v6, v1, vcc
	v_cmp_eq_u32_e32 vcc, v2, v9
	global_store_dwordx2 v[0:1], v[4:5], off
	s_and_b64 exec, exec, vcc
	s_cbranch_execz .LBB362_15
; %bb.14:
	v_mov_b32_e32 v2, 0
	global_store_dword v[0:1], v2, off offset:4
.LBB362_15:
	s_endpgm
	.section	.rodata,"a",@progbits
	.p2align	6, 0x0
	.amdhsa_kernel _ZL32rocblas_syrkx_herkx_small_kernelIi19rocblas_complex_numIfELi16ELb1ELb1ELc67ELc85EKS1_S1_EviT_T0_PT6_S3_lS6_S3_lS4_PT7_S3_li
		.amdhsa_group_segment_fixed_size 4096
		.amdhsa_private_segment_fixed_size 0
		.amdhsa_kernarg_size 100
		.amdhsa_user_sgpr_count 6
		.amdhsa_user_sgpr_private_segment_buffer 1
		.amdhsa_user_sgpr_dispatch_ptr 0
		.amdhsa_user_sgpr_queue_ptr 0
		.amdhsa_user_sgpr_kernarg_segment_ptr 1
		.amdhsa_user_sgpr_dispatch_id 0
		.amdhsa_user_sgpr_flat_scratch_init 0
		.amdhsa_user_sgpr_private_segment_size 0
		.amdhsa_uses_dynamic_stack 0
		.amdhsa_system_sgpr_private_segment_wavefront_offset 0
		.amdhsa_system_sgpr_workgroup_id_x 1
		.amdhsa_system_sgpr_workgroup_id_y 1
		.amdhsa_system_sgpr_workgroup_id_z 1
		.amdhsa_system_sgpr_workgroup_info 0
		.amdhsa_system_vgpr_workitem_id 1
		.amdhsa_next_free_vgpr 52
		.amdhsa_next_free_sgpr 21
		.amdhsa_reserve_vcc 1
		.amdhsa_reserve_flat_scratch 0
		.amdhsa_float_round_mode_32 0
		.amdhsa_float_round_mode_16_64 0
		.amdhsa_float_denorm_mode_32 3
		.amdhsa_float_denorm_mode_16_64 3
		.amdhsa_dx10_clamp 1
		.amdhsa_ieee_mode 1
		.amdhsa_fp16_overflow 0
		.amdhsa_exception_fp_ieee_invalid_op 0
		.amdhsa_exception_fp_denorm_src 0
		.amdhsa_exception_fp_ieee_div_zero 0
		.amdhsa_exception_fp_ieee_overflow 0
		.amdhsa_exception_fp_ieee_underflow 0
		.amdhsa_exception_fp_ieee_inexact 0
		.amdhsa_exception_int_div_zero 0
	.end_amdhsa_kernel
	.section	.text._ZL32rocblas_syrkx_herkx_small_kernelIi19rocblas_complex_numIfELi16ELb1ELb1ELc67ELc85EKS1_S1_EviT_T0_PT6_S3_lS6_S3_lS4_PT7_S3_li,"axG",@progbits,_ZL32rocblas_syrkx_herkx_small_kernelIi19rocblas_complex_numIfELi16ELb1ELb1ELc67ELc85EKS1_S1_EviT_T0_PT6_S3_lS6_S3_lS4_PT7_S3_li,comdat
.Lfunc_end362:
	.size	_ZL32rocblas_syrkx_herkx_small_kernelIi19rocblas_complex_numIfELi16ELb1ELb1ELc67ELc85EKS1_S1_EviT_T0_PT6_S3_lS6_S3_lS4_PT7_S3_li, .Lfunc_end362-_ZL32rocblas_syrkx_herkx_small_kernelIi19rocblas_complex_numIfELi16ELb1ELb1ELc67ELc85EKS1_S1_EviT_T0_PT6_S3_lS6_S3_lS4_PT7_S3_li
                                        ; -- End function
	.set _ZL32rocblas_syrkx_herkx_small_kernelIi19rocblas_complex_numIfELi16ELb1ELb1ELc67ELc85EKS1_S1_EviT_T0_PT6_S3_lS6_S3_lS4_PT7_S3_li.num_vgpr, 52
	.set _ZL32rocblas_syrkx_herkx_small_kernelIi19rocblas_complex_numIfELi16ELb1ELb1ELc67ELc85EKS1_S1_EviT_T0_PT6_S3_lS6_S3_lS4_PT7_S3_li.num_agpr, 0
	.set _ZL32rocblas_syrkx_herkx_small_kernelIi19rocblas_complex_numIfELi16ELb1ELb1ELc67ELc85EKS1_S1_EviT_T0_PT6_S3_lS6_S3_lS4_PT7_S3_li.numbered_sgpr, 21
	.set _ZL32rocblas_syrkx_herkx_small_kernelIi19rocblas_complex_numIfELi16ELb1ELb1ELc67ELc85EKS1_S1_EviT_T0_PT6_S3_lS6_S3_lS4_PT7_S3_li.num_named_barrier, 0
	.set _ZL32rocblas_syrkx_herkx_small_kernelIi19rocblas_complex_numIfELi16ELb1ELb1ELc67ELc85EKS1_S1_EviT_T0_PT6_S3_lS6_S3_lS4_PT7_S3_li.private_seg_size, 0
	.set _ZL32rocblas_syrkx_herkx_small_kernelIi19rocblas_complex_numIfELi16ELb1ELb1ELc67ELc85EKS1_S1_EviT_T0_PT6_S3_lS6_S3_lS4_PT7_S3_li.uses_vcc, 1
	.set _ZL32rocblas_syrkx_herkx_small_kernelIi19rocblas_complex_numIfELi16ELb1ELb1ELc67ELc85EKS1_S1_EviT_T0_PT6_S3_lS6_S3_lS4_PT7_S3_li.uses_flat_scratch, 0
	.set _ZL32rocblas_syrkx_herkx_small_kernelIi19rocblas_complex_numIfELi16ELb1ELb1ELc67ELc85EKS1_S1_EviT_T0_PT6_S3_lS6_S3_lS4_PT7_S3_li.has_dyn_sized_stack, 0
	.set _ZL32rocblas_syrkx_herkx_small_kernelIi19rocblas_complex_numIfELi16ELb1ELb1ELc67ELc85EKS1_S1_EviT_T0_PT6_S3_lS6_S3_lS4_PT7_S3_li.has_recursion, 0
	.set _ZL32rocblas_syrkx_herkx_small_kernelIi19rocblas_complex_numIfELi16ELb1ELb1ELc67ELc85EKS1_S1_EviT_T0_PT6_S3_lS6_S3_lS4_PT7_S3_li.has_indirect_call, 0
	.section	.AMDGPU.csdata,"",@progbits
; Kernel info:
; codeLenInByte = 1348
; TotalNumSgprs: 25
; NumVgprs: 52
; ScratchSize: 0
; MemoryBound: 1
; FloatMode: 240
; IeeeMode: 1
; LDSByteSize: 4096 bytes/workgroup (compile time only)
; SGPRBlocks: 3
; VGPRBlocks: 12
; NumSGPRsForWavesPerEU: 25
; NumVGPRsForWavesPerEU: 52
; Occupancy: 4
; WaveLimiterHint : 0
; COMPUTE_PGM_RSRC2:SCRATCH_EN: 0
; COMPUTE_PGM_RSRC2:USER_SGPR: 6
; COMPUTE_PGM_RSRC2:TRAP_HANDLER: 0
; COMPUTE_PGM_RSRC2:TGID_X_EN: 1
; COMPUTE_PGM_RSRC2:TGID_Y_EN: 1
; COMPUTE_PGM_RSRC2:TGID_Z_EN: 1
; COMPUTE_PGM_RSRC2:TIDIG_COMP_CNT: 1
	.section	.text._ZL32rocblas_syrkx_herkx_small_kernelIi19rocblas_complex_numIfELi16ELb1ELb1ELc78ELc85EKS1_S1_EviT_T0_PT6_S3_lS6_S3_lS4_PT7_S3_li,"axG",@progbits,_ZL32rocblas_syrkx_herkx_small_kernelIi19rocblas_complex_numIfELi16ELb1ELb1ELc78ELc85EKS1_S1_EviT_T0_PT6_S3_lS6_S3_lS4_PT7_S3_li,comdat
	.globl	_ZL32rocblas_syrkx_herkx_small_kernelIi19rocblas_complex_numIfELi16ELb1ELb1ELc78ELc85EKS1_S1_EviT_T0_PT6_S3_lS6_S3_lS4_PT7_S3_li ; -- Begin function _ZL32rocblas_syrkx_herkx_small_kernelIi19rocblas_complex_numIfELi16ELb1ELb1ELc78ELc85EKS1_S1_EviT_T0_PT6_S3_lS6_S3_lS4_PT7_S3_li
	.p2align	8
	.type	_ZL32rocblas_syrkx_herkx_small_kernelIi19rocblas_complex_numIfELi16ELb1ELb1ELc78ELc85EKS1_S1_EviT_T0_PT6_S3_lS6_S3_lS4_PT7_S3_li,@function
_ZL32rocblas_syrkx_herkx_small_kernelIi19rocblas_complex_numIfELi16ELb1ELb1ELc78ELc85EKS1_S1_EviT_T0_PT6_S3_lS6_S3_lS4_PT7_S3_li: ; @_ZL32rocblas_syrkx_herkx_small_kernelIi19rocblas_complex_numIfELi16ELb1ELb1ELc78ELc85EKS1_S1_EviT_T0_PT6_S3_lS6_S3_lS4_PT7_S3_li
; %bb.0:
	s_load_dwordx2 s[10:11], s[4:5], 0x0
	s_load_dwordx4 s[12:15], s[4:5], 0x8
	v_lshl_add_u32 v2, s6, 4, v0
	v_lshl_add_u32 v4, s7, 4, v1
	s_mov_b32 s9, 0
	s_waitcnt lgkmcnt(0)
	s_cmp_lt_i32 s11, 1
	v_ashrrev_i32_e32 v3, 31, v2
	v_cmp_gt_i32_e32 vcc, s10, v4
	s_cbranch_scc1 .LBB363_11
; %bb.1:
	s_load_dword s20, s[4:5], 0x18
	s_load_dword s6, s[4:5], 0x30
	s_load_dwordx2 s[2:3], s[4:5], 0x38
	s_load_dwordx4 s[16:19], s[4:5], 0x20
	v_lshlrev_b32_e32 v5, 7, v1
	v_lshlrev_b32_e32 v11, 3, v0
	s_waitcnt lgkmcnt(0)
	v_mad_i64_i32 v[6:7], s[22:23], s6, v0, 0
	s_mul_i32 s3, s3, s8
	s_mul_hi_u32 s24, s2, s8
	s_add_i32 s3, s24, s3
	s_mul_i32 s2, s2, s8
	v_lshlrev_b64 v[6:7], 3, v[6:7]
	v_add_u32_e32 v12, v11, v5
	v_add_u32_e32 v13, 0x800, v5
	v_ashrrev_i32_e32 v5, 31, v4
	s_lshl_b64 s[2:3], s[2:3], 3
	v_mov_b32_e32 v8, s3
	v_add_co_u32_e64 v9, s[2:3], s2, v6
	v_lshlrev_b64 v[5:6], 3, v[4:5]
	v_addc_co_u32_e64 v7, s[2:3], v8, v7, s[2:3]
	v_add_co_u32_e64 v5, s[2:3], v9, v5
	v_addc_co_u32_e64 v6, s[2:3], v7, v6, s[2:3]
	v_mov_b32_e32 v7, s19
	v_add_co_u32_e64 v5, s[2:3], s18, v5
	v_addc_co_u32_e64 v6, s[2:3], v7, v6, s[2:3]
	v_add_co_u32_e64 v5, s[2:3], 4, v5
	v_addc_co_u32_e64 v6, s[2:3], 0, v6, s[2:3]
	v_mad_i64_i32 v[7:8], s[2:3], s20, v1, 0
	s_mul_i32 s17, s17, s8
	s_mul_hi_u32 s18, s16, s8
	s_add_i32 s3, s18, s17
	s_mul_i32 s2, s16, s8
	v_lshlrev_b64 v[7:8], 3, v[7:8]
	s_lshl_b64 s[2:3], s[2:3], 3
	v_mov_b32_e32 v9, s3
	v_add_co_u32_e64 v10, s[2:3], s2, v7
	v_addc_co_u32_e64 v9, s[2:3], v9, v8, s[2:3]
	v_lshlrev_b64 v[7:8], 3, v[2:3]
	s_ashr_i32 s21, s20, 31
	v_add_co_u32_e64 v7, s[2:3], v10, v7
	v_addc_co_u32_e64 v8, s[2:3], v9, v8, s[2:3]
	v_mov_b32_e32 v9, s15
	v_add_co_u32_e64 v7, s[2:3], s14, v7
	s_ashr_i32 s7, s6, 31
	v_addc_co_u32_e64 v8, s[2:3], v9, v8, s[2:3]
	v_cmp_gt_i32_e64 s[0:1], s10, v2
	s_lshl_b64 s[6:7], s[6:7], 7
	s_lshl_b64 s[2:3], s[20:21], 7
	v_add_u32_e32 v14, v13, v11
	v_mov_b32_e32 v9, 0
	s_xor_b64 s[0:1], s[0:1], -1
	s_xor_b64 s[14:15], vcc, -1
	v_mov_b32_e32 v17, s7
	v_mov_b32_e32 v18, s3
	;; [unrolled: 1-line block ×4, first 2 shown]
	s_branch .LBB363_3
.LBB363_2:                              ;   in Loop: Header=BB363_3 Depth=1
	s_or_b64 exec, exec, s[16:17]
	ds_write_b32 v14, v10 offset:4
	s_waitcnt lgkmcnt(0)
	s_barrier
	ds_read2_b64 v[19:22], v11 offset1:16
	ds_read_b128 v[23:26], v13
	ds_read_b128 v[27:30], v13 offset:16
	ds_read2_b64 v[31:34], v11 offset0:32 offset1:48
	v_add_co_u32_e32 v5, vcc, s6, v5
	s_waitcnt lgkmcnt(2)
	v_mul_f32_e32 v10, v24, v20
	v_mul_f32_e32 v35, v23, v20
	v_fma_f32 v10, v23, v19, -v10
	v_fmac_f32_e32 v35, v24, v19
	v_mul_f32_e32 v19, v26, v22
	v_fma_f32 v36, v25, v21, -v19
	v_mul_f32_e32 v37, v25, v22
	s_waitcnt lgkmcnt(0)
	v_mul_f32_e32 v19, v28, v32
	v_fmac_f32_e32 v37, v26, v21
	v_fma_f32 v38, v27, v31, -v19
	ds_read2_b64 v[19:22], v11 offset0:64 offset1:80
	ds_read_b128 v[23:26], v13 offset:32
	v_mul_f32_e32 v39, v27, v32
	v_fmac_f32_e32 v39, v28, v31
	v_mul_f32_e32 v27, v30, v34
	v_mul_f32_e32 v41, v29, v34
	s_waitcnt lgkmcnt(0)
	v_mul_f32_e32 v31, v24, v20
	v_fma_f32 v40, v29, v33, -v27
	v_fmac_f32_e32 v41, v30, v33
	ds_read_b128 v[27:30], v13 offset:48
	v_fma_f32 v42, v23, v19, -v31
	ds_read2_b64 v[31:34], v11 offset0:96 offset1:112
	v_mul_f32_e32 v43, v23, v20
	v_fmac_f32_e32 v43, v24, v19
	v_mul_f32_e32 v19, v26, v22
	v_fma_f32 v44, v25, v21, -v19
	v_mul_f32_e32 v45, v25, v22
	s_waitcnt lgkmcnt(0)
	v_mul_f32_e32 v19, v28, v32
	v_fmac_f32_e32 v45, v26, v21
	v_fma_f32 v46, v27, v31, -v19
	ds_read2_b64 v[19:22], v11 offset0:128 offset1:144
	ds_read_b128 v[23:26], v13 offset:64
	v_mul_f32_e32 v47, v27, v32
	v_fmac_f32_e32 v47, v28, v31
	v_mul_f32_e32 v27, v30, v34
	v_mul_f32_e32 v49, v29, v34
	s_waitcnt lgkmcnt(0)
	v_mul_f32_e32 v31, v24, v20
	v_fma_f32 v48, v29, v33, -v27
	v_fmac_f32_e32 v49, v30, v33
	ds_read_b128 v[27:30], v13 offset:80
	v_fma_f32 v50, v23, v19, -v31
	ds_read2_b64 v[31:34], v11 offset0:160 offset1:176
	v_mul_f32_e32 v51, v23, v20
	v_fmac_f32_e32 v51, v24, v19
	v_mul_f32_e32 v19, v26, v22
	v_fma_f32 v52, v25, v21, -v19
	v_mul_f32_e32 v53, v25, v22
	s_waitcnt lgkmcnt(0)
	v_mul_f32_e32 v19, v28, v32
	v_add_f32_e32 v10, v16, v10
	v_add_f32_e32 v15, v15, v35
	v_fmac_f32_e32 v53, v26, v21
	v_fma_f32 v54, v27, v31, -v19
	ds_read2_b64 v[19:22], v11 offset0:192 offset1:208
	ds_read_b128 v[23:26], v13 offset:96
	v_add_f32_e32 v10, v10, v36
	v_add_f32_e32 v15, v15, v37
	;; [unrolled: 1-line block ×8, first 2 shown]
	v_mul_f32_e32 v55, v27, v32
	v_add_f32_e32 v10, v10, v44
	v_add_f32_e32 v15, v15, v45
	v_fmac_f32_e32 v55, v28, v31
	v_mul_f32_e32 v27, v30, v34
	v_mul_f32_e32 v57, v29, v34
	s_waitcnt lgkmcnt(0)
	v_mul_f32_e32 v31, v24, v20
	v_add_f32_e32 v10, v10, v46
	v_add_f32_e32 v15, v15, v47
	v_fma_f32 v56, v29, v33, -v27
	v_fmac_f32_e32 v57, v30, v33
	ds_read_b128 v[27:30], v13 offset:112
	v_fma_f32 v58, v23, v19, -v31
	ds_read2_b64 v[31:34], v11 offset0:224 offset1:240
	v_add_f32_e32 v10, v10, v48
	v_add_f32_e32 v15, v15, v49
	;; [unrolled: 1-line block ×6, first 2 shown]
	v_mul_f32_e32 v20, v23, v20
	v_add_f32_e32 v10, v10, v54
	v_add_f32_e32 v15, v15, v55
	v_fmac_f32_e32 v20, v24, v19
	v_mul_f32_e32 v19, v26, v22
	v_mul_f32_e32 v22, v25, v22
	v_add_f32_e32 v10, v10, v56
	v_add_f32_e32 v15, v15, v57
	v_fma_f32 v19, v25, v21, -v19
	v_fmac_f32_e32 v22, v26, v21
	s_waitcnt lgkmcnt(0)
	v_mul_f32_e32 v21, v28, v32
	v_mul_f32_e32 v23, v27, v32
	v_add_f32_e32 v10, v10, v58
	v_add_f32_e32 v15, v15, v20
	v_fma_f32 v21, v27, v31, -v21
	v_fmac_f32_e32 v23, v28, v31
	v_mul_f32_e32 v24, v30, v34
	v_mul_f32_e32 v25, v29, v34
	v_add_f32_e32 v10, v10, v19
	v_add_f32_e32 v15, v15, v22
	v_addc_co_u32_e32 v6, vcc, v6, v17, vcc
	v_fma_f32 v24, v29, v33, -v24
	v_fmac_f32_e32 v25, v30, v33
	v_add_f32_e32 v10, v10, v21
	v_add_f32_e32 v15, v15, v23
	s_add_i32 s9, s9, 16
	v_add_co_u32_e32 v7, vcc, s2, v7
	v_add_f32_e32 v16, v10, v24
	v_add_f32_e32 v15, v15, v25
	s_cmp_ge_i32 s9, s11
	v_addc_co_u32_e32 v8, vcc, v8, v18, vcc
	s_barrier
	s_cbranch_scc1 .LBB363_12
.LBB363_3:                              ; =>This Inner Loop Header: Depth=1
	v_add_u32_e32 v10, s9, v1
	v_cmp_le_i32_e32 vcc, s11, v10
	s_or_b64 s[16:17], s[0:1], vcc
	s_and_saveexec_b64 s[18:19], s[16:17]
	s_xor_b64 s[16:17], exec, s[18:19]
; %bb.4:                                ;   in Loop: Header=BB363_3 Depth=1
	v_mov_b32_e32 v10, v9
	ds_write_b64 v12, v[9:10]
; %bb.5:                                ;   in Loop: Header=BB363_3 Depth=1
	s_andn2_saveexec_b64 s[16:17], s[16:17]
	s_cbranch_execz .LBB363_7
; %bb.6:                                ;   in Loop: Header=BB363_3 Depth=1
	global_load_dwordx2 v[19:20], v[7:8], off
	s_waitcnt vmcnt(0)
	ds_write_b64 v12, v[19:20]
.LBB363_7:                              ;   in Loop: Header=BB363_3 Depth=1
	s_or_b64 exec, exec, s[16:17]
	v_add_u32_e32 v10, s9, v0
	v_cmp_le_i32_e32 vcc, s11, v10
	s_or_b64 s[16:17], s[14:15], vcc
	s_and_saveexec_b64 s[18:19], s[16:17]
	s_xor_b64 s[16:17], exec, s[18:19]
; %bb.8:                                ;   in Loop: Header=BB363_3 Depth=1
	ds_write_b32 v14, v9
; %bb.9:                                ;   in Loop: Header=BB363_3 Depth=1
	s_or_saveexec_b64 s[16:17], s[16:17]
	v_mov_b32_e32 v10, 0
	s_xor_b64 exec, exec, s[16:17]
	s_cbranch_execz .LBB363_2
; %bb.10:                               ;   in Loop: Header=BB363_3 Depth=1
	global_load_dwordx2 v[19:20], v[5:6], off offset:-4
	s_waitcnt vmcnt(0)
	v_xor_b32_e32 v10, 0x80000000, v20
	ds_write_b32 v14, v19
	s_branch .LBB363_2
.LBB363_11:
	v_mov_b32_e32 v15, 0
	v_mov_b32_e32 v16, 0
.LBB363_12:
	v_cmp_le_i32_e32 vcc, v2, v4
	v_cmp_gt_i32_e64 s[0:1], s10, v4
	s_and_b64 s[0:1], vcc, s[0:1]
	s_and_saveexec_b64 s[2:3], s[0:1]
	s_cbranch_execz .LBB363_15
; %bb.13:
	s_load_dwordx2 s[0:1], s[4:5], 0x58
	s_load_dwordx2 s[2:3], s[4:5], 0x48
	s_load_dword s6, s[4:5], 0x50
	v_mul_f32_e32 v5, s13, v15
	v_mul_f32_e32 v6, s12, v15
	s_waitcnt lgkmcnt(0)
	s_mul_i32 s1, s1, s8
	s_mul_hi_u32 s4, s0, s8
	s_mul_i32 s0, s0, s8
	s_add_i32 s1, s4, s1
	s_lshl_b64 s[0:1], s[0:1], 3
	s_add_u32 s2, s2, s0
	s_addc_u32 s3, s3, s1
	v_mad_i64_i32 v[0:1], s[0:1], s6, v4, 0
	v_mov_b32_e32 v7, s3
	v_fma_f32 v5, v16, s12, -v5
	v_lshlrev_b64 v[0:1], 3, v[0:1]
	v_fmac_f32_e32 v6, s13, v16
	v_add_co_u32_e32 v8, vcc, s2, v0
	v_addc_co_u32_e32 v7, vcc, v7, v1, vcc
	v_lshlrev_b64 v[0:1], 3, v[2:3]
	v_add_co_u32_e32 v0, vcc, v8, v0
	v_addc_co_u32_e32 v1, vcc, v7, v1, vcc
	v_cmp_eq_u32_e32 vcc, v2, v4
	global_store_dwordx2 v[0:1], v[5:6], off
	s_and_b64 exec, exec, vcc
	s_cbranch_execz .LBB363_15
; %bb.14:
	v_mov_b32_e32 v2, 0
	global_store_dword v[0:1], v2, off offset:4
.LBB363_15:
	s_endpgm
	.section	.rodata,"a",@progbits
	.p2align	6, 0x0
	.amdhsa_kernel _ZL32rocblas_syrkx_herkx_small_kernelIi19rocblas_complex_numIfELi16ELb1ELb1ELc78ELc85EKS1_S1_EviT_T0_PT6_S3_lS6_S3_lS4_PT7_S3_li
		.amdhsa_group_segment_fixed_size 4096
		.amdhsa_private_segment_fixed_size 0
		.amdhsa_kernarg_size 100
		.amdhsa_user_sgpr_count 6
		.amdhsa_user_sgpr_private_segment_buffer 1
		.amdhsa_user_sgpr_dispatch_ptr 0
		.amdhsa_user_sgpr_queue_ptr 0
		.amdhsa_user_sgpr_kernarg_segment_ptr 1
		.amdhsa_user_sgpr_dispatch_id 0
		.amdhsa_user_sgpr_flat_scratch_init 0
		.amdhsa_user_sgpr_private_segment_size 0
		.amdhsa_uses_dynamic_stack 0
		.amdhsa_system_sgpr_private_segment_wavefront_offset 0
		.amdhsa_system_sgpr_workgroup_id_x 1
		.amdhsa_system_sgpr_workgroup_id_y 1
		.amdhsa_system_sgpr_workgroup_id_z 1
		.amdhsa_system_sgpr_workgroup_info 0
		.amdhsa_system_vgpr_workitem_id 1
		.amdhsa_next_free_vgpr 59
		.amdhsa_next_free_sgpr 25
		.amdhsa_reserve_vcc 1
		.amdhsa_reserve_flat_scratch 0
		.amdhsa_float_round_mode_32 0
		.amdhsa_float_round_mode_16_64 0
		.amdhsa_float_denorm_mode_32 3
		.amdhsa_float_denorm_mode_16_64 3
		.amdhsa_dx10_clamp 1
		.amdhsa_ieee_mode 1
		.amdhsa_fp16_overflow 0
		.amdhsa_exception_fp_ieee_invalid_op 0
		.amdhsa_exception_fp_denorm_src 0
		.amdhsa_exception_fp_ieee_div_zero 0
		.amdhsa_exception_fp_ieee_overflow 0
		.amdhsa_exception_fp_ieee_underflow 0
		.amdhsa_exception_fp_ieee_inexact 0
		.amdhsa_exception_int_div_zero 0
	.end_amdhsa_kernel
	.section	.text._ZL32rocblas_syrkx_herkx_small_kernelIi19rocblas_complex_numIfELi16ELb1ELb1ELc78ELc85EKS1_S1_EviT_T0_PT6_S3_lS6_S3_lS4_PT7_S3_li,"axG",@progbits,_ZL32rocblas_syrkx_herkx_small_kernelIi19rocblas_complex_numIfELi16ELb1ELb1ELc78ELc85EKS1_S1_EviT_T0_PT6_S3_lS6_S3_lS4_PT7_S3_li,comdat
.Lfunc_end363:
	.size	_ZL32rocblas_syrkx_herkx_small_kernelIi19rocblas_complex_numIfELi16ELb1ELb1ELc78ELc85EKS1_S1_EviT_T0_PT6_S3_lS6_S3_lS4_PT7_S3_li, .Lfunc_end363-_ZL32rocblas_syrkx_herkx_small_kernelIi19rocblas_complex_numIfELi16ELb1ELb1ELc78ELc85EKS1_S1_EviT_T0_PT6_S3_lS6_S3_lS4_PT7_S3_li
                                        ; -- End function
	.set _ZL32rocblas_syrkx_herkx_small_kernelIi19rocblas_complex_numIfELi16ELb1ELb1ELc78ELc85EKS1_S1_EviT_T0_PT6_S3_lS6_S3_lS4_PT7_S3_li.num_vgpr, 59
	.set _ZL32rocblas_syrkx_herkx_small_kernelIi19rocblas_complex_numIfELi16ELb1ELb1ELc78ELc85EKS1_S1_EviT_T0_PT6_S3_lS6_S3_lS4_PT7_S3_li.num_agpr, 0
	.set _ZL32rocblas_syrkx_herkx_small_kernelIi19rocblas_complex_numIfELi16ELb1ELb1ELc78ELc85EKS1_S1_EviT_T0_PT6_S3_lS6_S3_lS4_PT7_S3_li.numbered_sgpr, 25
	.set _ZL32rocblas_syrkx_herkx_small_kernelIi19rocblas_complex_numIfELi16ELb1ELb1ELc78ELc85EKS1_S1_EviT_T0_PT6_S3_lS6_S3_lS4_PT7_S3_li.num_named_barrier, 0
	.set _ZL32rocblas_syrkx_herkx_small_kernelIi19rocblas_complex_numIfELi16ELb1ELb1ELc78ELc85EKS1_S1_EviT_T0_PT6_S3_lS6_S3_lS4_PT7_S3_li.private_seg_size, 0
	.set _ZL32rocblas_syrkx_herkx_small_kernelIi19rocblas_complex_numIfELi16ELb1ELb1ELc78ELc85EKS1_S1_EviT_T0_PT6_S3_lS6_S3_lS4_PT7_S3_li.uses_vcc, 1
	.set _ZL32rocblas_syrkx_herkx_small_kernelIi19rocblas_complex_numIfELi16ELb1ELb1ELc78ELc85EKS1_S1_EviT_T0_PT6_S3_lS6_S3_lS4_PT7_S3_li.uses_flat_scratch, 0
	.set _ZL32rocblas_syrkx_herkx_small_kernelIi19rocblas_complex_numIfELi16ELb1ELb1ELc78ELc85EKS1_S1_EviT_T0_PT6_S3_lS6_S3_lS4_PT7_S3_li.has_dyn_sized_stack, 0
	.set _ZL32rocblas_syrkx_herkx_small_kernelIi19rocblas_complex_numIfELi16ELb1ELb1ELc78ELc85EKS1_S1_EviT_T0_PT6_S3_lS6_S3_lS4_PT7_S3_li.has_recursion, 0
	.set _ZL32rocblas_syrkx_herkx_small_kernelIi19rocblas_complex_numIfELi16ELb1ELb1ELc78ELc85EKS1_S1_EviT_T0_PT6_S3_lS6_S3_lS4_PT7_S3_li.has_indirect_call, 0
	.section	.AMDGPU.csdata,"",@progbits
; Kernel info:
; codeLenInByte = 1380
; TotalNumSgprs: 29
; NumVgprs: 59
; ScratchSize: 0
; MemoryBound: 1
; FloatMode: 240
; IeeeMode: 1
; LDSByteSize: 4096 bytes/workgroup (compile time only)
; SGPRBlocks: 3
; VGPRBlocks: 14
; NumSGPRsForWavesPerEU: 29
; NumVGPRsForWavesPerEU: 59
; Occupancy: 4
; WaveLimiterHint : 0
; COMPUTE_PGM_RSRC2:SCRATCH_EN: 0
; COMPUTE_PGM_RSRC2:USER_SGPR: 6
; COMPUTE_PGM_RSRC2:TRAP_HANDLER: 0
; COMPUTE_PGM_RSRC2:TGID_X_EN: 1
; COMPUTE_PGM_RSRC2:TGID_Y_EN: 1
; COMPUTE_PGM_RSRC2:TGID_Z_EN: 1
; COMPUTE_PGM_RSRC2:TIDIG_COMP_CNT: 1
	.section	.text._ZL32rocblas_syrkx_herkx_small_kernelIi19rocblas_complex_numIfELi16ELb0ELb1ELc84ELc76EKS1_S1_EviT_T0_PT6_S3_lS6_S3_lS4_PT7_S3_li,"axG",@progbits,_ZL32rocblas_syrkx_herkx_small_kernelIi19rocblas_complex_numIfELi16ELb0ELb1ELc84ELc76EKS1_S1_EviT_T0_PT6_S3_lS6_S3_lS4_PT7_S3_li,comdat
	.globl	_ZL32rocblas_syrkx_herkx_small_kernelIi19rocblas_complex_numIfELi16ELb0ELb1ELc84ELc76EKS1_S1_EviT_T0_PT6_S3_lS6_S3_lS4_PT7_S3_li ; -- Begin function _ZL32rocblas_syrkx_herkx_small_kernelIi19rocblas_complex_numIfELi16ELb0ELb1ELc84ELc76EKS1_S1_EviT_T0_PT6_S3_lS6_S3_lS4_PT7_S3_li
	.p2align	8
	.type	_ZL32rocblas_syrkx_herkx_small_kernelIi19rocblas_complex_numIfELi16ELb0ELb1ELc84ELc76EKS1_S1_EviT_T0_PT6_S3_lS6_S3_lS4_PT7_S3_li,@function
_ZL32rocblas_syrkx_herkx_small_kernelIi19rocblas_complex_numIfELi16ELb0ELb1ELc84ELc76EKS1_S1_EviT_T0_PT6_S3_lS6_S3_lS4_PT7_S3_li: ; @_ZL32rocblas_syrkx_herkx_small_kernelIi19rocblas_complex_numIfELi16ELb0ELb1ELc84ELc76EKS1_S1_EviT_T0_PT6_S3_lS6_S3_lS4_PT7_S3_li
; %bb.0:
	s_load_dwordx2 s[20:21], s[4:5], 0x0
	s_load_dwordx4 s[16:19], s[4:5], 0x8
	s_load_dwordx4 s[12:15], s[4:5], 0x38
	s_load_dwordx2 s[10:11], s[4:5], 0x48
	v_lshl_add_u32 v2, s6, 4, v0
	s_mov_b32 s9, 0
	v_lshl_add_u32 v9, s7, 4, v1
	s_waitcnt lgkmcnt(0)
	s_cmp_lt_i32 s21, 1
	v_cmp_gt_i32_e32 vcc, s20, v2
	s_cbranch_scc1 .LBB364_11
; %bb.1:
	s_load_dword s6, s[4:5], 0x18
	s_load_dwordx4 s[24:27], s[4:5], 0x20
	s_load_dword s0, s[4:5], 0x30
	s_mul_i32 s2, s13, s8
	s_mul_hi_u32 s3, s12, s8
	s_add_i32 s3, s3, s2
	s_mul_i32 s2, s12, s8
	s_waitcnt lgkmcnt(0)
	v_mad_i64_i32 v[3:4], s[0:1], s0, v9, 0
	v_lshlrev_b32_e32 v5, 7, v1
	v_lshlrev_b32_e32 v10, 3, v0
	v_lshlrev_b64 v[3:4], 3, v[3:4]
	s_lshl_b64 s[2:3], s[2:3], 3
	v_add_u32_e32 v11, v10, v5
	v_add_u32_e32 v12, 0x800, v5
	v_mov_b32_e32 v5, s3
	v_add_co_u32_e64 v6, s[2:3], s2, v3
	v_addc_co_u32_e64 v4, s[2:3], v4, v5, s[2:3]
	v_add_co_u32_e64 v5, s[2:3], v6, v10
	v_addc_co_u32_e64 v4, s[2:3], 0, v4, s[2:3]
	v_mad_i64_i32 v[7:8], s[2:3], s6, v2, 0
	v_mov_b32_e32 v6, s27
	v_add_co_u32_e64 v5, s[2:3], s26, v5
	v_addc_co_u32_e64 v6, s[2:3], v6, v4, s[2:3]
	s_mul_i32 s2, s25, s8
	s_mul_hi_u32 s3, s24, s8
	v_lshlrev_b64 v[7:8], 3, v[7:8]
	s_add_i32 s3, s3, s2
	s_mul_i32 s2, s24, s8
	s_lshl_b64 s[2:3], s[2:3], 3
	v_mov_b32_e32 v4, s3
	v_add_co_u32_e64 v7, s[2:3], s2, v7
	v_addc_co_u32_e64 v4, s[2:3], v8, v4, s[2:3]
	v_lshlrev_b32_e32 v8, 3, v1
	v_add_co_u32_e64 v7, s[2:3], v7, v8
	v_addc_co_u32_e64 v4, s[2:3], 0, v4, s[2:3]
	v_mov_b32_e32 v8, s19
	v_add_co_u32_e64 v7, s[2:3], s18, v7
	v_cmp_gt_i32_e64 s[0:1], s20, v9
	v_addc_co_u32_e64 v8, s[2:3], v8, v4, s[2:3]
	v_add_u32_e32 v13, v12, v10
	v_mov_b32_e32 v3, 0
	s_xor_b64 s[2:3], vcc, -1
	s_xor_b64 s[0:1], s[0:1], -1
	v_mov_b32_e32 v14, 0
	v_mov_b32_e32 v15, 0
	s_branch .LBB364_3
.LBB364_2:                              ;   in Loop: Header=BB364_3 Depth=1
	s_or_b64 exec, exec, s[6:7]
	s_waitcnt lgkmcnt(0)
	s_barrier
	ds_read2_b64 v[16:19], v10 offset1:16
	ds_read_b128 v[20:23], v12
	ds_read_b128 v[24:27], v12 offset:16
	ds_read2_b64 v[28:31], v10 offset0:32 offset1:48
	v_add_co_u32_e32 v5, vcc, 0x80, v5
	s_waitcnt lgkmcnt(2)
	v_mul_f32_e32 v4, v21, v17
	v_mul_f32_e32 v32, v20, v17
	v_fma_f32 v4, v20, v16, -v4
	v_fmac_f32_e32 v32, v21, v16
	v_mul_f32_e32 v16, v23, v19
	v_fma_f32 v33, v22, v18, -v16
	v_mul_f32_e32 v34, v22, v19
	s_waitcnt lgkmcnt(0)
	v_mul_f32_e32 v16, v25, v29
	v_fmac_f32_e32 v34, v23, v18
	v_fma_f32 v35, v24, v28, -v16
	ds_read2_b64 v[16:19], v10 offset0:64 offset1:80
	ds_read_b128 v[20:23], v12 offset:32
	v_mul_f32_e32 v36, v24, v29
	v_fmac_f32_e32 v36, v25, v28
	v_mul_f32_e32 v24, v27, v31
	v_mul_f32_e32 v38, v26, v31
	s_waitcnt lgkmcnt(0)
	v_mul_f32_e32 v28, v21, v17
	v_fma_f32 v37, v26, v30, -v24
	v_fmac_f32_e32 v38, v27, v30
	ds_read_b128 v[24:27], v12 offset:48
	v_fma_f32 v39, v20, v16, -v28
	ds_read2_b64 v[28:31], v10 offset0:96 offset1:112
	v_mul_f32_e32 v40, v20, v17
	v_fmac_f32_e32 v40, v21, v16
	v_mul_f32_e32 v16, v23, v19
	v_fma_f32 v41, v22, v18, -v16
	v_mul_f32_e32 v42, v22, v19
	s_waitcnt lgkmcnt(0)
	v_mul_f32_e32 v16, v25, v29
	v_fmac_f32_e32 v42, v23, v18
	v_fma_f32 v43, v24, v28, -v16
	ds_read2_b64 v[16:19], v10 offset0:128 offset1:144
	ds_read_b128 v[20:23], v12 offset:64
	v_mul_f32_e32 v44, v24, v29
	v_fmac_f32_e32 v44, v25, v28
	v_mul_f32_e32 v24, v27, v31
	v_mul_f32_e32 v46, v26, v31
	s_waitcnt lgkmcnt(0)
	v_mul_f32_e32 v28, v21, v17
	v_fma_f32 v45, v26, v30, -v24
	v_fmac_f32_e32 v46, v27, v30
	ds_read_b128 v[24:27], v12 offset:80
	v_fma_f32 v47, v20, v16, -v28
	ds_read2_b64 v[28:31], v10 offset0:160 offset1:176
	v_mul_f32_e32 v48, v20, v17
	v_add_f32_e32 v14, v14, v32
	v_fmac_f32_e32 v48, v21, v16
	v_mul_f32_e32 v16, v23, v19
	v_add_f32_e32 v14, v14, v34
	v_fma_f32 v49, v22, v18, -v16
	v_mul_f32_e32 v50, v22, v19
	s_waitcnt lgkmcnt(0)
	v_mul_f32_e32 v16, v25, v29
	v_add_f32_e32 v14, v14, v36
	v_fmac_f32_e32 v50, v23, v18
	v_fma_f32 v51, v24, v28, -v16
	ds_read2_b64 v[16:19], v10 offset0:192 offset1:208
	ds_read_b128 v[20:23], v12 offset:96
	v_add_f32_e32 v14, v14, v38
	v_add_f32_e32 v14, v14, v40
	;; [unrolled: 1-line block ×6, first 2 shown]
	v_mul_f32_e32 v29, v24, v29
	v_mul_f32_e32 v24, v27, v31
	;; [unrolled: 1-line block ×3, first 2 shown]
	v_add_f32_e32 v4, v4, v35
	v_add_f32_e32 v14, v14, v46
	v_fmac_f32_e32 v29, v25, v28
	v_fma_f32 v28, v26, v30, -v24
	v_fmac_f32_e32 v31, v27, v30
	s_waitcnt lgkmcnt(0)
	v_mul_f32_e32 v30, v21, v17
	v_add_f32_e32 v4, v4, v37
	v_add_f32_e32 v14, v14, v48
	v_fma_f32 v30, v20, v16, -v30
	v_mul_f32_e32 v20, v20, v17
	v_add_f32_e32 v4, v4, v39
	v_add_f32_e32 v14, v14, v50
	v_fmac_f32_e32 v20, v21, v16
	v_mul_f32_e32 v16, v23, v19
	v_mul_f32_e32 v19, v22, v19
	v_add_f32_e32 v4, v4, v41
	v_add_f32_e32 v14, v14, v29
	ds_read_b128 v[24:27], v12 offset:112
	v_fma_f32 v21, v22, v18, -v16
	v_fmac_f32_e32 v19, v23, v18
	v_add_f32_e32 v4, v4, v43
	v_add_f32_e32 v18, v14, v31
	ds_read2_b64 v[14:17], v10 offset0:224 offset1:240
	v_add_f32_e32 v4, v4, v45
	v_add_f32_e32 v4, v4, v47
	;; [unrolled: 1-line block ×7, first 2 shown]
	s_waitcnt lgkmcnt(0)
	v_mul_f32_e32 v19, v25, v15
	v_mul_f32_e32 v15, v24, v15
	v_add_f32_e32 v4, v4, v30
	v_fmac_f32_e32 v15, v25, v14
	v_add_f32_e32 v4, v4, v21
	v_fma_f32 v19, v24, v14, -v19
	v_add_f32_e32 v14, v18, v15
	v_mul_f32_e32 v15, v27, v17
	v_mul_f32_e32 v17, v26, v17
	v_addc_co_u32_e32 v6, vcc, 0, v6, vcc
	v_add_f32_e32 v4, v4, v19
	v_fma_f32 v15, v26, v16, -v15
	v_fmac_f32_e32 v17, v27, v16
	s_add_i32 s9, s9, 16
	v_add_co_u32_e32 v7, vcc, 0x80, v7
	v_add_f32_e32 v15, v4, v15
	v_add_f32_e32 v14, v14, v17
	s_cmp_ge_i32 s9, s21
	v_addc_co_u32_e32 v8, vcc, 0, v8, vcc
	s_barrier
	s_cbranch_scc1 .LBB364_12
.LBB364_3:                              ; =>This Inner Loop Header: Depth=1
	v_add_u32_e32 v4, s9, v1
	v_cmp_le_i32_e32 vcc, s21, v4
	s_or_b64 s[6:7], s[2:3], vcc
	s_and_saveexec_b64 s[12:13], s[6:7]
	s_xor_b64 s[6:7], exec, s[12:13]
; %bb.4:                                ;   in Loop: Header=BB364_3 Depth=1
	v_mov_b32_e32 v4, v3
	ds_write_b64 v11, v[3:4]
; %bb.5:                                ;   in Loop: Header=BB364_3 Depth=1
	s_andn2_saveexec_b64 s[6:7], s[6:7]
	s_cbranch_execz .LBB364_7
; %bb.6:                                ;   in Loop: Header=BB364_3 Depth=1
	global_load_dwordx2 v[16:17], v[7:8], off
	s_waitcnt vmcnt(0)
	ds_write_b64 v11, v[16:17]
.LBB364_7:                              ;   in Loop: Header=BB364_3 Depth=1
	s_or_b64 exec, exec, s[6:7]
	v_add_u32_e32 v4, s9, v0
	v_cmp_le_i32_e32 vcc, s21, v4
	s_or_b64 s[6:7], s[0:1], vcc
	s_and_saveexec_b64 s[12:13], s[6:7]
	s_xor_b64 s[6:7], exec, s[12:13]
; %bb.8:                                ;   in Loop: Header=BB364_3 Depth=1
	v_mov_b32_e32 v4, v3
	ds_write_b64 v13, v[3:4]
; %bb.9:                                ;   in Loop: Header=BB364_3 Depth=1
	s_andn2_saveexec_b64 s[6:7], s[6:7]
	s_cbranch_execz .LBB364_2
; %bb.10:                               ;   in Loop: Header=BB364_3 Depth=1
	global_load_dwordx2 v[16:17], v[5:6], off
	s_waitcnt vmcnt(0)
	ds_write_b64 v13, v[16:17]
	s_branch .LBB364_2
.LBB364_11:
	v_mov_b32_e32 v14, 0
	v_mov_b32_e32 v15, 0
.LBB364_12:
	v_cmp_le_i32_e32 vcc, v9, v2
	v_cmp_gt_i32_e64 s[0:1], s20, v2
	s_and_b64 s[0:1], vcc, s[0:1]
	s_and_saveexec_b64 s[2:3], s[0:1]
	s_cbranch_execz .LBB364_15
; %bb.13:
	s_load_dwordx2 s[0:1], s[4:5], 0x58
	s_load_dword s2, s[4:5], 0x50
	v_ashrrev_i32_e32 v3, 31, v2
	v_mul_f32_e32 v6, s16, v14
	v_fmac_f32_e32 v6, s17, v15
	s_waitcnt lgkmcnt(0)
	s_mul_i32 s1, s1, s8
	s_mul_hi_u32 s3, s0, s8
	s_add_i32 s1, s3, s1
	v_mad_i64_i32 v[0:1], s[2:3], s2, v9, 0
	s_mul_i32 s0, s0, s8
	s_lshl_b64 s[0:1], s[0:1], 3
	s_add_u32 s0, s10, s0
	v_lshlrev_b64 v[0:1], 3, v[0:1]
	s_addc_u32 s1, s11, s1
	v_mov_b32_e32 v4, s1
	v_add_co_u32_e32 v5, vcc, s0, v0
	v_addc_co_u32_e32 v4, vcc, v4, v1, vcc
	v_lshlrev_b64 v[0:1], 3, v[2:3]
	v_add_co_u32_e32 v0, vcc, v5, v0
	v_addc_co_u32_e32 v1, vcc, v4, v1, vcc
	global_load_dwordx2 v[3:4], v[0:1], off
	v_mul_f32_e32 v5, s17, v14
	v_fma_f32 v5, v15, s16, -v5
	v_cmp_eq_u32_e32 vcc, v2, v9
	s_waitcnt vmcnt(0)
	v_mul_f32_e32 v7, s15, v4
	v_mul_f32_e32 v4, s14, v4
	v_fma_f32 v7, v3, s14, -v7
	v_fmac_f32_e32 v4, s15, v3
	v_add_f32_e32 v3, v5, v7
	v_add_f32_e32 v4, v6, v4
	global_store_dwordx2 v[0:1], v[3:4], off
	s_and_b64 exec, exec, vcc
	s_cbranch_execz .LBB364_15
; %bb.14:
	v_mov_b32_e32 v2, 0
	global_store_dword v[0:1], v2, off offset:4
.LBB364_15:
	s_endpgm
	.section	.rodata,"a",@progbits
	.p2align	6, 0x0
	.amdhsa_kernel _ZL32rocblas_syrkx_herkx_small_kernelIi19rocblas_complex_numIfELi16ELb0ELb1ELc84ELc76EKS1_S1_EviT_T0_PT6_S3_lS6_S3_lS4_PT7_S3_li
		.amdhsa_group_segment_fixed_size 4096
		.amdhsa_private_segment_fixed_size 0
		.amdhsa_kernarg_size 100
		.amdhsa_user_sgpr_count 6
		.amdhsa_user_sgpr_private_segment_buffer 1
		.amdhsa_user_sgpr_dispatch_ptr 0
		.amdhsa_user_sgpr_queue_ptr 0
		.amdhsa_user_sgpr_kernarg_segment_ptr 1
		.amdhsa_user_sgpr_dispatch_id 0
		.amdhsa_user_sgpr_flat_scratch_init 0
		.amdhsa_user_sgpr_private_segment_size 0
		.amdhsa_uses_dynamic_stack 0
		.amdhsa_system_sgpr_private_segment_wavefront_offset 0
		.amdhsa_system_sgpr_workgroup_id_x 1
		.amdhsa_system_sgpr_workgroup_id_y 1
		.amdhsa_system_sgpr_workgroup_id_z 1
		.amdhsa_system_sgpr_workgroup_info 0
		.amdhsa_system_vgpr_workitem_id 1
		.amdhsa_next_free_vgpr 52
		.amdhsa_next_free_sgpr 28
		.amdhsa_reserve_vcc 1
		.amdhsa_reserve_flat_scratch 0
		.amdhsa_float_round_mode_32 0
		.amdhsa_float_round_mode_16_64 0
		.amdhsa_float_denorm_mode_32 3
		.amdhsa_float_denorm_mode_16_64 3
		.amdhsa_dx10_clamp 1
		.amdhsa_ieee_mode 1
		.amdhsa_fp16_overflow 0
		.amdhsa_exception_fp_ieee_invalid_op 0
		.amdhsa_exception_fp_denorm_src 0
		.amdhsa_exception_fp_ieee_div_zero 0
		.amdhsa_exception_fp_ieee_overflow 0
		.amdhsa_exception_fp_ieee_underflow 0
		.amdhsa_exception_fp_ieee_inexact 0
		.amdhsa_exception_int_div_zero 0
	.end_amdhsa_kernel
	.section	.text._ZL32rocblas_syrkx_herkx_small_kernelIi19rocblas_complex_numIfELi16ELb0ELb1ELc84ELc76EKS1_S1_EviT_T0_PT6_S3_lS6_S3_lS4_PT7_S3_li,"axG",@progbits,_ZL32rocblas_syrkx_herkx_small_kernelIi19rocblas_complex_numIfELi16ELb0ELb1ELc84ELc76EKS1_S1_EviT_T0_PT6_S3_lS6_S3_lS4_PT7_S3_li,comdat
.Lfunc_end364:
	.size	_ZL32rocblas_syrkx_herkx_small_kernelIi19rocblas_complex_numIfELi16ELb0ELb1ELc84ELc76EKS1_S1_EviT_T0_PT6_S3_lS6_S3_lS4_PT7_S3_li, .Lfunc_end364-_ZL32rocblas_syrkx_herkx_small_kernelIi19rocblas_complex_numIfELi16ELb0ELb1ELc84ELc76EKS1_S1_EviT_T0_PT6_S3_lS6_S3_lS4_PT7_S3_li
                                        ; -- End function
	.set _ZL32rocblas_syrkx_herkx_small_kernelIi19rocblas_complex_numIfELi16ELb0ELb1ELc84ELc76EKS1_S1_EviT_T0_PT6_S3_lS6_S3_lS4_PT7_S3_li.num_vgpr, 52
	.set _ZL32rocblas_syrkx_herkx_small_kernelIi19rocblas_complex_numIfELi16ELb0ELb1ELc84ELc76EKS1_S1_EviT_T0_PT6_S3_lS6_S3_lS4_PT7_S3_li.num_agpr, 0
	.set _ZL32rocblas_syrkx_herkx_small_kernelIi19rocblas_complex_numIfELi16ELb0ELb1ELc84ELc76EKS1_S1_EviT_T0_PT6_S3_lS6_S3_lS4_PT7_S3_li.numbered_sgpr, 28
	.set _ZL32rocblas_syrkx_herkx_small_kernelIi19rocblas_complex_numIfELi16ELb0ELb1ELc84ELc76EKS1_S1_EviT_T0_PT6_S3_lS6_S3_lS4_PT7_S3_li.num_named_barrier, 0
	.set _ZL32rocblas_syrkx_herkx_small_kernelIi19rocblas_complex_numIfELi16ELb0ELb1ELc84ELc76EKS1_S1_EviT_T0_PT6_S3_lS6_S3_lS4_PT7_S3_li.private_seg_size, 0
	.set _ZL32rocblas_syrkx_herkx_small_kernelIi19rocblas_complex_numIfELi16ELb0ELb1ELc84ELc76EKS1_S1_EviT_T0_PT6_S3_lS6_S3_lS4_PT7_S3_li.uses_vcc, 1
	.set _ZL32rocblas_syrkx_herkx_small_kernelIi19rocblas_complex_numIfELi16ELb0ELb1ELc84ELc76EKS1_S1_EviT_T0_PT6_S3_lS6_S3_lS4_PT7_S3_li.uses_flat_scratch, 0
	.set _ZL32rocblas_syrkx_herkx_small_kernelIi19rocblas_complex_numIfELi16ELb0ELb1ELc84ELc76EKS1_S1_EviT_T0_PT6_S3_lS6_S3_lS4_PT7_S3_li.has_dyn_sized_stack, 0
	.set _ZL32rocblas_syrkx_herkx_small_kernelIi19rocblas_complex_numIfELi16ELb0ELb1ELc84ELc76EKS1_S1_EviT_T0_PT6_S3_lS6_S3_lS4_PT7_S3_li.has_recursion, 0
	.set _ZL32rocblas_syrkx_herkx_small_kernelIi19rocblas_complex_numIfELi16ELb0ELb1ELc84ELc76EKS1_S1_EviT_T0_PT6_S3_lS6_S3_lS4_PT7_S3_li.has_indirect_call, 0
	.section	.AMDGPU.csdata,"",@progbits
; Kernel info:
; codeLenInByte = 1352
; TotalNumSgprs: 32
; NumVgprs: 52
; ScratchSize: 0
; MemoryBound: 1
; FloatMode: 240
; IeeeMode: 1
; LDSByteSize: 4096 bytes/workgroup (compile time only)
; SGPRBlocks: 3
; VGPRBlocks: 12
; NumSGPRsForWavesPerEU: 32
; NumVGPRsForWavesPerEU: 52
; Occupancy: 4
; WaveLimiterHint : 0
; COMPUTE_PGM_RSRC2:SCRATCH_EN: 0
; COMPUTE_PGM_RSRC2:USER_SGPR: 6
; COMPUTE_PGM_RSRC2:TRAP_HANDLER: 0
; COMPUTE_PGM_RSRC2:TGID_X_EN: 1
; COMPUTE_PGM_RSRC2:TGID_Y_EN: 1
; COMPUTE_PGM_RSRC2:TGID_Z_EN: 1
; COMPUTE_PGM_RSRC2:TIDIG_COMP_CNT: 1
	.section	.text._ZL32rocblas_syrkx_herkx_small_kernelIi19rocblas_complex_numIfELi16ELb0ELb1ELc67ELc76EKS1_S1_EviT_T0_PT6_S3_lS6_S3_lS4_PT7_S3_li,"axG",@progbits,_ZL32rocblas_syrkx_herkx_small_kernelIi19rocblas_complex_numIfELi16ELb0ELb1ELc67ELc76EKS1_S1_EviT_T0_PT6_S3_lS6_S3_lS4_PT7_S3_li,comdat
	.globl	_ZL32rocblas_syrkx_herkx_small_kernelIi19rocblas_complex_numIfELi16ELb0ELb1ELc67ELc76EKS1_S1_EviT_T0_PT6_S3_lS6_S3_lS4_PT7_S3_li ; -- Begin function _ZL32rocblas_syrkx_herkx_small_kernelIi19rocblas_complex_numIfELi16ELb0ELb1ELc67ELc76EKS1_S1_EviT_T0_PT6_S3_lS6_S3_lS4_PT7_S3_li
	.p2align	8
	.type	_ZL32rocblas_syrkx_herkx_small_kernelIi19rocblas_complex_numIfELi16ELb0ELb1ELc67ELc76EKS1_S1_EviT_T0_PT6_S3_lS6_S3_lS4_PT7_S3_li,@function
_ZL32rocblas_syrkx_herkx_small_kernelIi19rocblas_complex_numIfELi16ELb0ELb1ELc67ELc76EKS1_S1_EviT_T0_PT6_S3_lS6_S3_lS4_PT7_S3_li: ; @_ZL32rocblas_syrkx_herkx_small_kernelIi19rocblas_complex_numIfELi16ELb0ELb1ELc67ELc76EKS1_S1_EviT_T0_PT6_S3_lS6_S3_lS4_PT7_S3_li
; %bb.0:
	s_load_dwordx2 s[20:21], s[4:5], 0x0
	s_load_dwordx4 s[16:19], s[4:5], 0x8
	s_load_dwordx4 s[12:15], s[4:5], 0x38
	s_load_dwordx2 s[10:11], s[4:5], 0x48
	v_lshl_add_u32 v2, s6, 4, v0
	s_mov_b32 s9, 0
	v_lshl_add_u32 v9, s7, 4, v1
	s_waitcnt lgkmcnt(0)
	s_cmp_lt_i32 s21, 1
	v_cmp_gt_i32_e32 vcc, s20, v2
	s_cbranch_scc1 .LBB365_11
; %bb.1:
	s_load_dword s6, s[4:5], 0x18
	s_load_dwordx4 s[24:27], s[4:5], 0x20
	s_load_dword s0, s[4:5], 0x30
	s_mul_i32 s2, s13, s8
	s_mul_hi_u32 s3, s12, s8
	s_add_i32 s3, s3, s2
	s_mul_i32 s2, s12, s8
	s_waitcnt lgkmcnt(0)
	v_mad_i64_i32 v[3:4], s[0:1], s0, v9, 0
	v_lshlrev_b32_e32 v5, 7, v1
	v_lshlrev_b32_e32 v10, 3, v0
	v_lshlrev_b64 v[3:4], 3, v[3:4]
	s_lshl_b64 s[2:3], s[2:3], 3
	v_add_u32_e32 v11, v10, v5
	v_add_u32_e32 v12, 0x800, v5
	v_mov_b32_e32 v5, s3
	v_add_co_u32_e64 v6, s[2:3], s2, v3
	v_addc_co_u32_e64 v4, s[2:3], v4, v5, s[2:3]
	v_add_co_u32_e64 v5, s[2:3], v6, v10
	v_addc_co_u32_e64 v4, s[2:3], 0, v4, s[2:3]
	v_mad_i64_i32 v[7:8], s[2:3], s6, v2, 0
	v_mov_b32_e32 v6, s27
	v_add_co_u32_e64 v5, s[2:3], s26, v5
	v_addc_co_u32_e64 v6, s[2:3], v6, v4, s[2:3]
	s_mul_i32 s2, s25, s8
	s_mul_hi_u32 s3, s24, s8
	v_lshlrev_b64 v[7:8], 3, v[7:8]
	s_add_i32 s3, s3, s2
	s_mul_i32 s2, s24, s8
	s_lshl_b64 s[2:3], s[2:3], 3
	v_mov_b32_e32 v4, s3
	v_add_co_u32_e64 v7, s[2:3], s2, v7
	v_addc_co_u32_e64 v4, s[2:3], v8, v4, s[2:3]
	v_lshlrev_b32_e32 v8, 3, v1
	v_add_co_u32_e64 v7, s[2:3], v7, v8
	v_addc_co_u32_e64 v4, s[2:3], 0, v4, s[2:3]
	v_mov_b32_e32 v8, s19
	v_add_co_u32_e64 v7, s[2:3], s18, v7
	v_addc_co_u32_e64 v4, s[2:3], v8, v4, s[2:3]
	v_add_co_u32_e64 v7, s[2:3], 4, v7
	v_cmp_gt_i32_e64 s[0:1], s20, v9
	v_addc_co_u32_e64 v8, s[2:3], 0, v4, s[2:3]
	v_add_u32_e32 v13, v12, v10
	v_mov_b32_e32 v3, 0
	s_xor_b64 s[2:3], vcc, -1
	s_xor_b64 s[0:1], s[0:1], -1
	v_mov_b32_e32 v14, 0
	v_mov_b32_e32 v15, 0
	s_branch .LBB365_3
.LBB365_2:                              ;   in Loop: Header=BB365_3 Depth=1
	s_or_b64 exec, exec, s[6:7]
	s_waitcnt lgkmcnt(0)
	s_barrier
	ds_read2_b64 v[16:19], v10 offset1:16
	ds_read_b128 v[20:23], v12
	ds_read_b128 v[24:27], v12 offset:16
	ds_read2_b64 v[28:31], v10 offset0:32 offset1:48
	v_add_co_u32_e32 v5, vcc, 0x80, v5
	s_waitcnt lgkmcnt(2)
	v_mul_f32_e32 v4, v21, v17
	v_mul_f32_e32 v32, v20, v17
	v_fma_f32 v4, v20, v16, -v4
	v_fmac_f32_e32 v32, v21, v16
	v_mul_f32_e32 v16, v23, v19
	v_fma_f32 v33, v22, v18, -v16
	v_mul_f32_e32 v34, v22, v19
	s_waitcnt lgkmcnt(0)
	v_mul_f32_e32 v16, v25, v29
	v_fmac_f32_e32 v34, v23, v18
	v_fma_f32 v35, v24, v28, -v16
	ds_read2_b64 v[16:19], v10 offset0:64 offset1:80
	ds_read_b128 v[20:23], v12 offset:32
	v_mul_f32_e32 v36, v24, v29
	v_fmac_f32_e32 v36, v25, v28
	v_mul_f32_e32 v24, v27, v31
	v_mul_f32_e32 v38, v26, v31
	s_waitcnt lgkmcnt(0)
	v_mul_f32_e32 v28, v21, v17
	v_fma_f32 v37, v26, v30, -v24
	v_fmac_f32_e32 v38, v27, v30
	ds_read_b128 v[24:27], v12 offset:48
	v_fma_f32 v39, v20, v16, -v28
	ds_read2_b64 v[28:31], v10 offset0:96 offset1:112
	v_mul_f32_e32 v40, v20, v17
	v_fmac_f32_e32 v40, v21, v16
	v_mul_f32_e32 v16, v23, v19
	v_fma_f32 v41, v22, v18, -v16
	v_mul_f32_e32 v42, v22, v19
	s_waitcnt lgkmcnt(0)
	v_mul_f32_e32 v16, v25, v29
	v_fmac_f32_e32 v42, v23, v18
	v_fma_f32 v43, v24, v28, -v16
	ds_read2_b64 v[16:19], v10 offset0:128 offset1:144
	ds_read_b128 v[20:23], v12 offset:64
	v_mul_f32_e32 v44, v24, v29
	v_fmac_f32_e32 v44, v25, v28
	v_mul_f32_e32 v24, v27, v31
	v_mul_f32_e32 v46, v26, v31
	s_waitcnt lgkmcnt(0)
	v_mul_f32_e32 v28, v21, v17
	v_fma_f32 v45, v26, v30, -v24
	v_fmac_f32_e32 v46, v27, v30
	ds_read_b128 v[24:27], v12 offset:80
	v_fma_f32 v47, v20, v16, -v28
	ds_read2_b64 v[28:31], v10 offset0:160 offset1:176
	v_mul_f32_e32 v48, v20, v17
	v_add_f32_e32 v14, v14, v32
	v_fmac_f32_e32 v48, v21, v16
	v_mul_f32_e32 v16, v23, v19
	v_add_f32_e32 v14, v14, v34
	v_fma_f32 v49, v22, v18, -v16
	v_mul_f32_e32 v50, v22, v19
	s_waitcnt lgkmcnt(0)
	v_mul_f32_e32 v16, v25, v29
	v_add_f32_e32 v14, v14, v36
	v_fmac_f32_e32 v50, v23, v18
	v_fma_f32 v51, v24, v28, -v16
	ds_read2_b64 v[16:19], v10 offset0:192 offset1:208
	ds_read_b128 v[20:23], v12 offset:96
	v_add_f32_e32 v14, v14, v38
	v_add_f32_e32 v14, v14, v40
	v_add_f32_e32 v4, v15, v4
	v_add_f32_e32 v14, v14, v42
	v_add_f32_e32 v4, v4, v33
	v_add_f32_e32 v14, v14, v44
	v_mul_f32_e32 v29, v24, v29
	v_mul_f32_e32 v24, v27, v31
	;; [unrolled: 1-line block ×3, first 2 shown]
	v_add_f32_e32 v4, v4, v35
	v_add_f32_e32 v14, v14, v46
	v_fmac_f32_e32 v29, v25, v28
	v_fma_f32 v28, v26, v30, -v24
	v_fmac_f32_e32 v31, v27, v30
	s_waitcnt lgkmcnt(0)
	v_mul_f32_e32 v30, v21, v17
	v_add_f32_e32 v4, v4, v37
	v_add_f32_e32 v14, v14, v48
	v_fma_f32 v30, v20, v16, -v30
	v_mul_f32_e32 v20, v20, v17
	v_add_f32_e32 v4, v4, v39
	v_add_f32_e32 v14, v14, v50
	v_fmac_f32_e32 v20, v21, v16
	v_mul_f32_e32 v16, v23, v19
	v_mul_f32_e32 v19, v22, v19
	v_add_f32_e32 v4, v4, v41
	v_add_f32_e32 v14, v14, v29
	ds_read_b128 v[24:27], v12 offset:112
	v_fma_f32 v21, v22, v18, -v16
	v_fmac_f32_e32 v19, v23, v18
	v_add_f32_e32 v4, v4, v43
	v_add_f32_e32 v18, v14, v31
	ds_read2_b64 v[14:17], v10 offset0:224 offset1:240
	v_add_f32_e32 v4, v4, v45
	v_add_f32_e32 v4, v4, v47
	;; [unrolled: 1-line block ×7, first 2 shown]
	s_waitcnt lgkmcnt(0)
	v_mul_f32_e32 v19, v25, v15
	v_mul_f32_e32 v15, v24, v15
	v_add_f32_e32 v4, v4, v30
	v_fmac_f32_e32 v15, v25, v14
	v_add_f32_e32 v4, v4, v21
	v_fma_f32 v19, v24, v14, -v19
	v_add_f32_e32 v14, v18, v15
	v_mul_f32_e32 v15, v27, v17
	v_mul_f32_e32 v17, v26, v17
	v_addc_co_u32_e32 v6, vcc, 0, v6, vcc
	v_add_f32_e32 v4, v4, v19
	v_fma_f32 v15, v26, v16, -v15
	v_fmac_f32_e32 v17, v27, v16
	s_add_i32 s9, s9, 16
	v_add_co_u32_e32 v7, vcc, 0x80, v7
	v_add_f32_e32 v15, v4, v15
	v_add_f32_e32 v14, v14, v17
	s_cmp_ge_i32 s9, s21
	v_addc_co_u32_e32 v8, vcc, 0, v8, vcc
	s_barrier
	s_cbranch_scc1 .LBB365_12
.LBB365_3:                              ; =>This Inner Loop Header: Depth=1
	v_add_u32_e32 v4, s9, v1
	v_cmp_le_i32_e32 vcc, s21, v4
	s_or_b64 s[6:7], s[2:3], vcc
	s_and_saveexec_b64 s[12:13], s[6:7]
	s_xor_b64 s[6:7], exec, s[12:13]
; %bb.4:                                ;   in Loop: Header=BB365_3 Depth=1
	ds_write_b32 v11, v3
; %bb.5:                                ;   in Loop: Header=BB365_3 Depth=1
	s_or_saveexec_b64 s[6:7], s[6:7]
	v_mov_b32_e32 v4, 0
	s_xor_b64 exec, exec, s[6:7]
	s_cbranch_execz .LBB365_7
; %bb.6:                                ;   in Loop: Header=BB365_3 Depth=1
	global_load_dwordx2 v[16:17], v[7:8], off offset:-4
	s_waitcnt vmcnt(0)
	v_xor_b32_e32 v4, 0x80000000, v17
	ds_write_b32 v11, v16
.LBB365_7:                              ;   in Loop: Header=BB365_3 Depth=1
	s_or_b64 exec, exec, s[6:7]
	ds_write_b32 v11, v4 offset:4
	v_add_u32_e32 v4, s9, v0
	v_cmp_le_i32_e32 vcc, s21, v4
	s_or_b64 s[6:7], s[0:1], vcc
	s_and_saveexec_b64 s[12:13], s[6:7]
	s_xor_b64 s[6:7], exec, s[12:13]
; %bb.8:                                ;   in Loop: Header=BB365_3 Depth=1
	v_mov_b32_e32 v4, v3
	ds_write_b64 v13, v[3:4]
; %bb.9:                                ;   in Loop: Header=BB365_3 Depth=1
	s_andn2_saveexec_b64 s[6:7], s[6:7]
	s_cbranch_execz .LBB365_2
; %bb.10:                               ;   in Loop: Header=BB365_3 Depth=1
	global_load_dwordx2 v[16:17], v[5:6], off
	s_waitcnt vmcnt(0)
	ds_write_b64 v13, v[16:17]
	s_branch .LBB365_2
.LBB365_11:
	v_mov_b32_e32 v14, 0
	v_mov_b32_e32 v15, 0
.LBB365_12:
	v_cmp_le_i32_e32 vcc, v9, v2
	v_cmp_gt_i32_e64 s[0:1], s20, v2
	s_and_b64 s[0:1], vcc, s[0:1]
	s_and_saveexec_b64 s[2:3], s[0:1]
	s_cbranch_execz .LBB365_15
; %bb.13:
	s_load_dwordx2 s[0:1], s[4:5], 0x58
	s_load_dword s2, s[4:5], 0x50
	v_ashrrev_i32_e32 v3, 31, v2
	v_mul_f32_e32 v6, s16, v14
	v_fmac_f32_e32 v6, s17, v15
	s_waitcnt lgkmcnt(0)
	s_mul_i32 s1, s1, s8
	s_mul_hi_u32 s3, s0, s8
	s_add_i32 s1, s3, s1
	v_mad_i64_i32 v[0:1], s[2:3], s2, v9, 0
	s_mul_i32 s0, s0, s8
	s_lshl_b64 s[0:1], s[0:1], 3
	s_add_u32 s0, s10, s0
	v_lshlrev_b64 v[0:1], 3, v[0:1]
	s_addc_u32 s1, s11, s1
	v_mov_b32_e32 v4, s1
	v_add_co_u32_e32 v5, vcc, s0, v0
	v_addc_co_u32_e32 v4, vcc, v4, v1, vcc
	v_lshlrev_b64 v[0:1], 3, v[2:3]
	v_add_co_u32_e32 v0, vcc, v5, v0
	v_addc_co_u32_e32 v1, vcc, v4, v1, vcc
	global_load_dwordx2 v[3:4], v[0:1], off
	v_mul_f32_e32 v5, s17, v14
	v_fma_f32 v5, v15, s16, -v5
	v_cmp_eq_u32_e32 vcc, v2, v9
	s_waitcnt vmcnt(0)
	v_mul_f32_e32 v7, s15, v4
	v_mul_f32_e32 v4, s14, v4
	v_fma_f32 v7, v3, s14, -v7
	v_fmac_f32_e32 v4, s15, v3
	v_add_f32_e32 v3, v5, v7
	v_add_f32_e32 v4, v6, v4
	global_store_dwordx2 v[0:1], v[3:4], off
	s_and_b64 exec, exec, vcc
	s_cbranch_execz .LBB365_15
; %bb.14:
	v_mov_b32_e32 v2, 0
	global_store_dword v[0:1], v2, off offset:4
.LBB365_15:
	s_endpgm
	.section	.rodata,"a",@progbits
	.p2align	6, 0x0
	.amdhsa_kernel _ZL32rocblas_syrkx_herkx_small_kernelIi19rocblas_complex_numIfELi16ELb0ELb1ELc67ELc76EKS1_S1_EviT_T0_PT6_S3_lS6_S3_lS4_PT7_S3_li
		.amdhsa_group_segment_fixed_size 4096
		.amdhsa_private_segment_fixed_size 0
		.amdhsa_kernarg_size 100
		.amdhsa_user_sgpr_count 6
		.amdhsa_user_sgpr_private_segment_buffer 1
		.amdhsa_user_sgpr_dispatch_ptr 0
		.amdhsa_user_sgpr_queue_ptr 0
		.amdhsa_user_sgpr_kernarg_segment_ptr 1
		.amdhsa_user_sgpr_dispatch_id 0
		.amdhsa_user_sgpr_flat_scratch_init 0
		.amdhsa_user_sgpr_private_segment_size 0
		.amdhsa_uses_dynamic_stack 0
		.amdhsa_system_sgpr_private_segment_wavefront_offset 0
		.amdhsa_system_sgpr_workgroup_id_x 1
		.amdhsa_system_sgpr_workgroup_id_y 1
		.amdhsa_system_sgpr_workgroup_id_z 1
		.amdhsa_system_sgpr_workgroup_info 0
		.amdhsa_system_vgpr_workitem_id 1
		.amdhsa_next_free_vgpr 52
		.amdhsa_next_free_sgpr 28
		.amdhsa_reserve_vcc 1
		.amdhsa_reserve_flat_scratch 0
		.amdhsa_float_round_mode_32 0
		.amdhsa_float_round_mode_16_64 0
		.amdhsa_float_denorm_mode_32 3
		.amdhsa_float_denorm_mode_16_64 3
		.amdhsa_dx10_clamp 1
		.amdhsa_ieee_mode 1
		.amdhsa_fp16_overflow 0
		.amdhsa_exception_fp_ieee_invalid_op 0
		.amdhsa_exception_fp_denorm_src 0
		.amdhsa_exception_fp_ieee_div_zero 0
		.amdhsa_exception_fp_ieee_overflow 0
		.amdhsa_exception_fp_ieee_underflow 0
		.amdhsa_exception_fp_ieee_inexact 0
		.amdhsa_exception_int_div_zero 0
	.end_amdhsa_kernel
	.section	.text._ZL32rocblas_syrkx_herkx_small_kernelIi19rocblas_complex_numIfELi16ELb0ELb1ELc67ELc76EKS1_S1_EviT_T0_PT6_S3_lS6_S3_lS4_PT7_S3_li,"axG",@progbits,_ZL32rocblas_syrkx_herkx_small_kernelIi19rocblas_complex_numIfELi16ELb0ELb1ELc67ELc76EKS1_S1_EviT_T0_PT6_S3_lS6_S3_lS4_PT7_S3_li,comdat
.Lfunc_end365:
	.size	_ZL32rocblas_syrkx_herkx_small_kernelIi19rocblas_complex_numIfELi16ELb0ELb1ELc67ELc76EKS1_S1_EviT_T0_PT6_S3_lS6_S3_lS4_PT7_S3_li, .Lfunc_end365-_ZL32rocblas_syrkx_herkx_small_kernelIi19rocblas_complex_numIfELi16ELb0ELb1ELc67ELc76EKS1_S1_EviT_T0_PT6_S3_lS6_S3_lS4_PT7_S3_li
                                        ; -- End function
	.set _ZL32rocblas_syrkx_herkx_small_kernelIi19rocblas_complex_numIfELi16ELb0ELb1ELc67ELc76EKS1_S1_EviT_T0_PT6_S3_lS6_S3_lS4_PT7_S3_li.num_vgpr, 52
	.set _ZL32rocblas_syrkx_herkx_small_kernelIi19rocblas_complex_numIfELi16ELb0ELb1ELc67ELc76EKS1_S1_EviT_T0_PT6_S3_lS6_S3_lS4_PT7_S3_li.num_agpr, 0
	.set _ZL32rocblas_syrkx_herkx_small_kernelIi19rocblas_complex_numIfELi16ELb0ELb1ELc67ELc76EKS1_S1_EviT_T0_PT6_S3_lS6_S3_lS4_PT7_S3_li.numbered_sgpr, 28
	.set _ZL32rocblas_syrkx_herkx_small_kernelIi19rocblas_complex_numIfELi16ELb0ELb1ELc67ELc76EKS1_S1_EviT_T0_PT6_S3_lS6_S3_lS4_PT7_S3_li.num_named_barrier, 0
	.set _ZL32rocblas_syrkx_herkx_small_kernelIi19rocblas_complex_numIfELi16ELb0ELb1ELc67ELc76EKS1_S1_EviT_T0_PT6_S3_lS6_S3_lS4_PT7_S3_li.private_seg_size, 0
	.set _ZL32rocblas_syrkx_herkx_small_kernelIi19rocblas_complex_numIfELi16ELb0ELb1ELc67ELc76EKS1_S1_EviT_T0_PT6_S3_lS6_S3_lS4_PT7_S3_li.uses_vcc, 1
	.set _ZL32rocblas_syrkx_herkx_small_kernelIi19rocblas_complex_numIfELi16ELb0ELb1ELc67ELc76EKS1_S1_EviT_T0_PT6_S3_lS6_S3_lS4_PT7_S3_li.uses_flat_scratch, 0
	.set _ZL32rocblas_syrkx_herkx_small_kernelIi19rocblas_complex_numIfELi16ELb0ELb1ELc67ELc76EKS1_S1_EviT_T0_PT6_S3_lS6_S3_lS4_PT7_S3_li.has_dyn_sized_stack, 0
	.set _ZL32rocblas_syrkx_herkx_small_kernelIi19rocblas_complex_numIfELi16ELb0ELb1ELc67ELc76EKS1_S1_EviT_T0_PT6_S3_lS6_S3_lS4_PT7_S3_li.has_recursion, 0
	.set _ZL32rocblas_syrkx_herkx_small_kernelIi19rocblas_complex_numIfELi16ELb0ELb1ELc67ELc76EKS1_S1_EviT_T0_PT6_S3_lS6_S3_lS4_PT7_S3_li.has_indirect_call, 0
	.section	.AMDGPU.csdata,"",@progbits
; Kernel info:
; codeLenInByte = 1388
; TotalNumSgprs: 32
; NumVgprs: 52
; ScratchSize: 0
; MemoryBound: 1
; FloatMode: 240
; IeeeMode: 1
; LDSByteSize: 4096 bytes/workgroup (compile time only)
; SGPRBlocks: 3
; VGPRBlocks: 12
; NumSGPRsForWavesPerEU: 32
; NumVGPRsForWavesPerEU: 52
; Occupancy: 4
; WaveLimiterHint : 0
; COMPUTE_PGM_RSRC2:SCRATCH_EN: 0
; COMPUTE_PGM_RSRC2:USER_SGPR: 6
; COMPUTE_PGM_RSRC2:TRAP_HANDLER: 0
; COMPUTE_PGM_RSRC2:TGID_X_EN: 1
; COMPUTE_PGM_RSRC2:TGID_Y_EN: 1
; COMPUTE_PGM_RSRC2:TGID_Z_EN: 1
; COMPUTE_PGM_RSRC2:TIDIG_COMP_CNT: 1
	.section	.text._ZL32rocblas_syrkx_herkx_small_kernelIi19rocblas_complex_numIfELi16ELb0ELb1ELc78ELc76EKS1_S1_EviT_T0_PT6_S3_lS6_S3_lS4_PT7_S3_li,"axG",@progbits,_ZL32rocblas_syrkx_herkx_small_kernelIi19rocblas_complex_numIfELi16ELb0ELb1ELc78ELc76EKS1_S1_EviT_T0_PT6_S3_lS6_S3_lS4_PT7_S3_li,comdat
	.globl	_ZL32rocblas_syrkx_herkx_small_kernelIi19rocblas_complex_numIfELi16ELb0ELb1ELc78ELc76EKS1_S1_EviT_T0_PT6_S3_lS6_S3_lS4_PT7_S3_li ; -- Begin function _ZL32rocblas_syrkx_herkx_small_kernelIi19rocblas_complex_numIfELi16ELb0ELb1ELc78ELc76EKS1_S1_EviT_T0_PT6_S3_lS6_S3_lS4_PT7_S3_li
	.p2align	8
	.type	_ZL32rocblas_syrkx_herkx_small_kernelIi19rocblas_complex_numIfELi16ELb0ELb1ELc78ELc76EKS1_S1_EviT_T0_PT6_S3_lS6_S3_lS4_PT7_S3_li,@function
_ZL32rocblas_syrkx_herkx_small_kernelIi19rocblas_complex_numIfELi16ELb0ELb1ELc78ELc76EKS1_S1_EviT_T0_PT6_S3_lS6_S3_lS4_PT7_S3_li: ; @_ZL32rocblas_syrkx_herkx_small_kernelIi19rocblas_complex_numIfELi16ELb0ELb1ELc78ELc76EKS1_S1_EviT_T0_PT6_S3_lS6_S3_lS4_PT7_S3_li
; %bb.0:
	s_load_dwordx2 s[24:25], s[4:5], 0x0
	s_load_dwordx4 s[16:19], s[4:5], 0x8
	s_load_dwordx4 s[12:15], s[4:5], 0x38
	s_load_dwordx2 s[10:11], s[4:5], 0x48
	v_lshl_add_u32 v2, s6, 4, v0
	s_mov_b32 s9, 0
	v_lshl_add_u32 v4, s7, 4, v1
	s_waitcnt lgkmcnt(0)
	s_cmp_lt_i32 s25, 1
	v_cmp_gt_i32_e32 vcc, s24, v2
	v_ashrrev_i32_e32 v3, 31, v2
	s_cbranch_scc1 .LBB366_11
; %bb.1:
	s_load_dword s26, s[4:5], 0x18
	s_load_dword s6, s[4:5], 0x30
	s_load_dwordx4 s[20:23], s[4:5], 0x20
	s_mul_i32 s13, s13, s8
	s_mul_hi_u32 s28, s12, s8
	v_lshlrev_b32_e32 v5, 7, v1
	s_waitcnt lgkmcnt(0)
	v_mad_i64_i32 v[6:7], s[2:3], s6, v0, 0
	v_lshlrev_b32_e32 v11, 3, v0
	s_add_i32 s3, s28, s13
	s_mul_i32 s2, s12, s8
	v_lshlrev_b64 v[6:7], 3, v[6:7]
	v_add_u32_e32 v12, v11, v5
	v_add_u32_e32 v13, 0x800, v5
	v_ashrrev_i32_e32 v5, 31, v4
	s_lshl_b64 s[2:3], s[2:3], 3
	v_mov_b32_e32 v8, s3
	v_add_co_u32_e64 v9, s[2:3], s2, v6
	v_lshlrev_b64 v[5:6], 3, v[4:5]
	v_addc_co_u32_e64 v7, s[2:3], v8, v7, s[2:3]
	v_add_co_u32_e64 v5, s[2:3], v9, v5
	v_addc_co_u32_e64 v6, s[2:3], v7, v6, s[2:3]
	v_mov_b32_e32 v7, s23
	v_add_co_u32_e64 v5, s[2:3], s22, v5
	v_addc_co_u32_e64 v6, s[2:3], v7, v6, s[2:3]
	v_add_co_u32_e64 v5, s[2:3], 4, v5
	v_addc_co_u32_e64 v6, s[2:3], 0, v6, s[2:3]
	v_mad_i64_i32 v[7:8], s[2:3], s26, v1, 0
	s_mul_i32 s12, s21, s8
	s_mul_hi_u32 s13, s20, s8
	s_add_i32 s3, s13, s12
	s_mul_i32 s2, s20, s8
	v_lshlrev_b64 v[7:8], 3, v[7:8]
	s_lshl_b64 s[2:3], s[2:3], 3
	v_mov_b32_e32 v9, s3
	v_add_co_u32_e64 v10, s[2:3], s2, v7
	v_addc_co_u32_e64 v9, s[2:3], v9, v8, s[2:3]
	v_lshlrev_b64 v[7:8], 3, v[2:3]
	s_ashr_i32 s27, s26, 31
	v_add_co_u32_e64 v7, s[2:3], v10, v7
	v_addc_co_u32_e64 v8, s[2:3], v9, v8, s[2:3]
	v_mov_b32_e32 v9, s19
	v_add_co_u32_e64 v7, s[2:3], s18, v7
	s_ashr_i32 s7, s6, 31
	v_addc_co_u32_e64 v8, s[2:3], v9, v8, s[2:3]
	v_cmp_gt_i32_e64 s[0:1], s24, v4
	s_lshl_b64 s[6:7], s[6:7], 7
	s_lshl_b64 s[2:3], s[26:27], 7
	v_add_u32_e32 v14, v13, v11
	v_mov_b32_e32 v9, 0
	s_xor_b64 s[12:13], vcc, -1
	s_xor_b64 s[0:1], s[0:1], -1
	v_mov_b32_e32 v17, s7
	v_mov_b32_e32 v18, s3
	;; [unrolled: 1-line block ×4, first 2 shown]
	s_branch .LBB366_3
.LBB366_2:                              ;   in Loop: Header=BB366_3 Depth=1
	s_or_b64 exec, exec, s[18:19]
	ds_write_b32 v14, v10 offset:4
	s_waitcnt lgkmcnt(0)
	s_barrier
	ds_read2_b64 v[19:22], v11 offset1:16
	ds_read_b128 v[23:26], v13
	ds_read_b128 v[27:30], v13 offset:16
	ds_read2_b64 v[31:34], v11 offset0:32 offset1:48
	v_add_co_u32_e32 v5, vcc, s6, v5
	s_waitcnt lgkmcnt(2)
	v_mul_f32_e32 v10, v24, v20
	v_mul_f32_e32 v35, v23, v20
	v_fma_f32 v10, v23, v19, -v10
	v_fmac_f32_e32 v35, v24, v19
	v_mul_f32_e32 v19, v26, v22
	v_fma_f32 v36, v25, v21, -v19
	v_mul_f32_e32 v37, v25, v22
	s_waitcnt lgkmcnt(0)
	v_mul_f32_e32 v19, v28, v32
	v_fmac_f32_e32 v37, v26, v21
	v_fma_f32 v38, v27, v31, -v19
	ds_read2_b64 v[19:22], v11 offset0:64 offset1:80
	ds_read_b128 v[23:26], v13 offset:32
	v_mul_f32_e32 v39, v27, v32
	v_fmac_f32_e32 v39, v28, v31
	v_mul_f32_e32 v27, v30, v34
	v_mul_f32_e32 v41, v29, v34
	s_waitcnt lgkmcnt(0)
	v_mul_f32_e32 v31, v24, v20
	v_fma_f32 v40, v29, v33, -v27
	v_fmac_f32_e32 v41, v30, v33
	ds_read_b128 v[27:30], v13 offset:48
	v_fma_f32 v42, v23, v19, -v31
	ds_read2_b64 v[31:34], v11 offset0:96 offset1:112
	v_mul_f32_e32 v43, v23, v20
	v_fmac_f32_e32 v43, v24, v19
	v_mul_f32_e32 v19, v26, v22
	v_fma_f32 v44, v25, v21, -v19
	v_mul_f32_e32 v45, v25, v22
	s_waitcnt lgkmcnt(0)
	v_mul_f32_e32 v19, v28, v32
	v_fmac_f32_e32 v45, v26, v21
	v_fma_f32 v46, v27, v31, -v19
	ds_read2_b64 v[19:22], v11 offset0:128 offset1:144
	ds_read_b128 v[23:26], v13 offset:64
	v_mul_f32_e32 v47, v27, v32
	v_fmac_f32_e32 v47, v28, v31
	v_mul_f32_e32 v27, v30, v34
	v_mul_f32_e32 v49, v29, v34
	s_waitcnt lgkmcnt(0)
	v_mul_f32_e32 v31, v24, v20
	v_fma_f32 v48, v29, v33, -v27
	v_fmac_f32_e32 v49, v30, v33
	ds_read_b128 v[27:30], v13 offset:80
	v_fma_f32 v50, v23, v19, -v31
	ds_read2_b64 v[31:34], v11 offset0:160 offset1:176
	v_mul_f32_e32 v51, v23, v20
	v_fmac_f32_e32 v51, v24, v19
	v_mul_f32_e32 v19, v26, v22
	v_fma_f32 v52, v25, v21, -v19
	v_mul_f32_e32 v53, v25, v22
	s_waitcnt lgkmcnt(0)
	v_mul_f32_e32 v19, v28, v32
	v_add_f32_e32 v10, v16, v10
	v_add_f32_e32 v15, v15, v35
	v_fmac_f32_e32 v53, v26, v21
	v_fma_f32 v54, v27, v31, -v19
	ds_read2_b64 v[19:22], v11 offset0:192 offset1:208
	ds_read_b128 v[23:26], v13 offset:96
	v_add_f32_e32 v10, v10, v36
	v_add_f32_e32 v15, v15, v37
	;; [unrolled: 1-line block ×8, first 2 shown]
	v_mul_f32_e32 v55, v27, v32
	v_add_f32_e32 v10, v10, v44
	v_add_f32_e32 v15, v15, v45
	v_fmac_f32_e32 v55, v28, v31
	v_mul_f32_e32 v27, v30, v34
	v_mul_f32_e32 v57, v29, v34
	s_waitcnt lgkmcnt(0)
	v_mul_f32_e32 v31, v24, v20
	v_add_f32_e32 v10, v10, v46
	v_add_f32_e32 v15, v15, v47
	v_fma_f32 v56, v29, v33, -v27
	v_fmac_f32_e32 v57, v30, v33
	ds_read_b128 v[27:30], v13 offset:112
	v_fma_f32 v58, v23, v19, -v31
	ds_read2_b64 v[31:34], v11 offset0:224 offset1:240
	v_add_f32_e32 v10, v10, v48
	v_add_f32_e32 v15, v15, v49
	;; [unrolled: 1-line block ×6, first 2 shown]
	v_mul_f32_e32 v20, v23, v20
	v_add_f32_e32 v10, v10, v54
	v_add_f32_e32 v15, v15, v55
	v_fmac_f32_e32 v20, v24, v19
	v_mul_f32_e32 v19, v26, v22
	v_mul_f32_e32 v22, v25, v22
	v_add_f32_e32 v10, v10, v56
	v_add_f32_e32 v15, v15, v57
	v_fma_f32 v19, v25, v21, -v19
	v_fmac_f32_e32 v22, v26, v21
	s_waitcnt lgkmcnt(0)
	v_mul_f32_e32 v21, v28, v32
	v_mul_f32_e32 v23, v27, v32
	v_add_f32_e32 v10, v10, v58
	v_add_f32_e32 v15, v15, v20
	v_fma_f32 v21, v27, v31, -v21
	v_fmac_f32_e32 v23, v28, v31
	v_mul_f32_e32 v24, v30, v34
	v_mul_f32_e32 v25, v29, v34
	v_add_f32_e32 v10, v10, v19
	v_add_f32_e32 v15, v15, v22
	v_addc_co_u32_e32 v6, vcc, v6, v17, vcc
	v_fma_f32 v24, v29, v33, -v24
	v_fmac_f32_e32 v25, v30, v33
	v_add_f32_e32 v10, v10, v21
	v_add_f32_e32 v15, v15, v23
	s_add_i32 s9, s9, 16
	v_add_co_u32_e32 v7, vcc, s2, v7
	v_add_f32_e32 v16, v10, v24
	v_add_f32_e32 v15, v15, v25
	s_cmp_ge_i32 s9, s25
	v_addc_co_u32_e32 v8, vcc, v8, v18, vcc
	s_barrier
	s_cbranch_scc1 .LBB366_12
.LBB366_3:                              ; =>This Inner Loop Header: Depth=1
	v_add_u32_e32 v10, s9, v1
	v_cmp_le_i32_e32 vcc, s25, v10
	s_or_b64 s[18:19], s[12:13], vcc
	s_and_saveexec_b64 s[20:21], s[18:19]
	s_xor_b64 s[18:19], exec, s[20:21]
; %bb.4:                                ;   in Loop: Header=BB366_3 Depth=1
	v_mov_b32_e32 v10, v9
	ds_write_b64 v12, v[9:10]
; %bb.5:                                ;   in Loop: Header=BB366_3 Depth=1
	s_andn2_saveexec_b64 s[18:19], s[18:19]
	s_cbranch_execz .LBB366_7
; %bb.6:                                ;   in Loop: Header=BB366_3 Depth=1
	global_load_dwordx2 v[19:20], v[7:8], off
	s_waitcnt vmcnt(0)
	ds_write_b64 v12, v[19:20]
.LBB366_7:                              ;   in Loop: Header=BB366_3 Depth=1
	s_or_b64 exec, exec, s[18:19]
	v_add_u32_e32 v10, s9, v0
	v_cmp_le_i32_e32 vcc, s25, v10
	s_or_b64 s[18:19], s[0:1], vcc
	s_and_saveexec_b64 s[20:21], s[18:19]
	s_xor_b64 s[18:19], exec, s[20:21]
; %bb.8:                                ;   in Loop: Header=BB366_3 Depth=1
	ds_write_b32 v14, v9
; %bb.9:                                ;   in Loop: Header=BB366_3 Depth=1
	s_or_saveexec_b64 s[18:19], s[18:19]
	v_mov_b32_e32 v10, 0
	s_xor_b64 exec, exec, s[18:19]
	s_cbranch_execz .LBB366_2
; %bb.10:                               ;   in Loop: Header=BB366_3 Depth=1
	global_load_dwordx2 v[19:20], v[5:6], off offset:-4
	s_waitcnt vmcnt(0)
	v_xor_b32_e32 v10, 0x80000000, v20
	ds_write_b32 v14, v19
	s_branch .LBB366_2
.LBB366_11:
	v_mov_b32_e32 v15, 0
	v_mov_b32_e32 v16, 0
.LBB366_12:
	v_cmp_le_i32_e32 vcc, v4, v2
	v_cmp_gt_i32_e64 s[0:1], s24, v2
	s_and_b64 s[0:1], vcc, s[0:1]
	s_and_saveexec_b64 s[2:3], s[0:1]
	s_cbranch_execz .LBB366_15
; %bb.13:
	s_load_dwordx2 s[0:1], s[4:5], 0x58
	s_load_dword s2, s[4:5], 0x50
	v_mul_f32_e32 v7, s16, v15
	v_fmac_f32_e32 v7, s17, v16
	s_waitcnt lgkmcnt(0)
	s_mul_i32 s1, s1, s8
	s_mul_hi_u32 s3, s0, s8
	s_add_i32 s1, s3, s1
	v_mad_i64_i32 v[0:1], s[2:3], s2, v4, 0
	s_mul_i32 s0, s0, s8
	s_lshl_b64 s[0:1], s[0:1], 3
	s_add_u32 s0, s10, s0
	v_lshlrev_b64 v[0:1], 3, v[0:1]
	s_addc_u32 s1, s11, s1
	v_mov_b32_e32 v5, s1
	v_add_co_u32_e32 v6, vcc, s0, v0
	v_addc_co_u32_e32 v5, vcc, v5, v1, vcc
	v_lshlrev_b64 v[0:1], 3, v[2:3]
	v_mul_f32_e32 v3, s17, v15
	v_add_co_u32_e32 v0, vcc, v6, v0
	v_addc_co_u32_e32 v1, vcc, v5, v1, vcc
	global_load_dwordx2 v[5:6], v[0:1], off
	v_fma_f32 v3, v16, s16, -v3
	v_cmp_eq_u32_e32 vcc, v2, v4
	s_waitcnt vmcnt(0)
	v_mul_f32_e32 v8, s15, v6
	v_mul_f32_e32 v6, s14, v6
	v_fma_f32 v8, v5, s14, -v8
	v_fmac_f32_e32 v6, s15, v5
	v_add_f32_e32 v5, v3, v8
	v_add_f32_e32 v6, v7, v6
	global_store_dwordx2 v[0:1], v[5:6], off
	s_and_b64 exec, exec, vcc
	s_cbranch_execz .LBB366_15
; %bb.14:
	v_mov_b32_e32 v2, 0
	global_store_dword v[0:1], v2, off offset:4
.LBB366_15:
	s_endpgm
	.section	.rodata,"a",@progbits
	.p2align	6, 0x0
	.amdhsa_kernel _ZL32rocblas_syrkx_herkx_small_kernelIi19rocblas_complex_numIfELi16ELb0ELb1ELc78ELc76EKS1_S1_EviT_T0_PT6_S3_lS6_S3_lS4_PT7_S3_li
		.amdhsa_group_segment_fixed_size 4096
		.amdhsa_private_segment_fixed_size 0
		.amdhsa_kernarg_size 100
		.amdhsa_user_sgpr_count 6
		.amdhsa_user_sgpr_private_segment_buffer 1
		.amdhsa_user_sgpr_dispatch_ptr 0
		.amdhsa_user_sgpr_queue_ptr 0
		.amdhsa_user_sgpr_kernarg_segment_ptr 1
		.amdhsa_user_sgpr_dispatch_id 0
		.amdhsa_user_sgpr_flat_scratch_init 0
		.amdhsa_user_sgpr_private_segment_size 0
		.amdhsa_uses_dynamic_stack 0
		.amdhsa_system_sgpr_private_segment_wavefront_offset 0
		.amdhsa_system_sgpr_workgroup_id_x 1
		.amdhsa_system_sgpr_workgroup_id_y 1
		.amdhsa_system_sgpr_workgroup_id_z 1
		.amdhsa_system_sgpr_workgroup_info 0
		.amdhsa_system_vgpr_workitem_id 1
		.amdhsa_next_free_vgpr 59
		.amdhsa_next_free_sgpr 29
		.amdhsa_reserve_vcc 1
		.amdhsa_reserve_flat_scratch 0
		.amdhsa_float_round_mode_32 0
		.amdhsa_float_round_mode_16_64 0
		.amdhsa_float_denorm_mode_32 3
		.amdhsa_float_denorm_mode_16_64 3
		.amdhsa_dx10_clamp 1
		.amdhsa_ieee_mode 1
		.amdhsa_fp16_overflow 0
		.amdhsa_exception_fp_ieee_invalid_op 0
		.amdhsa_exception_fp_denorm_src 0
		.amdhsa_exception_fp_ieee_div_zero 0
		.amdhsa_exception_fp_ieee_overflow 0
		.amdhsa_exception_fp_ieee_underflow 0
		.amdhsa_exception_fp_ieee_inexact 0
		.amdhsa_exception_int_div_zero 0
	.end_amdhsa_kernel
	.section	.text._ZL32rocblas_syrkx_herkx_small_kernelIi19rocblas_complex_numIfELi16ELb0ELb1ELc78ELc76EKS1_S1_EviT_T0_PT6_S3_lS6_S3_lS4_PT7_S3_li,"axG",@progbits,_ZL32rocblas_syrkx_herkx_small_kernelIi19rocblas_complex_numIfELi16ELb0ELb1ELc78ELc76EKS1_S1_EviT_T0_PT6_S3_lS6_S3_lS4_PT7_S3_li,comdat
.Lfunc_end366:
	.size	_ZL32rocblas_syrkx_herkx_small_kernelIi19rocblas_complex_numIfELi16ELb0ELb1ELc78ELc76EKS1_S1_EviT_T0_PT6_S3_lS6_S3_lS4_PT7_S3_li, .Lfunc_end366-_ZL32rocblas_syrkx_herkx_small_kernelIi19rocblas_complex_numIfELi16ELb0ELb1ELc78ELc76EKS1_S1_EviT_T0_PT6_S3_lS6_S3_lS4_PT7_S3_li
                                        ; -- End function
	.set _ZL32rocblas_syrkx_herkx_small_kernelIi19rocblas_complex_numIfELi16ELb0ELb1ELc78ELc76EKS1_S1_EviT_T0_PT6_S3_lS6_S3_lS4_PT7_S3_li.num_vgpr, 59
	.set _ZL32rocblas_syrkx_herkx_small_kernelIi19rocblas_complex_numIfELi16ELb0ELb1ELc78ELc76EKS1_S1_EviT_T0_PT6_S3_lS6_S3_lS4_PT7_S3_li.num_agpr, 0
	.set _ZL32rocblas_syrkx_herkx_small_kernelIi19rocblas_complex_numIfELi16ELb0ELb1ELc78ELc76EKS1_S1_EviT_T0_PT6_S3_lS6_S3_lS4_PT7_S3_li.numbered_sgpr, 29
	.set _ZL32rocblas_syrkx_herkx_small_kernelIi19rocblas_complex_numIfELi16ELb0ELb1ELc78ELc76EKS1_S1_EviT_T0_PT6_S3_lS6_S3_lS4_PT7_S3_li.num_named_barrier, 0
	.set _ZL32rocblas_syrkx_herkx_small_kernelIi19rocblas_complex_numIfELi16ELb0ELb1ELc78ELc76EKS1_S1_EviT_T0_PT6_S3_lS6_S3_lS4_PT7_S3_li.private_seg_size, 0
	.set _ZL32rocblas_syrkx_herkx_small_kernelIi19rocblas_complex_numIfELi16ELb0ELb1ELc78ELc76EKS1_S1_EviT_T0_PT6_S3_lS6_S3_lS4_PT7_S3_li.uses_vcc, 1
	.set _ZL32rocblas_syrkx_herkx_small_kernelIi19rocblas_complex_numIfELi16ELb0ELb1ELc78ELc76EKS1_S1_EviT_T0_PT6_S3_lS6_S3_lS4_PT7_S3_li.uses_flat_scratch, 0
	.set _ZL32rocblas_syrkx_herkx_small_kernelIi19rocblas_complex_numIfELi16ELb0ELb1ELc78ELc76EKS1_S1_EviT_T0_PT6_S3_lS6_S3_lS4_PT7_S3_li.has_dyn_sized_stack, 0
	.set _ZL32rocblas_syrkx_herkx_small_kernelIi19rocblas_complex_numIfELi16ELb0ELb1ELc78ELc76EKS1_S1_EviT_T0_PT6_S3_lS6_S3_lS4_PT7_S3_li.has_recursion, 0
	.set _ZL32rocblas_syrkx_herkx_small_kernelIi19rocblas_complex_numIfELi16ELb0ELb1ELc78ELc76EKS1_S1_EviT_T0_PT6_S3_lS6_S3_lS4_PT7_S3_li.has_indirect_call, 0
	.section	.AMDGPU.csdata,"",@progbits
; Kernel info:
; codeLenInByte = 1420
; TotalNumSgprs: 33
; NumVgprs: 59
; ScratchSize: 0
; MemoryBound: 1
; FloatMode: 240
; IeeeMode: 1
; LDSByteSize: 4096 bytes/workgroup (compile time only)
; SGPRBlocks: 4
; VGPRBlocks: 14
; NumSGPRsForWavesPerEU: 33
; NumVGPRsForWavesPerEU: 59
; Occupancy: 4
; WaveLimiterHint : 0
; COMPUTE_PGM_RSRC2:SCRATCH_EN: 0
; COMPUTE_PGM_RSRC2:USER_SGPR: 6
; COMPUTE_PGM_RSRC2:TRAP_HANDLER: 0
; COMPUTE_PGM_RSRC2:TGID_X_EN: 1
; COMPUTE_PGM_RSRC2:TGID_Y_EN: 1
; COMPUTE_PGM_RSRC2:TGID_Z_EN: 1
; COMPUTE_PGM_RSRC2:TIDIG_COMP_CNT: 1
	.section	.text._ZL32rocblas_syrkx_herkx_small_kernelIi19rocblas_complex_numIfELi16ELb0ELb1ELc84ELc85EKS1_S1_EviT_T0_PT6_S3_lS6_S3_lS4_PT7_S3_li,"axG",@progbits,_ZL32rocblas_syrkx_herkx_small_kernelIi19rocblas_complex_numIfELi16ELb0ELb1ELc84ELc85EKS1_S1_EviT_T0_PT6_S3_lS6_S3_lS4_PT7_S3_li,comdat
	.globl	_ZL32rocblas_syrkx_herkx_small_kernelIi19rocblas_complex_numIfELi16ELb0ELb1ELc84ELc85EKS1_S1_EviT_T0_PT6_S3_lS6_S3_lS4_PT7_S3_li ; -- Begin function _ZL32rocblas_syrkx_herkx_small_kernelIi19rocblas_complex_numIfELi16ELb0ELb1ELc84ELc85EKS1_S1_EviT_T0_PT6_S3_lS6_S3_lS4_PT7_S3_li
	.p2align	8
	.type	_ZL32rocblas_syrkx_herkx_small_kernelIi19rocblas_complex_numIfELi16ELb0ELb1ELc84ELc85EKS1_S1_EviT_T0_PT6_S3_lS6_S3_lS4_PT7_S3_li,@function
_ZL32rocblas_syrkx_herkx_small_kernelIi19rocblas_complex_numIfELi16ELb0ELb1ELc84ELc85EKS1_S1_EviT_T0_PT6_S3_lS6_S3_lS4_PT7_S3_li: ; @_ZL32rocblas_syrkx_herkx_small_kernelIi19rocblas_complex_numIfELi16ELb0ELb1ELc84ELc85EKS1_S1_EviT_T0_PT6_S3_lS6_S3_lS4_PT7_S3_li
; %bb.0:
	s_load_dwordx2 s[20:21], s[4:5], 0x0
	s_load_dwordx4 s[16:19], s[4:5], 0x8
	s_load_dwordx4 s[12:15], s[4:5], 0x38
	s_load_dwordx2 s[10:11], s[4:5], 0x48
	v_lshl_add_u32 v9, s7, 4, v1
	s_mov_b32 s9, 0
	v_lshl_add_u32 v2, s6, 4, v0
	s_waitcnt lgkmcnt(0)
	s_cmp_lt_i32 s21, 1
	v_cmp_gt_i32_e32 vcc, s20, v9
	s_cbranch_scc1 .LBB367_11
; %bb.1:
	s_load_dword s6, s[4:5], 0x18
	s_load_dwordx4 s[24:27], s[4:5], 0x20
	s_load_dword s2, s[4:5], 0x30
	v_lshlrev_b32_e32 v5, 7, v1
	v_lshlrev_b32_e32 v10, 3, v0
	v_add_u32_e32 v11, v10, v5
	v_add_u32_e32 v12, 0x800, v5
	s_waitcnt lgkmcnt(0)
	v_mad_i64_i32 v[3:4], s[2:3], s2, v9, 0
	s_mul_i32 s2, s13, s8
	s_mul_hi_u32 s3, s12, s8
	v_lshlrev_b64 v[3:4], 3, v[3:4]
	s_add_i32 s3, s3, s2
	s_mul_i32 s2, s12, s8
	s_lshl_b64 s[2:3], s[2:3], 3
	v_mov_b32_e32 v5, s3
	v_add_co_u32_e64 v6, s[2:3], s2, v3
	v_addc_co_u32_e64 v4, s[2:3], v4, v5, s[2:3]
	v_add_co_u32_e64 v5, s[2:3], v6, v10
	v_addc_co_u32_e64 v4, s[2:3], 0, v4, s[2:3]
	v_mad_i64_i32 v[7:8], s[2:3], s6, v2, 0
	v_mov_b32_e32 v6, s27
	v_add_co_u32_e64 v5, s[2:3], s26, v5
	v_addc_co_u32_e64 v6, s[2:3], v6, v4, s[2:3]
	s_mul_i32 s2, s25, s8
	s_mul_hi_u32 s3, s24, s8
	v_lshlrev_b64 v[7:8], 3, v[7:8]
	s_add_i32 s3, s3, s2
	s_mul_i32 s2, s24, s8
	s_lshl_b64 s[2:3], s[2:3], 3
	v_mov_b32_e32 v4, s3
	v_add_co_u32_e64 v7, s[2:3], s2, v7
	v_addc_co_u32_e64 v4, s[2:3], v8, v4, s[2:3]
	v_lshlrev_b32_e32 v8, 3, v1
	v_add_co_u32_e64 v7, s[2:3], v7, v8
	v_addc_co_u32_e64 v4, s[2:3], 0, v4, s[2:3]
	v_mov_b32_e32 v8, s19
	v_add_co_u32_e64 v7, s[2:3], s18, v7
	v_cmp_gt_i32_e64 s[0:1], s20, v2
	v_addc_co_u32_e64 v8, s[2:3], v8, v4, s[2:3]
	v_add_u32_e32 v13, v12, v10
	v_mov_b32_e32 v3, 0
	s_xor_b64 s[0:1], s[0:1], -1
	s_xor_b64 s[2:3], vcc, -1
	v_mov_b32_e32 v14, 0
	v_mov_b32_e32 v15, 0
	s_branch .LBB367_3
.LBB367_2:                              ;   in Loop: Header=BB367_3 Depth=1
	s_or_b64 exec, exec, s[6:7]
	s_waitcnt lgkmcnt(0)
	s_barrier
	ds_read2_b64 v[16:19], v10 offset1:16
	ds_read_b128 v[20:23], v12
	ds_read_b128 v[24:27], v12 offset:16
	ds_read2_b64 v[28:31], v10 offset0:32 offset1:48
	v_add_co_u32_e32 v5, vcc, 0x80, v5
	s_waitcnt lgkmcnt(2)
	v_mul_f32_e32 v4, v21, v17
	v_mul_f32_e32 v32, v20, v17
	v_fma_f32 v4, v20, v16, -v4
	v_fmac_f32_e32 v32, v21, v16
	v_mul_f32_e32 v16, v23, v19
	v_fma_f32 v33, v22, v18, -v16
	v_mul_f32_e32 v34, v22, v19
	s_waitcnt lgkmcnt(0)
	v_mul_f32_e32 v16, v25, v29
	v_fmac_f32_e32 v34, v23, v18
	v_fma_f32 v35, v24, v28, -v16
	ds_read2_b64 v[16:19], v10 offset0:64 offset1:80
	ds_read_b128 v[20:23], v12 offset:32
	v_mul_f32_e32 v36, v24, v29
	v_fmac_f32_e32 v36, v25, v28
	v_mul_f32_e32 v24, v27, v31
	v_mul_f32_e32 v38, v26, v31
	s_waitcnt lgkmcnt(0)
	v_mul_f32_e32 v28, v21, v17
	v_fma_f32 v37, v26, v30, -v24
	v_fmac_f32_e32 v38, v27, v30
	ds_read_b128 v[24:27], v12 offset:48
	v_fma_f32 v39, v20, v16, -v28
	ds_read2_b64 v[28:31], v10 offset0:96 offset1:112
	v_mul_f32_e32 v40, v20, v17
	v_fmac_f32_e32 v40, v21, v16
	v_mul_f32_e32 v16, v23, v19
	v_fma_f32 v41, v22, v18, -v16
	v_mul_f32_e32 v42, v22, v19
	s_waitcnt lgkmcnt(0)
	v_mul_f32_e32 v16, v25, v29
	v_fmac_f32_e32 v42, v23, v18
	v_fma_f32 v43, v24, v28, -v16
	ds_read2_b64 v[16:19], v10 offset0:128 offset1:144
	ds_read_b128 v[20:23], v12 offset:64
	v_mul_f32_e32 v44, v24, v29
	v_fmac_f32_e32 v44, v25, v28
	v_mul_f32_e32 v24, v27, v31
	v_mul_f32_e32 v46, v26, v31
	s_waitcnt lgkmcnt(0)
	v_mul_f32_e32 v28, v21, v17
	v_fma_f32 v45, v26, v30, -v24
	v_fmac_f32_e32 v46, v27, v30
	ds_read_b128 v[24:27], v12 offset:80
	v_fma_f32 v47, v20, v16, -v28
	ds_read2_b64 v[28:31], v10 offset0:160 offset1:176
	v_mul_f32_e32 v48, v20, v17
	v_add_f32_e32 v14, v14, v32
	v_fmac_f32_e32 v48, v21, v16
	v_mul_f32_e32 v16, v23, v19
	v_add_f32_e32 v14, v14, v34
	v_fma_f32 v49, v22, v18, -v16
	v_mul_f32_e32 v50, v22, v19
	s_waitcnt lgkmcnt(0)
	v_mul_f32_e32 v16, v25, v29
	v_add_f32_e32 v14, v14, v36
	v_fmac_f32_e32 v50, v23, v18
	v_fma_f32 v51, v24, v28, -v16
	ds_read2_b64 v[16:19], v10 offset0:192 offset1:208
	ds_read_b128 v[20:23], v12 offset:96
	v_add_f32_e32 v14, v14, v38
	v_add_f32_e32 v14, v14, v40
	;; [unrolled: 1-line block ×6, first 2 shown]
	v_mul_f32_e32 v29, v24, v29
	v_mul_f32_e32 v24, v27, v31
	;; [unrolled: 1-line block ×3, first 2 shown]
	v_add_f32_e32 v4, v4, v35
	v_add_f32_e32 v14, v14, v46
	v_fmac_f32_e32 v29, v25, v28
	v_fma_f32 v28, v26, v30, -v24
	v_fmac_f32_e32 v31, v27, v30
	s_waitcnt lgkmcnt(0)
	v_mul_f32_e32 v30, v21, v17
	v_add_f32_e32 v4, v4, v37
	v_add_f32_e32 v14, v14, v48
	v_fma_f32 v30, v20, v16, -v30
	v_mul_f32_e32 v20, v20, v17
	v_add_f32_e32 v4, v4, v39
	v_add_f32_e32 v14, v14, v50
	v_fmac_f32_e32 v20, v21, v16
	v_mul_f32_e32 v16, v23, v19
	v_mul_f32_e32 v19, v22, v19
	v_add_f32_e32 v4, v4, v41
	v_add_f32_e32 v14, v14, v29
	ds_read_b128 v[24:27], v12 offset:112
	v_fma_f32 v21, v22, v18, -v16
	v_fmac_f32_e32 v19, v23, v18
	v_add_f32_e32 v4, v4, v43
	v_add_f32_e32 v18, v14, v31
	ds_read2_b64 v[14:17], v10 offset0:224 offset1:240
	v_add_f32_e32 v4, v4, v45
	v_add_f32_e32 v4, v4, v47
	;; [unrolled: 1-line block ×7, first 2 shown]
	s_waitcnt lgkmcnt(0)
	v_mul_f32_e32 v19, v25, v15
	v_mul_f32_e32 v15, v24, v15
	v_add_f32_e32 v4, v4, v30
	v_fmac_f32_e32 v15, v25, v14
	v_add_f32_e32 v4, v4, v21
	v_fma_f32 v19, v24, v14, -v19
	v_add_f32_e32 v14, v18, v15
	v_mul_f32_e32 v15, v27, v17
	v_mul_f32_e32 v17, v26, v17
	v_addc_co_u32_e32 v6, vcc, 0, v6, vcc
	v_add_f32_e32 v4, v4, v19
	v_fma_f32 v15, v26, v16, -v15
	v_fmac_f32_e32 v17, v27, v16
	s_add_i32 s9, s9, 16
	v_add_co_u32_e32 v7, vcc, 0x80, v7
	v_add_f32_e32 v15, v4, v15
	v_add_f32_e32 v14, v14, v17
	s_cmp_ge_i32 s9, s21
	v_addc_co_u32_e32 v8, vcc, 0, v8, vcc
	s_barrier
	s_cbranch_scc1 .LBB367_12
.LBB367_3:                              ; =>This Inner Loop Header: Depth=1
	v_add_u32_e32 v4, s9, v1
	v_cmp_le_i32_e32 vcc, s21, v4
	s_or_b64 s[6:7], s[0:1], vcc
	s_and_saveexec_b64 s[12:13], s[6:7]
	s_xor_b64 s[6:7], exec, s[12:13]
; %bb.4:                                ;   in Loop: Header=BB367_3 Depth=1
	v_mov_b32_e32 v4, v3
	ds_write_b64 v11, v[3:4]
; %bb.5:                                ;   in Loop: Header=BB367_3 Depth=1
	s_andn2_saveexec_b64 s[6:7], s[6:7]
	s_cbranch_execz .LBB367_7
; %bb.6:                                ;   in Loop: Header=BB367_3 Depth=1
	global_load_dwordx2 v[16:17], v[7:8], off
	s_waitcnt vmcnt(0)
	ds_write_b64 v11, v[16:17]
.LBB367_7:                              ;   in Loop: Header=BB367_3 Depth=1
	s_or_b64 exec, exec, s[6:7]
	v_add_u32_e32 v4, s9, v0
	v_cmp_le_i32_e32 vcc, s21, v4
	s_or_b64 s[6:7], s[2:3], vcc
	s_and_saveexec_b64 s[12:13], s[6:7]
	s_xor_b64 s[6:7], exec, s[12:13]
; %bb.8:                                ;   in Loop: Header=BB367_3 Depth=1
	v_mov_b32_e32 v4, v3
	ds_write_b64 v13, v[3:4]
; %bb.9:                                ;   in Loop: Header=BB367_3 Depth=1
	s_andn2_saveexec_b64 s[6:7], s[6:7]
	s_cbranch_execz .LBB367_2
; %bb.10:                               ;   in Loop: Header=BB367_3 Depth=1
	global_load_dwordx2 v[16:17], v[5:6], off
	s_waitcnt vmcnt(0)
	ds_write_b64 v13, v[16:17]
	s_branch .LBB367_2
.LBB367_11:
	v_mov_b32_e32 v14, 0
	v_mov_b32_e32 v15, 0
.LBB367_12:
	v_cmp_le_i32_e32 vcc, v2, v9
	v_cmp_gt_i32_e64 s[0:1], s20, v9
	s_and_b64 s[0:1], vcc, s[0:1]
	s_and_saveexec_b64 s[2:3], s[0:1]
	s_cbranch_execz .LBB367_15
; %bb.13:
	s_load_dwordx2 s[0:1], s[4:5], 0x58
	s_load_dword s2, s[4:5], 0x50
	v_ashrrev_i32_e32 v3, 31, v2
	v_mul_f32_e32 v6, s16, v14
	v_fmac_f32_e32 v6, s17, v15
	s_waitcnt lgkmcnt(0)
	s_mul_i32 s1, s1, s8
	s_mul_hi_u32 s3, s0, s8
	s_add_i32 s1, s3, s1
	v_mad_i64_i32 v[0:1], s[2:3], s2, v9, 0
	s_mul_i32 s0, s0, s8
	s_lshl_b64 s[0:1], s[0:1], 3
	s_add_u32 s0, s10, s0
	v_lshlrev_b64 v[0:1], 3, v[0:1]
	s_addc_u32 s1, s11, s1
	v_mov_b32_e32 v4, s1
	v_add_co_u32_e32 v5, vcc, s0, v0
	v_addc_co_u32_e32 v4, vcc, v4, v1, vcc
	v_lshlrev_b64 v[0:1], 3, v[2:3]
	v_add_co_u32_e32 v0, vcc, v5, v0
	v_addc_co_u32_e32 v1, vcc, v4, v1, vcc
	global_load_dwordx2 v[3:4], v[0:1], off
	v_mul_f32_e32 v5, s17, v14
	v_fma_f32 v5, v15, s16, -v5
	v_cmp_eq_u32_e32 vcc, v2, v9
	s_waitcnt vmcnt(0)
	v_mul_f32_e32 v7, s15, v4
	v_mul_f32_e32 v4, s14, v4
	v_fma_f32 v7, v3, s14, -v7
	v_fmac_f32_e32 v4, s15, v3
	v_add_f32_e32 v3, v5, v7
	v_add_f32_e32 v4, v6, v4
	global_store_dwordx2 v[0:1], v[3:4], off
	s_and_b64 exec, exec, vcc
	s_cbranch_execz .LBB367_15
; %bb.14:
	v_mov_b32_e32 v2, 0
	global_store_dword v[0:1], v2, off offset:4
.LBB367_15:
	s_endpgm
	.section	.rodata,"a",@progbits
	.p2align	6, 0x0
	.amdhsa_kernel _ZL32rocblas_syrkx_herkx_small_kernelIi19rocblas_complex_numIfELi16ELb0ELb1ELc84ELc85EKS1_S1_EviT_T0_PT6_S3_lS6_S3_lS4_PT7_S3_li
		.amdhsa_group_segment_fixed_size 4096
		.amdhsa_private_segment_fixed_size 0
		.amdhsa_kernarg_size 100
		.amdhsa_user_sgpr_count 6
		.amdhsa_user_sgpr_private_segment_buffer 1
		.amdhsa_user_sgpr_dispatch_ptr 0
		.amdhsa_user_sgpr_queue_ptr 0
		.amdhsa_user_sgpr_kernarg_segment_ptr 1
		.amdhsa_user_sgpr_dispatch_id 0
		.amdhsa_user_sgpr_flat_scratch_init 0
		.amdhsa_user_sgpr_private_segment_size 0
		.amdhsa_uses_dynamic_stack 0
		.amdhsa_system_sgpr_private_segment_wavefront_offset 0
		.amdhsa_system_sgpr_workgroup_id_x 1
		.amdhsa_system_sgpr_workgroup_id_y 1
		.amdhsa_system_sgpr_workgroup_id_z 1
		.amdhsa_system_sgpr_workgroup_info 0
		.amdhsa_system_vgpr_workitem_id 1
		.amdhsa_next_free_vgpr 52
		.amdhsa_next_free_sgpr 28
		.amdhsa_reserve_vcc 1
		.amdhsa_reserve_flat_scratch 0
		.amdhsa_float_round_mode_32 0
		.amdhsa_float_round_mode_16_64 0
		.amdhsa_float_denorm_mode_32 3
		.amdhsa_float_denorm_mode_16_64 3
		.amdhsa_dx10_clamp 1
		.amdhsa_ieee_mode 1
		.amdhsa_fp16_overflow 0
		.amdhsa_exception_fp_ieee_invalid_op 0
		.amdhsa_exception_fp_denorm_src 0
		.amdhsa_exception_fp_ieee_div_zero 0
		.amdhsa_exception_fp_ieee_overflow 0
		.amdhsa_exception_fp_ieee_underflow 0
		.amdhsa_exception_fp_ieee_inexact 0
		.amdhsa_exception_int_div_zero 0
	.end_amdhsa_kernel
	.section	.text._ZL32rocblas_syrkx_herkx_small_kernelIi19rocblas_complex_numIfELi16ELb0ELb1ELc84ELc85EKS1_S1_EviT_T0_PT6_S3_lS6_S3_lS4_PT7_S3_li,"axG",@progbits,_ZL32rocblas_syrkx_herkx_small_kernelIi19rocblas_complex_numIfELi16ELb0ELb1ELc84ELc85EKS1_S1_EviT_T0_PT6_S3_lS6_S3_lS4_PT7_S3_li,comdat
.Lfunc_end367:
	.size	_ZL32rocblas_syrkx_herkx_small_kernelIi19rocblas_complex_numIfELi16ELb0ELb1ELc84ELc85EKS1_S1_EviT_T0_PT6_S3_lS6_S3_lS4_PT7_S3_li, .Lfunc_end367-_ZL32rocblas_syrkx_herkx_small_kernelIi19rocblas_complex_numIfELi16ELb0ELb1ELc84ELc85EKS1_S1_EviT_T0_PT6_S3_lS6_S3_lS4_PT7_S3_li
                                        ; -- End function
	.set _ZL32rocblas_syrkx_herkx_small_kernelIi19rocblas_complex_numIfELi16ELb0ELb1ELc84ELc85EKS1_S1_EviT_T0_PT6_S3_lS6_S3_lS4_PT7_S3_li.num_vgpr, 52
	.set _ZL32rocblas_syrkx_herkx_small_kernelIi19rocblas_complex_numIfELi16ELb0ELb1ELc84ELc85EKS1_S1_EviT_T0_PT6_S3_lS6_S3_lS4_PT7_S3_li.num_agpr, 0
	.set _ZL32rocblas_syrkx_herkx_small_kernelIi19rocblas_complex_numIfELi16ELb0ELb1ELc84ELc85EKS1_S1_EviT_T0_PT6_S3_lS6_S3_lS4_PT7_S3_li.numbered_sgpr, 28
	.set _ZL32rocblas_syrkx_herkx_small_kernelIi19rocblas_complex_numIfELi16ELb0ELb1ELc84ELc85EKS1_S1_EviT_T0_PT6_S3_lS6_S3_lS4_PT7_S3_li.num_named_barrier, 0
	.set _ZL32rocblas_syrkx_herkx_small_kernelIi19rocblas_complex_numIfELi16ELb0ELb1ELc84ELc85EKS1_S1_EviT_T0_PT6_S3_lS6_S3_lS4_PT7_S3_li.private_seg_size, 0
	.set _ZL32rocblas_syrkx_herkx_small_kernelIi19rocblas_complex_numIfELi16ELb0ELb1ELc84ELc85EKS1_S1_EviT_T0_PT6_S3_lS6_S3_lS4_PT7_S3_li.uses_vcc, 1
	.set _ZL32rocblas_syrkx_herkx_small_kernelIi19rocblas_complex_numIfELi16ELb0ELb1ELc84ELc85EKS1_S1_EviT_T0_PT6_S3_lS6_S3_lS4_PT7_S3_li.uses_flat_scratch, 0
	.set _ZL32rocblas_syrkx_herkx_small_kernelIi19rocblas_complex_numIfELi16ELb0ELb1ELc84ELc85EKS1_S1_EviT_T0_PT6_S3_lS6_S3_lS4_PT7_S3_li.has_dyn_sized_stack, 0
	.set _ZL32rocblas_syrkx_herkx_small_kernelIi19rocblas_complex_numIfELi16ELb0ELb1ELc84ELc85EKS1_S1_EviT_T0_PT6_S3_lS6_S3_lS4_PT7_S3_li.has_recursion, 0
	.set _ZL32rocblas_syrkx_herkx_small_kernelIi19rocblas_complex_numIfELi16ELb0ELb1ELc84ELc85EKS1_S1_EviT_T0_PT6_S3_lS6_S3_lS4_PT7_S3_li.has_indirect_call, 0
	.section	.AMDGPU.csdata,"",@progbits
; Kernel info:
; codeLenInByte = 1352
; TotalNumSgprs: 32
; NumVgprs: 52
; ScratchSize: 0
; MemoryBound: 1
; FloatMode: 240
; IeeeMode: 1
; LDSByteSize: 4096 bytes/workgroup (compile time only)
; SGPRBlocks: 3
; VGPRBlocks: 12
; NumSGPRsForWavesPerEU: 32
; NumVGPRsForWavesPerEU: 52
; Occupancy: 4
; WaveLimiterHint : 0
; COMPUTE_PGM_RSRC2:SCRATCH_EN: 0
; COMPUTE_PGM_RSRC2:USER_SGPR: 6
; COMPUTE_PGM_RSRC2:TRAP_HANDLER: 0
; COMPUTE_PGM_RSRC2:TGID_X_EN: 1
; COMPUTE_PGM_RSRC2:TGID_Y_EN: 1
; COMPUTE_PGM_RSRC2:TGID_Z_EN: 1
; COMPUTE_PGM_RSRC2:TIDIG_COMP_CNT: 1
	.section	.text._ZL32rocblas_syrkx_herkx_small_kernelIi19rocblas_complex_numIfELi16ELb0ELb1ELc67ELc85EKS1_S1_EviT_T0_PT6_S3_lS6_S3_lS4_PT7_S3_li,"axG",@progbits,_ZL32rocblas_syrkx_herkx_small_kernelIi19rocblas_complex_numIfELi16ELb0ELb1ELc67ELc85EKS1_S1_EviT_T0_PT6_S3_lS6_S3_lS4_PT7_S3_li,comdat
	.globl	_ZL32rocblas_syrkx_herkx_small_kernelIi19rocblas_complex_numIfELi16ELb0ELb1ELc67ELc85EKS1_S1_EviT_T0_PT6_S3_lS6_S3_lS4_PT7_S3_li ; -- Begin function _ZL32rocblas_syrkx_herkx_small_kernelIi19rocblas_complex_numIfELi16ELb0ELb1ELc67ELc85EKS1_S1_EviT_T0_PT6_S3_lS6_S3_lS4_PT7_S3_li
	.p2align	8
	.type	_ZL32rocblas_syrkx_herkx_small_kernelIi19rocblas_complex_numIfELi16ELb0ELb1ELc67ELc85EKS1_S1_EviT_T0_PT6_S3_lS6_S3_lS4_PT7_S3_li,@function
_ZL32rocblas_syrkx_herkx_small_kernelIi19rocblas_complex_numIfELi16ELb0ELb1ELc67ELc85EKS1_S1_EviT_T0_PT6_S3_lS6_S3_lS4_PT7_S3_li: ; @_ZL32rocblas_syrkx_herkx_small_kernelIi19rocblas_complex_numIfELi16ELb0ELb1ELc67ELc85EKS1_S1_EviT_T0_PT6_S3_lS6_S3_lS4_PT7_S3_li
; %bb.0:
	s_load_dwordx2 s[20:21], s[4:5], 0x0
	s_load_dwordx4 s[16:19], s[4:5], 0x8
	s_load_dwordx4 s[12:15], s[4:5], 0x38
	s_load_dwordx2 s[10:11], s[4:5], 0x48
	v_lshl_add_u32 v9, s7, 4, v1
	s_mov_b32 s9, 0
	v_lshl_add_u32 v2, s6, 4, v0
	s_waitcnt lgkmcnt(0)
	s_cmp_lt_i32 s21, 1
	v_cmp_gt_i32_e32 vcc, s20, v9
	s_cbranch_scc1 .LBB368_11
; %bb.1:
	s_load_dword s6, s[4:5], 0x18
	s_load_dwordx4 s[24:27], s[4:5], 0x20
	s_load_dword s2, s[4:5], 0x30
	v_lshlrev_b32_e32 v5, 7, v1
	v_lshlrev_b32_e32 v10, 3, v0
	v_add_u32_e32 v11, v10, v5
	v_add_u32_e32 v12, 0x800, v5
	s_waitcnt lgkmcnt(0)
	v_mad_i64_i32 v[3:4], s[2:3], s2, v9, 0
	s_mul_i32 s2, s13, s8
	s_mul_hi_u32 s3, s12, s8
	v_lshlrev_b64 v[3:4], 3, v[3:4]
	s_add_i32 s3, s3, s2
	s_mul_i32 s2, s12, s8
	s_lshl_b64 s[2:3], s[2:3], 3
	v_mov_b32_e32 v5, s3
	v_add_co_u32_e64 v6, s[2:3], s2, v3
	v_addc_co_u32_e64 v4, s[2:3], v4, v5, s[2:3]
	v_add_co_u32_e64 v5, s[2:3], v6, v10
	v_addc_co_u32_e64 v4, s[2:3], 0, v4, s[2:3]
	v_mad_i64_i32 v[7:8], s[2:3], s6, v2, 0
	v_mov_b32_e32 v6, s27
	v_add_co_u32_e64 v5, s[2:3], s26, v5
	v_addc_co_u32_e64 v6, s[2:3], v6, v4, s[2:3]
	s_mul_i32 s2, s25, s8
	s_mul_hi_u32 s3, s24, s8
	v_lshlrev_b64 v[7:8], 3, v[7:8]
	s_add_i32 s3, s3, s2
	s_mul_i32 s2, s24, s8
	s_lshl_b64 s[2:3], s[2:3], 3
	v_mov_b32_e32 v4, s3
	v_add_co_u32_e64 v7, s[2:3], s2, v7
	v_addc_co_u32_e64 v4, s[2:3], v8, v4, s[2:3]
	v_lshlrev_b32_e32 v8, 3, v1
	v_add_co_u32_e64 v7, s[2:3], v7, v8
	v_addc_co_u32_e64 v4, s[2:3], 0, v4, s[2:3]
	v_mov_b32_e32 v8, s19
	v_add_co_u32_e64 v7, s[2:3], s18, v7
	v_addc_co_u32_e64 v4, s[2:3], v8, v4, s[2:3]
	v_add_co_u32_e64 v7, s[2:3], 4, v7
	v_cmp_gt_i32_e64 s[0:1], s20, v2
	v_addc_co_u32_e64 v8, s[2:3], 0, v4, s[2:3]
	v_add_u32_e32 v13, v12, v10
	v_mov_b32_e32 v3, 0
	s_xor_b64 s[0:1], s[0:1], -1
	s_xor_b64 s[2:3], vcc, -1
	v_mov_b32_e32 v14, 0
	v_mov_b32_e32 v15, 0
	s_branch .LBB368_3
.LBB368_2:                              ;   in Loop: Header=BB368_3 Depth=1
	s_or_b64 exec, exec, s[6:7]
	s_waitcnt lgkmcnt(0)
	s_barrier
	ds_read2_b64 v[16:19], v10 offset1:16
	ds_read_b128 v[20:23], v12
	ds_read_b128 v[24:27], v12 offset:16
	ds_read2_b64 v[28:31], v10 offset0:32 offset1:48
	v_add_co_u32_e32 v5, vcc, 0x80, v5
	s_waitcnt lgkmcnt(2)
	v_mul_f32_e32 v4, v21, v17
	v_mul_f32_e32 v32, v20, v17
	v_fma_f32 v4, v20, v16, -v4
	v_fmac_f32_e32 v32, v21, v16
	v_mul_f32_e32 v16, v23, v19
	v_fma_f32 v33, v22, v18, -v16
	v_mul_f32_e32 v34, v22, v19
	s_waitcnt lgkmcnt(0)
	v_mul_f32_e32 v16, v25, v29
	v_fmac_f32_e32 v34, v23, v18
	v_fma_f32 v35, v24, v28, -v16
	ds_read2_b64 v[16:19], v10 offset0:64 offset1:80
	ds_read_b128 v[20:23], v12 offset:32
	v_mul_f32_e32 v36, v24, v29
	v_fmac_f32_e32 v36, v25, v28
	v_mul_f32_e32 v24, v27, v31
	v_mul_f32_e32 v38, v26, v31
	s_waitcnt lgkmcnt(0)
	v_mul_f32_e32 v28, v21, v17
	v_fma_f32 v37, v26, v30, -v24
	v_fmac_f32_e32 v38, v27, v30
	ds_read_b128 v[24:27], v12 offset:48
	v_fma_f32 v39, v20, v16, -v28
	ds_read2_b64 v[28:31], v10 offset0:96 offset1:112
	v_mul_f32_e32 v40, v20, v17
	v_fmac_f32_e32 v40, v21, v16
	v_mul_f32_e32 v16, v23, v19
	v_fma_f32 v41, v22, v18, -v16
	v_mul_f32_e32 v42, v22, v19
	s_waitcnt lgkmcnt(0)
	v_mul_f32_e32 v16, v25, v29
	v_fmac_f32_e32 v42, v23, v18
	v_fma_f32 v43, v24, v28, -v16
	ds_read2_b64 v[16:19], v10 offset0:128 offset1:144
	ds_read_b128 v[20:23], v12 offset:64
	v_mul_f32_e32 v44, v24, v29
	v_fmac_f32_e32 v44, v25, v28
	v_mul_f32_e32 v24, v27, v31
	v_mul_f32_e32 v46, v26, v31
	s_waitcnt lgkmcnt(0)
	v_mul_f32_e32 v28, v21, v17
	v_fma_f32 v45, v26, v30, -v24
	v_fmac_f32_e32 v46, v27, v30
	ds_read_b128 v[24:27], v12 offset:80
	v_fma_f32 v47, v20, v16, -v28
	ds_read2_b64 v[28:31], v10 offset0:160 offset1:176
	v_mul_f32_e32 v48, v20, v17
	v_add_f32_e32 v14, v14, v32
	v_fmac_f32_e32 v48, v21, v16
	v_mul_f32_e32 v16, v23, v19
	v_add_f32_e32 v14, v14, v34
	v_fma_f32 v49, v22, v18, -v16
	v_mul_f32_e32 v50, v22, v19
	s_waitcnt lgkmcnt(0)
	v_mul_f32_e32 v16, v25, v29
	v_add_f32_e32 v14, v14, v36
	v_fmac_f32_e32 v50, v23, v18
	v_fma_f32 v51, v24, v28, -v16
	ds_read2_b64 v[16:19], v10 offset0:192 offset1:208
	ds_read_b128 v[20:23], v12 offset:96
	v_add_f32_e32 v14, v14, v38
	v_add_f32_e32 v14, v14, v40
	;; [unrolled: 1-line block ×6, first 2 shown]
	v_mul_f32_e32 v29, v24, v29
	v_mul_f32_e32 v24, v27, v31
	;; [unrolled: 1-line block ×3, first 2 shown]
	v_add_f32_e32 v4, v4, v35
	v_add_f32_e32 v14, v14, v46
	v_fmac_f32_e32 v29, v25, v28
	v_fma_f32 v28, v26, v30, -v24
	v_fmac_f32_e32 v31, v27, v30
	s_waitcnt lgkmcnt(0)
	v_mul_f32_e32 v30, v21, v17
	v_add_f32_e32 v4, v4, v37
	v_add_f32_e32 v14, v14, v48
	v_fma_f32 v30, v20, v16, -v30
	v_mul_f32_e32 v20, v20, v17
	v_add_f32_e32 v4, v4, v39
	v_add_f32_e32 v14, v14, v50
	v_fmac_f32_e32 v20, v21, v16
	v_mul_f32_e32 v16, v23, v19
	v_mul_f32_e32 v19, v22, v19
	v_add_f32_e32 v4, v4, v41
	v_add_f32_e32 v14, v14, v29
	ds_read_b128 v[24:27], v12 offset:112
	v_fma_f32 v21, v22, v18, -v16
	v_fmac_f32_e32 v19, v23, v18
	v_add_f32_e32 v4, v4, v43
	v_add_f32_e32 v18, v14, v31
	ds_read2_b64 v[14:17], v10 offset0:224 offset1:240
	v_add_f32_e32 v4, v4, v45
	v_add_f32_e32 v4, v4, v47
	;; [unrolled: 1-line block ×7, first 2 shown]
	s_waitcnt lgkmcnt(0)
	v_mul_f32_e32 v19, v25, v15
	v_mul_f32_e32 v15, v24, v15
	v_add_f32_e32 v4, v4, v30
	v_fmac_f32_e32 v15, v25, v14
	v_add_f32_e32 v4, v4, v21
	v_fma_f32 v19, v24, v14, -v19
	v_add_f32_e32 v14, v18, v15
	v_mul_f32_e32 v15, v27, v17
	v_mul_f32_e32 v17, v26, v17
	v_addc_co_u32_e32 v6, vcc, 0, v6, vcc
	v_add_f32_e32 v4, v4, v19
	v_fma_f32 v15, v26, v16, -v15
	v_fmac_f32_e32 v17, v27, v16
	s_add_i32 s9, s9, 16
	v_add_co_u32_e32 v7, vcc, 0x80, v7
	v_add_f32_e32 v15, v4, v15
	v_add_f32_e32 v14, v14, v17
	s_cmp_ge_i32 s9, s21
	v_addc_co_u32_e32 v8, vcc, 0, v8, vcc
	s_barrier
	s_cbranch_scc1 .LBB368_12
.LBB368_3:                              ; =>This Inner Loop Header: Depth=1
	v_add_u32_e32 v4, s9, v1
	v_cmp_le_i32_e32 vcc, s21, v4
	s_or_b64 s[6:7], s[0:1], vcc
	s_and_saveexec_b64 s[12:13], s[6:7]
	s_xor_b64 s[6:7], exec, s[12:13]
; %bb.4:                                ;   in Loop: Header=BB368_3 Depth=1
	ds_write_b32 v11, v3
; %bb.5:                                ;   in Loop: Header=BB368_3 Depth=1
	s_or_saveexec_b64 s[6:7], s[6:7]
	v_mov_b32_e32 v4, 0
	s_xor_b64 exec, exec, s[6:7]
	s_cbranch_execz .LBB368_7
; %bb.6:                                ;   in Loop: Header=BB368_3 Depth=1
	global_load_dwordx2 v[16:17], v[7:8], off offset:-4
	s_waitcnt vmcnt(0)
	v_xor_b32_e32 v4, 0x80000000, v17
	ds_write_b32 v11, v16
.LBB368_7:                              ;   in Loop: Header=BB368_3 Depth=1
	s_or_b64 exec, exec, s[6:7]
	ds_write_b32 v11, v4 offset:4
	v_add_u32_e32 v4, s9, v0
	v_cmp_le_i32_e32 vcc, s21, v4
	s_or_b64 s[6:7], s[2:3], vcc
	s_and_saveexec_b64 s[12:13], s[6:7]
	s_xor_b64 s[6:7], exec, s[12:13]
; %bb.8:                                ;   in Loop: Header=BB368_3 Depth=1
	v_mov_b32_e32 v4, v3
	ds_write_b64 v13, v[3:4]
; %bb.9:                                ;   in Loop: Header=BB368_3 Depth=1
	s_andn2_saveexec_b64 s[6:7], s[6:7]
	s_cbranch_execz .LBB368_2
; %bb.10:                               ;   in Loop: Header=BB368_3 Depth=1
	global_load_dwordx2 v[16:17], v[5:6], off
	s_waitcnt vmcnt(0)
	ds_write_b64 v13, v[16:17]
	s_branch .LBB368_2
.LBB368_11:
	v_mov_b32_e32 v14, 0
	v_mov_b32_e32 v15, 0
.LBB368_12:
	v_cmp_le_i32_e32 vcc, v2, v9
	v_cmp_gt_i32_e64 s[0:1], s20, v9
	s_and_b64 s[0:1], vcc, s[0:1]
	s_and_saveexec_b64 s[2:3], s[0:1]
	s_cbranch_execz .LBB368_15
; %bb.13:
	s_load_dwordx2 s[0:1], s[4:5], 0x58
	s_load_dword s2, s[4:5], 0x50
	v_ashrrev_i32_e32 v3, 31, v2
	v_mul_f32_e32 v6, s16, v14
	v_fmac_f32_e32 v6, s17, v15
	s_waitcnt lgkmcnt(0)
	s_mul_i32 s1, s1, s8
	s_mul_hi_u32 s3, s0, s8
	s_add_i32 s1, s3, s1
	v_mad_i64_i32 v[0:1], s[2:3], s2, v9, 0
	s_mul_i32 s0, s0, s8
	s_lshl_b64 s[0:1], s[0:1], 3
	s_add_u32 s0, s10, s0
	v_lshlrev_b64 v[0:1], 3, v[0:1]
	s_addc_u32 s1, s11, s1
	v_mov_b32_e32 v4, s1
	v_add_co_u32_e32 v5, vcc, s0, v0
	v_addc_co_u32_e32 v4, vcc, v4, v1, vcc
	v_lshlrev_b64 v[0:1], 3, v[2:3]
	v_add_co_u32_e32 v0, vcc, v5, v0
	v_addc_co_u32_e32 v1, vcc, v4, v1, vcc
	global_load_dwordx2 v[3:4], v[0:1], off
	v_mul_f32_e32 v5, s17, v14
	v_fma_f32 v5, v15, s16, -v5
	v_cmp_eq_u32_e32 vcc, v2, v9
	s_waitcnt vmcnt(0)
	v_mul_f32_e32 v7, s15, v4
	v_mul_f32_e32 v4, s14, v4
	v_fma_f32 v7, v3, s14, -v7
	v_fmac_f32_e32 v4, s15, v3
	v_add_f32_e32 v3, v5, v7
	v_add_f32_e32 v4, v6, v4
	global_store_dwordx2 v[0:1], v[3:4], off
	s_and_b64 exec, exec, vcc
	s_cbranch_execz .LBB368_15
; %bb.14:
	v_mov_b32_e32 v2, 0
	global_store_dword v[0:1], v2, off offset:4
.LBB368_15:
	s_endpgm
	.section	.rodata,"a",@progbits
	.p2align	6, 0x0
	.amdhsa_kernel _ZL32rocblas_syrkx_herkx_small_kernelIi19rocblas_complex_numIfELi16ELb0ELb1ELc67ELc85EKS1_S1_EviT_T0_PT6_S3_lS6_S3_lS4_PT7_S3_li
		.amdhsa_group_segment_fixed_size 4096
		.amdhsa_private_segment_fixed_size 0
		.amdhsa_kernarg_size 100
		.amdhsa_user_sgpr_count 6
		.amdhsa_user_sgpr_private_segment_buffer 1
		.amdhsa_user_sgpr_dispatch_ptr 0
		.amdhsa_user_sgpr_queue_ptr 0
		.amdhsa_user_sgpr_kernarg_segment_ptr 1
		.amdhsa_user_sgpr_dispatch_id 0
		.amdhsa_user_sgpr_flat_scratch_init 0
		.amdhsa_user_sgpr_private_segment_size 0
		.amdhsa_uses_dynamic_stack 0
		.amdhsa_system_sgpr_private_segment_wavefront_offset 0
		.amdhsa_system_sgpr_workgroup_id_x 1
		.amdhsa_system_sgpr_workgroup_id_y 1
		.amdhsa_system_sgpr_workgroup_id_z 1
		.amdhsa_system_sgpr_workgroup_info 0
		.amdhsa_system_vgpr_workitem_id 1
		.amdhsa_next_free_vgpr 52
		.amdhsa_next_free_sgpr 28
		.amdhsa_reserve_vcc 1
		.amdhsa_reserve_flat_scratch 0
		.amdhsa_float_round_mode_32 0
		.amdhsa_float_round_mode_16_64 0
		.amdhsa_float_denorm_mode_32 3
		.amdhsa_float_denorm_mode_16_64 3
		.amdhsa_dx10_clamp 1
		.amdhsa_ieee_mode 1
		.amdhsa_fp16_overflow 0
		.amdhsa_exception_fp_ieee_invalid_op 0
		.amdhsa_exception_fp_denorm_src 0
		.amdhsa_exception_fp_ieee_div_zero 0
		.amdhsa_exception_fp_ieee_overflow 0
		.amdhsa_exception_fp_ieee_underflow 0
		.amdhsa_exception_fp_ieee_inexact 0
		.amdhsa_exception_int_div_zero 0
	.end_amdhsa_kernel
	.section	.text._ZL32rocblas_syrkx_herkx_small_kernelIi19rocblas_complex_numIfELi16ELb0ELb1ELc67ELc85EKS1_S1_EviT_T0_PT6_S3_lS6_S3_lS4_PT7_S3_li,"axG",@progbits,_ZL32rocblas_syrkx_herkx_small_kernelIi19rocblas_complex_numIfELi16ELb0ELb1ELc67ELc85EKS1_S1_EviT_T0_PT6_S3_lS6_S3_lS4_PT7_S3_li,comdat
.Lfunc_end368:
	.size	_ZL32rocblas_syrkx_herkx_small_kernelIi19rocblas_complex_numIfELi16ELb0ELb1ELc67ELc85EKS1_S1_EviT_T0_PT6_S3_lS6_S3_lS4_PT7_S3_li, .Lfunc_end368-_ZL32rocblas_syrkx_herkx_small_kernelIi19rocblas_complex_numIfELi16ELb0ELb1ELc67ELc85EKS1_S1_EviT_T0_PT6_S3_lS6_S3_lS4_PT7_S3_li
                                        ; -- End function
	.set _ZL32rocblas_syrkx_herkx_small_kernelIi19rocblas_complex_numIfELi16ELb0ELb1ELc67ELc85EKS1_S1_EviT_T0_PT6_S3_lS6_S3_lS4_PT7_S3_li.num_vgpr, 52
	.set _ZL32rocblas_syrkx_herkx_small_kernelIi19rocblas_complex_numIfELi16ELb0ELb1ELc67ELc85EKS1_S1_EviT_T0_PT6_S3_lS6_S3_lS4_PT7_S3_li.num_agpr, 0
	.set _ZL32rocblas_syrkx_herkx_small_kernelIi19rocblas_complex_numIfELi16ELb0ELb1ELc67ELc85EKS1_S1_EviT_T0_PT6_S3_lS6_S3_lS4_PT7_S3_li.numbered_sgpr, 28
	.set _ZL32rocblas_syrkx_herkx_small_kernelIi19rocblas_complex_numIfELi16ELb0ELb1ELc67ELc85EKS1_S1_EviT_T0_PT6_S3_lS6_S3_lS4_PT7_S3_li.num_named_barrier, 0
	.set _ZL32rocblas_syrkx_herkx_small_kernelIi19rocblas_complex_numIfELi16ELb0ELb1ELc67ELc85EKS1_S1_EviT_T0_PT6_S3_lS6_S3_lS4_PT7_S3_li.private_seg_size, 0
	.set _ZL32rocblas_syrkx_herkx_small_kernelIi19rocblas_complex_numIfELi16ELb0ELb1ELc67ELc85EKS1_S1_EviT_T0_PT6_S3_lS6_S3_lS4_PT7_S3_li.uses_vcc, 1
	.set _ZL32rocblas_syrkx_herkx_small_kernelIi19rocblas_complex_numIfELi16ELb0ELb1ELc67ELc85EKS1_S1_EviT_T0_PT6_S3_lS6_S3_lS4_PT7_S3_li.uses_flat_scratch, 0
	.set _ZL32rocblas_syrkx_herkx_small_kernelIi19rocblas_complex_numIfELi16ELb0ELb1ELc67ELc85EKS1_S1_EviT_T0_PT6_S3_lS6_S3_lS4_PT7_S3_li.has_dyn_sized_stack, 0
	.set _ZL32rocblas_syrkx_herkx_small_kernelIi19rocblas_complex_numIfELi16ELb0ELb1ELc67ELc85EKS1_S1_EviT_T0_PT6_S3_lS6_S3_lS4_PT7_S3_li.has_recursion, 0
	.set _ZL32rocblas_syrkx_herkx_small_kernelIi19rocblas_complex_numIfELi16ELb0ELb1ELc67ELc85EKS1_S1_EviT_T0_PT6_S3_lS6_S3_lS4_PT7_S3_li.has_indirect_call, 0
	.section	.AMDGPU.csdata,"",@progbits
; Kernel info:
; codeLenInByte = 1388
; TotalNumSgprs: 32
; NumVgprs: 52
; ScratchSize: 0
; MemoryBound: 1
; FloatMode: 240
; IeeeMode: 1
; LDSByteSize: 4096 bytes/workgroup (compile time only)
; SGPRBlocks: 3
; VGPRBlocks: 12
; NumSGPRsForWavesPerEU: 32
; NumVGPRsForWavesPerEU: 52
; Occupancy: 4
; WaveLimiterHint : 0
; COMPUTE_PGM_RSRC2:SCRATCH_EN: 0
; COMPUTE_PGM_RSRC2:USER_SGPR: 6
; COMPUTE_PGM_RSRC2:TRAP_HANDLER: 0
; COMPUTE_PGM_RSRC2:TGID_X_EN: 1
; COMPUTE_PGM_RSRC2:TGID_Y_EN: 1
; COMPUTE_PGM_RSRC2:TGID_Z_EN: 1
; COMPUTE_PGM_RSRC2:TIDIG_COMP_CNT: 1
	.section	.text._ZL32rocblas_syrkx_herkx_small_kernelIi19rocblas_complex_numIfELi16ELb0ELb1ELc78ELc85EKS1_S1_EviT_T0_PT6_S3_lS6_S3_lS4_PT7_S3_li,"axG",@progbits,_ZL32rocblas_syrkx_herkx_small_kernelIi19rocblas_complex_numIfELi16ELb0ELb1ELc78ELc85EKS1_S1_EviT_T0_PT6_S3_lS6_S3_lS4_PT7_S3_li,comdat
	.globl	_ZL32rocblas_syrkx_herkx_small_kernelIi19rocblas_complex_numIfELi16ELb0ELb1ELc78ELc85EKS1_S1_EviT_T0_PT6_S3_lS6_S3_lS4_PT7_S3_li ; -- Begin function _ZL32rocblas_syrkx_herkx_small_kernelIi19rocblas_complex_numIfELi16ELb0ELb1ELc78ELc85EKS1_S1_EviT_T0_PT6_S3_lS6_S3_lS4_PT7_S3_li
	.p2align	8
	.type	_ZL32rocblas_syrkx_herkx_small_kernelIi19rocblas_complex_numIfELi16ELb0ELb1ELc78ELc85EKS1_S1_EviT_T0_PT6_S3_lS6_S3_lS4_PT7_S3_li,@function
_ZL32rocblas_syrkx_herkx_small_kernelIi19rocblas_complex_numIfELi16ELb0ELb1ELc78ELc85EKS1_S1_EviT_T0_PT6_S3_lS6_S3_lS4_PT7_S3_li: ; @_ZL32rocblas_syrkx_herkx_small_kernelIi19rocblas_complex_numIfELi16ELb0ELb1ELc78ELc85EKS1_S1_EviT_T0_PT6_S3_lS6_S3_lS4_PT7_S3_li
; %bb.0:
	s_load_dwordx2 s[24:25], s[4:5], 0x0
	s_load_dwordx4 s[16:19], s[4:5], 0x8
	s_load_dwordx4 s[12:15], s[4:5], 0x38
	s_load_dwordx2 s[10:11], s[4:5], 0x48
	v_lshl_add_u32 v2, s6, 4, v0
	v_lshl_add_u32 v4, s7, 4, v1
	s_mov_b32 s9, 0
	s_waitcnt lgkmcnt(0)
	s_cmp_lt_i32 s25, 1
	v_ashrrev_i32_e32 v3, 31, v2
	v_cmp_gt_i32_e32 vcc, s24, v4
	s_cbranch_scc1 .LBB369_11
; %bb.1:
	s_load_dword s26, s[4:5], 0x18
	s_load_dword s6, s[4:5], 0x30
	s_load_dwordx4 s[20:23], s[4:5], 0x20
	s_mul_i32 s13, s13, s8
	s_mul_hi_u32 s28, s12, s8
	v_lshlrev_b32_e32 v5, 7, v1
	s_waitcnt lgkmcnt(0)
	v_mad_i64_i32 v[6:7], s[2:3], s6, v0, 0
	v_lshlrev_b32_e32 v11, 3, v0
	s_add_i32 s3, s28, s13
	s_mul_i32 s2, s12, s8
	v_lshlrev_b64 v[6:7], 3, v[6:7]
	v_add_u32_e32 v12, v11, v5
	v_add_u32_e32 v13, 0x800, v5
	v_ashrrev_i32_e32 v5, 31, v4
	s_lshl_b64 s[2:3], s[2:3], 3
	v_mov_b32_e32 v8, s3
	v_add_co_u32_e64 v9, s[2:3], s2, v6
	v_lshlrev_b64 v[5:6], 3, v[4:5]
	v_addc_co_u32_e64 v7, s[2:3], v8, v7, s[2:3]
	v_add_co_u32_e64 v5, s[2:3], v9, v5
	v_addc_co_u32_e64 v6, s[2:3], v7, v6, s[2:3]
	v_mov_b32_e32 v7, s23
	v_add_co_u32_e64 v5, s[2:3], s22, v5
	v_addc_co_u32_e64 v6, s[2:3], v7, v6, s[2:3]
	v_add_co_u32_e64 v5, s[2:3], 4, v5
	v_addc_co_u32_e64 v6, s[2:3], 0, v6, s[2:3]
	v_mad_i64_i32 v[7:8], s[2:3], s26, v1, 0
	s_mul_i32 s12, s21, s8
	s_mul_hi_u32 s13, s20, s8
	s_add_i32 s3, s13, s12
	s_mul_i32 s2, s20, s8
	v_lshlrev_b64 v[7:8], 3, v[7:8]
	s_lshl_b64 s[2:3], s[2:3], 3
	v_mov_b32_e32 v9, s3
	v_add_co_u32_e64 v10, s[2:3], s2, v7
	v_addc_co_u32_e64 v9, s[2:3], v9, v8, s[2:3]
	v_lshlrev_b64 v[7:8], 3, v[2:3]
	s_ashr_i32 s27, s26, 31
	v_add_co_u32_e64 v7, s[2:3], v10, v7
	v_addc_co_u32_e64 v8, s[2:3], v9, v8, s[2:3]
	v_mov_b32_e32 v9, s19
	v_add_co_u32_e64 v7, s[2:3], s18, v7
	s_ashr_i32 s7, s6, 31
	v_addc_co_u32_e64 v8, s[2:3], v9, v8, s[2:3]
	v_cmp_gt_i32_e64 s[0:1], s24, v2
	s_lshl_b64 s[6:7], s[6:7], 7
	s_lshl_b64 s[2:3], s[26:27], 7
	v_add_u32_e32 v14, v13, v11
	v_mov_b32_e32 v9, 0
	s_xor_b64 s[0:1], s[0:1], -1
	s_xor_b64 s[12:13], vcc, -1
	v_mov_b32_e32 v17, s7
	v_mov_b32_e32 v18, s3
	;; [unrolled: 1-line block ×4, first 2 shown]
	s_branch .LBB369_3
.LBB369_2:                              ;   in Loop: Header=BB369_3 Depth=1
	s_or_b64 exec, exec, s[18:19]
	ds_write_b32 v14, v10 offset:4
	s_waitcnt lgkmcnt(0)
	s_barrier
	ds_read2_b64 v[19:22], v11 offset1:16
	ds_read_b128 v[23:26], v13
	ds_read_b128 v[27:30], v13 offset:16
	ds_read2_b64 v[31:34], v11 offset0:32 offset1:48
	v_add_co_u32_e32 v5, vcc, s6, v5
	s_waitcnt lgkmcnt(2)
	v_mul_f32_e32 v10, v24, v20
	v_mul_f32_e32 v35, v23, v20
	v_fma_f32 v10, v23, v19, -v10
	v_fmac_f32_e32 v35, v24, v19
	v_mul_f32_e32 v19, v26, v22
	v_fma_f32 v36, v25, v21, -v19
	v_mul_f32_e32 v37, v25, v22
	s_waitcnt lgkmcnt(0)
	v_mul_f32_e32 v19, v28, v32
	v_fmac_f32_e32 v37, v26, v21
	v_fma_f32 v38, v27, v31, -v19
	ds_read2_b64 v[19:22], v11 offset0:64 offset1:80
	ds_read_b128 v[23:26], v13 offset:32
	v_mul_f32_e32 v39, v27, v32
	v_fmac_f32_e32 v39, v28, v31
	v_mul_f32_e32 v27, v30, v34
	v_mul_f32_e32 v41, v29, v34
	s_waitcnt lgkmcnt(0)
	v_mul_f32_e32 v31, v24, v20
	v_fma_f32 v40, v29, v33, -v27
	v_fmac_f32_e32 v41, v30, v33
	ds_read_b128 v[27:30], v13 offset:48
	v_fma_f32 v42, v23, v19, -v31
	ds_read2_b64 v[31:34], v11 offset0:96 offset1:112
	v_mul_f32_e32 v43, v23, v20
	v_fmac_f32_e32 v43, v24, v19
	v_mul_f32_e32 v19, v26, v22
	v_fma_f32 v44, v25, v21, -v19
	v_mul_f32_e32 v45, v25, v22
	s_waitcnt lgkmcnt(0)
	v_mul_f32_e32 v19, v28, v32
	v_fmac_f32_e32 v45, v26, v21
	v_fma_f32 v46, v27, v31, -v19
	ds_read2_b64 v[19:22], v11 offset0:128 offset1:144
	ds_read_b128 v[23:26], v13 offset:64
	v_mul_f32_e32 v47, v27, v32
	v_fmac_f32_e32 v47, v28, v31
	v_mul_f32_e32 v27, v30, v34
	v_mul_f32_e32 v49, v29, v34
	s_waitcnt lgkmcnt(0)
	v_mul_f32_e32 v31, v24, v20
	v_fma_f32 v48, v29, v33, -v27
	v_fmac_f32_e32 v49, v30, v33
	ds_read_b128 v[27:30], v13 offset:80
	v_fma_f32 v50, v23, v19, -v31
	ds_read2_b64 v[31:34], v11 offset0:160 offset1:176
	v_mul_f32_e32 v51, v23, v20
	v_fmac_f32_e32 v51, v24, v19
	v_mul_f32_e32 v19, v26, v22
	v_fma_f32 v52, v25, v21, -v19
	v_mul_f32_e32 v53, v25, v22
	s_waitcnt lgkmcnt(0)
	v_mul_f32_e32 v19, v28, v32
	v_add_f32_e32 v10, v16, v10
	v_add_f32_e32 v15, v15, v35
	v_fmac_f32_e32 v53, v26, v21
	v_fma_f32 v54, v27, v31, -v19
	ds_read2_b64 v[19:22], v11 offset0:192 offset1:208
	ds_read_b128 v[23:26], v13 offset:96
	v_add_f32_e32 v10, v10, v36
	v_add_f32_e32 v15, v15, v37
	;; [unrolled: 1-line block ×8, first 2 shown]
	v_mul_f32_e32 v55, v27, v32
	v_add_f32_e32 v10, v10, v44
	v_add_f32_e32 v15, v15, v45
	v_fmac_f32_e32 v55, v28, v31
	v_mul_f32_e32 v27, v30, v34
	v_mul_f32_e32 v57, v29, v34
	s_waitcnt lgkmcnt(0)
	v_mul_f32_e32 v31, v24, v20
	v_add_f32_e32 v10, v10, v46
	v_add_f32_e32 v15, v15, v47
	v_fma_f32 v56, v29, v33, -v27
	v_fmac_f32_e32 v57, v30, v33
	ds_read_b128 v[27:30], v13 offset:112
	v_fma_f32 v58, v23, v19, -v31
	ds_read2_b64 v[31:34], v11 offset0:224 offset1:240
	v_add_f32_e32 v10, v10, v48
	v_add_f32_e32 v15, v15, v49
	;; [unrolled: 1-line block ×6, first 2 shown]
	v_mul_f32_e32 v20, v23, v20
	v_add_f32_e32 v10, v10, v54
	v_add_f32_e32 v15, v15, v55
	v_fmac_f32_e32 v20, v24, v19
	v_mul_f32_e32 v19, v26, v22
	v_mul_f32_e32 v22, v25, v22
	v_add_f32_e32 v10, v10, v56
	v_add_f32_e32 v15, v15, v57
	v_fma_f32 v19, v25, v21, -v19
	v_fmac_f32_e32 v22, v26, v21
	s_waitcnt lgkmcnt(0)
	v_mul_f32_e32 v21, v28, v32
	v_mul_f32_e32 v23, v27, v32
	v_add_f32_e32 v10, v10, v58
	v_add_f32_e32 v15, v15, v20
	v_fma_f32 v21, v27, v31, -v21
	v_fmac_f32_e32 v23, v28, v31
	v_mul_f32_e32 v24, v30, v34
	v_mul_f32_e32 v25, v29, v34
	v_add_f32_e32 v10, v10, v19
	v_add_f32_e32 v15, v15, v22
	v_addc_co_u32_e32 v6, vcc, v6, v17, vcc
	v_fma_f32 v24, v29, v33, -v24
	v_fmac_f32_e32 v25, v30, v33
	v_add_f32_e32 v10, v10, v21
	v_add_f32_e32 v15, v15, v23
	s_add_i32 s9, s9, 16
	v_add_co_u32_e32 v7, vcc, s2, v7
	v_add_f32_e32 v16, v10, v24
	v_add_f32_e32 v15, v15, v25
	s_cmp_ge_i32 s9, s25
	v_addc_co_u32_e32 v8, vcc, v8, v18, vcc
	s_barrier
	s_cbranch_scc1 .LBB369_12
.LBB369_3:                              ; =>This Inner Loop Header: Depth=1
	v_add_u32_e32 v10, s9, v1
	v_cmp_le_i32_e32 vcc, s25, v10
	s_or_b64 s[18:19], s[0:1], vcc
	s_and_saveexec_b64 s[20:21], s[18:19]
	s_xor_b64 s[18:19], exec, s[20:21]
; %bb.4:                                ;   in Loop: Header=BB369_3 Depth=1
	v_mov_b32_e32 v10, v9
	ds_write_b64 v12, v[9:10]
; %bb.5:                                ;   in Loop: Header=BB369_3 Depth=1
	s_andn2_saveexec_b64 s[18:19], s[18:19]
	s_cbranch_execz .LBB369_7
; %bb.6:                                ;   in Loop: Header=BB369_3 Depth=1
	global_load_dwordx2 v[19:20], v[7:8], off
	s_waitcnt vmcnt(0)
	ds_write_b64 v12, v[19:20]
.LBB369_7:                              ;   in Loop: Header=BB369_3 Depth=1
	s_or_b64 exec, exec, s[18:19]
	v_add_u32_e32 v10, s9, v0
	v_cmp_le_i32_e32 vcc, s25, v10
	s_or_b64 s[18:19], s[12:13], vcc
	s_and_saveexec_b64 s[20:21], s[18:19]
	s_xor_b64 s[18:19], exec, s[20:21]
; %bb.8:                                ;   in Loop: Header=BB369_3 Depth=1
	ds_write_b32 v14, v9
; %bb.9:                                ;   in Loop: Header=BB369_3 Depth=1
	s_or_saveexec_b64 s[18:19], s[18:19]
	v_mov_b32_e32 v10, 0
	s_xor_b64 exec, exec, s[18:19]
	s_cbranch_execz .LBB369_2
; %bb.10:                               ;   in Loop: Header=BB369_3 Depth=1
	global_load_dwordx2 v[19:20], v[5:6], off offset:-4
	s_waitcnt vmcnt(0)
	v_xor_b32_e32 v10, 0x80000000, v20
	ds_write_b32 v14, v19
	s_branch .LBB369_2
.LBB369_11:
	v_mov_b32_e32 v15, 0
	v_mov_b32_e32 v16, 0
.LBB369_12:
	v_cmp_le_i32_e32 vcc, v2, v4
	v_cmp_gt_i32_e64 s[0:1], s24, v4
	s_and_b64 s[0:1], vcc, s[0:1]
	s_and_saveexec_b64 s[2:3], s[0:1]
	s_cbranch_execz .LBB369_15
; %bb.13:
	s_load_dwordx2 s[0:1], s[4:5], 0x58
	s_load_dword s2, s[4:5], 0x50
	v_mul_f32_e32 v7, s16, v15
	v_fmac_f32_e32 v7, s17, v16
	s_waitcnt lgkmcnt(0)
	s_mul_i32 s1, s1, s8
	s_mul_hi_u32 s3, s0, s8
	s_add_i32 s1, s3, s1
	v_mad_i64_i32 v[0:1], s[2:3], s2, v4, 0
	s_mul_i32 s0, s0, s8
	s_lshl_b64 s[0:1], s[0:1], 3
	s_add_u32 s0, s10, s0
	v_lshlrev_b64 v[0:1], 3, v[0:1]
	s_addc_u32 s1, s11, s1
	v_mov_b32_e32 v5, s1
	v_add_co_u32_e32 v6, vcc, s0, v0
	v_addc_co_u32_e32 v5, vcc, v5, v1, vcc
	v_lshlrev_b64 v[0:1], 3, v[2:3]
	v_mul_f32_e32 v3, s17, v15
	v_add_co_u32_e32 v0, vcc, v6, v0
	v_addc_co_u32_e32 v1, vcc, v5, v1, vcc
	global_load_dwordx2 v[5:6], v[0:1], off
	v_fma_f32 v3, v16, s16, -v3
	v_cmp_eq_u32_e32 vcc, v2, v4
	s_waitcnt vmcnt(0)
	v_mul_f32_e32 v8, s15, v6
	v_mul_f32_e32 v6, s14, v6
	v_fma_f32 v8, v5, s14, -v8
	v_fmac_f32_e32 v6, s15, v5
	v_add_f32_e32 v5, v3, v8
	v_add_f32_e32 v6, v7, v6
	global_store_dwordx2 v[0:1], v[5:6], off
	s_and_b64 exec, exec, vcc
	s_cbranch_execz .LBB369_15
; %bb.14:
	v_mov_b32_e32 v2, 0
	global_store_dword v[0:1], v2, off offset:4
.LBB369_15:
	s_endpgm
	.section	.rodata,"a",@progbits
	.p2align	6, 0x0
	.amdhsa_kernel _ZL32rocblas_syrkx_herkx_small_kernelIi19rocblas_complex_numIfELi16ELb0ELb1ELc78ELc85EKS1_S1_EviT_T0_PT6_S3_lS6_S3_lS4_PT7_S3_li
		.amdhsa_group_segment_fixed_size 4096
		.amdhsa_private_segment_fixed_size 0
		.amdhsa_kernarg_size 100
		.amdhsa_user_sgpr_count 6
		.amdhsa_user_sgpr_private_segment_buffer 1
		.amdhsa_user_sgpr_dispatch_ptr 0
		.amdhsa_user_sgpr_queue_ptr 0
		.amdhsa_user_sgpr_kernarg_segment_ptr 1
		.amdhsa_user_sgpr_dispatch_id 0
		.amdhsa_user_sgpr_flat_scratch_init 0
		.amdhsa_user_sgpr_private_segment_size 0
		.amdhsa_uses_dynamic_stack 0
		.amdhsa_system_sgpr_private_segment_wavefront_offset 0
		.amdhsa_system_sgpr_workgroup_id_x 1
		.amdhsa_system_sgpr_workgroup_id_y 1
		.amdhsa_system_sgpr_workgroup_id_z 1
		.amdhsa_system_sgpr_workgroup_info 0
		.amdhsa_system_vgpr_workitem_id 1
		.amdhsa_next_free_vgpr 59
		.amdhsa_next_free_sgpr 29
		.amdhsa_reserve_vcc 1
		.amdhsa_reserve_flat_scratch 0
		.amdhsa_float_round_mode_32 0
		.amdhsa_float_round_mode_16_64 0
		.amdhsa_float_denorm_mode_32 3
		.amdhsa_float_denorm_mode_16_64 3
		.amdhsa_dx10_clamp 1
		.amdhsa_ieee_mode 1
		.amdhsa_fp16_overflow 0
		.amdhsa_exception_fp_ieee_invalid_op 0
		.amdhsa_exception_fp_denorm_src 0
		.amdhsa_exception_fp_ieee_div_zero 0
		.amdhsa_exception_fp_ieee_overflow 0
		.amdhsa_exception_fp_ieee_underflow 0
		.amdhsa_exception_fp_ieee_inexact 0
		.amdhsa_exception_int_div_zero 0
	.end_amdhsa_kernel
	.section	.text._ZL32rocblas_syrkx_herkx_small_kernelIi19rocblas_complex_numIfELi16ELb0ELb1ELc78ELc85EKS1_S1_EviT_T0_PT6_S3_lS6_S3_lS4_PT7_S3_li,"axG",@progbits,_ZL32rocblas_syrkx_herkx_small_kernelIi19rocblas_complex_numIfELi16ELb0ELb1ELc78ELc85EKS1_S1_EviT_T0_PT6_S3_lS6_S3_lS4_PT7_S3_li,comdat
.Lfunc_end369:
	.size	_ZL32rocblas_syrkx_herkx_small_kernelIi19rocblas_complex_numIfELi16ELb0ELb1ELc78ELc85EKS1_S1_EviT_T0_PT6_S3_lS6_S3_lS4_PT7_S3_li, .Lfunc_end369-_ZL32rocblas_syrkx_herkx_small_kernelIi19rocblas_complex_numIfELi16ELb0ELb1ELc78ELc85EKS1_S1_EviT_T0_PT6_S3_lS6_S3_lS4_PT7_S3_li
                                        ; -- End function
	.set _ZL32rocblas_syrkx_herkx_small_kernelIi19rocblas_complex_numIfELi16ELb0ELb1ELc78ELc85EKS1_S1_EviT_T0_PT6_S3_lS6_S3_lS4_PT7_S3_li.num_vgpr, 59
	.set _ZL32rocblas_syrkx_herkx_small_kernelIi19rocblas_complex_numIfELi16ELb0ELb1ELc78ELc85EKS1_S1_EviT_T0_PT6_S3_lS6_S3_lS4_PT7_S3_li.num_agpr, 0
	.set _ZL32rocblas_syrkx_herkx_small_kernelIi19rocblas_complex_numIfELi16ELb0ELb1ELc78ELc85EKS1_S1_EviT_T0_PT6_S3_lS6_S3_lS4_PT7_S3_li.numbered_sgpr, 29
	.set _ZL32rocblas_syrkx_herkx_small_kernelIi19rocblas_complex_numIfELi16ELb0ELb1ELc78ELc85EKS1_S1_EviT_T0_PT6_S3_lS6_S3_lS4_PT7_S3_li.num_named_barrier, 0
	.set _ZL32rocblas_syrkx_herkx_small_kernelIi19rocblas_complex_numIfELi16ELb0ELb1ELc78ELc85EKS1_S1_EviT_T0_PT6_S3_lS6_S3_lS4_PT7_S3_li.private_seg_size, 0
	.set _ZL32rocblas_syrkx_herkx_small_kernelIi19rocblas_complex_numIfELi16ELb0ELb1ELc78ELc85EKS1_S1_EviT_T0_PT6_S3_lS6_S3_lS4_PT7_S3_li.uses_vcc, 1
	.set _ZL32rocblas_syrkx_herkx_small_kernelIi19rocblas_complex_numIfELi16ELb0ELb1ELc78ELc85EKS1_S1_EviT_T0_PT6_S3_lS6_S3_lS4_PT7_S3_li.uses_flat_scratch, 0
	.set _ZL32rocblas_syrkx_herkx_small_kernelIi19rocblas_complex_numIfELi16ELb0ELb1ELc78ELc85EKS1_S1_EviT_T0_PT6_S3_lS6_S3_lS4_PT7_S3_li.has_dyn_sized_stack, 0
	.set _ZL32rocblas_syrkx_herkx_small_kernelIi19rocblas_complex_numIfELi16ELb0ELb1ELc78ELc85EKS1_S1_EviT_T0_PT6_S3_lS6_S3_lS4_PT7_S3_li.has_recursion, 0
	.set _ZL32rocblas_syrkx_herkx_small_kernelIi19rocblas_complex_numIfELi16ELb0ELb1ELc78ELc85EKS1_S1_EviT_T0_PT6_S3_lS6_S3_lS4_PT7_S3_li.has_indirect_call, 0
	.section	.AMDGPU.csdata,"",@progbits
; Kernel info:
; codeLenInByte = 1420
; TotalNumSgprs: 33
; NumVgprs: 59
; ScratchSize: 0
; MemoryBound: 1
; FloatMode: 240
; IeeeMode: 1
; LDSByteSize: 4096 bytes/workgroup (compile time only)
; SGPRBlocks: 4
; VGPRBlocks: 14
; NumSGPRsForWavesPerEU: 33
; NumVGPRsForWavesPerEU: 59
; Occupancy: 4
; WaveLimiterHint : 0
; COMPUTE_PGM_RSRC2:SCRATCH_EN: 0
; COMPUTE_PGM_RSRC2:USER_SGPR: 6
; COMPUTE_PGM_RSRC2:TRAP_HANDLER: 0
; COMPUTE_PGM_RSRC2:TGID_X_EN: 1
; COMPUTE_PGM_RSRC2:TGID_Y_EN: 1
; COMPUTE_PGM_RSRC2:TGID_Z_EN: 1
; COMPUTE_PGM_RSRC2:TIDIG_COMP_CNT: 1
	.section	.text._ZL34rocblas_syrkx_herkx_general_kernelIi19rocblas_complex_numIfELi16ELi32ELi8ELb1ELb1ELc84ELc76EKS1_S1_EviT_T0_PT8_S3_lS6_S3_lS4_PT9_S3_li,"axG",@progbits,_ZL34rocblas_syrkx_herkx_general_kernelIi19rocblas_complex_numIfELi16ELi32ELi8ELb1ELb1ELc84ELc76EKS1_S1_EviT_T0_PT8_S3_lS6_S3_lS4_PT9_S3_li,comdat
	.globl	_ZL34rocblas_syrkx_herkx_general_kernelIi19rocblas_complex_numIfELi16ELi32ELi8ELb1ELb1ELc84ELc76EKS1_S1_EviT_T0_PT8_S3_lS6_S3_lS4_PT9_S3_li ; -- Begin function _ZL34rocblas_syrkx_herkx_general_kernelIi19rocblas_complex_numIfELi16ELi32ELi8ELb1ELb1ELc84ELc76EKS1_S1_EviT_T0_PT8_S3_lS6_S3_lS4_PT9_S3_li
	.p2align	8
	.type	_ZL34rocblas_syrkx_herkx_general_kernelIi19rocblas_complex_numIfELi16ELi32ELi8ELb1ELb1ELc84ELc76EKS1_S1_EviT_T0_PT8_S3_lS6_S3_lS4_PT9_S3_li,@function
_ZL34rocblas_syrkx_herkx_general_kernelIi19rocblas_complex_numIfELi16ELi32ELi8ELb1ELb1ELc84ELc76EKS1_S1_EviT_T0_PT8_S3_lS6_S3_lS4_PT9_S3_li: ; @_ZL34rocblas_syrkx_herkx_general_kernelIi19rocblas_complex_numIfELi16ELi32ELi8ELb1ELb1ELc84ELc76EKS1_S1_EviT_T0_PT8_S3_lS6_S3_lS4_PT9_S3_li
; %bb.0:
	s_load_dwordx2 s[10:11], s[4:5], 0x0
	s_load_dwordx4 s[12:15], s[4:5], 0x8
	s_lshl_b32 s9, s6, 5
	s_lshl_b32 s20, s7, 5
	s_mov_b32 s21, 0
	s_waitcnt lgkmcnt(0)
	s_cmp_lt_i32 s11, 1
	s_cbranch_scc1 .LBB370_11
; %bb.1:
	v_lshl_add_u32 v2, v1, 4, v0
	v_and_b32_e32 v8, 7, v0
	v_lshrrev_b32_e32 v9, 5, v2
	v_lshrrev_b32_e32 v3, 3, v2
	v_and_b32_e32 v2, 31, v2
	s_load_dword s2, s[4:5], 0x18
	s_load_dwordx4 s[16:19], s[4:5], 0x20
	s_load_dword s22, s[4:5], 0x30
	s_load_dwordx2 s[6:7], s[4:5], 0x38
	v_or_b32_e32 v5, s9, v2
	v_lshlrev_b32_e32 v6, 3, v8
	v_add_u32_e32 v4, s20, v3
	v_cmp_gt_i32_e32 vcc, s10, v5
	v_lshlrev_b32_e32 v5, 3, v2
	v_lshl_or_b32 v3, v3, 6, v6
	v_add_u32_e32 v2, s9, v2
	v_add_u32_e32 v11, 0x800, v3
	s_waitcnt lgkmcnt(0)
	v_mad_i64_i32 v[2:3], s[2:3], s2, v2, 0
	s_mul_i32 s2, s17, s8
	s_mul_hi_u32 s3, s16, s8
	v_lshlrev_b64 v[2:3], 3, v[2:3]
	s_add_i32 s3, s3, s2
	s_mul_i32 s2, s16, s8
	v_lshl_or_b32 v10, v9, 8, v5
	v_mov_b32_e32 v5, 0x800
	s_lshl_b64 s[2:3], s[2:3], 3
	v_lshl_add_u32 v13, v1, 6, v5
	v_mov_b32_e32 v5, s3
	v_add_co_u32_e64 v2, s[2:3], s2, v2
	v_addc_co_u32_e64 v3, s[2:3], v3, v5, s[2:3]
	v_lshlrev_b32_e32 v5, 3, v9
	v_add_co_u32_e64 v2, s[2:3], v2, v5
	v_cmp_gt_i32_e64 s[0:1], s10, v4
	v_addc_co_u32_e64 v3, s[2:3], 0, v3, s[2:3]
	v_mad_i64_i32 v[4:5], s[2:3], s22, v4, 0
	v_mov_b32_e32 v7, s15
	v_add_co_u32_e64 v2, s[2:3], s14, v2
	v_addc_co_u32_e64 v3, s[2:3], v7, v3, s[2:3]
	s_mul_i32 s2, s7, s8
	s_mul_hi_u32 s3, s6, s8
	v_lshlrev_b64 v[4:5], 3, v[4:5]
	s_add_i32 s3, s3, s2
	s_mul_i32 s2, s6, s8
	s_lshl_b64 s[2:3], s[2:3], 3
	v_mov_b32_e32 v7, s3
	v_add_co_u32_e64 v4, s[2:3], s2, v4
	v_addc_co_u32_e64 v5, s[2:3], v5, v7, s[2:3]
	v_add_co_u32_e64 v4, s[2:3], v4, v6
	v_addc_co_u32_e64 v5, s[2:3], 0, v5, s[2:3]
	v_mov_b32_e32 v6, s19
	v_add_co_u32_e64 v4, s[2:3], s18, v4
	v_addc_co_u32_e64 v5, s[2:3], v6, v5, s[2:3]
	v_lshlrev_b32_e32 v12, 3, v0
	s_xor_b64 s[2:3], vcc, -1
	s_xor_b64 s[0:1], s[0:1], -1
	v_mov_b32_e32 v17, 0
	v_mov_b32_e32 v16, 0
	v_mov_b32_e32 v15, 0
	v_mov_b32_e32 v14, 0
	v_mov_b32_e32 v19, 0
	v_mov_b32_e32 v18, 0
	v_mov_b32_e32 v21, 0
	v_mov_b32_e32 v20, 0
	v_mov_b32_e32 v6, 0
	s_branch .LBB370_3
.LBB370_2:                              ;   in Loop: Header=BB370_3 Depth=1
	s_or_b64 exec, exec, s[6:7]
	s_waitcnt lgkmcnt(0)
	s_barrier
	ds_read2_b64 v[22:25], v12 offset1:16
	ds_read_b128 v[26:29], v13
	ds_read_b128 v[30:33], v13 offset:16
	v_add_co_u32_e32 v2, vcc, 64, v2
	v_addc_co_u32_e32 v3, vcc, 0, v3, vcc
	s_waitcnt lgkmcnt(1)
	v_mul_f32_e32 v34, v26, v23
	v_fmac_f32_e32 v34, v27, v22
	v_add_f32_e32 v46, v21, v34
	ds_read_b128 v[34:37], v13 offset:1024
	v_mul_f32_e32 v7, v27, v23
	v_fma_f32 v7, v26, v22, -v7
	v_add_f32_e32 v7, v20, v7
	v_mul_f32_e32 v20, v27, v25
	v_mul_f32_e32 v21, v26, v25
	v_fma_f32 v20, v26, v24, -v20
	v_fmac_f32_e32 v21, v27, v24
	v_add_f32_e32 v26, v18, v20
	v_add_f32_e32 v27, v19, v21
	ds_read_b128 v[18:21], v13 offset:1040
	s_waitcnt lgkmcnt(1)
	v_mul_f32_e32 v38, v35, v23
	v_mul_f32_e32 v23, v34, v23
	v_fma_f32 v38, v34, v22, -v38
	v_fmac_f32_e32 v23, v35, v22
	v_mul_f32_e32 v22, v35, v25
	v_fma_f32 v47, v34, v24, -v22
	v_mul_f32_e32 v34, v34, v25
	v_add_f32_e32 v14, v14, v38
	v_add_f32_e32 v15, v15, v23
	v_fmac_f32_e32 v34, v35, v24
	ds_read2_b64 v[22:25], v12 offset0:32 offset1:48
	ds_read_b128 v[38:41], v13 offset:32
	ds_read_b128 v[42:45], v13 offset:48
	v_add_f32_e32 v35, v16, v47
	v_add_f32_e32 v34, v17, v34
	s_waitcnt lgkmcnt(2)
	v_mul_f32_e32 v16, v29, v23
	v_fma_f32 v16, v28, v22, -v16
	v_mul_f32_e32 v17, v28, v23
	v_fmac_f32_e32 v17, v29, v22
	v_add_f32_e32 v7, v7, v16
	v_mul_f32_e32 v16, v29, v25
	v_add_f32_e32 v46, v46, v17
	v_fma_f32 v16, v28, v24, -v16
	v_mul_f32_e32 v17, v28, v25
	v_fmac_f32_e32 v17, v29, v24
	v_add_f32_e32 v26, v26, v16
	v_mul_f32_e32 v16, v37, v23
	v_add_f32_e32 v27, v27, v17
	;; [unrolled: 6-line block ×3, first 2 shown]
	v_fma_f32 v28, v36, v24, -v14
	ds_read2_b64 v[14:17], v12 offset0:64 offset1:80
	v_mul_f32_e32 v25, v36, v25
	v_fmac_f32_e32 v25, v37, v24
	v_add_f32_e32 v29, v34, v25
	v_add_f32_e32 v28, v35, v28
	s_waitcnt lgkmcnt(0)
	v_mul_f32_e32 v24, v31, v15
	v_fma_f32 v24, v30, v14, -v24
	v_add_f32_e32 v7, v7, v24
	v_mul_f32_e32 v24, v31, v17
	v_mul_f32_e32 v25, v30, v15
	v_fma_f32 v24, v30, v16, -v24
	v_fmac_f32_e32 v25, v31, v14
	v_add_f32_e32 v26, v26, v24
	v_mul_f32_e32 v24, v19, v15
	v_add_f32_e32 v34, v46, v25
	v_mul_f32_e32 v25, v30, v17
	v_fma_f32 v24, v18, v14, -v24
	v_mul_f32_e32 v15, v18, v15
	v_fmac_f32_e32 v25, v31, v16
	v_fmac_f32_e32 v15, v19, v14
	v_add_f32_e32 v14, v22, v24
	v_mul_f32_e32 v22, v19, v17
	v_add_f32_e32 v27, v27, v25
	v_add_f32_e32 v15, v23, v15
	v_fma_f32 v30, v18, v16, -v22
	ds_read2_b64 v[22:25], v12 offset0:96 offset1:112
	v_mul_f32_e32 v17, v18, v17
	v_fmac_f32_e32 v17, v19, v16
	v_add_f32_e32 v19, v29, v17
	v_add_f32_e32 v18, v28, v30
	s_waitcnt lgkmcnt(0)
	v_mul_f32_e32 v16, v33, v23
	v_fma_f32 v16, v32, v22, -v16
	v_mul_f32_e32 v17, v32, v23
	v_fmac_f32_e32 v17, v33, v22
	v_add_f32_e32 v7, v7, v16
	v_mul_f32_e32 v16, v33, v25
	v_add_f32_e32 v28, v34, v17
	v_fma_f32 v16, v32, v24, -v16
	v_mul_f32_e32 v17, v32, v25
	v_fmac_f32_e32 v17, v33, v24
	v_add_f32_e32 v26, v26, v16
	v_mul_f32_e32 v16, v21, v23
	v_add_f32_e32 v27, v27, v17
	;; [unrolled: 6-line block ×3, first 2 shown]
	v_fma_f32 v22, v20, v24, -v14
	ds_read2_b64 v[14:17], v12 offset0:128 offset1:144
	v_mul_f32_e32 v20, v20, v25
	v_fmac_f32_e32 v20, v21, v24
	v_add_f32_e32 v31, v18, v22
	v_add_f32_e32 v32, v19, v20
	s_waitcnt lgkmcnt(0)
	v_mul_f32_e32 v18, v39, v15
	v_fma_f32 v18, v38, v14, -v18
	v_mul_f32_e32 v19, v38, v15
	v_fmac_f32_e32 v19, v39, v14
	v_add_f32_e32 v7, v7, v18
	v_mul_f32_e32 v18, v39, v17
	v_add_f32_e32 v33, v28, v19
	v_fma_f32 v22, v38, v16, -v18
	ds_read_b128 v[18:21], v13 offset:1056
	v_mul_f32_e32 v23, v38, v17
	v_fmac_f32_e32 v23, v39, v16
	v_add_f32_e32 v34, v26, v22
	v_add_f32_e32 v35, v27, v23
	ds_read_b128 v[22:25], v13 offset:1072
	s_waitcnt lgkmcnt(1)
	v_mul_f32_e32 v26, v19, v15
	v_fma_f32 v26, v18, v14, -v26
	v_mul_f32_e32 v15, v18, v15
	v_fmac_f32_e32 v15, v19, v14
	v_add_f32_e32 v14, v29, v26
	v_mul_f32_e32 v26, v19, v17
	v_add_f32_e32 v15, v30, v15
	v_fma_f32 v30, v18, v16, -v26
	ds_read2_b64 v[26:29], v12 offset0:160 offset1:176
	v_mul_f32_e32 v17, v18, v17
	v_fmac_f32_e32 v17, v19, v16
	v_add_f32_e32 v19, v32, v17
	v_add_f32_e32 v18, v31, v30
	s_waitcnt lgkmcnt(0)
	v_mul_f32_e32 v16, v41, v27
	v_fma_f32 v16, v40, v26, -v16
	v_mul_f32_e32 v17, v40, v27
	v_fmac_f32_e32 v17, v41, v26
	v_add_f32_e32 v7, v7, v16
	v_mul_f32_e32 v16, v41, v29
	v_add_f32_e32 v30, v33, v17
	v_fma_f32 v16, v40, v28, -v16
	v_mul_f32_e32 v17, v40, v29
	v_fmac_f32_e32 v17, v41, v28
	v_add_f32_e32 v31, v34, v16
	v_mul_f32_e32 v16, v21, v27
	v_add_f32_e32 v32, v35, v17
	;; [unrolled: 6-line block ×3, first 2 shown]
	v_fma_f32 v33, v20, v28, -v14
	ds_read2_b64 v[14:17], v12 offset0:192 offset1:208
	v_mul_f32_e32 v20, v20, v29
	v_fmac_f32_e32 v20, v21, v28
	v_add_f32_e32 v19, v19, v20
	v_add_f32_e32 v18, v18, v33
	s_waitcnt lgkmcnt(0)
	v_mul_f32_e32 v20, v43, v15
	v_fma_f32 v20, v42, v14, -v20
	v_mul_f32_e32 v21, v42, v15
	v_add_f32_e32 v7, v7, v20
	v_mul_f32_e32 v20, v43, v17
	v_fmac_f32_e32 v21, v43, v14
	v_fma_f32 v20, v42, v16, -v20
	v_add_f32_e32 v21, v30, v21
	v_mul_f32_e32 v28, v42, v17
	v_add_f32_e32 v30, v31, v20
	v_mul_f32_e32 v20, v23, v15
	v_mul_f32_e32 v15, v22, v15
	v_fmac_f32_e32 v28, v43, v16
	v_fma_f32 v20, v22, v14, -v20
	v_fmac_f32_e32 v15, v23, v14
	v_add_f32_e32 v31, v32, v28
	v_add_f32_e32 v14, v26, v20
	;; [unrolled: 1-line block ×3, first 2 shown]
	ds_read2_b64 v[26:29], v12 offset0:224 offset1:240
	v_mul_f32_e32 v20, v23, v17
	v_fma_f32 v20, v22, v16, -v20
	v_mul_f32_e32 v17, v22, v17
	v_fmac_f32_e32 v17, v23, v16
	v_add_f32_e32 v16, v18, v20
	s_waitcnt lgkmcnt(0)
	v_mul_f32_e32 v18, v45, v27
	v_fma_f32 v18, v44, v26, -v18
	v_add_f32_e32 v20, v7, v18
	v_mul_f32_e32 v7, v45, v29
	v_fma_f32 v7, v44, v28, -v7
	v_add_f32_e32 v17, v19, v17
	v_mul_f32_e32 v19, v44, v27
	v_add_f32_e32 v18, v30, v7
	v_mul_f32_e32 v7, v25, v27
	v_mul_f32_e32 v22, v24, v27
	v_fmac_f32_e32 v19, v45, v26
	v_fma_f32 v7, v24, v26, -v7
	v_fmac_f32_e32 v22, v25, v26
	v_add_f32_e32 v21, v21, v19
	v_mul_f32_e32 v19, v44, v29
	v_add_f32_e32 v14, v14, v7
	v_add_f32_e32 v15, v15, v22
	v_mul_f32_e32 v7, v25, v29
	v_mul_f32_e32 v22, v24, v29
	v_fmac_f32_e32 v19, v45, v28
	v_fma_f32 v7, v24, v28, -v7
	v_fmac_f32_e32 v22, v25, v28
	s_add_i32 s21, s21, 8
	v_add_co_u32_e32 v4, vcc, 64, v4
	v_add_f32_e32 v19, v31, v19
	v_add_f32_e32 v16, v16, v7
	;; [unrolled: 1-line block ×3, first 2 shown]
	s_cmp_ge_i32 s21, s11
	v_addc_co_u32_e32 v5, vcc, 0, v5, vcc
	s_barrier
	s_cbranch_scc1 .LBB370_12
.LBB370_3:                              ; =>This Inner Loop Header: Depth=1
	v_add_u32_e32 v7, s21, v9
	v_cmp_le_i32_e32 vcc, s11, v7
	s_or_b64 s[6:7], s[2:3], vcc
	s_and_saveexec_b64 s[14:15], s[6:7]
	s_xor_b64 s[6:7], exec, s[14:15]
; %bb.4:                                ;   in Loop: Header=BB370_3 Depth=1
	v_mov_b32_e32 v7, v6
	ds_write_b64 v10, v[6:7]
; %bb.5:                                ;   in Loop: Header=BB370_3 Depth=1
	s_andn2_saveexec_b64 s[6:7], s[6:7]
	s_cbranch_execz .LBB370_7
; %bb.6:                                ;   in Loop: Header=BB370_3 Depth=1
	global_load_dwordx2 v[22:23], v[2:3], off
	s_waitcnt vmcnt(0)
	ds_write_b64 v10, v[22:23]
.LBB370_7:                              ;   in Loop: Header=BB370_3 Depth=1
	s_or_b64 exec, exec, s[6:7]
	v_add_u32_e32 v7, s21, v8
	v_cmp_le_i32_e32 vcc, s11, v7
	s_or_b64 s[6:7], vcc, s[0:1]
	s_and_saveexec_b64 s[14:15], s[6:7]
	s_xor_b64 s[6:7], exec, s[14:15]
; %bb.8:                                ;   in Loop: Header=BB370_3 Depth=1
	v_mov_b32_e32 v7, v6
	ds_write_b64 v11, v[6:7]
; %bb.9:                                ;   in Loop: Header=BB370_3 Depth=1
	s_andn2_saveexec_b64 s[6:7], s[6:7]
	s_cbranch_execz .LBB370_2
; %bb.10:                               ;   in Loop: Header=BB370_3 Depth=1
	global_load_dwordx2 v[22:23], v[4:5], off
	s_waitcnt vmcnt(0)
	ds_write_b64 v11, v[22:23]
	s_branch .LBB370_2
.LBB370_11:
	v_mov_b32_e32 v20, 0
	v_mov_b32_e32 v21, 0
	;; [unrolled: 1-line block ×8, first 2 shown]
.LBB370_12:
	s_load_dwordx2 s[0:1], s[4:5], 0x58
	s_load_dwordx2 s[2:3], s[4:5], 0x48
	s_load_dword s6, s[4:5], 0x50
	v_add_u32_e32 v5, s20, v1
	v_add_u32_e32 v0, s9, v0
	s_waitcnt lgkmcnt(0)
	s_mul_i32 s1, s1, s8
	s_mul_hi_u32 s4, s0, s8
	s_add_i32 s1, s4, s1
	v_mad_i64_i32 v[1:2], s[4:5], v5, s6, 0
	s_mul_i32 s0, s0, s8
	s_lshl_b64 s[0:1], s[0:1], 3
	s_add_u32 s7, s2, s0
	v_lshlrev_b64 v[1:2], 3, v[1:2]
	s_addc_u32 s8, s3, s1
	v_mov_b32_e32 v3, s8
	v_add_co_u32_e32 v4, vcc, s7, v1
	v_addc_co_u32_e32 v6, vcc, v3, v2, vcc
	v_cmp_le_i32_e64 s[0:1], v5, v0
	v_cmp_gt_i32_e32 vcc, s10, v0
	s_and_b64 s[0:1], s[0:1], vcc
	s_and_saveexec_b64 s[2:3], s[0:1]
	s_cbranch_execz .LBB370_15
; %bb.13:
	v_mul_f32_e32 v1, s13, v21
	v_fma_f32 v7, v20, s12, -v1
	v_ashrrev_i32_e32 v1, 31, v0
	v_lshlrev_b64 v[1:2], 3, v[0:1]
	v_mul_f32_e32 v8, s12, v21
	v_add_co_u32_e64 v1, s[0:1], v4, v1
	v_addc_co_u32_e64 v2, s[0:1], v6, v2, s[0:1]
	v_fmac_f32_e32 v8, s13, v20
	v_cmp_eq_u32_e64 s[0:1], v5, v0
	global_store_dwordx2 v[1:2], v[7:8], off
	s_and_b64 exec, exec, s[0:1]
	s_cbranch_execz .LBB370_15
; %bb.14:
	v_mov_b32_e32 v3, 0
	global_store_dword v[1:2], v3, off offset:4
.LBB370_15:
	s_or_b64 exec, exec, s[2:3]
	v_add_u32_e32 v2, 16, v0
	v_cmp_le_i32_e64 s[2:3], v5, v2
	v_cmp_gt_i32_e64 s[0:1], s10, v2
	s_and_b64 s[2:3], s[2:3], s[0:1]
	s_and_saveexec_b64 s[4:5], s[2:3]
	s_cbranch_execz .LBB370_18
; %bb.16:
	v_ashrrev_i32_e32 v3, 31, v2
	v_lshlrev_b64 v[9:10], 3, v[2:3]
	v_mul_f32_e32 v1, s13, v19
	v_add_co_u32_e64 v3, s[2:3], v4, v9
	v_mul_f32_e32 v8, s12, v19
	v_addc_co_u32_e64 v4, s[2:3], v6, v10, s[2:3]
	v_fma_f32 v7, v18, s12, -v1
	v_fmac_f32_e32 v8, s13, v18
	v_cmp_eq_u32_e64 s[2:3], v5, v2
	global_store_dwordx2 v[3:4], v[7:8], off
	s_and_b64 exec, exec, s[2:3]
	s_cbranch_execz .LBB370_18
; %bb.17:
	v_mov_b32_e32 v1, 0
	global_store_dword v[3:4], v1, off offset:4
.LBB370_18:
	s_or_b64 exec, exec, s[4:5]
	v_add_u32_e32 v8, 16, v5
	v_mad_i64_i32 v[3:4], s[2:3], v8, s6, 0
	v_mov_b32_e32 v1, s8
	v_lshlrev_b64 v[3:4], 3, v[3:4]
	v_add_co_u32_e64 v6, s[2:3], s7, v3
	v_addc_co_u32_e64 v7, s[2:3], v1, v4, s[2:3]
	v_cmp_le_i32_e64 s[2:3], v8, v0
	s_and_b64 s[4:5], s[2:3], vcc
	s_and_saveexec_b64 s[2:3], s[4:5]
	s_cbranch_execz .LBB370_21
; %bb.19:
	v_mul_f32_e32 v1, s13, v15
	v_fma_f32 v9, v14, s12, -v1
	v_ashrrev_i32_e32 v1, 31, v0
	v_lshlrev_b64 v[3:4], 3, v[0:1]
	v_mul_f32_e32 v10, s12, v15
	v_add_co_u32_e32 v3, vcc, v6, v3
	v_addc_co_u32_e32 v4, vcc, v7, v4, vcc
	v_fmac_f32_e32 v10, s13, v14
	v_cmp_eq_u32_e32 vcc, v8, v0
	global_store_dwordx2 v[3:4], v[9:10], off
	s_and_b64 exec, exec, vcc
	s_cbranch_execz .LBB370_21
; %bb.20:
	v_mov_b32_e32 v1, 0
	global_store_dword v[3:4], v1, off offset:4
.LBB370_21:
	s_or_b64 exec, exec, s[2:3]
	v_cmp_le_i32_e32 vcc, v8, v2
	s_and_b64 s[0:1], vcc, s[0:1]
	s_and_saveexec_b64 s[2:3], s[0:1]
	s_cbranch_execz .LBB370_24
; %bb.22:
	v_mul_f32_e32 v1, s13, v17
	v_ashrrev_i32_e32 v3, 31, v2
	v_fma_f32 v8, v16, s12, -v1
	v_lshlrev_b64 v[1:2], 3, v[2:3]
	v_mul_f32_e32 v9, s12, v17
	v_add_co_u32_e32 v1, vcc, v6, v1
	v_addc_co_u32_e32 v2, vcc, v7, v2, vcc
	v_fmac_f32_e32 v9, s13, v16
	v_cmp_eq_u32_e32 vcc, v5, v0
	global_store_dwordx2 v[1:2], v[8:9], off
	s_and_b64 exec, exec, vcc
	s_cbranch_execz .LBB370_24
; %bb.23:
	v_mov_b32_e32 v0, 0
	global_store_dword v[1:2], v0, off offset:4
.LBB370_24:
	s_endpgm
	.section	.rodata,"a",@progbits
	.p2align	6, 0x0
	.amdhsa_kernel _ZL34rocblas_syrkx_herkx_general_kernelIi19rocblas_complex_numIfELi16ELi32ELi8ELb1ELb1ELc84ELc76EKS1_S1_EviT_T0_PT8_S3_lS6_S3_lS4_PT9_S3_li
		.amdhsa_group_segment_fixed_size 4096
		.amdhsa_private_segment_fixed_size 0
		.amdhsa_kernarg_size 100
		.amdhsa_user_sgpr_count 6
		.amdhsa_user_sgpr_private_segment_buffer 1
		.amdhsa_user_sgpr_dispatch_ptr 0
		.amdhsa_user_sgpr_queue_ptr 0
		.amdhsa_user_sgpr_kernarg_segment_ptr 1
		.amdhsa_user_sgpr_dispatch_id 0
		.amdhsa_user_sgpr_flat_scratch_init 0
		.amdhsa_user_sgpr_private_segment_size 0
		.amdhsa_uses_dynamic_stack 0
		.amdhsa_system_sgpr_private_segment_wavefront_offset 0
		.amdhsa_system_sgpr_workgroup_id_x 1
		.amdhsa_system_sgpr_workgroup_id_y 1
		.amdhsa_system_sgpr_workgroup_id_z 1
		.amdhsa_system_sgpr_workgroup_info 0
		.amdhsa_system_vgpr_workitem_id 1
		.amdhsa_next_free_vgpr 48
		.amdhsa_next_free_sgpr 23
		.amdhsa_reserve_vcc 1
		.amdhsa_reserve_flat_scratch 0
		.amdhsa_float_round_mode_32 0
		.amdhsa_float_round_mode_16_64 0
		.amdhsa_float_denorm_mode_32 3
		.amdhsa_float_denorm_mode_16_64 3
		.amdhsa_dx10_clamp 1
		.amdhsa_ieee_mode 1
		.amdhsa_fp16_overflow 0
		.amdhsa_exception_fp_ieee_invalid_op 0
		.amdhsa_exception_fp_denorm_src 0
		.amdhsa_exception_fp_ieee_div_zero 0
		.amdhsa_exception_fp_ieee_overflow 0
		.amdhsa_exception_fp_ieee_underflow 0
		.amdhsa_exception_fp_ieee_inexact 0
		.amdhsa_exception_int_div_zero 0
	.end_amdhsa_kernel
	.section	.text._ZL34rocblas_syrkx_herkx_general_kernelIi19rocblas_complex_numIfELi16ELi32ELi8ELb1ELb1ELc84ELc76EKS1_S1_EviT_T0_PT8_S3_lS6_S3_lS4_PT9_S3_li,"axG",@progbits,_ZL34rocblas_syrkx_herkx_general_kernelIi19rocblas_complex_numIfELi16ELi32ELi8ELb1ELb1ELc84ELc76EKS1_S1_EviT_T0_PT8_S3_lS6_S3_lS4_PT9_S3_li,comdat
.Lfunc_end370:
	.size	_ZL34rocblas_syrkx_herkx_general_kernelIi19rocblas_complex_numIfELi16ELi32ELi8ELb1ELb1ELc84ELc76EKS1_S1_EviT_T0_PT8_S3_lS6_S3_lS4_PT9_S3_li, .Lfunc_end370-_ZL34rocblas_syrkx_herkx_general_kernelIi19rocblas_complex_numIfELi16ELi32ELi8ELb1ELb1ELc84ELc76EKS1_S1_EviT_T0_PT8_S3_lS6_S3_lS4_PT9_S3_li
                                        ; -- End function
	.set _ZL34rocblas_syrkx_herkx_general_kernelIi19rocblas_complex_numIfELi16ELi32ELi8ELb1ELb1ELc84ELc76EKS1_S1_EviT_T0_PT8_S3_lS6_S3_lS4_PT9_S3_li.num_vgpr, 48
	.set _ZL34rocblas_syrkx_herkx_general_kernelIi19rocblas_complex_numIfELi16ELi32ELi8ELb1ELb1ELc84ELc76EKS1_S1_EviT_T0_PT8_S3_lS6_S3_lS4_PT9_S3_li.num_agpr, 0
	.set _ZL34rocblas_syrkx_herkx_general_kernelIi19rocblas_complex_numIfELi16ELi32ELi8ELb1ELb1ELc84ELc76EKS1_S1_EviT_T0_PT8_S3_lS6_S3_lS4_PT9_S3_li.numbered_sgpr, 23
	.set _ZL34rocblas_syrkx_herkx_general_kernelIi19rocblas_complex_numIfELi16ELi32ELi8ELb1ELb1ELc84ELc76EKS1_S1_EviT_T0_PT8_S3_lS6_S3_lS4_PT9_S3_li.num_named_barrier, 0
	.set _ZL34rocblas_syrkx_herkx_general_kernelIi19rocblas_complex_numIfELi16ELi32ELi8ELb1ELb1ELc84ELc76EKS1_S1_EviT_T0_PT8_S3_lS6_S3_lS4_PT9_S3_li.private_seg_size, 0
	.set _ZL34rocblas_syrkx_herkx_general_kernelIi19rocblas_complex_numIfELi16ELi32ELi8ELb1ELb1ELc84ELc76EKS1_S1_EviT_T0_PT8_S3_lS6_S3_lS4_PT9_S3_li.uses_vcc, 1
	.set _ZL34rocblas_syrkx_herkx_general_kernelIi19rocblas_complex_numIfELi16ELi32ELi8ELb1ELb1ELc84ELc76EKS1_S1_EviT_T0_PT8_S3_lS6_S3_lS4_PT9_S3_li.uses_flat_scratch, 0
	.set _ZL34rocblas_syrkx_herkx_general_kernelIi19rocblas_complex_numIfELi16ELi32ELi8ELb1ELb1ELc84ELc76EKS1_S1_EviT_T0_PT8_S3_lS6_S3_lS4_PT9_S3_li.has_dyn_sized_stack, 0
	.set _ZL34rocblas_syrkx_herkx_general_kernelIi19rocblas_complex_numIfELi16ELi32ELi8ELb1ELb1ELc84ELc76EKS1_S1_EviT_T0_PT8_S3_lS6_S3_lS4_PT9_S3_li.has_recursion, 0
	.set _ZL34rocblas_syrkx_herkx_general_kernelIi19rocblas_complex_numIfELi16ELi32ELi8ELb1ELb1ELc84ELc76EKS1_S1_EviT_T0_PT8_S3_lS6_S3_lS4_PT9_S3_li.has_indirect_call, 0
	.section	.AMDGPU.csdata,"",@progbits
; Kernel info:
; codeLenInByte = 2232
; TotalNumSgprs: 27
; NumVgprs: 48
; ScratchSize: 0
; MemoryBound: 1
; FloatMode: 240
; IeeeMode: 1
; LDSByteSize: 4096 bytes/workgroup (compile time only)
; SGPRBlocks: 3
; VGPRBlocks: 11
; NumSGPRsForWavesPerEU: 27
; NumVGPRsForWavesPerEU: 48
; Occupancy: 5
; WaveLimiterHint : 0
; COMPUTE_PGM_RSRC2:SCRATCH_EN: 0
; COMPUTE_PGM_RSRC2:USER_SGPR: 6
; COMPUTE_PGM_RSRC2:TRAP_HANDLER: 0
; COMPUTE_PGM_RSRC2:TGID_X_EN: 1
; COMPUTE_PGM_RSRC2:TGID_Y_EN: 1
; COMPUTE_PGM_RSRC2:TGID_Z_EN: 1
; COMPUTE_PGM_RSRC2:TIDIG_COMP_CNT: 1
	.section	.text._ZL34rocblas_syrkx_herkx_general_kernelIi19rocblas_complex_numIfELi16ELi32ELi8ELb1ELb1ELc67ELc76EKS1_S1_EviT_T0_PT8_S3_lS6_S3_lS4_PT9_S3_li,"axG",@progbits,_ZL34rocblas_syrkx_herkx_general_kernelIi19rocblas_complex_numIfELi16ELi32ELi8ELb1ELb1ELc67ELc76EKS1_S1_EviT_T0_PT8_S3_lS6_S3_lS4_PT9_S3_li,comdat
	.globl	_ZL34rocblas_syrkx_herkx_general_kernelIi19rocblas_complex_numIfELi16ELi32ELi8ELb1ELb1ELc67ELc76EKS1_S1_EviT_T0_PT8_S3_lS6_S3_lS4_PT9_S3_li ; -- Begin function _ZL34rocblas_syrkx_herkx_general_kernelIi19rocblas_complex_numIfELi16ELi32ELi8ELb1ELb1ELc67ELc76EKS1_S1_EviT_T0_PT8_S3_lS6_S3_lS4_PT9_S3_li
	.p2align	8
	.type	_ZL34rocblas_syrkx_herkx_general_kernelIi19rocblas_complex_numIfELi16ELi32ELi8ELb1ELb1ELc67ELc76EKS1_S1_EviT_T0_PT8_S3_lS6_S3_lS4_PT9_S3_li,@function
_ZL34rocblas_syrkx_herkx_general_kernelIi19rocblas_complex_numIfELi16ELi32ELi8ELb1ELb1ELc67ELc76EKS1_S1_EviT_T0_PT8_S3_lS6_S3_lS4_PT9_S3_li: ; @_ZL34rocblas_syrkx_herkx_general_kernelIi19rocblas_complex_numIfELi16ELi32ELi8ELb1ELb1ELc67ELc76EKS1_S1_EviT_T0_PT8_S3_lS6_S3_lS4_PT9_S3_li
; %bb.0:
	s_load_dwordx2 s[10:11], s[4:5], 0x0
	s_load_dwordx4 s[12:15], s[4:5], 0x8
	s_lshl_b32 s9, s6, 5
	s_lshl_b32 s20, s7, 5
	s_mov_b32 s21, 0
	s_waitcnt lgkmcnt(0)
	s_cmp_lt_i32 s11, 1
	s_cbranch_scc1 .LBB371_11
; %bb.1:
	v_lshl_add_u32 v2, v1, 4, v0
	v_and_b32_e32 v8, 7, v0
	v_lshrrev_b32_e32 v9, 5, v2
	v_lshrrev_b32_e32 v3, 3, v2
	v_and_b32_e32 v2, 31, v2
	s_load_dword s2, s[4:5], 0x18
	s_load_dwordx4 s[16:19], s[4:5], 0x20
	s_load_dword s22, s[4:5], 0x30
	s_load_dwordx2 s[6:7], s[4:5], 0x38
	v_or_b32_e32 v5, s9, v2
	v_lshlrev_b32_e32 v6, 3, v8
	v_add_u32_e32 v4, s20, v3
	v_cmp_gt_i32_e32 vcc, s10, v5
	v_lshlrev_b32_e32 v5, 3, v2
	v_lshl_or_b32 v3, v3, 6, v6
	v_add_u32_e32 v2, s9, v2
	v_add_u32_e32 v11, 0x800, v3
	s_waitcnt lgkmcnt(0)
	v_mad_i64_i32 v[2:3], s[2:3], s2, v2, 0
	s_mul_i32 s2, s17, s8
	s_mul_hi_u32 s3, s16, s8
	v_lshlrev_b64 v[2:3], 3, v[2:3]
	s_add_i32 s3, s3, s2
	s_mul_i32 s2, s16, s8
	v_lshl_or_b32 v10, v9, 8, v5
	v_mov_b32_e32 v5, 0x800
	s_lshl_b64 s[2:3], s[2:3], 3
	v_lshl_add_u32 v13, v1, 6, v5
	v_mov_b32_e32 v5, s3
	v_add_co_u32_e64 v2, s[2:3], s2, v2
	v_addc_co_u32_e64 v3, s[2:3], v3, v5, s[2:3]
	v_lshlrev_b32_e32 v5, 3, v9
	v_add_co_u32_e64 v2, s[2:3], v2, v5
	v_addc_co_u32_e64 v3, s[2:3], 0, v3, s[2:3]
	v_mov_b32_e32 v5, s15
	v_add_co_u32_e64 v2, s[2:3], s14, v2
	v_cmp_gt_i32_e64 s[0:1], s10, v4
	v_addc_co_u32_e64 v3, s[2:3], v5, v3, s[2:3]
	v_mad_i64_i32 v[4:5], s[2:3], s22, v4, 0
	v_add_co_u32_e64 v2, s[2:3], 4, v2
	v_addc_co_u32_e64 v3, s[2:3], 0, v3, s[2:3]
	s_mul_i32 s2, s7, s8
	s_mul_hi_u32 s3, s6, s8
	v_lshlrev_b64 v[4:5], 3, v[4:5]
	s_add_i32 s3, s3, s2
	s_mul_i32 s2, s6, s8
	s_lshl_b64 s[2:3], s[2:3], 3
	v_mov_b32_e32 v7, s3
	v_add_co_u32_e64 v4, s[2:3], s2, v4
	v_addc_co_u32_e64 v5, s[2:3], v5, v7, s[2:3]
	v_add_co_u32_e64 v4, s[2:3], v4, v6
	v_addc_co_u32_e64 v5, s[2:3], 0, v5, s[2:3]
	v_mov_b32_e32 v6, s19
	v_add_co_u32_e64 v4, s[2:3], s18, v4
	v_addc_co_u32_e64 v5, s[2:3], v6, v5, s[2:3]
	v_lshlrev_b32_e32 v12, 3, v0
	s_xor_b64 s[2:3], vcc, -1
	s_xor_b64 s[0:1], s[0:1], -1
	v_mov_b32_e32 v17, 0
	v_mov_b32_e32 v16, 0
	;; [unrolled: 1-line block ×9, first 2 shown]
	s_branch .LBB371_3
.LBB371_2:                              ;   in Loop: Header=BB371_3 Depth=1
	s_or_b64 exec, exec, s[6:7]
	s_waitcnt lgkmcnt(0)
	s_barrier
	ds_read2_b64 v[22:25], v12 offset1:16
	ds_read_b128 v[26:29], v13
	ds_read_b128 v[30:33], v13 offset:16
	v_add_co_u32_e32 v2, vcc, 64, v2
	v_addc_co_u32_e32 v3, vcc, 0, v3, vcc
	s_waitcnt lgkmcnt(1)
	v_mul_f32_e32 v34, v26, v23
	v_fmac_f32_e32 v34, v27, v22
	v_add_f32_e32 v46, v21, v34
	ds_read_b128 v[34:37], v13 offset:1024
	v_mul_f32_e32 v7, v27, v23
	v_fma_f32 v7, v26, v22, -v7
	v_add_f32_e32 v7, v20, v7
	v_mul_f32_e32 v20, v27, v25
	v_mul_f32_e32 v21, v26, v25
	v_fma_f32 v20, v26, v24, -v20
	v_fmac_f32_e32 v21, v27, v24
	v_add_f32_e32 v26, v18, v20
	v_add_f32_e32 v27, v19, v21
	ds_read_b128 v[18:21], v13 offset:1040
	s_waitcnt lgkmcnt(1)
	v_mul_f32_e32 v38, v35, v23
	v_mul_f32_e32 v23, v34, v23
	v_fma_f32 v38, v34, v22, -v38
	v_fmac_f32_e32 v23, v35, v22
	v_mul_f32_e32 v22, v35, v25
	v_fma_f32 v47, v34, v24, -v22
	v_mul_f32_e32 v34, v34, v25
	v_add_f32_e32 v14, v14, v38
	v_add_f32_e32 v15, v15, v23
	v_fmac_f32_e32 v34, v35, v24
	ds_read2_b64 v[22:25], v12 offset0:32 offset1:48
	ds_read_b128 v[38:41], v13 offset:32
	ds_read_b128 v[42:45], v13 offset:48
	v_add_f32_e32 v35, v16, v47
	v_add_f32_e32 v34, v17, v34
	s_waitcnt lgkmcnt(2)
	v_mul_f32_e32 v16, v29, v23
	v_fma_f32 v16, v28, v22, -v16
	v_mul_f32_e32 v17, v28, v23
	v_fmac_f32_e32 v17, v29, v22
	v_add_f32_e32 v7, v7, v16
	v_mul_f32_e32 v16, v29, v25
	v_add_f32_e32 v46, v46, v17
	v_fma_f32 v16, v28, v24, -v16
	v_mul_f32_e32 v17, v28, v25
	v_fmac_f32_e32 v17, v29, v24
	v_add_f32_e32 v26, v26, v16
	v_mul_f32_e32 v16, v37, v23
	v_add_f32_e32 v27, v27, v17
	;; [unrolled: 6-line block ×3, first 2 shown]
	v_fma_f32 v28, v36, v24, -v14
	ds_read2_b64 v[14:17], v12 offset0:64 offset1:80
	v_mul_f32_e32 v25, v36, v25
	v_fmac_f32_e32 v25, v37, v24
	v_add_f32_e32 v29, v34, v25
	v_add_f32_e32 v28, v35, v28
	s_waitcnt lgkmcnt(0)
	v_mul_f32_e32 v24, v31, v15
	v_fma_f32 v24, v30, v14, -v24
	v_add_f32_e32 v7, v7, v24
	v_mul_f32_e32 v24, v31, v17
	v_mul_f32_e32 v25, v30, v15
	v_fma_f32 v24, v30, v16, -v24
	v_fmac_f32_e32 v25, v31, v14
	v_add_f32_e32 v26, v26, v24
	v_mul_f32_e32 v24, v19, v15
	v_add_f32_e32 v34, v46, v25
	v_mul_f32_e32 v25, v30, v17
	v_fma_f32 v24, v18, v14, -v24
	v_mul_f32_e32 v15, v18, v15
	v_fmac_f32_e32 v25, v31, v16
	v_fmac_f32_e32 v15, v19, v14
	v_add_f32_e32 v14, v22, v24
	v_mul_f32_e32 v22, v19, v17
	v_add_f32_e32 v27, v27, v25
	v_add_f32_e32 v15, v23, v15
	v_fma_f32 v30, v18, v16, -v22
	ds_read2_b64 v[22:25], v12 offset0:96 offset1:112
	v_mul_f32_e32 v17, v18, v17
	v_fmac_f32_e32 v17, v19, v16
	v_add_f32_e32 v19, v29, v17
	v_add_f32_e32 v18, v28, v30
	s_waitcnt lgkmcnt(0)
	v_mul_f32_e32 v16, v33, v23
	v_fma_f32 v16, v32, v22, -v16
	v_mul_f32_e32 v17, v32, v23
	v_fmac_f32_e32 v17, v33, v22
	v_add_f32_e32 v7, v7, v16
	v_mul_f32_e32 v16, v33, v25
	v_add_f32_e32 v28, v34, v17
	v_fma_f32 v16, v32, v24, -v16
	v_mul_f32_e32 v17, v32, v25
	v_fmac_f32_e32 v17, v33, v24
	v_add_f32_e32 v26, v26, v16
	v_mul_f32_e32 v16, v21, v23
	v_add_f32_e32 v27, v27, v17
	;; [unrolled: 6-line block ×3, first 2 shown]
	v_fma_f32 v22, v20, v24, -v14
	ds_read2_b64 v[14:17], v12 offset0:128 offset1:144
	v_mul_f32_e32 v20, v20, v25
	v_fmac_f32_e32 v20, v21, v24
	v_add_f32_e32 v31, v18, v22
	v_add_f32_e32 v32, v19, v20
	s_waitcnt lgkmcnt(0)
	v_mul_f32_e32 v18, v39, v15
	v_fma_f32 v18, v38, v14, -v18
	v_mul_f32_e32 v19, v38, v15
	v_fmac_f32_e32 v19, v39, v14
	v_add_f32_e32 v7, v7, v18
	v_mul_f32_e32 v18, v39, v17
	v_add_f32_e32 v33, v28, v19
	v_fma_f32 v22, v38, v16, -v18
	ds_read_b128 v[18:21], v13 offset:1056
	v_mul_f32_e32 v23, v38, v17
	v_fmac_f32_e32 v23, v39, v16
	v_add_f32_e32 v34, v26, v22
	v_add_f32_e32 v35, v27, v23
	ds_read_b128 v[22:25], v13 offset:1072
	s_waitcnt lgkmcnt(1)
	v_mul_f32_e32 v26, v19, v15
	v_fma_f32 v26, v18, v14, -v26
	v_mul_f32_e32 v15, v18, v15
	v_fmac_f32_e32 v15, v19, v14
	v_add_f32_e32 v14, v29, v26
	v_mul_f32_e32 v26, v19, v17
	v_add_f32_e32 v15, v30, v15
	v_fma_f32 v30, v18, v16, -v26
	ds_read2_b64 v[26:29], v12 offset0:160 offset1:176
	v_mul_f32_e32 v17, v18, v17
	v_fmac_f32_e32 v17, v19, v16
	v_add_f32_e32 v19, v32, v17
	v_add_f32_e32 v18, v31, v30
	s_waitcnt lgkmcnt(0)
	v_mul_f32_e32 v16, v41, v27
	v_fma_f32 v16, v40, v26, -v16
	v_mul_f32_e32 v17, v40, v27
	v_fmac_f32_e32 v17, v41, v26
	v_add_f32_e32 v7, v7, v16
	v_mul_f32_e32 v16, v41, v29
	v_add_f32_e32 v30, v33, v17
	v_fma_f32 v16, v40, v28, -v16
	v_mul_f32_e32 v17, v40, v29
	v_fmac_f32_e32 v17, v41, v28
	v_add_f32_e32 v31, v34, v16
	v_mul_f32_e32 v16, v21, v27
	v_add_f32_e32 v32, v35, v17
	;; [unrolled: 6-line block ×3, first 2 shown]
	v_fma_f32 v33, v20, v28, -v14
	ds_read2_b64 v[14:17], v12 offset0:192 offset1:208
	v_mul_f32_e32 v20, v20, v29
	v_fmac_f32_e32 v20, v21, v28
	v_add_f32_e32 v19, v19, v20
	v_add_f32_e32 v18, v18, v33
	s_waitcnt lgkmcnt(0)
	v_mul_f32_e32 v20, v43, v15
	v_fma_f32 v20, v42, v14, -v20
	v_mul_f32_e32 v21, v42, v15
	v_add_f32_e32 v7, v7, v20
	v_mul_f32_e32 v20, v43, v17
	v_fmac_f32_e32 v21, v43, v14
	v_fma_f32 v20, v42, v16, -v20
	v_add_f32_e32 v21, v30, v21
	v_mul_f32_e32 v28, v42, v17
	v_add_f32_e32 v30, v31, v20
	v_mul_f32_e32 v20, v23, v15
	v_mul_f32_e32 v15, v22, v15
	v_fmac_f32_e32 v28, v43, v16
	v_fma_f32 v20, v22, v14, -v20
	v_fmac_f32_e32 v15, v23, v14
	v_add_f32_e32 v31, v32, v28
	v_add_f32_e32 v14, v26, v20
	;; [unrolled: 1-line block ×3, first 2 shown]
	ds_read2_b64 v[26:29], v12 offset0:224 offset1:240
	v_mul_f32_e32 v20, v23, v17
	v_fma_f32 v20, v22, v16, -v20
	v_mul_f32_e32 v17, v22, v17
	v_fmac_f32_e32 v17, v23, v16
	v_add_f32_e32 v16, v18, v20
	s_waitcnt lgkmcnt(0)
	v_mul_f32_e32 v18, v45, v27
	v_fma_f32 v18, v44, v26, -v18
	v_add_f32_e32 v20, v7, v18
	v_mul_f32_e32 v7, v45, v29
	v_fma_f32 v7, v44, v28, -v7
	v_add_f32_e32 v17, v19, v17
	v_mul_f32_e32 v19, v44, v27
	v_add_f32_e32 v18, v30, v7
	v_mul_f32_e32 v7, v25, v27
	v_mul_f32_e32 v22, v24, v27
	v_fmac_f32_e32 v19, v45, v26
	v_fma_f32 v7, v24, v26, -v7
	v_fmac_f32_e32 v22, v25, v26
	v_add_f32_e32 v21, v21, v19
	v_mul_f32_e32 v19, v44, v29
	v_add_f32_e32 v14, v14, v7
	v_add_f32_e32 v15, v15, v22
	v_mul_f32_e32 v7, v25, v29
	v_mul_f32_e32 v22, v24, v29
	v_fmac_f32_e32 v19, v45, v28
	v_fma_f32 v7, v24, v28, -v7
	v_fmac_f32_e32 v22, v25, v28
	s_add_i32 s21, s21, 8
	v_add_co_u32_e32 v4, vcc, 64, v4
	v_add_f32_e32 v19, v31, v19
	v_add_f32_e32 v16, v16, v7
	;; [unrolled: 1-line block ×3, first 2 shown]
	s_cmp_ge_i32 s21, s11
	v_addc_co_u32_e32 v5, vcc, 0, v5, vcc
	s_barrier
	s_cbranch_scc1 .LBB371_12
.LBB371_3:                              ; =>This Inner Loop Header: Depth=1
	v_add_u32_e32 v7, s21, v9
	v_cmp_le_i32_e32 vcc, s11, v7
	s_or_b64 s[6:7], s[2:3], vcc
	s_and_saveexec_b64 s[14:15], s[6:7]
	s_xor_b64 s[6:7], exec, s[14:15]
; %bb.4:                                ;   in Loop: Header=BB371_3 Depth=1
	ds_write_b32 v10, v6
; %bb.5:                                ;   in Loop: Header=BB371_3 Depth=1
	s_or_saveexec_b64 s[6:7], s[6:7]
	v_mov_b32_e32 v7, 0
	s_xor_b64 exec, exec, s[6:7]
	s_cbranch_execz .LBB371_7
; %bb.6:                                ;   in Loop: Header=BB371_3 Depth=1
	global_load_dwordx2 v[22:23], v[2:3], off offset:-4
	s_waitcnt vmcnt(0)
	v_xor_b32_e32 v7, 0x80000000, v23
	ds_write_b32 v10, v22
.LBB371_7:                              ;   in Loop: Header=BB371_3 Depth=1
	s_or_b64 exec, exec, s[6:7]
	ds_write_b32 v10, v7 offset:4
	v_add_u32_e32 v7, s21, v8
	v_cmp_le_i32_e32 vcc, s11, v7
	s_or_b64 s[6:7], vcc, s[0:1]
	s_and_saveexec_b64 s[14:15], s[6:7]
	s_xor_b64 s[6:7], exec, s[14:15]
; %bb.8:                                ;   in Loop: Header=BB371_3 Depth=1
	v_mov_b32_e32 v7, v6
	ds_write_b64 v11, v[6:7]
; %bb.9:                                ;   in Loop: Header=BB371_3 Depth=1
	s_andn2_saveexec_b64 s[6:7], s[6:7]
	s_cbranch_execz .LBB371_2
; %bb.10:                               ;   in Loop: Header=BB371_3 Depth=1
	global_load_dwordx2 v[22:23], v[4:5], off
	s_waitcnt vmcnt(0)
	ds_write_b64 v11, v[22:23]
	s_branch .LBB371_2
.LBB371_11:
	v_mov_b32_e32 v20, 0
	v_mov_b32_e32 v21, 0
	;; [unrolled: 1-line block ×8, first 2 shown]
.LBB371_12:
	s_load_dwordx2 s[0:1], s[4:5], 0x58
	s_load_dwordx2 s[2:3], s[4:5], 0x48
	s_load_dword s6, s[4:5], 0x50
	v_add_u32_e32 v5, s20, v1
	v_add_u32_e32 v0, s9, v0
	s_waitcnt lgkmcnt(0)
	s_mul_i32 s1, s1, s8
	s_mul_hi_u32 s4, s0, s8
	s_add_i32 s1, s4, s1
	v_mad_i64_i32 v[1:2], s[4:5], v5, s6, 0
	s_mul_i32 s0, s0, s8
	s_lshl_b64 s[0:1], s[0:1], 3
	s_add_u32 s7, s2, s0
	v_lshlrev_b64 v[1:2], 3, v[1:2]
	s_addc_u32 s8, s3, s1
	v_mov_b32_e32 v3, s8
	v_add_co_u32_e32 v4, vcc, s7, v1
	v_addc_co_u32_e32 v6, vcc, v3, v2, vcc
	v_cmp_le_i32_e64 s[0:1], v5, v0
	v_cmp_gt_i32_e32 vcc, s10, v0
	s_and_b64 s[0:1], s[0:1], vcc
	s_and_saveexec_b64 s[2:3], s[0:1]
	s_cbranch_execz .LBB371_15
; %bb.13:
	v_mul_f32_e32 v1, s13, v21
	v_fma_f32 v7, v20, s12, -v1
	v_ashrrev_i32_e32 v1, 31, v0
	v_lshlrev_b64 v[1:2], 3, v[0:1]
	v_mul_f32_e32 v8, s12, v21
	v_add_co_u32_e64 v1, s[0:1], v4, v1
	v_addc_co_u32_e64 v2, s[0:1], v6, v2, s[0:1]
	v_fmac_f32_e32 v8, s13, v20
	v_cmp_eq_u32_e64 s[0:1], v5, v0
	global_store_dwordx2 v[1:2], v[7:8], off
	s_and_b64 exec, exec, s[0:1]
	s_cbranch_execz .LBB371_15
; %bb.14:
	v_mov_b32_e32 v3, 0
	global_store_dword v[1:2], v3, off offset:4
.LBB371_15:
	s_or_b64 exec, exec, s[2:3]
	v_add_u32_e32 v2, 16, v0
	v_cmp_le_i32_e64 s[2:3], v5, v2
	v_cmp_gt_i32_e64 s[0:1], s10, v2
	s_and_b64 s[2:3], s[2:3], s[0:1]
	s_and_saveexec_b64 s[4:5], s[2:3]
	s_cbranch_execz .LBB371_18
; %bb.16:
	v_ashrrev_i32_e32 v3, 31, v2
	v_lshlrev_b64 v[9:10], 3, v[2:3]
	v_mul_f32_e32 v1, s13, v19
	v_add_co_u32_e64 v3, s[2:3], v4, v9
	v_mul_f32_e32 v8, s12, v19
	v_addc_co_u32_e64 v4, s[2:3], v6, v10, s[2:3]
	v_fma_f32 v7, v18, s12, -v1
	v_fmac_f32_e32 v8, s13, v18
	v_cmp_eq_u32_e64 s[2:3], v5, v2
	global_store_dwordx2 v[3:4], v[7:8], off
	s_and_b64 exec, exec, s[2:3]
	s_cbranch_execz .LBB371_18
; %bb.17:
	v_mov_b32_e32 v1, 0
	global_store_dword v[3:4], v1, off offset:4
.LBB371_18:
	s_or_b64 exec, exec, s[4:5]
	v_add_u32_e32 v8, 16, v5
	v_mad_i64_i32 v[3:4], s[2:3], v8, s6, 0
	v_mov_b32_e32 v1, s8
	v_lshlrev_b64 v[3:4], 3, v[3:4]
	v_add_co_u32_e64 v6, s[2:3], s7, v3
	v_addc_co_u32_e64 v7, s[2:3], v1, v4, s[2:3]
	v_cmp_le_i32_e64 s[2:3], v8, v0
	s_and_b64 s[4:5], s[2:3], vcc
	s_and_saveexec_b64 s[2:3], s[4:5]
	s_cbranch_execz .LBB371_21
; %bb.19:
	v_mul_f32_e32 v1, s13, v15
	v_fma_f32 v9, v14, s12, -v1
	v_ashrrev_i32_e32 v1, 31, v0
	v_lshlrev_b64 v[3:4], 3, v[0:1]
	v_mul_f32_e32 v10, s12, v15
	v_add_co_u32_e32 v3, vcc, v6, v3
	v_addc_co_u32_e32 v4, vcc, v7, v4, vcc
	v_fmac_f32_e32 v10, s13, v14
	v_cmp_eq_u32_e32 vcc, v8, v0
	global_store_dwordx2 v[3:4], v[9:10], off
	s_and_b64 exec, exec, vcc
	s_cbranch_execz .LBB371_21
; %bb.20:
	v_mov_b32_e32 v1, 0
	global_store_dword v[3:4], v1, off offset:4
.LBB371_21:
	s_or_b64 exec, exec, s[2:3]
	v_cmp_le_i32_e32 vcc, v8, v2
	s_and_b64 s[0:1], vcc, s[0:1]
	s_and_saveexec_b64 s[2:3], s[0:1]
	s_cbranch_execz .LBB371_24
; %bb.22:
	v_mul_f32_e32 v1, s13, v17
	v_ashrrev_i32_e32 v3, 31, v2
	v_fma_f32 v8, v16, s12, -v1
	v_lshlrev_b64 v[1:2], 3, v[2:3]
	v_mul_f32_e32 v9, s12, v17
	v_add_co_u32_e32 v1, vcc, v6, v1
	v_addc_co_u32_e32 v2, vcc, v7, v2, vcc
	v_fmac_f32_e32 v9, s13, v16
	v_cmp_eq_u32_e32 vcc, v5, v0
	global_store_dwordx2 v[1:2], v[8:9], off
	s_and_b64 exec, exec, vcc
	s_cbranch_execz .LBB371_24
; %bb.23:
	v_mov_b32_e32 v0, 0
	global_store_dword v[1:2], v0, off offset:4
.LBB371_24:
	s_endpgm
	.section	.rodata,"a",@progbits
	.p2align	6, 0x0
	.amdhsa_kernel _ZL34rocblas_syrkx_herkx_general_kernelIi19rocblas_complex_numIfELi16ELi32ELi8ELb1ELb1ELc67ELc76EKS1_S1_EviT_T0_PT8_S3_lS6_S3_lS4_PT9_S3_li
		.amdhsa_group_segment_fixed_size 4096
		.amdhsa_private_segment_fixed_size 0
		.amdhsa_kernarg_size 100
		.amdhsa_user_sgpr_count 6
		.amdhsa_user_sgpr_private_segment_buffer 1
		.amdhsa_user_sgpr_dispatch_ptr 0
		.amdhsa_user_sgpr_queue_ptr 0
		.amdhsa_user_sgpr_kernarg_segment_ptr 1
		.amdhsa_user_sgpr_dispatch_id 0
		.amdhsa_user_sgpr_flat_scratch_init 0
		.amdhsa_user_sgpr_private_segment_size 0
		.amdhsa_uses_dynamic_stack 0
		.amdhsa_system_sgpr_private_segment_wavefront_offset 0
		.amdhsa_system_sgpr_workgroup_id_x 1
		.amdhsa_system_sgpr_workgroup_id_y 1
		.amdhsa_system_sgpr_workgroup_id_z 1
		.amdhsa_system_sgpr_workgroup_info 0
		.amdhsa_system_vgpr_workitem_id 1
		.amdhsa_next_free_vgpr 48
		.amdhsa_next_free_sgpr 23
		.amdhsa_reserve_vcc 1
		.amdhsa_reserve_flat_scratch 0
		.amdhsa_float_round_mode_32 0
		.amdhsa_float_round_mode_16_64 0
		.amdhsa_float_denorm_mode_32 3
		.amdhsa_float_denorm_mode_16_64 3
		.amdhsa_dx10_clamp 1
		.amdhsa_ieee_mode 1
		.amdhsa_fp16_overflow 0
		.amdhsa_exception_fp_ieee_invalid_op 0
		.amdhsa_exception_fp_denorm_src 0
		.amdhsa_exception_fp_ieee_div_zero 0
		.amdhsa_exception_fp_ieee_overflow 0
		.amdhsa_exception_fp_ieee_underflow 0
		.amdhsa_exception_fp_ieee_inexact 0
		.amdhsa_exception_int_div_zero 0
	.end_amdhsa_kernel
	.section	.text._ZL34rocblas_syrkx_herkx_general_kernelIi19rocblas_complex_numIfELi16ELi32ELi8ELb1ELb1ELc67ELc76EKS1_S1_EviT_T0_PT8_S3_lS6_S3_lS4_PT9_S3_li,"axG",@progbits,_ZL34rocblas_syrkx_herkx_general_kernelIi19rocblas_complex_numIfELi16ELi32ELi8ELb1ELb1ELc67ELc76EKS1_S1_EviT_T0_PT8_S3_lS6_S3_lS4_PT9_S3_li,comdat
.Lfunc_end371:
	.size	_ZL34rocblas_syrkx_herkx_general_kernelIi19rocblas_complex_numIfELi16ELi32ELi8ELb1ELb1ELc67ELc76EKS1_S1_EviT_T0_PT8_S3_lS6_S3_lS4_PT9_S3_li, .Lfunc_end371-_ZL34rocblas_syrkx_herkx_general_kernelIi19rocblas_complex_numIfELi16ELi32ELi8ELb1ELb1ELc67ELc76EKS1_S1_EviT_T0_PT8_S3_lS6_S3_lS4_PT9_S3_li
                                        ; -- End function
	.set _ZL34rocblas_syrkx_herkx_general_kernelIi19rocblas_complex_numIfELi16ELi32ELi8ELb1ELb1ELc67ELc76EKS1_S1_EviT_T0_PT8_S3_lS6_S3_lS4_PT9_S3_li.num_vgpr, 48
	.set _ZL34rocblas_syrkx_herkx_general_kernelIi19rocblas_complex_numIfELi16ELi32ELi8ELb1ELb1ELc67ELc76EKS1_S1_EviT_T0_PT8_S3_lS6_S3_lS4_PT9_S3_li.num_agpr, 0
	.set _ZL34rocblas_syrkx_herkx_general_kernelIi19rocblas_complex_numIfELi16ELi32ELi8ELb1ELb1ELc67ELc76EKS1_S1_EviT_T0_PT8_S3_lS6_S3_lS4_PT9_S3_li.numbered_sgpr, 23
	.set _ZL34rocblas_syrkx_herkx_general_kernelIi19rocblas_complex_numIfELi16ELi32ELi8ELb1ELb1ELc67ELc76EKS1_S1_EviT_T0_PT8_S3_lS6_S3_lS4_PT9_S3_li.num_named_barrier, 0
	.set _ZL34rocblas_syrkx_herkx_general_kernelIi19rocblas_complex_numIfELi16ELi32ELi8ELb1ELb1ELc67ELc76EKS1_S1_EviT_T0_PT8_S3_lS6_S3_lS4_PT9_S3_li.private_seg_size, 0
	.set _ZL34rocblas_syrkx_herkx_general_kernelIi19rocblas_complex_numIfELi16ELi32ELi8ELb1ELb1ELc67ELc76EKS1_S1_EviT_T0_PT8_S3_lS6_S3_lS4_PT9_S3_li.uses_vcc, 1
	.set _ZL34rocblas_syrkx_herkx_general_kernelIi19rocblas_complex_numIfELi16ELi32ELi8ELb1ELb1ELc67ELc76EKS1_S1_EviT_T0_PT8_S3_lS6_S3_lS4_PT9_S3_li.uses_flat_scratch, 0
	.set _ZL34rocblas_syrkx_herkx_general_kernelIi19rocblas_complex_numIfELi16ELi32ELi8ELb1ELb1ELc67ELc76EKS1_S1_EviT_T0_PT8_S3_lS6_S3_lS4_PT9_S3_li.has_dyn_sized_stack, 0
	.set _ZL34rocblas_syrkx_herkx_general_kernelIi19rocblas_complex_numIfELi16ELi32ELi8ELb1ELb1ELc67ELc76EKS1_S1_EviT_T0_PT8_S3_lS6_S3_lS4_PT9_S3_li.has_recursion, 0
	.set _ZL34rocblas_syrkx_herkx_general_kernelIi19rocblas_complex_numIfELi16ELi32ELi8ELb1ELb1ELc67ELc76EKS1_S1_EviT_T0_PT8_S3_lS6_S3_lS4_PT9_S3_li.has_indirect_call, 0
	.section	.AMDGPU.csdata,"",@progbits
; Kernel info:
; codeLenInByte = 2268
; TotalNumSgprs: 27
; NumVgprs: 48
; ScratchSize: 0
; MemoryBound: 1
; FloatMode: 240
; IeeeMode: 1
; LDSByteSize: 4096 bytes/workgroup (compile time only)
; SGPRBlocks: 3
; VGPRBlocks: 11
; NumSGPRsForWavesPerEU: 27
; NumVGPRsForWavesPerEU: 48
; Occupancy: 5
; WaveLimiterHint : 0
; COMPUTE_PGM_RSRC2:SCRATCH_EN: 0
; COMPUTE_PGM_RSRC2:USER_SGPR: 6
; COMPUTE_PGM_RSRC2:TRAP_HANDLER: 0
; COMPUTE_PGM_RSRC2:TGID_X_EN: 1
; COMPUTE_PGM_RSRC2:TGID_Y_EN: 1
; COMPUTE_PGM_RSRC2:TGID_Z_EN: 1
; COMPUTE_PGM_RSRC2:TIDIG_COMP_CNT: 1
	.section	.text._ZL34rocblas_syrkx_herkx_general_kernelIi19rocblas_complex_numIfELi16ELi32ELi8ELb1ELb1ELc78ELc76EKS1_S1_EviT_T0_PT8_S3_lS6_S3_lS4_PT9_S3_li,"axG",@progbits,_ZL34rocblas_syrkx_herkx_general_kernelIi19rocblas_complex_numIfELi16ELi32ELi8ELb1ELb1ELc78ELc76EKS1_S1_EviT_T0_PT8_S3_lS6_S3_lS4_PT9_S3_li,comdat
	.globl	_ZL34rocblas_syrkx_herkx_general_kernelIi19rocblas_complex_numIfELi16ELi32ELi8ELb1ELb1ELc78ELc76EKS1_S1_EviT_T0_PT8_S3_lS6_S3_lS4_PT9_S3_li ; -- Begin function _ZL34rocblas_syrkx_herkx_general_kernelIi19rocblas_complex_numIfELi16ELi32ELi8ELb1ELb1ELc78ELc76EKS1_S1_EviT_T0_PT8_S3_lS6_S3_lS4_PT9_S3_li
	.p2align	8
	.type	_ZL34rocblas_syrkx_herkx_general_kernelIi19rocblas_complex_numIfELi16ELi32ELi8ELb1ELb1ELc78ELc76EKS1_S1_EviT_T0_PT8_S3_lS6_S3_lS4_PT9_S3_li,@function
_ZL34rocblas_syrkx_herkx_general_kernelIi19rocblas_complex_numIfELi16ELi32ELi8ELb1ELb1ELc78ELc76EKS1_S1_EviT_T0_PT8_S3_lS6_S3_lS4_PT9_S3_li: ; @_ZL34rocblas_syrkx_herkx_general_kernelIi19rocblas_complex_numIfELi16ELi32ELi8ELb1ELb1ELc78ELc76EKS1_S1_EviT_T0_PT8_S3_lS6_S3_lS4_PT9_S3_li
; %bb.0:
	s_load_dwordx2 s[10:11], s[4:5], 0x0
	s_load_dwordx4 s[12:15], s[4:5], 0x8
	s_lshl_b32 s9, s6, 5
	s_lshl_b32 s20, s7, 5
	s_mov_b32 s21, 0
	s_waitcnt lgkmcnt(0)
	s_cmp_lt_i32 s11, 1
	s_cbranch_scc1 .LBB372_11
; %bb.1:
	v_lshl_add_u32 v2, v1, 4, v0
	v_and_b32_e32 v6, 31, v2
	v_lshrrev_b32_e32 v9, 5, v2
	v_lshrrev_b32_e32 v3, 3, v2
	v_or_b32_e32 v2, s9, v6
	v_and_b32_e32 v8, 7, v0
	v_cmp_gt_i32_e32 vcc, s10, v2
	v_lshlrev_b32_e32 v2, 3, v6
	s_load_dword s6, s[4:5], 0x18
	s_load_dword s22, s[4:5], 0x30
	s_load_dwordx2 s[24:25], s[4:5], 0x38
	s_load_dwordx4 s[16:19], s[4:5], 0x20
	v_lshl_or_b32 v10, v9, 8, v2
	v_lshlrev_b32_e32 v2, 3, v8
	v_lshl_or_b32 v2, v3, 6, v2
	v_add_u32_e32 v4, s20, v3
	v_add_u32_e32 v11, 0x800, v2
	s_waitcnt lgkmcnt(0)
	v_mad_i64_i32 v[2:3], s[2:3], v9, s6, 0
	s_mul_i32 s2, s17, s8
	s_mul_hi_u32 s3, s16, s8
	v_lshlrev_b64 v[2:3], 3, v[2:3]
	s_add_i32 s3, s3, s2
	s_mul_i32 s2, s16, s8
	v_mov_b32_e32 v7, 0x800
	s_lshl_b64 s[2:3], s[2:3], 3
	v_lshl_add_u32 v13, v1, 6, v7
	v_mov_b32_e32 v7, s3
	v_add_co_u32_e64 v14, s[2:3], s2, v2
	v_add_u32_e32 v2, s9, v6
	v_addc_co_u32_e64 v7, s[2:3], v3, v7, s[2:3]
	v_ashrrev_i32_e32 v3, 31, v2
	v_lshlrev_b64 v[2:3], 3, v[2:3]
	v_mov_b32_e32 v6, s15
	v_add_co_u32_e64 v2, s[2:3], v14, v2
	v_addc_co_u32_e64 v3, s[2:3], v7, v3, s[2:3]
	v_add_co_u32_e64 v2, s[2:3], s14, v2
	v_addc_co_u32_e64 v3, s[2:3], v6, v3, s[2:3]
	v_mad_i64_i32 v[6:7], s[2:3], s22, v8, 0
	s_mul_i32 s14, s25, s8
	s_mul_hi_u32 s15, s24, s8
	s_add_i32 s3, s15, s14
	s_mul_i32 s2, s24, s8
	v_lshlrev_b64 v[6:7], 3, v[6:7]
	v_ashrrev_i32_e32 v5, 31, v4
	s_lshl_b64 s[2:3], s[2:3], 3
	v_cmp_gt_i32_e64 s[0:1], s10, v4
	v_mov_b32_e32 v14, s3
	v_add_co_u32_e64 v6, s[2:3], s2, v6
	v_lshlrev_b64 v[4:5], 3, v[4:5]
	v_addc_co_u32_e64 v7, s[2:3], v14, v7, s[2:3]
	v_add_co_u32_e64 v4, s[2:3], v6, v4
	v_addc_co_u32_e64 v5, s[2:3], v7, v5, s[2:3]
	v_mov_b32_e32 v6, s19
	v_add_co_u32_e64 v4, s[2:3], s18, v4
	v_addc_co_u32_e64 v5, s[2:3], v6, v5, s[2:3]
	v_add_co_u32_e64 v4, s[2:3], 4, v4
	s_ashr_i32 s7, s6, 31
	s_ashr_i32 s23, s22, 31
	v_addc_co_u32_e64 v5, s[2:3], 0, v5, s[2:3]
	s_lshl_b64 s[6:7], s[6:7], 6
	s_lshl_b64 s[2:3], s[22:23], 6
	v_lshlrev_b32_e32 v12, 3, v0
	s_xor_b64 s[14:15], vcc, -1
	s_xor_b64 s[0:1], s[0:1], -1
	v_mov_b32_e32 v14, s7
	v_mov_b32_e32 v15, s3
	;; [unrolled: 1-line block ×11, first 2 shown]
	s_branch .LBB372_3
.LBB372_2:                              ;   in Loop: Header=BB372_3 Depth=1
	s_or_b64 exec, exec, s[16:17]
	ds_write_b32 v11, v7 offset:4
	s_waitcnt lgkmcnt(0)
	s_barrier
	ds_read2_b64 v[24:27], v12 offset1:16
	ds_read_b128 v[28:31], v13
	ds_read_b128 v[32:35], v13 offset:16
	ds_read2_b64 v[40:43], v12 offset0:32 offset1:48
	v_add_co_u32_e32 v2, vcc, s6, v2
	s_waitcnt lgkmcnt(2)
	v_mul_f32_e32 v36, v28, v25
	v_fmac_f32_e32 v36, v29, v24
	v_add_f32_e32 v44, v21, v36
	ds_read_b128 v[36:39], v13 offset:1024
	v_mul_f32_e32 v7, v29, v25
	v_fma_f32 v7, v28, v24, -v7
	v_add_f32_e32 v7, v20, v7
	v_mul_f32_e32 v20, v29, v27
	v_mul_f32_e32 v21, v28, v27
	v_fma_f32 v20, v28, v26, -v20
	v_fmac_f32_e32 v21, v29, v26
	v_add_f32_e32 v45, v22, v20
	v_add_f32_e32 v46, v23, v21
	ds_read_b128 v[20:23], v13 offset:1040
	s_waitcnt lgkmcnt(1)
	v_mul_f32_e32 v28, v37, v25
	v_fma_f32 v28, v36, v24, -v28
	v_mul_f32_e32 v47, v36, v25
	v_add_f32_e32 v48, v17, v28
	v_mul_f32_e32 v17, v37, v27
	v_fmac_f32_e32 v47, v37, v24
	v_fma_f32 v17, v36, v26, -v17
	v_mul_f32_e32 v36, v36, v27
	v_mul_f32_e32 v24, v31, v41
	v_fmac_f32_e32 v36, v37, v26
	v_fma_f32 v37, v30, v40, -v24
	v_mul_f32_e32 v24, v31, v43
	v_fma_f32 v50, v30, v42, -v24
	v_mul_f32_e32 v24, v39, v41
	v_mul_f32_e32 v49, v30, v41
	v_fma_f32 v52, v38, v40, -v24
	v_mul_f32_e32 v41, v38, v41
	v_mul_f32_e32 v24, v39, v43
	v_fmac_f32_e32 v49, v31, v40
	v_mul_f32_e32 v51, v30, v43
	v_fmac_f32_e32 v41, v39, v40
	v_fma_f32 v40, v38, v42, -v24
	v_mul_f32_e32 v38, v38, v43
	v_fmac_f32_e32 v51, v31, v42
	v_fmac_f32_e32 v38, v39, v42
	ds_read_b128 v[24:27], v13 offset:32
	ds_read_b128 v[28:31], v13 offset:48
	v_add_f32_e32 v39, v16, v47
	v_add_f32_e32 v42, v18, v17
	v_add_f32_e32 v36, v19, v36
	ds_read2_b64 v[16:19], v12 offset0:64 offset1:80
	v_add_f32_e32 v39, v39, v41
	v_add_f32_e32 v41, v36, v38
	;; [unrolled: 1-line block ×4, first 2 shown]
	s_waitcnt lgkmcnt(0)
	v_mul_f32_e32 v36, v33, v17
	v_fma_f32 v36, v32, v16, -v36
	v_add_f32_e32 v7, v7, v36
	v_mul_f32_e32 v36, v33, v19
	v_mul_f32_e32 v38, v32, v17
	v_fma_f32 v36, v32, v18, -v36
	v_mul_f32_e32 v32, v32, v19
	v_fmac_f32_e32 v38, v33, v16
	v_fmac_f32_e32 v32, v33, v18
	v_add_f32_e32 v33, v43, v36
	v_mul_f32_e32 v36, v21, v17
	v_add_f32_e32 v45, v48, v52
	v_fma_f32 v36, v20, v16, -v36
	v_mul_f32_e32 v17, v20, v17
	v_add_f32_e32 v37, v44, v49
	v_fmac_f32_e32 v17, v21, v16
	v_add_f32_e32 v16, v45, v36
	v_mul_f32_e32 v36, v21, v19
	v_add_f32_e32 v40, v42, v40
	v_add_f32_e32 v42, v37, v38
	;; [unrolled: 1-line block ×3, first 2 shown]
	v_fma_f32 v43, v20, v18, -v36
	ds_read2_b64 v[36:39], v12 offset0:96 offset1:112
	v_mul_f32_e32 v19, v20, v19
	v_fmac_f32_e32 v19, v21, v18
	v_add_f32_e32 v21, v41, v19
	v_add_f32_e32 v44, v46, v51
	s_waitcnt lgkmcnt(0)
	v_mul_f32_e32 v18, v35, v37
	v_fma_f32 v18, v34, v36, -v18
	v_mul_f32_e32 v19, v34, v37
	v_fmac_f32_e32 v19, v35, v36
	v_add_f32_e32 v7, v7, v18
	v_mul_f32_e32 v18, v35, v39
	v_add_f32_e32 v20, v40, v43
	v_add_f32_e32 v40, v42, v19
	v_fma_f32 v18, v34, v38, -v18
	v_mul_f32_e32 v19, v34, v39
	v_add_f32_e32 v32, v44, v32
	v_fmac_f32_e32 v19, v35, v38
	v_add_f32_e32 v33, v33, v18
	v_mul_f32_e32 v18, v23, v37
	v_add_f32_e32 v32, v32, v19
	v_fma_f32 v18, v22, v36, -v18
	v_mul_f32_e32 v19, v22, v37
	v_fmac_f32_e32 v19, v23, v36
	v_add_f32_e32 v36, v16, v18
	v_mul_f32_e32 v16, v23, v39
	v_add_f32_e32 v37, v17, v19
	v_fma_f32 v34, v22, v38, -v16
	ds_read2_b64 v[16:19], v12 offset0:128 offset1:144
	v_mul_f32_e32 v22, v22, v39
	v_fmac_f32_e32 v22, v23, v38
	v_add_f32_e32 v41, v20, v34
	v_add_f32_e32 v42, v21, v22
	s_waitcnt lgkmcnt(0)
	v_mul_f32_e32 v20, v25, v17
	v_fma_f32 v20, v24, v16, -v20
	v_mul_f32_e32 v21, v24, v17
	v_fmac_f32_e32 v21, v25, v16
	v_add_f32_e32 v7, v7, v20
	v_mul_f32_e32 v20, v25, v19
	v_add_f32_e32 v40, v40, v21
	v_fma_f32 v34, v24, v18, -v20
	ds_read_b128 v[20:23], v13 offset:1056
	v_mul_f32_e32 v24, v24, v19
	v_fmac_f32_e32 v24, v25, v18
	v_add_f32_e32 v25, v33, v34
	v_add_f32_e32 v24, v32, v24
	ds_read_b128 v[32:35], v13 offset:1072
	s_waitcnt lgkmcnt(1)
	v_mul_f32_e32 v38, v21, v17
	v_fma_f32 v38, v20, v16, -v38
	v_mul_f32_e32 v17, v20, v17
	v_fmac_f32_e32 v17, v21, v16
	v_add_f32_e32 v16, v36, v38
	v_mul_f32_e32 v36, v21, v19
	v_add_f32_e32 v17, v37, v17
	v_fma_f32 v43, v20, v18, -v36
	ds_read2_b64 v[36:39], v12 offset0:160 offset1:176
	v_mul_f32_e32 v19, v20, v19
	v_fmac_f32_e32 v19, v21, v18
	v_add_f32_e32 v21, v42, v19
	v_add_f32_e32 v20, v41, v43
	s_waitcnt lgkmcnt(0)
	v_mul_f32_e32 v18, v27, v37
	v_fma_f32 v18, v26, v36, -v18
	v_mul_f32_e32 v19, v26, v37
	v_fmac_f32_e32 v19, v27, v36
	v_add_f32_e32 v7, v7, v18
	v_mul_f32_e32 v18, v27, v39
	v_add_f32_e32 v40, v40, v19
	v_fma_f32 v18, v26, v38, -v18
	v_mul_f32_e32 v19, v26, v39
	v_fmac_f32_e32 v19, v27, v38
	v_add_f32_e32 v25, v25, v18
	v_mul_f32_e32 v18, v23, v37
	v_add_f32_e32 v24, v24, v19
	;; [unrolled: 6-line block ×3, first 2 shown]
	v_fma_f32 v36, v22, v38, -v16
	ds_read2_b64 v[16:19], v12 offset0:192 offset1:208
	v_mul_f32_e32 v22, v22, v39
	v_fmac_f32_e32 v22, v23, v38
	v_add_f32_e32 v21, v21, v22
	v_add_f32_e32 v20, v20, v36
	s_waitcnt lgkmcnt(0)
	v_mul_f32_e32 v22, v29, v17
	v_mul_f32_e32 v23, v28, v17
	v_fma_f32 v22, v28, v16, -v22
	v_fmac_f32_e32 v23, v29, v16
	v_add_f32_e32 v7, v7, v22
	v_add_f32_e32 v22, v40, v23
	v_mul_f32_e32 v23, v29, v19
	v_fma_f32 v23, v28, v18, -v23
	v_mul_f32_e32 v28, v28, v19
	v_fmac_f32_e32 v28, v29, v18
	v_add_f32_e32 v28, v24, v28
	v_mul_f32_e32 v24, v33, v17
	v_mul_f32_e32 v17, v32, v17
	v_fma_f32 v24, v32, v16, -v24
	v_fmac_f32_e32 v17, v33, v16
	v_add_f32_e32 v23, v25, v23
	v_add_f32_e32 v16, v26, v24
	;; [unrolled: 1-line block ×3, first 2 shown]
	ds_read2_b64 v[24:27], v12 offset0:224 offset1:240
	v_mul_f32_e32 v17, v33, v19
	v_fma_f32 v17, v32, v18, -v17
	v_mul_f32_e32 v19, v32, v19
	v_fmac_f32_e32 v19, v33, v18
	v_add_f32_e32 v18, v20, v17
	s_waitcnt lgkmcnt(0)
	v_mul_f32_e32 v17, v31, v25
	v_fma_f32 v17, v30, v24, -v17
	v_add_f32_e32 v19, v21, v19
	v_mul_f32_e32 v21, v30, v25
	v_add_f32_e32 v20, v7, v17
	v_mul_f32_e32 v7, v31, v27
	v_fmac_f32_e32 v21, v31, v24
	v_fma_f32 v7, v30, v26, -v7
	v_add_f32_e32 v21, v22, v21
	v_mul_f32_e32 v17, v30, v27
	v_add_f32_e32 v22, v23, v7
	v_mul_f32_e32 v7, v35, v25
	v_fmac_f32_e32 v17, v31, v26
	v_fma_f32 v7, v34, v24, -v7
	v_mul_f32_e32 v25, v34, v25
	v_add_f32_e32 v23, v28, v17
	v_fmac_f32_e32 v25, v35, v24
	v_add_f32_e32 v17, v16, v7
	v_mul_f32_e32 v7, v35, v27
	v_mul_f32_e32 v24, v34, v27
	v_addc_co_u32_e32 v3, vcc, v3, v14, vcc
	v_fma_f32 v7, v34, v26, -v7
	v_fmac_f32_e32 v24, v35, v26
	s_add_i32 s21, s21, 8
	v_add_co_u32_e32 v4, vcc, s2, v4
	v_add_f32_e32 v16, v29, v25
	v_add_f32_e32 v18, v18, v7
	;; [unrolled: 1-line block ×3, first 2 shown]
	s_cmp_ge_i32 s21, s11
	v_addc_co_u32_e32 v5, vcc, v5, v15, vcc
	s_barrier
	s_cbranch_scc1 .LBB372_12
.LBB372_3:                              ; =>This Inner Loop Header: Depth=1
	v_add_u32_e32 v7, s21, v9
	v_cmp_le_i32_e32 vcc, s11, v7
	s_or_b64 s[16:17], s[14:15], vcc
	s_and_saveexec_b64 s[18:19], s[16:17]
	s_xor_b64 s[16:17], exec, s[18:19]
; %bb.4:                                ;   in Loop: Header=BB372_3 Depth=1
	v_mov_b32_e32 v7, v6
	ds_write_b64 v10, v[6:7]
; %bb.5:                                ;   in Loop: Header=BB372_3 Depth=1
	s_andn2_saveexec_b64 s[16:17], s[16:17]
	s_cbranch_execz .LBB372_7
; %bb.6:                                ;   in Loop: Header=BB372_3 Depth=1
	global_load_dwordx2 v[24:25], v[2:3], off
	s_waitcnt vmcnt(0)
	ds_write_b64 v10, v[24:25]
.LBB372_7:                              ;   in Loop: Header=BB372_3 Depth=1
	s_or_b64 exec, exec, s[16:17]
	v_add_u32_e32 v7, s21, v8
	v_cmp_le_i32_e32 vcc, s11, v7
	s_or_b64 s[16:17], vcc, s[0:1]
	s_and_saveexec_b64 s[18:19], s[16:17]
	s_xor_b64 s[16:17], exec, s[18:19]
; %bb.8:                                ;   in Loop: Header=BB372_3 Depth=1
	ds_write_b32 v11, v6
; %bb.9:                                ;   in Loop: Header=BB372_3 Depth=1
	s_or_saveexec_b64 s[16:17], s[16:17]
	v_mov_b32_e32 v7, 0
	s_xor_b64 exec, exec, s[16:17]
	s_cbranch_execz .LBB372_2
; %bb.10:                               ;   in Loop: Header=BB372_3 Depth=1
	global_load_dwordx2 v[24:25], v[4:5], off offset:-4
	s_waitcnt vmcnt(0)
	v_xor_b32_e32 v7, 0x80000000, v25
	ds_write_b32 v11, v24
	s_branch .LBB372_2
.LBB372_11:
	v_mov_b32_e32 v20, 0
	v_mov_b32_e32 v21, 0
	;; [unrolled: 1-line block ×8, first 2 shown]
.LBB372_12:
	s_load_dwordx2 s[0:1], s[4:5], 0x58
	s_load_dwordx2 s[2:3], s[4:5], 0x48
	s_load_dword s6, s[4:5], 0x50
	v_add_u32_e32 v5, s20, v1
	v_add_u32_e32 v0, s9, v0
	s_waitcnt lgkmcnt(0)
	s_mul_i32 s1, s1, s8
	s_mul_hi_u32 s4, s0, s8
	s_add_i32 s1, s4, s1
	v_mad_i64_i32 v[1:2], s[4:5], v5, s6, 0
	s_mul_i32 s0, s0, s8
	s_lshl_b64 s[0:1], s[0:1], 3
	s_add_u32 s7, s2, s0
	v_lshlrev_b64 v[1:2], 3, v[1:2]
	s_addc_u32 s8, s3, s1
	v_mov_b32_e32 v3, s8
	v_add_co_u32_e32 v4, vcc, s7, v1
	v_addc_co_u32_e32 v6, vcc, v3, v2, vcc
	v_cmp_le_i32_e64 s[0:1], v5, v0
	v_cmp_gt_i32_e32 vcc, s10, v0
	s_and_b64 s[0:1], s[0:1], vcc
	s_and_saveexec_b64 s[2:3], s[0:1]
	s_cbranch_execz .LBB372_15
; %bb.13:
	v_mul_f32_e32 v1, s13, v21
	v_fma_f32 v7, v20, s12, -v1
	v_ashrrev_i32_e32 v1, 31, v0
	v_lshlrev_b64 v[1:2], 3, v[0:1]
	v_mul_f32_e32 v8, s12, v21
	v_add_co_u32_e64 v1, s[0:1], v4, v1
	v_addc_co_u32_e64 v2, s[0:1], v6, v2, s[0:1]
	v_fmac_f32_e32 v8, s13, v20
	v_cmp_eq_u32_e64 s[0:1], v5, v0
	global_store_dwordx2 v[1:2], v[7:8], off
	s_and_b64 exec, exec, s[0:1]
	s_cbranch_execz .LBB372_15
; %bb.14:
	v_mov_b32_e32 v3, 0
	global_store_dword v[1:2], v3, off offset:4
.LBB372_15:
	s_or_b64 exec, exec, s[2:3]
	v_add_u32_e32 v2, 16, v0
	v_cmp_le_i32_e64 s[2:3], v5, v2
	v_cmp_gt_i32_e64 s[0:1], s10, v2
	s_and_b64 s[2:3], s[2:3], s[0:1]
	s_and_saveexec_b64 s[4:5], s[2:3]
	s_cbranch_execz .LBB372_18
; %bb.16:
	v_ashrrev_i32_e32 v3, 31, v2
	v_lshlrev_b64 v[9:10], 3, v[2:3]
	v_mul_f32_e32 v1, s13, v23
	v_add_co_u32_e64 v3, s[2:3], v4, v9
	v_mul_f32_e32 v8, s12, v23
	v_addc_co_u32_e64 v4, s[2:3], v6, v10, s[2:3]
	v_fma_f32 v7, v22, s12, -v1
	v_fmac_f32_e32 v8, s13, v22
	v_cmp_eq_u32_e64 s[2:3], v5, v2
	global_store_dwordx2 v[3:4], v[7:8], off
	s_and_b64 exec, exec, s[2:3]
	s_cbranch_execz .LBB372_18
; %bb.17:
	v_mov_b32_e32 v1, 0
	global_store_dword v[3:4], v1, off offset:4
.LBB372_18:
	s_or_b64 exec, exec, s[4:5]
	v_add_u32_e32 v8, 16, v5
	v_mad_i64_i32 v[3:4], s[2:3], v8, s6, 0
	v_mov_b32_e32 v1, s8
	v_lshlrev_b64 v[3:4], 3, v[3:4]
	v_add_co_u32_e64 v6, s[2:3], s7, v3
	v_addc_co_u32_e64 v7, s[2:3], v1, v4, s[2:3]
	v_cmp_le_i32_e64 s[2:3], v8, v0
	s_and_b64 s[4:5], s[2:3], vcc
	s_and_saveexec_b64 s[2:3], s[4:5]
	s_cbranch_execz .LBB372_21
; %bb.19:
	v_mul_f32_e32 v1, s13, v16
	v_fma_f32 v9, v17, s12, -v1
	v_ashrrev_i32_e32 v1, 31, v0
	v_lshlrev_b64 v[3:4], 3, v[0:1]
	v_mul_f32_e32 v10, s12, v16
	v_add_co_u32_e32 v3, vcc, v6, v3
	v_addc_co_u32_e32 v4, vcc, v7, v4, vcc
	v_fmac_f32_e32 v10, s13, v17
	v_cmp_eq_u32_e32 vcc, v8, v0
	global_store_dwordx2 v[3:4], v[9:10], off
	s_and_b64 exec, exec, vcc
	s_cbranch_execz .LBB372_21
; %bb.20:
	v_mov_b32_e32 v1, 0
	global_store_dword v[3:4], v1, off offset:4
.LBB372_21:
	s_or_b64 exec, exec, s[2:3]
	v_cmp_le_i32_e32 vcc, v8, v2
	s_and_b64 s[0:1], vcc, s[0:1]
	s_and_saveexec_b64 s[2:3], s[0:1]
	s_cbranch_execz .LBB372_24
; %bb.22:
	v_mul_f32_e32 v1, s13, v19
	v_ashrrev_i32_e32 v3, 31, v2
	v_fma_f32 v8, v18, s12, -v1
	v_lshlrev_b64 v[1:2], 3, v[2:3]
	v_mul_f32_e32 v9, s12, v19
	v_add_co_u32_e32 v1, vcc, v6, v1
	v_addc_co_u32_e32 v2, vcc, v7, v2, vcc
	v_fmac_f32_e32 v9, s13, v18
	v_cmp_eq_u32_e32 vcc, v5, v0
	global_store_dwordx2 v[1:2], v[8:9], off
	s_and_b64 exec, exec, vcc
	s_cbranch_execz .LBB372_24
; %bb.23:
	v_mov_b32_e32 v0, 0
	global_store_dword v[1:2], v0, off offset:4
.LBB372_24:
	s_endpgm
	.section	.rodata,"a",@progbits
	.p2align	6, 0x0
	.amdhsa_kernel _ZL34rocblas_syrkx_herkx_general_kernelIi19rocblas_complex_numIfELi16ELi32ELi8ELb1ELb1ELc78ELc76EKS1_S1_EviT_T0_PT8_S3_lS6_S3_lS4_PT9_S3_li
		.amdhsa_group_segment_fixed_size 4096
		.amdhsa_private_segment_fixed_size 0
		.amdhsa_kernarg_size 100
		.amdhsa_user_sgpr_count 6
		.amdhsa_user_sgpr_private_segment_buffer 1
		.amdhsa_user_sgpr_dispatch_ptr 0
		.amdhsa_user_sgpr_queue_ptr 0
		.amdhsa_user_sgpr_kernarg_segment_ptr 1
		.amdhsa_user_sgpr_dispatch_id 0
		.amdhsa_user_sgpr_flat_scratch_init 0
		.amdhsa_user_sgpr_private_segment_size 0
		.amdhsa_uses_dynamic_stack 0
		.amdhsa_system_sgpr_private_segment_wavefront_offset 0
		.amdhsa_system_sgpr_workgroup_id_x 1
		.amdhsa_system_sgpr_workgroup_id_y 1
		.amdhsa_system_sgpr_workgroup_id_z 1
		.amdhsa_system_sgpr_workgroup_info 0
		.amdhsa_system_vgpr_workitem_id 1
		.amdhsa_next_free_vgpr 53
		.amdhsa_next_free_sgpr 26
		.amdhsa_reserve_vcc 1
		.amdhsa_reserve_flat_scratch 0
		.amdhsa_float_round_mode_32 0
		.amdhsa_float_round_mode_16_64 0
		.amdhsa_float_denorm_mode_32 3
		.amdhsa_float_denorm_mode_16_64 3
		.amdhsa_dx10_clamp 1
		.amdhsa_ieee_mode 1
		.amdhsa_fp16_overflow 0
		.amdhsa_exception_fp_ieee_invalid_op 0
		.amdhsa_exception_fp_denorm_src 0
		.amdhsa_exception_fp_ieee_div_zero 0
		.amdhsa_exception_fp_ieee_overflow 0
		.amdhsa_exception_fp_ieee_underflow 0
		.amdhsa_exception_fp_ieee_inexact 0
		.amdhsa_exception_int_div_zero 0
	.end_amdhsa_kernel
	.section	.text._ZL34rocblas_syrkx_herkx_general_kernelIi19rocblas_complex_numIfELi16ELi32ELi8ELb1ELb1ELc78ELc76EKS1_S1_EviT_T0_PT8_S3_lS6_S3_lS4_PT9_S3_li,"axG",@progbits,_ZL34rocblas_syrkx_herkx_general_kernelIi19rocblas_complex_numIfELi16ELi32ELi8ELb1ELb1ELc78ELc76EKS1_S1_EviT_T0_PT8_S3_lS6_S3_lS4_PT9_S3_li,comdat
.Lfunc_end372:
	.size	_ZL34rocblas_syrkx_herkx_general_kernelIi19rocblas_complex_numIfELi16ELi32ELi8ELb1ELb1ELc78ELc76EKS1_S1_EviT_T0_PT8_S3_lS6_S3_lS4_PT9_S3_li, .Lfunc_end372-_ZL34rocblas_syrkx_herkx_general_kernelIi19rocblas_complex_numIfELi16ELi32ELi8ELb1ELb1ELc78ELc76EKS1_S1_EviT_T0_PT8_S3_lS6_S3_lS4_PT9_S3_li
                                        ; -- End function
	.set _ZL34rocblas_syrkx_herkx_general_kernelIi19rocblas_complex_numIfELi16ELi32ELi8ELb1ELb1ELc78ELc76EKS1_S1_EviT_T0_PT8_S3_lS6_S3_lS4_PT9_S3_li.num_vgpr, 53
	.set _ZL34rocblas_syrkx_herkx_general_kernelIi19rocblas_complex_numIfELi16ELi32ELi8ELb1ELb1ELc78ELc76EKS1_S1_EviT_T0_PT8_S3_lS6_S3_lS4_PT9_S3_li.num_agpr, 0
	.set _ZL34rocblas_syrkx_herkx_general_kernelIi19rocblas_complex_numIfELi16ELi32ELi8ELb1ELb1ELc78ELc76EKS1_S1_EviT_T0_PT8_S3_lS6_S3_lS4_PT9_S3_li.numbered_sgpr, 26
	.set _ZL34rocblas_syrkx_herkx_general_kernelIi19rocblas_complex_numIfELi16ELi32ELi8ELb1ELb1ELc78ELc76EKS1_S1_EviT_T0_PT8_S3_lS6_S3_lS4_PT9_S3_li.num_named_barrier, 0
	.set _ZL34rocblas_syrkx_herkx_general_kernelIi19rocblas_complex_numIfELi16ELi32ELi8ELb1ELb1ELc78ELc76EKS1_S1_EviT_T0_PT8_S3_lS6_S3_lS4_PT9_S3_li.private_seg_size, 0
	.set _ZL34rocblas_syrkx_herkx_general_kernelIi19rocblas_complex_numIfELi16ELi32ELi8ELb1ELb1ELc78ELc76EKS1_S1_EviT_T0_PT8_S3_lS6_S3_lS4_PT9_S3_li.uses_vcc, 1
	.set _ZL34rocblas_syrkx_herkx_general_kernelIi19rocblas_complex_numIfELi16ELi32ELi8ELb1ELb1ELc78ELc76EKS1_S1_EviT_T0_PT8_S3_lS6_S3_lS4_PT9_S3_li.uses_flat_scratch, 0
	.set _ZL34rocblas_syrkx_herkx_general_kernelIi19rocblas_complex_numIfELi16ELi32ELi8ELb1ELb1ELc78ELc76EKS1_S1_EviT_T0_PT8_S3_lS6_S3_lS4_PT9_S3_li.has_dyn_sized_stack, 0
	.set _ZL34rocblas_syrkx_herkx_general_kernelIi19rocblas_complex_numIfELi16ELi32ELi8ELb1ELb1ELc78ELc76EKS1_S1_EviT_T0_PT8_S3_lS6_S3_lS4_PT9_S3_li.has_recursion, 0
	.set _ZL34rocblas_syrkx_herkx_general_kernelIi19rocblas_complex_numIfELi16ELi32ELi8ELb1ELb1ELc78ELc76EKS1_S1_EviT_T0_PT8_S3_lS6_S3_lS4_PT9_S3_li.has_indirect_call, 0
	.section	.AMDGPU.csdata,"",@progbits
; Kernel info:
; codeLenInByte = 2308
; TotalNumSgprs: 30
; NumVgprs: 53
; ScratchSize: 0
; MemoryBound: 1
; FloatMode: 240
; IeeeMode: 1
; LDSByteSize: 4096 bytes/workgroup (compile time only)
; SGPRBlocks: 3
; VGPRBlocks: 13
; NumSGPRsForWavesPerEU: 30
; NumVGPRsForWavesPerEU: 53
; Occupancy: 4
; WaveLimiterHint : 0
; COMPUTE_PGM_RSRC2:SCRATCH_EN: 0
; COMPUTE_PGM_RSRC2:USER_SGPR: 6
; COMPUTE_PGM_RSRC2:TRAP_HANDLER: 0
; COMPUTE_PGM_RSRC2:TGID_X_EN: 1
; COMPUTE_PGM_RSRC2:TGID_Y_EN: 1
; COMPUTE_PGM_RSRC2:TGID_Z_EN: 1
; COMPUTE_PGM_RSRC2:TIDIG_COMP_CNT: 1
	.section	.text._ZL34rocblas_syrkx_herkx_general_kernelIi19rocblas_complex_numIfELi16ELi32ELi8ELb1ELb1ELc84ELc85EKS1_S1_EviT_T0_PT8_S3_lS6_S3_lS4_PT9_S3_li,"axG",@progbits,_ZL34rocblas_syrkx_herkx_general_kernelIi19rocblas_complex_numIfELi16ELi32ELi8ELb1ELb1ELc84ELc85EKS1_S1_EviT_T0_PT8_S3_lS6_S3_lS4_PT9_S3_li,comdat
	.globl	_ZL34rocblas_syrkx_herkx_general_kernelIi19rocblas_complex_numIfELi16ELi32ELi8ELb1ELb1ELc84ELc85EKS1_S1_EviT_T0_PT8_S3_lS6_S3_lS4_PT9_S3_li ; -- Begin function _ZL34rocblas_syrkx_herkx_general_kernelIi19rocblas_complex_numIfELi16ELi32ELi8ELb1ELb1ELc84ELc85EKS1_S1_EviT_T0_PT8_S3_lS6_S3_lS4_PT9_S3_li
	.p2align	8
	.type	_ZL34rocblas_syrkx_herkx_general_kernelIi19rocblas_complex_numIfELi16ELi32ELi8ELb1ELb1ELc84ELc85EKS1_S1_EviT_T0_PT8_S3_lS6_S3_lS4_PT9_S3_li,@function
_ZL34rocblas_syrkx_herkx_general_kernelIi19rocblas_complex_numIfELi16ELi32ELi8ELb1ELb1ELc84ELc85EKS1_S1_EviT_T0_PT8_S3_lS6_S3_lS4_PT9_S3_li: ; @_ZL34rocblas_syrkx_herkx_general_kernelIi19rocblas_complex_numIfELi16ELi32ELi8ELb1ELb1ELc84ELc85EKS1_S1_EviT_T0_PT8_S3_lS6_S3_lS4_PT9_S3_li
; %bb.0:
	s_load_dwordx2 s[10:11], s[4:5], 0x0
	s_load_dwordx4 s[12:15], s[4:5], 0x8
	s_lshl_b32 s9, s6, 5
	s_lshl_b32 s20, s7, 5
	s_mov_b32 s21, 0
	s_waitcnt lgkmcnt(0)
	s_cmp_lt_i32 s11, 1
	s_cbranch_scc1 .LBB373_11
; %bb.1:
	v_lshl_add_u32 v2, v1, 4, v0
	v_and_b32_e32 v8, 7, v0
	v_lshrrev_b32_e32 v9, 5, v2
	v_lshrrev_b32_e32 v3, 3, v2
	v_and_b32_e32 v2, 31, v2
	s_load_dword s2, s[4:5], 0x18
	s_load_dwordx4 s[16:19], s[4:5], 0x20
	s_load_dword s22, s[4:5], 0x30
	s_load_dwordx2 s[6:7], s[4:5], 0x38
	v_or_b32_e32 v5, s9, v2
	v_lshlrev_b32_e32 v6, 3, v8
	v_add_u32_e32 v4, s20, v3
	v_cmp_gt_i32_e32 vcc, s10, v5
	v_lshlrev_b32_e32 v5, 3, v2
	v_lshl_or_b32 v3, v3, 6, v6
	v_add_u32_e32 v2, s9, v2
	v_add_u32_e32 v11, 0x800, v3
	s_waitcnt lgkmcnt(0)
	v_mad_i64_i32 v[2:3], s[2:3], s2, v2, 0
	s_mul_i32 s2, s17, s8
	s_mul_hi_u32 s3, s16, s8
	v_lshlrev_b64 v[2:3], 3, v[2:3]
	s_add_i32 s3, s3, s2
	s_mul_i32 s2, s16, s8
	v_lshl_or_b32 v10, v9, 8, v5
	v_mov_b32_e32 v5, 0x800
	s_lshl_b64 s[2:3], s[2:3], 3
	v_lshl_add_u32 v13, v1, 6, v5
	v_mov_b32_e32 v5, s3
	v_add_co_u32_e64 v2, s[2:3], s2, v2
	v_addc_co_u32_e64 v3, s[2:3], v3, v5, s[2:3]
	v_lshlrev_b32_e32 v5, 3, v9
	v_add_co_u32_e64 v2, s[2:3], v2, v5
	v_cmp_gt_i32_e64 s[0:1], s10, v4
	v_addc_co_u32_e64 v3, s[2:3], 0, v3, s[2:3]
	v_mad_i64_i32 v[4:5], s[2:3], s22, v4, 0
	v_mov_b32_e32 v7, s15
	v_add_co_u32_e64 v2, s[2:3], s14, v2
	v_addc_co_u32_e64 v3, s[2:3], v7, v3, s[2:3]
	s_mul_i32 s2, s7, s8
	s_mul_hi_u32 s3, s6, s8
	v_lshlrev_b64 v[4:5], 3, v[4:5]
	s_add_i32 s3, s3, s2
	s_mul_i32 s2, s6, s8
	s_lshl_b64 s[2:3], s[2:3], 3
	v_mov_b32_e32 v7, s3
	v_add_co_u32_e64 v4, s[2:3], s2, v4
	v_addc_co_u32_e64 v5, s[2:3], v5, v7, s[2:3]
	v_add_co_u32_e64 v4, s[2:3], v4, v6
	v_addc_co_u32_e64 v5, s[2:3], 0, v5, s[2:3]
	v_mov_b32_e32 v6, s19
	v_add_co_u32_e64 v4, s[2:3], s18, v4
	v_addc_co_u32_e64 v5, s[2:3], v6, v5, s[2:3]
	v_lshlrev_b32_e32 v12, 3, v0
	s_xor_b64 s[2:3], vcc, -1
	s_xor_b64 s[0:1], s[0:1], -1
	v_mov_b32_e32 v17, 0
	v_mov_b32_e32 v16, 0
	;; [unrolled: 1-line block ×9, first 2 shown]
	s_branch .LBB373_3
.LBB373_2:                              ;   in Loop: Header=BB373_3 Depth=1
	s_or_b64 exec, exec, s[6:7]
	s_waitcnt lgkmcnt(0)
	s_barrier
	ds_read2_b64 v[22:25], v12 offset1:16
	ds_read_b128 v[26:29], v13
	ds_read_b128 v[30:33], v13 offset:16
	v_add_co_u32_e32 v2, vcc, 64, v2
	v_addc_co_u32_e32 v3, vcc, 0, v3, vcc
	s_waitcnt lgkmcnt(1)
	v_mul_f32_e32 v34, v26, v23
	v_fmac_f32_e32 v34, v27, v22
	v_add_f32_e32 v46, v21, v34
	ds_read_b128 v[34:37], v13 offset:1024
	v_mul_f32_e32 v7, v27, v23
	v_fma_f32 v7, v26, v22, -v7
	v_add_f32_e32 v7, v20, v7
	v_mul_f32_e32 v20, v27, v25
	v_mul_f32_e32 v21, v26, v25
	v_fma_f32 v20, v26, v24, -v20
	v_fmac_f32_e32 v21, v27, v24
	v_add_f32_e32 v26, v18, v20
	v_add_f32_e32 v27, v19, v21
	ds_read_b128 v[18:21], v13 offset:1040
	s_waitcnt lgkmcnt(1)
	v_mul_f32_e32 v38, v35, v23
	v_mul_f32_e32 v23, v34, v23
	v_fma_f32 v38, v34, v22, -v38
	v_fmac_f32_e32 v23, v35, v22
	v_mul_f32_e32 v22, v35, v25
	v_fma_f32 v47, v34, v24, -v22
	v_mul_f32_e32 v34, v34, v25
	v_add_f32_e32 v14, v14, v38
	v_add_f32_e32 v15, v15, v23
	v_fmac_f32_e32 v34, v35, v24
	ds_read2_b64 v[22:25], v12 offset0:32 offset1:48
	ds_read_b128 v[38:41], v13 offset:32
	ds_read_b128 v[42:45], v13 offset:48
	v_add_f32_e32 v35, v16, v47
	v_add_f32_e32 v34, v17, v34
	s_waitcnt lgkmcnt(2)
	v_mul_f32_e32 v16, v29, v23
	v_fma_f32 v16, v28, v22, -v16
	v_mul_f32_e32 v17, v28, v23
	v_fmac_f32_e32 v17, v29, v22
	v_add_f32_e32 v7, v7, v16
	v_mul_f32_e32 v16, v29, v25
	v_add_f32_e32 v46, v46, v17
	v_fma_f32 v16, v28, v24, -v16
	v_mul_f32_e32 v17, v28, v25
	v_fmac_f32_e32 v17, v29, v24
	v_add_f32_e32 v26, v26, v16
	v_mul_f32_e32 v16, v37, v23
	v_add_f32_e32 v27, v27, v17
	;; [unrolled: 6-line block ×3, first 2 shown]
	v_fma_f32 v28, v36, v24, -v14
	ds_read2_b64 v[14:17], v12 offset0:64 offset1:80
	v_mul_f32_e32 v25, v36, v25
	v_fmac_f32_e32 v25, v37, v24
	v_add_f32_e32 v29, v34, v25
	v_add_f32_e32 v28, v35, v28
	s_waitcnt lgkmcnt(0)
	v_mul_f32_e32 v24, v31, v15
	v_fma_f32 v24, v30, v14, -v24
	v_add_f32_e32 v7, v7, v24
	v_mul_f32_e32 v24, v31, v17
	v_mul_f32_e32 v25, v30, v15
	v_fma_f32 v24, v30, v16, -v24
	v_fmac_f32_e32 v25, v31, v14
	v_add_f32_e32 v26, v26, v24
	v_mul_f32_e32 v24, v19, v15
	v_add_f32_e32 v34, v46, v25
	v_mul_f32_e32 v25, v30, v17
	v_fma_f32 v24, v18, v14, -v24
	v_mul_f32_e32 v15, v18, v15
	v_fmac_f32_e32 v25, v31, v16
	v_fmac_f32_e32 v15, v19, v14
	v_add_f32_e32 v14, v22, v24
	v_mul_f32_e32 v22, v19, v17
	v_add_f32_e32 v27, v27, v25
	v_add_f32_e32 v15, v23, v15
	v_fma_f32 v30, v18, v16, -v22
	ds_read2_b64 v[22:25], v12 offset0:96 offset1:112
	v_mul_f32_e32 v17, v18, v17
	v_fmac_f32_e32 v17, v19, v16
	v_add_f32_e32 v19, v29, v17
	v_add_f32_e32 v18, v28, v30
	s_waitcnt lgkmcnt(0)
	v_mul_f32_e32 v16, v33, v23
	v_fma_f32 v16, v32, v22, -v16
	v_mul_f32_e32 v17, v32, v23
	v_fmac_f32_e32 v17, v33, v22
	v_add_f32_e32 v7, v7, v16
	v_mul_f32_e32 v16, v33, v25
	v_add_f32_e32 v28, v34, v17
	v_fma_f32 v16, v32, v24, -v16
	v_mul_f32_e32 v17, v32, v25
	v_fmac_f32_e32 v17, v33, v24
	v_add_f32_e32 v26, v26, v16
	v_mul_f32_e32 v16, v21, v23
	v_add_f32_e32 v27, v27, v17
	v_fma_f32 v16, v20, v22, -v16
	v_mul_f32_e32 v17, v20, v23
	v_fmac_f32_e32 v17, v21, v22
	v_add_f32_e32 v29, v14, v16
	v_mul_f32_e32 v14, v21, v25
	v_add_f32_e32 v30, v15, v17
	v_fma_f32 v22, v20, v24, -v14
	ds_read2_b64 v[14:17], v12 offset0:128 offset1:144
	v_mul_f32_e32 v20, v20, v25
	v_fmac_f32_e32 v20, v21, v24
	v_add_f32_e32 v31, v18, v22
	v_add_f32_e32 v32, v19, v20
	s_waitcnt lgkmcnt(0)
	v_mul_f32_e32 v18, v39, v15
	v_fma_f32 v18, v38, v14, -v18
	v_mul_f32_e32 v19, v38, v15
	v_fmac_f32_e32 v19, v39, v14
	v_add_f32_e32 v7, v7, v18
	v_mul_f32_e32 v18, v39, v17
	v_add_f32_e32 v33, v28, v19
	v_fma_f32 v22, v38, v16, -v18
	ds_read_b128 v[18:21], v13 offset:1056
	v_mul_f32_e32 v23, v38, v17
	v_fmac_f32_e32 v23, v39, v16
	v_add_f32_e32 v34, v26, v22
	v_add_f32_e32 v35, v27, v23
	ds_read_b128 v[22:25], v13 offset:1072
	s_waitcnt lgkmcnt(1)
	v_mul_f32_e32 v26, v19, v15
	v_fma_f32 v26, v18, v14, -v26
	v_mul_f32_e32 v15, v18, v15
	v_fmac_f32_e32 v15, v19, v14
	v_add_f32_e32 v14, v29, v26
	v_mul_f32_e32 v26, v19, v17
	v_add_f32_e32 v15, v30, v15
	v_fma_f32 v30, v18, v16, -v26
	ds_read2_b64 v[26:29], v12 offset0:160 offset1:176
	v_mul_f32_e32 v17, v18, v17
	v_fmac_f32_e32 v17, v19, v16
	v_add_f32_e32 v19, v32, v17
	v_add_f32_e32 v18, v31, v30
	s_waitcnt lgkmcnt(0)
	v_mul_f32_e32 v16, v41, v27
	v_fma_f32 v16, v40, v26, -v16
	v_mul_f32_e32 v17, v40, v27
	v_fmac_f32_e32 v17, v41, v26
	v_add_f32_e32 v7, v7, v16
	v_mul_f32_e32 v16, v41, v29
	v_add_f32_e32 v30, v33, v17
	v_fma_f32 v16, v40, v28, -v16
	v_mul_f32_e32 v17, v40, v29
	v_fmac_f32_e32 v17, v41, v28
	v_add_f32_e32 v31, v34, v16
	v_mul_f32_e32 v16, v21, v27
	v_add_f32_e32 v32, v35, v17
	;; [unrolled: 6-line block ×3, first 2 shown]
	v_fma_f32 v33, v20, v28, -v14
	ds_read2_b64 v[14:17], v12 offset0:192 offset1:208
	v_mul_f32_e32 v20, v20, v29
	v_fmac_f32_e32 v20, v21, v28
	v_add_f32_e32 v19, v19, v20
	v_add_f32_e32 v18, v18, v33
	s_waitcnt lgkmcnt(0)
	v_mul_f32_e32 v20, v43, v15
	v_fma_f32 v20, v42, v14, -v20
	v_mul_f32_e32 v21, v42, v15
	v_add_f32_e32 v7, v7, v20
	v_mul_f32_e32 v20, v43, v17
	v_fmac_f32_e32 v21, v43, v14
	v_fma_f32 v20, v42, v16, -v20
	v_add_f32_e32 v21, v30, v21
	v_mul_f32_e32 v28, v42, v17
	v_add_f32_e32 v30, v31, v20
	v_mul_f32_e32 v20, v23, v15
	v_mul_f32_e32 v15, v22, v15
	v_fmac_f32_e32 v28, v43, v16
	v_fma_f32 v20, v22, v14, -v20
	v_fmac_f32_e32 v15, v23, v14
	v_add_f32_e32 v31, v32, v28
	v_add_f32_e32 v14, v26, v20
	v_add_f32_e32 v15, v27, v15
	ds_read2_b64 v[26:29], v12 offset0:224 offset1:240
	v_mul_f32_e32 v20, v23, v17
	v_fma_f32 v20, v22, v16, -v20
	v_mul_f32_e32 v17, v22, v17
	v_fmac_f32_e32 v17, v23, v16
	v_add_f32_e32 v16, v18, v20
	s_waitcnt lgkmcnt(0)
	v_mul_f32_e32 v18, v45, v27
	v_fma_f32 v18, v44, v26, -v18
	v_add_f32_e32 v20, v7, v18
	v_mul_f32_e32 v7, v45, v29
	v_fma_f32 v7, v44, v28, -v7
	v_add_f32_e32 v17, v19, v17
	v_mul_f32_e32 v19, v44, v27
	v_add_f32_e32 v18, v30, v7
	v_mul_f32_e32 v7, v25, v27
	v_mul_f32_e32 v22, v24, v27
	v_fmac_f32_e32 v19, v45, v26
	v_fma_f32 v7, v24, v26, -v7
	v_fmac_f32_e32 v22, v25, v26
	v_add_f32_e32 v21, v21, v19
	v_mul_f32_e32 v19, v44, v29
	v_add_f32_e32 v14, v14, v7
	v_add_f32_e32 v15, v15, v22
	v_mul_f32_e32 v7, v25, v29
	v_mul_f32_e32 v22, v24, v29
	v_fmac_f32_e32 v19, v45, v28
	v_fma_f32 v7, v24, v28, -v7
	v_fmac_f32_e32 v22, v25, v28
	s_add_i32 s21, s21, 8
	v_add_co_u32_e32 v4, vcc, 64, v4
	v_add_f32_e32 v19, v31, v19
	v_add_f32_e32 v16, v16, v7
	v_add_f32_e32 v17, v17, v22
	s_cmp_ge_i32 s21, s11
	v_addc_co_u32_e32 v5, vcc, 0, v5, vcc
	s_barrier
	s_cbranch_scc1 .LBB373_12
.LBB373_3:                              ; =>This Inner Loop Header: Depth=1
	v_add_u32_e32 v7, s21, v9
	v_cmp_le_i32_e32 vcc, s11, v7
	s_or_b64 s[6:7], s[2:3], vcc
	s_and_saveexec_b64 s[14:15], s[6:7]
	s_xor_b64 s[6:7], exec, s[14:15]
; %bb.4:                                ;   in Loop: Header=BB373_3 Depth=1
	v_mov_b32_e32 v7, v6
	ds_write_b64 v10, v[6:7]
; %bb.5:                                ;   in Loop: Header=BB373_3 Depth=1
	s_andn2_saveexec_b64 s[6:7], s[6:7]
	s_cbranch_execz .LBB373_7
; %bb.6:                                ;   in Loop: Header=BB373_3 Depth=1
	global_load_dwordx2 v[22:23], v[2:3], off
	s_waitcnt vmcnt(0)
	ds_write_b64 v10, v[22:23]
.LBB373_7:                              ;   in Loop: Header=BB373_3 Depth=1
	s_or_b64 exec, exec, s[6:7]
	v_add_u32_e32 v7, s21, v8
	v_cmp_le_i32_e32 vcc, s11, v7
	s_or_b64 s[6:7], vcc, s[0:1]
	s_and_saveexec_b64 s[14:15], s[6:7]
	s_xor_b64 s[6:7], exec, s[14:15]
; %bb.8:                                ;   in Loop: Header=BB373_3 Depth=1
	v_mov_b32_e32 v7, v6
	ds_write_b64 v11, v[6:7]
; %bb.9:                                ;   in Loop: Header=BB373_3 Depth=1
	s_andn2_saveexec_b64 s[6:7], s[6:7]
	s_cbranch_execz .LBB373_2
; %bb.10:                               ;   in Loop: Header=BB373_3 Depth=1
	global_load_dwordx2 v[22:23], v[4:5], off
	s_waitcnt vmcnt(0)
	ds_write_b64 v11, v[22:23]
	s_branch .LBB373_2
.LBB373_11:
	v_mov_b32_e32 v20, 0
	v_mov_b32_e32 v21, 0
	v_mov_b32_e32 v18, 0
	v_mov_b32_e32 v19, 0
	v_mov_b32_e32 v14, 0
	v_mov_b32_e32 v15, 0
	v_mov_b32_e32 v16, 0
	v_mov_b32_e32 v17, 0
.LBB373_12:
	s_load_dwordx2 s[0:1], s[4:5], 0x58
	s_load_dwordx2 s[2:3], s[4:5], 0x48
	s_load_dword s6, s[4:5], 0x50
	v_add_u32_e32 v5, s20, v1
	v_add_u32_e32 v0, s9, v0
	s_waitcnt lgkmcnt(0)
	s_mul_i32 s1, s1, s8
	s_mul_hi_u32 s4, s0, s8
	v_mad_i64_i32 v[1:2], s[14:15], v5, s6, 0
	s_mul_i32 s0, s0, s8
	s_add_i32 s1, s4, s1
	s_lshl_b64 s[0:1], s[0:1], 3
	s_add_u32 s4, s2, s0
	v_lshlrev_b64 v[1:2], 3, v[1:2]
	s_addc_u32 s5, s3, s1
	v_mov_b32_e32 v3, s5
	v_add_co_u32_e64 v4, s[0:1], s4, v1
	v_addc_co_u32_e64 v6, s[0:1], v3, v2, s[0:1]
	v_cmp_gt_i32_e32 vcc, s10, v5
	v_cmp_le_i32_e64 s[0:1], v0, v5
	s_and_b64 s[0:1], vcc, s[0:1]
	s_and_saveexec_b64 s[2:3], s[0:1]
	s_cbranch_execz .LBB373_15
; %bb.13:
	v_mul_f32_e32 v1, s13, v21
	v_fma_f32 v7, v20, s12, -v1
	v_ashrrev_i32_e32 v1, 31, v0
	v_lshlrev_b64 v[1:2], 3, v[0:1]
	v_mul_f32_e32 v8, s12, v21
	v_add_co_u32_e64 v1, s[0:1], v4, v1
	v_addc_co_u32_e64 v2, s[0:1], v6, v2, s[0:1]
	v_fmac_f32_e32 v8, s13, v20
	v_cmp_eq_u32_e64 s[0:1], v5, v0
	global_store_dwordx2 v[1:2], v[7:8], off
	s_and_b64 exec, exec, s[0:1]
	s_cbranch_execz .LBB373_15
; %bb.14:
	v_mov_b32_e32 v3, 0
	global_store_dword v[1:2], v3, off offset:4
.LBB373_15:
	s_or_b64 exec, exec, s[2:3]
	v_add_u32_e32 v2, 16, v0
	v_cmp_le_i32_e64 s[0:1], v2, v5
	s_and_b64 s[2:3], vcc, s[0:1]
	s_and_saveexec_b64 s[0:1], s[2:3]
	s_cbranch_execz .LBB373_18
; %bb.16:
	v_ashrrev_i32_e32 v3, 31, v2
	v_lshlrev_b64 v[9:10], 3, v[2:3]
	v_mul_f32_e32 v1, s13, v19
	v_add_co_u32_e32 v3, vcc, v4, v9
	v_mul_f32_e32 v8, s12, v19
	v_addc_co_u32_e32 v4, vcc, v6, v10, vcc
	v_fma_f32 v7, v18, s12, -v1
	v_fmac_f32_e32 v8, s13, v18
	v_cmp_eq_u32_e32 vcc, v5, v2
	global_store_dwordx2 v[3:4], v[7:8], off
	s_and_b64 exec, exec, vcc
	s_cbranch_execz .LBB373_18
; %bb.17:
	v_mov_b32_e32 v1, 0
	global_store_dword v[3:4], v1, off offset:4
.LBB373_18:
	s_or_b64 exec, exec, s[0:1]
	v_add_u32_e32 v8, 16, v5
	v_mad_i64_i32 v[3:4], s[0:1], v8, s6, 0
	v_mov_b32_e32 v1, s5
	v_cmp_gt_i32_e32 vcc, s10, v8
	v_lshlrev_b64 v[3:4], 3, v[3:4]
	v_add_co_u32_e64 v6, s[0:1], s4, v3
	v_addc_co_u32_e64 v7, s[0:1], v1, v4, s[0:1]
	v_cmp_le_i32_e64 s[0:1], v0, v8
	s_and_b64 s[0:1], vcc, s[0:1]
	s_and_saveexec_b64 s[2:3], s[0:1]
	s_cbranch_execz .LBB373_21
; %bb.19:
	v_mul_f32_e32 v1, s13, v15
	v_fma_f32 v9, v14, s12, -v1
	v_ashrrev_i32_e32 v1, 31, v0
	v_lshlrev_b64 v[3:4], 3, v[0:1]
	v_mul_f32_e32 v10, s12, v15
	v_add_co_u32_e64 v3, s[0:1], v6, v3
	v_addc_co_u32_e64 v4, s[0:1], v7, v4, s[0:1]
	v_fmac_f32_e32 v10, s13, v14
	v_cmp_eq_u32_e64 s[0:1], v8, v0
	global_store_dwordx2 v[3:4], v[9:10], off
	s_and_b64 exec, exec, s[0:1]
	s_cbranch_execz .LBB373_21
; %bb.20:
	v_mov_b32_e32 v1, 0
	global_store_dword v[3:4], v1, off offset:4
.LBB373_21:
	s_or_b64 exec, exec, s[2:3]
	v_cmp_le_i32_e64 s[0:1], v2, v8
	s_and_b64 s[0:1], vcc, s[0:1]
	s_and_saveexec_b64 s[2:3], s[0:1]
	s_cbranch_execz .LBB373_24
; %bb.22:
	v_mul_f32_e32 v1, s13, v17
	v_ashrrev_i32_e32 v3, 31, v2
	v_fma_f32 v8, v16, s12, -v1
	v_lshlrev_b64 v[1:2], 3, v[2:3]
	v_mul_f32_e32 v9, s12, v17
	v_add_co_u32_e32 v1, vcc, v6, v1
	v_addc_co_u32_e32 v2, vcc, v7, v2, vcc
	v_fmac_f32_e32 v9, s13, v16
	v_cmp_eq_u32_e32 vcc, v5, v0
	global_store_dwordx2 v[1:2], v[8:9], off
	s_and_b64 exec, exec, vcc
	s_cbranch_execz .LBB373_24
; %bb.23:
	v_mov_b32_e32 v0, 0
	global_store_dword v[1:2], v0, off offset:4
.LBB373_24:
	s_endpgm
	.section	.rodata,"a",@progbits
	.p2align	6, 0x0
	.amdhsa_kernel _ZL34rocblas_syrkx_herkx_general_kernelIi19rocblas_complex_numIfELi16ELi32ELi8ELb1ELb1ELc84ELc85EKS1_S1_EviT_T0_PT8_S3_lS6_S3_lS4_PT9_S3_li
		.amdhsa_group_segment_fixed_size 4096
		.amdhsa_private_segment_fixed_size 0
		.amdhsa_kernarg_size 100
		.amdhsa_user_sgpr_count 6
		.amdhsa_user_sgpr_private_segment_buffer 1
		.amdhsa_user_sgpr_dispatch_ptr 0
		.amdhsa_user_sgpr_queue_ptr 0
		.amdhsa_user_sgpr_kernarg_segment_ptr 1
		.amdhsa_user_sgpr_dispatch_id 0
		.amdhsa_user_sgpr_flat_scratch_init 0
		.amdhsa_user_sgpr_private_segment_size 0
		.amdhsa_uses_dynamic_stack 0
		.amdhsa_system_sgpr_private_segment_wavefront_offset 0
		.amdhsa_system_sgpr_workgroup_id_x 1
		.amdhsa_system_sgpr_workgroup_id_y 1
		.amdhsa_system_sgpr_workgroup_id_z 1
		.amdhsa_system_sgpr_workgroup_info 0
		.amdhsa_system_vgpr_workitem_id 1
		.amdhsa_next_free_vgpr 48
		.amdhsa_next_free_sgpr 23
		.amdhsa_reserve_vcc 1
		.amdhsa_reserve_flat_scratch 0
		.amdhsa_float_round_mode_32 0
		.amdhsa_float_round_mode_16_64 0
		.amdhsa_float_denorm_mode_32 3
		.amdhsa_float_denorm_mode_16_64 3
		.amdhsa_dx10_clamp 1
		.amdhsa_ieee_mode 1
		.amdhsa_fp16_overflow 0
		.amdhsa_exception_fp_ieee_invalid_op 0
		.amdhsa_exception_fp_denorm_src 0
		.amdhsa_exception_fp_ieee_div_zero 0
		.amdhsa_exception_fp_ieee_overflow 0
		.amdhsa_exception_fp_ieee_underflow 0
		.amdhsa_exception_fp_ieee_inexact 0
		.amdhsa_exception_int_div_zero 0
	.end_amdhsa_kernel
	.section	.text._ZL34rocblas_syrkx_herkx_general_kernelIi19rocblas_complex_numIfELi16ELi32ELi8ELb1ELb1ELc84ELc85EKS1_S1_EviT_T0_PT8_S3_lS6_S3_lS4_PT9_S3_li,"axG",@progbits,_ZL34rocblas_syrkx_herkx_general_kernelIi19rocblas_complex_numIfELi16ELi32ELi8ELb1ELb1ELc84ELc85EKS1_S1_EviT_T0_PT8_S3_lS6_S3_lS4_PT9_S3_li,comdat
.Lfunc_end373:
	.size	_ZL34rocblas_syrkx_herkx_general_kernelIi19rocblas_complex_numIfELi16ELi32ELi8ELb1ELb1ELc84ELc85EKS1_S1_EviT_T0_PT8_S3_lS6_S3_lS4_PT9_S3_li, .Lfunc_end373-_ZL34rocblas_syrkx_herkx_general_kernelIi19rocblas_complex_numIfELi16ELi32ELi8ELb1ELb1ELc84ELc85EKS1_S1_EviT_T0_PT8_S3_lS6_S3_lS4_PT9_S3_li
                                        ; -- End function
	.set _ZL34rocblas_syrkx_herkx_general_kernelIi19rocblas_complex_numIfELi16ELi32ELi8ELb1ELb1ELc84ELc85EKS1_S1_EviT_T0_PT8_S3_lS6_S3_lS4_PT9_S3_li.num_vgpr, 48
	.set _ZL34rocblas_syrkx_herkx_general_kernelIi19rocblas_complex_numIfELi16ELi32ELi8ELb1ELb1ELc84ELc85EKS1_S1_EviT_T0_PT8_S3_lS6_S3_lS4_PT9_S3_li.num_agpr, 0
	.set _ZL34rocblas_syrkx_herkx_general_kernelIi19rocblas_complex_numIfELi16ELi32ELi8ELb1ELb1ELc84ELc85EKS1_S1_EviT_T0_PT8_S3_lS6_S3_lS4_PT9_S3_li.numbered_sgpr, 23
	.set _ZL34rocblas_syrkx_herkx_general_kernelIi19rocblas_complex_numIfELi16ELi32ELi8ELb1ELb1ELc84ELc85EKS1_S1_EviT_T0_PT8_S3_lS6_S3_lS4_PT9_S3_li.num_named_barrier, 0
	.set _ZL34rocblas_syrkx_herkx_general_kernelIi19rocblas_complex_numIfELi16ELi32ELi8ELb1ELb1ELc84ELc85EKS1_S1_EviT_T0_PT8_S3_lS6_S3_lS4_PT9_S3_li.private_seg_size, 0
	.set _ZL34rocblas_syrkx_herkx_general_kernelIi19rocblas_complex_numIfELi16ELi32ELi8ELb1ELb1ELc84ELc85EKS1_S1_EviT_T0_PT8_S3_lS6_S3_lS4_PT9_S3_li.uses_vcc, 1
	.set _ZL34rocblas_syrkx_herkx_general_kernelIi19rocblas_complex_numIfELi16ELi32ELi8ELb1ELb1ELc84ELc85EKS1_S1_EviT_T0_PT8_S3_lS6_S3_lS4_PT9_S3_li.uses_flat_scratch, 0
	.set _ZL34rocblas_syrkx_herkx_general_kernelIi19rocblas_complex_numIfELi16ELi32ELi8ELb1ELb1ELc84ELc85EKS1_S1_EviT_T0_PT8_S3_lS6_S3_lS4_PT9_S3_li.has_dyn_sized_stack, 0
	.set _ZL34rocblas_syrkx_herkx_general_kernelIi19rocblas_complex_numIfELi16ELi32ELi8ELb1ELb1ELc84ELc85EKS1_S1_EviT_T0_PT8_S3_lS6_S3_lS4_PT9_S3_li.has_recursion, 0
	.set _ZL34rocblas_syrkx_herkx_general_kernelIi19rocblas_complex_numIfELi16ELi32ELi8ELb1ELb1ELc84ELc85EKS1_S1_EviT_T0_PT8_S3_lS6_S3_lS4_PT9_S3_li.has_indirect_call, 0
	.section	.AMDGPU.csdata,"",@progbits
; Kernel info:
; codeLenInByte = 2240
; TotalNumSgprs: 27
; NumVgprs: 48
; ScratchSize: 0
; MemoryBound: 1
; FloatMode: 240
; IeeeMode: 1
; LDSByteSize: 4096 bytes/workgroup (compile time only)
; SGPRBlocks: 3
; VGPRBlocks: 11
; NumSGPRsForWavesPerEU: 27
; NumVGPRsForWavesPerEU: 48
; Occupancy: 5
; WaveLimiterHint : 0
; COMPUTE_PGM_RSRC2:SCRATCH_EN: 0
; COMPUTE_PGM_RSRC2:USER_SGPR: 6
; COMPUTE_PGM_RSRC2:TRAP_HANDLER: 0
; COMPUTE_PGM_RSRC2:TGID_X_EN: 1
; COMPUTE_PGM_RSRC2:TGID_Y_EN: 1
; COMPUTE_PGM_RSRC2:TGID_Z_EN: 1
; COMPUTE_PGM_RSRC2:TIDIG_COMP_CNT: 1
	.section	.text._ZL34rocblas_syrkx_herkx_general_kernelIi19rocblas_complex_numIfELi16ELi32ELi8ELb1ELb1ELc67ELc85EKS1_S1_EviT_T0_PT8_S3_lS6_S3_lS4_PT9_S3_li,"axG",@progbits,_ZL34rocblas_syrkx_herkx_general_kernelIi19rocblas_complex_numIfELi16ELi32ELi8ELb1ELb1ELc67ELc85EKS1_S1_EviT_T0_PT8_S3_lS6_S3_lS4_PT9_S3_li,comdat
	.globl	_ZL34rocblas_syrkx_herkx_general_kernelIi19rocblas_complex_numIfELi16ELi32ELi8ELb1ELb1ELc67ELc85EKS1_S1_EviT_T0_PT8_S3_lS6_S3_lS4_PT9_S3_li ; -- Begin function _ZL34rocblas_syrkx_herkx_general_kernelIi19rocblas_complex_numIfELi16ELi32ELi8ELb1ELb1ELc67ELc85EKS1_S1_EviT_T0_PT8_S3_lS6_S3_lS4_PT9_S3_li
	.p2align	8
	.type	_ZL34rocblas_syrkx_herkx_general_kernelIi19rocblas_complex_numIfELi16ELi32ELi8ELb1ELb1ELc67ELc85EKS1_S1_EviT_T0_PT8_S3_lS6_S3_lS4_PT9_S3_li,@function
_ZL34rocblas_syrkx_herkx_general_kernelIi19rocblas_complex_numIfELi16ELi32ELi8ELb1ELb1ELc67ELc85EKS1_S1_EviT_T0_PT8_S3_lS6_S3_lS4_PT9_S3_li: ; @_ZL34rocblas_syrkx_herkx_general_kernelIi19rocblas_complex_numIfELi16ELi32ELi8ELb1ELb1ELc67ELc85EKS1_S1_EviT_T0_PT8_S3_lS6_S3_lS4_PT9_S3_li
; %bb.0:
	s_load_dwordx2 s[10:11], s[4:5], 0x0
	s_load_dwordx4 s[12:15], s[4:5], 0x8
	s_lshl_b32 s9, s6, 5
	s_lshl_b32 s20, s7, 5
	s_mov_b32 s21, 0
	s_waitcnt lgkmcnt(0)
	s_cmp_lt_i32 s11, 1
	s_cbranch_scc1 .LBB374_11
; %bb.1:
	v_lshl_add_u32 v2, v1, 4, v0
	v_and_b32_e32 v8, 7, v0
	v_lshrrev_b32_e32 v9, 5, v2
	v_lshrrev_b32_e32 v3, 3, v2
	v_and_b32_e32 v2, 31, v2
	s_load_dword s2, s[4:5], 0x18
	s_load_dwordx4 s[16:19], s[4:5], 0x20
	s_load_dword s22, s[4:5], 0x30
	s_load_dwordx2 s[6:7], s[4:5], 0x38
	v_or_b32_e32 v5, s9, v2
	v_lshlrev_b32_e32 v6, 3, v8
	v_add_u32_e32 v4, s20, v3
	v_cmp_gt_i32_e32 vcc, s10, v5
	v_lshlrev_b32_e32 v5, 3, v2
	v_lshl_or_b32 v3, v3, 6, v6
	v_add_u32_e32 v2, s9, v2
	v_add_u32_e32 v11, 0x800, v3
	s_waitcnt lgkmcnt(0)
	v_mad_i64_i32 v[2:3], s[2:3], s2, v2, 0
	s_mul_i32 s2, s17, s8
	s_mul_hi_u32 s3, s16, s8
	v_lshlrev_b64 v[2:3], 3, v[2:3]
	s_add_i32 s3, s3, s2
	s_mul_i32 s2, s16, s8
	v_lshl_or_b32 v10, v9, 8, v5
	v_mov_b32_e32 v5, 0x800
	s_lshl_b64 s[2:3], s[2:3], 3
	v_lshl_add_u32 v13, v1, 6, v5
	v_mov_b32_e32 v5, s3
	v_add_co_u32_e64 v2, s[2:3], s2, v2
	v_addc_co_u32_e64 v3, s[2:3], v3, v5, s[2:3]
	v_lshlrev_b32_e32 v5, 3, v9
	v_add_co_u32_e64 v2, s[2:3], v2, v5
	v_addc_co_u32_e64 v3, s[2:3], 0, v3, s[2:3]
	v_mov_b32_e32 v5, s15
	v_add_co_u32_e64 v2, s[2:3], s14, v2
	v_cmp_gt_i32_e64 s[0:1], s10, v4
	v_addc_co_u32_e64 v3, s[2:3], v5, v3, s[2:3]
	v_mad_i64_i32 v[4:5], s[2:3], s22, v4, 0
	v_add_co_u32_e64 v2, s[2:3], 4, v2
	v_addc_co_u32_e64 v3, s[2:3], 0, v3, s[2:3]
	s_mul_i32 s2, s7, s8
	s_mul_hi_u32 s3, s6, s8
	v_lshlrev_b64 v[4:5], 3, v[4:5]
	s_add_i32 s3, s3, s2
	s_mul_i32 s2, s6, s8
	s_lshl_b64 s[2:3], s[2:3], 3
	v_mov_b32_e32 v7, s3
	v_add_co_u32_e64 v4, s[2:3], s2, v4
	v_addc_co_u32_e64 v5, s[2:3], v5, v7, s[2:3]
	v_add_co_u32_e64 v4, s[2:3], v4, v6
	v_addc_co_u32_e64 v5, s[2:3], 0, v5, s[2:3]
	v_mov_b32_e32 v6, s19
	v_add_co_u32_e64 v4, s[2:3], s18, v4
	v_addc_co_u32_e64 v5, s[2:3], v6, v5, s[2:3]
	v_lshlrev_b32_e32 v12, 3, v0
	s_xor_b64 s[2:3], vcc, -1
	s_xor_b64 s[0:1], s[0:1], -1
	v_mov_b32_e32 v17, 0
	v_mov_b32_e32 v16, 0
	;; [unrolled: 1-line block ×9, first 2 shown]
	s_branch .LBB374_3
.LBB374_2:                              ;   in Loop: Header=BB374_3 Depth=1
	s_or_b64 exec, exec, s[6:7]
	s_waitcnt lgkmcnt(0)
	s_barrier
	ds_read2_b64 v[22:25], v12 offset1:16
	ds_read_b128 v[26:29], v13
	ds_read_b128 v[30:33], v13 offset:16
	v_add_co_u32_e32 v2, vcc, 64, v2
	v_addc_co_u32_e32 v3, vcc, 0, v3, vcc
	s_waitcnt lgkmcnt(1)
	v_mul_f32_e32 v34, v26, v23
	v_fmac_f32_e32 v34, v27, v22
	v_add_f32_e32 v46, v21, v34
	ds_read_b128 v[34:37], v13 offset:1024
	v_mul_f32_e32 v7, v27, v23
	v_fma_f32 v7, v26, v22, -v7
	v_add_f32_e32 v7, v20, v7
	v_mul_f32_e32 v20, v27, v25
	v_mul_f32_e32 v21, v26, v25
	v_fma_f32 v20, v26, v24, -v20
	v_fmac_f32_e32 v21, v27, v24
	v_add_f32_e32 v26, v18, v20
	v_add_f32_e32 v27, v19, v21
	ds_read_b128 v[18:21], v13 offset:1040
	s_waitcnt lgkmcnt(1)
	v_mul_f32_e32 v38, v35, v23
	v_mul_f32_e32 v23, v34, v23
	v_fma_f32 v38, v34, v22, -v38
	v_fmac_f32_e32 v23, v35, v22
	v_mul_f32_e32 v22, v35, v25
	v_fma_f32 v47, v34, v24, -v22
	v_mul_f32_e32 v34, v34, v25
	v_add_f32_e32 v14, v14, v38
	v_add_f32_e32 v15, v15, v23
	v_fmac_f32_e32 v34, v35, v24
	ds_read2_b64 v[22:25], v12 offset0:32 offset1:48
	ds_read_b128 v[38:41], v13 offset:32
	ds_read_b128 v[42:45], v13 offset:48
	v_add_f32_e32 v35, v16, v47
	v_add_f32_e32 v34, v17, v34
	s_waitcnt lgkmcnt(2)
	v_mul_f32_e32 v16, v29, v23
	v_fma_f32 v16, v28, v22, -v16
	v_mul_f32_e32 v17, v28, v23
	v_fmac_f32_e32 v17, v29, v22
	v_add_f32_e32 v7, v7, v16
	v_mul_f32_e32 v16, v29, v25
	v_add_f32_e32 v46, v46, v17
	v_fma_f32 v16, v28, v24, -v16
	v_mul_f32_e32 v17, v28, v25
	v_fmac_f32_e32 v17, v29, v24
	v_add_f32_e32 v26, v26, v16
	v_mul_f32_e32 v16, v37, v23
	v_add_f32_e32 v27, v27, v17
	v_fma_f32 v16, v36, v22, -v16
	v_mul_f32_e32 v17, v36, v23
	v_fmac_f32_e32 v17, v37, v22
	v_add_f32_e32 v22, v14, v16
	v_mul_f32_e32 v14, v37, v25
	v_add_f32_e32 v23, v15, v17
	v_fma_f32 v28, v36, v24, -v14
	ds_read2_b64 v[14:17], v12 offset0:64 offset1:80
	v_mul_f32_e32 v25, v36, v25
	v_fmac_f32_e32 v25, v37, v24
	v_add_f32_e32 v29, v34, v25
	v_add_f32_e32 v28, v35, v28
	s_waitcnt lgkmcnt(0)
	v_mul_f32_e32 v24, v31, v15
	v_fma_f32 v24, v30, v14, -v24
	v_add_f32_e32 v7, v7, v24
	v_mul_f32_e32 v24, v31, v17
	v_mul_f32_e32 v25, v30, v15
	v_fma_f32 v24, v30, v16, -v24
	v_fmac_f32_e32 v25, v31, v14
	v_add_f32_e32 v26, v26, v24
	v_mul_f32_e32 v24, v19, v15
	v_add_f32_e32 v34, v46, v25
	v_mul_f32_e32 v25, v30, v17
	v_fma_f32 v24, v18, v14, -v24
	v_mul_f32_e32 v15, v18, v15
	v_fmac_f32_e32 v25, v31, v16
	v_fmac_f32_e32 v15, v19, v14
	v_add_f32_e32 v14, v22, v24
	v_mul_f32_e32 v22, v19, v17
	v_add_f32_e32 v27, v27, v25
	v_add_f32_e32 v15, v23, v15
	v_fma_f32 v30, v18, v16, -v22
	ds_read2_b64 v[22:25], v12 offset0:96 offset1:112
	v_mul_f32_e32 v17, v18, v17
	v_fmac_f32_e32 v17, v19, v16
	v_add_f32_e32 v19, v29, v17
	v_add_f32_e32 v18, v28, v30
	s_waitcnt lgkmcnt(0)
	v_mul_f32_e32 v16, v33, v23
	v_fma_f32 v16, v32, v22, -v16
	v_mul_f32_e32 v17, v32, v23
	v_fmac_f32_e32 v17, v33, v22
	v_add_f32_e32 v7, v7, v16
	v_mul_f32_e32 v16, v33, v25
	v_add_f32_e32 v28, v34, v17
	v_fma_f32 v16, v32, v24, -v16
	v_mul_f32_e32 v17, v32, v25
	v_fmac_f32_e32 v17, v33, v24
	v_add_f32_e32 v26, v26, v16
	v_mul_f32_e32 v16, v21, v23
	v_add_f32_e32 v27, v27, v17
	;; [unrolled: 6-line block ×3, first 2 shown]
	v_fma_f32 v22, v20, v24, -v14
	ds_read2_b64 v[14:17], v12 offset0:128 offset1:144
	v_mul_f32_e32 v20, v20, v25
	v_fmac_f32_e32 v20, v21, v24
	v_add_f32_e32 v31, v18, v22
	v_add_f32_e32 v32, v19, v20
	s_waitcnt lgkmcnt(0)
	v_mul_f32_e32 v18, v39, v15
	v_fma_f32 v18, v38, v14, -v18
	v_mul_f32_e32 v19, v38, v15
	v_fmac_f32_e32 v19, v39, v14
	v_add_f32_e32 v7, v7, v18
	v_mul_f32_e32 v18, v39, v17
	v_add_f32_e32 v33, v28, v19
	v_fma_f32 v22, v38, v16, -v18
	ds_read_b128 v[18:21], v13 offset:1056
	v_mul_f32_e32 v23, v38, v17
	v_fmac_f32_e32 v23, v39, v16
	v_add_f32_e32 v34, v26, v22
	v_add_f32_e32 v35, v27, v23
	ds_read_b128 v[22:25], v13 offset:1072
	s_waitcnt lgkmcnt(1)
	v_mul_f32_e32 v26, v19, v15
	v_fma_f32 v26, v18, v14, -v26
	v_mul_f32_e32 v15, v18, v15
	v_fmac_f32_e32 v15, v19, v14
	v_add_f32_e32 v14, v29, v26
	v_mul_f32_e32 v26, v19, v17
	v_add_f32_e32 v15, v30, v15
	v_fma_f32 v30, v18, v16, -v26
	ds_read2_b64 v[26:29], v12 offset0:160 offset1:176
	v_mul_f32_e32 v17, v18, v17
	v_fmac_f32_e32 v17, v19, v16
	v_add_f32_e32 v19, v32, v17
	v_add_f32_e32 v18, v31, v30
	s_waitcnt lgkmcnt(0)
	v_mul_f32_e32 v16, v41, v27
	v_fma_f32 v16, v40, v26, -v16
	v_mul_f32_e32 v17, v40, v27
	v_fmac_f32_e32 v17, v41, v26
	v_add_f32_e32 v7, v7, v16
	v_mul_f32_e32 v16, v41, v29
	v_add_f32_e32 v30, v33, v17
	v_fma_f32 v16, v40, v28, -v16
	v_mul_f32_e32 v17, v40, v29
	v_fmac_f32_e32 v17, v41, v28
	v_add_f32_e32 v31, v34, v16
	v_mul_f32_e32 v16, v21, v27
	v_add_f32_e32 v32, v35, v17
	;; [unrolled: 6-line block ×3, first 2 shown]
	v_fma_f32 v33, v20, v28, -v14
	ds_read2_b64 v[14:17], v12 offset0:192 offset1:208
	v_mul_f32_e32 v20, v20, v29
	v_fmac_f32_e32 v20, v21, v28
	v_add_f32_e32 v19, v19, v20
	v_add_f32_e32 v18, v18, v33
	s_waitcnt lgkmcnt(0)
	v_mul_f32_e32 v20, v43, v15
	v_fma_f32 v20, v42, v14, -v20
	v_mul_f32_e32 v21, v42, v15
	v_add_f32_e32 v7, v7, v20
	v_mul_f32_e32 v20, v43, v17
	v_fmac_f32_e32 v21, v43, v14
	v_fma_f32 v20, v42, v16, -v20
	v_add_f32_e32 v21, v30, v21
	v_mul_f32_e32 v28, v42, v17
	v_add_f32_e32 v30, v31, v20
	v_mul_f32_e32 v20, v23, v15
	v_mul_f32_e32 v15, v22, v15
	v_fmac_f32_e32 v28, v43, v16
	v_fma_f32 v20, v22, v14, -v20
	v_fmac_f32_e32 v15, v23, v14
	v_add_f32_e32 v31, v32, v28
	v_add_f32_e32 v14, v26, v20
	;; [unrolled: 1-line block ×3, first 2 shown]
	ds_read2_b64 v[26:29], v12 offset0:224 offset1:240
	v_mul_f32_e32 v20, v23, v17
	v_fma_f32 v20, v22, v16, -v20
	v_mul_f32_e32 v17, v22, v17
	v_fmac_f32_e32 v17, v23, v16
	v_add_f32_e32 v16, v18, v20
	s_waitcnt lgkmcnt(0)
	v_mul_f32_e32 v18, v45, v27
	v_fma_f32 v18, v44, v26, -v18
	v_add_f32_e32 v20, v7, v18
	v_mul_f32_e32 v7, v45, v29
	v_fma_f32 v7, v44, v28, -v7
	v_add_f32_e32 v17, v19, v17
	v_mul_f32_e32 v19, v44, v27
	v_add_f32_e32 v18, v30, v7
	v_mul_f32_e32 v7, v25, v27
	v_mul_f32_e32 v22, v24, v27
	v_fmac_f32_e32 v19, v45, v26
	v_fma_f32 v7, v24, v26, -v7
	v_fmac_f32_e32 v22, v25, v26
	v_add_f32_e32 v21, v21, v19
	v_mul_f32_e32 v19, v44, v29
	v_add_f32_e32 v14, v14, v7
	v_add_f32_e32 v15, v15, v22
	v_mul_f32_e32 v7, v25, v29
	v_mul_f32_e32 v22, v24, v29
	v_fmac_f32_e32 v19, v45, v28
	v_fma_f32 v7, v24, v28, -v7
	v_fmac_f32_e32 v22, v25, v28
	s_add_i32 s21, s21, 8
	v_add_co_u32_e32 v4, vcc, 64, v4
	v_add_f32_e32 v19, v31, v19
	v_add_f32_e32 v16, v16, v7
	;; [unrolled: 1-line block ×3, first 2 shown]
	s_cmp_ge_i32 s21, s11
	v_addc_co_u32_e32 v5, vcc, 0, v5, vcc
	s_barrier
	s_cbranch_scc1 .LBB374_12
.LBB374_3:                              ; =>This Inner Loop Header: Depth=1
	v_add_u32_e32 v7, s21, v9
	v_cmp_le_i32_e32 vcc, s11, v7
	s_or_b64 s[6:7], s[2:3], vcc
	s_and_saveexec_b64 s[14:15], s[6:7]
	s_xor_b64 s[6:7], exec, s[14:15]
; %bb.4:                                ;   in Loop: Header=BB374_3 Depth=1
	ds_write_b32 v10, v6
; %bb.5:                                ;   in Loop: Header=BB374_3 Depth=1
	s_or_saveexec_b64 s[6:7], s[6:7]
	v_mov_b32_e32 v7, 0
	s_xor_b64 exec, exec, s[6:7]
	s_cbranch_execz .LBB374_7
; %bb.6:                                ;   in Loop: Header=BB374_3 Depth=1
	global_load_dwordx2 v[22:23], v[2:3], off offset:-4
	s_waitcnt vmcnt(0)
	v_xor_b32_e32 v7, 0x80000000, v23
	ds_write_b32 v10, v22
.LBB374_7:                              ;   in Loop: Header=BB374_3 Depth=1
	s_or_b64 exec, exec, s[6:7]
	ds_write_b32 v10, v7 offset:4
	v_add_u32_e32 v7, s21, v8
	v_cmp_le_i32_e32 vcc, s11, v7
	s_or_b64 s[6:7], vcc, s[0:1]
	s_and_saveexec_b64 s[14:15], s[6:7]
	s_xor_b64 s[6:7], exec, s[14:15]
; %bb.8:                                ;   in Loop: Header=BB374_3 Depth=1
	v_mov_b32_e32 v7, v6
	ds_write_b64 v11, v[6:7]
; %bb.9:                                ;   in Loop: Header=BB374_3 Depth=1
	s_andn2_saveexec_b64 s[6:7], s[6:7]
	s_cbranch_execz .LBB374_2
; %bb.10:                               ;   in Loop: Header=BB374_3 Depth=1
	global_load_dwordx2 v[22:23], v[4:5], off
	s_waitcnt vmcnt(0)
	ds_write_b64 v11, v[22:23]
	s_branch .LBB374_2
.LBB374_11:
	v_mov_b32_e32 v20, 0
	v_mov_b32_e32 v21, 0
	;; [unrolled: 1-line block ×8, first 2 shown]
.LBB374_12:
	s_load_dwordx2 s[0:1], s[4:5], 0x58
	s_load_dwordx2 s[2:3], s[4:5], 0x48
	s_load_dword s6, s[4:5], 0x50
	v_add_u32_e32 v5, s20, v1
	v_add_u32_e32 v0, s9, v0
	s_waitcnt lgkmcnt(0)
	s_mul_i32 s1, s1, s8
	s_mul_hi_u32 s4, s0, s8
	v_mad_i64_i32 v[1:2], s[14:15], v5, s6, 0
	s_mul_i32 s0, s0, s8
	s_add_i32 s1, s4, s1
	s_lshl_b64 s[0:1], s[0:1], 3
	s_add_u32 s4, s2, s0
	v_lshlrev_b64 v[1:2], 3, v[1:2]
	s_addc_u32 s5, s3, s1
	v_mov_b32_e32 v3, s5
	v_add_co_u32_e64 v4, s[0:1], s4, v1
	v_addc_co_u32_e64 v6, s[0:1], v3, v2, s[0:1]
	v_cmp_gt_i32_e32 vcc, s10, v5
	v_cmp_le_i32_e64 s[0:1], v0, v5
	s_and_b64 s[0:1], vcc, s[0:1]
	s_and_saveexec_b64 s[2:3], s[0:1]
	s_cbranch_execz .LBB374_15
; %bb.13:
	v_mul_f32_e32 v1, s13, v21
	v_fma_f32 v7, v20, s12, -v1
	v_ashrrev_i32_e32 v1, 31, v0
	v_lshlrev_b64 v[1:2], 3, v[0:1]
	v_mul_f32_e32 v8, s12, v21
	v_add_co_u32_e64 v1, s[0:1], v4, v1
	v_addc_co_u32_e64 v2, s[0:1], v6, v2, s[0:1]
	v_fmac_f32_e32 v8, s13, v20
	v_cmp_eq_u32_e64 s[0:1], v5, v0
	global_store_dwordx2 v[1:2], v[7:8], off
	s_and_b64 exec, exec, s[0:1]
	s_cbranch_execz .LBB374_15
; %bb.14:
	v_mov_b32_e32 v3, 0
	global_store_dword v[1:2], v3, off offset:4
.LBB374_15:
	s_or_b64 exec, exec, s[2:3]
	v_add_u32_e32 v2, 16, v0
	v_cmp_le_i32_e64 s[0:1], v2, v5
	s_and_b64 s[2:3], vcc, s[0:1]
	s_and_saveexec_b64 s[0:1], s[2:3]
	s_cbranch_execz .LBB374_18
; %bb.16:
	v_ashrrev_i32_e32 v3, 31, v2
	v_lshlrev_b64 v[9:10], 3, v[2:3]
	v_mul_f32_e32 v1, s13, v19
	v_add_co_u32_e32 v3, vcc, v4, v9
	v_mul_f32_e32 v8, s12, v19
	v_addc_co_u32_e32 v4, vcc, v6, v10, vcc
	v_fma_f32 v7, v18, s12, -v1
	v_fmac_f32_e32 v8, s13, v18
	v_cmp_eq_u32_e32 vcc, v5, v2
	global_store_dwordx2 v[3:4], v[7:8], off
	s_and_b64 exec, exec, vcc
	s_cbranch_execz .LBB374_18
; %bb.17:
	v_mov_b32_e32 v1, 0
	global_store_dword v[3:4], v1, off offset:4
.LBB374_18:
	s_or_b64 exec, exec, s[0:1]
	v_add_u32_e32 v8, 16, v5
	v_mad_i64_i32 v[3:4], s[0:1], v8, s6, 0
	v_mov_b32_e32 v1, s5
	v_cmp_gt_i32_e32 vcc, s10, v8
	v_lshlrev_b64 v[3:4], 3, v[3:4]
	v_add_co_u32_e64 v6, s[0:1], s4, v3
	v_addc_co_u32_e64 v7, s[0:1], v1, v4, s[0:1]
	v_cmp_le_i32_e64 s[0:1], v0, v8
	s_and_b64 s[0:1], vcc, s[0:1]
	s_and_saveexec_b64 s[2:3], s[0:1]
	s_cbranch_execz .LBB374_21
; %bb.19:
	v_mul_f32_e32 v1, s13, v15
	v_fma_f32 v9, v14, s12, -v1
	v_ashrrev_i32_e32 v1, 31, v0
	v_lshlrev_b64 v[3:4], 3, v[0:1]
	v_mul_f32_e32 v10, s12, v15
	v_add_co_u32_e64 v3, s[0:1], v6, v3
	v_addc_co_u32_e64 v4, s[0:1], v7, v4, s[0:1]
	v_fmac_f32_e32 v10, s13, v14
	v_cmp_eq_u32_e64 s[0:1], v8, v0
	global_store_dwordx2 v[3:4], v[9:10], off
	s_and_b64 exec, exec, s[0:1]
	s_cbranch_execz .LBB374_21
; %bb.20:
	v_mov_b32_e32 v1, 0
	global_store_dword v[3:4], v1, off offset:4
.LBB374_21:
	s_or_b64 exec, exec, s[2:3]
	v_cmp_le_i32_e64 s[0:1], v2, v8
	s_and_b64 s[0:1], vcc, s[0:1]
	s_and_saveexec_b64 s[2:3], s[0:1]
	s_cbranch_execz .LBB374_24
; %bb.22:
	v_mul_f32_e32 v1, s13, v17
	v_ashrrev_i32_e32 v3, 31, v2
	v_fma_f32 v8, v16, s12, -v1
	v_lshlrev_b64 v[1:2], 3, v[2:3]
	v_mul_f32_e32 v9, s12, v17
	v_add_co_u32_e32 v1, vcc, v6, v1
	v_addc_co_u32_e32 v2, vcc, v7, v2, vcc
	v_fmac_f32_e32 v9, s13, v16
	v_cmp_eq_u32_e32 vcc, v5, v0
	global_store_dwordx2 v[1:2], v[8:9], off
	s_and_b64 exec, exec, vcc
	s_cbranch_execz .LBB374_24
; %bb.23:
	v_mov_b32_e32 v0, 0
	global_store_dword v[1:2], v0, off offset:4
.LBB374_24:
	s_endpgm
	.section	.rodata,"a",@progbits
	.p2align	6, 0x0
	.amdhsa_kernel _ZL34rocblas_syrkx_herkx_general_kernelIi19rocblas_complex_numIfELi16ELi32ELi8ELb1ELb1ELc67ELc85EKS1_S1_EviT_T0_PT8_S3_lS6_S3_lS4_PT9_S3_li
		.amdhsa_group_segment_fixed_size 4096
		.amdhsa_private_segment_fixed_size 0
		.amdhsa_kernarg_size 100
		.amdhsa_user_sgpr_count 6
		.amdhsa_user_sgpr_private_segment_buffer 1
		.amdhsa_user_sgpr_dispatch_ptr 0
		.amdhsa_user_sgpr_queue_ptr 0
		.amdhsa_user_sgpr_kernarg_segment_ptr 1
		.amdhsa_user_sgpr_dispatch_id 0
		.amdhsa_user_sgpr_flat_scratch_init 0
		.amdhsa_user_sgpr_private_segment_size 0
		.amdhsa_uses_dynamic_stack 0
		.amdhsa_system_sgpr_private_segment_wavefront_offset 0
		.amdhsa_system_sgpr_workgroup_id_x 1
		.amdhsa_system_sgpr_workgroup_id_y 1
		.amdhsa_system_sgpr_workgroup_id_z 1
		.amdhsa_system_sgpr_workgroup_info 0
		.amdhsa_system_vgpr_workitem_id 1
		.amdhsa_next_free_vgpr 48
		.amdhsa_next_free_sgpr 23
		.amdhsa_reserve_vcc 1
		.amdhsa_reserve_flat_scratch 0
		.amdhsa_float_round_mode_32 0
		.amdhsa_float_round_mode_16_64 0
		.amdhsa_float_denorm_mode_32 3
		.amdhsa_float_denorm_mode_16_64 3
		.amdhsa_dx10_clamp 1
		.amdhsa_ieee_mode 1
		.amdhsa_fp16_overflow 0
		.amdhsa_exception_fp_ieee_invalid_op 0
		.amdhsa_exception_fp_denorm_src 0
		.amdhsa_exception_fp_ieee_div_zero 0
		.amdhsa_exception_fp_ieee_overflow 0
		.amdhsa_exception_fp_ieee_underflow 0
		.amdhsa_exception_fp_ieee_inexact 0
		.amdhsa_exception_int_div_zero 0
	.end_amdhsa_kernel
	.section	.text._ZL34rocblas_syrkx_herkx_general_kernelIi19rocblas_complex_numIfELi16ELi32ELi8ELb1ELb1ELc67ELc85EKS1_S1_EviT_T0_PT8_S3_lS6_S3_lS4_PT9_S3_li,"axG",@progbits,_ZL34rocblas_syrkx_herkx_general_kernelIi19rocblas_complex_numIfELi16ELi32ELi8ELb1ELb1ELc67ELc85EKS1_S1_EviT_T0_PT8_S3_lS6_S3_lS4_PT9_S3_li,comdat
.Lfunc_end374:
	.size	_ZL34rocblas_syrkx_herkx_general_kernelIi19rocblas_complex_numIfELi16ELi32ELi8ELb1ELb1ELc67ELc85EKS1_S1_EviT_T0_PT8_S3_lS6_S3_lS4_PT9_S3_li, .Lfunc_end374-_ZL34rocblas_syrkx_herkx_general_kernelIi19rocblas_complex_numIfELi16ELi32ELi8ELb1ELb1ELc67ELc85EKS1_S1_EviT_T0_PT8_S3_lS6_S3_lS4_PT9_S3_li
                                        ; -- End function
	.set _ZL34rocblas_syrkx_herkx_general_kernelIi19rocblas_complex_numIfELi16ELi32ELi8ELb1ELb1ELc67ELc85EKS1_S1_EviT_T0_PT8_S3_lS6_S3_lS4_PT9_S3_li.num_vgpr, 48
	.set _ZL34rocblas_syrkx_herkx_general_kernelIi19rocblas_complex_numIfELi16ELi32ELi8ELb1ELb1ELc67ELc85EKS1_S1_EviT_T0_PT8_S3_lS6_S3_lS4_PT9_S3_li.num_agpr, 0
	.set _ZL34rocblas_syrkx_herkx_general_kernelIi19rocblas_complex_numIfELi16ELi32ELi8ELb1ELb1ELc67ELc85EKS1_S1_EviT_T0_PT8_S3_lS6_S3_lS4_PT9_S3_li.numbered_sgpr, 23
	.set _ZL34rocblas_syrkx_herkx_general_kernelIi19rocblas_complex_numIfELi16ELi32ELi8ELb1ELb1ELc67ELc85EKS1_S1_EviT_T0_PT8_S3_lS6_S3_lS4_PT9_S3_li.num_named_barrier, 0
	.set _ZL34rocblas_syrkx_herkx_general_kernelIi19rocblas_complex_numIfELi16ELi32ELi8ELb1ELb1ELc67ELc85EKS1_S1_EviT_T0_PT8_S3_lS6_S3_lS4_PT9_S3_li.private_seg_size, 0
	.set _ZL34rocblas_syrkx_herkx_general_kernelIi19rocblas_complex_numIfELi16ELi32ELi8ELb1ELb1ELc67ELc85EKS1_S1_EviT_T0_PT8_S3_lS6_S3_lS4_PT9_S3_li.uses_vcc, 1
	.set _ZL34rocblas_syrkx_herkx_general_kernelIi19rocblas_complex_numIfELi16ELi32ELi8ELb1ELb1ELc67ELc85EKS1_S1_EviT_T0_PT8_S3_lS6_S3_lS4_PT9_S3_li.uses_flat_scratch, 0
	.set _ZL34rocblas_syrkx_herkx_general_kernelIi19rocblas_complex_numIfELi16ELi32ELi8ELb1ELb1ELc67ELc85EKS1_S1_EviT_T0_PT8_S3_lS6_S3_lS4_PT9_S3_li.has_dyn_sized_stack, 0
	.set _ZL34rocblas_syrkx_herkx_general_kernelIi19rocblas_complex_numIfELi16ELi32ELi8ELb1ELb1ELc67ELc85EKS1_S1_EviT_T0_PT8_S3_lS6_S3_lS4_PT9_S3_li.has_recursion, 0
	.set _ZL34rocblas_syrkx_herkx_general_kernelIi19rocblas_complex_numIfELi16ELi32ELi8ELb1ELb1ELc67ELc85EKS1_S1_EviT_T0_PT8_S3_lS6_S3_lS4_PT9_S3_li.has_indirect_call, 0
	.section	.AMDGPU.csdata,"",@progbits
; Kernel info:
; codeLenInByte = 2276
; TotalNumSgprs: 27
; NumVgprs: 48
; ScratchSize: 0
; MemoryBound: 1
; FloatMode: 240
; IeeeMode: 1
; LDSByteSize: 4096 bytes/workgroup (compile time only)
; SGPRBlocks: 3
; VGPRBlocks: 11
; NumSGPRsForWavesPerEU: 27
; NumVGPRsForWavesPerEU: 48
; Occupancy: 5
; WaveLimiterHint : 0
; COMPUTE_PGM_RSRC2:SCRATCH_EN: 0
; COMPUTE_PGM_RSRC2:USER_SGPR: 6
; COMPUTE_PGM_RSRC2:TRAP_HANDLER: 0
; COMPUTE_PGM_RSRC2:TGID_X_EN: 1
; COMPUTE_PGM_RSRC2:TGID_Y_EN: 1
; COMPUTE_PGM_RSRC2:TGID_Z_EN: 1
; COMPUTE_PGM_RSRC2:TIDIG_COMP_CNT: 1
	.section	.text._ZL34rocblas_syrkx_herkx_general_kernelIi19rocblas_complex_numIfELi16ELi32ELi8ELb1ELb1ELc78ELc85EKS1_S1_EviT_T0_PT8_S3_lS6_S3_lS4_PT9_S3_li,"axG",@progbits,_ZL34rocblas_syrkx_herkx_general_kernelIi19rocblas_complex_numIfELi16ELi32ELi8ELb1ELb1ELc78ELc85EKS1_S1_EviT_T0_PT8_S3_lS6_S3_lS4_PT9_S3_li,comdat
	.globl	_ZL34rocblas_syrkx_herkx_general_kernelIi19rocblas_complex_numIfELi16ELi32ELi8ELb1ELb1ELc78ELc85EKS1_S1_EviT_T0_PT8_S3_lS6_S3_lS4_PT9_S3_li ; -- Begin function _ZL34rocblas_syrkx_herkx_general_kernelIi19rocblas_complex_numIfELi16ELi32ELi8ELb1ELb1ELc78ELc85EKS1_S1_EviT_T0_PT8_S3_lS6_S3_lS4_PT9_S3_li
	.p2align	8
	.type	_ZL34rocblas_syrkx_herkx_general_kernelIi19rocblas_complex_numIfELi16ELi32ELi8ELb1ELb1ELc78ELc85EKS1_S1_EviT_T0_PT8_S3_lS6_S3_lS4_PT9_S3_li,@function
_ZL34rocblas_syrkx_herkx_general_kernelIi19rocblas_complex_numIfELi16ELi32ELi8ELb1ELb1ELc78ELc85EKS1_S1_EviT_T0_PT8_S3_lS6_S3_lS4_PT9_S3_li: ; @_ZL34rocblas_syrkx_herkx_general_kernelIi19rocblas_complex_numIfELi16ELi32ELi8ELb1ELb1ELc78ELc85EKS1_S1_EviT_T0_PT8_S3_lS6_S3_lS4_PT9_S3_li
; %bb.0:
	s_load_dwordx2 s[10:11], s[4:5], 0x0
	s_load_dwordx4 s[12:15], s[4:5], 0x8
	s_lshl_b32 s9, s6, 5
	s_lshl_b32 s20, s7, 5
	s_mov_b32 s21, 0
	s_waitcnt lgkmcnt(0)
	s_cmp_lt_i32 s11, 1
	s_cbranch_scc1 .LBB375_11
; %bb.1:
	v_lshl_add_u32 v2, v1, 4, v0
	v_and_b32_e32 v6, 31, v2
	v_lshrrev_b32_e32 v9, 5, v2
	v_lshrrev_b32_e32 v3, 3, v2
	v_or_b32_e32 v2, s9, v6
	v_and_b32_e32 v8, 7, v0
	v_cmp_gt_i32_e32 vcc, s10, v2
	v_lshlrev_b32_e32 v2, 3, v6
	s_load_dword s6, s[4:5], 0x18
	s_load_dword s22, s[4:5], 0x30
	s_load_dwordx2 s[24:25], s[4:5], 0x38
	s_load_dwordx4 s[16:19], s[4:5], 0x20
	v_lshl_or_b32 v10, v9, 8, v2
	v_lshlrev_b32_e32 v2, 3, v8
	v_lshl_or_b32 v2, v3, 6, v2
	v_add_u32_e32 v4, s20, v3
	v_add_u32_e32 v11, 0x800, v2
	s_waitcnt lgkmcnt(0)
	v_mad_i64_i32 v[2:3], s[2:3], v9, s6, 0
	s_mul_i32 s2, s17, s8
	s_mul_hi_u32 s3, s16, s8
	v_lshlrev_b64 v[2:3], 3, v[2:3]
	s_add_i32 s3, s3, s2
	s_mul_i32 s2, s16, s8
	v_mov_b32_e32 v7, 0x800
	s_lshl_b64 s[2:3], s[2:3], 3
	v_lshl_add_u32 v13, v1, 6, v7
	v_mov_b32_e32 v7, s3
	v_add_co_u32_e64 v14, s[2:3], s2, v2
	v_add_u32_e32 v2, s9, v6
	v_addc_co_u32_e64 v7, s[2:3], v3, v7, s[2:3]
	v_ashrrev_i32_e32 v3, 31, v2
	v_lshlrev_b64 v[2:3], 3, v[2:3]
	v_mov_b32_e32 v6, s15
	v_add_co_u32_e64 v2, s[2:3], v14, v2
	v_addc_co_u32_e64 v3, s[2:3], v7, v3, s[2:3]
	v_add_co_u32_e64 v2, s[2:3], s14, v2
	v_addc_co_u32_e64 v3, s[2:3], v6, v3, s[2:3]
	v_mad_i64_i32 v[6:7], s[2:3], s22, v8, 0
	s_mul_i32 s14, s25, s8
	s_mul_hi_u32 s15, s24, s8
	s_add_i32 s3, s15, s14
	s_mul_i32 s2, s24, s8
	v_lshlrev_b64 v[6:7], 3, v[6:7]
	v_ashrrev_i32_e32 v5, 31, v4
	s_lshl_b64 s[2:3], s[2:3], 3
	v_cmp_gt_i32_e64 s[0:1], s10, v4
	v_mov_b32_e32 v14, s3
	v_add_co_u32_e64 v6, s[2:3], s2, v6
	v_lshlrev_b64 v[4:5], 3, v[4:5]
	v_addc_co_u32_e64 v7, s[2:3], v14, v7, s[2:3]
	v_add_co_u32_e64 v4, s[2:3], v6, v4
	v_addc_co_u32_e64 v5, s[2:3], v7, v5, s[2:3]
	v_mov_b32_e32 v6, s19
	v_add_co_u32_e64 v4, s[2:3], s18, v4
	v_addc_co_u32_e64 v5, s[2:3], v6, v5, s[2:3]
	v_add_co_u32_e64 v4, s[2:3], 4, v4
	s_ashr_i32 s7, s6, 31
	s_ashr_i32 s23, s22, 31
	v_addc_co_u32_e64 v5, s[2:3], 0, v5, s[2:3]
	s_lshl_b64 s[6:7], s[6:7], 6
	s_lshl_b64 s[2:3], s[22:23], 6
	v_lshlrev_b32_e32 v12, 3, v0
	s_xor_b64 s[14:15], vcc, -1
	s_xor_b64 s[0:1], s[0:1], -1
	v_mov_b32_e32 v14, s7
	v_mov_b32_e32 v15, s3
	v_mov_b32_e32 v19, 0
	v_mov_b32_e32 v18, 0
	v_mov_b32_e32 v16, 0
	v_mov_b32_e32 v17, 0
	v_mov_b32_e32 v23, 0
	v_mov_b32_e32 v22, 0
	v_mov_b32_e32 v21, 0
	v_mov_b32_e32 v20, 0
	v_mov_b32_e32 v6, 0
	s_branch .LBB375_3
.LBB375_2:                              ;   in Loop: Header=BB375_3 Depth=1
	s_or_b64 exec, exec, s[16:17]
	ds_write_b32 v11, v7 offset:4
	s_waitcnt lgkmcnt(0)
	s_barrier
	ds_read2_b64 v[24:27], v12 offset1:16
	ds_read_b128 v[28:31], v13
	ds_read_b128 v[32:35], v13 offset:16
	ds_read2_b64 v[40:43], v12 offset0:32 offset1:48
	v_add_co_u32_e32 v2, vcc, s6, v2
	s_waitcnt lgkmcnt(2)
	v_mul_f32_e32 v36, v28, v25
	v_fmac_f32_e32 v36, v29, v24
	v_add_f32_e32 v44, v21, v36
	ds_read_b128 v[36:39], v13 offset:1024
	v_mul_f32_e32 v7, v29, v25
	v_fma_f32 v7, v28, v24, -v7
	v_add_f32_e32 v7, v20, v7
	v_mul_f32_e32 v20, v29, v27
	v_mul_f32_e32 v21, v28, v27
	v_fma_f32 v20, v28, v26, -v20
	v_fmac_f32_e32 v21, v29, v26
	v_add_f32_e32 v45, v22, v20
	v_add_f32_e32 v46, v23, v21
	ds_read_b128 v[20:23], v13 offset:1040
	s_waitcnt lgkmcnt(1)
	v_mul_f32_e32 v28, v37, v25
	v_fma_f32 v28, v36, v24, -v28
	v_mul_f32_e32 v47, v36, v25
	v_add_f32_e32 v48, v17, v28
	v_mul_f32_e32 v17, v37, v27
	v_fmac_f32_e32 v47, v37, v24
	v_fma_f32 v17, v36, v26, -v17
	v_mul_f32_e32 v36, v36, v27
	v_mul_f32_e32 v24, v31, v41
	v_fmac_f32_e32 v36, v37, v26
	v_fma_f32 v37, v30, v40, -v24
	v_mul_f32_e32 v24, v31, v43
	v_fma_f32 v50, v30, v42, -v24
	v_mul_f32_e32 v24, v39, v41
	v_mul_f32_e32 v49, v30, v41
	v_fma_f32 v52, v38, v40, -v24
	v_mul_f32_e32 v41, v38, v41
	v_mul_f32_e32 v24, v39, v43
	v_fmac_f32_e32 v49, v31, v40
	v_mul_f32_e32 v51, v30, v43
	v_fmac_f32_e32 v41, v39, v40
	v_fma_f32 v40, v38, v42, -v24
	v_mul_f32_e32 v38, v38, v43
	v_fmac_f32_e32 v51, v31, v42
	v_fmac_f32_e32 v38, v39, v42
	ds_read_b128 v[24:27], v13 offset:32
	ds_read_b128 v[28:31], v13 offset:48
	v_add_f32_e32 v39, v16, v47
	v_add_f32_e32 v42, v18, v17
	v_add_f32_e32 v36, v19, v36
	ds_read2_b64 v[16:19], v12 offset0:64 offset1:80
	v_add_f32_e32 v39, v39, v41
	v_add_f32_e32 v41, v36, v38
	;; [unrolled: 1-line block ×4, first 2 shown]
	s_waitcnt lgkmcnt(0)
	v_mul_f32_e32 v36, v33, v17
	v_fma_f32 v36, v32, v16, -v36
	v_add_f32_e32 v7, v7, v36
	v_mul_f32_e32 v36, v33, v19
	v_mul_f32_e32 v38, v32, v17
	v_fma_f32 v36, v32, v18, -v36
	v_mul_f32_e32 v32, v32, v19
	v_fmac_f32_e32 v38, v33, v16
	v_fmac_f32_e32 v32, v33, v18
	v_add_f32_e32 v33, v43, v36
	v_mul_f32_e32 v36, v21, v17
	v_add_f32_e32 v45, v48, v52
	v_fma_f32 v36, v20, v16, -v36
	v_mul_f32_e32 v17, v20, v17
	v_add_f32_e32 v37, v44, v49
	v_fmac_f32_e32 v17, v21, v16
	v_add_f32_e32 v16, v45, v36
	v_mul_f32_e32 v36, v21, v19
	v_add_f32_e32 v40, v42, v40
	v_add_f32_e32 v42, v37, v38
	;; [unrolled: 1-line block ×3, first 2 shown]
	v_fma_f32 v43, v20, v18, -v36
	ds_read2_b64 v[36:39], v12 offset0:96 offset1:112
	v_mul_f32_e32 v19, v20, v19
	v_fmac_f32_e32 v19, v21, v18
	v_add_f32_e32 v21, v41, v19
	v_add_f32_e32 v44, v46, v51
	s_waitcnt lgkmcnt(0)
	v_mul_f32_e32 v18, v35, v37
	v_fma_f32 v18, v34, v36, -v18
	v_mul_f32_e32 v19, v34, v37
	v_fmac_f32_e32 v19, v35, v36
	v_add_f32_e32 v7, v7, v18
	v_mul_f32_e32 v18, v35, v39
	v_add_f32_e32 v20, v40, v43
	v_add_f32_e32 v40, v42, v19
	v_fma_f32 v18, v34, v38, -v18
	v_mul_f32_e32 v19, v34, v39
	v_add_f32_e32 v32, v44, v32
	v_fmac_f32_e32 v19, v35, v38
	v_add_f32_e32 v33, v33, v18
	v_mul_f32_e32 v18, v23, v37
	v_add_f32_e32 v32, v32, v19
	v_fma_f32 v18, v22, v36, -v18
	v_mul_f32_e32 v19, v22, v37
	v_fmac_f32_e32 v19, v23, v36
	v_add_f32_e32 v36, v16, v18
	v_mul_f32_e32 v16, v23, v39
	v_add_f32_e32 v37, v17, v19
	v_fma_f32 v34, v22, v38, -v16
	ds_read2_b64 v[16:19], v12 offset0:128 offset1:144
	v_mul_f32_e32 v22, v22, v39
	v_fmac_f32_e32 v22, v23, v38
	v_add_f32_e32 v41, v20, v34
	v_add_f32_e32 v42, v21, v22
	s_waitcnt lgkmcnt(0)
	v_mul_f32_e32 v20, v25, v17
	v_fma_f32 v20, v24, v16, -v20
	v_mul_f32_e32 v21, v24, v17
	v_fmac_f32_e32 v21, v25, v16
	v_add_f32_e32 v7, v7, v20
	v_mul_f32_e32 v20, v25, v19
	v_add_f32_e32 v40, v40, v21
	v_fma_f32 v34, v24, v18, -v20
	ds_read_b128 v[20:23], v13 offset:1056
	v_mul_f32_e32 v24, v24, v19
	v_fmac_f32_e32 v24, v25, v18
	v_add_f32_e32 v25, v33, v34
	v_add_f32_e32 v24, v32, v24
	ds_read_b128 v[32:35], v13 offset:1072
	s_waitcnt lgkmcnt(1)
	v_mul_f32_e32 v38, v21, v17
	v_fma_f32 v38, v20, v16, -v38
	v_mul_f32_e32 v17, v20, v17
	v_fmac_f32_e32 v17, v21, v16
	v_add_f32_e32 v16, v36, v38
	v_mul_f32_e32 v36, v21, v19
	v_add_f32_e32 v17, v37, v17
	v_fma_f32 v43, v20, v18, -v36
	ds_read2_b64 v[36:39], v12 offset0:160 offset1:176
	v_mul_f32_e32 v19, v20, v19
	v_fmac_f32_e32 v19, v21, v18
	v_add_f32_e32 v21, v42, v19
	v_add_f32_e32 v20, v41, v43
	s_waitcnt lgkmcnt(0)
	v_mul_f32_e32 v18, v27, v37
	v_fma_f32 v18, v26, v36, -v18
	v_mul_f32_e32 v19, v26, v37
	v_fmac_f32_e32 v19, v27, v36
	v_add_f32_e32 v7, v7, v18
	v_mul_f32_e32 v18, v27, v39
	v_add_f32_e32 v40, v40, v19
	v_fma_f32 v18, v26, v38, -v18
	v_mul_f32_e32 v19, v26, v39
	v_fmac_f32_e32 v19, v27, v38
	v_add_f32_e32 v25, v25, v18
	v_mul_f32_e32 v18, v23, v37
	v_add_f32_e32 v24, v24, v19
	;; [unrolled: 6-line block ×3, first 2 shown]
	v_fma_f32 v36, v22, v38, -v16
	ds_read2_b64 v[16:19], v12 offset0:192 offset1:208
	v_mul_f32_e32 v22, v22, v39
	v_fmac_f32_e32 v22, v23, v38
	v_add_f32_e32 v21, v21, v22
	v_add_f32_e32 v20, v20, v36
	s_waitcnt lgkmcnt(0)
	v_mul_f32_e32 v22, v29, v17
	v_mul_f32_e32 v23, v28, v17
	v_fma_f32 v22, v28, v16, -v22
	v_fmac_f32_e32 v23, v29, v16
	v_add_f32_e32 v7, v7, v22
	v_add_f32_e32 v22, v40, v23
	v_mul_f32_e32 v23, v29, v19
	v_fma_f32 v23, v28, v18, -v23
	v_mul_f32_e32 v28, v28, v19
	v_fmac_f32_e32 v28, v29, v18
	v_add_f32_e32 v28, v24, v28
	v_mul_f32_e32 v24, v33, v17
	v_mul_f32_e32 v17, v32, v17
	v_fma_f32 v24, v32, v16, -v24
	v_fmac_f32_e32 v17, v33, v16
	v_add_f32_e32 v23, v25, v23
	v_add_f32_e32 v16, v26, v24
	;; [unrolled: 1-line block ×3, first 2 shown]
	ds_read2_b64 v[24:27], v12 offset0:224 offset1:240
	v_mul_f32_e32 v17, v33, v19
	v_fma_f32 v17, v32, v18, -v17
	v_mul_f32_e32 v19, v32, v19
	v_fmac_f32_e32 v19, v33, v18
	v_add_f32_e32 v18, v20, v17
	s_waitcnt lgkmcnt(0)
	v_mul_f32_e32 v17, v31, v25
	v_fma_f32 v17, v30, v24, -v17
	v_add_f32_e32 v19, v21, v19
	v_mul_f32_e32 v21, v30, v25
	v_add_f32_e32 v20, v7, v17
	v_mul_f32_e32 v7, v31, v27
	v_fmac_f32_e32 v21, v31, v24
	v_fma_f32 v7, v30, v26, -v7
	v_add_f32_e32 v21, v22, v21
	v_mul_f32_e32 v17, v30, v27
	v_add_f32_e32 v22, v23, v7
	v_mul_f32_e32 v7, v35, v25
	v_fmac_f32_e32 v17, v31, v26
	v_fma_f32 v7, v34, v24, -v7
	v_mul_f32_e32 v25, v34, v25
	v_add_f32_e32 v23, v28, v17
	v_fmac_f32_e32 v25, v35, v24
	v_add_f32_e32 v17, v16, v7
	v_mul_f32_e32 v7, v35, v27
	v_mul_f32_e32 v24, v34, v27
	v_addc_co_u32_e32 v3, vcc, v3, v14, vcc
	v_fma_f32 v7, v34, v26, -v7
	v_fmac_f32_e32 v24, v35, v26
	s_add_i32 s21, s21, 8
	v_add_co_u32_e32 v4, vcc, s2, v4
	v_add_f32_e32 v16, v29, v25
	v_add_f32_e32 v18, v18, v7
	;; [unrolled: 1-line block ×3, first 2 shown]
	s_cmp_ge_i32 s21, s11
	v_addc_co_u32_e32 v5, vcc, v5, v15, vcc
	s_barrier
	s_cbranch_scc1 .LBB375_12
.LBB375_3:                              ; =>This Inner Loop Header: Depth=1
	v_add_u32_e32 v7, s21, v9
	v_cmp_le_i32_e32 vcc, s11, v7
	s_or_b64 s[16:17], s[14:15], vcc
	s_and_saveexec_b64 s[18:19], s[16:17]
	s_xor_b64 s[16:17], exec, s[18:19]
; %bb.4:                                ;   in Loop: Header=BB375_3 Depth=1
	v_mov_b32_e32 v7, v6
	ds_write_b64 v10, v[6:7]
; %bb.5:                                ;   in Loop: Header=BB375_3 Depth=1
	s_andn2_saveexec_b64 s[16:17], s[16:17]
	s_cbranch_execz .LBB375_7
; %bb.6:                                ;   in Loop: Header=BB375_3 Depth=1
	global_load_dwordx2 v[24:25], v[2:3], off
	s_waitcnt vmcnt(0)
	ds_write_b64 v10, v[24:25]
.LBB375_7:                              ;   in Loop: Header=BB375_3 Depth=1
	s_or_b64 exec, exec, s[16:17]
	v_add_u32_e32 v7, s21, v8
	v_cmp_le_i32_e32 vcc, s11, v7
	s_or_b64 s[16:17], vcc, s[0:1]
	s_and_saveexec_b64 s[18:19], s[16:17]
	s_xor_b64 s[16:17], exec, s[18:19]
; %bb.8:                                ;   in Loop: Header=BB375_3 Depth=1
	ds_write_b32 v11, v6
; %bb.9:                                ;   in Loop: Header=BB375_3 Depth=1
	s_or_saveexec_b64 s[16:17], s[16:17]
	v_mov_b32_e32 v7, 0
	s_xor_b64 exec, exec, s[16:17]
	s_cbranch_execz .LBB375_2
; %bb.10:                               ;   in Loop: Header=BB375_3 Depth=1
	global_load_dwordx2 v[24:25], v[4:5], off offset:-4
	s_waitcnt vmcnt(0)
	v_xor_b32_e32 v7, 0x80000000, v25
	ds_write_b32 v11, v24
	s_branch .LBB375_2
.LBB375_11:
	v_mov_b32_e32 v20, 0
	v_mov_b32_e32 v21, 0
	;; [unrolled: 1-line block ×8, first 2 shown]
.LBB375_12:
	s_load_dwordx2 s[0:1], s[4:5], 0x58
	s_load_dwordx2 s[2:3], s[4:5], 0x48
	s_load_dword s6, s[4:5], 0x50
	v_add_u32_e32 v5, s20, v1
	v_add_u32_e32 v0, s9, v0
	s_waitcnt lgkmcnt(0)
	s_mul_i32 s1, s1, s8
	s_mul_hi_u32 s4, s0, s8
	v_mad_i64_i32 v[1:2], s[14:15], v5, s6, 0
	s_mul_i32 s0, s0, s8
	s_add_i32 s1, s4, s1
	s_lshl_b64 s[0:1], s[0:1], 3
	s_add_u32 s4, s2, s0
	v_lshlrev_b64 v[1:2], 3, v[1:2]
	s_addc_u32 s5, s3, s1
	v_mov_b32_e32 v3, s5
	v_add_co_u32_e64 v4, s[0:1], s4, v1
	v_addc_co_u32_e64 v6, s[0:1], v3, v2, s[0:1]
	v_cmp_gt_i32_e32 vcc, s10, v5
	v_cmp_le_i32_e64 s[0:1], v0, v5
	s_and_b64 s[0:1], vcc, s[0:1]
	s_and_saveexec_b64 s[2:3], s[0:1]
	s_cbranch_execz .LBB375_15
; %bb.13:
	v_mul_f32_e32 v1, s13, v21
	v_fma_f32 v7, v20, s12, -v1
	v_ashrrev_i32_e32 v1, 31, v0
	v_lshlrev_b64 v[1:2], 3, v[0:1]
	v_mul_f32_e32 v8, s12, v21
	v_add_co_u32_e64 v1, s[0:1], v4, v1
	v_addc_co_u32_e64 v2, s[0:1], v6, v2, s[0:1]
	v_fmac_f32_e32 v8, s13, v20
	v_cmp_eq_u32_e64 s[0:1], v5, v0
	global_store_dwordx2 v[1:2], v[7:8], off
	s_and_b64 exec, exec, s[0:1]
	s_cbranch_execz .LBB375_15
; %bb.14:
	v_mov_b32_e32 v3, 0
	global_store_dword v[1:2], v3, off offset:4
.LBB375_15:
	s_or_b64 exec, exec, s[2:3]
	v_add_u32_e32 v2, 16, v0
	v_cmp_le_i32_e64 s[0:1], v2, v5
	s_and_b64 s[2:3], vcc, s[0:1]
	s_and_saveexec_b64 s[0:1], s[2:3]
	s_cbranch_execz .LBB375_18
; %bb.16:
	v_ashrrev_i32_e32 v3, 31, v2
	v_lshlrev_b64 v[9:10], 3, v[2:3]
	v_mul_f32_e32 v1, s13, v23
	v_add_co_u32_e32 v3, vcc, v4, v9
	v_mul_f32_e32 v8, s12, v23
	v_addc_co_u32_e32 v4, vcc, v6, v10, vcc
	v_fma_f32 v7, v22, s12, -v1
	v_fmac_f32_e32 v8, s13, v22
	v_cmp_eq_u32_e32 vcc, v5, v2
	global_store_dwordx2 v[3:4], v[7:8], off
	s_and_b64 exec, exec, vcc
	s_cbranch_execz .LBB375_18
; %bb.17:
	v_mov_b32_e32 v1, 0
	global_store_dword v[3:4], v1, off offset:4
.LBB375_18:
	s_or_b64 exec, exec, s[0:1]
	v_add_u32_e32 v8, 16, v5
	v_mad_i64_i32 v[3:4], s[0:1], v8, s6, 0
	v_mov_b32_e32 v1, s5
	v_cmp_gt_i32_e32 vcc, s10, v8
	v_lshlrev_b64 v[3:4], 3, v[3:4]
	v_add_co_u32_e64 v6, s[0:1], s4, v3
	v_addc_co_u32_e64 v7, s[0:1], v1, v4, s[0:1]
	v_cmp_le_i32_e64 s[0:1], v0, v8
	s_and_b64 s[0:1], vcc, s[0:1]
	s_and_saveexec_b64 s[2:3], s[0:1]
	s_cbranch_execz .LBB375_21
; %bb.19:
	v_mul_f32_e32 v1, s13, v16
	v_fma_f32 v9, v17, s12, -v1
	v_ashrrev_i32_e32 v1, 31, v0
	v_lshlrev_b64 v[3:4], 3, v[0:1]
	v_mul_f32_e32 v10, s12, v16
	v_add_co_u32_e64 v3, s[0:1], v6, v3
	v_addc_co_u32_e64 v4, s[0:1], v7, v4, s[0:1]
	v_fmac_f32_e32 v10, s13, v17
	v_cmp_eq_u32_e64 s[0:1], v8, v0
	global_store_dwordx2 v[3:4], v[9:10], off
	s_and_b64 exec, exec, s[0:1]
	s_cbranch_execz .LBB375_21
; %bb.20:
	v_mov_b32_e32 v1, 0
	global_store_dword v[3:4], v1, off offset:4
.LBB375_21:
	s_or_b64 exec, exec, s[2:3]
	v_cmp_le_i32_e64 s[0:1], v2, v8
	s_and_b64 s[0:1], vcc, s[0:1]
	s_and_saveexec_b64 s[2:3], s[0:1]
	s_cbranch_execz .LBB375_24
; %bb.22:
	v_mul_f32_e32 v1, s13, v19
	v_ashrrev_i32_e32 v3, 31, v2
	v_fma_f32 v8, v18, s12, -v1
	v_lshlrev_b64 v[1:2], 3, v[2:3]
	v_mul_f32_e32 v9, s12, v19
	v_add_co_u32_e32 v1, vcc, v6, v1
	v_addc_co_u32_e32 v2, vcc, v7, v2, vcc
	v_fmac_f32_e32 v9, s13, v18
	v_cmp_eq_u32_e32 vcc, v5, v0
	global_store_dwordx2 v[1:2], v[8:9], off
	s_and_b64 exec, exec, vcc
	s_cbranch_execz .LBB375_24
; %bb.23:
	v_mov_b32_e32 v0, 0
	global_store_dword v[1:2], v0, off offset:4
.LBB375_24:
	s_endpgm
	.section	.rodata,"a",@progbits
	.p2align	6, 0x0
	.amdhsa_kernel _ZL34rocblas_syrkx_herkx_general_kernelIi19rocblas_complex_numIfELi16ELi32ELi8ELb1ELb1ELc78ELc85EKS1_S1_EviT_T0_PT8_S3_lS6_S3_lS4_PT9_S3_li
		.amdhsa_group_segment_fixed_size 4096
		.amdhsa_private_segment_fixed_size 0
		.amdhsa_kernarg_size 100
		.amdhsa_user_sgpr_count 6
		.amdhsa_user_sgpr_private_segment_buffer 1
		.amdhsa_user_sgpr_dispatch_ptr 0
		.amdhsa_user_sgpr_queue_ptr 0
		.amdhsa_user_sgpr_kernarg_segment_ptr 1
		.amdhsa_user_sgpr_dispatch_id 0
		.amdhsa_user_sgpr_flat_scratch_init 0
		.amdhsa_user_sgpr_private_segment_size 0
		.amdhsa_uses_dynamic_stack 0
		.amdhsa_system_sgpr_private_segment_wavefront_offset 0
		.amdhsa_system_sgpr_workgroup_id_x 1
		.amdhsa_system_sgpr_workgroup_id_y 1
		.amdhsa_system_sgpr_workgroup_id_z 1
		.amdhsa_system_sgpr_workgroup_info 0
		.amdhsa_system_vgpr_workitem_id 1
		.amdhsa_next_free_vgpr 53
		.amdhsa_next_free_sgpr 26
		.amdhsa_reserve_vcc 1
		.amdhsa_reserve_flat_scratch 0
		.amdhsa_float_round_mode_32 0
		.amdhsa_float_round_mode_16_64 0
		.amdhsa_float_denorm_mode_32 3
		.amdhsa_float_denorm_mode_16_64 3
		.amdhsa_dx10_clamp 1
		.amdhsa_ieee_mode 1
		.amdhsa_fp16_overflow 0
		.amdhsa_exception_fp_ieee_invalid_op 0
		.amdhsa_exception_fp_denorm_src 0
		.amdhsa_exception_fp_ieee_div_zero 0
		.amdhsa_exception_fp_ieee_overflow 0
		.amdhsa_exception_fp_ieee_underflow 0
		.amdhsa_exception_fp_ieee_inexact 0
		.amdhsa_exception_int_div_zero 0
	.end_amdhsa_kernel
	.section	.text._ZL34rocblas_syrkx_herkx_general_kernelIi19rocblas_complex_numIfELi16ELi32ELi8ELb1ELb1ELc78ELc85EKS1_S1_EviT_T0_PT8_S3_lS6_S3_lS4_PT9_S3_li,"axG",@progbits,_ZL34rocblas_syrkx_herkx_general_kernelIi19rocblas_complex_numIfELi16ELi32ELi8ELb1ELb1ELc78ELc85EKS1_S1_EviT_T0_PT8_S3_lS6_S3_lS4_PT9_S3_li,comdat
.Lfunc_end375:
	.size	_ZL34rocblas_syrkx_herkx_general_kernelIi19rocblas_complex_numIfELi16ELi32ELi8ELb1ELb1ELc78ELc85EKS1_S1_EviT_T0_PT8_S3_lS6_S3_lS4_PT9_S3_li, .Lfunc_end375-_ZL34rocblas_syrkx_herkx_general_kernelIi19rocblas_complex_numIfELi16ELi32ELi8ELb1ELb1ELc78ELc85EKS1_S1_EviT_T0_PT8_S3_lS6_S3_lS4_PT9_S3_li
                                        ; -- End function
	.set _ZL34rocblas_syrkx_herkx_general_kernelIi19rocblas_complex_numIfELi16ELi32ELi8ELb1ELb1ELc78ELc85EKS1_S1_EviT_T0_PT8_S3_lS6_S3_lS4_PT9_S3_li.num_vgpr, 53
	.set _ZL34rocblas_syrkx_herkx_general_kernelIi19rocblas_complex_numIfELi16ELi32ELi8ELb1ELb1ELc78ELc85EKS1_S1_EviT_T0_PT8_S3_lS6_S3_lS4_PT9_S3_li.num_agpr, 0
	.set _ZL34rocblas_syrkx_herkx_general_kernelIi19rocblas_complex_numIfELi16ELi32ELi8ELb1ELb1ELc78ELc85EKS1_S1_EviT_T0_PT8_S3_lS6_S3_lS4_PT9_S3_li.numbered_sgpr, 26
	.set _ZL34rocblas_syrkx_herkx_general_kernelIi19rocblas_complex_numIfELi16ELi32ELi8ELb1ELb1ELc78ELc85EKS1_S1_EviT_T0_PT8_S3_lS6_S3_lS4_PT9_S3_li.num_named_barrier, 0
	.set _ZL34rocblas_syrkx_herkx_general_kernelIi19rocblas_complex_numIfELi16ELi32ELi8ELb1ELb1ELc78ELc85EKS1_S1_EviT_T0_PT8_S3_lS6_S3_lS4_PT9_S3_li.private_seg_size, 0
	.set _ZL34rocblas_syrkx_herkx_general_kernelIi19rocblas_complex_numIfELi16ELi32ELi8ELb1ELb1ELc78ELc85EKS1_S1_EviT_T0_PT8_S3_lS6_S3_lS4_PT9_S3_li.uses_vcc, 1
	.set _ZL34rocblas_syrkx_herkx_general_kernelIi19rocblas_complex_numIfELi16ELi32ELi8ELb1ELb1ELc78ELc85EKS1_S1_EviT_T0_PT8_S3_lS6_S3_lS4_PT9_S3_li.uses_flat_scratch, 0
	.set _ZL34rocblas_syrkx_herkx_general_kernelIi19rocblas_complex_numIfELi16ELi32ELi8ELb1ELb1ELc78ELc85EKS1_S1_EviT_T0_PT8_S3_lS6_S3_lS4_PT9_S3_li.has_dyn_sized_stack, 0
	.set _ZL34rocblas_syrkx_herkx_general_kernelIi19rocblas_complex_numIfELi16ELi32ELi8ELb1ELb1ELc78ELc85EKS1_S1_EviT_T0_PT8_S3_lS6_S3_lS4_PT9_S3_li.has_recursion, 0
	.set _ZL34rocblas_syrkx_herkx_general_kernelIi19rocblas_complex_numIfELi16ELi32ELi8ELb1ELb1ELc78ELc85EKS1_S1_EviT_T0_PT8_S3_lS6_S3_lS4_PT9_S3_li.has_indirect_call, 0
	.section	.AMDGPU.csdata,"",@progbits
; Kernel info:
; codeLenInByte = 2316
; TotalNumSgprs: 30
; NumVgprs: 53
; ScratchSize: 0
; MemoryBound: 1
; FloatMode: 240
; IeeeMode: 1
; LDSByteSize: 4096 bytes/workgroup (compile time only)
; SGPRBlocks: 3
; VGPRBlocks: 13
; NumSGPRsForWavesPerEU: 30
; NumVGPRsForWavesPerEU: 53
; Occupancy: 4
; WaveLimiterHint : 0
; COMPUTE_PGM_RSRC2:SCRATCH_EN: 0
; COMPUTE_PGM_RSRC2:USER_SGPR: 6
; COMPUTE_PGM_RSRC2:TRAP_HANDLER: 0
; COMPUTE_PGM_RSRC2:TGID_X_EN: 1
; COMPUTE_PGM_RSRC2:TGID_Y_EN: 1
; COMPUTE_PGM_RSRC2:TGID_Z_EN: 1
; COMPUTE_PGM_RSRC2:TIDIG_COMP_CNT: 1
	.section	.text._ZL34rocblas_syrkx_herkx_general_kernelIi19rocblas_complex_numIfELi16ELi32ELi8ELb0ELb1ELc84ELc76EKS1_S1_EviT_T0_PT8_S3_lS6_S3_lS4_PT9_S3_li,"axG",@progbits,_ZL34rocblas_syrkx_herkx_general_kernelIi19rocblas_complex_numIfELi16ELi32ELi8ELb0ELb1ELc84ELc76EKS1_S1_EviT_T0_PT8_S3_lS6_S3_lS4_PT9_S3_li,comdat
	.globl	_ZL34rocblas_syrkx_herkx_general_kernelIi19rocblas_complex_numIfELi16ELi32ELi8ELb0ELb1ELc84ELc76EKS1_S1_EviT_T0_PT8_S3_lS6_S3_lS4_PT9_S3_li ; -- Begin function _ZL34rocblas_syrkx_herkx_general_kernelIi19rocblas_complex_numIfELi16ELi32ELi8ELb0ELb1ELc84ELc76EKS1_S1_EviT_T0_PT8_S3_lS6_S3_lS4_PT9_S3_li
	.p2align	8
	.type	_ZL34rocblas_syrkx_herkx_general_kernelIi19rocblas_complex_numIfELi16ELi32ELi8ELb0ELb1ELc84ELc76EKS1_S1_EviT_T0_PT8_S3_lS6_S3_lS4_PT9_S3_li,@function
_ZL34rocblas_syrkx_herkx_general_kernelIi19rocblas_complex_numIfELi16ELi32ELi8ELb0ELb1ELc84ELc76EKS1_S1_EviT_T0_PT8_S3_lS6_S3_lS4_PT9_S3_li: ; @_ZL34rocblas_syrkx_herkx_general_kernelIi19rocblas_complex_numIfELi16ELi32ELi8ELb0ELb1ELc84ELc76EKS1_S1_EviT_T0_PT8_S3_lS6_S3_lS4_PT9_S3_li
; %bb.0:
	s_load_dwordx2 s[10:11], s[4:5], 0x0
	s_load_dwordx4 s[16:19], s[4:5], 0x8
	s_load_dwordx4 s[12:15], s[4:5], 0x38
	s_load_dwordx2 s[24:25], s[4:5], 0x48
	s_lshl_b32 s9, s6, 5
	s_lshl_b32 s26, s7, 5
	s_waitcnt lgkmcnt(0)
	s_cmp_lt_i32 s11, 1
	s_mov_b32 s27, 0
	s_cbranch_scc1 .LBB376_11
; %bb.1:
	v_lshl_add_u32 v2, v1, 4, v0
	s_load_dword s2, s[4:5], 0x18
	s_load_dwordx4 s[20:23], s[4:5], 0x20
	s_load_dword s6, s[4:5], 0x30
	v_and_b32_e32 v8, 7, v0
	v_lshrrev_b32_e32 v9, 5, v2
	v_lshrrev_b32_e32 v3, 3, v2
	v_and_b32_e32 v2, 31, v2
	v_or_b32_e32 v5, s9, v2
	v_lshlrev_b32_e32 v6, 3, v8
	v_add_u32_e32 v4, s26, v3
	v_cmp_gt_i32_e32 vcc, s10, v5
	v_lshlrev_b32_e32 v5, 3, v2
	v_lshl_or_b32 v3, v3, 6, v6
	v_add_u32_e32 v2, s9, v2
	v_add_u32_e32 v11, 0x800, v3
	s_waitcnt lgkmcnt(0)
	v_mad_i64_i32 v[2:3], s[2:3], s2, v2, 0
	s_mul_i32 s2, s21, s8
	s_mul_hi_u32 s3, s20, s8
	v_lshlrev_b64 v[2:3], 3, v[2:3]
	s_add_i32 s3, s3, s2
	s_mul_i32 s2, s20, s8
	v_lshl_or_b32 v10, v9, 8, v5
	v_mov_b32_e32 v5, 0x800
	s_lshl_b64 s[2:3], s[2:3], 3
	v_lshl_add_u32 v13, v1, 6, v5
	v_mov_b32_e32 v5, s3
	v_add_co_u32_e64 v2, s[2:3], s2, v2
	v_addc_co_u32_e64 v3, s[2:3], v3, v5, s[2:3]
	v_lshlrev_b32_e32 v5, 3, v9
	v_add_co_u32_e64 v2, s[2:3], v2, v5
	v_cmp_gt_i32_e64 s[0:1], s10, v4
	v_addc_co_u32_e64 v3, s[2:3], 0, v3, s[2:3]
	v_mad_i64_i32 v[4:5], s[2:3], s6, v4, 0
	v_mov_b32_e32 v7, s19
	v_add_co_u32_e64 v2, s[2:3], s18, v2
	v_addc_co_u32_e64 v3, s[2:3], v7, v3, s[2:3]
	s_mul_i32 s2, s13, s8
	s_mul_hi_u32 s3, s12, s8
	v_lshlrev_b64 v[4:5], 3, v[4:5]
	s_add_i32 s3, s3, s2
	s_mul_i32 s2, s12, s8
	s_lshl_b64 s[2:3], s[2:3], 3
	v_mov_b32_e32 v7, s3
	v_add_co_u32_e64 v4, s[2:3], s2, v4
	v_addc_co_u32_e64 v5, s[2:3], v5, v7, s[2:3]
	v_add_co_u32_e64 v4, s[2:3], v4, v6
	v_addc_co_u32_e64 v5, s[2:3], 0, v5, s[2:3]
	v_mov_b32_e32 v6, s23
	v_add_co_u32_e64 v4, s[2:3], s22, v4
	v_addc_co_u32_e64 v5, s[2:3], v6, v5, s[2:3]
	v_lshlrev_b32_e32 v12, 3, v0
	s_xor_b64 s[2:3], vcc, -1
	s_xor_b64 s[0:1], s[0:1], -1
	v_mov_b32_e32 v17, 0
	v_mov_b32_e32 v16, 0
	;; [unrolled: 1-line block ×9, first 2 shown]
	s_branch .LBB376_3
.LBB376_2:                              ;   in Loop: Header=BB376_3 Depth=1
	s_or_b64 exec, exec, s[6:7]
	s_waitcnt lgkmcnt(0)
	s_barrier
	ds_read2_b64 v[22:25], v12 offset1:16
	ds_read_b128 v[26:29], v13
	ds_read_b128 v[30:33], v13 offset:16
	v_add_co_u32_e32 v2, vcc, 64, v2
	v_addc_co_u32_e32 v3, vcc, 0, v3, vcc
	s_waitcnt lgkmcnt(1)
	v_mul_f32_e32 v34, v26, v23
	v_fmac_f32_e32 v34, v27, v22
	v_add_f32_e32 v46, v21, v34
	ds_read_b128 v[34:37], v13 offset:1024
	v_mul_f32_e32 v7, v27, v23
	v_fma_f32 v7, v26, v22, -v7
	v_add_f32_e32 v7, v20, v7
	v_mul_f32_e32 v20, v27, v25
	v_mul_f32_e32 v21, v26, v25
	v_fma_f32 v20, v26, v24, -v20
	v_fmac_f32_e32 v21, v27, v24
	v_add_f32_e32 v26, v18, v20
	v_add_f32_e32 v27, v19, v21
	ds_read_b128 v[18:21], v13 offset:1040
	s_waitcnt lgkmcnt(1)
	v_mul_f32_e32 v38, v35, v23
	v_mul_f32_e32 v23, v34, v23
	v_fma_f32 v38, v34, v22, -v38
	v_fmac_f32_e32 v23, v35, v22
	v_mul_f32_e32 v22, v35, v25
	v_fma_f32 v47, v34, v24, -v22
	v_mul_f32_e32 v34, v34, v25
	v_add_f32_e32 v14, v14, v38
	v_add_f32_e32 v15, v15, v23
	v_fmac_f32_e32 v34, v35, v24
	ds_read2_b64 v[22:25], v12 offset0:32 offset1:48
	ds_read_b128 v[38:41], v13 offset:32
	ds_read_b128 v[42:45], v13 offset:48
	v_add_f32_e32 v35, v16, v47
	v_add_f32_e32 v34, v17, v34
	s_waitcnt lgkmcnt(2)
	v_mul_f32_e32 v16, v29, v23
	v_fma_f32 v16, v28, v22, -v16
	v_mul_f32_e32 v17, v28, v23
	v_fmac_f32_e32 v17, v29, v22
	v_add_f32_e32 v7, v7, v16
	v_mul_f32_e32 v16, v29, v25
	v_add_f32_e32 v46, v46, v17
	v_fma_f32 v16, v28, v24, -v16
	v_mul_f32_e32 v17, v28, v25
	v_fmac_f32_e32 v17, v29, v24
	v_add_f32_e32 v26, v26, v16
	v_mul_f32_e32 v16, v37, v23
	v_add_f32_e32 v27, v27, v17
	;; [unrolled: 6-line block ×3, first 2 shown]
	v_fma_f32 v28, v36, v24, -v14
	ds_read2_b64 v[14:17], v12 offset0:64 offset1:80
	v_mul_f32_e32 v25, v36, v25
	v_fmac_f32_e32 v25, v37, v24
	v_add_f32_e32 v29, v34, v25
	v_add_f32_e32 v28, v35, v28
	s_waitcnt lgkmcnt(0)
	v_mul_f32_e32 v24, v31, v15
	v_fma_f32 v24, v30, v14, -v24
	v_add_f32_e32 v7, v7, v24
	v_mul_f32_e32 v24, v31, v17
	v_mul_f32_e32 v25, v30, v15
	v_fma_f32 v24, v30, v16, -v24
	v_fmac_f32_e32 v25, v31, v14
	v_add_f32_e32 v26, v26, v24
	v_mul_f32_e32 v24, v19, v15
	v_add_f32_e32 v34, v46, v25
	v_mul_f32_e32 v25, v30, v17
	v_fma_f32 v24, v18, v14, -v24
	v_mul_f32_e32 v15, v18, v15
	v_fmac_f32_e32 v25, v31, v16
	v_fmac_f32_e32 v15, v19, v14
	v_add_f32_e32 v14, v22, v24
	v_mul_f32_e32 v22, v19, v17
	v_add_f32_e32 v27, v27, v25
	v_add_f32_e32 v15, v23, v15
	v_fma_f32 v30, v18, v16, -v22
	ds_read2_b64 v[22:25], v12 offset0:96 offset1:112
	v_mul_f32_e32 v17, v18, v17
	v_fmac_f32_e32 v17, v19, v16
	v_add_f32_e32 v19, v29, v17
	v_add_f32_e32 v18, v28, v30
	s_waitcnt lgkmcnt(0)
	v_mul_f32_e32 v16, v33, v23
	v_fma_f32 v16, v32, v22, -v16
	v_mul_f32_e32 v17, v32, v23
	v_fmac_f32_e32 v17, v33, v22
	v_add_f32_e32 v7, v7, v16
	v_mul_f32_e32 v16, v33, v25
	v_add_f32_e32 v28, v34, v17
	v_fma_f32 v16, v32, v24, -v16
	v_mul_f32_e32 v17, v32, v25
	v_fmac_f32_e32 v17, v33, v24
	v_add_f32_e32 v26, v26, v16
	v_mul_f32_e32 v16, v21, v23
	v_add_f32_e32 v27, v27, v17
	;; [unrolled: 6-line block ×3, first 2 shown]
	v_fma_f32 v22, v20, v24, -v14
	ds_read2_b64 v[14:17], v12 offset0:128 offset1:144
	v_mul_f32_e32 v20, v20, v25
	v_fmac_f32_e32 v20, v21, v24
	v_add_f32_e32 v31, v18, v22
	v_add_f32_e32 v32, v19, v20
	s_waitcnt lgkmcnt(0)
	v_mul_f32_e32 v18, v39, v15
	v_fma_f32 v18, v38, v14, -v18
	v_mul_f32_e32 v19, v38, v15
	v_fmac_f32_e32 v19, v39, v14
	v_add_f32_e32 v7, v7, v18
	v_mul_f32_e32 v18, v39, v17
	v_add_f32_e32 v33, v28, v19
	v_fma_f32 v22, v38, v16, -v18
	ds_read_b128 v[18:21], v13 offset:1056
	v_mul_f32_e32 v23, v38, v17
	v_fmac_f32_e32 v23, v39, v16
	v_add_f32_e32 v34, v26, v22
	v_add_f32_e32 v35, v27, v23
	ds_read_b128 v[22:25], v13 offset:1072
	s_waitcnt lgkmcnt(1)
	v_mul_f32_e32 v26, v19, v15
	v_fma_f32 v26, v18, v14, -v26
	v_mul_f32_e32 v15, v18, v15
	v_fmac_f32_e32 v15, v19, v14
	v_add_f32_e32 v14, v29, v26
	v_mul_f32_e32 v26, v19, v17
	v_add_f32_e32 v15, v30, v15
	v_fma_f32 v30, v18, v16, -v26
	ds_read2_b64 v[26:29], v12 offset0:160 offset1:176
	v_mul_f32_e32 v17, v18, v17
	v_fmac_f32_e32 v17, v19, v16
	v_add_f32_e32 v19, v32, v17
	v_add_f32_e32 v18, v31, v30
	s_waitcnt lgkmcnt(0)
	v_mul_f32_e32 v16, v41, v27
	v_fma_f32 v16, v40, v26, -v16
	v_mul_f32_e32 v17, v40, v27
	v_fmac_f32_e32 v17, v41, v26
	v_add_f32_e32 v7, v7, v16
	v_mul_f32_e32 v16, v41, v29
	v_add_f32_e32 v30, v33, v17
	v_fma_f32 v16, v40, v28, -v16
	v_mul_f32_e32 v17, v40, v29
	v_fmac_f32_e32 v17, v41, v28
	v_add_f32_e32 v31, v34, v16
	v_mul_f32_e32 v16, v21, v27
	v_add_f32_e32 v32, v35, v17
	;; [unrolled: 6-line block ×3, first 2 shown]
	v_fma_f32 v33, v20, v28, -v14
	ds_read2_b64 v[14:17], v12 offset0:192 offset1:208
	v_mul_f32_e32 v20, v20, v29
	v_fmac_f32_e32 v20, v21, v28
	v_add_f32_e32 v19, v19, v20
	v_add_f32_e32 v18, v18, v33
	s_waitcnt lgkmcnt(0)
	v_mul_f32_e32 v20, v43, v15
	v_fma_f32 v20, v42, v14, -v20
	v_mul_f32_e32 v21, v42, v15
	v_add_f32_e32 v7, v7, v20
	v_mul_f32_e32 v20, v43, v17
	v_fmac_f32_e32 v21, v43, v14
	v_fma_f32 v20, v42, v16, -v20
	v_add_f32_e32 v21, v30, v21
	v_mul_f32_e32 v28, v42, v17
	v_add_f32_e32 v30, v31, v20
	v_mul_f32_e32 v20, v23, v15
	v_mul_f32_e32 v15, v22, v15
	v_fmac_f32_e32 v28, v43, v16
	v_fma_f32 v20, v22, v14, -v20
	v_fmac_f32_e32 v15, v23, v14
	v_add_f32_e32 v31, v32, v28
	v_add_f32_e32 v14, v26, v20
	;; [unrolled: 1-line block ×3, first 2 shown]
	ds_read2_b64 v[26:29], v12 offset0:224 offset1:240
	v_mul_f32_e32 v20, v23, v17
	v_fma_f32 v20, v22, v16, -v20
	v_mul_f32_e32 v17, v22, v17
	v_fmac_f32_e32 v17, v23, v16
	v_add_f32_e32 v16, v18, v20
	s_waitcnt lgkmcnt(0)
	v_mul_f32_e32 v18, v45, v27
	v_fma_f32 v18, v44, v26, -v18
	v_add_f32_e32 v20, v7, v18
	v_mul_f32_e32 v7, v45, v29
	v_fma_f32 v7, v44, v28, -v7
	v_add_f32_e32 v17, v19, v17
	v_mul_f32_e32 v19, v44, v27
	v_add_f32_e32 v18, v30, v7
	v_mul_f32_e32 v7, v25, v27
	v_mul_f32_e32 v22, v24, v27
	v_fmac_f32_e32 v19, v45, v26
	v_fma_f32 v7, v24, v26, -v7
	v_fmac_f32_e32 v22, v25, v26
	v_add_f32_e32 v21, v21, v19
	v_mul_f32_e32 v19, v44, v29
	v_add_f32_e32 v14, v14, v7
	v_add_f32_e32 v15, v15, v22
	v_mul_f32_e32 v7, v25, v29
	v_mul_f32_e32 v22, v24, v29
	v_fmac_f32_e32 v19, v45, v28
	v_fma_f32 v7, v24, v28, -v7
	v_fmac_f32_e32 v22, v25, v28
	s_add_i32 s27, s27, 8
	v_add_co_u32_e32 v4, vcc, 64, v4
	v_add_f32_e32 v19, v31, v19
	v_add_f32_e32 v16, v16, v7
	;; [unrolled: 1-line block ×3, first 2 shown]
	s_cmp_ge_i32 s27, s11
	v_addc_co_u32_e32 v5, vcc, 0, v5, vcc
	s_barrier
	s_cbranch_scc1 .LBB376_12
.LBB376_3:                              ; =>This Inner Loop Header: Depth=1
	v_add_u32_e32 v7, s27, v9
	v_cmp_le_i32_e32 vcc, s11, v7
	s_or_b64 s[6:7], s[2:3], vcc
	s_and_saveexec_b64 s[12:13], s[6:7]
	s_xor_b64 s[6:7], exec, s[12:13]
; %bb.4:                                ;   in Loop: Header=BB376_3 Depth=1
	v_mov_b32_e32 v7, v6
	ds_write_b64 v10, v[6:7]
; %bb.5:                                ;   in Loop: Header=BB376_3 Depth=1
	s_andn2_saveexec_b64 s[6:7], s[6:7]
	s_cbranch_execz .LBB376_7
; %bb.6:                                ;   in Loop: Header=BB376_3 Depth=1
	global_load_dwordx2 v[22:23], v[2:3], off
	s_waitcnt vmcnt(0)
	ds_write_b64 v10, v[22:23]
.LBB376_7:                              ;   in Loop: Header=BB376_3 Depth=1
	s_or_b64 exec, exec, s[6:7]
	v_add_u32_e32 v7, s27, v8
	v_cmp_le_i32_e32 vcc, s11, v7
	s_or_b64 s[6:7], vcc, s[0:1]
	s_and_saveexec_b64 s[12:13], s[6:7]
	s_xor_b64 s[6:7], exec, s[12:13]
; %bb.8:                                ;   in Loop: Header=BB376_3 Depth=1
	v_mov_b32_e32 v7, v6
	ds_write_b64 v11, v[6:7]
; %bb.9:                                ;   in Loop: Header=BB376_3 Depth=1
	s_andn2_saveexec_b64 s[6:7], s[6:7]
	s_cbranch_execz .LBB376_2
; %bb.10:                               ;   in Loop: Header=BB376_3 Depth=1
	global_load_dwordx2 v[22:23], v[4:5], off
	s_waitcnt vmcnt(0)
	ds_write_b64 v11, v[22:23]
	s_branch .LBB376_2
.LBB376_11:
	v_mov_b32_e32 v20, 0
	v_mov_b32_e32 v21, 0
	;; [unrolled: 1-line block ×8, first 2 shown]
.LBB376_12:
	s_load_dwordx2 s[0:1], s[4:5], 0x58
	s_load_dword s6, s[4:5], 0x50
	v_add_u32_e32 v5, s26, v1
	v_add_u32_e32 v0, s9, v0
	s_waitcnt lgkmcnt(0)
	s_mul_i32 s1, s1, s8
	s_mul_hi_u32 s2, s0, s8
	s_add_i32 s1, s2, s1
	v_mad_i64_i32 v[1:2], s[2:3], v5, s6, 0
	s_mul_i32 s0, s0, s8
	s_lshl_b64 s[0:1], s[0:1], 3
	s_add_u32 s7, s24, s0
	v_lshlrev_b64 v[1:2], 3, v[1:2]
	s_addc_u32 s8, s25, s1
	v_mov_b32_e32 v3, s8
	v_add_co_u32_e32 v4, vcc, s7, v1
	v_addc_co_u32_e32 v6, vcc, v3, v2, vcc
	v_cmp_le_i32_e64 s[0:1], v5, v0
	v_cmp_gt_i32_e32 vcc, s10, v0
	s_and_b64 s[0:1], s[0:1], vcc
	s_and_saveexec_b64 s[2:3], s[0:1]
	s_cbranch_execz .LBB376_15
; %bb.13:
	v_ashrrev_i32_e32 v1, 31, v0
	v_lshlrev_b64 v[1:2], 3, v[0:1]
	v_mul_f32_e32 v3, s17, v21
	v_add_co_u32_e64 v1, s[0:1], v4, v1
	v_addc_co_u32_e64 v2, s[0:1], v6, v2, s[0:1]
	global_load_dwordx2 v[7:8], v[1:2], off
	v_mul_f32_e32 v9, s16, v21
	v_fma_f32 v3, v20, s16, -v3
	v_fmac_f32_e32 v9, s17, v20
	v_cmp_eq_u32_e64 s[0:1], v5, v0
	s_waitcnt vmcnt(0)
	v_mul_f32_e32 v10, s15, v8
	v_mul_f32_e32 v8, s14, v8
	v_fma_f32 v10, v7, s14, -v10
	v_fmac_f32_e32 v8, s15, v7
	v_add_f32_e32 v7, v3, v10
	v_add_f32_e32 v8, v9, v8
	global_store_dwordx2 v[1:2], v[7:8], off
	s_and_b64 exec, exec, s[0:1]
	s_cbranch_execz .LBB376_15
; %bb.14:
	v_mov_b32_e32 v3, 0
	global_store_dword v[1:2], v3, off offset:4
.LBB376_15:
	s_or_b64 exec, exec, s[2:3]
	v_add_u32_e32 v2, 16, v0
	v_cmp_le_i32_e64 s[2:3], v5, v2
	v_cmp_gt_i32_e64 s[0:1], s10, v2
	s_and_b64 s[2:3], s[2:3], s[0:1]
	s_and_saveexec_b64 s[4:5], s[2:3]
	s_cbranch_execz .LBB376_18
; %bb.16:
	v_ashrrev_i32_e32 v3, 31, v2
	v_lshlrev_b64 v[7:8], 3, v[2:3]
	v_mul_f32_e32 v1, s17, v19
	v_add_co_u32_e64 v3, s[2:3], v4, v7
	v_addc_co_u32_e64 v4, s[2:3], v6, v8, s[2:3]
	global_load_dwordx2 v[6:7], v[3:4], off
	v_mul_f32_e32 v8, s16, v19
	v_fma_f32 v1, v18, s16, -v1
	v_fmac_f32_e32 v8, s17, v18
	v_cmp_eq_u32_e64 s[2:3], v5, v2
	s_waitcnt vmcnt(0)
	v_mul_f32_e32 v9, s15, v7
	v_mul_f32_e32 v7, s14, v7
	v_fma_f32 v9, v6, s14, -v9
	v_fmac_f32_e32 v7, s15, v6
	v_add_f32_e32 v6, v1, v9
	v_add_f32_e32 v7, v8, v7
	global_store_dwordx2 v[3:4], v[6:7], off
	s_and_b64 exec, exec, s[2:3]
	s_cbranch_execz .LBB376_18
; %bb.17:
	v_mov_b32_e32 v1, 0
	global_store_dword v[3:4], v1, off offset:4
.LBB376_18:
	s_or_b64 exec, exec, s[4:5]
	v_add_u32_e32 v8, 16, v5
	v_mad_i64_i32 v[3:4], s[2:3], v8, s6, 0
	v_mov_b32_e32 v1, s8
	v_lshlrev_b64 v[3:4], 3, v[3:4]
	v_add_co_u32_e64 v6, s[2:3], s7, v3
	v_addc_co_u32_e64 v7, s[2:3], v1, v4, s[2:3]
	v_cmp_le_i32_e64 s[2:3], v8, v0
	s_and_b64 s[4:5], s[2:3], vcc
	s_and_saveexec_b64 s[2:3], s[4:5]
	s_cbranch_execz .LBB376_21
; %bb.19:
	v_ashrrev_i32_e32 v1, 31, v0
	v_lshlrev_b64 v[3:4], 3, v[0:1]
	v_mul_f32_e32 v1, s17, v15
	v_add_co_u32_e32 v3, vcc, v6, v3
	v_addc_co_u32_e32 v4, vcc, v7, v4, vcc
	global_load_dwordx2 v[9:10], v[3:4], off
	v_mul_f32_e32 v11, s16, v15
	v_fma_f32 v1, v14, s16, -v1
	v_fmac_f32_e32 v11, s17, v14
	v_cmp_eq_u32_e32 vcc, v8, v0
	s_waitcnt vmcnt(0)
	v_mul_f32_e32 v12, s15, v10
	v_mul_f32_e32 v10, s14, v10
	v_fma_f32 v12, v9, s14, -v12
	v_fmac_f32_e32 v10, s15, v9
	v_add_f32_e32 v9, v1, v12
	v_add_f32_e32 v10, v11, v10
	global_store_dwordx2 v[3:4], v[9:10], off
	s_and_b64 exec, exec, vcc
	s_cbranch_execz .LBB376_21
; %bb.20:
	v_mov_b32_e32 v1, 0
	global_store_dword v[3:4], v1, off offset:4
.LBB376_21:
	s_or_b64 exec, exec, s[2:3]
	v_cmp_le_i32_e32 vcc, v8, v2
	s_and_b64 s[0:1], vcc, s[0:1]
	s_and_saveexec_b64 s[2:3], s[0:1]
	s_cbranch_execz .LBB376_24
; %bb.22:
	v_ashrrev_i32_e32 v3, 31, v2
	v_lshlrev_b64 v[1:2], 3, v[2:3]
	v_add_co_u32_e32 v1, vcc, v6, v1
	v_addc_co_u32_e32 v2, vcc, v7, v2, vcc
	global_load_dwordx2 v[3:4], v[1:2], off
	v_mul_f32_e32 v6, s17, v17
	v_mul_f32_e32 v7, s16, v17
	v_fma_f32 v6, v16, s16, -v6
	v_fmac_f32_e32 v7, s17, v16
	v_cmp_eq_u32_e32 vcc, v5, v0
	s_waitcnt vmcnt(0)
	v_mul_f32_e32 v8, s15, v4
	v_mul_f32_e32 v4, s14, v4
	v_fma_f32 v8, v3, s14, -v8
	v_fmac_f32_e32 v4, s15, v3
	v_add_f32_e32 v3, v6, v8
	v_add_f32_e32 v4, v7, v4
	global_store_dwordx2 v[1:2], v[3:4], off
	s_and_b64 exec, exec, vcc
	s_cbranch_execz .LBB376_24
; %bb.23:
	v_mov_b32_e32 v0, 0
	global_store_dword v[1:2], v0, off offset:4
.LBB376_24:
	s_endpgm
	.section	.rodata,"a",@progbits
	.p2align	6, 0x0
	.amdhsa_kernel _ZL34rocblas_syrkx_herkx_general_kernelIi19rocblas_complex_numIfELi16ELi32ELi8ELb0ELb1ELc84ELc76EKS1_S1_EviT_T0_PT8_S3_lS6_S3_lS4_PT9_S3_li
		.amdhsa_group_segment_fixed_size 4096
		.amdhsa_private_segment_fixed_size 0
		.amdhsa_kernarg_size 100
		.amdhsa_user_sgpr_count 6
		.amdhsa_user_sgpr_private_segment_buffer 1
		.amdhsa_user_sgpr_dispatch_ptr 0
		.amdhsa_user_sgpr_queue_ptr 0
		.amdhsa_user_sgpr_kernarg_segment_ptr 1
		.amdhsa_user_sgpr_dispatch_id 0
		.amdhsa_user_sgpr_flat_scratch_init 0
		.amdhsa_user_sgpr_private_segment_size 0
		.amdhsa_uses_dynamic_stack 0
		.amdhsa_system_sgpr_private_segment_wavefront_offset 0
		.amdhsa_system_sgpr_workgroup_id_x 1
		.amdhsa_system_sgpr_workgroup_id_y 1
		.amdhsa_system_sgpr_workgroup_id_z 1
		.amdhsa_system_sgpr_workgroup_info 0
		.amdhsa_system_vgpr_workitem_id 1
		.amdhsa_next_free_vgpr 48
		.amdhsa_next_free_sgpr 28
		.amdhsa_reserve_vcc 1
		.amdhsa_reserve_flat_scratch 0
		.amdhsa_float_round_mode_32 0
		.amdhsa_float_round_mode_16_64 0
		.amdhsa_float_denorm_mode_32 3
		.amdhsa_float_denorm_mode_16_64 3
		.amdhsa_dx10_clamp 1
		.amdhsa_ieee_mode 1
		.amdhsa_fp16_overflow 0
		.amdhsa_exception_fp_ieee_invalid_op 0
		.amdhsa_exception_fp_denorm_src 0
		.amdhsa_exception_fp_ieee_div_zero 0
		.amdhsa_exception_fp_ieee_overflow 0
		.amdhsa_exception_fp_ieee_underflow 0
		.amdhsa_exception_fp_ieee_inexact 0
		.amdhsa_exception_int_div_zero 0
	.end_amdhsa_kernel
	.section	.text._ZL34rocblas_syrkx_herkx_general_kernelIi19rocblas_complex_numIfELi16ELi32ELi8ELb0ELb1ELc84ELc76EKS1_S1_EviT_T0_PT8_S3_lS6_S3_lS4_PT9_S3_li,"axG",@progbits,_ZL34rocblas_syrkx_herkx_general_kernelIi19rocblas_complex_numIfELi16ELi32ELi8ELb0ELb1ELc84ELc76EKS1_S1_EviT_T0_PT8_S3_lS6_S3_lS4_PT9_S3_li,comdat
.Lfunc_end376:
	.size	_ZL34rocblas_syrkx_herkx_general_kernelIi19rocblas_complex_numIfELi16ELi32ELi8ELb0ELb1ELc84ELc76EKS1_S1_EviT_T0_PT8_S3_lS6_S3_lS4_PT9_S3_li, .Lfunc_end376-_ZL34rocblas_syrkx_herkx_general_kernelIi19rocblas_complex_numIfELi16ELi32ELi8ELb0ELb1ELc84ELc76EKS1_S1_EviT_T0_PT8_S3_lS6_S3_lS4_PT9_S3_li
                                        ; -- End function
	.set _ZL34rocblas_syrkx_herkx_general_kernelIi19rocblas_complex_numIfELi16ELi32ELi8ELb0ELb1ELc84ELc76EKS1_S1_EviT_T0_PT8_S3_lS6_S3_lS4_PT9_S3_li.num_vgpr, 48
	.set _ZL34rocblas_syrkx_herkx_general_kernelIi19rocblas_complex_numIfELi16ELi32ELi8ELb0ELb1ELc84ELc76EKS1_S1_EviT_T0_PT8_S3_lS6_S3_lS4_PT9_S3_li.num_agpr, 0
	.set _ZL34rocblas_syrkx_herkx_general_kernelIi19rocblas_complex_numIfELi16ELi32ELi8ELb0ELb1ELc84ELc76EKS1_S1_EviT_T0_PT8_S3_lS6_S3_lS4_PT9_S3_li.numbered_sgpr, 28
	.set _ZL34rocblas_syrkx_herkx_general_kernelIi19rocblas_complex_numIfELi16ELi32ELi8ELb0ELb1ELc84ELc76EKS1_S1_EviT_T0_PT8_S3_lS6_S3_lS4_PT9_S3_li.num_named_barrier, 0
	.set _ZL34rocblas_syrkx_herkx_general_kernelIi19rocblas_complex_numIfELi16ELi32ELi8ELb0ELb1ELc84ELc76EKS1_S1_EviT_T0_PT8_S3_lS6_S3_lS4_PT9_S3_li.private_seg_size, 0
	.set _ZL34rocblas_syrkx_herkx_general_kernelIi19rocblas_complex_numIfELi16ELi32ELi8ELb0ELb1ELc84ELc76EKS1_S1_EviT_T0_PT8_S3_lS6_S3_lS4_PT9_S3_li.uses_vcc, 1
	.set _ZL34rocblas_syrkx_herkx_general_kernelIi19rocblas_complex_numIfELi16ELi32ELi8ELb0ELb1ELc84ELc76EKS1_S1_EviT_T0_PT8_S3_lS6_S3_lS4_PT9_S3_li.uses_flat_scratch, 0
	.set _ZL34rocblas_syrkx_herkx_general_kernelIi19rocblas_complex_numIfELi16ELi32ELi8ELb0ELb1ELc84ELc76EKS1_S1_EviT_T0_PT8_S3_lS6_S3_lS4_PT9_S3_li.has_dyn_sized_stack, 0
	.set _ZL34rocblas_syrkx_herkx_general_kernelIi19rocblas_complex_numIfELi16ELi32ELi8ELb0ELb1ELc84ELc76EKS1_S1_EviT_T0_PT8_S3_lS6_S3_lS4_PT9_S3_li.has_recursion, 0
	.set _ZL34rocblas_syrkx_herkx_general_kernelIi19rocblas_complex_numIfELi16ELi32ELi8ELb0ELb1ELc84ELc76EKS1_S1_EviT_T0_PT8_S3_lS6_S3_lS4_PT9_S3_li.has_indirect_call, 0
	.section	.AMDGPU.csdata,"",@progbits
; Kernel info:
; codeLenInByte = 2392
; TotalNumSgprs: 32
; NumVgprs: 48
; ScratchSize: 0
; MemoryBound: 1
; FloatMode: 240
; IeeeMode: 1
; LDSByteSize: 4096 bytes/workgroup (compile time only)
; SGPRBlocks: 3
; VGPRBlocks: 11
; NumSGPRsForWavesPerEU: 32
; NumVGPRsForWavesPerEU: 48
; Occupancy: 5
; WaveLimiterHint : 0
; COMPUTE_PGM_RSRC2:SCRATCH_EN: 0
; COMPUTE_PGM_RSRC2:USER_SGPR: 6
; COMPUTE_PGM_RSRC2:TRAP_HANDLER: 0
; COMPUTE_PGM_RSRC2:TGID_X_EN: 1
; COMPUTE_PGM_RSRC2:TGID_Y_EN: 1
; COMPUTE_PGM_RSRC2:TGID_Z_EN: 1
; COMPUTE_PGM_RSRC2:TIDIG_COMP_CNT: 1
	.section	.text._ZL34rocblas_syrkx_herkx_general_kernelIi19rocblas_complex_numIfELi16ELi32ELi8ELb0ELb1ELc67ELc76EKS1_S1_EviT_T0_PT8_S3_lS6_S3_lS4_PT9_S3_li,"axG",@progbits,_ZL34rocblas_syrkx_herkx_general_kernelIi19rocblas_complex_numIfELi16ELi32ELi8ELb0ELb1ELc67ELc76EKS1_S1_EviT_T0_PT8_S3_lS6_S3_lS4_PT9_S3_li,comdat
	.globl	_ZL34rocblas_syrkx_herkx_general_kernelIi19rocblas_complex_numIfELi16ELi32ELi8ELb0ELb1ELc67ELc76EKS1_S1_EviT_T0_PT8_S3_lS6_S3_lS4_PT9_S3_li ; -- Begin function _ZL34rocblas_syrkx_herkx_general_kernelIi19rocblas_complex_numIfELi16ELi32ELi8ELb0ELb1ELc67ELc76EKS1_S1_EviT_T0_PT8_S3_lS6_S3_lS4_PT9_S3_li
	.p2align	8
	.type	_ZL34rocblas_syrkx_herkx_general_kernelIi19rocblas_complex_numIfELi16ELi32ELi8ELb0ELb1ELc67ELc76EKS1_S1_EviT_T0_PT8_S3_lS6_S3_lS4_PT9_S3_li,@function
_ZL34rocblas_syrkx_herkx_general_kernelIi19rocblas_complex_numIfELi16ELi32ELi8ELb0ELb1ELc67ELc76EKS1_S1_EviT_T0_PT8_S3_lS6_S3_lS4_PT9_S3_li: ; @_ZL34rocblas_syrkx_herkx_general_kernelIi19rocblas_complex_numIfELi16ELi32ELi8ELb0ELb1ELc67ELc76EKS1_S1_EviT_T0_PT8_S3_lS6_S3_lS4_PT9_S3_li
; %bb.0:
	s_load_dwordx2 s[10:11], s[4:5], 0x0
	s_load_dwordx4 s[16:19], s[4:5], 0x8
	s_load_dwordx4 s[12:15], s[4:5], 0x38
	s_load_dwordx2 s[24:25], s[4:5], 0x48
	s_lshl_b32 s9, s6, 5
	s_lshl_b32 s26, s7, 5
	s_waitcnt lgkmcnt(0)
	s_cmp_lt_i32 s11, 1
	s_mov_b32 s27, 0
	s_cbranch_scc1 .LBB377_11
; %bb.1:
	v_lshl_add_u32 v2, v1, 4, v0
	s_load_dword s2, s[4:5], 0x18
	s_load_dwordx4 s[20:23], s[4:5], 0x20
	s_load_dword s6, s[4:5], 0x30
	v_and_b32_e32 v8, 7, v0
	v_lshrrev_b32_e32 v9, 5, v2
	v_lshrrev_b32_e32 v3, 3, v2
	v_and_b32_e32 v2, 31, v2
	v_or_b32_e32 v5, s9, v2
	v_lshlrev_b32_e32 v6, 3, v8
	v_add_u32_e32 v4, s26, v3
	v_cmp_gt_i32_e32 vcc, s10, v5
	v_lshlrev_b32_e32 v5, 3, v2
	v_lshl_or_b32 v3, v3, 6, v6
	v_add_u32_e32 v2, s9, v2
	v_add_u32_e32 v11, 0x800, v3
	s_waitcnt lgkmcnt(0)
	v_mad_i64_i32 v[2:3], s[2:3], s2, v2, 0
	s_mul_i32 s2, s21, s8
	s_mul_hi_u32 s3, s20, s8
	v_lshlrev_b64 v[2:3], 3, v[2:3]
	s_add_i32 s3, s3, s2
	s_mul_i32 s2, s20, s8
	v_lshl_or_b32 v10, v9, 8, v5
	v_mov_b32_e32 v5, 0x800
	s_lshl_b64 s[2:3], s[2:3], 3
	v_lshl_add_u32 v13, v1, 6, v5
	v_mov_b32_e32 v5, s3
	v_add_co_u32_e64 v2, s[2:3], s2, v2
	v_addc_co_u32_e64 v3, s[2:3], v3, v5, s[2:3]
	v_lshlrev_b32_e32 v5, 3, v9
	v_add_co_u32_e64 v2, s[2:3], v2, v5
	v_addc_co_u32_e64 v3, s[2:3], 0, v3, s[2:3]
	v_mov_b32_e32 v5, s19
	v_add_co_u32_e64 v2, s[2:3], s18, v2
	v_cmp_gt_i32_e64 s[0:1], s10, v4
	v_addc_co_u32_e64 v3, s[2:3], v5, v3, s[2:3]
	v_mad_i64_i32 v[4:5], s[2:3], s6, v4, 0
	v_add_co_u32_e64 v2, s[2:3], 4, v2
	v_addc_co_u32_e64 v3, s[2:3], 0, v3, s[2:3]
	s_mul_i32 s2, s13, s8
	s_mul_hi_u32 s3, s12, s8
	v_lshlrev_b64 v[4:5], 3, v[4:5]
	s_add_i32 s3, s3, s2
	s_mul_i32 s2, s12, s8
	s_lshl_b64 s[2:3], s[2:3], 3
	v_mov_b32_e32 v7, s3
	v_add_co_u32_e64 v4, s[2:3], s2, v4
	v_addc_co_u32_e64 v5, s[2:3], v5, v7, s[2:3]
	v_add_co_u32_e64 v4, s[2:3], v4, v6
	v_addc_co_u32_e64 v5, s[2:3], 0, v5, s[2:3]
	v_mov_b32_e32 v6, s23
	v_add_co_u32_e64 v4, s[2:3], s22, v4
	v_addc_co_u32_e64 v5, s[2:3], v6, v5, s[2:3]
	v_lshlrev_b32_e32 v12, 3, v0
	s_xor_b64 s[2:3], vcc, -1
	s_xor_b64 s[0:1], s[0:1], -1
	v_mov_b32_e32 v17, 0
	v_mov_b32_e32 v16, 0
	;; [unrolled: 1-line block ×9, first 2 shown]
	s_branch .LBB377_3
.LBB377_2:                              ;   in Loop: Header=BB377_3 Depth=1
	s_or_b64 exec, exec, s[6:7]
	s_waitcnt lgkmcnt(0)
	s_barrier
	ds_read2_b64 v[22:25], v12 offset1:16
	ds_read_b128 v[26:29], v13
	ds_read_b128 v[30:33], v13 offset:16
	v_add_co_u32_e32 v2, vcc, 64, v2
	v_addc_co_u32_e32 v3, vcc, 0, v3, vcc
	s_waitcnt lgkmcnt(1)
	v_mul_f32_e32 v34, v26, v23
	v_fmac_f32_e32 v34, v27, v22
	v_add_f32_e32 v46, v21, v34
	ds_read_b128 v[34:37], v13 offset:1024
	v_mul_f32_e32 v7, v27, v23
	v_fma_f32 v7, v26, v22, -v7
	v_add_f32_e32 v7, v20, v7
	v_mul_f32_e32 v20, v27, v25
	v_mul_f32_e32 v21, v26, v25
	v_fma_f32 v20, v26, v24, -v20
	v_fmac_f32_e32 v21, v27, v24
	v_add_f32_e32 v26, v18, v20
	v_add_f32_e32 v27, v19, v21
	ds_read_b128 v[18:21], v13 offset:1040
	s_waitcnt lgkmcnt(1)
	v_mul_f32_e32 v38, v35, v23
	v_mul_f32_e32 v23, v34, v23
	v_fma_f32 v38, v34, v22, -v38
	v_fmac_f32_e32 v23, v35, v22
	v_mul_f32_e32 v22, v35, v25
	v_fma_f32 v47, v34, v24, -v22
	v_mul_f32_e32 v34, v34, v25
	v_add_f32_e32 v14, v14, v38
	v_add_f32_e32 v15, v15, v23
	v_fmac_f32_e32 v34, v35, v24
	ds_read2_b64 v[22:25], v12 offset0:32 offset1:48
	ds_read_b128 v[38:41], v13 offset:32
	ds_read_b128 v[42:45], v13 offset:48
	v_add_f32_e32 v35, v16, v47
	v_add_f32_e32 v34, v17, v34
	s_waitcnt lgkmcnt(2)
	v_mul_f32_e32 v16, v29, v23
	v_fma_f32 v16, v28, v22, -v16
	v_mul_f32_e32 v17, v28, v23
	v_fmac_f32_e32 v17, v29, v22
	v_add_f32_e32 v7, v7, v16
	v_mul_f32_e32 v16, v29, v25
	v_add_f32_e32 v46, v46, v17
	v_fma_f32 v16, v28, v24, -v16
	v_mul_f32_e32 v17, v28, v25
	v_fmac_f32_e32 v17, v29, v24
	v_add_f32_e32 v26, v26, v16
	v_mul_f32_e32 v16, v37, v23
	v_add_f32_e32 v27, v27, v17
	v_fma_f32 v16, v36, v22, -v16
	v_mul_f32_e32 v17, v36, v23
	v_fmac_f32_e32 v17, v37, v22
	v_add_f32_e32 v22, v14, v16
	v_mul_f32_e32 v14, v37, v25
	v_add_f32_e32 v23, v15, v17
	v_fma_f32 v28, v36, v24, -v14
	ds_read2_b64 v[14:17], v12 offset0:64 offset1:80
	v_mul_f32_e32 v25, v36, v25
	v_fmac_f32_e32 v25, v37, v24
	v_add_f32_e32 v29, v34, v25
	v_add_f32_e32 v28, v35, v28
	s_waitcnt lgkmcnt(0)
	v_mul_f32_e32 v24, v31, v15
	v_fma_f32 v24, v30, v14, -v24
	v_add_f32_e32 v7, v7, v24
	v_mul_f32_e32 v24, v31, v17
	v_mul_f32_e32 v25, v30, v15
	v_fma_f32 v24, v30, v16, -v24
	v_fmac_f32_e32 v25, v31, v14
	v_add_f32_e32 v26, v26, v24
	v_mul_f32_e32 v24, v19, v15
	v_add_f32_e32 v34, v46, v25
	v_mul_f32_e32 v25, v30, v17
	v_fma_f32 v24, v18, v14, -v24
	v_mul_f32_e32 v15, v18, v15
	v_fmac_f32_e32 v25, v31, v16
	v_fmac_f32_e32 v15, v19, v14
	v_add_f32_e32 v14, v22, v24
	v_mul_f32_e32 v22, v19, v17
	v_add_f32_e32 v27, v27, v25
	v_add_f32_e32 v15, v23, v15
	v_fma_f32 v30, v18, v16, -v22
	ds_read2_b64 v[22:25], v12 offset0:96 offset1:112
	v_mul_f32_e32 v17, v18, v17
	v_fmac_f32_e32 v17, v19, v16
	v_add_f32_e32 v19, v29, v17
	v_add_f32_e32 v18, v28, v30
	s_waitcnt lgkmcnt(0)
	v_mul_f32_e32 v16, v33, v23
	v_fma_f32 v16, v32, v22, -v16
	v_mul_f32_e32 v17, v32, v23
	v_fmac_f32_e32 v17, v33, v22
	v_add_f32_e32 v7, v7, v16
	v_mul_f32_e32 v16, v33, v25
	v_add_f32_e32 v28, v34, v17
	v_fma_f32 v16, v32, v24, -v16
	v_mul_f32_e32 v17, v32, v25
	v_fmac_f32_e32 v17, v33, v24
	v_add_f32_e32 v26, v26, v16
	v_mul_f32_e32 v16, v21, v23
	v_add_f32_e32 v27, v27, v17
	;; [unrolled: 6-line block ×3, first 2 shown]
	v_fma_f32 v22, v20, v24, -v14
	ds_read2_b64 v[14:17], v12 offset0:128 offset1:144
	v_mul_f32_e32 v20, v20, v25
	v_fmac_f32_e32 v20, v21, v24
	v_add_f32_e32 v31, v18, v22
	v_add_f32_e32 v32, v19, v20
	s_waitcnt lgkmcnt(0)
	v_mul_f32_e32 v18, v39, v15
	v_fma_f32 v18, v38, v14, -v18
	v_mul_f32_e32 v19, v38, v15
	v_fmac_f32_e32 v19, v39, v14
	v_add_f32_e32 v7, v7, v18
	v_mul_f32_e32 v18, v39, v17
	v_add_f32_e32 v33, v28, v19
	v_fma_f32 v22, v38, v16, -v18
	ds_read_b128 v[18:21], v13 offset:1056
	v_mul_f32_e32 v23, v38, v17
	v_fmac_f32_e32 v23, v39, v16
	v_add_f32_e32 v34, v26, v22
	v_add_f32_e32 v35, v27, v23
	ds_read_b128 v[22:25], v13 offset:1072
	s_waitcnt lgkmcnt(1)
	v_mul_f32_e32 v26, v19, v15
	v_fma_f32 v26, v18, v14, -v26
	v_mul_f32_e32 v15, v18, v15
	v_fmac_f32_e32 v15, v19, v14
	v_add_f32_e32 v14, v29, v26
	v_mul_f32_e32 v26, v19, v17
	v_add_f32_e32 v15, v30, v15
	v_fma_f32 v30, v18, v16, -v26
	ds_read2_b64 v[26:29], v12 offset0:160 offset1:176
	v_mul_f32_e32 v17, v18, v17
	v_fmac_f32_e32 v17, v19, v16
	v_add_f32_e32 v19, v32, v17
	v_add_f32_e32 v18, v31, v30
	s_waitcnt lgkmcnt(0)
	v_mul_f32_e32 v16, v41, v27
	v_fma_f32 v16, v40, v26, -v16
	v_mul_f32_e32 v17, v40, v27
	v_fmac_f32_e32 v17, v41, v26
	v_add_f32_e32 v7, v7, v16
	v_mul_f32_e32 v16, v41, v29
	v_add_f32_e32 v30, v33, v17
	v_fma_f32 v16, v40, v28, -v16
	v_mul_f32_e32 v17, v40, v29
	v_fmac_f32_e32 v17, v41, v28
	v_add_f32_e32 v31, v34, v16
	v_mul_f32_e32 v16, v21, v27
	v_add_f32_e32 v32, v35, v17
	;; [unrolled: 6-line block ×3, first 2 shown]
	v_fma_f32 v33, v20, v28, -v14
	ds_read2_b64 v[14:17], v12 offset0:192 offset1:208
	v_mul_f32_e32 v20, v20, v29
	v_fmac_f32_e32 v20, v21, v28
	v_add_f32_e32 v19, v19, v20
	v_add_f32_e32 v18, v18, v33
	s_waitcnt lgkmcnt(0)
	v_mul_f32_e32 v20, v43, v15
	v_fma_f32 v20, v42, v14, -v20
	v_mul_f32_e32 v21, v42, v15
	v_add_f32_e32 v7, v7, v20
	v_mul_f32_e32 v20, v43, v17
	v_fmac_f32_e32 v21, v43, v14
	v_fma_f32 v20, v42, v16, -v20
	v_add_f32_e32 v21, v30, v21
	v_mul_f32_e32 v28, v42, v17
	v_add_f32_e32 v30, v31, v20
	v_mul_f32_e32 v20, v23, v15
	v_mul_f32_e32 v15, v22, v15
	v_fmac_f32_e32 v28, v43, v16
	v_fma_f32 v20, v22, v14, -v20
	v_fmac_f32_e32 v15, v23, v14
	v_add_f32_e32 v31, v32, v28
	v_add_f32_e32 v14, v26, v20
	;; [unrolled: 1-line block ×3, first 2 shown]
	ds_read2_b64 v[26:29], v12 offset0:224 offset1:240
	v_mul_f32_e32 v20, v23, v17
	v_fma_f32 v20, v22, v16, -v20
	v_mul_f32_e32 v17, v22, v17
	v_fmac_f32_e32 v17, v23, v16
	v_add_f32_e32 v16, v18, v20
	s_waitcnt lgkmcnt(0)
	v_mul_f32_e32 v18, v45, v27
	v_fma_f32 v18, v44, v26, -v18
	v_add_f32_e32 v20, v7, v18
	v_mul_f32_e32 v7, v45, v29
	v_fma_f32 v7, v44, v28, -v7
	v_add_f32_e32 v17, v19, v17
	v_mul_f32_e32 v19, v44, v27
	v_add_f32_e32 v18, v30, v7
	v_mul_f32_e32 v7, v25, v27
	v_mul_f32_e32 v22, v24, v27
	v_fmac_f32_e32 v19, v45, v26
	v_fma_f32 v7, v24, v26, -v7
	v_fmac_f32_e32 v22, v25, v26
	v_add_f32_e32 v21, v21, v19
	v_mul_f32_e32 v19, v44, v29
	v_add_f32_e32 v14, v14, v7
	v_add_f32_e32 v15, v15, v22
	v_mul_f32_e32 v7, v25, v29
	v_mul_f32_e32 v22, v24, v29
	v_fmac_f32_e32 v19, v45, v28
	v_fma_f32 v7, v24, v28, -v7
	v_fmac_f32_e32 v22, v25, v28
	s_add_i32 s27, s27, 8
	v_add_co_u32_e32 v4, vcc, 64, v4
	v_add_f32_e32 v19, v31, v19
	v_add_f32_e32 v16, v16, v7
	;; [unrolled: 1-line block ×3, first 2 shown]
	s_cmp_ge_i32 s27, s11
	v_addc_co_u32_e32 v5, vcc, 0, v5, vcc
	s_barrier
	s_cbranch_scc1 .LBB377_12
.LBB377_3:                              ; =>This Inner Loop Header: Depth=1
	v_add_u32_e32 v7, s27, v9
	v_cmp_le_i32_e32 vcc, s11, v7
	s_or_b64 s[6:7], s[2:3], vcc
	s_and_saveexec_b64 s[12:13], s[6:7]
	s_xor_b64 s[6:7], exec, s[12:13]
; %bb.4:                                ;   in Loop: Header=BB377_3 Depth=1
	ds_write_b32 v10, v6
; %bb.5:                                ;   in Loop: Header=BB377_3 Depth=1
	s_or_saveexec_b64 s[6:7], s[6:7]
	v_mov_b32_e32 v7, 0
	s_xor_b64 exec, exec, s[6:7]
	s_cbranch_execz .LBB377_7
; %bb.6:                                ;   in Loop: Header=BB377_3 Depth=1
	global_load_dwordx2 v[22:23], v[2:3], off offset:-4
	s_waitcnt vmcnt(0)
	v_xor_b32_e32 v7, 0x80000000, v23
	ds_write_b32 v10, v22
.LBB377_7:                              ;   in Loop: Header=BB377_3 Depth=1
	s_or_b64 exec, exec, s[6:7]
	ds_write_b32 v10, v7 offset:4
	v_add_u32_e32 v7, s27, v8
	v_cmp_le_i32_e32 vcc, s11, v7
	s_or_b64 s[6:7], vcc, s[0:1]
	s_and_saveexec_b64 s[12:13], s[6:7]
	s_xor_b64 s[6:7], exec, s[12:13]
; %bb.8:                                ;   in Loop: Header=BB377_3 Depth=1
	v_mov_b32_e32 v7, v6
	ds_write_b64 v11, v[6:7]
; %bb.9:                                ;   in Loop: Header=BB377_3 Depth=1
	s_andn2_saveexec_b64 s[6:7], s[6:7]
	s_cbranch_execz .LBB377_2
; %bb.10:                               ;   in Loop: Header=BB377_3 Depth=1
	global_load_dwordx2 v[22:23], v[4:5], off
	s_waitcnt vmcnt(0)
	ds_write_b64 v11, v[22:23]
	s_branch .LBB377_2
.LBB377_11:
	v_mov_b32_e32 v20, 0
	v_mov_b32_e32 v21, 0
	;; [unrolled: 1-line block ×8, first 2 shown]
.LBB377_12:
	s_load_dwordx2 s[0:1], s[4:5], 0x58
	s_load_dword s6, s[4:5], 0x50
	v_add_u32_e32 v5, s26, v1
	v_add_u32_e32 v0, s9, v0
	s_waitcnt lgkmcnt(0)
	s_mul_i32 s1, s1, s8
	s_mul_hi_u32 s2, s0, s8
	s_add_i32 s1, s2, s1
	v_mad_i64_i32 v[1:2], s[2:3], v5, s6, 0
	s_mul_i32 s0, s0, s8
	s_lshl_b64 s[0:1], s[0:1], 3
	s_add_u32 s7, s24, s0
	v_lshlrev_b64 v[1:2], 3, v[1:2]
	s_addc_u32 s8, s25, s1
	v_mov_b32_e32 v3, s8
	v_add_co_u32_e32 v4, vcc, s7, v1
	v_addc_co_u32_e32 v6, vcc, v3, v2, vcc
	v_cmp_le_i32_e64 s[0:1], v5, v0
	v_cmp_gt_i32_e32 vcc, s10, v0
	s_and_b64 s[0:1], s[0:1], vcc
	s_and_saveexec_b64 s[2:3], s[0:1]
	s_cbranch_execz .LBB377_15
; %bb.13:
	v_ashrrev_i32_e32 v1, 31, v0
	v_lshlrev_b64 v[1:2], 3, v[0:1]
	v_mul_f32_e32 v3, s17, v21
	v_add_co_u32_e64 v1, s[0:1], v4, v1
	v_addc_co_u32_e64 v2, s[0:1], v6, v2, s[0:1]
	global_load_dwordx2 v[7:8], v[1:2], off
	v_mul_f32_e32 v9, s16, v21
	v_fma_f32 v3, v20, s16, -v3
	v_fmac_f32_e32 v9, s17, v20
	v_cmp_eq_u32_e64 s[0:1], v5, v0
	s_waitcnt vmcnt(0)
	v_mul_f32_e32 v10, s15, v8
	v_mul_f32_e32 v8, s14, v8
	v_fma_f32 v10, v7, s14, -v10
	v_fmac_f32_e32 v8, s15, v7
	v_add_f32_e32 v7, v3, v10
	v_add_f32_e32 v8, v9, v8
	global_store_dwordx2 v[1:2], v[7:8], off
	s_and_b64 exec, exec, s[0:1]
	s_cbranch_execz .LBB377_15
; %bb.14:
	v_mov_b32_e32 v3, 0
	global_store_dword v[1:2], v3, off offset:4
.LBB377_15:
	s_or_b64 exec, exec, s[2:3]
	v_add_u32_e32 v2, 16, v0
	v_cmp_le_i32_e64 s[2:3], v5, v2
	v_cmp_gt_i32_e64 s[0:1], s10, v2
	s_and_b64 s[2:3], s[2:3], s[0:1]
	s_and_saveexec_b64 s[4:5], s[2:3]
	s_cbranch_execz .LBB377_18
; %bb.16:
	v_ashrrev_i32_e32 v3, 31, v2
	v_lshlrev_b64 v[7:8], 3, v[2:3]
	v_mul_f32_e32 v1, s17, v19
	v_add_co_u32_e64 v3, s[2:3], v4, v7
	v_addc_co_u32_e64 v4, s[2:3], v6, v8, s[2:3]
	global_load_dwordx2 v[6:7], v[3:4], off
	v_mul_f32_e32 v8, s16, v19
	v_fma_f32 v1, v18, s16, -v1
	v_fmac_f32_e32 v8, s17, v18
	v_cmp_eq_u32_e64 s[2:3], v5, v2
	s_waitcnt vmcnt(0)
	v_mul_f32_e32 v9, s15, v7
	v_mul_f32_e32 v7, s14, v7
	v_fma_f32 v9, v6, s14, -v9
	v_fmac_f32_e32 v7, s15, v6
	v_add_f32_e32 v6, v1, v9
	v_add_f32_e32 v7, v8, v7
	global_store_dwordx2 v[3:4], v[6:7], off
	s_and_b64 exec, exec, s[2:3]
	s_cbranch_execz .LBB377_18
; %bb.17:
	v_mov_b32_e32 v1, 0
	global_store_dword v[3:4], v1, off offset:4
.LBB377_18:
	s_or_b64 exec, exec, s[4:5]
	v_add_u32_e32 v8, 16, v5
	v_mad_i64_i32 v[3:4], s[2:3], v8, s6, 0
	v_mov_b32_e32 v1, s8
	v_lshlrev_b64 v[3:4], 3, v[3:4]
	v_add_co_u32_e64 v6, s[2:3], s7, v3
	v_addc_co_u32_e64 v7, s[2:3], v1, v4, s[2:3]
	v_cmp_le_i32_e64 s[2:3], v8, v0
	s_and_b64 s[4:5], s[2:3], vcc
	s_and_saveexec_b64 s[2:3], s[4:5]
	s_cbranch_execz .LBB377_21
; %bb.19:
	v_ashrrev_i32_e32 v1, 31, v0
	v_lshlrev_b64 v[3:4], 3, v[0:1]
	v_mul_f32_e32 v1, s17, v15
	v_add_co_u32_e32 v3, vcc, v6, v3
	v_addc_co_u32_e32 v4, vcc, v7, v4, vcc
	global_load_dwordx2 v[9:10], v[3:4], off
	v_mul_f32_e32 v11, s16, v15
	v_fma_f32 v1, v14, s16, -v1
	v_fmac_f32_e32 v11, s17, v14
	v_cmp_eq_u32_e32 vcc, v8, v0
	s_waitcnt vmcnt(0)
	v_mul_f32_e32 v12, s15, v10
	v_mul_f32_e32 v10, s14, v10
	v_fma_f32 v12, v9, s14, -v12
	v_fmac_f32_e32 v10, s15, v9
	v_add_f32_e32 v9, v1, v12
	v_add_f32_e32 v10, v11, v10
	global_store_dwordx2 v[3:4], v[9:10], off
	s_and_b64 exec, exec, vcc
	s_cbranch_execz .LBB377_21
; %bb.20:
	v_mov_b32_e32 v1, 0
	global_store_dword v[3:4], v1, off offset:4
.LBB377_21:
	s_or_b64 exec, exec, s[2:3]
	v_cmp_le_i32_e32 vcc, v8, v2
	s_and_b64 s[0:1], vcc, s[0:1]
	s_and_saveexec_b64 s[2:3], s[0:1]
	s_cbranch_execz .LBB377_24
; %bb.22:
	v_ashrrev_i32_e32 v3, 31, v2
	v_lshlrev_b64 v[1:2], 3, v[2:3]
	v_add_co_u32_e32 v1, vcc, v6, v1
	v_addc_co_u32_e32 v2, vcc, v7, v2, vcc
	global_load_dwordx2 v[3:4], v[1:2], off
	v_mul_f32_e32 v6, s17, v17
	v_mul_f32_e32 v7, s16, v17
	v_fma_f32 v6, v16, s16, -v6
	v_fmac_f32_e32 v7, s17, v16
	v_cmp_eq_u32_e32 vcc, v5, v0
	s_waitcnt vmcnt(0)
	v_mul_f32_e32 v8, s15, v4
	v_mul_f32_e32 v4, s14, v4
	v_fma_f32 v8, v3, s14, -v8
	v_fmac_f32_e32 v4, s15, v3
	v_add_f32_e32 v3, v6, v8
	v_add_f32_e32 v4, v7, v4
	global_store_dwordx2 v[1:2], v[3:4], off
	s_and_b64 exec, exec, vcc
	s_cbranch_execz .LBB377_24
; %bb.23:
	v_mov_b32_e32 v0, 0
	global_store_dword v[1:2], v0, off offset:4
.LBB377_24:
	s_endpgm
	.section	.rodata,"a",@progbits
	.p2align	6, 0x0
	.amdhsa_kernel _ZL34rocblas_syrkx_herkx_general_kernelIi19rocblas_complex_numIfELi16ELi32ELi8ELb0ELb1ELc67ELc76EKS1_S1_EviT_T0_PT8_S3_lS6_S3_lS4_PT9_S3_li
		.amdhsa_group_segment_fixed_size 4096
		.amdhsa_private_segment_fixed_size 0
		.amdhsa_kernarg_size 100
		.amdhsa_user_sgpr_count 6
		.amdhsa_user_sgpr_private_segment_buffer 1
		.amdhsa_user_sgpr_dispatch_ptr 0
		.amdhsa_user_sgpr_queue_ptr 0
		.amdhsa_user_sgpr_kernarg_segment_ptr 1
		.amdhsa_user_sgpr_dispatch_id 0
		.amdhsa_user_sgpr_flat_scratch_init 0
		.amdhsa_user_sgpr_private_segment_size 0
		.amdhsa_uses_dynamic_stack 0
		.amdhsa_system_sgpr_private_segment_wavefront_offset 0
		.amdhsa_system_sgpr_workgroup_id_x 1
		.amdhsa_system_sgpr_workgroup_id_y 1
		.amdhsa_system_sgpr_workgroup_id_z 1
		.amdhsa_system_sgpr_workgroup_info 0
		.amdhsa_system_vgpr_workitem_id 1
		.amdhsa_next_free_vgpr 48
		.amdhsa_next_free_sgpr 28
		.amdhsa_reserve_vcc 1
		.amdhsa_reserve_flat_scratch 0
		.amdhsa_float_round_mode_32 0
		.amdhsa_float_round_mode_16_64 0
		.amdhsa_float_denorm_mode_32 3
		.amdhsa_float_denorm_mode_16_64 3
		.amdhsa_dx10_clamp 1
		.amdhsa_ieee_mode 1
		.amdhsa_fp16_overflow 0
		.amdhsa_exception_fp_ieee_invalid_op 0
		.amdhsa_exception_fp_denorm_src 0
		.amdhsa_exception_fp_ieee_div_zero 0
		.amdhsa_exception_fp_ieee_overflow 0
		.amdhsa_exception_fp_ieee_underflow 0
		.amdhsa_exception_fp_ieee_inexact 0
		.amdhsa_exception_int_div_zero 0
	.end_amdhsa_kernel
	.section	.text._ZL34rocblas_syrkx_herkx_general_kernelIi19rocblas_complex_numIfELi16ELi32ELi8ELb0ELb1ELc67ELc76EKS1_S1_EviT_T0_PT8_S3_lS6_S3_lS4_PT9_S3_li,"axG",@progbits,_ZL34rocblas_syrkx_herkx_general_kernelIi19rocblas_complex_numIfELi16ELi32ELi8ELb0ELb1ELc67ELc76EKS1_S1_EviT_T0_PT8_S3_lS6_S3_lS4_PT9_S3_li,comdat
.Lfunc_end377:
	.size	_ZL34rocblas_syrkx_herkx_general_kernelIi19rocblas_complex_numIfELi16ELi32ELi8ELb0ELb1ELc67ELc76EKS1_S1_EviT_T0_PT8_S3_lS6_S3_lS4_PT9_S3_li, .Lfunc_end377-_ZL34rocblas_syrkx_herkx_general_kernelIi19rocblas_complex_numIfELi16ELi32ELi8ELb0ELb1ELc67ELc76EKS1_S1_EviT_T0_PT8_S3_lS6_S3_lS4_PT9_S3_li
                                        ; -- End function
	.set _ZL34rocblas_syrkx_herkx_general_kernelIi19rocblas_complex_numIfELi16ELi32ELi8ELb0ELb1ELc67ELc76EKS1_S1_EviT_T0_PT8_S3_lS6_S3_lS4_PT9_S3_li.num_vgpr, 48
	.set _ZL34rocblas_syrkx_herkx_general_kernelIi19rocblas_complex_numIfELi16ELi32ELi8ELb0ELb1ELc67ELc76EKS1_S1_EviT_T0_PT8_S3_lS6_S3_lS4_PT9_S3_li.num_agpr, 0
	.set _ZL34rocblas_syrkx_herkx_general_kernelIi19rocblas_complex_numIfELi16ELi32ELi8ELb0ELb1ELc67ELc76EKS1_S1_EviT_T0_PT8_S3_lS6_S3_lS4_PT9_S3_li.numbered_sgpr, 28
	.set _ZL34rocblas_syrkx_herkx_general_kernelIi19rocblas_complex_numIfELi16ELi32ELi8ELb0ELb1ELc67ELc76EKS1_S1_EviT_T0_PT8_S3_lS6_S3_lS4_PT9_S3_li.num_named_barrier, 0
	.set _ZL34rocblas_syrkx_herkx_general_kernelIi19rocblas_complex_numIfELi16ELi32ELi8ELb0ELb1ELc67ELc76EKS1_S1_EviT_T0_PT8_S3_lS6_S3_lS4_PT9_S3_li.private_seg_size, 0
	.set _ZL34rocblas_syrkx_herkx_general_kernelIi19rocblas_complex_numIfELi16ELi32ELi8ELb0ELb1ELc67ELc76EKS1_S1_EviT_T0_PT8_S3_lS6_S3_lS4_PT9_S3_li.uses_vcc, 1
	.set _ZL34rocblas_syrkx_herkx_general_kernelIi19rocblas_complex_numIfELi16ELi32ELi8ELb0ELb1ELc67ELc76EKS1_S1_EviT_T0_PT8_S3_lS6_S3_lS4_PT9_S3_li.uses_flat_scratch, 0
	.set _ZL34rocblas_syrkx_herkx_general_kernelIi19rocblas_complex_numIfELi16ELi32ELi8ELb0ELb1ELc67ELc76EKS1_S1_EviT_T0_PT8_S3_lS6_S3_lS4_PT9_S3_li.has_dyn_sized_stack, 0
	.set _ZL34rocblas_syrkx_herkx_general_kernelIi19rocblas_complex_numIfELi16ELi32ELi8ELb0ELb1ELc67ELc76EKS1_S1_EviT_T0_PT8_S3_lS6_S3_lS4_PT9_S3_li.has_recursion, 0
	.set _ZL34rocblas_syrkx_herkx_general_kernelIi19rocblas_complex_numIfELi16ELi32ELi8ELb0ELb1ELc67ELc76EKS1_S1_EviT_T0_PT8_S3_lS6_S3_lS4_PT9_S3_li.has_indirect_call, 0
	.section	.AMDGPU.csdata,"",@progbits
; Kernel info:
; codeLenInByte = 2428
; TotalNumSgprs: 32
; NumVgprs: 48
; ScratchSize: 0
; MemoryBound: 1
; FloatMode: 240
; IeeeMode: 1
; LDSByteSize: 4096 bytes/workgroup (compile time only)
; SGPRBlocks: 3
; VGPRBlocks: 11
; NumSGPRsForWavesPerEU: 32
; NumVGPRsForWavesPerEU: 48
; Occupancy: 5
; WaveLimiterHint : 0
; COMPUTE_PGM_RSRC2:SCRATCH_EN: 0
; COMPUTE_PGM_RSRC2:USER_SGPR: 6
; COMPUTE_PGM_RSRC2:TRAP_HANDLER: 0
; COMPUTE_PGM_RSRC2:TGID_X_EN: 1
; COMPUTE_PGM_RSRC2:TGID_Y_EN: 1
; COMPUTE_PGM_RSRC2:TGID_Z_EN: 1
; COMPUTE_PGM_RSRC2:TIDIG_COMP_CNT: 1
	.section	.text._ZL34rocblas_syrkx_herkx_general_kernelIi19rocblas_complex_numIfELi16ELi32ELi8ELb0ELb1ELc78ELc76EKS1_S1_EviT_T0_PT8_S3_lS6_S3_lS4_PT9_S3_li,"axG",@progbits,_ZL34rocblas_syrkx_herkx_general_kernelIi19rocblas_complex_numIfELi16ELi32ELi8ELb0ELb1ELc78ELc76EKS1_S1_EviT_T0_PT8_S3_lS6_S3_lS4_PT9_S3_li,comdat
	.globl	_ZL34rocblas_syrkx_herkx_general_kernelIi19rocblas_complex_numIfELi16ELi32ELi8ELb0ELb1ELc78ELc76EKS1_S1_EviT_T0_PT8_S3_lS6_S3_lS4_PT9_S3_li ; -- Begin function _ZL34rocblas_syrkx_herkx_general_kernelIi19rocblas_complex_numIfELi16ELi32ELi8ELb0ELb1ELc78ELc76EKS1_S1_EviT_T0_PT8_S3_lS6_S3_lS4_PT9_S3_li
	.p2align	8
	.type	_ZL34rocblas_syrkx_herkx_general_kernelIi19rocblas_complex_numIfELi16ELi32ELi8ELb0ELb1ELc78ELc76EKS1_S1_EviT_T0_PT8_S3_lS6_S3_lS4_PT9_S3_li,@function
_ZL34rocblas_syrkx_herkx_general_kernelIi19rocblas_complex_numIfELi16ELi32ELi8ELb0ELb1ELc78ELc76EKS1_S1_EviT_T0_PT8_S3_lS6_S3_lS4_PT9_S3_li: ; @_ZL34rocblas_syrkx_herkx_general_kernelIi19rocblas_complex_numIfELi16ELi32ELi8ELb0ELb1ELc78ELc76EKS1_S1_EviT_T0_PT8_S3_lS6_S3_lS4_PT9_S3_li
; %bb.0:
	s_load_dwordx2 s[10:11], s[4:5], 0x0
	s_load_dwordx4 s[16:19], s[4:5], 0x8
	s_load_dwordx4 s[12:15], s[4:5], 0x38
	s_load_dwordx2 s[24:25], s[4:5], 0x48
	s_lshl_b32 s9, s6, 5
	s_lshl_b32 s26, s7, 5
	s_waitcnt lgkmcnt(0)
	s_cmp_lt_i32 s11, 1
	s_mov_b32 s27, 0
	s_cbranch_scc1 .LBB378_11
; %bb.1:
	v_lshl_add_u32 v2, v1, 4, v0
	v_and_b32_e32 v6, 31, v2
	v_lshrrev_b32_e32 v9, 5, v2
	v_lshrrev_b32_e32 v3, 3, v2
	v_or_b32_e32 v2, s9, v6
	s_load_dword s6, s[4:5], 0x18
	s_load_dword s28, s[4:5], 0x30
	s_load_dwordx4 s[20:23], s[4:5], 0x20
	v_and_b32_e32 v8, 7, v0
	v_cmp_gt_i32_e32 vcc, s10, v2
	v_lshlrev_b32_e32 v2, 3, v6
	v_lshl_or_b32 v10, v9, 8, v2
	v_lshlrev_b32_e32 v2, 3, v8
	v_lshl_or_b32 v2, v3, 6, v2
	v_add_u32_e32 v4, s26, v3
	v_add_u32_e32 v11, 0x800, v2
	s_waitcnt lgkmcnt(0)
	v_mad_i64_i32 v[2:3], s[2:3], v9, s6, 0
	s_mul_i32 s2, s21, s8
	s_mul_hi_u32 s3, s20, s8
	v_lshlrev_b64 v[2:3], 3, v[2:3]
	s_add_i32 s3, s3, s2
	s_mul_i32 s2, s20, s8
	v_mov_b32_e32 v7, 0x800
	s_lshl_b64 s[2:3], s[2:3], 3
	v_lshl_add_u32 v13, v1, 6, v7
	v_mov_b32_e32 v7, s3
	v_add_co_u32_e64 v14, s[2:3], s2, v2
	v_add_u32_e32 v2, s9, v6
	v_addc_co_u32_e64 v7, s[2:3], v3, v7, s[2:3]
	v_ashrrev_i32_e32 v3, 31, v2
	v_lshlrev_b64 v[2:3], 3, v[2:3]
	v_mov_b32_e32 v6, s19
	v_add_co_u32_e64 v2, s[2:3], v14, v2
	v_addc_co_u32_e64 v3, s[2:3], v7, v3, s[2:3]
	v_add_co_u32_e64 v2, s[2:3], s18, v2
	v_addc_co_u32_e64 v3, s[2:3], v6, v3, s[2:3]
	v_mad_i64_i32 v[6:7], s[2:3], s28, v8, 0
	s_mul_i32 s13, s13, s8
	s_mul_hi_u32 s18, s12, s8
	s_add_i32 s3, s18, s13
	s_mul_i32 s2, s12, s8
	v_lshlrev_b64 v[6:7], 3, v[6:7]
	v_ashrrev_i32_e32 v5, 31, v4
	s_lshl_b64 s[2:3], s[2:3], 3
	v_cmp_gt_i32_e64 s[0:1], s10, v4
	v_mov_b32_e32 v14, s3
	v_add_co_u32_e64 v6, s[2:3], s2, v6
	v_lshlrev_b64 v[4:5], 3, v[4:5]
	v_addc_co_u32_e64 v7, s[2:3], v14, v7, s[2:3]
	v_add_co_u32_e64 v4, s[2:3], v6, v4
	v_addc_co_u32_e64 v5, s[2:3], v7, v5, s[2:3]
	v_mov_b32_e32 v6, s23
	v_add_co_u32_e64 v4, s[2:3], s22, v4
	v_addc_co_u32_e64 v5, s[2:3], v6, v5, s[2:3]
	v_add_co_u32_e64 v4, s[2:3], 4, v4
	s_ashr_i32 s7, s6, 31
	s_ashr_i32 s29, s28, 31
	v_addc_co_u32_e64 v5, s[2:3], 0, v5, s[2:3]
	s_lshl_b64 s[6:7], s[6:7], 6
	s_lshl_b64 s[2:3], s[28:29], 6
	v_lshlrev_b32_e32 v12, 3, v0
	s_xor_b64 s[12:13], vcc, -1
	s_xor_b64 s[0:1], s[0:1], -1
	v_mov_b32_e32 v14, s7
	v_mov_b32_e32 v15, s3
	;; [unrolled: 1-line block ×11, first 2 shown]
	s_branch .LBB378_3
.LBB378_2:                              ;   in Loop: Header=BB378_3 Depth=1
	s_or_b64 exec, exec, s[18:19]
	ds_write_b32 v11, v7 offset:4
	s_waitcnt lgkmcnt(0)
	s_barrier
	ds_read2_b64 v[24:27], v12 offset1:16
	ds_read_b128 v[28:31], v13
	ds_read_b128 v[32:35], v13 offset:16
	ds_read2_b64 v[40:43], v12 offset0:32 offset1:48
	v_add_co_u32_e32 v2, vcc, s6, v2
	s_waitcnt lgkmcnt(2)
	v_mul_f32_e32 v36, v28, v25
	v_fmac_f32_e32 v36, v29, v24
	v_add_f32_e32 v44, v22, v36
	ds_read_b128 v[36:39], v13 offset:1024
	v_mul_f32_e32 v7, v29, v25
	v_fma_f32 v7, v28, v24, -v7
	v_add_f32_e32 v7, v20, v7
	v_mul_f32_e32 v20, v29, v27
	v_mul_f32_e32 v22, v28, v27
	v_fma_f32 v20, v28, v26, -v20
	v_fmac_f32_e32 v22, v29, v26
	v_add_f32_e32 v45, v21, v20
	v_add_f32_e32 v46, v23, v22
	ds_read_b128 v[20:23], v13 offset:1040
	s_waitcnt lgkmcnt(1)
	v_mul_f32_e32 v28, v37, v25
	v_fma_f32 v28, v36, v24, -v28
	v_mul_f32_e32 v47, v36, v25
	v_add_f32_e32 v48, v18, v28
	v_mul_f32_e32 v18, v37, v27
	v_fmac_f32_e32 v47, v37, v24
	v_fma_f32 v18, v36, v26, -v18
	v_mul_f32_e32 v36, v36, v27
	v_mul_f32_e32 v24, v31, v41
	v_fmac_f32_e32 v36, v37, v26
	v_fma_f32 v37, v30, v40, -v24
	v_mul_f32_e32 v24, v31, v43
	v_fma_f32 v50, v30, v42, -v24
	v_mul_f32_e32 v24, v39, v41
	v_mul_f32_e32 v49, v30, v41
	v_fma_f32 v52, v38, v40, -v24
	v_mul_f32_e32 v41, v38, v41
	v_mul_f32_e32 v24, v39, v43
	v_fmac_f32_e32 v49, v31, v40
	v_mul_f32_e32 v51, v30, v43
	v_fmac_f32_e32 v41, v39, v40
	v_fma_f32 v40, v38, v42, -v24
	v_mul_f32_e32 v38, v38, v43
	v_fmac_f32_e32 v51, v31, v42
	v_fmac_f32_e32 v38, v39, v42
	ds_read_b128 v[24:27], v13 offset:32
	ds_read_b128 v[28:31], v13 offset:48
	v_add_f32_e32 v39, v16, v47
	v_add_f32_e32 v42, v17, v18
	;; [unrolled: 1-line block ×3, first 2 shown]
	ds_read2_b64 v[16:19], v12 offset0:64 offset1:80
	v_add_f32_e32 v39, v39, v41
	v_add_f32_e32 v41, v36, v38
	;; [unrolled: 1-line block ×4, first 2 shown]
	s_waitcnt lgkmcnt(0)
	v_mul_f32_e32 v36, v33, v17
	v_fma_f32 v36, v32, v16, -v36
	v_add_f32_e32 v7, v7, v36
	v_mul_f32_e32 v36, v33, v19
	v_mul_f32_e32 v38, v32, v17
	v_fma_f32 v36, v32, v18, -v36
	v_mul_f32_e32 v32, v32, v19
	v_fmac_f32_e32 v38, v33, v16
	v_fmac_f32_e32 v32, v33, v18
	v_add_f32_e32 v33, v43, v36
	v_mul_f32_e32 v36, v21, v17
	v_add_f32_e32 v45, v48, v52
	v_fma_f32 v36, v20, v16, -v36
	v_mul_f32_e32 v17, v20, v17
	v_add_f32_e32 v37, v44, v49
	v_fmac_f32_e32 v17, v21, v16
	v_add_f32_e32 v16, v45, v36
	v_mul_f32_e32 v36, v21, v19
	v_add_f32_e32 v40, v42, v40
	v_add_f32_e32 v42, v37, v38
	;; [unrolled: 1-line block ×3, first 2 shown]
	v_fma_f32 v43, v20, v18, -v36
	ds_read2_b64 v[36:39], v12 offset0:96 offset1:112
	v_mul_f32_e32 v19, v20, v19
	v_fmac_f32_e32 v19, v21, v18
	v_add_f32_e32 v21, v41, v19
	v_add_f32_e32 v44, v46, v51
	s_waitcnt lgkmcnt(0)
	v_mul_f32_e32 v18, v35, v37
	v_fma_f32 v18, v34, v36, -v18
	v_mul_f32_e32 v19, v34, v37
	v_fmac_f32_e32 v19, v35, v36
	v_add_f32_e32 v7, v7, v18
	v_mul_f32_e32 v18, v35, v39
	v_add_f32_e32 v20, v40, v43
	v_add_f32_e32 v40, v42, v19
	v_fma_f32 v18, v34, v38, -v18
	v_mul_f32_e32 v19, v34, v39
	v_add_f32_e32 v32, v44, v32
	v_fmac_f32_e32 v19, v35, v38
	v_add_f32_e32 v33, v33, v18
	v_mul_f32_e32 v18, v23, v37
	v_add_f32_e32 v32, v32, v19
	v_fma_f32 v18, v22, v36, -v18
	v_mul_f32_e32 v19, v22, v37
	v_fmac_f32_e32 v19, v23, v36
	v_add_f32_e32 v36, v16, v18
	v_mul_f32_e32 v16, v23, v39
	v_add_f32_e32 v37, v17, v19
	v_fma_f32 v34, v22, v38, -v16
	ds_read2_b64 v[16:19], v12 offset0:128 offset1:144
	v_mul_f32_e32 v22, v22, v39
	v_fmac_f32_e32 v22, v23, v38
	v_add_f32_e32 v41, v20, v34
	v_add_f32_e32 v42, v21, v22
	s_waitcnt lgkmcnt(0)
	v_mul_f32_e32 v20, v25, v17
	v_fma_f32 v20, v24, v16, -v20
	v_mul_f32_e32 v21, v24, v17
	v_fmac_f32_e32 v21, v25, v16
	v_add_f32_e32 v7, v7, v20
	v_mul_f32_e32 v20, v25, v19
	v_add_f32_e32 v40, v40, v21
	v_fma_f32 v34, v24, v18, -v20
	ds_read_b128 v[20:23], v13 offset:1056
	v_mul_f32_e32 v24, v24, v19
	v_fmac_f32_e32 v24, v25, v18
	v_add_f32_e32 v25, v33, v34
	v_add_f32_e32 v24, v32, v24
	ds_read_b128 v[32:35], v13 offset:1072
	s_waitcnt lgkmcnt(1)
	v_mul_f32_e32 v38, v21, v17
	v_fma_f32 v38, v20, v16, -v38
	v_mul_f32_e32 v17, v20, v17
	v_fmac_f32_e32 v17, v21, v16
	v_add_f32_e32 v16, v36, v38
	v_mul_f32_e32 v36, v21, v19
	v_add_f32_e32 v17, v37, v17
	v_fma_f32 v43, v20, v18, -v36
	ds_read2_b64 v[36:39], v12 offset0:160 offset1:176
	v_mul_f32_e32 v19, v20, v19
	v_fmac_f32_e32 v19, v21, v18
	v_add_f32_e32 v21, v42, v19
	v_add_f32_e32 v20, v41, v43
	s_waitcnt lgkmcnt(0)
	v_mul_f32_e32 v18, v27, v37
	v_fma_f32 v18, v26, v36, -v18
	v_mul_f32_e32 v19, v26, v37
	v_fmac_f32_e32 v19, v27, v36
	v_add_f32_e32 v7, v7, v18
	v_mul_f32_e32 v18, v27, v39
	v_add_f32_e32 v40, v40, v19
	v_fma_f32 v18, v26, v38, -v18
	v_mul_f32_e32 v19, v26, v39
	v_fmac_f32_e32 v19, v27, v38
	v_add_f32_e32 v25, v25, v18
	v_mul_f32_e32 v18, v23, v37
	v_add_f32_e32 v24, v24, v19
	;; [unrolled: 6-line block ×3, first 2 shown]
	v_fma_f32 v36, v22, v38, -v16
	ds_read2_b64 v[16:19], v12 offset0:192 offset1:208
	v_mul_f32_e32 v22, v22, v39
	v_fmac_f32_e32 v22, v23, v38
	v_add_f32_e32 v21, v21, v22
	v_add_f32_e32 v20, v20, v36
	s_waitcnt lgkmcnt(0)
	v_mul_f32_e32 v22, v29, v17
	v_mul_f32_e32 v23, v28, v17
	v_fma_f32 v22, v28, v16, -v22
	v_fmac_f32_e32 v23, v29, v16
	v_add_f32_e32 v7, v7, v22
	v_add_f32_e32 v22, v40, v23
	v_mul_f32_e32 v23, v29, v19
	v_fma_f32 v23, v28, v18, -v23
	v_mul_f32_e32 v28, v28, v19
	v_fmac_f32_e32 v28, v29, v18
	v_add_f32_e32 v28, v24, v28
	v_mul_f32_e32 v24, v33, v17
	v_fma_f32 v24, v32, v16, -v24
	v_mul_f32_e32 v17, v32, v17
	v_fmac_f32_e32 v17, v33, v16
	v_add_f32_e32 v16, v26, v24
	v_mul_f32_e32 v24, v33, v19
	v_add_f32_e32 v23, v25, v23
	v_add_f32_e32 v17, v27, v17
	v_fma_f32 v29, v32, v18, -v24
	ds_read2_b64 v[24:27], v12 offset0:224 offset1:240
	v_mul_f32_e32 v19, v32, v19
	v_fmac_f32_e32 v19, v33, v18
	v_add_f32_e32 v29, v20, v29
	v_add_f32_e32 v19, v21, v19
	s_waitcnt lgkmcnt(0)
	v_mul_f32_e32 v18, v31, v25
	v_fma_f32 v18, v30, v24, -v18
	v_mul_f32_e32 v21, v30, v25
	v_add_f32_e32 v20, v7, v18
	v_mul_f32_e32 v7, v31, v27
	v_fmac_f32_e32 v21, v31, v24
	v_fma_f32 v7, v30, v26, -v7
	v_add_f32_e32 v22, v22, v21
	v_mul_f32_e32 v18, v30, v27
	v_add_f32_e32 v21, v23, v7
	v_mul_f32_e32 v7, v35, v25
	v_fmac_f32_e32 v18, v31, v26
	v_fma_f32 v7, v34, v24, -v7
	v_mul_f32_e32 v25, v34, v25
	v_add_f32_e32 v23, v28, v18
	v_fmac_f32_e32 v25, v35, v24
	v_add_f32_e32 v18, v16, v7
	v_mul_f32_e32 v7, v35, v27
	v_mul_f32_e32 v24, v34, v27
	v_addc_co_u32_e32 v3, vcc, v3, v14, vcc
	v_fma_f32 v7, v34, v26, -v7
	v_fmac_f32_e32 v24, v35, v26
	s_add_i32 s27, s27, 8
	v_add_co_u32_e32 v4, vcc, s2, v4
	v_add_f32_e32 v16, v17, v25
	v_add_f32_e32 v17, v29, v7
	;; [unrolled: 1-line block ×3, first 2 shown]
	s_cmp_ge_i32 s27, s11
	v_addc_co_u32_e32 v5, vcc, v5, v15, vcc
	s_barrier
	s_cbranch_scc1 .LBB378_12
.LBB378_3:                              ; =>This Inner Loop Header: Depth=1
	v_add_u32_e32 v7, s27, v9
	v_cmp_le_i32_e32 vcc, s11, v7
	s_or_b64 s[18:19], s[12:13], vcc
	s_and_saveexec_b64 s[20:21], s[18:19]
	s_xor_b64 s[18:19], exec, s[20:21]
; %bb.4:                                ;   in Loop: Header=BB378_3 Depth=1
	v_mov_b32_e32 v7, v6
	ds_write_b64 v10, v[6:7]
; %bb.5:                                ;   in Loop: Header=BB378_3 Depth=1
	s_andn2_saveexec_b64 s[18:19], s[18:19]
	s_cbranch_execz .LBB378_7
; %bb.6:                                ;   in Loop: Header=BB378_3 Depth=1
	global_load_dwordx2 v[24:25], v[2:3], off
	s_waitcnt vmcnt(0)
	ds_write_b64 v10, v[24:25]
.LBB378_7:                              ;   in Loop: Header=BB378_3 Depth=1
	s_or_b64 exec, exec, s[18:19]
	v_add_u32_e32 v7, s27, v8
	v_cmp_le_i32_e32 vcc, s11, v7
	s_or_b64 s[18:19], vcc, s[0:1]
	s_and_saveexec_b64 s[20:21], s[18:19]
	s_xor_b64 s[18:19], exec, s[20:21]
; %bb.8:                                ;   in Loop: Header=BB378_3 Depth=1
	ds_write_b32 v11, v6
; %bb.9:                                ;   in Loop: Header=BB378_3 Depth=1
	s_or_saveexec_b64 s[18:19], s[18:19]
	v_mov_b32_e32 v7, 0
	s_xor_b64 exec, exec, s[18:19]
	s_cbranch_execz .LBB378_2
; %bb.10:                               ;   in Loop: Header=BB378_3 Depth=1
	global_load_dwordx2 v[24:25], v[4:5], off offset:-4
	s_waitcnt vmcnt(0)
	v_xor_b32_e32 v7, 0x80000000, v25
	ds_write_b32 v11, v24
	s_branch .LBB378_2
.LBB378_11:
	v_mov_b32_e32 v20, 0
	v_mov_b32_e32 v22, 0
	;; [unrolled: 1-line block ×8, first 2 shown]
.LBB378_12:
	s_load_dwordx2 s[0:1], s[4:5], 0x58
	s_load_dword s6, s[4:5], 0x50
	v_add_u32_e32 v5, s26, v1
	v_add_u32_e32 v0, s9, v0
	s_waitcnt lgkmcnt(0)
	s_mul_i32 s1, s1, s8
	s_mul_hi_u32 s2, s0, s8
	s_add_i32 s1, s2, s1
	v_mad_i64_i32 v[1:2], s[2:3], v5, s6, 0
	s_mul_i32 s0, s0, s8
	s_lshl_b64 s[0:1], s[0:1], 3
	s_add_u32 s7, s24, s0
	v_lshlrev_b64 v[1:2], 3, v[1:2]
	s_addc_u32 s8, s25, s1
	v_mov_b32_e32 v3, s8
	v_add_co_u32_e32 v4, vcc, s7, v1
	v_addc_co_u32_e32 v6, vcc, v3, v2, vcc
	v_cmp_le_i32_e64 s[0:1], v5, v0
	v_cmp_gt_i32_e32 vcc, s10, v0
	s_and_b64 s[0:1], s[0:1], vcc
	s_and_saveexec_b64 s[2:3], s[0:1]
	s_cbranch_execz .LBB378_15
; %bb.13:
	v_ashrrev_i32_e32 v1, 31, v0
	v_lshlrev_b64 v[1:2], 3, v[0:1]
	v_mul_f32_e32 v3, s17, v22
	v_add_co_u32_e64 v1, s[0:1], v4, v1
	v_addc_co_u32_e64 v2, s[0:1], v6, v2, s[0:1]
	global_load_dwordx2 v[7:8], v[1:2], off
	v_mul_f32_e32 v9, s16, v22
	v_fma_f32 v3, v20, s16, -v3
	v_fmac_f32_e32 v9, s17, v20
	v_cmp_eq_u32_e64 s[0:1], v5, v0
	s_waitcnt vmcnt(0)
	v_mul_f32_e32 v10, s15, v8
	v_mul_f32_e32 v8, s14, v8
	v_fma_f32 v10, v7, s14, -v10
	v_fmac_f32_e32 v8, s15, v7
	v_add_f32_e32 v7, v3, v10
	v_add_f32_e32 v8, v9, v8
	global_store_dwordx2 v[1:2], v[7:8], off
	s_and_b64 exec, exec, s[0:1]
	s_cbranch_execz .LBB378_15
; %bb.14:
	v_mov_b32_e32 v3, 0
	global_store_dword v[1:2], v3, off offset:4
.LBB378_15:
	s_or_b64 exec, exec, s[2:3]
	v_add_u32_e32 v2, 16, v0
	v_cmp_le_i32_e64 s[2:3], v5, v2
	v_cmp_gt_i32_e64 s[0:1], s10, v2
	s_and_b64 s[2:3], s[2:3], s[0:1]
	s_and_saveexec_b64 s[4:5], s[2:3]
	s_cbranch_execz .LBB378_18
; %bb.16:
	v_ashrrev_i32_e32 v3, 31, v2
	v_lshlrev_b64 v[7:8], 3, v[2:3]
	v_mul_f32_e32 v1, s17, v23
	v_add_co_u32_e64 v3, s[2:3], v4, v7
	v_addc_co_u32_e64 v4, s[2:3], v6, v8, s[2:3]
	global_load_dwordx2 v[6:7], v[3:4], off
	v_mul_f32_e32 v8, s16, v23
	v_fma_f32 v1, v21, s16, -v1
	v_fmac_f32_e32 v8, s17, v21
	v_cmp_eq_u32_e64 s[2:3], v5, v2
	s_waitcnt vmcnt(0)
	v_mul_f32_e32 v9, s15, v7
	v_mul_f32_e32 v7, s14, v7
	v_fma_f32 v9, v6, s14, -v9
	v_fmac_f32_e32 v7, s15, v6
	v_add_f32_e32 v6, v1, v9
	v_add_f32_e32 v7, v8, v7
	global_store_dwordx2 v[3:4], v[6:7], off
	s_and_b64 exec, exec, s[2:3]
	s_cbranch_execz .LBB378_18
; %bb.17:
	v_mov_b32_e32 v1, 0
	global_store_dword v[3:4], v1, off offset:4
.LBB378_18:
	s_or_b64 exec, exec, s[4:5]
	v_add_u32_e32 v8, 16, v5
	v_mad_i64_i32 v[3:4], s[2:3], v8, s6, 0
	v_mov_b32_e32 v1, s8
	v_lshlrev_b64 v[3:4], 3, v[3:4]
	v_add_co_u32_e64 v6, s[2:3], s7, v3
	v_addc_co_u32_e64 v7, s[2:3], v1, v4, s[2:3]
	v_cmp_le_i32_e64 s[2:3], v8, v0
	s_and_b64 s[4:5], s[2:3], vcc
	s_and_saveexec_b64 s[2:3], s[4:5]
	s_cbranch_execz .LBB378_21
; %bb.19:
	v_ashrrev_i32_e32 v1, 31, v0
	v_lshlrev_b64 v[3:4], 3, v[0:1]
	v_mul_f32_e32 v1, s17, v16
	v_add_co_u32_e32 v3, vcc, v6, v3
	v_addc_co_u32_e32 v4, vcc, v7, v4, vcc
	global_load_dwordx2 v[9:10], v[3:4], off
	v_mul_f32_e32 v11, s16, v16
	v_fma_f32 v1, v18, s16, -v1
	v_fmac_f32_e32 v11, s17, v18
	v_cmp_eq_u32_e32 vcc, v8, v0
	s_waitcnt vmcnt(0)
	v_mul_f32_e32 v12, s15, v10
	v_mul_f32_e32 v10, s14, v10
	v_fma_f32 v12, v9, s14, -v12
	v_fmac_f32_e32 v10, s15, v9
	v_add_f32_e32 v9, v1, v12
	v_add_f32_e32 v10, v11, v10
	global_store_dwordx2 v[3:4], v[9:10], off
	s_and_b64 exec, exec, vcc
	s_cbranch_execz .LBB378_21
; %bb.20:
	v_mov_b32_e32 v1, 0
	global_store_dword v[3:4], v1, off offset:4
.LBB378_21:
	s_or_b64 exec, exec, s[2:3]
	v_cmp_le_i32_e32 vcc, v8, v2
	s_and_b64 s[0:1], vcc, s[0:1]
	s_and_saveexec_b64 s[2:3], s[0:1]
	s_cbranch_execz .LBB378_24
; %bb.22:
	v_ashrrev_i32_e32 v3, 31, v2
	v_lshlrev_b64 v[1:2], 3, v[2:3]
	v_add_co_u32_e32 v1, vcc, v6, v1
	v_addc_co_u32_e32 v2, vcc, v7, v2, vcc
	global_load_dwordx2 v[3:4], v[1:2], off
	v_mul_f32_e32 v6, s17, v19
	v_mul_f32_e32 v7, s16, v19
	v_fma_f32 v6, v17, s16, -v6
	v_fmac_f32_e32 v7, s17, v17
	v_cmp_eq_u32_e32 vcc, v5, v0
	s_waitcnt vmcnt(0)
	v_mul_f32_e32 v8, s15, v4
	v_mul_f32_e32 v4, s14, v4
	v_fma_f32 v8, v3, s14, -v8
	v_fmac_f32_e32 v4, s15, v3
	v_add_f32_e32 v3, v6, v8
	v_add_f32_e32 v4, v7, v4
	global_store_dwordx2 v[1:2], v[3:4], off
	s_and_b64 exec, exec, vcc
	s_cbranch_execz .LBB378_24
; %bb.23:
	v_mov_b32_e32 v0, 0
	global_store_dword v[1:2], v0, off offset:4
.LBB378_24:
	s_endpgm
	.section	.rodata,"a",@progbits
	.p2align	6, 0x0
	.amdhsa_kernel _ZL34rocblas_syrkx_herkx_general_kernelIi19rocblas_complex_numIfELi16ELi32ELi8ELb0ELb1ELc78ELc76EKS1_S1_EviT_T0_PT8_S3_lS6_S3_lS4_PT9_S3_li
		.amdhsa_group_segment_fixed_size 4096
		.amdhsa_private_segment_fixed_size 0
		.amdhsa_kernarg_size 100
		.amdhsa_user_sgpr_count 6
		.amdhsa_user_sgpr_private_segment_buffer 1
		.amdhsa_user_sgpr_dispatch_ptr 0
		.amdhsa_user_sgpr_queue_ptr 0
		.amdhsa_user_sgpr_kernarg_segment_ptr 1
		.amdhsa_user_sgpr_dispatch_id 0
		.amdhsa_user_sgpr_flat_scratch_init 0
		.amdhsa_user_sgpr_private_segment_size 0
		.amdhsa_uses_dynamic_stack 0
		.amdhsa_system_sgpr_private_segment_wavefront_offset 0
		.amdhsa_system_sgpr_workgroup_id_x 1
		.amdhsa_system_sgpr_workgroup_id_y 1
		.amdhsa_system_sgpr_workgroup_id_z 1
		.amdhsa_system_sgpr_workgroup_info 0
		.amdhsa_system_vgpr_workitem_id 1
		.amdhsa_next_free_vgpr 53
		.amdhsa_next_free_sgpr 30
		.amdhsa_reserve_vcc 1
		.amdhsa_reserve_flat_scratch 0
		.amdhsa_float_round_mode_32 0
		.amdhsa_float_round_mode_16_64 0
		.amdhsa_float_denorm_mode_32 3
		.amdhsa_float_denorm_mode_16_64 3
		.amdhsa_dx10_clamp 1
		.amdhsa_ieee_mode 1
		.amdhsa_fp16_overflow 0
		.amdhsa_exception_fp_ieee_invalid_op 0
		.amdhsa_exception_fp_denorm_src 0
		.amdhsa_exception_fp_ieee_div_zero 0
		.amdhsa_exception_fp_ieee_overflow 0
		.amdhsa_exception_fp_ieee_underflow 0
		.amdhsa_exception_fp_ieee_inexact 0
		.amdhsa_exception_int_div_zero 0
	.end_amdhsa_kernel
	.section	.text._ZL34rocblas_syrkx_herkx_general_kernelIi19rocblas_complex_numIfELi16ELi32ELi8ELb0ELb1ELc78ELc76EKS1_S1_EviT_T0_PT8_S3_lS6_S3_lS4_PT9_S3_li,"axG",@progbits,_ZL34rocblas_syrkx_herkx_general_kernelIi19rocblas_complex_numIfELi16ELi32ELi8ELb0ELb1ELc78ELc76EKS1_S1_EviT_T0_PT8_S3_lS6_S3_lS4_PT9_S3_li,comdat
.Lfunc_end378:
	.size	_ZL34rocblas_syrkx_herkx_general_kernelIi19rocblas_complex_numIfELi16ELi32ELi8ELb0ELb1ELc78ELc76EKS1_S1_EviT_T0_PT8_S3_lS6_S3_lS4_PT9_S3_li, .Lfunc_end378-_ZL34rocblas_syrkx_herkx_general_kernelIi19rocblas_complex_numIfELi16ELi32ELi8ELb0ELb1ELc78ELc76EKS1_S1_EviT_T0_PT8_S3_lS6_S3_lS4_PT9_S3_li
                                        ; -- End function
	.set _ZL34rocblas_syrkx_herkx_general_kernelIi19rocblas_complex_numIfELi16ELi32ELi8ELb0ELb1ELc78ELc76EKS1_S1_EviT_T0_PT8_S3_lS6_S3_lS4_PT9_S3_li.num_vgpr, 53
	.set _ZL34rocblas_syrkx_herkx_general_kernelIi19rocblas_complex_numIfELi16ELi32ELi8ELb0ELb1ELc78ELc76EKS1_S1_EviT_T0_PT8_S3_lS6_S3_lS4_PT9_S3_li.num_agpr, 0
	.set _ZL34rocblas_syrkx_herkx_general_kernelIi19rocblas_complex_numIfELi16ELi32ELi8ELb0ELb1ELc78ELc76EKS1_S1_EviT_T0_PT8_S3_lS6_S3_lS4_PT9_S3_li.numbered_sgpr, 30
	.set _ZL34rocblas_syrkx_herkx_general_kernelIi19rocblas_complex_numIfELi16ELi32ELi8ELb0ELb1ELc78ELc76EKS1_S1_EviT_T0_PT8_S3_lS6_S3_lS4_PT9_S3_li.num_named_barrier, 0
	.set _ZL34rocblas_syrkx_herkx_general_kernelIi19rocblas_complex_numIfELi16ELi32ELi8ELb0ELb1ELc78ELc76EKS1_S1_EviT_T0_PT8_S3_lS6_S3_lS4_PT9_S3_li.private_seg_size, 0
	.set _ZL34rocblas_syrkx_herkx_general_kernelIi19rocblas_complex_numIfELi16ELi32ELi8ELb0ELb1ELc78ELc76EKS1_S1_EviT_T0_PT8_S3_lS6_S3_lS4_PT9_S3_li.uses_vcc, 1
	.set _ZL34rocblas_syrkx_herkx_general_kernelIi19rocblas_complex_numIfELi16ELi32ELi8ELb0ELb1ELc78ELc76EKS1_S1_EviT_T0_PT8_S3_lS6_S3_lS4_PT9_S3_li.uses_flat_scratch, 0
	.set _ZL34rocblas_syrkx_herkx_general_kernelIi19rocblas_complex_numIfELi16ELi32ELi8ELb0ELb1ELc78ELc76EKS1_S1_EviT_T0_PT8_S3_lS6_S3_lS4_PT9_S3_li.has_dyn_sized_stack, 0
	.set _ZL34rocblas_syrkx_herkx_general_kernelIi19rocblas_complex_numIfELi16ELi32ELi8ELb0ELb1ELc78ELc76EKS1_S1_EviT_T0_PT8_S3_lS6_S3_lS4_PT9_S3_li.has_recursion, 0
	.set _ZL34rocblas_syrkx_herkx_general_kernelIi19rocblas_complex_numIfELi16ELi32ELi8ELb0ELb1ELc78ELc76EKS1_S1_EviT_T0_PT8_S3_lS6_S3_lS4_PT9_S3_li.has_indirect_call, 0
	.section	.AMDGPU.csdata,"",@progbits
; Kernel info:
; codeLenInByte = 2468
; TotalNumSgprs: 34
; NumVgprs: 53
; ScratchSize: 0
; MemoryBound: 1
; FloatMode: 240
; IeeeMode: 1
; LDSByteSize: 4096 bytes/workgroup (compile time only)
; SGPRBlocks: 4
; VGPRBlocks: 13
; NumSGPRsForWavesPerEU: 34
; NumVGPRsForWavesPerEU: 53
; Occupancy: 4
; WaveLimiterHint : 0
; COMPUTE_PGM_RSRC2:SCRATCH_EN: 0
; COMPUTE_PGM_RSRC2:USER_SGPR: 6
; COMPUTE_PGM_RSRC2:TRAP_HANDLER: 0
; COMPUTE_PGM_RSRC2:TGID_X_EN: 1
; COMPUTE_PGM_RSRC2:TGID_Y_EN: 1
; COMPUTE_PGM_RSRC2:TGID_Z_EN: 1
; COMPUTE_PGM_RSRC2:TIDIG_COMP_CNT: 1
	.section	.text._ZL34rocblas_syrkx_herkx_general_kernelIi19rocblas_complex_numIfELi16ELi32ELi8ELb0ELb1ELc84ELc85EKS1_S1_EviT_T0_PT8_S3_lS6_S3_lS4_PT9_S3_li,"axG",@progbits,_ZL34rocblas_syrkx_herkx_general_kernelIi19rocblas_complex_numIfELi16ELi32ELi8ELb0ELb1ELc84ELc85EKS1_S1_EviT_T0_PT8_S3_lS6_S3_lS4_PT9_S3_li,comdat
	.globl	_ZL34rocblas_syrkx_herkx_general_kernelIi19rocblas_complex_numIfELi16ELi32ELi8ELb0ELb1ELc84ELc85EKS1_S1_EviT_T0_PT8_S3_lS6_S3_lS4_PT9_S3_li ; -- Begin function _ZL34rocblas_syrkx_herkx_general_kernelIi19rocblas_complex_numIfELi16ELi32ELi8ELb0ELb1ELc84ELc85EKS1_S1_EviT_T0_PT8_S3_lS6_S3_lS4_PT9_S3_li
	.p2align	8
	.type	_ZL34rocblas_syrkx_herkx_general_kernelIi19rocblas_complex_numIfELi16ELi32ELi8ELb0ELb1ELc84ELc85EKS1_S1_EviT_T0_PT8_S3_lS6_S3_lS4_PT9_S3_li,@function
_ZL34rocblas_syrkx_herkx_general_kernelIi19rocblas_complex_numIfELi16ELi32ELi8ELb0ELb1ELc84ELc85EKS1_S1_EviT_T0_PT8_S3_lS6_S3_lS4_PT9_S3_li: ; @_ZL34rocblas_syrkx_herkx_general_kernelIi19rocblas_complex_numIfELi16ELi32ELi8ELb0ELb1ELc84ELc85EKS1_S1_EviT_T0_PT8_S3_lS6_S3_lS4_PT9_S3_li
; %bb.0:
	s_load_dwordx2 s[10:11], s[4:5], 0x0
	s_load_dwordx4 s[16:19], s[4:5], 0x8
	s_load_dwordx4 s[12:15], s[4:5], 0x38
	s_load_dwordx2 s[24:25], s[4:5], 0x48
	s_lshl_b32 s9, s6, 5
	s_lshl_b32 s26, s7, 5
	s_waitcnt lgkmcnt(0)
	s_cmp_lt_i32 s11, 1
	s_mov_b32 s27, 0
	s_cbranch_scc1 .LBB379_11
; %bb.1:
	v_lshl_add_u32 v2, v1, 4, v0
	s_load_dword s2, s[4:5], 0x18
	s_load_dwordx4 s[20:23], s[4:5], 0x20
	s_load_dword s6, s[4:5], 0x30
	v_and_b32_e32 v8, 7, v0
	v_lshrrev_b32_e32 v9, 5, v2
	v_lshrrev_b32_e32 v3, 3, v2
	v_and_b32_e32 v2, 31, v2
	v_or_b32_e32 v5, s9, v2
	v_lshlrev_b32_e32 v6, 3, v8
	v_add_u32_e32 v4, s26, v3
	v_cmp_gt_i32_e32 vcc, s10, v5
	v_lshlrev_b32_e32 v5, 3, v2
	v_lshl_or_b32 v3, v3, 6, v6
	v_add_u32_e32 v2, s9, v2
	v_add_u32_e32 v11, 0x800, v3
	s_waitcnt lgkmcnt(0)
	v_mad_i64_i32 v[2:3], s[2:3], s2, v2, 0
	s_mul_i32 s2, s21, s8
	s_mul_hi_u32 s3, s20, s8
	v_lshlrev_b64 v[2:3], 3, v[2:3]
	s_add_i32 s3, s3, s2
	s_mul_i32 s2, s20, s8
	v_lshl_or_b32 v10, v9, 8, v5
	v_mov_b32_e32 v5, 0x800
	s_lshl_b64 s[2:3], s[2:3], 3
	v_lshl_add_u32 v13, v1, 6, v5
	v_mov_b32_e32 v5, s3
	v_add_co_u32_e64 v2, s[2:3], s2, v2
	v_addc_co_u32_e64 v3, s[2:3], v3, v5, s[2:3]
	v_lshlrev_b32_e32 v5, 3, v9
	v_add_co_u32_e64 v2, s[2:3], v2, v5
	v_cmp_gt_i32_e64 s[0:1], s10, v4
	v_addc_co_u32_e64 v3, s[2:3], 0, v3, s[2:3]
	v_mad_i64_i32 v[4:5], s[2:3], s6, v4, 0
	v_mov_b32_e32 v7, s19
	v_add_co_u32_e64 v2, s[2:3], s18, v2
	v_addc_co_u32_e64 v3, s[2:3], v7, v3, s[2:3]
	s_mul_i32 s2, s13, s8
	s_mul_hi_u32 s3, s12, s8
	v_lshlrev_b64 v[4:5], 3, v[4:5]
	s_add_i32 s3, s3, s2
	s_mul_i32 s2, s12, s8
	s_lshl_b64 s[2:3], s[2:3], 3
	v_mov_b32_e32 v7, s3
	v_add_co_u32_e64 v4, s[2:3], s2, v4
	v_addc_co_u32_e64 v5, s[2:3], v5, v7, s[2:3]
	v_add_co_u32_e64 v4, s[2:3], v4, v6
	v_addc_co_u32_e64 v5, s[2:3], 0, v5, s[2:3]
	v_mov_b32_e32 v6, s23
	v_add_co_u32_e64 v4, s[2:3], s22, v4
	v_addc_co_u32_e64 v5, s[2:3], v6, v5, s[2:3]
	v_lshlrev_b32_e32 v12, 3, v0
	s_xor_b64 s[2:3], vcc, -1
	s_xor_b64 s[0:1], s[0:1], -1
	v_mov_b32_e32 v17, 0
	v_mov_b32_e32 v16, 0
	;; [unrolled: 1-line block ×9, first 2 shown]
	s_branch .LBB379_3
.LBB379_2:                              ;   in Loop: Header=BB379_3 Depth=1
	s_or_b64 exec, exec, s[6:7]
	s_waitcnt lgkmcnt(0)
	s_barrier
	ds_read2_b64 v[22:25], v12 offset1:16
	ds_read_b128 v[26:29], v13
	ds_read_b128 v[30:33], v13 offset:16
	v_add_co_u32_e32 v2, vcc, 64, v2
	v_addc_co_u32_e32 v3, vcc, 0, v3, vcc
	s_waitcnt lgkmcnt(1)
	v_mul_f32_e32 v34, v26, v23
	v_fmac_f32_e32 v34, v27, v22
	v_add_f32_e32 v46, v21, v34
	ds_read_b128 v[34:37], v13 offset:1024
	v_mul_f32_e32 v7, v27, v23
	v_fma_f32 v7, v26, v22, -v7
	v_add_f32_e32 v7, v20, v7
	v_mul_f32_e32 v20, v27, v25
	v_mul_f32_e32 v21, v26, v25
	v_fma_f32 v20, v26, v24, -v20
	v_fmac_f32_e32 v21, v27, v24
	v_add_f32_e32 v26, v18, v20
	v_add_f32_e32 v27, v19, v21
	ds_read_b128 v[18:21], v13 offset:1040
	s_waitcnt lgkmcnt(1)
	v_mul_f32_e32 v38, v35, v23
	v_mul_f32_e32 v23, v34, v23
	v_fma_f32 v38, v34, v22, -v38
	v_fmac_f32_e32 v23, v35, v22
	v_mul_f32_e32 v22, v35, v25
	v_fma_f32 v47, v34, v24, -v22
	v_mul_f32_e32 v34, v34, v25
	v_add_f32_e32 v14, v14, v38
	v_add_f32_e32 v15, v15, v23
	v_fmac_f32_e32 v34, v35, v24
	ds_read2_b64 v[22:25], v12 offset0:32 offset1:48
	ds_read_b128 v[38:41], v13 offset:32
	ds_read_b128 v[42:45], v13 offset:48
	v_add_f32_e32 v35, v16, v47
	v_add_f32_e32 v34, v17, v34
	s_waitcnt lgkmcnt(2)
	v_mul_f32_e32 v16, v29, v23
	v_fma_f32 v16, v28, v22, -v16
	v_mul_f32_e32 v17, v28, v23
	v_fmac_f32_e32 v17, v29, v22
	v_add_f32_e32 v7, v7, v16
	v_mul_f32_e32 v16, v29, v25
	v_add_f32_e32 v46, v46, v17
	v_fma_f32 v16, v28, v24, -v16
	v_mul_f32_e32 v17, v28, v25
	v_fmac_f32_e32 v17, v29, v24
	v_add_f32_e32 v26, v26, v16
	v_mul_f32_e32 v16, v37, v23
	v_add_f32_e32 v27, v27, v17
	;; [unrolled: 6-line block ×3, first 2 shown]
	v_fma_f32 v28, v36, v24, -v14
	ds_read2_b64 v[14:17], v12 offset0:64 offset1:80
	v_mul_f32_e32 v25, v36, v25
	v_fmac_f32_e32 v25, v37, v24
	v_add_f32_e32 v29, v34, v25
	v_add_f32_e32 v28, v35, v28
	s_waitcnt lgkmcnt(0)
	v_mul_f32_e32 v24, v31, v15
	v_fma_f32 v24, v30, v14, -v24
	v_add_f32_e32 v7, v7, v24
	v_mul_f32_e32 v24, v31, v17
	v_mul_f32_e32 v25, v30, v15
	v_fma_f32 v24, v30, v16, -v24
	v_fmac_f32_e32 v25, v31, v14
	v_add_f32_e32 v26, v26, v24
	v_mul_f32_e32 v24, v19, v15
	v_add_f32_e32 v34, v46, v25
	v_mul_f32_e32 v25, v30, v17
	v_fma_f32 v24, v18, v14, -v24
	v_mul_f32_e32 v15, v18, v15
	v_fmac_f32_e32 v25, v31, v16
	v_fmac_f32_e32 v15, v19, v14
	v_add_f32_e32 v14, v22, v24
	v_mul_f32_e32 v22, v19, v17
	v_add_f32_e32 v27, v27, v25
	v_add_f32_e32 v15, v23, v15
	v_fma_f32 v30, v18, v16, -v22
	ds_read2_b64 v[22:25], v12 offset0:96 offset1:112
	v_mul_f32_e32 v17, v18, v17
	v_fmac_f32_e32 v17, v19, v16
	v_add_f32_e32 v19, v29, v17
	v_add_f32_e32 v18, v28, v30
	s_waitcnt lgkmcnt(0)
	v_mul_f32_e32 v16, v33, v23
	v_fma_f32 v16, v32, v22, -v16
	v_mul_f32_e32 v17, v32, v23
	v_fmac_f32_e32 v17, v33, v22
	v_add_f32_e32 v7, v7, v16
	v_mul_f32_e32 v16, v33, v25
	v_add_f32_e32 v28, v34, v17
	v_fma_f32 v16, v32, v24, -v16
	v_mul_f32_e32 v17, v32, v25
	v_fmac_f32_e32 v17, v33, v24
	v_add_f32_e32 v26, v26, v16
	v_mul_f32_e32 v16, v21, v23
	v_add_f32_e32 v27, v27, v17
	;; [unrolled: 6-line block ×3, first 2 shown]
	v_fma_f32 v22, v20, v24, -v14
	ds_read2_b64 v[14:17], v12 offset0:128 offset1:144
	v_mul_f32_e32 v20, v20, v25
	v_fmac_f32_e32 v20, v21, v24
	v_add_f32_e32 v31, v18, v22
	v_add_f32_e32 v32, v19, v20
	s_waitcnt lgkmcnt(0)
	v_mul_f32_e32 v18, v39, v15
	v_fma_f32 v18, v38, v14, -v18
	v_mul_f32_e32 v19, v38, v15
	v_fmac_f32_e32 v19, v39, v14
	v_add_f32_e32 v7, v7, v18
	v_mul_f32_e32 v18, v39, v17
	v_add_f32_e32 v33, v28, v19
	v_fma_f32 v22, v38, v16, -v18
	ds_read_b128 v[18:21], v13 offset:1056
	v_mul_f32_e32 v23, v38, v17
	v_fmac_f32_e32 v23, v39, v16
	v_add_f32_e32 v34, v26, v22
	v_add_f32_e32 v35, v27, v23
	ds_read_b128 v[22:25], v13 offset:1072
	s_waitcnt lgkmcnt(1)
	v_mul_f32_e32 v26, v19, v15
	v_fma_f32 v26, v18, v14, -v26
	v_mul_f32_e32 v15, v18, v15
	v_fmac_f32_e32 v15, v19, v14
	v_add_f32_e32 v14, v29, v26
	v_mul_f32_e32 v26, v19, v17
	v_add_f32_e32 v15, v30, v15
	v_fma_f32 v30, v18, v16, -v26
	ds_read2_b64 v[26:29], v12 offset0:160 offset1:176
	v_mul_f32_e32 v17, v18, v17
	v_fmac_f32_e32 v17, v19, v16
	v_add_f32_e32 v19, v32, v17
	v_add_f32_e32 v18, v31, v30
	s_waitcnt lgkmcnt(0)
	v_mul_f32_e32 v16, v41, v27
	v_fma_f32 v16, v40, v26, -v16
	v_mul_f32_e32 v17, v40, v27
	v_fmac_f32_e32 v17, v41, v26
	v_add_f32_e32 v7, v7, v16
	v_mul_f32_e32 v16, v41, v29
	v_add_f32_e32 v30, v33, v17
	v_fma_f32 v16, v40, v28, -v16
	v_mul_f32_e32 v17, v40, v29
	v_fmac_f32_e32 v17, v41, v28
	v_add_f32_e32 v31, v34, v16
	v_mul_f32_e32 v16, v21, v27
	v_add_f32_e32 v32, v35, v17
	;; [unrolled: 6-line block ×3, first 2 shown]
	v_fma_f32 v33, v20, v28, -v14
	ds_read2_b64 v[14:17], v12 offset0:192 offset1:208
	v_mul_f32_e32 v20, v20, v29
	v_fmac_f32_e32 v20, v21, v28
	v_add_f32_e32 v19, v19, v20
	v_add_f32_e32 v18, v18, v33
	s_waitcnt lgkmcnt(0)
	v_mul_f32_e32 v20, v43, v15
	v_fma_f32 v20, v42, v14, -v20
	v_mul_f32_e32 v21, v42, v15
	v_add_f32_e32 v7, v7, v20
	v_mul_f32_e32 v20, v43, v17
	v_fmac_f32_e32 v21, v43, v14
	v_fma_f32 v20, v42, v16, -v20
	v_add_f32_e32 v21, v30, v21
	v_mul_f32_e32 v28, v42, v17
	v_add_f32_e32 v30, v31, v20
	v_mul_f32_e32 v20, v23, v15
	v_mul_f32_e32 v15, v22, v15
	v_fmac_f32_e32 v28, v43, v16
	v_fma_f32 v20, v22, v14, -v20
	v_fmac_f32_e32 v15, v23, v14
	v_add_f32_e32 v31, v32, v28
	v_add_f32_e32 v14, v26, v20
	;; [unrolled: 1-line block ×3, first 2 shown]
	ds_read2_b64 v[26:29], v12 offset0:224 offset1:240
	v_mul_f32_e32 v20, v23, v17
	v_fma_f32 v20, v22, v16, -v20
	v_mul_f32_e32 v17, v22, v17
	v_fmac_f32_e32 v17, v23, v16
	v_add_f32_e32 v16, v18, v20
	s_waitcnt lgkmcnt(0)
	v_mul_f32_e32 v18, v45, v27
	v_fma_f32 v18, v44, v26, -v18
	v_add_f32_e32 v20, v7, v18
	v_mul_f32_e32 v7, v45, v29
	v_fma_f32 v7, v44, v28, -v7
	v_add_f32_e32 v17, v19, v17
	v_mul_f32_e32 v19, v44, v27
	v_add_f32_e32 v18, v30, v7
	v_mul_f32_e32 v7, v25, v27
	v_mul_f32_e32 v22, v24, v27
	v_fmac_f32_e32 v19, v45, v26
	v_fma_f32 v7, v24, v26, -v7
	v_fmac_f32_e32 v22, v25, v26
	v_add_f32_e32 v21, v21, v19
	v_mul_f32_e32 v19, v44, v29
	v_add_f32_e32 v14, v14, v7
	v_add_f32_e32 v15, v15, v22
	v_mul_f32_e32 v7, v25, v29
	v_mul_f32_e32 v22, v24, v29
	v_fmac_f32_e32 v19, v45, v28
	v_fma_f32 v7, v24, v28, -v7
	v_fmac_f32_e32 v22, v25, v28
	s_add_i32 s27, s27, 8
	v_add_co_u32_e32 v4, vcc, 64, v4
	v_add_f32_e32 v19, v31, v19
	v_add_f32_e32 v16, v16, v7
	;; [unrolled: 1-line block ×3, first 2 shown]
	s_cmp_ge_i32 s27, s11
	v_addc_co_u32_e32 v5, vcc, 0, v5, vcc
	s_barrier
	s_cbranch_scc1 .LBB379_12
.LBB379_3:                              ; =>This Inner Loop Header: Depth=1
	v_add_u32_e32 v7, s27, v9
	v_cmp_le_i32_e32 vcc, s11, v7
	s_or_b64 s[6:7], s[2:3], vcc
	s_and_saveexec_b64 s[12:13], s[6:7]
	s_xor_b64 s[6:7], exec, s[12:13]
; %bb.4:                                ;   in Loop: Header=BB379_3 Depth=1
	v_mov_b32_e32 v7, v6
	ds_write_b64 v10, v[6:7]
; %bb.5:                                ;   in Loop: Header=BB379_3 Depth=1
	s_andn2_saveexec_b64 s[6:7], s[6:7]
	s_cbranch_execz .LBB379_7
; %bb.6:                                ;   in Loop: Header=BB379_3 Depth=1
	global_load_dwordx2 v[22:23], v[2:3], off
	s_waitcnt vmcnt(0)
	ds_write_b64 v10, v[22:23]
.LBB379_7:                              ;   in Loop: Header=BB379_3 Depth=1
	s_or_b64 exec, exec, s[6:7]
	v_add_u32_e32 v7, s27, v8
	v_cmp_le_i32_e32 vcc, s11, v7
	s_or_b64 s[6:7], vcc, s[0:1]
	s_and_saveexec_b64 s[12:13], s[6:7]
	s_xor_b64 s[6:7], exec, s[12:13]
; %bb.8:                                ;   in Loop: Header=BB379_3 Depth=1
	v_mov_b32_e32 v7, v6
	ds_write_b64 v11, v[6:7]
; %bb.9:                                ;   in Loop: Header=BB379_3 Depth=1
	s_andn2_saveexec_b64 s[6:7], s[6:7]
	s_cbranch_execz .LBB379_2
; %bb.10:                               ;   in Loop: Header=BB379_3 Depth=1
	global_load_dwordx2 v[22:23], v[4:5], off
	s_waitcnt vmcnt(0)
	ds_write_b64 v11, v[22:23]
	s_branch .LBB379_2
.LBB379_11:
	v_mov_b32_e32 v20, 0
	v_mov_b32_e32 v21, 0
	;; [unrolled: 1-line block ×8, first 2 shown]
.LBB379_12:
	s_load_dwordx2 s[0:1], s[4:5], 0x58
	s_load_dword s6, s[4:5], 0x50
	v_add_u32_e32 v5, s26, v1
	v_add_u32_e32 v0, s9, v0
	v_cmp_gt_i32_e32 vcc, s10, v5
	s_waitcnt lgkmcnt(0)
	s_mul_i32 s1, s1, s8
	s_mul_hi_u32 s2, s0, s8
	s_add_i32 s1, s2, s1
	v_mad_i64_i32 v[1:2], s[2:3], v5, s6, 0
	s_mul_i32 s0, s0, s8
	s_lshl_b64 s[0:1], s[0:1], 3
	s_add_u32 s4, s24, s0
	v_lshlrev_b64 v[1:2], 3, v[1:2]
	s_addc_u32 s5, s25, s1
	v_mov_b32_e32 v3, s5
	v_add_co_u32_e64 v4, s[0:1], s4, v1
	v_addc_co_u32_e64 v6, s[0:1], v3, v2, s[0:1]
	v_cmp_le_i32_e64 s[0:1], v0, v5
	s_and_b64 s[0:1], vcc, s[0:1]
	s_and_saveexec_b64 s[2:3], s[0:1]
	s_cbranch_execz .LBB379_15
; %bb.13:
	v_ashrrev_i32_e32 v1, 31, v0
	v_lshlrev_b64 v[1:2], 3, v[0:1]
	v_mul_f32_e32 v3, s17, v21
	v_add_co_u32_e64 v1, s[0:1], v4, v1
	v_addc_co_u32_e64 v2, s[0:1], v6, v2, s[0:1]
	global_load_dwordx2 v[7:8], v[1:2], off
	v_mul_f32_e32 v9, s16, v21
	v_fma_f32 v3, v20, s16, -v3
	v_fmac_f32_e32 v9, s17, v20
	v_cmp_eq_u32_e64 s[0:1], v5, v0
	s_waitcnt vmcnt(0)
	v_mul_f32_e32 v10, s15, v8
	v_mul_f32_e32 v8, s14, v8
	v_fma_f32 v10, v7, s14, -v10
	v_fmac_f32_e32 v8, s15, v7
	v_add_f32_e32 v7, v3, v10
	v_add_f32_e32 v8, v9, v8
	global_store_dwordx2 v[1:2], v[7:8], off
	s_and_b64 exec, exec, s[0:1]
	s_cbranch_execz .LBB379_15
; %bb.14:
	v_mov_b32_e32 v3, 0
	global_store_dword v[1:2], v3, off offset:4
.LBB379_15:
	s_or_b64 exec, exec, s[2:3]
	v_add_u32_e32 v2, 16, v0
	v_cmp_le_i32_e64 s[0:1], v2, v5
	s_and_b64 s[2:3], vcc, s[0:1]
	s_and_saveexec_b64 s[0:1], s[2:3]
	s_cbranch_execz .LBB379_18
; %bb.16:
	v_ashrrev_i32_e32 v3, 31, v2
	v_lshlrev_b64 v[7:8], 3, v[2:3]
	v_mul_f32_e32 v1, s17, v19
	v_add_co_u32_e32 v3, vcc, v4, v7
	v_addc_co_u32_e32 v4, vcc, v6, v8, vcc
	global_load_dwordx2 v[6:7], v[3:4], off
	v_mul_f32_e32 v8, s16, v19
	v_fma_f32 v1, v18, s16, -v1
	v_fmac_f32_e32 v8, s17, v18
	v_cmp_eq_u32_e32 vcc, v5, v2
	s_waitcnt vmcnt(0)
	v_mul_f32_e32 v9, s15, v7
	v_mul_f32_e32 v7, s14, v7
	v_fma_f32 v9, v6, s14, -v9
	v_fmac_f32_e32 v7, s15, v6
	v_add_f32_e32 v6, v1, v9
	v_add_f32_e32 v7, v8, v7
	global_store_dwordx2 v[3:4], v[6:7], off
	s_and_b64 exec, exec, vcc
	s_cbranch_execz .LBB379_18
; %bb.17:
	v_mov_b32_e32 v1, 0
	global_store_dword v[3:4], v1, off offset:4
.LBB379_18:
	s_or_b64 exec, exec, s[0:1]
	v_add_u32_e32 v8, 16, v5
	v_mad_i64_i32 v[3:4], s[0:1], v8, s6, 0
	v_mov_b32_e32 v1, s5
	v_cmp_gt_i32_e32 vcc, s10, v8
	v_lshlrev_b64 v[3:4], 3, v[3:4]
	v_add_co_u32_e64 v6, s[0:1], s4, v3
	v_addc_co_u32_e64 v7, s[0:1], v1, v4, s[0:1]
	v_cmp_le_i32_e64 s[0:1], v0, v8
	s_and_b64 s[0:1], vcc, s[0:1]
	s_and_saveexec_b64 s[2:3], s[0:1]
	s_cbranch_execz .LBB379_21
; %bb.19:
	v_ashrrev_i32_e32 v1, 31, v0
	v_lshlrev_b64 v[3:4], 3, v[0:1]
	v_mul_f32_e32 v1, s17, v15
	v_add_co_u32_e64 v3, s[0:1], v6, v3
	v_addc_co_u32_e64 v4, s[0:1], v7, v4, s[0:1]
	global_load_dwordx2 v[9:10], v[3:4], off
	v_mul_f32_e32 v11, s16, v15
	v_fma_f32 v1, v14, s16, -v1
	v_fmac_f32_e32 v11, s17, v14
	v_cmp_eq_u32_e64 s[0:1], v8, v0
	s_waitcnt vmcnt(0)
	v_mul_f32_e32 v12, s15, v10
	v_mul_f32_e32 v10, s14, v10
	v_fma_f32 v12, v9, s14, -v12
	v_fmac_f32_e32 v10, s15, v9
	v_add_f32_e32 v9, v1, v12
	v_add_f32_e32 v10, v11, v10
	global_store_dwordx2 v[3:4], v[9:10], off
	s_and_b64 exec, exec, s[0:1]
	s_cbranch_execz .LBB379_21
; %bb.20:
	v_mov_b32_e32 v1, 0
	global_store_dword v[3:4], v1, off offset:4
.LBB379_21:
	s_or_b64 exec, exec, s[2:3]
	v_cmp_le_i32_e64 s[0:1], v2, v8
	s_and_b64 s[0:1], vcc, s[0:1]
	s_and_saveexec_b64 s[2:3], s[0:1]
	s_cbranch_execz .LBB379_24
; %bb.22:
	v_ashrrev_i32_e32 v3, 31, v2
	v_lshlrev_b64 v[1:2], 3, v[2:3]
	v_add_co_u32_e32 v1, vcc, v6, v1
	v_addc_co_u32_e32 v2, vcc, v7, v2, vcc
	global_load_dwordx2 v[3:4], v[1:2], off
	v_mul_f32_e32 v6, s17, v17
	v_mul_f32_e32 v7, s16, v17
	v_fma_f32 v6, v16, s16, -v6
	v_fmac_f32_e32 v7, s17, v16
	v_cmp_eq_u32_e32 vcc, v5, v0
	s_waitcnt vmcnt(0)
	v_mul_f32_e32 v8, s15, v4
	v_mul_f32_e32 v4, s14, v4
	v_fma_f32 v8, v3, s14, -v8
	v_fmac_f32_e32 v4, s15, v3
	v_add_f32_e32 v3, v6, v8
	v_add_f32_e32 v4, v7, v4
	global_store_dwordx2 v[1:2], v[3:4], off
	s_and_b64 exec, exec, vcc
	s_cbranch_execz .LBB379_24
; %bb.23:
	v_mov_b32_e32 v0, 0
	global_store_dword v[1:2], v0, off offset:4
.LBB379_24:
	s_endpgm
	.section	.rodata,"a",@progbits
	.p2align	6, 0x0
	.amdhsa_kernel _ZL34rocblas_syrkx_herkx_general_kernelIi19rocblas_complex_numIfELi16ELi32ELi8ELb0ELb1ELc84ELc85EKS1_S1_EviT_T0_PT8_S3_lS6_S3_lS4_PT9_S3_li
		.amdhsa_group_segment_fixed_size 4096
		.amdhsa_private_segment_fixed_size 0
		.amdhsa_kernarg_size 100
		.amdhsa_user_sgpr_count 6
		.amdhsa_user_sgpr_private_segment_buffer 1
		.amdhsa_user_sgpr_dispatch_ptr 0
		.amdhsa_user_sgpr_queue_ptr 0
		.amdhsa_user_sgpr_kernarg_segment_ptr 1
		.amdhsa_user_sgpr_dispatch_id 0
		.amdhsa_user_sgpr_flat_scratch_init 0
		.amdhsa_user_sgpr_private_segment_size 0
		.amdhsa_uses_dynamic_stack 0
		.amdhsa_system_sgpr_private_segment_wavefront_offset 0
		.amdhsa_system_sgpr_workgroup_id_x 1
		.amdhsa_system_sgpr_workgroup_id_y 1
		.amdhsa_system_sgpr_workgroup_id_z 1
		.amdhsa_system_sgpr_workgroup_info 0
		.amdhsa_system_vgpr_workitem_id 1
		.amdhsa_next_free_vgpr 48
		.amdhsa_next_free_sgpr 28
		.amdhsa_reserve_vcc 1
		.amdhsa_reserve_flat_scratch 0
		.amdhsa_float_round_mode_32 0
		.amdhsa_float_round_mode_16_64 0
		.amdhsa_float_denorm_mode_32 3
		.amdhsa_float_denorm_mode_16_64 3
		.amdhsa_dx10_clamp 1
		.amdhsa_ieee_mode 1
		.amdhsa_fp16_overflow 0
		.amdhsa_exception_fp_ieee_invalid_op 0
		.amdhsa_exception_fp_denorm_src 0
		.amdhsa_exception_fp_ieee_div_zero 0
		.amdhsa_exception_fp_ieee_overflow 0
		.amdhsa_exception_fp_ieee_underflow 0
		.amdhsa_exception_fp_ieee_inexact 0
		.amdhsa_exception_int_div_zero 0
	.end_amdhsa_kernel
	.section	.text._ZL34rocblas_syrkx_herkx_general_kernelIi19rocblas_complex_numIfELi16ELi32ELi8ELb0ELb1ELc84ELc85EKS1_S1_EviT_T0_PT8_S3_lS6_S3_lS4_PT9_S3_li,"axG",@progbits,_ZL34rocblas_syrkx_herkx_general_kernelIi19rocblas_complex_numIfELi16ELi32ELi8ELb0ELb1ELc84ELc85EKS1_S1_EviT_T0_PT8_S3_lS6_S3_lS4_PT9_S3_li,comdat
.Lfunc_end379:
	.size	_ZL34rocblas_syrkx_herkx_general_kernelIi19rocblas_complex_numIfELi16ELi32ELi8ELb0ELb1ELc84ELc85EKS1_S1_EviT_T0_PT8_S3_lS6_S3_lS4_PT9_S3_li, .Lfunc_end379-_ZL34rocblas_syrkx_herkx_general_kernelIi19rocblas_complex_numIfELi16ELi32ELi8ELb0ELb1ELc84ELc85EKS1_S1_EviT_T0_PT8_S3_lS6_S3_lS4_PT9_S3_li
                                        ; -- End function
	.set _ZL34rocblas_syrkx_herkx_general_kernelIi19rocblas_complex_numIfELi16ELi32ELi8ELb0ELb1ELc84ELc85EKS1_S1_EviT_T0_PT8_S3_lS6_S3_lS4_PT9_S3_li.num_vgpr, 48
	.set _ZL34rocblas_syrkx_herkx_general_kernelIi19rocblas_complex_numIfELi16ELi32ELi8ELb0ELb1ELc84ELc85EKS1_S1_EviT_T0_PT8_S3_lS6_S3_lS4_PT9_S3_li.num_agpr, 0
	.set _ZL34rocblas_syrkx_herkx_general_kernelIi19rocblas_complex_numIfELi16ELi32ELi8ELb0ELb1ELc84ELc85EKS1_S1_EviT_T0_PT8_S3_lS6_S3_lS4_PT9_S3_li.numbered_sgpr, 28
	.set _ZL34rocblas_syrkx_herkx_general_kernelIi19rocblas_complex_numIfELi16ELi32ELi8ELb0ELb1ELc84ELc85EKS1_S1_EviT_T0_PT8_S3_lS6_S3_lS4_PT9_S3_li.num_named_barrier, 0
	.set _ZL34rocblas_syrkx_herkx_general_kernelIi19rocblas_complex_numIfELi16ELi32ELi8ELb0ELb1ELc84ELc85EKS1_S1_EviT_T0_PT8_S3_lS6_S3_lS4_PT9_S3_li.private_seg_size, 0
	.set _ZL34rocblas_syrkx_herkx_general_kernelIi19rocblas_complex_numIfELi16ELi32ELi8ELb0ELb1ELc84ELc85EKS1_S1_EviT_T0_PT8_S3_lS6_S3_lS4_PT9_S3_li.uses_vcc, 1
	.set _ZL34rocblas_syrkx_herkx_general_kernelIi19rocblas_complex_numIfELi16ELi32ELi8ELb0ELb1ELc84ELc85EKS1_S1_EviT_T0_PT8_S3_lS6_S3_lS4_PT9_S3_li.uses_flat_scratch, 0
	.set _ZL34rocblas_syrkx_herkx_general_kernelIi19rocblas_complex_numIfELi16ELi32ELi8ELb0ELb1ELc84ELc85EKS1_S1_EviT_T0_PT8_S3_lS6_S3_lS4_PT9_S3_li.has_dyn_sized_stack, 0
	.set _ZL34rocblas_syrkx_herkx_general_kernelIi19rocblas_complex_numIfELi16ELi32ELi8ELb0ELb1ELc84ELc85EKS1_S1_EviT_T0_PT8_S3_lS6_S3_lS4_PT9_S3_li.has_recursion, 0
	.set _ZL34rocblas_syrkx_herkx_general_kernelIi19rocblas_complex_numIfELi16ELi32ELi8ELb0ELb1ELc84ELc85EKS1_S1_EviT_T0_PT8_S3_lS6_S3_lS4_PT9_S3_li.has_indirect_call, 0
	.section	.AMDGPU.csdata,"",@progbits
; Kernel info:
; codeLenInByte = 2400
; TotalNumSgprs: 32
; NumVgprs: 48
; ScratchSize: 0
; MemoryBound: 1
; FloatMode: 240
; IeeeMode: 1
; LDSByteSize: 4096 bytes/workgroup (compile time only)
; SGPRBlocks: 3
; VGPRBlocks: 11
; NumSGPRsForWavesPerEU: 32
; NumVGPRsForWavesPerEU: 48
; Occupancy: 5
; WaveLimiterHint : 0
; COMPUTE_PGM_RSRC2:SCRATCH_EN: 0
; COMPUTE_PGM_RSRC2:USER_SGPR: 6
; COMPUTE_PGM_RSRC2:TRAP_HANDLER: 0
; COMPUTE_PGM_RSRC2:TGID_X_EN: 1
; COMPUTE_PGM_RSRC2:TGID_Y_EN: 1
; COMPUTE_PGM_RSRC2:TGID_Z_EN: 1
; COMPUTE_PGM_RSRC2:TIDIG_COMP_CNT: 1
	.section	.text._ZL34rocblas_syrkx_herkx_general_kernelIi19rocblas_complex_numIfELi16ELi32ELi8ELb0ELb1ELc67ELc85EKS1_S1_EviT_T0_PT8_S3_lS6_S3_lS4_PT9_S3_li,"axG",@progbits,_ZL34rocblas_syrkx_herkx_general_kernelIi19rocblas_complex_numIfELi16ELi32ELi8ELb0ELb1ELc67ELc85EKS1_S1_EviT_T0_PT8_S3_lS6_S3_lS4_PT9_S3_li,comdat
	.globl	_ZL34rocblas_syrkx_herkx_general_kernelIi19rocblas_complex_numIfELi16ELi32ELi8ELb0ELb1ELc67ELc85EKS1_S1_EviT_T0_PT8_S3_lS6_S3_lS4_PT9_S3_li ; -- Begin function _ZL34rocblas_syrkx_herkx_general_kernelIi19rocblas_complex_numIfELi16ELi32ELi8ELb0ELb1ELc67ELc85EKS1_S1_EviT_T0_PT8_S3_lS6_S3_lS4_PT9_S3_li
	.p2align	8
	.type	_ZL34rocblas_syrkx_herkx_general_kernelIi19rocblas_complex_numIfELi16ELi32ELi8ELb0ELb1ELc67ELc85EKS1_S1_EviT_T0_PT8_S3_lS6_S3_lS4_PT9_S3_li,@function
_ZL34rocblas_syrkx_herkx_general_kernelIi19rocblas_complex_numIfELi16ELi32ELi8ELb0ELb1ELc67ELc85EKS1_S1_EviT_T0_PT8_S3_lS6_S3_lS4_PT9_S3_li: ; @_ZL34rocblas_syrkx_herkx_general_kernelIi19rocblas_complex_numIfELi16ELi32ELi8ELb0ELb1ELc67ELc85EKS1_S1_EviT_T0_PT8_S3_lS6_S3_lS4_PT9_S3_li
; %bb.0:
	s_load_dwordx2 s[10:11], s[4:5], 0x0
	s_load_dwordx4 s[16:19], s[4:5], 0x8
	s_load_dwordx4 s[12:15], s[4:5], 0x38
	s_load_dwordx2 s[24:25], s[4:5], 0x48
	s_lshl_b32 s9, s6, 5
	s_lshl_b32 s26, s7, 5
	s_waitcnt lgkmcnt(0)
	s_cmp_lt_i32 s11, 1
	s_mov_b32 s27, 0
	s_cbranch_scc1 .LBB380_11
; %bb.1:
	v_lshl_add_u32 v2, v1, 4, v0
	s_load_dword s2, s[4:5], 0x18
	s_load_dwordx4 s[20:23], s[4:5], 0x20
	s_load_dword s6, s[4:5], 0x30
	v_and_b32_e32 v8, 7, v0
	v_lshrrev_b32_e32 v9, 5, v2
	v_lshrrev_b32_e32 v3, 3, v2
	v_and_b32_e32 v2, 31, v2
	v_or_b32_e32 v5, s9, v2
	v_lshlrev_b32_e32 v6, 3, v8
	v_add_u32_e32 v4, s26, v3
	v_cmp_gt_i32_e32 vcc, s10, v5
	v_lshlrev_b32_e32 v5, 3, v2
	v_lshl_or_b32 v3, v3, 6, v6
	v_add_u32_e32 v2, s9, v2
	v_add_u32_e32 v11, 0x800, v3
	s_waitcnt lgkmcnt(0)
	v_mad_i64_i32 v[2:3], s[2:3], s2, v2, 0
	s_mul_i32 s2, s21, s8
	s_mul_hi_u32 s3, s20, s8
	v_lshlrev_b64 v[2:3], 3, v[2:3]
	s_add_i32 s3, s3, s2
	s_mul_i32 s2, s20, s8
	v_lshl_or_b32 v10, v9, 8, v5
	v_mov_b32_e32 v5, 0x800
	s_lshl_b64 s[2:3], s[2:3], 3
	v_lshl_add_u32 v13, v1, 6, v5
	v_mov_b32_e32 v5, s3
	v_add_co_u32_e64 v2, s[2:3], s2, v2
	v_addc_co_u32_e64 v3, s[2:3], v3, v5, s[2:3]
	v_lshlrev_b32_e32 v5, 3, v9
	v_add_co_u32_e64 v2, s[2:3], v2, v5
	v_addc_co_u32_e64 v3, s[2:3], 0, v3, s[2:3]
	v_mov_b32_e32 v5, s19
	v_add_co_u32_e64 v2, s[2:3], s18, v2
	v_cmp_gt_i32_e64 s[0:1], s10, v4
	v_addc_co_u32_e64 v3, s[2:3], v5, v3, s[2:3]
	v_mad_i64_i32 v[4:5], s[2:3], s6, v4, 0
	v_add_co_u32_e64 v2, s[2:3], 4, v2
	v_addc_co_u32_e64 v3, s[2:3], 0, v3, s[2:3]
	s_mul_i32 s2, s13, s8
	s_mul_hi_u32 s3, s12, s8
	v_lshlrev_b64 v[4:5], 3, v[4:5]
	s_add_i32 s3, s3, s2
	s_mul_i32 s2, s12, s8
	s_lshl_b64 s[2:3], s[2:3], 3
	v_mov_b32_e32 v7, s3
	v_add_co_u32_e64 v4, s[2:3], s2, v4
	v_addc_co_u32_e64 v5, s[2:3], v5, v7, s[2:3]
	v_add_co_u32_e64 v4, s[2:3], v4, v6
	v_addc_co_u32_e64 v5, s[2:3], 0, v5, s[2:3]
	v_mov_b32_e32 v6, s23
	v_add_co_u32_e64 v4, s[2:3], s22, v4
	v_addc_co_u32_e64 v5, s[2:3], v6, v5, s[2:3]
	v_lshlrev_b32_e32 v12, 3, v0
	s_xor_b64 s[2:3], vcc, -1
	s_xor_b64 s[0:1], s[0:1], -1
	v_mov_b32_e32 v17, 0
	v_mov_b32_e32 v16, 0
	;; [unrolled: 1-line block ×9, first 2 shown]
	s_branch .LBB380_3
.LBB380_2:                              ;   in Loop: Header=BB380_3 Depth=1
	s_or_b64 exec, exec, s[6:7]
	s_waitcnt lgkmcnt(0)
	s_barrier
	ds_read2_b64 v[22:25], v12 offset1:16
	ds_read_b128 v[26:29], v13
	ds_read_b128 v[30:33], v13 offset:16
	v_add_co_u32_e32 v2, vcc, 64, v2
	v_addc_co_u32_e32 v3, vcc, 0, v3, vcc
	s_waitcnt lgkmcnt(1)
	v_mul_f32_e32 v34, v26, v23
	v_fmac_f32_e32 v34, v27, v22
	v_add_f32_e32 v46, v21, v34
	ds_read_b128 v[34:37], v13 offset:1024
	v_mul_f32_e32 v7, v27, v23
	v_fma_f32 v7, v26, v22, -v7
	v_add_f32_e32 v7, v20, v7
	v_mul_f32_e32 v20, v27, v25
	v_mul_f32_e32 v21, v26, v25
	v_fma_f32 v20, v26, v24, -v20
	v_fmac_f32_e32 v21, v27, v24
	v_add_f32_e32 v26, v18, v20
	v_add_f32_e32 v27, v19, v21
	ds_read_b128 v[18:21], v13 offset:1040
	s_waitcnt lgkmcnt(1)
	v_mul_f32_e32 v38, v35, v23
	v_mul_f32_e32 v23, v34, v23
	v_fma_f32 v38, v34, v22, -v38
	v_fmac_f32_e32 v23, v35, v22
	v_mul_f32_e32 v22, v35, v25
	v_fma_f32 v47, v34, v24, -v22
	v_mul_f32_e32 v34, v34, v25
	v_add_f32_e32 v14, v14, v38
	v_add_f32_e32 v15, v15, v23
	v_fmac_f32_e32 v34, v35, v24
	ds_read2_b64 v[22:25], v12 offset0:32 offset1:48
	ds_read_b128 v[38:41], v13 offset:32
	ds_read_b128 v[42:45], v13 offset:48
	v_add_f32_e32 v35, v16, v47
	v_add_f32_e32 v34, v17, v34
	s_waitcnt lgkmcnt(2)
	v_mul_f32_e32 v16, v29, v23
	v_fma_f32 v16, v28, v22, -v16
	v_mul_f32_e32 v17, v28, v23
	v_fmac_f32_e32 v17, v29, v22
	v_add_f32_e32 v7, v7, v16
	v_mul_f32_e32 v16, v29, v25
	v_add_f32_e32 v46, v46, v17
	v_fma_f32 v16, v28, v24, -v16
	v_mul_f32_e32 v17, v28, v25
	v_fmac_f32_e32 v17, v29, v24
	v_add_f32_e32 v26, v26, v16
	v_mul_f32_e32 v16, v37, v23
	v_add_f32_e32 v27, v27, v17
	;; [unrolled: 6-line block ×3, first 2 shown]
	v_fma_f32 v28, v36, v24, -v14
	ds_read2_b64 v[14:17], v12 offset0:64 offset1:80
	v_mul_f32_e32 v25, v36, v25
	v_fmac_f32_e32 v25, v37, v24
	v_add_f32_e32 v29, v34, v25
	v_add_f32_e32 v28, v35, v28
	s_waitcnt lgkmcnt(0)
	v_mul_f32_e32 v24, v31, v15
	v_fma_f32 v24, v30, v14, -v24
	v_add_f32_e32 v7, v7, v24
	v_mul_f32_e32 v24, v31, v17
	v_mul_f32_e32 v25, v30, v15
	v_fma_f32 v24, v30, v16, -v24
	v_fmac_f32_e32 v25, v31, v14
	v_add_f32_e32 v26, v26, v24
	v_mul_f32_e32 v24, v19, v15
	v_add_f32_e32 v34, v46, v25
	v_mul_f32_e32 v25, v30, v17
	v_fma_f32 v24, v18, v14, -v24
	v_mul_f32_e32 v15, v18, v15
	v_fmac_f32_e32 v25, v31, v16
	v_fmac_f32_e32 v15, v19, v14
	v_add_f32_e32 v14, v22, v24
	v_mul_f32_e32 v22, v19, v17
	v_add_f32_e32 v27, v27, v25
	v_add_f32_e32 v15, v23, v15
	v_fma_f32 v30, v18, v16, -v22
	ds_read2_b64 v[22:25], v12 offset0:96 offset1:112
	v_mul_f32_e32 v17, v18, v17
	v_fmac_f32_e32 v17, v19, v16
	v_add_f32_e32 v19, v29, v17
	v_add_f32_e32 v18, v28, v30
	s_waitcnt lgkmcnt(0)
	v_mul_f32_e32 v16, v33, v23
	v_fma_f32 v16, v32, v22, -v16
	v_mul_f32_e32 v17, v32, v23
	v_fmac_f32_e32 v17, v33, v22
	v_add_f32_e32 v7, v7, v16
	v_mul_f32_e32 v16, v33, v25
	v_add_f32_e32 v28, v34, v17
	v_fma_f32 v16, v32, v24, -v16
	v_mul_f32_e32 v17, v32, v25
	v_fmac_f32_e32 v17, v33, v24
	v_add_f32_e32 v26, v26, v16
	v_mul_f32_e32 v16, v21, v23
	v_add_f32_e32 v27, v27, v17
	;; [unrolled: 6-line block ×3, first 2 shown]
	v_fma_f32 v22, v20, v24, -v14
	ds_read2_b64 v[14:17], v12 offset0:128 offset1:144
	v_mul_f32_e32 v20, v20, v25
	v_fmac_f32_e32 v20, v21, v24
	v_add_f32_e32 v31, v18, v22
	v_add_f32_e32 v32, v19, v20
	s_waitcnt lgkmcnt(0)
	v_mul_f32_e32 v18, v39, v15
	v_fma_f32 v18, v38, v14, -v18
	v_mul_f32_e32 v19, v38, v15
	v_fmac_f32_e32 v19, v39, v14
	v_add_f32_e32 v7, v7, v18
	v_mul_f32_e32 v18, v39, v17
	v_add_f32_e32 v33, v28, v19
	v_fma_f32 v22, v38, v16, -v18
	ds_read_b128 v[18:21], v13 offset:1056
	v_mul_f32_e32 v23, v38, v17
	v_fmac_f32_e32 v23, v39, v16
	v_add_f32_e32 v34, v26, v22
	v_add_f32_e32 v35, v27, v23
	ds_read_b128 v[22:25], v13 offset:1072
	s_waitcnt lgkmcnt(1)
	v_mul_f32_e32 v26, v19, v15
	v_fma_f32 v26, v18, v14, -v26
	v_mul_f32_e32 v15, v18, v15
	v_fmac_f32_e32 v15, v19, v14
	v_add_f32_e32 v14, v29, v26
	v_mul_f32_e32 v26, v19, v17
	v_add_f32_e32 v15, v30, v15
	v_fma_f32 v30, v18, v16, -v26
	ds_read2_b64 v[26:29], v12 offset0:160 offset1:176
	v_mul_f32_e32 v17, v18, v17
	v_fmac_f32_e32 v17, v19, v16
	v_add_f32_e32 v19, v32, v17
	v_add_f32_e32 v18, v31, v30
	s_waitcnt lgkmcnt(0)
	v_mul_f32_e32 v16, v41, v27
	v_fma_f32 v16, v40, v26, -v16
	v_mul_f32_e32 v17, v40, v27
	v_fmac_f32_e32 v17, v41, v26
	v_add_f32_e32 v7, v7, v16
	v_mul_f32_e32 v16, v41, v29
	v_add_f32_e32 v30, v33, v17
	v_fma_f32 v16, v40, v28, -v16
	v_mul_f32_e32 v17, v40, v29
	v_fmac_f32_e32 v17, v41, v28
	v_add_f32_e32 v31, v34, v16
	v_mul_f32_e32 v16, v21, v27
	v_add_f32_e32 v32, v35, v17
	;; [unrolled: 6-line block ×3, first 2 shown]
	v_fma_f32 v33, v20, v28, -v14
	ds_read2_b64 v[14:17], v12 offset0:192 offset1:208
	v_mul_f32_e32 v20, v20, v29
	v_fmac_f32_e32 v20, v21, v28
	v_add_f32_e32 v19, v19, v20
	v_add_f32_e32 v18, v18, v33
	s_waitcnt lgkmcnt(0)
	v_mul_f32_e32 v20, v43, v15
	v_fma_f32 v20, v42, v14, -v20
	v_mul_f32_e32 v21, v42, v15
	v_add_f32_e32 v7, v7, v20
	v_mul_f32_e32 v20, v43, v17
	v_fmac_f32_e32 v21, v43, v14
	v_fma_f32 v20, v42, v16, -v20
	v_add_f32_e32 v21, v30, v21
	v_mul_f32_e32 v28, v42, v17
	v_add_f32_e32 v30, v31, v20
	v_mul_f32_e32 v20, v23, v15
	v_mul_f32_e32 v15, v22, v15
	v_fmac_f32_e32 v28, v43, v16
	v_fma_f32 v20, v22, v14, -v20
	v_fmac_f32_e32 v15, v23, v14
	v_add_f32_e32 v31, v32, v28
	v_add_f32_e32 v14, v26, v20
	;; [unrolled: 1-line block ×3, first 2 shown]
	ds_read2_b64 v[26:29], v12 offset0:224 offset1:240
	v_mul_f32_e32 v20, v23, v17
	v_fma_f32 v20, v22, v16, -v20
	v_mul_f32_e32 v17, v22, v17
	v_fmac_f32_e32 v17, v23, v16
	v_add_f32_e32 v16, v18, v20
	s_waitcnt lgkmcnt(0)
	v_mul_f32_e32 v18, v45, v27
	v_fma_f32 v18, v44, v26, -v18
	v_add_f32_e32 v20, v7, v18
	v_mul_f32_e32 v7, v45, v29
	v_fma_f32 v7, v44, v28, -v7
	v_add_f32_e32 v17, v19, v17
	v_mul_f32_e32 v19, v44, v27
	v_add_f32_e32 v18, v30, v7
	v_mul_f32_e32 v7, v25, v27
	v_mul_f32_e32 v22, v24, v27
	v_fmac_f32_e32 v19, v45, v26
	v_fma_f32 v7, v24, v26, -v7
	v_fmac_f32_e32 v22, v25, v26
	v_add_f32_e32 v21, v21, v19
	v_mul_f32_e32 v19, v44, v29
	v_add_f32_e32 v14, v14, v7
	v_add_f32_e32 v15, v15, v22
	v_mul_f32_e32 v7, v25, v29
	v_mul_f32_e32 v22, v24, v29
	v_fmac_f32_e32 v19, v45, v28
	v_fma_f32 v7, v24, v28, -v7
	v_fmac_f32_e32 v22, v25, v28
	s_add_i32 s27, s27, 8
	v_add_co_u32_e32 v4, vcc, 64, v4
	v_add_f32_e32 v19, v31, v19
	v_add_f32_e32 v16, v16, v7
	;; [unrolled: 1-line block ×3, first 2 shown]
	s_cmp_ge_i32 s27, s11
	v_addc_co_u32_e32 v5, vcc, 0, v5, vcc
	s_barrier
	s_cbranch_scc1 .LBB380_12
.LBB380_3:                              ; =>This Inner Loop Header: Depth=1
	v_add_u32_e32 v7, s27, v9
	v_cmp_le_i32_e32 vcc, s11, v7
	s_or_b64 s[6:7], s[2:3], vcc
	s_and_saveexec_b64 s[12:13], s[6:7]
	s_xor_b64 s[6:7], exec, s[12:13]
; %bb.4:                                ;   in Loop: Header=BB380_3 Depth=1
	ds_write_b32 v10, v6
; %bb.5:                                ;   in Loop: Header=BB380_3 Depth=1
	s_or_saveexec_b64 s[6:7], s[6:7]
	v_mov_b32_e32 v7, 0
	s_xor_b64 exec, exec, s[6:7]
	s_cbranch_execz .LBB380_7
; %bb.6:                                ;   in Loop: Header=BB380_3 Depth=1
	global_load_dwordx2 v[22:23], v[2:3], off offset:-4
	s_waitcnt vmcnt(0)
	v_xor_b32_e32 v7, 0x80000000, v23
	ds_write_b32 v10, v22
.LBB380_7:                              ;   in Loop: Header=BB380_3 Depth=1
	s_or_b64 exec, exec, s[6:7]
	ds_write_b32 v10, v7 offset:4
	v_add_u32_e32 v7, s27, v8
	v_cmp_le_i32_e32 vcc, s11, v7
	s_or_b64 s[6:7], vcc, s[0:1]
	s_and_saveexec_b64 s[12:13], s[6:7]
	s_xor_b64 s[6:7], exec, s[12:13]
; %bb.8:                                ;   in Loop: Header=BB380_3 Depth=1
	v_mov_b32_e32 v7, v6
	ds_write_b64 v11, v[6:7]
; %bb.9:                                ;   in Loop: Header=BB380_3 Depth=1
	s_andn2_saveexec_b64 s[6:7], s[6:7]
	s_cbranch_execz .LBB380_2
; %bb.10:                               ;   in Loop: Header=BB380_3 Depth=1
	global_load_dwordx2 v[22:23], v[4:5], off
	s_waitcnt vmcnt(0)
	ds_write_b64 v11, v[22:23]
	s_branch .LBB380_2
.LBB380_11:
	v_mov_b32_e32 v20, 0
	v_mov_b32_e32 v21, 0
	;; [unrolled: 1-line block ×8, first 2 shown]
.LBB380_12:
	s_load_dwordx2 s[0:1], s[4:5], 0x58
	s_load_dword s6, s[4:5], 0x50
	v_add_u32_e32 v5, s26, v1
	v_add_u32_e32 v0, s9, v0
	v_cmp_gt_i32_e32 vcc, s10, v5
	s_waitcnt lgkmcnt(0)
	s_mul_i32 s1, s1, s8
	s_mul_hi_u32 s2, s0, s8
	s_add_i32 s1, s2, s1
	v_mad_i64_i32 v[1:2], s[2:3], v5, s6, 0
	s_mul_i32 s0, s0, s8
	s_lshl_b64 s[0:1], s[0:1], 3
	s_add_u32 s4, s24, s0
	v_lshlrev_b64 v[1:2], 3, v[1:2]
	s_addc_u32 s5, s25, s1
	v_mov_b32_e32 v3, s5
	v_add_co_u32_e64 v4, s[0:1], s4, v1
	v_addc_co_u32_e64 v6, s[0:1], v3, v2, s[0:1]
	v_cmp_le_i32_e64 s[0:1], v0, v5
	s_and_b64 s[0:1], vcc, s[0:1]
	s_and_saveexec_b64 s[2:3], s[0:1]
	s_cbranch_execz .LBB380_15
; %bb.13:
	v_ashrrev_i32_e32 v1, 31, v0
	v_lshlrev_b64 v[1:2], 3, v[0:1]
	v_mul_f32_e32 v3, s17, v21
	v_add_co_u32_e64 v1, s[0:1], v4, v1
	v_addc_co_u32_e64 v2, s[0:1], v6, v2, s[0:1]
	global_load_dwordx2 v[7:8], v[1:2], off
	v_mul_f32_e32 v9, s16, v21
	v_fma_f32 v3, v20, s16, -v3
	v_fmac_f32_e32 v9, s17, v20
	v_cmp_eq_u32_e64 s[0:1], v5, v0
	s_waitcnt vmcnt(0)
	v_mul_f32_e32 v10, s15, v8
	v_mul_f32_e32 v8, s14, v8
	v_fma_f32 v10, v7, s14, -v10
	v_fmac_f32_e32 v8, s15, v7
	v_add_f32_e32 v7, v3, v10
	v_add_f32_e32 v8, v9, v8
	global_store_dwordx2 v[1:2], v[7:8], off
	s_and_b64 exec, exec, s[0:1]
	s_cbranch_execz .LBB380_15
; %bb.14:
	v_mov_b32_e32 v3, 0
	global_store_dword v[1:2], v3, off offset:4
.LBB380_15:
	s_or_b64 exec, exec, s[2:3]
	v_add_u32_e32 v2, 16, v0
	v_cmp_le_i32_e64 s[0:1], v2, v5
	s_and_b64 s[2:3], vcc, s[0:1]
	s_and_saveexec_b64 s[0:1], s[2:3]
	s_cbranch_execz .LBB380_18
; %bb.16:
	v_ashrrev_i32_e32 v3, 31, v2
	v_lshlrev_b64 v[7:8], 3, v[2:3]
	v_mul_f32_e32 v1, s17, v19
	v_add_co_u32_e32 v3, vcc, v4, v7
	v_addc_co_u32_e32 v4, vcc, v6, v8, vcc
	global_load_dwordx2 v[6:7], v[3:4], off
	v_mul_f32_e32 v8, s16, v19
	v_fma_f32 v1, v18, s16, -v1
	v_fmac_f32_e32 v8, s17, v18
	v_cmp_eq_u32_e32 vcc, v5, v2
	s_waitcnt vmcnt(0)
	v_mul_f32_e32 v9, s15, v7
	v_mul_f32_e32 v7, s14, v7
	v_fma_f32 v9, v6, s14, -v9
	v_fmac_f32_e32 v7, s15, v6
	v_add_f32_e32 v6, v1, v9
	v_add_f32_e32 v7, v8, v7
	global_store_dwordx2 v[3:4], v[6:7], off
	s_and_b64 exec, exec, vcc
	s_cbranch_execz .LBB380_18
; %bb.17:
	v_mov_b32_e32 v1, 0
	global_store_dword v[3:4], v1, off offset:4
.LBB380_18:
	s_or_b64 exec, exec, s[0:1]
	v_add_u32_e32 v8, 16, v5
	v_mad_i64_i32 v[3:4], s[0:1], v8, s6, 0
	v_mov_b32_e32 v1, s5
	v_cmp_gt_i32_e32 vcc, s10, v8
	v_lshlrev_b64 v[3:4], 3, v[3:4]
	v_add_co_u32_e64 v6, s[0:1], s4, v3
	v_addc_co_u32_e64 v7, s[0:1], v1, v4, s[0:1]
	v_cmp_le_i32_e64 s[0:1], v0, v8
	s_and_b64 s[0:1], vcc, s[0:1]
	s_and_saveexec_b64 s[2:3], s[0:1]
	s_cbranch_execz .LBB380_21
; %bb.19:
	v_ashrrev_i32_e32 v1, 31, v0
	v_lshlrev_b64 v[3:4], 3, v[0:1]
	v_mul_f32_e32 v1, s17, v15
	v_add_co_u32_e64 v3, s[0:1], v6, v3
	v_addc_co_u32_e64 v4, s[0:1], v7, v4, s[0:1]
	global_load_dwordx2 v[9:10], v[3:4], off
	v_mul_f32_e32 v11, s16, v15
	v_fma_f32 v1, v14, s16, -v1
	v_fmac_f32_e32 v11, s17, v14
	v_cmp_eq_u32_e64 s[0:1], v8, v0
	s_waitcnt vmcnt(0)
	v_mul_f32_e32 v12, s15, v10
	v_mul_f32_e32 v10, s14, v10
	v_fma_f32 v12, v9, s14, -v12
	v_fmac_f32_e32 v10, s15, v9
	v_add_f32_e32 v9, v1, v12
	v_add_f32_e32 v10, v11, v10
	global_store_dwordx2 v[3:4], v[9:10], off
	s_and_b64 exec, exec, s[0:1]
	s_cbranch_execz .LBB380_21
; %bb.20:
	v_mov_b32_e32 v1, 0
	global_store_dword v[3:4], v1, off offset:4
.LBB380_21:
	s_or_b64 exec, exec, s[2:3]
	v_cmp_le_i32_e64 s[0:1], v2, v8
	s_and_b64 s[0:1], vcc, s[0:1]
	s_and_saveexec_b64 s[2:3], s[0:1]
	s_cbranch_execz .LBB380_24
; %bb.22:
	v_ashrrev_i32_e32 v3, 31, v2
	v_lshlrev_b64 v[1:2], 3, v[2:3]
	v_add_co_u32_e32 v1, vcc, v6, v1
	v_addc_co_u32_e32 v2, vcc, v7, v2, vcc
	global_load_dwordx2 v[3:4], v[1:2], off
	v_mul_f32_e32 v6, s17, v17
	v_mul_f32_e32 v7, s16, v17
	v_fma_f32 v6, v16, s16, -v6
	v_fmac_f32_e32 v7, s17, v16
	v_cmp_eq_u32_e32 vcc, v5, v0
	s_waitcnt vmcnt(0)
	v_mul_f32_e32 v8, s15, v4
	v_mul_f32_e32 v4, s14, v4
	v_fma_f32 v8, v3, s14, -v8
	v_fmac_f32_e32 v4, s15, v3
	v_add_f32_e32 v3, v6, v8
	v_add_f32_e32 v4, v7, v4
	global_store_dwordx2 v[1:2], v[3:4], off
	s_and_b64 exec, exec, vcc
	s_cbranch_execz .LBB380_24
; %bb.23:
	v_mov_b32_e32 v0, 0
	global_store_dword v[1:2], v0, off offset:4
.LBB380_24:
	s_endpgm
	.section	.rodata,"a",@progbits
	.p2align	6, 0x0
	.amdhsa_kernel _ZL34rocblas_syrkx_herkx_general_kernelIi19rocblas_complex_numIfELi16ELi32ELi8ELb0ELb1ELc67ELc85EKS1_S1_EviT_T0_PT8_S3_lS6_S3_lS4_PT9_S3_li
		.amdhsa_group_segment_fixed_size 4096
		.amdhsa_private_segment_fixed_size 0
		.amdhsa_kernarg_size 100
		.amdhsa_user_sgpr_count 6
		.amdhsa_user_sgpr_private_segment_buffer 1
		.amdhsa_user_sgpr_dispatch_ptr 0
		.amdhsa_user_sgpr_queue_ptr 0
		.amdhsa_user_sgpr_kernarg_segment_ptr 1
		.amdhsa_user_sgpr_dispatch_id 0
		.amdhsa_user_sgpr_flat_scratch_init 0
		.amdhsa_user_sgpr_private_segment_size 0
		.amdhsa_uses_dynamic_stack 0
		.amdhsa_system_sgpr_private_segment_wavefront_offset 0
		.amdhsa_system_sgpr_workgroup_id_x 1
		.amdhsa_system_sgpr_workgroup_id_y 1
		.amdhsa_system_sgpr_workgroup_id_z 1
		.amdhsa_system_sgpr_workgroup_info 0
		.amdhsa_system_vgpr_workitem_id 1
		.amdhsa_next_free_vgpr 48
		.amdhsa_next_free_sgpr 28
		.amdhsa_reserve_vcc 1
		.amdhsa_reserve_flat_scratch 0
		.amdhsa_float_round_mode_32 0
		.amdhsa_float_round_mode_16_64 0
		.amdhsa_float_denorm_mode_32 3
		.amdhsa_float_denorm_mode_16_64 3
		.amdhsa_dx10_clamp 1
		.amdhsa_ieee_mode 1
		.amdhsa_fp16_overflow 0
		.amdhsa_exception_fp_ieee_invalid_op 0
		.amdhsa_exception_fp_denorm_src 0
		.amdhsa_exception_fp_ieee_div_zero 0
		.amdhsa_exception_fp_ieee_overflow 0
		.amdhsa_exception_fp_ieee_underflow 0
		.amdhsa_exception_fp_ieee_inexact 0
		.amdhsa_exception_int_div_zero 0
	.end_amdhsa_kernel
	.section	.text._ZL34rocblas_syrkx_herkx_general_kernelIi19rocblas_complex_numIfELi16ELi32ELi8ELb0ELb1ELc67ELc85EKS1_S1_EviT_T0_PT8_S3_lS6_S3_lS4_PT9_S3_li,"axG",@progbits,_ZL34rocblas_syrkx_herkx_general_kernelIi19rocblas_complex_numIfELi16ELi32ELi8ELb0ELb1ELc67ELc85EKS1_S1_EviT_T0_PT8_S3_lS6_S3_lS4_PT9_S3_li,comdat
.Lfunc_end380:
	.size	_ZL34rocblas_syrkx_herkx_general_kernelIi19rocblas_complex_numIfELi16ELi32ELi8ELb0ELb1ELc67ELc85EKS1_S1_EviT_T0_PT8_S3_lS6_S3_lS4_PT9_S3_li, .Lfunc_end380-_ZL34rocblas_syrkx_herkx_general_kernelIi19rocblas_complex_numIfELi16ELi32ELi8ELb0ELb1ELc67ELc85EKS1_S1_EviT_T0_PT8_S3_lS6_S3_lS4_PT9_S3_li
                                        ; -- End function
	.set _ZL34rocblas_syrkx_herkx_general_kernelIi19rocblas_complex_numIfELi16ELi32ELi8ELb0ELb1ELc67ELc85EKS1_S1_EviT_T0_PT8_S3_lS6_S3_lS4_PT9_S3_li.num_vgpr, 48
	.set _ZL34rocblas_syrkx_herkx_general_kernelIi19rocblas_complex_numIfELi16ELi32ELi8ELb0ELb1ELc67ELc85EKS1_S1_EviT_T0_PT8_S3_lS6_S3_lS4_PT9_S3_li.num_agpr, 0
	.set _ZL34rocblas_syrkx_herkx_general_kernelIi19rocblas_complex_numIfELi16ELi32ELi8ELb0ELb1ELc67ELc85EKS1_S1_EviT_T0_PT8_S3_lS6_S3_lS4_PT9_S3_li.numbered_sgpr, 28
	.set _ZL34rocblas_syrkx_herkx_general_kernelIi19rocblas_complex_numIfELi16ELi32ELi8ELb0ELb1ELc67ELc85EKS1_S1_EviT_T0_PT8_S3_lS6_S3_lS4_PT9_S3_li.num_named_barrier, 0
	.set _ZL34rocblas_syrkx_herkx_general_kernelIi19rocblas_complex_numIfELi16ELi32ELi8ELb0ELb1ELc67ELc85EKS1_S1_EviT_T0_PT8_S3_lS6_S3_lS4_PT9_S3_li.private_seg_size, 0
	.set _ZL34rocblas_syrkx_herkx_general_kernelIi19rocblas_complex_numIfELi16ELi32ELi8ELb0ELb1ELc67ELc85EKS1_S1_EviT_T0_PT8_S3_lS6_S3_lS4_PT9_S3_li.uses_vcc, 1
	.set _ZL34rocblas_syrkx_herkx_general_kernelIi19rocblas_complex_numIfELi16ELi32ELi8ELb0ELb1ELc67ELc85EKS1_S1_EviT_T0_PT8_S3_lS6_S3_lS4_PT9_S3_li.uses_flat_scratch, 0
	.set _ZL34rocblas_syrkx_herkx_general_kernelIi19rocblas_complex_numIfELi16ELi32ELi8ELb0ELb1ELc67ELc85EKS1_S1_EviT_T0_PT8_S3_lS6_S3_lS4_PT9_S3_li.has_dyn_sized_stack, 0
	.set _ZL34rocblas_syrkx_herkx_general_kernelIi19rocblas_complex_numIfELi16ELi32ELi8ELb0ELb1ELc67ELc85EKS1_S1_EviT_T0_PT8_S3_lS6_S3_lS4_PT9_S3_li.has_recursion, 0
	.set _ZL34rocblas_syrkx_herkx_general_kernelIi19rocblas_complex_numIfELi16ELi32ELi8ELb0ELb1ELc67ELc85EKS1_S1_EviT_T0_PT8_S3_lS6_S3_lS4_PT9_S3_li.has_indirect_call, 0
	.section	.AMDGPU.csdata,"",@progbits
; Kernel info:
; codeLenInByte = 2436
; TotalNumSgprs: 32
; NumVgprs: 48
; ScratchSize: 0
; MemoryBound: 1
; FloatMode: 240
; IeeeMode: 1
; LDSByteSize: 4096 bytes/workgroup (compile time only)
; SGPRBlocks: 3
; VGPRBlocks: 11
; NumSGPRsForWavesPerEU: 32
; NumVGPRsForWavesPerEU: 48
; Occupancy: 5
; WaveLimiterHint : 0
; COMPUTE_PGM_RSRC2:SCRATCH_EN: 0
; COMPUTE_PGM_RSRC2:USER_SGPR: 6
; COMPUTE_PGM_RSRC2:TRAP_HANDLER: 0
; COMPUTE_PGM_RSRC2:TGID_X_EN: 1
; COMPUTE_PGM_RSRC2:TGID_Y_EN: 1
; COMPUTE_PGM_RSRC2:TGID_Z_EN: 1
; COMPUTE_PGM_RSRC2:TIDIG_COMP_CNT: 1
	.section	.text._ZL34rocblas_syrkx_herkx_general_kernelIi19rocblas_complex_numIfELi16ELi32ELi8ELb0ELb1ELc78ELc85EKS1_S1_EviT_T0_PT8_S3_lS6_S3_lS4_PT9_S3_li,"axG",@progbits,_ZL34rocblas_syrkx_herkx_general_kernelIi19rocblas_complex_numIfELi16ELi32ELi8ELb0ELb1ELc78ELc85EKS1_S1_EviT_T0_PT8_S3_lS6_S3_lS4_PT9_S3_li,comdat
	.globl	_ZL34rocblas_syrkx_herkx_general_kernelIi19rocblas_complex_numIfELi16ELi32ELi8ELb0ELb1ELc78ELc85EKS1_S1_EviT_T0_PT8_S3_lS6_S3_lS4_PT9_S3_li ; -- Begin function _ZL34rocblas_syrkx_herkx_general_kernelIi19rocblas_complex_numIfELi16ELi32ELi8ELb0ELb1ELc78ELc85EKS1_S1_EviT_T0_PT8_S3_lS6_S3_lS4_PT9_S3_li
	.p2align	8
	.type	_ZL34rocblas_syrkx_herkx_general_kernelIi19rocblas_complex_numIfELi16ELi32ELi8ELb0ELb1ELc78ELc85EKS1_S1_EviT_T0_PT8_S3_lS6_S3_lS4_PT9_S3_li,@function
_ZL34rocblas_syrkx_herkx_general_kernelIi19rocblas_complex_numIfELi16ELi32ELi8ELb0ELb1ELc78ELc85EKS1_S1_EviT_T0_PT8_S3_lS6_S3_lS4_PT9_S3_li: ; @_ZL34rocblas_syrkx_herkx_general_kernelIi19rocblas_complex_numIfELi16ELi32ELi8ELb0ELb1ELc78ELc85EKS1_S1_EviT_T0_PT8_S3_lS6_S3_lS4_PT9_S3_li
; %bb.0:
	s_load_dwordx2 s[10:11], s[4:5], 0x0
	s_load_dwordx4 s[16:19], s[4:5], 0x8
	s_load_dwordx4 s[12:15], s[4:5], 0x38
	s_load_dwordx2 s[24:25], s[4:5], 0x48
	s_lshl_b32 s9, s6, 5
	s_lshl_b32 s26, s7, 5
	s_waitcnt lgkmcnt(0)
	s_cmp_lt_i32 s11, 1
	s_mov_b32 s27, 0
	s_cbranch_scc1 .LBB381_11
; %bb.1:
	v_lshl_add_u32 v2, v1, 4, v0
	v_and_b32_e32 v6, 31, v2
	v_lshrrev_b32_e32 v9, 5, v2
	v_lshrrev_b32_e32 v3, 3, v2
	v_or_b32_e32 v2, s9, v6
	s_load_dword s6, s[4:5], 0x18
	s_load_dword s28, s[4:5], 0x30
	s_load_dwordx4 s[20:23], s[4:5], 0x20
	v_and_b32_e32 v8, 7, v0
	v_cmp_gt_i32_e32 vcc, s10, v2
	v_lshlrev_b32_e32 v2, 3, v6
	v_lshl_or_b32 v10, v9, 8, v2
	v_lshlrev_b32_e32 v2, 3, v8
	v_lshl_or_b32 v2, v3, 6, v2
	v_add_u32_e32 v4, s26, v3
	v_add_u32_e32 v11, 0x800, v2
	s_waitcnt lgkmcnt(0)
	v_mad_i64_i32 v[2:3], s[2:3], v9, s6, 0
	s_mul_i32 s2, s21, s8
	s_mul_hi_u32 s3, s20, s8
	v_lshlrev_b64 v[2:3], 3, v[2:3]
	s_add_i32 s3, s3, s2
	s_mul_i32 s2, s20, s8
	v_mov_b32_e32 v7, 0x800
	s_lshl_b64 s[2:3], s[2:3], 3
	v_lshl_add_u32 v13, v1, 6, v7
	v_mov_b32_e32 v7, s3
	v_add_co_u32_e64 v14, s[2:3], s2, v2
	v_add_u32_e32 v2, s9, v6
	v_addc_co_u32_e64 v7, s[2:3], v3, v7, s[2:3]
	v_ashrrev_i32_e32 v3, 31, v2
	v_lshlrev_b64 v[2:3], 3, v[2:3]
	v_mov_b32_e32 v6, s19
	v_add_co_u32_e64 v2, s[2:3], v14, v2
	v_addc_co_u32_e64 v3, s[2:3], v7, v3, s[2:3]
	v_add_co_u32_e64 v2, s[2:3], s18, v2
	v_addc_co_u32_e64 v3, s[2:3], v6, v3, s[2:3]
	v_mad_i64_i32 v[6:7], s[2:3], s28, v8, 0
	s_mul_i32 s13, s13, s8
	s_mul_hi_u32 s18, s12, s8
	s_add_i32 s3, s18, s13
	s_mul_i32 s2, s12, s8
	v_lshlrev_b64 v[6:7], 3, v[6:7]
	v_ashrrev_i32_e32 v5, 31, v4
	s_lshl_b64 s[2:3], s[2:3], 3
	v_cmp_gt_i32_e64 s[0:1], s10, v4
	v_mov_b32_e32 v14, s3
	v_add_co_u32_e64 v6, s[2:3], s2, v6
	v_lshlrev_b64 v[4:5], 3, v[4:5]
	v_addc_co_u32_e64 v7, s[2:3], v14, v7, s[2:3]
	v_add_co_u32_e64 v4, s[2:3], v6, v4
	v_addc_co_u32_e64 v5, s[2:3], v7, v5, s[2:3]
	v_mov_b32_e32 v6, s23
	v_add_co_u32_e64 v4, s[2:3], s22, v4
	v_addc_co_u32_e64 v5, s[2:3], v6, v5, s[2:3]
	v_add_co_u32_e64 v4, s[2:3], 4, v4
	s_ashr_i32 s7, s6, 31
	s_ashr_i32 s29, s28, 31
	v_addc_co_u32_e64 v5, s[2:3], 0, v5, s[2:3]
	s_lshl_b64 s[6:7], s[6:7], 6
	s_lshl_b64 s[2:3], s[28:29], 6
	v_lshlrev_b32_e32 v12, 3, v0
	s_xor_b64 s[12:13], vcc, -1
	s_xor_b64 s[0:1], s[0:1], -1
	v_mov_b32_e32 v14, s7
	v_mov_b32_e32 v15, s3
	;; [unrolled: 1-line block ×11, first 2 shown]
	s_branch .LBB381_3
.LBB381_2:                              ;   in Loop: Header=BB381_3 Depth=1
	s_or_b64 exec, exec, s[18:19]
	ds_write_b32 v11, v7 offset:4
	s_waitcnt lgkmcnt(0)
	s_barrier
	ds_read2_b64 v[24:27], v12 offset1:16
	ds_read_b128 v[28:31], v13
	ds_read_b128 v[32:35], v13 offset:16
	ds_read2_b64 v[40:43], v12 offset0:32 offset1:48
	v_add_co_u32_e32 v2, vcc, s6, v2
	s_waitcnt lgkmcnt(2)
	v_mul_f32_e32 v36, v28, v25
	v_fmac_f32_e32 v36, v29, v24
	v_add_f32_e32 v44, v22, v36
	ds_read_b128 v[36:39], v13 offset:1024
	v_mul_f32_e32 v7, v29, v25
	v_fma_f32 v7, v28, v24, -v7
	v_add_f32_e32 v7, v20, v7
	v_mul_f32_e32 v20, v29, v27
	v_mul_f32_e32 v22, v28, v27
	v_fma_f32 v20, v28, v26, -v20
	v_fmac_f32_e32 v22, v29, v26
	v_add_f32_e32 v45, v21, v20
	v_add_f32_e32 v46, v23, v22
	ds_read_b128 v[20:23], v13 offset:1040
	s_waitcnt lgkmcnt(1)
	v_mul_f32_e32 v28, v37, v25
	v_fma_f32 v28, v36, v24, -v28
	v_mul_f32_e32 v47, v36, v25
	v_add_f32_e32 v48, v18, v28
	v_mul_f32_e32 v18, v37, v27
	v_fmac_f32_e32 v47, v37, v24
	v_fma_f32 v18, v36, v26, -v18
	v_mul_f32_e32 v36, v36, v27
	v_mul_f32_e32 v24, v31, v41
	v_fmac_f32_e32 v36, v37, v26
	v_fma_f32 v37, v30, v40, -v24
	v_mul_f32_e32 v24, v31, v43
	v_fma_f32 v50, v30, v42, -v24
	v_mul_f32_e32 v24, v39, v41
	v_mul_f32_e32 v49, v30, v41
	v_fma_f32 v52, v38, v40, -v24
	v_mul_f32_e32 v41, v38, v41
	v_mul_f32_e32 v24, v39, v43
	v_fmac_f32_e32 v49, v31, v40
	v_mul_f32_e32 v51, v30, v43
	v_fmac_f32_e32 v41, v39, v40
	v_fma_f32 v40, v38, v42, -v24
	v_mul_f32_e32 v38, v38, v43
	v_fmac_f32_e32 v51, v31, v42
	v_fmac_f32_e32 v38, v39, v42
	ds_read_b128 v[24:27], v13 offset:32
	ds_read_b128 v[28:31], v13 offset:48
	v_add_f32_e32 v39, v16, v47
	v_add_f32_e32 v42, v17, v18
	;; [unrolled: 1-line block ×3, first 2 shown]
	ds_read2_b64 v[16:19], v12 offset0:64 offset1:80
	v_add_f32_e32 v39, v39, v41
	v_add_f32_e32 v41, v36, v38
	;; [unrolled: 1-line block ×4, first 2 shown]
	s_waitcnt lgkmcnt(0)
	v_mul_f32_e32 v36, v33, v17
	v_fma_f32 v36, v32, v16, -v36
	v_add_f32_e32 v7, v7, v36
	v_mul_f32_e32 v36, v33, v19
	v_mul_f32_e32 v38, v32, v17
	v_fma_f32 v36, v32, v18, -v36
	v_mul_f32_e32 v32, v32, v19
	v_fmac_f32_e32 v38, v33, v16
	v_fmac_f32_e32 v32, v33, v18
	v_add_f32_e32 v33, v43, v36
	v_mul_f32_e32 v36, v21, v17
	v_add_f32_e32 v45, v48, v52
	v_fma_f32 v36, v20, v16, -v36
	v_mul_f32_e32 v17, v20, v17
	v_add_f32_e32 v37, v44, v49
	v_fmac_f32_e32 v17, v21, v16
	v_add_f32_e32 v16, v45, v36
	v_mul_f32_e32 v36, v21, v19
	v_add_f32_e32 v40, v42, v40
	v_add_f32_e32 v42, v37, v38
	;; [unrolled: 1-line block ×3, first 2 shown]
	v_fma_f32 v43, v20, v18, -v36
	ds_read2_b64 v[36:39], v12 offset0:96 offset1:112
	v_mul_f32_e32 v19, v20, v19
	v_fmac_f32_e32 v19, v21, v18
	v_add_f32_e32 v21, v41, v19
	v_add_f32_e32 v44, v46, v51
	s_waitcnt lgkmcnt(0)
	v_mul_f32_e32 v18, v35, v37
	v_fma_f32 v18, v34, v36, -v18
	v_mul_f32_e32 v19, v34, v37
	v_fmac_f32_e32 v19, v35, v36
	v_add_f32_e32 v7, v7, v18
	v_mul_f32_e32 v18, v35, v39
	v_add_f32_e32 v20, v40, v43
	v_add_f32_e32 v40, v42, v19
	v_fma_f32 v18, v34, v38, -v18
	v_mul_f32_e32 v19, v34, v39
	v_add_f32_e32 v32, v44, v32
	v_fmac_f32_e32 v19, v35, v38
	v_add_f32_e32 v33, v33, v18
	v_mul_f32_e32 v18, v23, v37
	v_add_f32_e32 v32, v32, v19
	v_fma_f32 v18, v22, v36, -v18
	v_mul_f32_e32 v19, v22, v37
	v_fmac_f32_e32 v19, v23, v36
	v_add_f32_e32 v36, v16, v18
	v_mul_f32_e32 v16, v23, v39
	v_add_f32_e32 v37, v17, v19
	v_fma_f32 v34, v22, v38, -v16
	ds_read2_b64 v[16:19], v12 offset0:128 offset1:144
	v_mul_f32_e32 v22, v22, v39
	v_fmac_f32_e32 v22, v23, v38
	v_add_f32_e32 v41, v20, v34
	v_add_f32_e32 v42, v21, v22
	s_waitcnt lgkmcnt(0)
	v_mul_f32_e32 v20, v25, v17
	v_fma_f32 v20, v24, v16, -v20
	v_mul_f32_e32 v21, v24, v17
	v_fmac_f32_e32 v21, v25, v16
	v_add_f32_e32 v7, v7, v20
	v_mul_f32_e32 v20, v25, v19
	v_add_f32_e32 v40, v40, v21
	v_fma_f32 v34, v24, v18, -v20
	ds_read_b128 v[20:23], v13 offset:1056
	v_mul_f32_e32 v24, v24, v19
	v_fmac_f32_e32 v24, v25, v18
	v_add_f32_e32 v25, v33, v34
	v_add_f32_e32 v24, v32, v24
	ds_read_b128 v[32:35], v13 offset:1072
	s_waitcnt lgkmcnt(1)
	v_mul_f32_e32 v38, v21, v17
	v_fma_f32 v38, v20, v16, -v38
	v_mul_f32_e32 v17, v20, v17
	v_fmac_f32_e32 v17, v21, v16
	v_add_f32_e32 v16, v36, v38
	v_mul_f32_e32 v36, v21, v19
	v_add_f32_e32 v17, v37, v17
	v_fma_f32 v43, v20, v18, -v36
	ds_read2_b64 v[36:39], v12 offset0:160 offset1:176
	v_mul_f32_e32 v19, v20, v19
	v_fmac_f32_e32 v19, v21, v18
	v_add_f32_e32 v21, v42, v19
	v_add_f32_e32 v20, v41, v43
	s_waitcnt lgkmcnt(0)
	v_mul_f32_e32 v18, v27, v37
	v_fma_f32 v18, v26, v36, -v18
	v_mul_f32_e32 v19, v26, v37
	v_fmac_f32_e32 v19, v27, v36
	v_add_f32_e32 v7, v7, v18
	v_mul_f32_e32 v18, v27, v39
	v_add_f32_e32 v40, v40, v19
	v_fma_f32 v18, v26, v38, -v18
	v_mul_f32_e32 v19, v26, v39
	v_fmac_f32_e32 v19, v27, v38
	v_add_f32_e32 v25, v25, v18
	v_mul_f32_e32 v18, v23, v37
	v_add_f32_e32 v24, v24, v19
	;; [unrolled: 6-line block ×3, first 2 shown]
	v_fma_f32 v36, v22, v38, -v16
	ds_read2_b64 v[16:19], v12 offset0:192 offset1:208
	v_mul_f32_e32 v22, v22, v39
	v_fmac_f32_e32 v22, v23, v38
	v_add_f32_e32 v21, v21, v22
	v_add_f32_e32 v20, v20, v36
	s_waitcnt lgkmcnt(0)
	v_mul_f32_e32 v22, v29, v17
	v_mul_f32_e32 v23, v28, v17
	v_fma_f32 v22, v28, v16, -v22
	v_fmac_f32_e32 v23, v29, v16
	v_add_f32_e32 v7, v7, v22
	v_add_f32_e32 v22, v40, v23
	v_mul_f32_e32 v23, v29, v19
	v_fma_f32 v23, v28, v18, -v23
	v_mul_f32_e32 v28, v28, v19
	v_fmac_f32_e32 v28, v29, v18
	v_add_f32_e32 v28, v24, v28
	v_mul_f32_e32 v24, v33, v17
	v_fma_f32 v24, v32, v16, -v24
	v_mul_f32_e32 v17, v32, v17
	v_fmac_f32_e32 v17, v33, v16
	v_add_f32_e32 v16, v26, v24
	v_mul_f32_e32 v24, v33, v19
	v_add_f32_e32 v23, v25, v23
	v_add_f32_e32 v17, v27, v17
	v_fma_f32 v29, v32, v18, -v24
	ds_read2_b64 v[24:27], v12 offset0:224 offset1:240
	v_mul_f32_e32 v19, v32, v19
	v_fmac_f32_e32 v19, v33, v18
	v_add_f32_e32 v29, v20, v29
	v_add_f32_e32 v19, v21, v19
	s_waitcnt lgkmcnt(0)
	v_mul_f32_e32 v18, v31, v25
	v_fma_f32 v18, v30, v24, -v18
	v_mul_f32_e32 v21, v30, v25
	v_add_f32_e32 v20, v7, v18
	v_mul_f32_e32 v7, v31, v27
	v_fmac_f32_e32 v21, v31, v24
	v_fma_f32 v7, v30, v26, -v7
	v_add_f32_e32 v22, v22, v21
	v_mul_f32_e32 v18, v30, v27
	v_add_f32_e32 v21, v23, v7
	v_mul_f32_e32 v7, v35, v25
	v_fmac_f32_e32 v18, v31, v26
	v_fma_f32 v7, v34, v24, -v7
	v_mul_f32_e32 v25, v34, v25
	v_add_f32_e32 v23, v28, v18
	v_fmac_f32_e32 v25, v35, v24
	v_add_f32_e32 v18, v16, v7
	v_mul_f32_e32 v7, v35, v27
	v_mul_f32_e32 v24, v34, v27
	v_addc_co_u32_e32 v3, vcc, v3, v14, vcc
	v_fma_f32 v7, v34, v26, -v7
	v_fmac_f32_e32 v24, v35, v26
	s_add_i32 s27, s27, 8
	v_add_co_u32_e32 v4, vcc, s2, v4
	v_add_f32_e32 v16, v17, v25
	v_add_f32_e32 v17, v29, v7
	;; [unrolled: 1-line block ×3, first 2 shown]
	s_cmp_ge_i32 s27, s11
	v_addc_co_u32_e32 v5, vcc, v5, v15, vcc
	s_barrier
	s_cbranch_scc1 .LBB381_12
.LBB381_3:                              ; =>This Inner Loop Header: Depth=1
	v_add_u32_e32 v7, s27, v9
	v_cmp_le_i32_e32 vcc, s11, v7
	s_or_b64 s[18:19], s[12:13], vcc
	s_and_saveexec_b64 s[20:21], s[18:19]
	s_xor_b64 s[18:19], exec, s[20:21]
; %bb.4:                                ;   in Loop: Header=BB381_3 Depth=1
	v_mov_b32_e32 v7, v6
	ds_write_b64 v10, v[6:7]
; %bb.5:                                ;   in Loop: Header=BB381_3 Depth=1
	s_andn2_saveexec_b64 s[18:19], s[18:19]
	s_cbranch_execz .LBB381_7
; %bb.6:                                ;   in Loop: Header=BB381_3 Depth=1
	global_load_dwordx2 v[24:25], v[2:3], off
	s_waitcnt vmcnt(0)
	ds_write_b64 v10, v[24:25]
.LBB381_7:                              ;   in Loop: Header=BB381_3 Depth=1
	s_or_b64 exec, exec, s[18:19]
	v_add_u32_e32 v7, s27, v8
	v_cmp_le_i32_e32 vcc, s11, v7
	s_or_b64 s[18:19], vcc, s[0:1]
	s_and_saveexec_b64 s[20:21], s[18:19]
	s_xor_b64 s[18:19], exec, s[20:21]
; %bb.8:                                ;   in Loop: Header=BB381_3 Depth=1
	ds_write_b32 v11, v6
; %bb.9:                                ;   in Loop: Header=BB381_3 Depth=1
	s_or_saveexec_b64 s[18:19], s[18:19]
	v_mov_b32_e32 v7, 0
	s_xor_b64 exec, exec, s[18:19]
	s_cbranch_execz .LBB381_2
; %bb.10:                               ;   in Loop: Header=BB381_3 Depth=1
	global_load_dwordx2 v[24:25], v[4:5], off offset:-4
	s_waitcnt vmcnt(0)
	v_xor_b32_e32 v7, 0x80000000, v25
	ds_write_b32 v11, v24
	s_branch .LBB381_2
.LBB381_11:
	v_mov_b32_e32 v20, 0
	v_mov_b32_e32 v22, 0
	;; [unrolled: 1-line block ×8, first 2 shown]
.LBB381_12:
	s_load_dwordx2 s[0:1], s[4:5], 0x58
	s_load_dword s6, s[4:5], 0x50
	v_add_u32_e32 v5, s26, v1
	v_add_u32_e32 v0, s9, v0
	v_cmp_gt_i32_e32 vcc, s10, v5
	s_waitcnt lgkmcnt(0)
	s_mul_i32 s1, s1, s8
	s_mul_hi_u32 s2, s0, s8
	s_add_i32 s1, s2, s1
	v_mad_i64_i32 v[1:2], s[2:3], v5, s6, 0
	s_mul_i32 s0, s0, s8
	s_lshl_b64 s[0:1], s[0:1], 3
	s_add_u32 s4, s24, s0
	v_lshlrev_b64 v[1:2], 3, v[1:2]
	s_addc_u32 s5, s25, s1
	v_mov_b32_e32 v3, s5
	v_add_co_u32_e64 v4, s[0:1], s4, v1
	v_addc_co_u32_e64 v6, s[0:1], v3, v2, s[0:1]
	v_cmp_le_i32_e64 s[0:1], v0, v5
	s_and_b64 s[0:1], vcc, s[0:1]
	s_and_saveexec_b64 s[2:3], s[0:1]
	s_cbranch_execz .LBB381_15
; %bb.13:
	v_ashrrev_i32_e32 v1, 31, v0
	v_lshlrev_b64 v[1:2], 3, v[0:1]
	v_mul_f32_e32 v3, s17, v22
	v_add_co_u32_e64 v1, s[0:1], v4, v1
	v_addc_co_u32_e64 v2, s[0:1], v6, v2, s[0:1]
	global_load_dwordx2 v[7:8], v[1:2], off
	v_mul_f32_e32 v9, s16, v22
	v_fma_f32 v3, v20, s16, -v3
	v_fmac_f32_e32 v9, s17, v20
	v_cmp_eq_u32_e64 s[0:1], v5, v0
	s_waitcnt vmcnt(0)
	v_mul_f32_e32 v10, s15, v8
	v_mul_f32_e32 v8, s14, v8
	v_fma_f32 v10, v7, s14, -v10
	v_fmac_f32_e32 v8, s15, v7
	v_add_f32_e32 v7, v3, v10
	v_add_f32_e32 v8, v9, v8
	global_store_dwordx2 v[1:2], v[7:8], off
	s_and_b64 exec, exec, s[0:1]
	s_cbranch_execz .LBB381_15
; %bb.14:
	v_mov_b32_e32 v3, 0
	global_store_dword v[1:2], v3, off offset:4
.LBB381_15:
	s_or_b64 exec, exec, s[2:3]
	v_add_u32_e32 v2, 16, v0
	v_cmp_le_i32_e64 s[0:1], v2, v5
	s_and_b64 s[2:3], vcc, s[0:1]
	s_and_saveexec_b64 s[0:1], s[2:3]
	s_cbranch_execz .LBB381_18
; %bb.16:
	v_ashrrev_i32_e32 v3, 31, v2
	v_lshlrev_b64 v[7:8], 3, v[2:3]
	v_mul_f32_e32 v1, s17, v23
	v_add_co_u32_e32 v3, vcc, v4, v7
	v_addc_co_u32_e32 v4, vcc, v6, v8, vcc
	global_load_dwordx2 v[6:7], v[3:4], off
	v_mul_f32_e32 v8, s16, v23
	v_fma_f32 v1, v21, s16, -v1
	v_fmac_f32_e32 v8, s17, v21
	v_cmp_eq_u32_e32 vcc, v5, v2
	s_waitcnt vmcnt(0)
	v_mul_f32_e32 v9, s15, v7
	v_mul_f32_e32 v7, s14, v7
	v_fma_f32 v9, v6, s14, -v9
	v_fmac_f32_e32 v7, s15, v6
	v_add_f32_e32 v6, v1, v9
	v_add_f32_e32 v7, v8, v7
	global_store_dwordx2 v[3:4], v[6:7], off
	s_and_b64 exec, exec, vcc
	s_cbranch_execz .LBB381_18
; %bb.17:
	v_mov_b32_e32 v1, 0
	global_store_dword v[3:4], v1, off offset:4
.LBB381_18:
	s_or_b64 exec, exec, s[0:1]
	v_add_u32_e32 v8, 16, v5
	v_mad_i64_i32 v[3:4], s[0:1], v8, s6, 0
	v_mov_b32_e32 v1, s5
	v_cmp_gt_i32_e32 vcc, s10, v8
	v_lshlrev_b64 v[3:4], 3, v[3:4]
	v_add_co_u32_e64 v6, s[0:1], s4, v3
	v_addc_co_u32_e64 v7, s[0:1], v1, v4, s[0:1]
	v_cmp_le_i32_e64 s[0:1], v0, v8
	s_and_b64 s[0:1], vcc, s[0:1]
	s_and_saveexec_b64 s[2:3], s[0:1]
	s_cbranch_execz .LBB381_21
; %bb.19:
	v_ashrrev_i32_e32 v1, 31, v0
	v_lshlrev_b64 v[3:4], 3, v[0:1]
	v_mul_f32_e32 v1, s17, v16
	v_add_co_u32_e64 v3, s[0:1], v6, v3
	v_addc_co_u32_e64 v4, s[0:1], v7, v4, s[0:1]
	global_load_dwordx2 v[9:10], v[3:4], off
	v_mul_f32_e32 v11, s16, v16
	v_fma_f32 v1, v18, s16, -v1
	v_fmac_f32_e32 v11, s17, v18
	v_cmp_eq_u32_e64 s[0:1], v8, v0
	s_waitcnt vmcnt(0)
	v_mul_f32_e32 v12, s15, v10
	v_mul_f32_e32 v10, s14, v10
	v_fma_f32 v12, v9, s14, -v12
	v_fmac_f32_e32 v10, s15, v9
	v_add_f32_e32 v9, v1, v12
	v_add_f32_e32 v10, v11, v10
	global_store_dwordx2 v[3:4], v[9:10], off
	s_and_b64 exec, exec, s[0:1]
	s_cbranch_execz .LBB381_21
; %bb.20:
	v_mov_b32_e32 v1, 0
	global_store_dword v[3:4], v1, off offset:4
.LBB381_21:
	s_or_b64 exec, exec, s[2:3]
	v_cmp_le_i32_e64 s[0:1], v2, v8
	s_and_b64 s[0:1], vcc, s[0:1]
	s_and_saveexec_b64 s[2:3], s[0:1]
	s_cbranch_execz .LBB381_24
; %bb.22:
	v_ashrrev_i32_e32 v3, 31, v2
	v_lshlrev_b64 v[1:2], 3, v[2:3]
	v_add_co_u32_e32 v1, vcc, v6, v1
	v_addc_co_u32_e32 v2, vcc, v7, v2, vcc
	global_load_dwordx2 v[3:4], v[1:2], off
	v_mul_f32_e32 v6, s17, v19
	v_mul_f32_e32 v7, s16, v19
	v_fma_f32 v6, v17, s16, -v6
	v_fmac_f32_e32 v7, s17, v17
	v_cmp_eq_u32_e32 vcc, v5, v0
	s_waitcnt vmcnt(0)
	v_mul_f32_e32 v8, s15, v4
	v_mul_f32_e32 v4, s14, v4
	v_fma_f32 v8, v3, s14, -v8
	v_fmac_f32_e32 v4, s15, v3
	v_add_f32_e32 v3, v6, v8
	v_add_f32_e32 v4, v7, v4
	global_store_dwordx2 v[1:2], v[3:4], off
	s_and_b64 exec, exec, vcc
	s_cbranch_execz .LBB381_24
; %bb.23:
	v_mov_b32_e32 v0, 0
	global_store_dword v[1:2], v0, off offset:4
.LBB381_24:
	s_endpgm
	.section	.rodata,"a",@progbits
	.p2align	6, 0x0
	.amdhsa_kernel _ZL34rocblas_syrkx_herkx_general_kernelIi19rocblas_complex_numIfELi16ELi32ELi8ELb0ELb1ELc78ELc85EKS1_S1_EviT_T0_PT8_S3_lS6_S3_lS4_PT9_S3_li
		.amdhsa_group_segment_fixed_size 4096
		.amdhsa_private_segment_fixed_size 0
		.amdhsa_kernarg_size 100
		.amdhsa_user_sgpr_count 6
		.amdhsa_user_sgpr_private_segment_buffer 1
		.amdhsa_user_sgpr_dispatch_ptr 0
		.amdhsa_user_sgpr_queue_ptr 0
		.amdhsa_user_sgpr_kernarg_segment_ptr 1
		.amdhsa_user_sgpr_dispatch_id 0
		.amdhsa_user_sgpr_flat_scratch_init 0
		.amdhsa_user_sgpr_private_segment_size 0
		.amdhsa_uses_dynamic_stack 0
		.amdhsa_system_sgpr_private_segment_wavefront_offset 0
		.amdhsa_system_sgpr_workgroup_id_x 1
		.amdhsa_system_sgpr_workgroup_id_y 1
		.amdhsa_system_sgpr_workgroup_id_z 1
		.amdhsa_system_sgpr_workgroup_info 0
		.amdhsa_system_vgpr_workitem_id 1
		.amdhsa_next_free_vgpr 53
		.amdhsa_next_free_sgpr 30
		.amdhsa_reserve_vcc 1
		.amdhsa_reserve_flat_scratch 0
		.amdhsa_float_round_mode_32 0
		.amdhsa_float_round_mode_16_64 0
		.amdhsa_float_denorm_mode_32 3
		.amdhsa_float_denorm_mode_16_64 3
		.amdhsa_dx10_clamp 1
		.amdhsa_ieee_mode 1
		.amdhsa_fp16_overflow 0
		.amdhsa_exception_fp_ieee_invalid_op 0
		.amdhsa_exception_fp_denorm_src 0
		.amdhsa_exception_fp_ieee_div_zero 0
		.amdhsa_exception_fp_ieee_overflow 0
		.amdhsa_exception_fp_ieee_underflow 0
		.amdhsa_exception_fp_ieee_inexact 0
		.amdhsa_exception_int_div_zero 0
	.end_amdhsa_kernel
	.section	.text._ZL34rocblas_syrkx_herkx_general_kernelIi19rocblas_complex_numIfELi16ELi32ELi8ELb0ELb1ELc78ELc85EKS1_S1_EviT_T0_PT8_S3_lS6_S3_lS4_PT9_S3_li,"axG",@progbits,_ZL34rocblas_syrkx_herkx_general_kernelIi19rocblas_complex_numIfELi16ELi32ELi8ELb0ELb1ELc78ELc85EKS1_S1_EviT_T0_PT8_S3_lS6_S3_lS4_PT9_S3_li,comdat
.Lfunc_end381:
	.size	_ZL34rocblas_syrkx_herkx_general_kernelIi19rocblas_complex_numIfELi16ELi32ELi8ELb0ELb1ELc78ELc85EKS1_S1_EviT_T0_PT8_S3_lS6_S3_lS4_PT9_S3_li, .Lfunc_end381-_ZL34rocblas_syrkx_herkx_general_kernelIi19rocblas_complex_numIfELi16ELi32ELi8ELb0ELb1ELc78ELc85EKS1_S1_EviT_T0_PT8_S3_lS6_S3_lS4_PT9_S3_li
                                        ; -- End function
	.set _ZL34rocblas_syrkx_herkx_general_kernelIi19rocblas_complex_numIfELi16ELi32ELi8ELb0ELb1ELc78ELc85EKS1_S1_EviT_T0_PT8_S3_lS6_S3_lS4_PT9_S3_li.num_vgpr, 53
	.set _ZL34rocblas_syrkx_herkx_general_kernelIi19rocblas_complex_numIfELi16ELi32ELi8ELb0ELb1ELc78ELc85EKS1_S1_EviT_T0_PT8_S3_lS6_S3_lS4_PT9_S3_li.num_agpr, 0
	.set _ZL34rocblas_syrkx_herkx_general_kernelIi19rocblas_complex_numIfELi16ELi32ELi8ELb0ELb1ELc78ELc85EKS1_S1_EviT_T0_PT8_S3_lS6_S3_lS4_PT9_S3_li.numbered_sgpr, 30
	.set _ZL34rocblas_syrkx_herkx_general_kernelIi19rocblas_complex_numIfELi16ELi32ELi8ELb0ELb1ELc78ELc85EKS1_S1_EviT_T0_PT8_S3_lS6_S3_lS4_PT9_S3_li.num_named_barrier, 0
	.set _ZL34rocblas_syrkx_herkx_general_kernelIi19rocblas_complex_numIfELi16ELi32ELi8ELb0ELb1ELc78ELc85EKS1_S1_EviT_T0_PT8_S3_lS6_S3_lS4_PT9_S3_li.private_seg_size, 0
	.set _ZL34rocblas_syrkx_herkx_general_kernelIi19rocblas_complex_numIfELi16ELi32ELi8ELb0ELb1ELc78ELc85EKS1_S1_EviT_T0_PT8_S3_lS6_S3_lS4_PT9_S3_li.uses_vcc, 1
	.set _ZL34rocblas_syrkx_herkx_general_kernelIi19rocblas_complex_numIfELi16ELi32ELi8ELb0ELb1ELc78ELc85EKS1_S1_EviT_T0_PT8_S3_lS6_S3_lS4_PT9_S3_li.uses_flat_scratch, 0
	.set _ZL34rocblas_syrkx_herkx_general_kernelIi19rocblas_complex_numIfELi16ELi32ELi8ELb0ELb1ELc78ELc85EKS1_S1_EviT_T0_PT8_S3_lS6_S3_lS4_PT9_S3_li.has_dyn_sized_stack, 0
	.set _ZL34rocblas_syrkx_herkx_general_kernelIi19rocblas_complex_numIfELi16ELi32ELi8ELb0ELb1ELc78ELc85EKS1_S1_EviT_T0_PT8_S3_lS6_S3_lS4_PT9_S3_li.has_recursion, 0
	.set _ZL34rocblas_syrkx_herkx_general_kernelIi19rocblas_complex_numIfELi16ELi32ELi8ELb0ELb1ELc78ELc85EKS1_S1_EviT_T0_PT8_S3_lS6_S3_lS4_PT9_S3_li.has_indirect_call, 0
	.section	.AMDGPU.csdata,"",@progbits
; Kernel info:
; codeLenInByte = 2476
; TotalNumSgprs: 34
; NumVgprs: 53
; ScratchSize: 0
; MemoryBound: 1
; FloatMode: 240
; IeeeMode: 1
; LDSByteSize: 4096 bytes/workgroup (compile time only)
; SGPRBlocks: 4
; VGPRBlocks: 13
; NumSGPRsForWavesPerEU: 34
; NumVGPRsForWavesPerEU: 53
; Occupancy: 4
; WaveLimiterHint : 0
; COMPUTE_PGM_RSRC2:SCRATCH_EN: 0
; COMPUTE_PGM_RSRC2:USER_SGPR: 6
; COMPUTE_PGM_RSRC2:TRAP_HANDLER: 0
; COMPUTE_PGM_RSRC2:TGID_X_EN: 1
; COMPUTE_PGM_RSRC2:TGID_Y_EN: 1
; COMPUTE_PGM_RSRC2:TGID_Z_EN: 1
; COMPUTE_PGM_RSRC2:TIDIG_COMP_CNT: 1
	.section	.text._ZL26rocblas_syr2k_scale_kernelIiLi128ELi8ELb1E19rocblas_complex_numIfES1_PS1_EvbiT_T3_T4_T5_S3_li,"axG",@progbits,_ZL26rocblas_syr2k_scale_kernelIiLi128ELi8ELb1E19rocblas_complex_numIfES1_PS1_EvbiT_T3_T4_T5_S3_li,comdat
	.globl	_ZL26rocblas_syr2k_scale_kernelIiLi128ELi8ELb1E19rocblas_complex_numIfES1_PS1_EvbiT_T3_T4_T5_S3_li ; -- Begin function _ZL26rocblas_syr2k_scale_kernelIiLi128ELi8ELb1E19rocblas_complex_numIfES1_PS1_EvbiT_T3_T4_T5_S3_li
	.p2align	8
	.type	_ZL26rocblas_syr2k_scale_kernelIiLi128ELi8ELb1E19rocblas_complex_numIfES1_PS1_EvbiT_T3_T4_T5_S3_li,@function
_ZL26rocblas_syr2k_scale_kernelIiLi128ELi8ELb1E19rocblas_complex_numIfES1_PS1_EvbiT_T3_T4_T5_S3_li: ; @_ZL26rocblas_syr2k_scale_kernelIiLi128ELi8ELb1E19rocblas_complex_numIfES1_PS1_EvbiT_T3_T4_T5_S3_li
; %bb.0:
	s_load_dwordx8 s[12:19], s[4:5], 0x0
	s_waitcnt lgkmcnt(0)
	v_cmp_eq_f32_e64 s[0:1], s17, 1.0
	v_cmp_eq_f32_e64 s[2:3], s18, 0
	s_and_b64 s[0:1], s[0:1], s[2:3]
	s_andn2_b64 vcc, exec, s[0:1]
	s_mov_b64 s[0:1], -1
	s_cbranch_vccnz .LBB382_3
; %bb.1:
	s_cmp_lg_u32 s14, 0
	s_cbranch_scc0 .LBB382_8
; %bb.2:
	v_cmp_neq_f32_e64 s[0:1], s15, 0
	v_cmp_neq_f32_e64 s[2:3], s16, 0
	s_or_b64 s[0:1], s[0:1], s[2:3]
.LBB382_3:
	s_and_b64 vcc, exec, s[0:1]
	s_cbranch_vccz .LBB382_9
; %bb.4:
	s_load_dword s0, s[4:5], 0x4c
	s_bitcmp1_b32 s12, 0
	s_cselect_b64 vcc, -1, 0
	s_waitcnt lgkmcnt(0)
	s_lshr_b32 s1, s0, 16
	s_and_b32 s0, s0, 0xffff
	s_mul_i32 s6, s6, s0
	s_mul_i32 s7, s7, s1
	v_add_u32_e32 v0, s6, v0
	v_add_u32_e32 v4, s7, v1
	v_cndmask_b32_e32 v1, v4, v0, vcc
	v_cndmask_b32_e32 v2, v0, v4, vcc
	v_max_u32_e32 v3, v0, v4
	v_cmp_gt_u32_e32 vcc, s13, v3
	v_cmp_le_i32_e64 s[0:1], v1, v2
	s_and_b64 s[0:1], vcc, s[0:1]
	s_and_saveexec_b64 s[2:3], s[0:1]
	s_cbranch_execz .LBB382_9
; %bb.5:
	s_load_dword s6, s[4:5], 0x28
	s_load_dwordx2 s[0:1], s[4:5], 0x30
	s_load_dwordx2 s[2:3], s[4:5], 0x20
	s_waitcnt lgkmcnt(0)
	v_mad_u64_u32 v[2:3], s[4:5], v4, s6, 0
	s_ashr_i32 s7, s6, 31
	s_mul_i32 s1, s1, s8
	s_mul_hi_u32 s4, s0, s8
	v_mov_b32_e32 v1, v3
	s_add_i32 s1, s4, s1
	v_mad_u64_u32 v[5:6], s[4:5], v4, s7, v[1:2]
	s_mul_i32 s0, s0, s8
	s_lshl_b64 s[0:1], s[0:1], 3
	v_mov_b32_e32 v3, v5
	s_add_u32 s0, s2, s0
	v_lshlrev_b64 v[2:3], 3, v[2:3]
	s_addc_u32 s1, s3, s1
	v_mov_b32_e32 v1, 0
	v_mov_b32_e32 v5, s1
	v_add_co_u32_e32 v6, vcc, s0, v2
	v_addc_co_u32_e32 v5, vcc, v5, v3, vcc
	v_lshlrev_b64 v[2:3], 3, v[0:1]
	s_or_b32 s0, s17, s18
	v_add_co_u32_e32 v2, vcc, v6, v2
	s_bitset0_b32 s0, 31
	v_addc_co_u32_e32 v3, vcc, v5, v3, vcc
	s_cmp_eq_u32 s0, 0
	v_mov_b32_e32 v5, v1
	s_cbranch_scc1 .LBB382_7
; %bb.6:
	global_load_dwordx2 v[6:7], v[2:3], off
	s_waitcnt vmcnt(0)
	v_mul_f32_e32 v1, s18, v7
	v_mul_f32_e32 v5, s17, v7
	v_fma_f32 v1, v6, s17, -v1
	v_fmac_f32_e32 v5, s18, v6
.LBB382_7:
	v_cmp_ne_u32_e32 vcc, v0, v4
	v_cndmask_b32_e32 v5, 0, v5, vcc
	v_mov_b32_e32 v4, v1
	global_store_dwordx2 v[2:3], v[4:5], off
	s_endpgm
.LBB382_8:
.LBB382_9:
	s_endpgm
	.section	.rodata,"a",@progbits
	.p2align	6, 0x0
	.amdhsa_kernel _ZL26rocblas_syr2k_scale_kernelIiLi128ELi8ELb1E19rocblas_complex_numIfES1_PS1_EvbiT_T3_T4_T5_S3_li
		.amdhsa_group_segment_fixed_size 0
		.amdhsa_private_segment_fixed_size 0
		.amdhsa_kernarg_size 320
		.amdhsa_user_sgpr_count 6
		.amdhsa_user_sgpr_private_segment_buffer 1
		.amdhsa_user_sgpr_dispatch_ptr 0
		.amdhsa_user_sgpr_queue_ptr 0
		.amdhsa_user_sgpr_kernarg_segment_ptr 1
		.amdhsa_user_sgpr_dispatch_id 0
		.amdhsa_user_sgpr_flat_scratch_init 0
		.amdhsa_user_sgpr_private_segment_size 0
		.amdhsa_uses_dynamic_stack 0
		.amdhsa_system_sgpr_private_segment_wavefront_offset 0
		.amdhsa_system_sgpr_workgroup_id_x 1
		.amdhsa_system_sgpr_workgroup_id_y 1
		.amdhsa_system_sgpr_workgroup_id_z 1
		.amdhsa_system_sgpr_workgroup_info 0
		.amdhsa_system_vgpr_workitem_id 1
		.amdhsa_next_free_vgpr 8
		.amdhsa_next_free_sgpr 20
		.amdhsa_reserve_vcc 1
		.amdhsa_reserve_flat_scratch 0
		.amdhsa_float_round_mode_32 0
		.amdhsa_float_round_mode_16_64 0
		.amdhsa_float_denorm_mode_32 3
		.amdhsa_float_denorm_mode_16_64 3
		.amdhsa_dx10_clamp 1
		.amdhsa_ieee_mode 1
		.amdhsa_fp16_overflow 0
		.amdhsa_exception_fp_ieee_invalid_op 0
		.amdhsa_exception_fp_denorm_src 0
		.amdhsa_exception_fp_ieee_div_zero 0
		.amdhsa_exception_fp_ieee_overflow 0
		.amdhsa_exception_fp_ieee_underflow 0
		.amdhsa_exception_fp_ieee_inexact 0
		.amdhsa_exception_int_div_zero 0
	.end_amdhsa_kernel
	.section	.text._ZL26rocblas_syr2k_scale_kernelIiLi128ELi8ELb1E19rocblas_complex_numIfES1_PS1_EvbiT_T3_T4_T5_S3_li,"axG",@progbits,_ZL26rocblas_syr2k_scale_kernelIiLi128ELi8ELb1E19rocblas_complex_numIfES1_PS1_EvbiT_T3_T4_T5_S3_li,comdat
.Lfunc_end382:
	.size	_ZL26rocblas_syr2k_scale_kernelIiLi128ELi8ELb1E19rocblas_complex_numIfES1_PS1_EvbiT_T3_T4_T5_S3_li, .Lfunc_end382-_ZL26rocblas_syr2k_scale_kernelIiLi128ELi8ELb1E19rocblas_complex_numIfES1_PS1_EvbiT_T3_T4_T5_S3_li
                                        ; -- End function
	.set _ZL26rocblas_syr2k_scale_kernelIiLi128ELi8ELb1E19rocblas_complex_numIfES1_PS1_EvbiT_T3_T4_T5_S3_li.num_vgpr, 8
	.set _ZL26rocblas_syr2k_scale_kernelIiLi128ELi8ELb1E19rocblas_complex_numIfES1_PS1_EvbiT_T3_T4_T5_S3_li.num_agpr, 0
	.set _ZL26rocblas_syr2k_scale_kernelIiLi128ELi8ELb1E19rocblas_complex_numIfES1_PS1_EvbiT_T3_T4_T5_S3_li.numbered_sgpr, 20
	.set _ZL26rocblas_syr2k_scale_kernelIiLi128ELi8ELb1E19rocblas_complex_numIfES1_PS1_EvbiT_T3_T4_T5_S3_li.num_named_barrier, 0
	.set _ZL26rocblas_syr2k_scale_kernelIiLi128ELi8ELb1E19rocblas_complex_numIfES1_PS1_EvbiT_T3_T4_T5_S3_li.private_seg_size, 0
	.set _ZL26rocblas_syr2k_scale_kernelIiLi128ELi8ELb1E19rocblas_complex_numIfES1_PS1_EvbiT_T3_T4_T5_S3_li.uses_vcc, 1
	.set _ZL26rocblas_syr2k_scale_kernelIiLi128ELi8ELb1E19rocblas_complex_numIfES1_PS1_EvbiT_T3_T4_T5_S3_li.uses_flat_scratch, 0
	.set _ZL26rocblas_syr2k_scale_kernelIiLi128ELi8ELb1E19rocblas_complex_numIfES1_PS1_EvbiT_T3_T4_T5_S3_li.has_dyn_sized_stack, 0
	.set _ZL26rocblas_syr2k_scale_kernelIiLi128ELi8ELb1E19rocblas_complex_numIfES1_PS1_EvbiT_T3_T4_T5_S3_li.has_recursion, 0
	.set _ZL26rocblas_syr2k_scale_kernelIiLi128ELi8ELb1E19rocblas_complex_numIfES1_PS1_EvbiT_T3_T4_T5_S3_li.has_indirect_call, 0
	.section	.AMDGPU.csdata,"",@progbits
; Kernel info:
; codeLenInByte = 368
; TotalNumSgprs: 24
; NumVgprs: 8
; ScratchSize: 0
; MemoryBound: 0
; FloatMode: 240
; IeeeMode: 1
; LDSByteSize: 0 bytes/workgroup (compile time only)
; SGPRBlocks: 2
; VGPRBlocks: 1
; NumSGPRsForWavesPerEU: 24
; NumVGPRsForWavesPerEU: 8
; Occupancy: 10
; WaveLimiterHint : 0
; COMPUTE_PGM_RSRC2:SCRATCH_EN: 0
; COMPUTE_PGM_RSRC2:USER_SGPR: 6
; COMPUTE_PGM_RSRC2:TRAP_HANDLER: 0
; COMPUTE_PGM_RSRC2:TGID_X_EN: 1
; COMPUTE_PGM_RSRC2:TGID_Y_EN: 1
; COMPUTE_PGM_RSRC2:TGID_Z_EN: 1
; COMPUTE_PGM_RSRC2:TIDIG_COMP_CNT: 1
	.section	.text._ZL26rocblas_syr2k_her2k_kernelIiLb0ELb1ELb0ELi32EPK19rocblas_complex_numIfES3_PS1_EvbiT_T4_T5_S5_lS7_S5_lT6_S5_li,"axG",@progbits,_ZL26rocblas_syr2k_her2k_kernelIiLb0ELb1ELb0ELi32EPK19rocblas_complex_numIfES3_PS1_EvbiT_T4_T5_S5_lS7_S5_lT6_S5_li,comdat
	.globl	_ZL26rocblas_syr2k_her2k_kernelIiLb0ELb1ELb0ELi32EPK19rocblas_complex_numIfES3_PS1_EvbiT_T4_T5_S5_lS7_S5_lT6_S5_li ; -- Begin function _ZL26rocblas_syr2k_her2k_kernelIiLb0ELb1ELb0ELi32EPK19rocblas_complex_numIfES3_PS1_EvbiT_T4_T5_S5_lS7_S5_lT6_S5_li
	.p2align	8
	.type	_ZL26rocblas_syr2k_her2k_kernelIiLb0ELb1ELb0ELi32EPK19rocblas_complex_numIfES3_PS1_EvbiT_T4_T5_S5_lS7_S5_lT6_S5_li,@function
_ZL26rocblas_syr2k_her2k_kernelIiLb0ELb1ELb0ELi32EPK19rocblas_complex_numIfES3_PS1_EvbiT_T4_T5_S5_lS7_S5_lT6_S5_li: ; @_ZL26rocblas_syr2k_her2k_kernelIiLb0ELb1ELb0ELi32EPK19rocblas_complex_numIfES3_PS1_EvbiT_T4_T5_S5_lS7_S5_lT6_S5_li
; %bb.0:
	s_load_dwordx4 s[0:3], s[4:5], 0x10
	s_waitcnt lgkmcnt(0)
	s_load_dwordx2 s[10:11], s[0:1], 0x0
	s_waitcnt lgkmcnt(0)
	v_cmp_eq_f32_e64 s[0:1], s10, 0
	v_cmp_eq_f32_e64 s[12:13], s11, 0
	s_and_b64 s[0:1], s[0:1], s[12:13]
	s_and_b64 vcc, exec, s[0:1]
	s_cbranch_vccnz .LBB383_13
; %bb.1:
	s_load_dwordx4 s[12:15], s[4:5], 0x0
	s_lshl_b32 s7, s7, 5
	s_lshl_b32 s6, s6, 5
	s_waitcnt lgkmcnt(0)
	s_and_b32 s0, 1, s12
	s_cmp_eq_u32 s0, 1
	s_cselect_b64 s[0:1], -1, 0
	s_and_b64 s[16:17], s[0:1], exec
	s_cselect_b32 s9, s6, s7
	s_cselect_b32 s12, s7, s6
	s_cmp_gt_i32 s9, s12
	s_cbranch_scc1 .LBB383_13
; %bb.2:
	s_load_dwordx2 s[20:21], s[4:5], 0x58
	s_load_dwordx4 s[16:19], s[4:5], 0x40
	s_load_dword s9, s[4:5], 0x50
	v_add_u32_e32 v10, s6, v0
	v_add_u32_e32 v12, s7, v1
	s_waitcnt lgkmcnt(0)
	s_mul_i32 s12, s21, s8
	s_mul_hi_u32 s15, s20, s8
	s_mul_i32 s20, s20, s8
	s_add_i32 s21, s15, s12
	s_lshl_b64 s[20:21], s[20:21], 3
	s_add_u32 s12, s18, s20
	s_addc_u32 s15, s19, s21
	s_cmp_lt_i32 s14, 1
	v_cmp_gt_i32_e32 vcc, s13, v10
	v_ashrrev_i32_e32 v11, 31, v10
	s_cbranch_scc1 .LBB383_11
; %bb.3:
	s_load_dwordx4 s[24:27], s[4:5], 0x28
	s_load_dword s19, s[4:5], 0x38
	s_load_dword s20, s[4:5], 0x20
	v_lshlrev_b64 v[2:3], 3, v[10:11]
	v_cndmask_b32_e64 v6, v10, v12, s[0:1]
	v_cndmask_b32_e64 v7, v12, v10, s[0:1]
	s_waitcnt lgkmcnt(0)
	s_mul_i32 s4, s25, s8
	s_mul_hi_u32 s5, s24, s8
	s_add_i32 s5, s5, s4
	s_mul_i32 s4, s24, s8
	s_lshl_b64 s[4:5], s[4:5], 3
	s_add_u32 s4, s2, s4
	s_addc_u32 s5, s3, s5
	s_mul_i32 s2, s17, s8
	s_mul_hi_u32 s3, s16, s8
	s_add_i32 s3, s3, s2
	s_mul_i32 s2, s16, s8
	s_lshl_b64 s[2:3], s[2:3], 3
	v_mov_b32_e32 v4, s5
	v_add_co_u32_e64 v15, s[0:1], s4, v2
	v_ashrrev_i32_e32 v13, 31, v12
	s_add_u32 s2, s26, s2
	v_addc_co_u32_e64 v16, s[0:1], v4, v3, s[0:1]
	v_lshlrev_b64 v[4:5], 3, v[12:13]
	s_addc_u32 s3, s27, s3
	v_mov_b32_e32 v9, s3
	v_add_co_u32_e64 v19, s[2:3], s2, v4
	v_addc_co_u32_e64 v20, s[2:3], v9, v5, s[2:3]
	v_mad_i64_i32 v[4:5], s[2:3], s9, v12, 0
	v_cmp_gt_i32_e64 s[0:1], s13, v12
	v_cmp_le_i32_e64 s[2:3], v7, v6
	v_lshlrev_b64 v[4:5], 3, v[4:5]
	s_and_b64 s[4:5], s[0:1], vcc
	s_and_b64 s[4:5], s[4:5], s[2:3]
	v_mov_b32_e32 v6, s15
	v_add_co_u32_e64 v4, s[2:3], s12, v4
	v_lshlrev_b32_e32 v8, 3, v1
	v_addc_co_u32_e64 v5, s[2:3], v6, v5, s[2:3]
	v_lshlrev_b32_e32 v17, 8, v0
	v_or_b32_e32 v21, 0x2000, v8
	v_add_co_u32_e64 v13, s[2:3], v4, v2
	s_mov_b32 s18, 0
	v_add_u32_e32 v18, v17, v8
	v_addc_co_u32_e64 v14, s[2:3], v5, v3, s[2:3]
	v_add_u32_e32 v22, 0x800, v21
	v_add_u32_e32 v23, 0x1000, v21
	;; [unrolled: 1-line block ×3, first 2 shown]
	s_branch .LBB383_5
.LBB383_4:                              ;   in Loop: Header=BB383_5 Depth=1
	s_or_b64 exec, exec, s[2:3]
	s_add_i32 s18, s18, 32
	s_cmp_ge_i32 s18, s14
	s_waitcnt vmcnt(0)
	s_barrier
	s_cbranch_scc1 .LBB383_11
.LBB383_5:                              ; =>This Inner Loop Header: Depth=1
	v_add_u32_e32 v5, s18, v1
	v_cmp_gt_i32_e64 s[2:3], s14, v5
	s_and_b64 s[2:3], vcc, s[2:3]
	v_mov_b32_e32 v2, 0
	v_mov_b32_e32 v3, 0
	;; [unrolled: 1-line block ×3, first 2 shown]
	s_and_saveexec_b64 s[6:7], s[2:3]
	s_cbranch_execz .LBB383_7
; %bb.6:                                ;   in Loop: Header=BB383_5 Depth=1
	v_mad_i64_i32 v[3:4], s[2:3], v5, s20, 0
	v_lshlrev_b64 v[3:4], 3, v[3:4]
	v_add_co_u32_e64 v3, s[2:3], v15, v3
	v_addc_co_u32_e64 v4, s[2:3], v16, v4, s[2:3]
	global_load_dwordx2 v[3:4], v[3:4], off
.LBB383_7:                              ;   in Loop: Header=BB383_5 Depth=1
	s_or_b64 exec, exec, s[6:7]
	s_waitcnt vmcnt(0)
	ds_write_b64 v18, v[3:4]
	v_add_u32_e32 v4, s18, v0
	v_cmp_gt_i32_e64 s[2:3], s14, v4
	s_and_b64 s[2:3], s[0:1], s[2:3]
	v_mov_b32_e32 v3, 0
	s_and_saveexec_b64 s[6:7], s[2:3]
	s_cbranch_execz .LBB383_9
; %bb.8:                                ;   in Loop: Header=BB383_5 Depth=1
	v_mad_i64_i32 v[2:3], s[2:3], v4, s19, 0
	v_lshlrev_b64 v[2:3], 3, v[2:3]
	v_add_co_u32_e64 v2, s[2:3], v19, v2
	v_addc_co_u32_e64 v3, s[2:3], v20, v3, s[2:3]
	global_load_dwordx2 v[2:3], v[2:3], off
	s_waitcnt vmcnt(0)
	v_xor_b32_e32 v3, 0x80000000, v3
.LBB383_9:                              ;   in Loop: Header=BB383_5 Depth=1
	s_or_b64 exec, exec, s[6:7]
	v_add_u32_e32 v4, v21, v17
	ds_write_b64 v4, v[2:3]
	s_waitcnt lgkmcnt(0)
	s_barrier
	s_and_saveexec_b64 s[2:3], s[4:5]
	s_cbranch_execz .LBB383_4
; %bb.10:                               ;   in Loop: Header=BB383_5 Depth=1
	ds_read2_b64 v[2:5], v21 offset1:32
	ds_read_b128 v[6:9], v17
	ds_read_b128 v[25:28], v17 offset:16
	s_waitcnt lgkmcnt(1)
	v_mul_f32_e32 v29, v3, v7
	v_fma_f32 v34, v2, v6, -v29
	ds_read2_b64 v[29:32], v21 offset0:64 offset1:96
	v_mul_f32_e32 v33, v2, v7
	v_mul_f32_e32 v2, v5, v9
	v_fma_f32 v35, v4, v8, -v2
	v_fmac_f32_e32 v33, v3, v6
	s_waitcnt lgkmcnt(0)
	v_mul_f32_e32 v2, v30, v26
	v_mul_f32_e32 v36, v4, v9
	v_fma_f32 v37, v29, v25, -v2
	v_mul_f32_e32 v29, v29, v26
	v_mul_f32_e32 v2, v32, v28
	v_fmac_f32_e32 v36, v5, v8
	v_fmac_f32_e32 v29, v30, v25
	v_fma_f32 v30, v31, v27, -v2
	v_mul_f32_e32 v31, v31, v28
	v_add_f32_e32 v25, 0, v34
	v_add_f32_e32 v26, 0, v33
	v_fmac_f32_e32 v31, v32, v27
	ds_read_b128 v[2:5], v17 offset:32
	ds_read_b128 v[6:9], v17 offset:48
	v_add_f32_e32 v32, v25, v35
	v_add_f32_e32 v33, v26, v36
	ds_read2_b64 v[25:28], v21 offset0:128 offset1:160
	v_add_f32_e32 v29, v33, v29
	v_add_f32_e32 v29, v29, v31
	;; [unrolled: 1-line block ×4, first 2 shown]
	s_waitcnt lgkmcnt(0)
	v_mul_f32_e32 v31, v26, v3
	v_fma_f32 v31, v25, v2, -v31
	v_mul_f32_e32 v25, v25, v3
	v_fmac_f32_e32 v25, v26, v2
	v_mul_f32_e32 v2, v28, v5
	v_fma_f32 v26, v27, v4, -v2
	v_mul_f32_e32 v27, v27, v5
	v_fmac_f32_e32 v27, v28, v4
	ds_read2_b64 v[2:5], v21 offset0:192 offset1:224
	v_add_f32_e32 v25, v29, v25
	v_add_f32_e32 v28, v30, v31
	;; [unrolled: 1-line block ×4, first 2 shown]
	s_waitcnt lgkmcnt(0)
	v_mul_f32_e32 v25, v3, v7
	v_fma_f32 v25, v2, v6, -v25
	v_mul_f32_e32 v7, v2, v7
	v_mul_f32_e32 v2, v5, v9
	;; [unrolled: 1-line block ×3, first 2 shown]
	v_fmac_f32_e32 v7, v3, v6
	v_add_f32_e32 v6, v26, v25
	v_fma_f32 v30, v4, v8, -v2
	ds_read_b128 v[25:28], v17 offset:64
	v_fmac_f32_e32 v9, v5, v8
	ds_read2_b64 v[2:5], v22 offset1:32
	v_add_f32_e32 v7, v29, v7
	v_add_f32_e32 v29, v6, v30
	;; [unrolled: 1-line block ×3, first 2 shown]
	ds_read_b128 v[6:9], v17 offset:80
	s_waitcnt lgkmcnt(1)
	v_mul_f32_e32 v31, v3, v26
	v_fma_f32 v31, v2, v25, -v31
	v_mul_f32_e32 v26, v2, v26
	v_mul_f32_e32 v2, v5, v28
	;; [unrolled: 1-line block ×3, first 2 shown]
	v_fmac_f32_e32 v26, v3, v25
	v_fma_f32 v25, v4, v27, -v2
	v_fmac_f32_e32 v28, v5, v27
	ds_read2_b64 v[2:5], v22 offset0:64 offset1:96
	v_add_f32_e32 v26, v30, v26
	v_add_f32_e32 v27, v29, v31
	;; [unrolled: 1-line block ×4, first 2 shown]
	s_waitcnt lgkmcnt(0)
	v_mul_f32_e32 v26, v3, v7
	v_fma_f32 v26, v2, v6, -v26
	v_mul_f32_e32 v7, v2, v7
	v_mul_f32_e32 v2, v5, v9
	v_mul_f32_e32 v9, v4, v9
	v_fmac_f32_e32 v7, v3, v6
	v_add_f32_e32 v6, v25, v26
	v_fma_f32 v30, v4, v8, -v2
	ds_read_b128 v[25:28], v17 offset:96
	v_fmac_f32_e32 v9, v5, v8
	ds_read2_b64 v[2:5], v22 offset0:128 offset1:160
	v_add_f32_e32 v7, v29, v7
	v_add_f32_e32 v29, v6, v30
	;; [unrolled: 1-line block ×3, first 2 shown]
	ds_read_b128 v[6:9], v17 offset:112
	s_waitcnt lgkmcnt(1)
	v_mul_f32_e32 v31, v3, v26
	v_fma_f32 v31, v2, v25, -v31
	v_mul_f32_e32 v26, v2, v26
	v_mul_f32_e32 v2, v5, v28
	;; [unrolled: 1-line block ×3, first 2 shown]
	v_fmac_f32_e32 v26, v3, v25
	v_fma_f32 v25, v4, v27, -v2
	v_fmac_f32_e32 v28, v5, v27
	ds_read2_b64 v[2:5], v22 offset0:192 offset1:224
	v_add_f32_e32 v26, v30, v26
	v_add_f32_e32 v27, v29, v31
	v_add_f32_e32 v29, v26, v28
	v_add_f32_e32 v25, v27, v25
	s_waitcnt lgkmcnt(0)
	v_mul_f32_e32 v26, v3, v7
	v_fma_f32 v26, v2, v6, -v26
	v_mul_f32_e32 v7, v2, v7
	v_mul_f32_e32 v2, v5, v9
	;; [unrolled: 1-line block ×3, first 2 shown]
	v_fmac_f32_e32 v7, v3, v6
	v_add_f32_e32 v6, v25, v26
	v_fma_f32 v30, v4, v8, -v2
	ds_read_b128 v[25:28], v17 offset:128
	v_fmac_f32_e32 v9, v5, v8
	ds_read2_b64 v[2:5], v23 offset1:32
	v_add_f32_e32 v7, v29, v7
	v_add_f32_e32 v29, v6, v30
	;; [unrolled: 1-line block ×3, first 2 shown]
	ds_read_b128 v[6:9], v17 offset:144
	s_waitcnt lgkmcnt(1)
	v_mul_f32_e32 v31, v3, v26
	v_fma_f32 v31, v2, v25, -v31
	v_mul_f32_e32 v2, v2, v26
	v_fmac_f32_e32 v2, v3, v25
	v_mul_f32_e32 v3, v5, v28
	v_fma_f32 v3, v4, v27, -v3
	v_mul_f32_e32 v4, v4, v28
	v_fmac_f32_e32 v4, v5, v27
	ds_read2_b64 v[25:28], v23 offset0:64 offset1:96
	v_add_f32_e32 v2, v30, v2
	v_add_f32_e32 v30, v2, v4
	;; [unrolled: 1-line block ×4, first 2 shown]
	s_waitcnt lgkmcnt(0)
	v_mul_f32_e32 v2, v26, v7
	v_fma_f32 v31, v25, v6, -v2
	v_mul_f32_e32 v25, v25, v7
	v_mul_f32_e32 v2, v28, v9
	v_fmac_f32_e32 v25, v26, v6
	v_fma_f32 v26, v27, v8, -v2
	v_mul_f32_e32 v27, v27, v9
	ds_read_b128 v[2:5], v17 offset:160
	v_fmac_f32_e32 v27, v28, v8
	ds_read2_b64 v[6:9], v23 offset0:128 offset1:160
	v_add_f32_e32 v28, v29, v31
	v_add_f32_e32 v29, v30, v25
	;; [unrolled: 1-line block ×4, first 2 shown]
	ds_read_b128 v[27:30], v17 offset:176
	s_waitcnt lgkmcnt(1)
	v_mul_f32_e32 v31, v7, v3
	v_fma_f32 v33, v6, v2, -v31
	global_load_dwordx2 v[31:32], v[13:14], off
	v_mul_f32_e32 v6, v6, v3
	v_fmac_f32_e32 v6, v7, v2
	v_mul_f32_e32 v2, v9, v5
	v_fma_f32 v7, v8, v4, -v2
	v_mul_f32_e32 v8, v8, v5
	v_fmac_f32_e32 v8, v9, v4
	ds_read2_b64 v[2:5], v23 offset0:192 offset1:224
	v_add_f32_e32 v6, v26, v6
	v_add_f32_e32 v26, v6, v8
	;; [unrolled: 1-line block ×4, first 2 shown]
	s_waitcnt lgkmcnt(0)
	v_mul_f32_e32 v6, v3, v28
	v_fma_f32 v33, v2, v27, -v6
	v_mul_f32_e32 v28, v2, v28
	v_mul_f32_e32 v2, v5, v30
	;; [unrolled: 1-line block ×3, first 2 shown]
	v_fmac_f32_e32 v28, v3, v27
	v_fma_f32 v27, v4, v29, -v2
	v_fmac_f32_e32 v30, v5, v29
	ds_read_b128 v[2:5], v17 offset:192
	ds_read2_b64 v[6:9], v24 offset1:32
	v_add_f32_e32 v25, v25, v33
	v_add_f32_e32 v26, v26, v28
	v_add_f32_e32 v29, v25, v27
	v_add_f32_e32 v30, v26, v30
	s_waitcnt lgkmcnt(0)
	v_mul_f32_e32 v33, v7, v3
	v_fma_f32 v33, v6, v2, -v33
	v_mul_f32_e32 v6, v6, v3
	v_fmac_f32_e32 v6, v7, v2
	v_mul_f32_e32 v2, v9, v5
	v_fma_f32 v7, v8, v4, -v2
	v_mul_f32_e32 v8, v8, v5
	ds_read_b128 v[25:28], v17 offset:208
	v_fmac_f32_e32 v8, v9, v4
	ds_read2_b64 v[2:5], v24 offset0:64 offset1:96
	v_add_f32_e32 v6, v30, v6
	v_add_f32_e32 v30, v6, v8
	;; [unrolled: 1-line block ×4, first 2 shown]
	s_waitcnt lgkmcnt(0)
	v_mul_f32_e32 v6, v3, v26
	v_fma_f32 v33, v2, v25, -v6
	v_mul_f32_e32 v26, v2, v26
	v_mul_f32_e32 v2, v5, v28
	;; [unrolled: 1-line block ×3, first 2 shown]
	v_fmac_f32_e32 v26, v3, v25
	v_fma_f32 v25, v4, v27, -v2
	v_fmac_f32_e32 v28, v5, v27
	ds_read_b128 v[2:5], v17 offset:224
	ds_read2_b64 v[6:9], v24 offset0:128 offset1:160
	v_add_f32_e32 v27, v29, v33
	v_add_f32_e32 v26, v30, v26
	;; [unrolled: 1-line block ×4, first 2 shown]
	s_waitcnt lgkmcnt(0)
	v_mul_f32_e32 v33, v7, v3
	v_fma_f32 v33, v6, v2, -v33
	v_mul_f32_e32 v6, v6, v3
	v_fmac_f32_e32 v6, v7, v2
	v_mul_f32_e32 v2, v9, v5
	v_fma_f32 v7, v8, v4, -v2
	v_mul_f32_e32 v8, v8, v5
	ds_read_b128 v[25:28], v17 offset:240
	v_fmac_f32_e32 v8, v9, v4
	ds_read2_b64 v[2:5], v24 offset0:192 offset1:224
	v_add_f32_e32 v6, v30, v6
	v_add_f32_e32 v6, v6, v8
	;; [unrolled: 1-line block ×4, first 2 shown]
	s_waitcnt lgkmcnt(0)
	v_mul_f32_e32 v8, v3, v26
	v_fma_f32 v8, v2, v25, -v8
	v_mul_f32_e32 v2, v2, v26
	v_fmac_f32_e32 v2, v3, v25
	v_add_f32_e32 v2, v6, v2
	v_mul_f32_e32 v6, v5, v28
	v_fma_f32 v6, v4, v27, -v6
	v_mul_f32_e32 v4, v4, v28
	v_fmac_f32_e32 v4, v5, v27
	v_add_f32_e32 v3, v7, v8
	v_add_f32_e32 v2, v2, v4
	;; [unrolled: 1-line block ×3, first 2 shown]
	v_mul_f32_e32 v4, s11, v2
	v_mul_f32_e32 v5, s10, v2
	v_fma_f32 v4, s10, v3, -v4
	v_fmac_f32_e32 v5, s11, v3
	s_waitcnt vmcnt(0)
	v_add_f32_e32 v2, v31, v4
	v_add_f32_e32 v3, v32, v5
	global_store_dwordx2 v[13:14], v[2:3], off
	s_branch .LBB383_4
.LBB383_11:
	v_cmp_eq_u32_e32 vcc, v10, v12
	v_cmp_gt_i32_e64 s[0:1], s13, v10
	s_and_b64 s[0:1], vcc, s[0:1]
	s_and_saveexec_b64 s[2:3], s[0:1]
	s_cbranch_execz .LBB383_13
; %bb.12:
	v_mad_i64_i32 v[0:1], s[0:1], s9, v10, 0
	v_mov_b32_e32 v2, s15
	v_lshlrev_b64 v[0:1], 3, v[0:1]
	v_add_co_u32_e32 v3, vcc, s12, v0
	v_addc_co_u32_e32 v2, vcc, v2, v1, vcc
	v_lshlrev_b64 v[0:1], 3, v[10:11]
	v_add_co_u32_e32 v0, vcc, v3, v0
	v_addc_co_u32_e32 v1, vcc, v2, v1, vcc
	v_mov_b32_e32 v2, 0
	global_store_dword v[0:1], v2, off offset:4
.LBB383_13:
	s_endpgm
	.section	.rodata,"a",@progbits
	.p2align	6, 0x0
	.amdhsa_kernel _ZL26rocblas_syr2k_her2k_kernelIiLb0ELb1ELb0ELi32EPK19rocblas_complex_numIfES3_PS1_EvbiT_T4_T5_S5_lS7_S5_lT6_S5_li
		.amdhsa_group_segment_fixed_size 16384
		.amdhsa_private_segment_fixed_size 0
		.amdhsa_kernarg_size 100
		.amdhsa_user_sgpr_count 6
		.amdhsa_user_sgpr_private_segment_buffer 1
		.amdhsa_user_sgpr_dispatch_ptr 0
		.amdhsa_user_sgpr_queue_ptr 0
		.amdhsa_user_sgpr_kernarg_segment_ptr 1
		.amdhsa_user_sgpr_dispatch_id 0
		.amdhsa_user_sgpr_flat_scratch_init 0
		.amdhsa_user_sgpr_private_segment_size 0
		.amdhsa_uses_dynamic_stack 0
		.amdhsa_system_sgpr_private_segment_wavefront_offset 0
		.amdhsa_system_sgpr_workgroup_id_x 1
		.amdhsa_system_sgpr_workgroup_id_y 1
		.amdhsa_system_sgpr_workgroup_id_z 1
		.amdhsa_system_sgpr_workgroup_info 0
		.amdhsa_system_vgpr_workitem_id 1
		.amdhsa_next_free_vgpr 38
		.amdhsa_next_free_sgpr 61
		.amdhsa_reserve_vcc 1
		.amdhsa_reserve_flat_scratch 0
		.amdhsa_float_round_mode_32 0
		.amdhsa_float_round_mode_16_64 0
		.amdhsa_float_denorm_mode_32 3
		.amdhsa_float_denorm_mode_16_64 3
		.amdhsa_dx10_clamp 1
		.amdhsa_ieee_mode 1
		.amdhsa_fp16_overflow 0
		.amdhsa_exception_fp_ieee_invalid_op 0
		.amdhsa_exception_fp_denorm_src 0
		.amdhsa_exception_fp_ieee_div_zero 0
		.amdhsa_exception_fp_ieee_overflow 0
		.amdhsa_exception_fp_ieee_underflow 0
		.amdhsa_exception_fp_ieee_inexact 0
		.amdhsa_exception_int_div_zero 0
	.end_amdhsa_kernel
	.section	.text._ZL26rocblas_syr2k_her2k_kernelIiLb0ELb1ELb0ELi32EPK19rocblas_complex_numIfES3_PS1_EvbiT_T4_T5_S5_lS7_S5_lT6_S5_li,"axG",@progbits,_ZL26rocblas_syr2k_her2k_kernelIiLb0ELb1ELb0ELi32EPK19rocblas_complex_numIfES3_PS1_EvbiT_T4_T5_S5_lS7_S5_lT6_S5_li,comdat
.Lfunc_end383:
	.size	_ZL26rocblas_syr2k_her2k_kernelIiLb0ELb1ELb0ELi32EPK19rocblas_complex_numIfES3_PS1_EvbiT_T4_T5_S5_lS7_S5_lT6_S5_li, .Lfunc_end383-_ZL26rocblas_syr2k_her2k_kernelIiLb0ELb1ELb0ELi32EPK19rocblas_complex_numIfES3_PS1_EvbiT_T4_T5_S5_lS7_S5_lT6_S5_li
                                        ; -- End function
	.set _ZL26rocblas_syr2k_her2k_kernelIiLb0ELb1ELb0ELi32EPK19rocblas_complex_numIfES3_PS1_EvbiT_T4_T5_S5_lS7_S5_lT6_S5_li.num_vgpr, 38
	.set _ZL26rocblas_syr2k_her2k_kernelIiLb0ELb1ELb0ELi32EPK19rocblas_complex_numIfES3_PS1_EvbiT_T4_T5_S5_lS7_S5_lT6_S5_li.num_agpr, 0
	.set _ZL26rocblas_syr2k_her2k_kernelIiLb0ELb1ELb0ELi32EPK19rocblas_complex_numIfES3_PS1_EvbiT_T4_T5_S5_lS7_S5_lT6_S5_li.numbered_sgpr, 28
	.set _ZL26rocblas_syr2k_her2k_kernelIiLb0ELb1ELb0ELi32EPK19rocblas_complex_numIfES3_PS1_EvbiT_T4_T5_S5_lS7_S5_lT6_S5_li.num_named_barrier, 0
	.set _ZL26rocblas_syr2k_her2k_kernelIiLb0ELb1ELb0ELi32EPK19rocblas_complex_numIfES3_PS1_EvbiT_T4_T5_S5_lS7_S5_lT6_S5_li.private_seg_size, 0
	.set _ZL26rocblas_syr2k_her2k_kernelIiLb0ELb1ELb0ELi32EPK19rocblas_complex_numIfES3_PS1_EvbiT_T4_T5_S5_lS7_S5_lT6_S5_li.uses_vcc, 1
	.set _ZL26rocblas_syr2k_her2k_kernelIiLb0ELb1ELb0ELi32EPK19rocblas_complex_numIfES3_PS1_EvbiT_T4_T5_S5_lS7_S5_lT6_S5_li.uses_flat_scratch, 0
	.set _ZL26rocblas_syr2k_her2k_kernelIiLb0ELb1ELb0ELi32EPK19rocblas_complex_numIfES3_PS1_EvbiT_T4_T5_S5_lS7_S5_lT6_S5_li.has_dyn_sized_stack, 0
	.set _ZL26rocblas_syr2k_her2k_kernelIiLb0ELb1ELb0ELi32EPK19rocblas_complex_numIfES3_PS1_EvbiT_T4_T5_S5_lS7_S5_lT6_S5_li.has_recursion, 0
	.set _ZL26rocblas_syr2k_her2k_kernelIiLb0ELb1ELb0ELi32EPK19rocblas_complex_numIfES3_PS1_EvbiT_T4_T5_S5_lS7_S5_lT6_S5_li.has_indirect_call, 0
	.section	.AMDGPU.csdata,"",@progbits
; Kernel info:
; codeLenInByte = 2052
; TotalNumSgprs: 32
; NumVgprs: 38
; ScratchSize: 0
; MemoryBound: 0
; FloatMode: 240
; IeeeMode: 1
; LDSByteSize: 16384 bytes/workgroup (compile time only)
; SGPRBlocks: 8
; VGPRBlocks: 9
; NumSGPRsForWavesPerEU: 65
; NumVGPRsForWavesPerEU: 38
; Occupancy: 6
; WaveLimiterHint : 0
; COMPUTE_PGM_RSRC2:SCRATCH_EN: 0
; COMPUTE_PGM_RSRC2:USER_SGPR: 6
; COMPUTE_PGM_RSRC2:TRAP_HANDLER: 0
; COMPUTE_PGM_RSRC2:TGID_X_EN: 1
; COMPUTE_PGM_RSRC2:TGID_Y_EN: 1
; COMPUTE_PGM_RSRC2:TGID_Z_EN: 1
; COMPUTE_PGM_RSRC2:TIDIG_COMP_CNT: 1
	.section	.text._ZL26rocblas_syr2k_her2k_kernelIiLb0ELb1ELb1ELi32EPK19rocblas_complex_numIfES3_PS1_EvbiT_T4_T5_S5_lS7_S5_lT6_S5_li,"axG",@progbits,_ZL26rocblas_syr2k_her2k_kernelIiLb0ELb1ELb1ELi32EPK19rocblas_complex_numIfES3_PS1_EvbiT_T4_T5_S5_lS7_S5_lT6_S5_li,comdat
	.globl	_ZL26rocblas_syr2k_her2k_kernelIiLb0ELb1ELb1ELi32EPK19rocblas_complex_numIfES3_PS1_EvbiT_T4_T5_S5_lS7_S5_lT6_S5_li ; -- Begin function _ZL26rocblas_syr2k_her2k_kernelIiLb0ELb1ELb1ELi32EPK19rocblas_complex_numIfES3_PS1_EvbiT_T4_T5_S5_lS7_S5_lT6_S5_li
	.p2align	8
	.type	_ZL26rocblas_syr2k_her2k_kernelIiLb0ELb1ELb1ELi32EPK19rocblas_complex_numIfES3_PS1_EvbiT_T4_T5_S5_lS7_S5_lT6_S5_li,@function
_ZL26rocblas_syr2k_her2k_kernelIiLb0ELb1ELb1ELi32EPK19rocblas_complex_numIfES3_PS1_EvbiT_T4_T5_S5_lS7_S5_lT6_S5_li: ; @_ZL26rocblas_syr2k_her2k_kernelIiLb0ELb1ELb1ELi32EPK19rocblas_complex_numIfES3_PS1_EvbiT_T4_T5_S5_lS7_S5_lT6_S5_li
; %bb.0:
	s_load_dwordx4 s[0:3], s[4:5], 0x10
	s_waitcnt lgkmcnt(0)
	s_load_dwordx2 s[10:11], s[0:1], 0x0
	s_waitcnt lgkmcnt(0)
	v_cmp_eq_f32_e64 s[0:1], s10, 0
	v_cmp_eq_f32_e64 s[12:13], s11, 0
	s_and_b64 s[0:1], s[0:1], s[12:13]
	s_and_b64 vcc, exec, s[0:1]
	s_cbranch_vccnz .LBB384_13
; %bb.1:
	s_load_dwordx4 s[12:15], s[4:5], 0x0
	s_lshl_b32 s7, s7, 5
	s_lshl_b32 s6, s6, 5
	s_waitcnt lgkmcnt(0)
	s_and_b32 s0, 1, s12
	s_cmp_eq_u32 s0, 1
	s_cselect_b64 s[0:1], -1, 0
	s_and_b64 s[16:17], s[0:1], exec
	s_cselect_b32 s9, s6, s7
	s_cselect_b32 s12, s7, s6
	s_cmp_gt_i32 s9, s12
	s_cbranch_scc1 .LBB384_13
; %bb.2:
	s_load_dwordx2 s[20:21], s[4:5], 0x58
	s_load_dwordx4 s[16:19], s[4:5], 0x40
	s_load_dword s9, s[4:5], 0x50
	v_add_u32_e32 v10, s6, v0
	v_add_u32_e32 v14, s7, v1
	s_waitcnt lgkmcnt(0)
	s_mul_i32 s12, s21, s8
	s_mul_hi_u32 s15, s20, s8
	s_mul_i32 s20, s20, s8
	s_add_i32 s21, s15, s12
	s_lshl_b64 s[20:21], s[20:21], 3
	s_add_u32 s12, s18, s20
	s_addc_u32 s15, s19, s21
	s_cmp_lt_i32 s14, 1
	v_cmp_gt_i32_e32 vcc, s13, v10
	v_ashrrev_i32_e32 v11, 31, v10
	s_cbranch_scc1 .LBB384_11
; %bb.3:
	s_load_dwordx4 s[20:23], s[4:5], 0x28
	s_load_dword s6, s[4:5], 0x38
	s_load_dword s7, s[4:5], 0x20
	v_cndmask_b32_e64 v4, v10, v14, s[0:1]
	v_cndmask_b32_e64 v5, v14, v10, s[0:1]
	v_lshlrev_b32_e32 v17, 8, v0
	s_waitcnt lgkmcnt(0)
	s_mul_i32 s4, s21, s8
	s_mul_hi_u32 s5, s20, s8
	s_add_i32 s5, s5, s4
	s_mul_i32 s4, s20, s8
	s_lshl_b64 s[4:5], s[4:5], 3
	s_add_u32 s19, s2, s4
	s_addc_u32 s20, s3, s5
	v_mad_i64_i32 v[2:3], s[4:5], s7, v10, 0
	v_mov_b32_e32 v6, s20
	s_mul_i32 s2, s17, s8
	v_lshlrev_b64 v[2:3], 3, v[2:3]
	s_mul_hi_u32 s3, s16, s8
	v_add_co_u32_e64 v15, s[0:1], s19, v2
	v_addc_co_u32_e64 v16, s[0:1], v6, v3, s[0:1]
	v_mad_i64_i32 v[2:3], s[0:1], s6, v14, 0
	s_add_i32 s3, s3, s2
	s_mul_i32 s2, s16, s8
	s_lshl_b64 s[2:3], s[2:3], 3
	s_add_u32 s2, s22, s2
	v_lshlrev_b64 v[2:3], 3, v[2:3]
	s_addc_u32 s3, s23, s3
	v_mov_b32_e32 v7, s3
	v_add_co_u32_e64 v19, s[2:3], s2, v2
	v_addc_co_u32_e64 v20, s[2:3], v7, v3, s[2:3]
	v_mad_i64_i32 v[2:3], s[2:3], s9, v14, 0
	v_cmp_gt_i32_e64 s[0:1], s13, v14
	v_cmp_le_i32_e64 s[2:3], v5, v4
	v_lshlrev_b64 v[2:3], 3, v[2:3]
	s_and_b64 s[4:5], s[0:1], vcc
	s_and_b64 s[4:5], s[4:5], s[2:3]
	v_mov_b32_e32 v4, s15
	v_add_co_u32_e64 v5, s[2:3], s12, v2
	v_addc_co_u32_e64 v4, s[2:3], v4, v3, s[2:3]
	v_lshlrev_b64 v[2:3], 3, v[10:11]
	v_lshlrev_b32_e32 v6, 3, v1
	v_or_b32_e32 v21, 0x2000, v6
	v_add_co_u32_e64 v12, s[2:3], v5, v2
	s_mov_b32 s18, 0
	v_add_u32_e32 v18, v17, v6
	v_addc_co_u32_e64 v13, s[2:3], v4, v3, s[2:3]
	v_add_u32_e32 v22, 0x800, v21
	v_add_u32_e32 v23, 0x1000, v21
	;; [unrolled: 1-line block ×3, first 2 shown]
	s_branch .LBB384_5
.LBB384_4:                              ;   in Loop: Header=BB384_5 Depth=1
	s_or_b64 exec, exec, s[2:3]
	s_add_i32 s18, s18, 32
	s_cmp_ge_i32 s18, s14
	s_waitcnt vmcnt(0)
	s_barrier
	s_cbranch_scc1 .LBB384_11
.LBB384_5:                              ; =>This Inner Loop Header: Depth=1
	v_add_u32_e32 v5, s18, v1
	v_cmp_gt_i32_e64 s[2:3], s14, v5
	s_and_b64 s[2:3], vcc, s[2:3]
	v_mov_b32_e32 v4, 0
	v_mov_b32_e32 v2, 0
	;; [unrolled: 1-line block ×3, first 2 shown]
	s_and_saveexec_b64 s[6:7], s[2:3]
	s_cbranch_execz .LBB384_7
; %bb.6:                                ;   in Loop: Header=BB384_5 Depth=1
	v_ashrrev_i32_e32 v6, 31, v5
	v_lshlrev_b64 v[3:4], 3, v[5:6]
	v_add_co_u32_e64 v3, s[2:3], v15, v3
	v_addc_co_u32_e64 v4, s[2:3], v16, v4, s[2:3]
	global_load_dwordx2 v[3:4], v[3:4], off
	s_waitcnt vmcnt(0)
	v_xor_b32_e32 v4, 0x80000000, v4
.LBB384_7:                              ;   in Loop: Header=BB384_5 Depth=1
	s_or_b64 exec, exec, s[6:7]
	ds_write_b64 v18, v[3:4]
	v_add_u32_e32 v4, s18, v0
	v_cmp_gt_i32_e64 s[2:3], s14, v4
	s_and_b64 s[2:3], s[0:1], s[2:3]
	v_mov_b32_e32 v3, 0
	s_and_saveexec_b64 s[6:7], s[2:3]
	s_cbranch_execz .LBB384_9
; %bb.8:                                ;   in Loop: Header=BB384_5 Depth=1
	v_ashrrev_i32_e32 v5, 31, v4
	v_lshlrev_b64 v[2:3], 3, v[4:5]
	v_add_co_u32_e64 v2, s[2:3], v19, v2
	v_addc_co_u32_e64 v3, s[2:3], v20, v3, s[2:3]
	global_load_dwordx2 v[2:3], v[2:3], off
.LBB384_9:                              ;   in Loop: Header=BB384_5 Depth=1
	s_or_b64 exec, exec, s[6:7]
	v_add_u32_e32 v4, v21, v17
	s_waitcnt vmcnt(0)
	ds_write_b64 v4, v[2:3]
	s_waitcnt lgkmcnt(0)
	s_barrier
	s_and_saveexec_b64 s[2:3], s[4:5]
	s_cbranch_execz .LBB384_4
; %bb.10:                               ;   in Loop: Header=BB384_5 Depth=1
	ds_read2_b64 v[2:5], v21 offset1:32
	ds_read_b128 v[6:9], v17
	ds_read_b128 v[25:28], v17 offset:16
	s_waitcnt lgkmcnt(1)
	v_mul_f32_e32 v29, v3, v7
	v_fma_f32 v34, v2, v6, -v29
	ds_read2_b64 v[29:32], v21 offset0:64 offset1:96
	v_mul_f32_e32 v33, v2, v7
	v_mul_f32_e32 v2, v5, v9
	v_fma_f32 v35, v4, v8, -v2
	v_fmac_f32_e32 v33, v3, v6
	s_waitcnt lgkmcnt(0)
	v_mul_f32_e32 v2, v30, v26
	v_mul_f32_e32 v36, v4, v9
	v_fma_f32 v37, v29, v25, -v2
	v_mul_f32_e32 v29, v29, v26
	v_mul_f32_e32 v2, v32, v28
	v_fmac_f32_e32 v36, v5, v8
	v_fmac_f32_e32 v29, v30, v25
	v_fma_f32 v30, v31, v27, -v2
	v_mul_f32_e32 v31, v31, v28
	v_add_f32_e32 v25, 0, v34
	v_add_f32_e32 v26, 0, v33
	v_fmac_f32_e32 v31, v32, v27
	ds_read_b128 v[2:5], v17 offset:32
	ds_read_b128 v[6:9], v17 offset:48
	v_add_f32_e32 v32, v25, v35
	v_add_f32_e32 v33, v26, v36
	ds_read2_b64 v[25:28], v21 offset0:128 offset1:160
	v_add_f32_e32 v29, v33, v29
	v_add_f32_e32 v29, v29, v31
	;; [unrolled: 1-line block ×4, first 2 shown]
	s_waitcnt lgkmcnt(0)
	v_mul_f32_e32 v31, v26, v3
	v_fma_f32 v31, v25, v2, -v31
	v_mul_f32_e32 v25, v25, v3
	v_fmac_f32_e32 v25, v26, v2
	v_mul_f32_e32 v2, v28, v5
	v_fma_f32 v26, v27, v4, -v2
	v_mul_f32_e32 v27, v27, v5
	v_fmac_f32_e32 v27, v28, v4
	ds_read2_b64 v[2:5], v21 offset0:192 offset1:224
	v_add_f32_e32 v25, v29, v25
	v_add_f32_e32 v28, v30, v31
	;; [unrolled: 1-line block ×4, first 2 shown]
	s_waitcnt lgkmcnt(0)
	v_mul_f32_e32 v25, v3, v7
	v_fma_f32 v25, v2, v6, -v25
	v_mul_f32_e32 v7, v2, v7
	v_mul_f32_e32 v2, v5, v9
	;; [unrolled: 1-line block ×3, first 2 shown]
	v_fmac_f32_e32 v7, v3, v6
	v_add_f32_e32 v6, v26, v25
	v_fma_f32 v30, v4, v8, -v2
	ds_read_b128 v[25:28], v17 offset:64
	v_fmac_f32_e32 v9, v5, v8
	ds_read2_b64 v[2:5], v22 offset1:32
	v_add_f32_e32 v7, v29, v7
	v_add_f32_e32 v29, v6, v30
	;; [unrolled: 1-line block ×3, first 2 shown]
	ds_read_b128 v[6:9], v17 offset:80
	s_waitcnt lgkmcnt(1)
	v_mul_f32_e32 v31, v3, v26
	v_fma_f32 v31, v2, v25, -v31
	v_mul_f32_e32 v26, v2, v26
	v_mul_f32_e32 v2, v5, v28
	;; [unrolled: 1-line block ×3, first 2 shown]
	v_fmac_f32_e32 v26, v3, v25
	v_fma_f32 v25, v4, v27, -v2
	v_fmac_f32_e32 v28, v5, v27
	ds_read2_b64 v[2:5], v22 offset0:64 offset1:96
	v_add_f32_e32 v26, v30, v26
	v_add_f32_e32 v27, v29, v31
	;; [unrolled: 1-line block ×4, first 2 shown]
	s_waitcnt lgkmcnt(0)
	v_mul_f32_e32 v26, v3, v7
	v_fma_f32 v26, v2, v6, -v26
	v_mul_f32_e32 v7, v2, v7
	v_mul_f32_e32 v2, v5, v9
	;; [unrolled: 1-line block ×3, first 2 shown]
	v_fmac_f32_e32 v7, v3, v6
	v_add_f32_e32 v6, v25, v26
	v_fma_f32 v30, v4, v8, -v2
	ds_read_b128 v[25:28], v17 offset:96
	v_fmac_f32_e32 v9, v5, v8
	ds_read2_b64 v[2:5], v22 offset0:128 offset1:160
	v_add_f32_e32 v7, v29, v7
	v_add_f32_e32 v29, v6, v30
	;; [unrolled: 1-line block ×3, first 2 shown]
	ds_read_b128 v[6:9], v17 offset:112
	s_waitcnt lgkmcnt(1)
	v_mul_f32_e32 v31, v3, v26
	v_fma_f32 v31, v2, v25, -v31
	v_mul_f32_e32 v26, v2, v26
	v_mul_f32_e32 v2, v5, v28
	v_mul_f32_e32 v28, v4, v28
	v_fmac_f32_e32 v26, v3, v25
	v_fma_f32 v25, v4, v27, -v2
	v_fmac_f32_e32 v28, v5, v27
	ds_read2_b64 v[2:5], v22 offset0:192 offset1:224
	v_add_f32_e32 v26, v30, v26
	v_add_f32_e32 v27, v29, v31
	;; [unrolled: 1-line block ×4, first 2 shown]
	s_waitcnt lgkmcnt(0)
	v_mul_f32_e32 v26, v3, v7
	v_fma_f32 v26, v2, v6, -v26
	v_mul_f32_e32 v7, v2, v7
	v_mul_f32_e32 v2, v5, v9
	;; [unrolled: 1-line block ×3, first 2 shown]
	v_fmac_f32_e32 v7, v3, v6
	v_add_f32_e32 v6, v25, v26
	v_fma_f32 v30, v4, v8, -v2
	ds_read_b128 v[25:28], v17 offset:128
	v_fmac_f32_e32 v9, v5, v8
	ds_read2_b64 v[2:5], v23 offset1:32
	v_add_f32_e32 v7, v29, v7
	v_add_f32_e32 v29, v6, v30
	;; [unrolled: 1-line block ×3, first 2 shown]
	ds_read_b128 v[6:9], v17 offset:144
	s_waitcnt lgkmcnt(1)
	v_mul_f32_e32 v31, v3, v26
	v_fma_f32 v31, v2, v25, -v31
	v_mul_f32_e32 v2, v2, v26
	v_fmac_f32_e32 v2, v3, v25
	v_mul_f32_e32 v3, v5, v28
	v_fma_f32 v3, v4, v27, -v3
	v_mul_f32_e32 v4, v4, v28
	v_fmac_f32_e32 v4, v5, v27
	ds_read2_b64 v[25:28], v23 offset0:64 offset1:96
	v_add_f32_e32 v2, v30, v2
	v_add_f32_e32 v30, v2, v4
	v_add_f32_e32 v5, v29, v31
	v_add_f32_e32 v29, v5, v3
	s_waitcnt lgkmcnt(0)
	v_mul_f32_e32 v2, v26, v7
	v_fma_f32 v31, v25, v6, -v2
	v_mul_f32_e32 v25, v25, v7
	v_mul_f32_e32 v2, v28, v9
	v_fmac_f32_e32 v25, v26, v6
	v_fma_f32 v26, v27, v8, -v2
	v_mul_f32_e32 v27, v27, v9
	ds_read_b128 v[2:5], v17 offset:160
	v_fmac_f32_e32 v27, v28, v8
	ds_read2_b64 v[6:9], v23 offset0:128 offset1:160
	v_add_f32_e32 v28, v29, v31
	v_add_f32_e32 v29, v30, v25
	;; [unrolled: 1-line block ×4, first 2 shown]
	ds_read_b128 v[27:30], v17 offset:176
	s_waitcnt lgkmcnt(1)
	v_mul_f32_e32 v31, v7, v3
	v_fma_f32 v33, v6, v2, -v31
	global_load_dwordx2 v[31:32], v[12:13], off
	v_mul_f32_e32 v6, v6, v3
	v_fmac_f32_e32 v6, v7, v2
	v_mul_f32_e32 v2, v9, v5
	v_fma_f32 v7, v8, v4, -v2
	v_mul_f32_e32 v8, v8, v5
	v_fmac_f32_e32 v8, v9, v4
	ds_read2_b64 v[2:5], v23 offset0:192 offset1:224
	v_add_f32_e32 v6, v26, v6
	v_add_f32_e32 v26, v6, v8
	;; [unrolled: 1-line block ×4, first 2 shown]
	s_waitcnt lgkmcnt(0)
	v_mul_f32_e32 v6, v3, v28
	v_fma_f32 v33, v2, v27, -v6
	v_mul_f32_e32 v28, v2, v28
	v_mul_f32_e32 v2, v5, v30
	;; [unrolled: 1-line block ×3, first 2 shown]
	v_fmac_f32_e32 v28, v3, v27
	v_fma_f32 v27, v4, v29, -v2
	v_fmac_f32_e32 v30, v5, v29
	ds_read_b128 v[2:5], v17 offset:192
	ds_read2_b64 v[6:9], v24 offset1:32
	v_add_f32_e32 v25, v25, v33
	v_add_f32_e32 v26, v26, v28
	;; [unrolled: 1-line block ×4, first 2 shown]
	s_waitcnt lgkmcnt(0)
	v_mul_f32_e32 v33, v7, v3
	v_fma_f32 v33, v6, v2, -v33
	v_mul_f32_e32 v6, v6, v3
	v_fmac_f32_e32 v6, v7, v2
	v_mul_f32_e32 v2, v9, v5
	v_fma_f32 v7, v8, v4, -v2
	v_mul_f32_e32 v8, v8, v5
	ds_read_b128 v[25:28], v17 offset:208
	v_fmac_f32_e32 v8, v9, v4
	ds_read2_b64 v[2:5], v24 offset0:64 offset1:96
	v_add_f32_e32 v6, v30, v6
	v_add_f32_e32 v30, v6, v8
	;; [unrolled: 1-line block ×4, first 2 shown]
	s_waitcnt lgkmcnt(0)
	v_mul_f32_e32 v6, v3, v26
	v_fma_f32 v33, v2, v25, -v6
	v_mul_f32_e32 v26, v2, v26
	v_mul_f32_e32 v2, v5, v28
	v_mul_f32_e32 v28, v4, v28
	v_fmac_f32_e32 v26, v3, v25
	v_fma_f32 v25, v4, v27, -v2
	v_fmac_f32_e32 v28, v5, v27
	ds_read_b128 v[2:5], v17 offset:224
	ds_read2_b64 v[6:9], v24 offset0:128 offset1:160
	v_add_f32_e32 v27, v29, v33
	v_add_f32_e32 v26, v30, v26
	;; [unrolled: 1-line block ×4, first 2 shown]
	s_waitcnt lgkmcnt(0)
	v_mul_f32_e32 v33, v7, v3
	v_fma_f32 v33, v6, v2, -v33
	v_mul_f32_e32 v6, v6, v3
	v_fmac_f32_e32 v6, v7, v2
	v_mul_f32_e32 v2, v9, v5
	v_fma_f32 v7, v8, v4, -v2
	v_mul_f32_e32 v8, v8, v5
	ds_read_b128 v[25:28], v17 offset:240
	v_fmac_f32_e32 v8, v9, v4
	ds_read2_b64 v[2:5], v24 offset0:192 offset1:224
	v_add_f32_e32 v6, v30, v6
	v_add_f32_e32 v6, v6, v8
	v_add_f32_e32 v9, v29, v33
	v_add_f32_e32 v7, v9, v7
	s_waitcnt lgkmcnt(0)
	v_mul_f32_e32 v8, v3, v26
	v_fma_f32 v8, v2, v25, -v8
	v_mul_f32_e32 v2, v2, v26
	v_fmac_f32_e32 v2, v3, v25
	v_add_f32_e32 v2, v6, v2
	v_mul_f32_e32 v6, v5, v28
	v_fma_f32 v6, v4, v27, -v6
	v_mul_f32_e32 v4, v4, v28
	v_fmac_f32_e32 v4, v5, v27
	v_add_f32_e32 v3, v7, v8
	v_add_f32_e32 v2, v2, v4
	;; [unrolled: 1-line block ×3, first 2 shown]
	v_mul_f32_e32 v4, s11, v2
	v_mul_f32_e32 v5, s10, v2
	v_fma_f32 v4, s10, v3, -v4
	v_fmac_f32_e32 v5, s11, v3
	s_waitcnt vmcnt(0)
	v_add_f32_e32 v2, v31, v4
	v_add_f32_e32 v3, v32, v5
	global_store_dwordx2 v[12:13], v[2:3], off
	s_branch .LBB384_4
.LBB384_11:
	v_cmp_eq_u32_e32 vcc, v10, v14
	v_cmp_gt_i32_e64 s[0:1], s13, v10
	s_and_b64 s[0:1], vcc, s[0:1]
	s_and_saveexec_b64 s[2:3], s[0:1]
	s_cbranch_execz .LBB384_13
; %bb.12:
	v_mad_i64_i32 v[0:1], s[0:1], s9, v10, 0
	v_mov_b32_e32 v2, s15
	v_lshlrev_b64 v[0:1], 3, v[0:1]
	v_add_co_u32_e32 v3, vcc, s12, v0
	v_addc_co_u32_e32 v2, vcc, v2, v1, vcc
	v_lshlrev_b64 v[0:1], 3, v[10:11]
	v_add_co_u32_e32 v0, vcc, v3, v0
	v_addc_co_u32_e32 v1, vcc, v2, v1, vcc
	v_mov_b32_e32 v2, 0
	global_store_dword v[0:1], v2, off offset:4
.LBB384_13:
	s_endpgm
	.section	.rodata,"a",@progbits
	.p2align	6, 0x0
	.amdhsa_kernel _ZL26rocblas_syr2k_her2k_kernelIiLb0ELb1ELb1ELi32EPK19rocblas_complex_numIfES3_PS1_EvbiT_T4_T5_S5_lS7_S5_lT6_S5_li
		.amdhsa_group_segment_fixed_size 16384
		.amdhsa_private_segment_fixed_size 0
		.amdhsa_kernarg_size 100
		.amdhsa_user_sgpr_count 6
		.amdhsa_user_sgpr_private_segment_buffer 1
		.amdhsa_user_sgpr_dispatch_ptr 0
		.amdhsa_user_sgpr_queue_ptr 0
		.amdhsa_user_sgpr_kernarg_segment_ptr 1
		.amdhsa_user_sgpr_dispatch_id 0
		.amdhsa_user_sgpr_flat_scratch_init 0
		.amdhsa_user_sgpr_private_segment_size 0
		.amdhsa_uses_dynamic_stack 0
		.amdhsa_system_sgpr_private_segment_wavefront_offset 0
		.amdhsa_system_sgpr_workgroup_id_x 1
		.amdhsa_system_sgpr_workgroup_id_y 1
		.amdhsa_system_sgpr_workgroup_id_z 1
		.amdhsa_system_sgpr_workgroup_info 0
		.amdhsa_system_vgpr_workitem_id 1
		.amdhsa_next_free_vgpr 38
		.amdhsa_next_free_sgpr 61
		.amdhsa_reserve_vcc 1
		.amdhsa_reserve_flat_scratch 0
		.amdhsa_float_round_mode_32 0
		.amdhsa_float_round_mode_16_64 0
		.amdhsa_float_denorm_mode_32 3
		.amdhsa_float_denorm_mode_16_64 3
		.amdhsa_dx10_clamp 1
		.amdhsa_ieee_mode 1
		.amdhsa_fp16_overflow 0
		.amdhsa_exception_fp_ieee_invalid_op 0
		.amdhsa_exception_fp_denorm_src 0
		.amdhsa_exception_fp_ieee_div_zero 0
		.amdhsa_exception_fp_ieee_overflow 0
		.amdhsa_exception_fp_ieee_underflow 0
		.amdhsa_exception_fp_ieee_inexact 0
		.amdhsa_exception_int_div_zero 0
	.end_amdhsa_kernel
	.section	.text._ZL26rocblas_syr2k_her2k_kernelIiLb0ELb1ELb1ELi32EPK19rocblas_complex_numIfES3_PS1_EvbiT_T4_T5_S5_lS7_S5_lT6_S5_li,"axG",@progbits,_ZL26rocblas_syr2k_her2k_kernelIiLb0ELb1ELb1ELi32EPK19rocblas_complex_numIfES3_PS1_EvbiT_T4_T5_S5_lS7_S5_lT6_S5_li,comdat
.Lfunc_end384:
	.size	_ZL26rocblas_syr2k_her2k_kernelIiLb0ELb1ELb1ELi32EPK19rocblas_complex_numIfES3_PS1_EvbiT_T4_T5_S5_lS7_S5_lT6_S5_li, .Lfunc_end384-_ZL26rocblas_syr2k_her2k_kernelIiLb0ELb1ELb1ELi32EPK19rocblas_complex_numIfES3_PS1_EvbiT_T4_T5_S5_lS7_S5_lT6_S5_li
                                        ; -- End function
	.set _ZL26rocblas_syr2k_her2k_kernelIiLb0ELb1ELb1ELi32EPK19rocblas_complex_numIfES3_PS1_EvbiT_T4_T5_S5_lS7_S5_lT6_S5_li.num_vgpr, 38
	.set _ZL26rocblas_syr2k_her2k_kernelIiLb0ELb1ELb1ELi32EPK19rocblas_complex_numIfES3_PS1_EvbiT_T4_T5_S5_lS7_S5_lT6_S5_li.num_agpr, 0
	.set _ZL26rocblas_syr2k_her2k_kernelIiLb0ELb1ELb1ELi32EPK19rocblas_complex_numIfES3_PS1_EvbiT_T4_T5_S5_lS7_S5_lT6_S5_li.numbered_sgpr, 24
	.set _ZL26rocblas_syr2k_her2k_kernelIiLb0ELb1ELb1ELi32EPK19rocblas_complex_numIfES3_PS1_EvbiT_T4_T5_S5_lS7_S5_lT6_S5_li.num_named_barrier, 0
	.set _ZL26rocblas_syr2k_her2k_kernelIiLb0ELb1ELb1ELi32EPK19rocblas_complex_numIfES3_PS1_EvbiT_T4_T5_S5_lS7_S5_lT6_S5_li.private_seg_size, 0
	.set _ZL26rocblas_syr2k_her2k_kernelIiLb0ELb1ELb1ELi32EPK19rocblas_complex_numIfES3_PS1_EvbiT_T4_T5_S5_lS7_S5_lT6_S5_li.uses_vcc, 1
	.set _ZL26rocblas_syr2k_her2k_kernelIiLb0ELb1ELb1ELi32EPK19rocblas_complex_numIfES3_PS1_EvbiT_T4_T5_S5_lS7_S5_lT6_S5_li.uses_flat_scratch, 0
	.set _ZL26rocblas_syr2k_her2k_kernelIiLb0ELb1ELb1ELi32EPK19rocblas_complex_numIfES3_PS1_EvbiT_T4_T5_S5_lS7_S5_lT6_S5_li.has_dyn_sized_stack, 0
	.set _ZL26rocblas_syr2k_her2k_kernelIiLb0ELb1ELb1ELi32EPK19rocblas_complex_numIfES3_PS1_EvbiT_T4_T5_S5_lS7_S5_lT6_S5_li.has_recursion, 0
	.set _ZL26rocblas_syr2k_her2k_kernelIiLb0ELb1ELb1ELi32EPK19rocblas_complex_numIfES3_PS1_EvbiT_T4_T5_S5_lS7_S5_lT6_S5_li.has_indirect_call, 0
	.section	.AMDGPU.csdata,"",@progbits
; Kernel info:
; codeLenInByte = 2064
; TotalNumSgprs: 28
; NumVgprs: 38
; ScratchSize: 0
; MemoryBound: 0
; FloatMode: 240
; IeeeMode: 1
; LDSByteSize: 16384 bytes/workgroup (compile time only)
; SGPRBlocks: 8
; VGPRBlocks: 9
; NumSGPRsForWavesPerEU: 65
; NumVGPRsForWavesPerEU: 38
; Occupancy: 6
; WaveLimiterHint : 0
; COMPUTE_PGM_RSRC2:SCRATCH_EN: 0
; COMPUTE_PGM_RSRC2:USER_SGPR: 6
; COMPUTE_PGM_RSRC2:TRAP_HANDLER: 0
; COMPUTE_PGM_RSRC2:TGID_X_EN: 1
; COMPUTE_PGM_RSRC2:TGID_Y_EN: 1
; COMPUTE_PGM_RSRC2:TGID_Z_EN: 1
; COMPUTE_PGM_RSRC2:TIDIG_COMP_CNT: 1
	.section	.text._ZL26rocblas_syr2k_her2k_kernelIiLb0ELb1ELb0ELi32E19rocblas_complex_numIdEPKS1_PS1_EvbiT_T4_T5_S5_lS7_S5_lT6_S5_li,"axG",@progbits,_ZL26rocblas_syr2k_her2k_kernelIiLb0ELb1ELb0ELi32E19rocblas_complex_numIdEPKS1_PS1_EvbiT_T4_T5_S5_lS7_S5_lT6_S5_li,comdat
	.globl	_ZL26rocblas_syr2k_her2k_kernelIiLb0ELb1ELb0ELi32E19rocblas_complex_numIdEPKS1_PS1_EvbiT_T4_T5_S5_lS7_S5_lT6_S5_li ; -- Begin function _ZL26rocblas_syr2k_her2k_kernelIiLb0ELb1ELb0ELi32E19rocblas_complex_numIdEPKS1_PS1_EvbiT_T4_T5_S5_lS7_S5_lT6_S5_li
	.p2align	8
	.type	_ZL26rocblas_syr2k_her2k_kernelIiLb0ELb1ELb0ELi32E19rocblas_complex_numIdEPKS1_PS1_EvbiT_T4_T5_S5_lS7_S5_lT6_S5_li,@function
_ZL26rocblas_syr2k_her2k_kernelIiLb0ELb1ELb0ELi32E19rocblas_complex_numIdEPKS1_PS1_EvbiT_T4_T5_S5_lS7_S5_lT6_S5_li: ; @_ZL26rocblas_syr2k_her2k_kernelIiLb0ELb1ELb0ELi32E19rocblas_complex_numIdEPKS1_PS1_EvbiT_T4_T5_S5_lS7_S5_lT6_S5_li
; %bb.0:
	s_load_dwordx4 s[12:15], s[4:5], 0x10
	s_waitcnt lgkmcnt(0)
	v_cmp_eq_f64_e64 s[0:1], s[12:13], 0
	v_cmp_eq_f64_e64 s[2:3], s[14:15], 0
	s_and_b64 s[0:1], s[0:1], s[2:3]
	s_and_b64 vcc, exec, s[0:1]
	s_cbranch_vccnz .LBB385_13
; %bb.1:
	s_load_dwordx4 s[16:19], s[4:5], 0x0
	s_lshl_b32 s2, s7, 5
	s_lshl_b32 s3, s6, 5
	s_waitcnt lgkmcnt(0)
	s_and_b32 s0, 1, s16
	s_cmp_eq_u32 s0, 1
	s_cselect_b64 s[0:1], -1, 0
	s_and_b64 s[6:7], s[0:1], exec
	s_cselect_b32 s6, s3, s2
	s_cselect_b32 s7, s2, s3
	s_cmp_gt_i32 s6, s7
	s_cbranch_scc1 .LBB385_13
; %bb.2:
	s_load_dwordx2 s[6:7], s[4:5], 0x60
	s_load_dwordx4 s[20:23], s[4:5], 0x48
	s_load_dword s9, s[4:5], 0x58
	v_add_u32_e32 v8, s3, v0
	v_add_u32_e32 v10, s2, v1
	s_waitcnt lgkmcnt(0)
	s_mul_i32 s7, s7, s8
	s_mul_hi_u32 s10, s6, s8
	s_mul_i32 s6, s6, s8
	s_add_i32 s7, s10, s7
	s_lshl_b64 s[6:7], s[6:7], 4
	s_add_u32 s10, s22, s6
	s_addc_u32 s11, s23, s7
	s_cmp_lt_i32 s18, 1
	v_cmp_gt_i32_e32 vcc, s17, v8
	v_ashrrev_i32_e32 v9, 31, v8
	s_cbranch_scc1 .LBB385_11
; %bb.3:
	s_load_dwordx4 s[24:27], s[4:5], 0x30
	s_load_dwordx2 s[2:3], s[4:5], 0x20
	s_load_dword s19, s[4:5], 0x28
	s_load_dword s22, s[4:5], 0x40
	v_lshlrev_b64 v[2:3], 4, v[8:9]
	v_cndmask_b32_e64 v6, v8, v10, s[0:1]
	v_cndmask_b32_e64 v7, v10, v8, s[0:1]
	s_waitcnt lgkmcnt(0)
	s_mul_i32 s4, s25, s8
	s_mul_hi_u32 s5, s24, s8
	s_add_i32 s5, s5, s4
	s_mul_i32 s4, s24, s8
	s_lshl_b64 s[4:5], s[4:5], 4
	s_add_u32 s4, s2, s4
	s_addc_u32 s5, s3, s5
	s_mul_i32 s2, s21, s8
	s_mul_hi_u32 s3, s20, s8
	s_add_i32 s3, s3, s2
	s_mul_i32 s2, s20, s8
	s_lshl_b64 s[2:3], s[2:3], 4
	v_mov_b32_e32 v4, s5
	v_add_co_u32_e64 v13, s[0:1], s4, v2
	v_ashrrev_i32_e32 v11, 31, v10
	s_add_u32 s2, s26, s2
	v_addc_co_u32_e64 v14, s[0:1], v4, v3, s[0:1]
	v_lshlrev_b64 v[4:5], 4, v[10:11]
	s_addc_u32 s3, s27, s3
	v_mov_b32_e32 v11, s3
	v_add_co_u32_e64 v17, s[2:3], s2, v4
	v_addc_co_u32_e64 v18, s[2:3], v11, v5, s[2:3]
	v_mad_i64_i32 v[4:5], s[2:3], s9, v10, 0
	v_cmp_gt_i32_e64 s[0:1], s17, v10
	v_cmp_le_i32_e64 s[2:3], v7, v6
	v_lshlrev_b64 v[4:5], 4, v[4:5]
	s_and_b64 s[4:5], s[0:1], vcc
	s_and_b64 s[4:5], s[4:5], s[2:3]
	v_mov_b32_e32 v6, s11
	v_add_co_u32_e64 v4, s[2:3], s10, v4
	v_lshlrev_b32_e32 v12, 4, v1
	v_addc_co_u32_e64 v5, s[2:3], v6, v5, s[2:3]
	v_lshlrev_b32_e32 v15, 9, v0
	v_or_b32_e32 v19, 0x4000, v12
	v_add_co_u32_e64 v11, s[2:3], v4, v2
	s_mov_b32 s16, 0
	v_add_u32_e32 v16, v15, v12
	v_add_u32_e32 v20, v19, v15
	v_addc_co_u32_e64 v12, s[2:3], v5, v3, s[2:3]
	s_branch .LBB385_5
.LBB385_4:                              ;   in Loop: Header=BB385_5 Depth=1
	s_or_b64 exec, exec, s[2:3]
	s_add_i32 s16, s16, 32
	s_cmp_ge_i32 s16, s18
	s_waitcnt vmcnt(0)
	s_barrier
	s_cbranch_scc1 .LBB385_11
.LBB385_5:                              ; =>This Inner Loop Header: Depth=1
	v_add_u32_e32 v21, s16, v1
	v_cmp_gt_i32_e64 s[2:3], s18, v21
	v_mov_b32_e32 v2, 0
	v_mov_b32_e32 v4, 0
	;; [unrolled: 1-line block ×6, first 2 shown]
	s_and_b64 s[2:3], vcc, s[2:3]
	s_and_saveexec_b64 s[6:7], s[2:3]
	s_cbranch_execz .LBB385_7
; %bb.6:                                ;   in Loop: Header=BB385_5 Depth=1
	v_mad_i64_i32 v[4:5], s[2:3], v21, s19, 0
	v_lshlrev_b64 v[4:5], 4, v[4:5]
	v_add_co_u32_e64 v4, s[2:3], v13, v4
	v_addc_co_u32_e64 v5, s[2:3], v14, v5, s[2:3]
	global_load_dwordx4 v[4:7], v[4:5], off
.LBB385_7:                              ;   in Loop: Header=BB385_5 Depth=1
	s_or_b64 exec, exec, s[6:7]
	s_waitcnt vmcnt(0)
	ds_write_b128 v16, v[4:7]
	v_add_u32_e32 v6, s16, v0
	v_cmp_gt_i32_e64 s[2:3], s18, v6
	v_mov_b32_e32 v4, 0
	v_mov_b32_e32 v5, 0
	s_and_b64 s[2:3], s[0:1], s[2:3]
	s_and_saveexec_b64 s[6:7], s[2:3]
	s_cbranch_execz .LBB385_9
; %bb.8:                                ;   in Loop: Header=BB385_5 Depth=1
	v_mad_i64_i32 v[2:3], s[2:3], v6, s22, 0
	v_lshlrev_b64 v[2:3], 4, v[2:3]
	v_add_co_u32_e64 v2, s[2:3], v17, v2
	v_addc_co_u32_e64 v3, s[2:3], v18, v3, s[2:3]
	global_load_dwordx4 v[2:5], v[2:3], off
	s_waitcnt vmcnt(0)
	v_xor_b32_e32 v5, 0x80000000, v5
.LBB385_9:                              ;   in Loop: Header=BB385_5 Depth=1
	s_or_b64 exec, exec, s[6:7]
	ds_write_b128 v20, v[2:5]
	s_waitcnt lgkmcnt(0)
	s_barrier
	s_and_saveexec_b64 s[2:3], s[4:5]
	s_cbranch_execz .LBB385_4
; %bb.10:                               ;   in Loop: Header=BB385_5 Depth=1
	ds_read_b128 v[21:24], v19
	ds_read_b128 v[25:28], v15
	ds_read_b128 v[29:32], v15 offset:16
	ds_read_b128 v[33:36], v15 offset:32
	;; [unrolled: 1-line block ×3, first 2 shown]
	s_waitcnt lgkmcnt(3)
	v_mul_f64 v[6:7], v[23:24], v[27:28]
	v_fma_f64 v[6:7], v[21:22], v[25:26], -v[6:7]
	v_mul_f64 v[21:22], v[21:22], v[27:28]
	v_add_f64 v[6:7], v[6:7], 0
	v_fma_f64 v[21:22], v[23:24], v[25:26], v[21:22]
	v_add_f64 v[25:26], v[21:22], 0
	ds_read_b128 v[21:24], v19 offset:512
	s_waitcnt lgkmcnt(0)
	v_mul_f64 v[27:28], v[23:24], v[31:32]
	v_fma_f64 v[27:28], v[21:22], v[29:30], -v[27:28]
	v_mul_f64 v[21:22], v[21:22], v[31:32]
	v_add_f64 v[6:7], v[6:7], v[27:28]
	v_fma_f64 v[21:22], v[23:24], v[29:30], v[21:22]
	v_add_f64 v[25:26], v[25:26], v[21:22]
	ds_read_b128 v[21:24], v19 offset:1024
	;; [unrolled: 8-line block ×3, first 2 shown]
	s_waitcnt lgkmcnt(0)
	v_mul_f64 v[27:28], v[23:24], v[4:5]
	v_mul_f64 v[4:5], v[21:22], v[4:5]
	v_fma_f64 v[27:28], v[21:22], v[2:3], -v[27:28]
	v_fma_f64 v[2:3], v[23:24], v[2:3], v[4:5]
	v_add_f64 v[6:7], v[6:7], v[27:28]
	v_add_f64 v[25:26], v[25:26], v[2:3]
	ds_read_b128 v[2:5], v19 offset:2048
	ds_read_b128 v[21:24], v15 offset:64
	s_waitcnt lgkmcnt(0)
	v_mul_f64 v[27:28], v[4:5], v[23:24]
	v_fma_f64 v[27:28], v[2:3], v[21:22], -v[27:28]
	v_mul_f64 v[2:3], v[2:3], v[23:24]
	v_add_f64 v[6:7], v[6:7], v[27:28]
	v_fma_f64 v[2:3], v[4:5], v[21:22], v[2:3]
	v_add_f64 v[25:26], v[25:26], v[2:3]
	ds_read_b128 v[2:5], v19 offset:2560
	ds_read_b128 v[21:24], v15 offset:80
	s_waitcnt lgkmcnt(0)
	v_mul_f64 v[27:28], v[4:5], v[23:24]
	v_fma_f64 v[27:28], v[2:3], v[21:22], -v[27:28]
	v_mul_f64 v[2:3], v[2:3], v[23:24]
	v_add_f64 v[6:7], v[6:7], v[27:28]
	v_fma_f64 v[2:3], v[4:5], v[21:22], v[2:3]
	;; [unrolled: 9-line block ×27, first 2 shown]
	v_add_f64 v[25:26], v[25:26], v[2:3]
	ds_read_b128 v[2:5], v19 offset:15872
	ds_read_b128 v[21:24], v15 offset:496
	s_waitcnt lgkmcnt(0)
	v_mul_f64 v[27:28], v[4:5], v[23:24]
	v_fma_f64 v[27:28], v[2:3], v[21:22], -v[27:28]
	v_mul_f64 v[2:3], v[2:3], v[23:24]
	v_fma_f64 v[2:3], v[4:5], v[21:22], v[2:3]
	global_load_dwordx4 v[21:24], v[11:12], off
	v_add_f64 v[4:5], v[6:7], v[27:28]
	v_add_f64 v[6:7], v[25:26], v[2:3]
	v_mul_f64 v[2:3], s[14:15], v[6:7]
	v_mul_f64 v[6:7], s[12:13], v[6:7]
	v_fma_f64 v[2:3], s[12:13], v[4:5], -v[2:3]
	v_fma_f64 v[4:5], s[14:15], v[4:5], v[6:7]
	s_waitcnt vmcnt(0)
	v_add_f64 v[2:3], v[21:22], v[2:3]
	v_add_f64 v[4:5], v[23:24], v[4:5]
	global_store_dwordx4 v[11:12], v[2:5], off
	s_branch .LBB385_4
.LBB385_11:
	v_cmp_eq_u32_e32 vcc, v8, v10
	v_cmp_gt_i32_e64 s[0:1], s17, v8
	s_and_b64 s[0:1], vcc, s[0:1]
	s_and_saveexec_b64 s[2:3], s[0:1]
	s_cbranch_execz .LBB385_13
; %bb.12:
	v_mad_i64_i32 v[0:1], s[0:1], s9, v8, 0
	v_mov_b32_e32 v2, s11
	v_lshlrev_b64 v[0:1], 4, v[0:1]
	v_add_co_u32_e32 v3, vcc, s10, v0
	v_addc_co_u32_e32 v2, vcc, v2, v1, vcc
	v_lshlrev_b64 v[0:1], 4, v[8:9]
	v_add_co_u32_e32 v0, vcc, v3, v0
	v_addc_co_u32_e32 v1, vcc, v2, v1, vcc
	v_mov_b32_e32 v2, 0
	v_mov_b32_e32 v3, v2
	global_store_dwordx2 v[0:1], v[2:3], off offset:8
.LBB385_13:
	s_endpgm
	.section	.rodata,"a",@progbits
	.p2align	6, 0x0
	.amdhsa_kernel _ZL26rocblas_syr2k_her2k_kernelIiLb0ELb1ELb0ELi32E19rocblas_complex_numIdEPKS1_PS1_EvbiT_T4_T5_S5_lS7_S5_lT6_S5_li
		.amdhsa_group_segment_fixed_size 32768
		.amdhsa_private_segment_fixed_size 0
		.amdhsa_kernarg_size 108
		.amdhsa_user_sgpr_count 6
		.amdhsa_user_sgpr_private_segment_buffer 1
		.amdhsa_user_sgpr_dispatch_ptr 0
		.amdhsa_user_sgpr_queue_ptr 0
		.amdhsa_user_sgpr_kernarg_segment_ptr 1
		.amdhsa_user_sgpr_dispatch_id 0
		.amdhsa_user_sgpr_flat_scratch_init 0
		.amdhsa_user_sgpr_private_segment_size 0
		.amdhsa_uses_dynamic_stack 0
		.amdhsa_system_sgpr_private_segment_wavefront_offset 0
		.amdhsa_system_sgpr_workgroup_id_x 1
		.amdhsa_system_sgpr_workgroup_id_y 1
		.amdhsa_system_sgpr_workgroup_id_z 1
		.amdhsa_system_sgpr_workgroup_info 0
		.amdhsa_system_vgpr_workitem_id 1
		.amdhsa_next_free_vgpr 37
		.amdhsa_next_free_sgpr 61
		.amdhsa_reserve_vcc 1
		.amdhsa_reserve_flat_scratch 0
		.amdhsa_float_round_mode_32 0
		.amdhsa_float_round_mode_16_64 0
		.amdhsa_float_denorm_mode_32 3
		.amdhsa_float_denorm_mode_16_64 3
		.amdhsa_dx10_clamp 1
		.amdhsa_ieee_mode 1
		.amdhsa_fp16_overflow 0
		.amdhsa_exception_fp_ieee_invalid_op 0
		.amdhsa_exception_fp_denorm_src 0
		.amdhsa_exception_fp_ieee_div_zero 0
		.amdhsa_exception_fp_ieee_overflow 0
		.amdhsa_exception_fp_ieee_underflow 0
		.amdhsa_exception_fp_ieee_inexact 0
		.amdhsa_exception_int_div_zero 0
	.end_amdhsa_kernel
	.section	.text._ZL26rocblas_syr2k_her2k_kernelIiLb0ELb1ELb0ELi32E19rocblas_complex_numIdEPKS1_PS1_EvbiT_T4_T5_S5_lS7_S5_lT6_S5_li,"axG",@progbits,_ZL26rocblas_syr2k_her2k_kernelIiLb0ELb1ELb0ELi32E19rocblas_complex_numIdEPKS1_PS1_EvbiT_T4_T5_S5_lS7_S5_lT6_S5_li,comdat
.Lfunc_end385:
	.size	_ZL26rocblas_syr2k_her2k_kernelIiLb0ELb1ELb0ELi32E19rocblas_complex_numIdEPKS1_PS1_EvbiT_T4_T5_S5_lS7_S5_lT6_S5_li, .Lfunc_end385-_ZL26rocblas_syr2k_her2k_kernelIiLb0ELb1ELb0ELi32E19rocblas_complex_numIdEPKS1_PS1_EvbiT_T4_T5_S5_lS7_S5_lT6_S5_li
                                        ; -- End function
	.set _ZL26rocblas_syr2k_her2k_kernelIiLb0ELb1ELb0ELi32E19rocblas_complex_numIdEPKS1_PS1_EvbiT_T4_T5_S5_lS7_S5_lT6_S5_li.num_vgpr, 37
	.set _ZL26rocblas_syr2k_her2k_kernelIiLb0ELb1ELb0ELi32E19rocblas_complex_numIdEPKS1_PS1_EvbiT_T4_T5_S5_lS7_S5_lT6_S5_li.num_agpr, 0
	.set _ZL26rocblas_syr2k_her2k_kernelIiLb0ELb1ELb0ELi32E19rocblas_complex_numIdEPKS1_PS1_EvbiT_T4_T5_S5_lS7_S5_lT6_S5_li.numbered_sgpr, 28
	.set _ZL26rocblas_syr2k_her2k_kernelIiLb0ELb1ELb0ELi32E19rocblas_complex_numIdEPKS1_PS1_EvbiT_T4_T5_S5_lS7_S5_lT6_S5_li.num_named_barrier, 0
	.set _ZL26rocblas_syr2k_her2k_kernelIiLb0ELb1ELb0ELi32E19rocblas_complex_numIdEPKS1_PS1_EvbiT_T4_T5_S5_lS7_S5_lT6_S5_li.private_seg_size, 0
	.set _ZL26rocblas_syr2k_her2k_kernelIiLb0ELb1ELb0ELi32E19rocblas_complex_numIdEPKS1_PS1_EvbiT_T4_T5_S5_lS7_S5_lT6_S5_li.uses_vcc, 1
	.set _ZL26rocblas_syr2k_her2k_kernelIiLb0ELb1ELb0ELi32E19rocblas_complex_numIdEPKS1_PS1_EvbiT_T4_T5_S5_lS7_S5_lT6_S5_li.uses_flat_scratch, 0
	.set _ZL26rocblas_syr2k_her2k_kernelIiLb0ELb1ELb0ELi32E19rocblas_complex_numIdEPKS1_PS1_EvbiT_T4_T5_S5_lS7_S5_lT6_S5_li.has_dyn_sized_stack, 0
	.set _ZL26rocblas_syr2k_her2k_kernelIiLb0ELb1ELb0ELi32E19rocblas_complex_numIdEPKS1_PS1_EvbiT_T4_T5_S5_lS7_S5_lT6_S5_li.has_recursion, 0
	.set _ZL26rocblas_syr2k_her2k_kernelIiLb0ELb1ELb0ELi32E19rocblas_complex_numIdEPKS1_PS1_EvbiT_T4_T5_S5_lS7_S5_lT6_S5_li.has_indirect_call, 0
	.section	.AMDGPU.csdata,"",@progbits
; Kernel info:
; codeLenInByte = 3024
; TotalNumSgprs: 32
; NumVgprs: 37
; ScratchSize: 0
; MemoryBound: 1
; FloatMode: 240
; IeeeMode: 1
; LDSByteSize: 32768 bytes/workgroup (compile time only)
; SGPRBlocks: 8
; VGPRBlocks: 9
; NumSGPRsForWavesPerEU: 65
; NumVGPRsForWavesPerEU: 37
; Occupancy: 6
; WaveLimiterHint : 0
; COMPUTE_PGM_RSRC2:SCRATCH_EN: 0
; COMPUTE_PGM_RSRC2:USER_SGPR: 6
; COMPUTE_PGM_RSRC2:TRAP_HANDLER: 0
; COMPUTE_PGM_RSRC2:TGID_X_EN: 1
; COMPUTE_PGM_RSRC2:TGID_Y_EN: 1
; COMPUTE_PGM_RSRC2:TGID_Z_EN: 1
; COMPUTE_PGM_RSRC2:TIDIG_COMP_CNT: 1
	.section	.text._ZL26rocblas_syr2k_her2k_kernelIiLb0ELb1ELb1ELi32E19rocblas_complex_numIdEPKS1_PS1_EvbiT_T4_T5_S5_lS7_S5_lT6_S5_li,"axG",@progbits,_ZL26rocblas_syr2k_her2k_kernelIiLb0ELb1ELb1ELi32E19rocblas_complex_numIdEPKS1_PS1_EvbiT_T4_T5_S5_lS7_S5_lT6_S5_li,comdat
	.globl	_ZL26rocblas_syr2k_her2k_kernelIiLb0ELb1ELb1ELi32E19rocblas_complex_numIdEPKS1_PS1_EvbiT_T4_T5_S5_lS7_S5_lT6_S5_li ; -- Begin function _ZL26rocblas_syr2k_her2k_kernelIiLb0ELb1ELb1ELi32E19rocblas_complex_numIdEPKS1_PS1_EvbiT_T4_T5_S5_lS7_S5_lT6_S5_li
	.p2align	8
	.type	_ZL26rocblas_syr2k_her2k_kernelIiLb0ELb1ELb1ELi32E19rocblas_complex_numIdEPKS1_PS1_EvbiT_T4_T5_S5_lS7_S5_lT6_S5_li,@function
_ZL26rocblas_syr2k_her2k_kernelIiLb0ELb1ELb1ELi32E19rocblas_complex_numIdEPKS1_PS1_EvbiT_T4_T5_S5_lS7_S5_lT6_S5_li: ; @_ZL26rocblas_syr2k_her2k_kernelIiLb0ELb1ELb1ELi32E19rocblas_complex_numIdEPKS1_PS1_EvbiT_T4_T5_S5_lS7_S5_lT6_S5_li
; %bb.0:
	s_load_dwordx4 s[12:15], s[4:5], 0x10
	s_waitcnt lgkmcnt(0)
	v_cmp_eq_f64_e64 s[0:1], s[12:13], 0
	v_cmp_eq_f64_e64 s[2:3], s[14:15], 0
	s_and_b64 s[0:1], s[0:1], s[2:3]
	s_and_b64 vcc, exec, s[0:1]
	s_cbranch_vccnz .LBB386_13
; %bb.1:
	s_load_dwordx4 s[16:19], s[4:5], 0x0
	s_lshl_b32 s2, s7, 5
	s_lshl_b32 s3, s6, 5
	s_waitcnt lgkmcnt(0)
	s_and_b32 s0, 1, s16
	s_cmp_eq_u32 s0, 1
	s_cselect_b64 s[0:1], -1, 0
	s_and_b64 s[6:7], s[0:1], exec
	s_cselect_b32 s6, s3, s2
	s_cselect_b32 s7, s2, s3
	s_cmp_gt_i32 s6, s7
	s_cbranch_scc1 .LBB386_13
; %bb.2:
	s_load_dwordx2 s[6:7], s[4:5], 0x60
	s_load_dwordx4 s[20:23], s[4:5], 0x48
	s_load_dword s9, s[4:5], 0x58
	v_add_u32_e32 v8, s3, v0
	v_add_u32_e32 v14, s2, v1
	s_waitcnt lgkmcnt(0)
	s_mul_i32 s7, s7, s8
	s_mul_hi_u32 s10, s6, s8
	s_mul_i32 s6, s6, s8
	s_add_i32 s7, s10, s7
	s_lshl_b64 s[6:7], s[6:7], 4
	s_add_u32 s10, s22, s6
	s_addc_u32 s11, s23, s7
	s_cmp_lt_i32 s18, 1
	v_cmp_gt_i32_e32 vcc, s17, v8
	v_ashrrev_i32_e32 v9, 31, v8
	s_cbranch_scc1 .LBB386_11
; %bb.3:
	s_load_dwordx4 s[24:27], s[4:5], 0x30
	s_load_dwordx2 s[2:3], s[4:5], 0x20
	s_load_dword s6, s[4:5], 0x28
	s_load_dword s7, s[4:5], 0x40
	v_cndmask_b32_e64 v4, v8, v14, s[0:1]
	v_cndmask_b32_e64 v5, v14, v8, s[0:1]
	v_lshlrev_b32_e32 v17, 9, v0
	s_waitcnt lgkmcnt(0)
	s_mul_i32 s4, s25, s8
	s_mul_hi_u32 s5, s24, s8
	s_add_i32 s5, s5, s4
	s_mul_i32 s4, s24, s8
	s_lshl_b64 s[4:5], s[4:5], 4
	s_add_u32 s19, s2, s4
	s_addc_u32 s22, s3, s5
	v_mad_i64_i32 v[2:3], s[4:5], s6, v8, 0
	v_mov_b32_e32 v6, s22
	s_mul_i32 s2, s21, s8
	v_lshlrev_b64 v[2:3], 4, v[2:3]
	s_mul_hi_u32 s3, s20, s8
	v_add_co_u32_e64 v15, s[0:1], s19, v2
	v_addc_co_u32_e64 v16, s[0:1], v6, v3, s[0:1]
	v_mad_i64_i32 v[2:3], s[0:1], s7, v14, 0
	s_add_i32 s3, s3, s2
	s_mul_i32 s2, s20, s8
	s_lshl_b64 s[2:3], s[2:3], 4
	s_add_u32 s2, s26, s2
	v_lshlrev_b64 v[2:3], 4, v[2:3]
	s_addc_u32 s3, s27, s3
	v_mov_b32_e32 v7, s3
	v_add_co_u32_e64 v19, s[2:3], s2, v2
	v_addc_co_u32_e64 v20, s[2:3], v7, v3, s[2:3]
	v_mad_i64_i32 v[2:3], s[2:3], s9, v14, 0
	v_cmp_gt_i32_e64 s[0:1], s17, v14
	v_cmp_le_i32_e64 s[2:3], v5, v4
	v_lshlrev_b64 v[2:3], 4, v[2:3]
	s_and_b64 s[4:5], s[0:1], vcc
	s_and_b64 s[4:5], s[4:5], s[2:3]
	v_mov_b32_e32 v4, s11
	v_add_co_u32_e64 v5, s[2:3], s10, v2
	v_addc_co_u32_e64 v4, s[2:3], v4, v3, s[2:3]
	v_lshlrev_b64 v[2:3], 4, v[8:9]
	v_lshlrev_b32_e32 v6, 4, v1
	v_or_b32_e32 v21, 0x4000, v6
	v_add_co_u32_e64 v10, s[2:3], v5, v2
	s_mov_b32 s16, 0
	v_add_u32_e32 v18, v17, v6
	v_add_u32_e32 v22, v21, v17
	v_addc_co_u32_e64 v11, s[2:3], v4, v3, s[2:3]
	s_branch .LBB386_5
.LBB386_4:                              ;   in Loop: Header=BB386_5 Depth=1
	s_or_b64 exec, exec, s[2:3]
	s_add_i32 s16, s16, 32
	s_cmp_ge_i32 s16, s18
	s_waitcnt vmcnt(0)
	s_barrier
	s_cbranch_scc1 .LBB386_11
.LBB386_5:                              ; =>This Inner Loop Header: Depth=1
	v_add_u32_e32 v12, s16, v1
	v_cmp_gt_i32_e64 s[2:3], s18, v12
	v_mov_b32_e32 v2, 0
	v_mov_b32_e32 v4, 0
	;; [unrolled: 1-line block ×6, first 2 shown]
	s_and_b64 s[2:3], vcc, s[2:3]
	s_and_saveexec_b64 s[6:7], s[2:3]
	s_cbranch_execz .LBB386_7
; %bb.6:                                ;   in Loop: Header=BB386_5 Depth=1
	v_ashrrev_i32_e32 v13, 31, v12
	v_lshlrev_b64 v[4:5], 4, v[12:13]
	v_add_co_u32_e64 v4, s[2:3], v15, v4
	v_addc_co_u32_e64 v5, s[2:3], v16, v5, s[2:3]
	global_load_dwordx4 v[4:7], v[4:5], off
	s_waitcnt vmcnt(0)
	v_xor_b32_e32 v7, 0x80000000, v7
.LBB386_7:                              ;   in Loop: Header=BB386_5 Depth=1
	s_or_b64 exec, exec, s[6:7]
	ds_write_b128 v18, v[4:7]
	v_add_u32_e32 v6, s16, v0
	v_cmp_gt_i32_e64 s[2:3], s18, v6
	v_mov_b32_e32 v4, 0
	v_mov_b32_e32 v5, 0
	s_and_b64 s[2:3], s[0:1], s[2:3]
	s_and_saveexec_b64 s[6:7], s[2:3]
	s_cbranch_execz .LBB386_9
; %bb.8:                                ;   in Loop: Header=BB386_5 Depth=1
	v_ashrrev_i32_e32 v7, 31, v6
	v_lshlrev_b64 v[2:3], 4, v[6:7]
	v_add_co_u32_e64 v2, s[2:3], v19, v2
	v_addc_co_u32_e64 v3, s[2:3], v20, v3, s[2:3]
	global_load_dwordx4 v[2:5], v[2:3], off
.LBB386_9:                              ;   in Loop: Header=BB386_5 Depth=1
	s_or_b64 exec, exec, s[6:7]
	s_waitcnt vmcnt(0)
	ds_write_b128 v22, v[2:5]
	s_waitcnt lgkmcnt(0)
	s_barrier
	s_and_saveexec_b64 s[2:3], s[4:5]
	s_cbranch_execz .LBB386_4
; %bb.10:                               ;   in Loop: Header=BB386_5 Depth=1
	ds_read_b128 v[23:26], v21
	ds_read_b128 v[27:30], v17
	ds_read_b128 v[31:34], v17 offset:16
	ds_read_b128 v[35:38], v17 offset:32
	;; [unrolled: 1-line block ×3, first 2 shown]
	s_waitcnt lgkmcnt(3)
	v_mul_f64 v[6:7], v[25:26], v[29:30]
	v_mul_f64 v[12:13], v[23:24], v[29:30]
	v_fma_f64 v[6:7], v[23:24], v[27:28], -v[6:7]
	v_fma_f64 v[12:13], v[25:26], v[27:28], v[12:13]
	ds_read_b128 v[23:26], v21 offset:512
	s_waitcnt lgkmcnt(0)
	v_mul_f64 v[27:28], v[25:26], v[33:34]
	v_add_f64 v[6:7], v[6:7], 0
	v_add_f64 v[12:13], v[12:13], 0
	v_fma_f64 v[27:28], v[23:24], v[31:32], -v[27:28]
	v_mul_f64 v[23:24], v[23:24], v[33:34]
	v_add_f64 v[6:7], v[6:7], v[27:28]
	v_fma_f64 v[23:24], v[25:26], v[31:32], v[23:24]
	v_add_f64 v[12:13], v[12:13], v[23:24]
	ds_read_b128 v[23:26], v21 offset:1024
	s_waitcnt lgkmcnt(0)
	v_mul_f64 v[27:28], v[25:26], v[37:38]
	v_fma_f64 v[27:28], v[23:24], v[35:36], -v[27:28]
	v_mul_f64 v[23:24], v[23:24], v[37:38]
	v_add_f64 v[6:7], v[6:7], v[27:28]
	v_fma_f64 v[23:24], v[25:26], v[35:36], v[23:24]
	v_add_f64 v[12:13], v[12:13], v[23:24]
	ds_read_b128 v[23:26], v21 offset:1536
	s_waitcnt lgkmcnt(0)
	v_mul_f64 v[27:28], v[25:26], v[4:5]
	v_mul_f64 v[4:5], v[23:24], v[4:5]
	v_fma_f64 v[27:28], v[23:24], v[2:3], -v[27:28]
	v_fma_f64 v[2:3], v[25:26], v[2:3], v[4:5]
	v_add_f64 v[6:7], v[6:7], v[27:28]
	v_add_f64 v[12:13], v[12:13], v[2:3]
	ds_read_b128 v[2:5], v21 offset:2048
	ds_read_b128 v[23:26], v17 offset:64
	s_waitcnt lgkmcnt(0)
	v_mul_f64 v[27:28], v[4:5], v[25:26]
	v_fma_f64 v[27:28], v[2:3], v[23:24], -v[27:28]
	v_mul_f64 v[2:3], v[2:3], v[25:26]
	v_add_f64 v[6:7], v[6:7], v[27:28]
	v_fma_f64 v[2:3], v[4:5], v[23:24], v[2:3]
	v_add_f64 v[12:13], v[12:13], v[2:3]
	ds_read_b128 v[2:5], v21 offset:2560
	ds_read_b128 v[23:26], v17 offset:80
	s_waitcnt lgkmcnt(0)
	v_mul_f64 v[27:28], v[4:5], v[25:26]
	v_fma_f64 v[27:28], v[2:3], v[23:24], -v[27:28]
	v_mul_f64 v[2:3], v[2:3], v[25:26]
	v_add_f64 v[6:7], v[6:7], v[27:28]
	v_fma_f64 v[2:3], v[4:5], v[23:24], v[2:3]
	v_add_f64 v[12:13], v[12:13], v[2:3]
	ds_read_b128 v[2:5], v21 offset:3072
	ds_read_b128 v[23:26], v17 offset:96
	s_waitcnt lgkmcnt(0)
	v_mul_f64 v[27:28], v[4:5], v[25:26]
	v_fma_f64 v[27:28], v[2:3], v[23:24], -v[27:28]
	v_mul_f64 v[2:3], v[2:3], v[25:26]
	v_add_f64 v[6:7], v[6:7], v[27:28]
	v_fma_f64 v[2:3], v[4:5], v[23:24], v[2:3]
	v_add_f64 v[12:13], v[12:13], v[2:3]
	ds_read_b128 v[2:5], v21 offset:3584
	ds_read_b128 v[23:26], v17 offset:112
	s_waitcnt lgkmcnt(0)
	v_mul_f64 v[27:28], v[4:5], v[25:26]
	v_fma_f64 v[27:28], v[2:3], v[23:24], -v[27:28]
	v_mul_f64 v[2:3], v[2:3], v[25:26]
	v_add_f64 v[6:7], v[6:7], v[27:28]
	v_fma_f64 v[2:3], v[4:5], v[23:24], v[2:3]
	v_add_f64 v[12:13], v[12:13], v[2:3]
	ds_read_b128 v[2:5], v21 offset:4096
	ds_read_b128 v[23:26], v17 offset:128
	s_waitcnt lgkmcnt(0)
	v_mul_f64 v[27:28], v[4:5], v[25:26]
	v_fma_f64 v[27:28], v[2:3], v[23:24], -v[27:28]
	v_mul_f64 v[2:3], v[2:3], v[25:26]
	v_add_f64 v[6:7], v[6:7], v[27:28]
	v_fma_f64 v[2:3], v[4:5], v[23:24], v[2:3]
	v_add_f64 v[12:13], v[12:13], v[2:3]
	ds_read_b128 v[2:5], v21 offset:4608
	ds_read_b128 v[23:26], v17 offset:144
	s_waitcnt lgkmcnt(0)
	v_mul_f64 v[27:28], v[4:5], v[25:26]
	v_fma_f64 v[27:28], v[2:3], v[23:24], -v[27:28]
	v_mul_f64 v[2:3], v[2:3], v[25:26]
	v_add_f64 v[6:7], v[6:7], v[27:28]
	v_fma_f64 v[2:3], v[4:5], v[23:24], v[2:3]
	v_add_f64 v[12:13], v[12:13], v[2:3]
	ds_read_b128 v[2:5], v21 offset:5120
	ds_read_b128 v[23:26], v17 offset:160
	s_waitcnt lgkmcnt(0)
	v_mul_f64 v[27:28], v[4:5], v[25:26]
	v_fma_f64 v[27:28], v[2:3], v[23:24], -v[27:28]
	v_mul_f64 v[2:3], v[2:3], v[25:26]
	v_add_f64 v[6:7], v[6:7], v[27:28]
	v_fma_f64 v[2:3], v[4:5], v[23:24], v[2:3]
	v_add_f64 v[12:13], v[12:13], v[2:3]
	ds_read_b128 v[2:5], v21 offset:5632
	ds_read_b128 v[23:26], v17 offset:176
	s_waitcnt lgkmcnt(0)
	v_mul_f64 v[27:28], v[4:5], v[25:26]
	v_fma_f64 v[27:28], v[2:3], v[23:24], -v[27:28]
	v_mul_f64 v[2:3], v[2:3], v[25:26]
	v_add_f64 v[6:7], v[6:7], v[27:28]
	v_fma_f64 v[2:3], v[4:5], v[23:24], v[2:3]
	v_add_f64 v[12:13], v[12:13], v[2:3]
	ds_read_b128 v[2:5], v21 offset:6144
	ds_read_b128 v[23:26], v17 offset:192
	s_waitcnt lgkmcnt(0)
	v_mul_f64 v[27:28], v[4:5], v[25:26]
	v_fma_f64 v[27:28], v[2:3], v[23:24], -v[27:28]
	v_mul_f64 v[2:3], v[2:3], v[25:26]
	v_add_f64 v[6:7], v[6:7], v[27:28]
	v_fma_f64 v[2:3], v[4:5], v[23:24], v[2:3]
	v_add_f64 v[12:13], v[12:13], v[2:3]
	ds_read_b128 v[2:5], v21 offset:6656
	ds_read_b128 v[23:26], v17 offset:208
	s_waitcnt lgkmcnt(0)
	v_mul_f64 v[27:28], v[4:5], v[25:26]
	v_fma_f64 v[27:28], v[2:3], v[23:24], -v[27:28]
	v_mul_f64 v[2:3], v[2:3], v[25:26]
	v_add_f64 v[6:7], v[6:7], v[27:28]
	v_fma_f64 v[2:3], v[4:5], v[23:24], v[2:3]
	v_add_f64 v[12:13], v[12:13], v[2:3]
	ds_read_b128 v[2:5], v21 offset:7168
	ds_read_b128 v[23:26], v17 offset:224
	s_waitcnt lgkmcnt(0)
	v_mul_f64 v[27:28], v[4:5], v[25:26]
	v_fma_f64 v[27:28], v[2:3], v[23:24], -v[27:28]
	v_mul_f64 v[2:3], v[2:3], v[25:26]
	v_add_f64 v[6:7], v[6:7], v[27:28]
	v_fma_f64 v[2:3], v[4:5], v[23:24], v[2:3]
	v_add_f64 v[12:13], v[12:13], v[2:3]
	ds_read_b128 v[2:5], v21 offset:7680
	ds_read_b128 v[23:26], v17 offset:240
	s_waitcnt lgkmcnt(0)
	v_mul_f64 v[27:28], v[4:5], v[25:26]
	v_fma_f64 v[27:28], v[2:3], v[23:24], -v[27:28]
	v_mul_f64 v[2:3], v[2:3], v[25:26]
	v_add_f64 v[6:7], v[6:7], v[27:28]
	v_fma_f64 v[2:3], v[4:5], v[23:24], v[2:3]
	v_add_f64 v[12:13], v[12:13], v[2:3]
	ds_read_b128 v[2:5], v21 offset:8192
	ds_read_b128 v[23:26], v17 offset:256
	s_waitcnt lgkmcnt(0)
	v_mul_f64 v[27:28], v[4:5], v[25:26]
	v_fma_f64 v[27:28], v[2:3], v[23:24], -v[27:28]
	v_mul_f64 v[2:3], v[2:3], v[25:26]
	v_add_f64 v[6:7], v[6:7], v[27:28]
	v_fma_f64 v[2:3], v[4:5], v[23:24], v[2:3]
	v_add_f64 v[12:13], v[12:13], v[2:3]
	ds_read_b128 v[2:5], v21 offset:8704
	ds_read_b128 v[23:26], v17 offset:272
	s_waitcnt lgkmcnt(0)
	v_mul_f64 v[27:28], v[4:5], v[25:26]
	v_fma_f64 v[27:28], v[2:3], v[23:24], -v[27:28]
	v_mul_f64 v[2:3], v[2:3], v[25:26]
	v_add_f64 v[6:7], v[6:7], v[27:28]
	v_fma_f64 v[2:3], v[4:5], v[23:24], v[2:3]
	v_add_f64 v[12:13], v[12:13], v[2:3]
	ds_read_b128 v[2:5], v21 offset:9216
	ds_read_b128 v[23:26], v17 offset:288
	s_waitcnt lgkmcnt(0)
	v_mul_f64 v[27:28], v[4:5], v[25:26]
	v_fma_f64 v[27:28], v[2:3], v[23:24], -v[27:28]
	v_mul_f64 v[2:3], v[2:3], v[25:26]
	v_add_f64 v[6:7], v[6:7], v[27:28]
	v_fma_f64 v[2:3], v[4:5], v[23:24], v[2:3]
	v_add_f64 v[12:13], v[12:13], v[2:3]
	ds_read_b128 v[2:5], v21 offset:9728
	ds_read_b128 v[23:26], v17 offset:304
	s_waitcnt lgkmcnt(0)
	v_mul_f64 v[27:28], v[4:5], v[25:26]
	v_fma_f64 v[27:28], v[2:3], v[23:24], -v[27:28]
	v_mul_f64 v[2:3], v[2:3], v[25:26]
	v_add_f64 v[6:7], v[6:7], v[27:28]
	v_fma_f64 v[2:3], v[4:5], v[23:24], v[2:3]
	v_add_f64 v[12:13], v[12:13], v[2:3]
	ds_read_b128 v[2:5], v21 offset:10240
	ds_read_b128 v[23:26], v17 offset:320
	s_waitcnt lgkmcnt(0)
	v_mul_f64 v[27:28], v[4:5], v[25:26]
	v_fma_f64 v[27:28], v[2:3], v[23:24], -v[27:28]
	v_mul_f64 v[2:3], v[2:3], v[25:26]
	v_add_f64 v[6:7], v[6:7], v[27:28]
	v_fma_f64 v[2:3], v[4:5], v[23:24], v[2:3]
	v_add_f64 v[12:13], v[12:13], v[2:3]
	ds_read_b128 v[2:5], v21 offset:10752
	ds_read_b128 v[23:26], v17 offset:336
	s_waitcnt lgkmcnt(0)
	v_mul_f64 v[27:28], v[4:5], v[25:26]
	v_fma_f64 v[27:28], v[2:3], v[23:24], -v[27:28]
	v_mul_f64 v[2:3], v[2:3], v[25:26]
	v_add_f64 v[6:7], v[6:7], v[27:28]
	v_fma_f64 v[2:3], v[4:5], v[23:24], v[2:3]
	v_add_f64 v[12:13], v[12:13], v[2:3]
	ds_read_b128 v[2:5], v21 offset:11264
	ds_read_b128 v[23:26], v17 offset:352
	s_waitcnt lgkmcnt(0)
	v_mul_f64 v[27:28], v[4:5], v[25:26]
	v_fma_f64 v[27:28], v[2:3], v[23:24], -v[27:28]
	v_mul_f64 v[2:3], v[2:3], v[25:26]
	v_add_f64 v[6:7], v[6:7], v[27:28]
	v_fma_f64 v[2:3], v[4:5], v[23:24], v[2:3]
	v_add_f64 v[12:13], v[12:13], v[2:3]
	ds_read_b128 v[2:5], v21 offset:11776
	ds_read_b128 v[23:26], v17 offset:368
	s_waitcnt lgkmcnt(0)
	v_mul_f64 v[27:28], v[4:5], v[25:26]
	v_fma_f64 v[27:28], v[2:3], v[23:24], -v[27:28]
	v_mul_f64 v[2:3], v[2:3], v[25:26]
	v_add_f64 v[6:7], v[6:7], v[27:28]
	v_fma_f64 v[2:3], v[4:5], v[23:24], v[2:3]
	v_add_f64 v[12:13], v[12:13], v[2:3]
	ds_read_b128 v[2:5], v21 offset:12288
	ds_read_b128 v[23:26], v17 offset:384
	s_waitcnt lgkmcnt(0)
	v_mul_f64 v[27:28], v[4:5], v[25:26]
	v_fma_f64 v[27:28], v[2:3], v[23:24], -v[27:28]
	v_mul_f64 v[2:3], v[2:3], v[25:26]
	v_add_f64 v[6:7], v[6:7], v[27:28]
	v_fma_f64 v[2:3], v[4:5], v[23:24], v[2:3]
	v_add_f64 v[12:13], v[12:13], v[2:3]
	ds_read_b128 v[2:5], v21 offset:12800
	ds_read_b128 v[23:26], v17 offset:400
	s_waitcnt lgkmcnt(0)
	v_mul_f64 v[27:28], v[4:5], v[25:26]
	v_fma_f64 v[27:28], v[2:3], v[23:24], -v[27:28]
	v_mul_f64 v[2:3], v[2:3], v[25:26]
	v_add_f64 v[6:7], v[6:7], v[27:28]
	v_fma_f64 v[2:3], v[4:5], v[23:24], v[2:3]
	v_add_f64 v[12:13], v[12:13], v[2:3]
	ds_read_b128 v[2:5], v21 offset:13312
	ds_read_b128 v[23:26], v17 offset:416
	s_waitcnt lgkmcnt(0)
	v_mul_f64 v[27:28], v[4:5], v[25:26]
	v_fma_f64 v[27:28], v[2:3], v[23:24], -v[27:28]
	v_mul_f64 v[2:3], v[2:3], v[25:26]
	v_add_f64 v[6:7], v[6:7], v[27:28]
	v_fma_f64 v[2:3], v[4:5], v[23:24], v[2:3]
	v_add_f64 v[12:13], v[12:13], v[2:3]
	ds_read_b128 v[2:5], v21 offset:13824
	ds_read_b128 v[23:26], v17 offset:432
	s_waitcnt lgkmcnt(0)
	v_mul_f64 v[27:28], v[4:5], v[25:26]
	v_fma_f64 v[27:28], v[2:3], v[23:24], -v[27:28]
	v_mul_f64 v[2:3], v[2:3], v[25:26]
	v_add_f64 v[6:7], v[6:7], v[27:28]
	v_fma_f64 v[2:3], v[4:5], v[23:24], v[2:3]
	v_add_f64 v[12:13], v[12:13], v[2:3]
	ds_read_b128 v[2:5], v21 offset:14336
	ds_read_b128 v[23:26], v17 offset:448
	s_waitcnt lgkmcnt(0)
	v_mul_f64 v[27:28], v[4:5], v[25:26]
	v_fma_f64 v[27:28], v[2:3], v[23:24], -v[27:28]
	v_mul_f64 v[2:3], v[2:3], v[25:26]
	v_add_f64 v[6:7], v[6:7], v[27:28]
	v_fma_f64 v[2:3], v[4:5], v[23:24], v[2:3]
	v_add_f64 v[12:13], v[12:13], v[2:3]
	ds_read_b128 v[2:5], v21 offset:14848
	ds_read_b128 v[23:26], v17 offset:464
	s_waitcnt lgkmcnt(0)
	v_mul_f64 v[27:28], v[4:5], v[25:26]
	v_fma_f64 v[27:28], v[2:3], v[23:24], -v[27:28]
	v_mul_f64 v[2:3], v[2:3], v[25:26]
	v_add_f64 v[6:7], v[6:7], v[27:28]
	v_fma_f64 v[2:3], v[4:5], v[23:24], v[2:3]
	v_add_f64 v[12:13], v[12:13], v[2:3]
	ds_read_b128 v[2:5], v21 offset:15360
	ds_read_b128 v[23:26], v17 offset:480
	s_waitcnt lgkmcnt(0)
	v_mul_f64 v[27:28], v[4:5], v[25:26]
	v_fma_f64 v[27:28], v[2:3], v[23:24], -v[27:28]
	v_mul_f64 v[2:3], v[2:3], v[25:26]
	v_add_f64 v[6:7], v[6:7], v[27:28]
	v_fma_f64 v[2:3], v[4:5], v[23:24], v[2:3]
	v_add_f64 v[12:13], v[12:13], v[2:3]
	ds_read_b128 v[2:5], v21 offset:15872
	ds_read_b128 v[23:26], v17 offset:496
	s_waitcnt lgkmcnt(0)
	v_mul_f64 v[27:28], v[4:5], v[25:26]
	v_fma_f64 v[27:28], v[2:3], v[23:24], -v[27:28]
	v_mul_f64 v[2:3], v[2:3], v[25:26]
	v_fma_f64 v[2:3], v[4:5], v[23:24], v[2:3]
	global_load_dwordx4 v[23:26], v[10:11], off
	v_add_f64 v[4:5], v[6:7], v[27:28]
	v_add_f64 v[6:7], v[12:13], v[2:3]
	v_mul_f64 v[2:3], s[14:15], v[6:7]
	v_mul_f64 v[6:7], s[12:13], v[6:7]
	v_fma_f64 v[2:3], s[12:13], v[4:5], -v[2:3]
	v_fma_f64 v[4:5], s[14:15], v[4:5], v[6:7]
	s_waitcnt vmcnt(0)
	v_add_f64 v[2:3], v[23:24], v[2:3]
	v_add_f64 v[4:5], v[25:26], v[4:5]
	global_store_dwordx4 v[10:11], v[2:5], off
	s_branch .LBB386_4
.LBB386_11:
	v_cmp_eq_u32_e32 vcc, v8, v14
	v_cmp_gt_i32_e64 s[0:1], s17, v8
	s_and_b64 s[0:1], vcc, s[0:1]
	s_and_saveexec_b64 s[2:3], s[0:1]
	s_cbranch_execz .LBB386_13
; %bb.12:
	v_mad_i64_i32 v[0:1], s[0:1], s9, v8, 0
	v_mov_b32_e32 v2, s11
	v_lshlrev_b64 v[0:1], 4, v[0:1]
	v_add_co_u32_e32 v3, vcc, s10, v0
	v_addc_co_u32_e32 v2, vcc, v2, v1, vcc
	v_lshlrev_b64 v[0:1], 4, v[8:9]
	v_add_co_u32_e32 v0, vcc, v3, v0
	v_addc_co_u32_e32 v1, vcc, v2, v1, vcc
	v_mov_b32_e32 v2, 0
	v_mov_b32_e32 v3, v2
	global_store_dwordx2 v[0:1], v[2:3], off offset:8
.LBB386_13:
	s_endpgm
	.section	.rodata,"a",@progbits
	.p2align	6, 0x0
	.amdhsa_kernel _ZL26rocblas_syr2k_her2k_kernelIiLb0ELb1ELb1ELi32E19rocblas_complex_numIdEPKS1_PS1_EvbiT_T4_T5_S5_lS7_S5_lT6_S5_li
		.amdhsa_group_segment_fixed_size 32768
		.amdhsa_private_segment_fixed_size 0
		.amdhsa_kernarg_size 108
		.amdhsa_user_sgpr_count 6
		.amdhsa_user_sgpr_private_segment_buffer 1
		.amdhsa_user_sgpr_dispatch_ptr 0
		.amdhsa_user_sgpr_queue_ptr 0
		.amdhsa_user_sgpr_kernarg_segment_ptr 1
		.amdhsa_user_sgpr_dispatch_id 0
		.amdhsa_user_sgpr_flat_scratch_init 0
		.amdhsa_user_sgpr_private_segment_size 0
		.amdhsa_uses_dynamic_stack 0
		.amdhsa_system_sgpr_private_segment_wavefront_offset 0
		.amdhsa_system_sgpr_workgroup_id_x 1
		.amdhsa_system_sgpr_workgroup_id_y 1
		.amdhsa_system_sgpr_workgroup_id_z 1
		.amdhsa_system_sgpr_workgroup_info 0
		.amdhsa_system_vgpr_workitem_id 1
		.amdhsa_next_free_vgpr 39
		.amdhsa_next_free_sgpr 61
		.amdhsa_reserve_vcc 1
		.amdhsa_reserve_flat_scratch 0
		.amdhsa_float_round_mode_32 0
		.amdhsa_float_round_mode_16_64 0
		.amdhsa_float_denorm_mode_32 3
		.amdhsa_float_denorm_mode_16_64 3
		.amdhsa_dx10_clamp 1
		.amdhsa_ieee_mode 1
		.amdhsa_fp16_overflow 0
		.amdhsa_exception_fp_ieee_invalid_op 0
		.amdhsa_exception_fp_denorm_src 0
		.amdhsa_exception_fp_ieee_div_zero 0
		.amdhsa_exception_fp_ieee_overflow 0
		.amdhsa_exception_fp_ieee_underflow 0
		.amdhsa_exception_fp_ieee_inexact 0
		.amdhsa_exception_int_div_zero 0
	.end_amdhsa_kernel
	.section	.text._ZL26rocblas_syr2k_her2k_kernelIiLb0ELb1ELb1ELi32E19rocblas_complex_numIdEPKS1_PS1_EvbiT_T4_T5_S5_lS7_S5_lT6_S5_li,"axG",@progbits,_ZL26rocblas_syr2k_her2k_kernelIiLb0ELb1ELb1ELi32E19rocblas_complex_numIdEPKS1_PS1_EvbiT_T4_T5_S5_lS7_S5_lT6_S5_li,comdat
.Lfunc_end386:
	.size	_ZL26rocblas_syr2k_her2k_kernelIiLb0ELb1ELb1ELi32E19rocblas_complex_numIdEPKS1_PS1_EvbiT_T4_T5_S5_lS7_S5_lT6_S5_li, .Lfunc_end386-_ZL26rocblas_syr2k_her2k_kernelIiLb0ELb1ELb1ELi32E19rocblas_complex_numIdEPKS1_PS1_EvbiT_T4_T5_S5_lS7_S5_lT6_S5_li
                                        ; -- End function
	.set _ZL26rocblas_syr2k_her2k_kernelIiLb0ELb1ELb1ELi32E19rocblas_complex_numIdEPKS1_PS1_EvbiT_T4_T5_S5_lS7_S5_lT6_S5_li.num_vgpr, 39
	.set _ZL26rocblas_syr2k_her2k_kernelIiLb0ELb1ELb1ELi32E19rocblas_complex_numIdEPKS1_PS1_EvbiT_T4_T5_S5_lS7_S5_lT6_S5_li.num_agpr, 0
	.set _ZL26rocblas_syr2k_her2k_kernelIiLb0ELb1ELb1ELi32E19rocblas_complex_numIdEPKS1_PS1_EvbiT_T4_T5_S5_lS7_S5_lT6_S5_li.numbered_sgpr, 28
	.set _ZL26rocblas_syr2k_her2k_kernelIiLb0ELb1ELb1ELi32E19rocblas_complex_numIdEPKS1_PS1_EvbiT_T4_T5_S5_lS7_S5_lT6_S5_li.num_named_barrier, 0
	.set _ZL26rocblas_syr2k_her2k_kernelIiLb0ELb1ELb1ELi32E19rocblas_complex_numIdEPKS1_PS1_EvbiT_T4_T5_S5_lS7_S5_lT6_S5_li.private_seg_size, 0
	.set _ZL26rocblas_syr2k_her2k_kernelIiLb0ELb1ELb1ELi32E19rocblas_complex_numIdEPKS1_PS1_EvbiT_T4_T5_S5_lS7_S5_lT6_S5_li.uses_vcc, 1
	.set _ZL26rocblas_syr2k_her2k_kernelIiLb0ELb1ELb1ELi32E19rocblas_complex_numIdEPKS1_PS1_EvbiT_T4_T5_S5_lS7_S5_lT6_S5_li.uses_flat_scratch, 0
	.set _ZL26rocblas_syr2k_her2k_kernelIiLb0ELb1ELb1ELi32E19rocblas_complex_numIdEPKS1_PS1_EvbiT_T4_T5_S5_lS7_S5_lT6_S5_li.has_dyn_sized_stack, 0
	.set _ZL26rocblas_syr2k_her2k_kernelIiLb0ELb1ELb1ELi32E19rocblas_complex_numIdEPKS1_PS1_EvbiT_T4_T5_S5_lS7_S5_lT6_S5_li.has_recursion, 0
	.set _ZL26rocblas_syr2k_her2k_kernelIiLb0ELb1ELb1ELi32E19rocblas_complex_numIdEPKS1_PS1_EvbiT_T4_T5_S5_lS7_S5_lT6_S5_li.has_indirect_call, 0
	.section	.AMDGPU.csdata,"",@progbits
; Kernel info:
; codeLenInByte = 3036
; TotalNumSgprs: 32
; NumVgprs: 39
; ScratchSize: 0
; MemoryBound: 1
; FloatMode: 240
; IeeeMode: 1
; LDSByteSize: 32768 bytes/workgroup (compile time only)
; SGPRBlocks: 8
; VGPRBlocks: 9
; NumSGPRsForWavesPerEU: 65
; NumVGPRsForWavesPerEU: 39
; Occupancy: 6
; WaveLimiterHint : 0
; COMPUTE_PGM_RSRC2:SCRATCH_EN: 0
; COMPUTE_PGM_RSRC2:USER_SGPR: 6
; COMPUTE_PGM_RSRC2:TRAP_HANDLER: 0
; COMPUTE_PGM_RSRC2:TGID_X_EN: 1
; COMPUTE_PGM_RSRC2:TGID_Y_EN: 1
; COMPUTE_PGM_RSRC2:TGID_Z_EN: 1
; COMPUTE_PGM_RSRC2:TIDIG_COMP_CNT: 1
	.section	.text._ZL37rocblas_syrkx_herkx_restricted_kernelIi19rocblas_complex_numIdELi16ELi32ELi8ELi1ELi1ELb1ELc84ELc76EKS1_S1_EviT_PT9_S3_lS5_S3_lPT10_S3_li,"axG",@progbits,_ZL37rocblas_syrkx_herkx_restricted_kernelIi19rocblas_complex_numIdELi16ELi32ELi8ELi1ELi1ELb1ELc84ELc76EKS1_S1_EviT_PT9_S3_lS5_S3_lPT10_S3_li,comdat
	.globl	_ZL37rocblas_syrkx_herkx_restricted_kernelIi19rocblas_complex_numIdELi16ELi32ELi8ELi1ELi1ELb1ELc84ELc76EKS1_S1_EviT_PT9_S3_lS5_S3_lPT10_S3_li ; -- Begin function _ZL37rocblas_syrkx_herkx_restricted_kernelIi19rocblas_complex_numIdELi16ELi32ELi8ELi1ELi1ELb1ELc84ELc76EKS1_S1_EviT_PT9_S3_lS5_S3_lPT10_S3_li
	.p2align	8
	.type	_ZL37rocblas_syrkx_herkx_restricted_kernelIi19rocblas_complex_numIdELi16ELi32ELi8ELi1ELi1ELb1ELc84ELc76EKS1_S1_EviT_PT9_S3_lS5_S3_lPT10_S3_li,@function
_ZL37rocblas_syrkx_herkx_restricted_kernelIi19rocblas_complex_numIdELi16ELi32ELi8ELi1ELi1ELb1ELc84ELc76EKS1_S1_EviT_PT9_S3_lS5_S3_lPT10_S3_li: ; @_ZL37rocblas_syrkx_herkx_restricted_kernelIi19rocblas_complex_numIdELi16ELi32ELi8ELi1ELi1ELb1ELc84ELc76EKS1_S1_EviT_PT9_S3_lS5_S3_lPT10_S3_li
; %bb.0:
	s_load_dwordx2 s[10:11], s[4:5], 0x0
	s_load_dwordx4 s[0:3], s[4:5], 0x30
	s_lshl_b32 s6, s6, 5
	s_lshl_b32 s7, s7, 5
	s_mov_b32 s9, 0
	s_waitcnt lgkmcnt(0)
	s_cmp_lt_i32 s11, 1
	s_cbranch_scc1 .LBB387_3
; %bb.1:
	s_load_dwordx2 s[16:17], s[4:5], 0x8
	s_load_dword s20, s[4:5], 0x10
	s_load_dwordx4 s[12:15], s[4:5], 0x18
	s_load_dword s18, s[4:5], 0x28
	v_lshl_add_u32 v6, v1, 4, v0
	v_lshrrev_b32_e32 v8, 3, v6
	v_add_u32_e32 v4, s7, v8
	v_and_b32_e32 v2, 7, v0
	v_mov_b32_e32 v3, 0
	s_waitcnt lgkmcnt(0)
	v_mad_i64_i32 v[4:5], s[18:19], s18, v4, v[2:3]
	v_lshlrev_b32_e32 v2, 4, v2
	v_lshl_or_b32 v2, v8, 7, v2
	v_and_b32_e32 v9, 31, v6
	v_add_u32_e32 v23, 0x1000, v2
	v_mov_b32_e32 v2, 0x1000
	v_lshrrev_b32_e32 v6, 5, v6
	v_mov_b32_e32 v7, v3
	v_lshlrev_b32_e32 v3, 4, v9
	v_lshl_add_u32 v25, v1, 7, v2
	v_add_u32_e32 v2, s6, v9
	v_lshl_or_b32 v22, v6, 9, v3
	v_mad_i64_i32 v[2:3], s[18:19], s20, v2, v[6:7]
	s_mul_i32 s13, s13, s8
	s_mul_hi_u32 s21, s12, s8
	s_add_i32 s13, s21, s13
	s_mul_i32 s12, s12, s8
	s_lshl_b64 s[12:13], s[12:13], 4
	v_lshlrev_b64 v[2:3], 4, v[2:3]
	s_add_u32 s12, s16, s12
	s_addc_u32 s13, s17, s13
	v_add_co_u32_e32 v2, vcc, s12, v2
	s_mul_i32 s1, s1, s8
	s_mul_hi_u32 s12, s0, s8
	v_mov_b32_e32 v6, s13
	s_add_i32 s1, s12, s1
	s_mul_i32 s0, s0, s8
	v_addc_co_u32_e32 v3, vcc, v6, v3, vcc
	s_lshl_b64 s[0:1], s[0:1], 4
	v_add_co_u32_e32 v2, vcc, 8, v2
	v_lshlrev_b64 v[4:5], 4, v[4:5]
	s_add_u32 s0, s14, s0
	v_addc_co_u32_e32 v3, vcc, 0, v3, vcc
	s_addc_u32 s1, s15, s1
	v_mov_b32_e32 v6, s1
	v_add_co_u32_e32 v4, vcc, s0, v4
	v_addc_co_u32_e32 v5, vcc, v6, v5, vcc
	v_mov_b32_e32 v10, 0
	v_mov_b32_e32 v12, 0
	;; [unrolled: 1-line block ×8, first 2 shown]
	v_add_co_u32_e32 v4, vcc, 8, v4
	v_lshlrev_b32_e32 v24, 4, v0
	v_mov_b32_e32 v11, 0
	v_mov_b32_e32 v13, 0
	;; [unrolled: 1-line block ×8, first 2 shown]
	v_addc_co_u32_e32 v5, vcc, 0, v5, vcc
.LBB387_2:                              ; =>This Inner Loop Header: Depth=1
	global_load_dwordx4 v[26:29], v[2:3], off offset:-8
	v_add_co_u32_e32 v2, vcc, 0x80, v2
	v_addc_co_u32_e32 v3, vcc, 0, v3, vcc
	s_add_i32 s9, s9, 8
	s_cmp_ge_i32 s9, s11
	s_waitcnt vmcnt(0)
	ds_write_b128 v22, v[26:29]
	global_load_dwordx4 v[26:29], v[4:5], off offset:-8
	v_add_co_u32_e32 v4, vcc, 0x80, v4
	v_addc_co_u32_e32 v5, vcc, 0, v5, vcc
	s_waitcnt vmcnt(0)
	ds_write_b128 v23, v[26:29]
	s_waitcnt lgkmcnt(0)
	s_barrier
	ds_read_b128 v[26:29], v25
	ds_read_b128 v[30:33], v25 offset:16
	ds_read_b128 v[34:37], v25 offset:32
	;; [unrolled: 1-line block ×3, first 2 shown]
	ds_read_b128 v[42:45], v24
	s_waitcnt lgkmcnt(0)
	v_mul_f64 v[46:47], v[28:29], v[44:45]
	v_mul_f64 v[48:49], v[26:27], v[44:45]
	v_fma_f64 v[46:47], v[26:27], v[42:43], -v[46:47]
	v_fma_f64 v[48:49], v[28:29], v[42:43], v[48:49]
	v_add_f64 v[14:15], v[14:15], v[46:47]
	v_add_f64 v[18:19], v[48:49], v[18:19]
	ds_read_b128 v[46:49], v24 offset:256
	s_waitcnt lgkmcnt(0)
	v_mul_f64 v[50:51], v[28:29], v[48:49]
	v_fma_f64 v[50:51], v[26:27], v[46:47], -v[50:51]
	v_mul_f64 v[26:27], v[26:27], v[48:49]
	v_fma_f64 v[26:27], v[28:29], v[46:47], v[26:27]
	v_add_f64 v[28:29], v[6:7], v[50:51]
	v_add_f64 v[26:27], v[26:27], v[8:9]
	ds_read_b128 v[6:9], v25 offset:2048
	s_waitcnt lgkmcnt(0)
	v_mul_f64 v[50:51], v[8:9], v[44:45]
	v_mul_f64 v[44:45], v[6:7], v[44:45]
	v_fma_f64 v[50:51], v[6:7], v[42:43], -v[50:51]
	v_fma_f64 v[42:43], v[8:9], v[42:43], v[44:45]
	v_add_f64 v[44:45], v[16:17], v[50:51]
	v_mul_f64 v[16:17], v[8:9], v[48:49]
	v_add_f64 v[20:21], v[42:43], v[20:21]
	v_fma_f64 v[16:17], v[6:7], v[46:47], -v[16:17]
	v_mul_f64 v[6:7], v[6:7], v[48:49]
	v_add_f64 v[42:43], v[12:13], v[16:17]
	v_fma_f64 v[6:7], v[8:9], v[46:47], v[6:7]
	v_add_f64 v[46:47], v[6:7], v[10:11]
	ds_read_b128 v[6:9], v24 offset:512
	s_waitcnt lgkmcnt(0)
	v_mul_f64 v[10:11], v[32:33], v[8:9]
	v_mul_f64 v[12:13], v[30:31], v[8:9]
	v_fma_f64 v[10:11], v[30:31], v[6:7], -v[10:11]
	v_fma_f64 v[12:13], v[32:33], v[6:7], v[12:13]
	v_add_f64 v[48:49], v[14:15], v[10:11]
	v_add_f64 v[18:19], v[12:13], v[18:19]
	ds_read_b128 v[10:13], v24 offset:768
	s_waitcnt lgkmcnt(0)
	v_mul_f64 v[14:15], v[32:33], v[12:13]
	v_mul_f64 v[16:17], v[30:31], v[12:13]
	v_fma_f64 v[14:15], v[30:31], v[10:11], -v[14:15]
	v_fma_f64 v[16:17], v[32:33], v[10:11], v[16:17]
	v_add_f64 v[28:29], v[28:29], v[14:15]
	v_add_f64 v[26:27], v[16:17], v[26:27]
	ds_read_b128 v[14:17], v25 offset:2064
	s_waitcnt lgkmcnt(0)
	v_mul_f64 v[30:31], v[16:17], v[8:9]
	v_mul_f64 v[8:9], v[14:15], v[8:9]
	v_fma_f64 v[30:31], v[14:15], v[6:7], -v[30:31]
	v_fma_f64 v[6:7], v[16:17], v[6:7], v[8:9]
	v_mul_f64 v[8:9], v[14:15], v[12:13]
	v_add_f64 v[30:31], v[44:45], v[30:31]
	v_add_f64 v[20:21], v[6:7], v[20:21]
	v_mul_f64 v[6:7], v[16:17], v[12:13]
	v_fma_f64 v[8:9], v[16:17], v[10:11], v[8:9]
	v_fma_f64 v[6:7], v[14:15], v[10:11], -v[6:7]
	v_add_f64 v[32:33], v[42:43], v[6:7]
	v_add_f64 v[42:43], v[8:9], v[46:47]
	ds_read_b128 v[6:9], v24 offset:1024
	s_waitcnt lgkmcnt(0)
	v_mul_f64 v[10:11], v[36:37], v[8:9]
	v_mul_f64 v[12:13], v[34:35], v[8:9]
	v_fma_f64 v[10:11], v[34:35], v[6:7], -v[10:11]
	v_fma_f64 v[12:13], v[36:37], v[6:7], v[12:13]
	v_add_f64 v[44:45], v[48:49], v[10:11]
	v_add_f64 v[18:19], v[12:13], v[18:19]
	ds_read_b128 v[10:13], v24 offset:1280
	s_waitcnt lgkmcnt(0)
	v_mul_f64 v[14:15], v[36:37], v[12:13]
	v_mul_f64 v[16:17], v[34:35], v[12:13]
	v_fma_f64 v[14:15], v[34:35], v[10:11], -v[14:15]
	v_fma_f64 v[16:17], v[36:37], v[10:11], v[16:17]
	v_add_f64 v[28:29], v[28:29], v[14:15]
	v_add_f64 v[26:27], v[16:17], v[26:27]
	ds_read_b128 v[14:17], v25 offset:2080
	s_waitcnt lgkmcnt(0)
	v_mul_f64 v[34:35], v[16:17], v[8:9]
	v_mul_f64 v[8:9], v[14:15], v[8:9]
	v_fma_f64 v[34:35], v[14:15], v[6:7], -v[34:35]
	v_fma_f64 v[6:7], v[16:17], v[6:7], v[8:9]
	v_mul_f64 v[8:9], v[14:15], v[12:13]
	v_add_f64 v[30:31], v[30:31], v[34:35]
	v_add_f64 v[20:21], v[6:7], v[20:21]
	v_mul_f64 v[6:7], v[16:17], v[12:13]
	v_fma_f64 v[8:9], v[16:17], v[10:11], v[8:9]
	v_fma_f64 v[6:7], v[14:15], v[10:11], -v[6:7]
	v_add_f64 v[34:35], v[8:9], v[42:43]
	;; [unrolled: 30-line block ×3, first 2 shown]
	v_add_f64 v[32:33], v[32:33], v[6:7]
	ds_read_b128 v[6:9], v25 offset:64
	ds_read_b128 v[10:13], v24 offset:2048
	s_waitcnt lgkmcnt(0)
	v_mul_f64 v[14:15], v[8:9], v[12:13]
	v_mul_f64 v[16:17], v[6:7], v[12:13]
	v_fma_f64 v[14:15], v[6:7], v[10:11], -v[14:15]
	v_fma_f64 v[16:17], v[8:9], v[10:11], v[16:17]
	v_add_f64 v[36:37], v[36:37], v[14:15]
	v_add_f64 v[18:19], v[16:17], v[18:19]
	ds_read_b128 v[14:17], v24 offset:2304
	s_waitcnt lgkmcnt(0)
	v_mul_f64 v[38:39], v[8:9], v[16:17]
	v_fma_f64 v[38:39], v[6:7], v[14:15], -v[38:39]
	v_mul_f64 v[6:7], v[6:7], v[16:17]
	v_add_f64 v[28:29], v[28:29], v[38:39]
	v_fma_f64 v[6:7], v[8:9], v[14:15], v[6:7]
	v_add_f64 v[26:27], v[6:7], v[26:27]
	ds_read_b128 v[6:9], v25 offset:2112
	s_waitcnt lgkmcnt(0)
	v_mul_f64 v[38:39], v[8:9], v[12:13]
	v_mul_f64 v[12:13], v[6:7], v[12:13]
	v_fma_f64 v[38:39], v[6:7], v[10:11], -v[38:39]
	v_fma_f64 v[10:11], v[8:9], v[10:11], v[12:13]
	v_add_f64 v[30:31], v[30:31], v[38:39]
	v_add_f64 v[20:21], v[10:11], v[20:21]
	v_mul_f64 v[10:11], v[8:9], v[16:17]
	v_fma_f64 v[10:11], v[6:7], v[14:15], -v[10:11]
	v_mul_f64 v[6:7], v[6:7], v[16:17]
	v_add_f64 v[32:33], v[32:33], v[10:11]
	v_fma_f64 v[6:7], v[8:9], v[14:15], v[6:7]
	v_add_f64 v[34:35], v[6:7], v[34:35]
	ds_read_b128 v[6:9], v25 offset:80
	ds_read_b128 v[10:13], v24 offset:2560
	s_waitcnt lgkmcnt(0)
	v_mul_f64 v[14:15], v[8:9], v[12:13]
	v_mul_f64 v[16:17], v[6:7], v[12:13]
	v_fma_f64 v[14:15], v[6:7], v[10:11], -v[14:15]
	v_fma_f64 v[16:17], v[8:9], v[10:11], v[16:17]
	v_add_f64 v[36:37], v[36:37], v[14:15]
	v_add_f64 v[18:19], v[16:17], v[18:19]
	ds_read_b128 v[14:17], v24 offset:2816
	s_waitcnt lgkmcnt(0)
	v_mul_f64 v[38:39], v[8:9], v[16:17]
	v_fma_f64 v[38:39], v[6:7], v[14:15], -v[38:39]
	v_mul_f64 v[6:7], v[6:7], v[16:17]
	v_add_f64 v[28:29], v[28:29], v[38:39]
	v_fma_f64 v[6:7], v[8:9], v[14:15], v[6:7]
	v_add_f64 v[26:27], v[6:7], v[26:27]
	ds_read_b128 v[6:9], v25 offset:2128
	s_waitcnt lgkmcnt(0)
	v_mul_f64 v[38:39], v[8:9], v[12:13]
	v_mul_f64 v[12:13], v[6:7], v[12:13]
	v_fma_f64 v[38:39], v[6:7], v[10:11], -v[38:39]
	v_fma_f64 v[10:11], v[8:9], v[10:11], v[12:13]
	v_add_f64 v[30:31], v[30:31], v[38:39]
	v_add_f64 v[20:21], v[10:11], v[20:21]
	v_mul_f64 v[10:11], v[8:9], v[16:17]
	v_fma_f64 v[10:11], v[6:7], v[14:15], -v[10:11]
	v_mul_f64 v[6:7], v[6:7], v[16:17]
	v_add_f64 v[32:33], v[32:33], v[10:11]
	v_fma_f64 v[6:7], v[8:9], v[14:15], v[6:7]
	;; [unrolled: 31-line block ×3, first 2 shown]
	v_add_f64 v[34:35], v[6:7], v[34:35]
	ds_read_b128 v[6:9], v25 offset:112
	ds_read_b128 v[10:13], v24 offset:3584
	ds_read_b128 v[26:29], v24 offset:3840
	ds_read_b128 v[30:33], v25 offset:2160
	s_waitcnt lgkmcnt(0)
	s_barrier
	v_mul_f64 v[16:17], v[6:7], v[12:13]
	v_mul_f64 v[14:15], v[8:9], v[12:13]
	v_fma_f64 v[16:17], v[8:9], v[10:11], v[16:17]
	v_fma_f64 v[14:15], v[6:7], v[10:11], -v[14:15]
	v_add_f64 v[18:19], v[16:17], v[18:19]
	v_mul_f64 v[16:17], v[8:9], v[28:29]
	v_add_f64 v[14:15], v[36:37], v[14:15]
	v_fma_f64 v[16:17], v[6:7], v[26:27], -v[16:17]
	v_mul_f64 v[6:7], v[6:7], v[28:29]
	v_fma_f64 v[8:9], v[8:9], v[26:27], v[6:7]
	v_add_f64 v[6:7], v[38:39], v[16:17]
	v_mul_f64 v[16:17], v[32:33], v[12:13]
	v_mul_f64 v[12:13], v[30:31], v[12:13]
	v_add_f64 v[8:9], v[8:9], v[40:41]
	v_fma_f64 v[16:17], v[30:31], v[10:11], -v[16:17]
	v_fma_f64 v[10:11], v[32:33], v[10:11], v[12:13]
	v_mul_f64 v[12:13], v[30:31], v[28:29]
	v_add_f64 v[16:17], v[42:43], v[16:17]
	v_add_f64 v[20:21], v[10:11], v[20:21]
	v_mul_f64 v[10:11], v[32:33], v[28:29]
	v_fma_f64 v[10:11], v[30:31], v[26:27], -v[10:11]
	v_fma_f64 v[26:27], v[32:33], v[26:27], v[12:13]
	v_add_f64 v[12:13], v[44:45], v[10:11]
	v_add_f64 v[10:11], v[26:27], v[34:35]
	s_cbranch_scc0 .LBB387_2
	s_branch .LBB387_4
.LBB387_3:
	v_mov_b32_e32 v14, 0
	v_mov_b32_e32 v18, 0
	;; [unrolled: 1-line block ×16, first 2 shown]
.LBB387_4:
	s_load_dwordx2 s[0:1], s[4:5], 0x48
	s_load_dword s9, s[4:5], 0x40
	v_add_u32_e32 v4, s7, v1
	v_add_u32_e32 v0, s6, v0
	s_waitcnt lgkmcnt(0)
	s_mul_i32 s1, s1, s8
	s_mul_hi_u32 s4, s0, s8
	s_add_i32 s1, s4, s1
	v_mad_i64_i32 v[1:2], s[4:5], v4, s9, 0
	s_mul_i32 s0, s0, s8
	s_lshl_b64 s[0:1], s[0:1], 4
	s_add_u32 s7, s2, s0
	v_lshlrev_b64 v[1:2], 4, v[1:2]
	s_addc_u32 s8, s3, s1
	v_mov_b32_e32 v3, s8
	v_add_co_u32_e32 v5, vcc, s7, v1
	v_addc_co_u32_e32 v22, vcc, v3, v2, vcc
	v_cmp_le_i32_e64 s[0:1], v4, v0
	v_cmp_gt_i32_e32 vcc, s10, v0
	s_and_b64 s[0:1], s[0:1], vcc
	s_and_saveexec_b64 s[2:3], s[0:1]
	s_cbranch_execz .LBB387_6
; %bb.5:
	v_ashrrev_i32_e32 v1, 31, v0
	v_lshlrev_b64 v[1:2], 4, v[0:1]
	v_add_co_u32_e64 v1, s[0:1], v5, v1
	v_addc_co_u32_e64 v2, s[0:1], v22, v2, s[0:1]
	global_load_dwordx4 v[23:26], v[1:2], off
	v_cmp_ne_u32_e64 s[0:1], v4, v0
	s_waitcnt vmcnt(0)
	v_add_f64 v[18:19], v[18:19], v[25:26]
	v_add_f64 v[23:24], v[14:15], v[23:24]
	v_cndmask_b32_e64 v26, 0, v19, s[0:1]
	v_cndmask_b32_e64 v25, 0, v18, s[0:1]
	global_store_dwordx4 v[1:2], v[23:26], off
.LBB387_6:
	s_or_b64 exec, exec, s[2:3]
	v_add_u32_e32 v2, 16, v0
	v_cmp_le_i32_e64 s[2:3], v4, v2
	v_cmp_gt_i32_e64 s[0:1], s10, v2
	s_and_b64 s[2:3], s[2:3], s[0:1]
	s_and_saveexec_b64 s[4:5], s[2:3]
	s_cbranch_execz .LBB387_8
; %bb.7:
	v_ashrrev_i32_e32 v3, 31, v2
	v_lshlrev_b64 v[14:15], 4, v[2:3]
	v_add_co_u32_e64 v14, s[2:3], v5, v14
	v_addc_co_u32_e64 v15, s[2:3], v22, v15, s[2:3]
	global_load_dwordx4 v[22:25], v[14:15], off
	v_cmp_ne_u32_e64 s[2:3], v4, v2
	s_waitcnt vmcnt(0)
	v_add_f64 v[18:19], v[8:9], v[24:25]
	v_add_f64 v[5:6], v[6:7], v[22:23]
	v_cndmask_b32_e64 v8, 0, v19, s[2:3]
	v_cndmask_b32_e64 v7, 0, v18, s[2:3]
	global_store_dwordx4 v[14:15], v[5:8], off
.LBB387_8:
	s_or_b64 exec, exec, s[4:5]
	v_add_u32_e32 v3, 16, v4
	v_mad_i64_i32 v[5:6], s[2:3], v3, s9, 0
	v_mov_b32_e32 v1, s8
	v_lshlrev_b64 v[5:6], 4, v[5:6]
	v_add_co_u32_e64 v5, s[2:3], s7, v5
	v_addc_co_u32_e64 v6, s[2:3], v1, v6, s[2:3]
	v_cmp_le_i32_e64 s[2:3], v3, v0
	s_and_b64 s[4:5], s[2:3], vcc
	s_and_saveexec_b64 s[2:3], s[4:5]
	s_cbranch_execz .LBB387_10
; %bb.9:
	v_ashrrev_i32_e32 v1, 31, v0
	v_lshlrev_b64 v[7:8], 4, v[0:1]
	v_add_co_u32_e32 v7, vcc, v5, v7
	v_addc_co_u32_e32 v8, vcc, v6, v8, vcc
	global_load_dwordx4 v[22:25], v[7:8], off
	v_cmp_ne_u32_e32 vcc, v3, v0
	s_waitcnt vmcnt(0)
	v_add_f64 v[18:19], v[20:21], v[24:25]
	v_add_f64 v[14:15], v[16:17], v[22:23]
	v_cndmask_b32_e32 v17, 0, v19, vcc
	v_cndmask_b32_e32 v16, 0, v18, vcc
	global_store_dwordx4 v[7:8], v[14:17], off
.LBB387_10:
	s_or_b64 exec, exec, s[2:3]
	v_cmp_le_i32_e32 vcc, v3, v2
	s_and_b64 s[0:1], vcc, s[0:1]
	s_and_saveexec_b64 s[2:3], s[0:1]
	s_cbranch_execz .LBB387_12
; %bb.11:
	v_ashrrev_i32_e32 v3, 31, v2
	v_lshlrev_b64 v[1:2], 4, v[2:3]
	v_add_co_u32_e32 v14, vcc, v5, v1
	v_addc_co_u32_e32 v15, vcc, v6, v2, vcc
	global_load_dwordx4 v[5:8], v[14:15], off
	v_cmp_ne_u32_e32 vcc, v4, v0
	s_waitcnt vmcnt(0)
	v_add_f64 v[7:8], v[10:11], v[7:8]
	v_add_f64 v[1:2], v[12:13], v[5:6]
	v_cndmask_b32_e32 v4, 0, v8, vcc
	v_cndmask_b32_e32 v3, 0, v7, vcc
	global_store_dwordx4 v[14:15], v[1:4], off
.LBB387_12:
	s_endpgm
	.section	.rodata,"a",@progbits
	.p2align	6, 0x0
	.amdhsa_kernel _ZL37rocblas_syrkx_herkx_restricted_kernelIi19rocblas_complex_numIdELi16ELi32ELi8ELi1ELi1ELb1ELc84ELc76EKS1_S1_EviT_PT9_S3_lS5_S3_lPT10_S3_li
		.amdhsa_group_segment_fixed_size 8192
		.amdhsa_private_segment_fixed_size 0
		.amdhsa_kernarg_size 84
		.amdhsa_user_sgpr_count 6
		.amdhsa_user_sgpr_private_segment_buffer 1
		.amdhsa_user_sgpr_dispatch_ptr 0
		.amdhsa_user_sgpr_queue_ptr 0
		.amdhsa_user_sgpr_kernarg_segment_ptr 1
		.amdhsa_user_sgpr_dispatch_id 0
		.amdhsa_user_sgpr_flat_scratch_init 0
		.amdhsa_user_sgpr_private_segment_size 0
		.amdhsa_uses_dynamic_stack 0
		.amdhsa_system_sgpr_private_segment_wavefront_offset 0
		.amdhsa_system_sgpr_workgroup_id_x 1
		.amdhsa_system_sgpr_workgroup_id_y 1
		.amdhsa_system_sgpr_workgroup_id_z 1
		.amdhsa_system_sgpr_workgroup_info 0
		.amdhsa_system_vgpr_workitem_id 1
		.amdhsa_next_free_vgpr 52
		.amdhsa_next_free_sgpr 61
		.amdhsa_reserve_vcc 1
		.amdhsa_reserve_flat_scratch 0
		.amdhsa_float_round_mode_32 0
		.amdhsa_float_round_mode_16_64 0
		.amdhsa_float_denorm_mode_32 3
		.amdhsa_float_denorm_mode_16_64 3
		.amdhsa_dx10_clamp 1
		.amdhsa_ieee_mode 1
		.amdhsa_fp16_overflow 0
		.amdhsa_exception_fp_ieee_invalid_op 0
		.amdhsa_exception_fp_denorm_src 0
		.amdhsa_exception_fp_ieee_div_zero 0
		.amdhsa_exception_fp_ieee_overflow 0
		.amdhsa_exception_fp_ieee_underflow 0
		.amdhsa_exception_fp_ieee_inexact 0
		.amdhsa_exception_int_div_zero 0
	.end_amdhsa_kernel
	.section	.text._ZL37rocblas_syrkx_herkx_restricted_kernelIi19rocblas_complex_numIdELi16ELi32ELi8ELi1ELi1ELb1ELc84ELc76EKS1_S1_EviT_PT9_S3_lS5_S3_lPT10_S3_li,"axG",@progbits,_ZL37rocblas_syrkx_herkx_restricted_kernelIi19rocblas_complex_numIdELi16ELi32ELi8ELi1ELi1ELb1ELc84ELc76EKS1_S1_EviT_PT9_S3_lS5_S3_lPT10_S3_li,comdat
.Lfunc_end387:
	.size	_ZL37rocblas_syrkx_herkx_restricted_kernelIi19rocblas_complex_numIdELi16ELi32ELi8ELi1ELi1ELb1ELc84ELc76EKS1_S1_EviT_PT9_S3_lS5_S3_lPT10_S3_li, .Lfunc_end387-_ZL37rocblas_syrkx_herkx_restricted_kernelIi19rocblas_complex_numIdELi16ELi32ELi8ELi1ELi1ELb1ELc84ELc76EKS1_S1_EviT_PT9_S3_lS5_S3_lPT10_S3_li
                                        ; -- End function
	.set _ZL37rocblas_syrkx_herkx_restricted_kernelIi19rocblas_complex_numIdELi16ELi32ELi8ELi1ELi1ELb1ELc84ELc76EKS1_S1_EviT_PT9_S3_lS5_S3_lPT10_S3_li.num_vgpr, 52
	.set _ZL37rocblas_syrkx_herkx_restricted_kernelIi19rocblas_complex_numIdELi16ELi32ELi8ELi1ELi1ELb1ELc84ELc76EKS1_S1_EviT_PT9_S3_lS5_S3_lPT10_S3_li.num_agpr, 0
	.set _ZL37rocblas_syrkx_herkx_restricted_kernelIi19rocblas_complex_numIdELi16ELi32ELi8ELi1ELi1ELb1ELc84ELc76EKS1_S1_EviT_PT9_S3_lS5_S3_lPT10_S3_li.numbered_sgpr, 22
	.set _ZL37rocblas_syrkx_herkx_restricted_kernelIi19rocblas_complex_numIdELi16ELi32ELi8ELi1ELi1ELb1ELc84ELc76EKS1_S1_EviT_PT9_S3_lS5_S3_lPT10_S3_li.num_named_barrier, 0
	.set _ZL37rocblas_syrkx_herkx_restricted_kernelIi19rocblas_complex_numIdELi16ELi32ELi8ELi1ELi1ELb1ELc84ELc76EKS1_S1_EviT_PT9_S3_lS5_S3_lPT10_S3_li.private_seg_size, 0
	.set _ZL37rocblas_syrkx_herkx_restricted_kernelIi19rocblas_complex_numIdELi16ELi32ELi8ELi1ELi1ELb1ELc84ELc76EKS1_S1_EviT_PT9_S3_lS5_S3_lPT10_S3_li.uses_vcc, 1
	.set _ZL37rocblas_syrkx_herkx_restricted_kernelIi19rocblas_complex_numIdELi16ELi32ELi8ELi1ELi1ELb1ELc84ELc76EKS1_S1_EviT_PT9_S3_lS5_S3_lPT10_S3_li.uses_flat_scratch, 0
	.set _ZL37rocblas_syrkx_herkx_restricted_kernelIi19rocblas_complex_numIdELi16ELi32ELi8ELi1ELi1ELb1ELc84ELc76EKS1_S1_EviT_PT9_S3_lS5_S3_lPT10_S3_li.has_dyn_sized_stack, 0
	.set _ZL37rocblas_syrkx_herkx_restricted_kernelIi19rocblas_complex_numIdELi16ELi32ELi8ELi1ELi1ELb1ELc84ELc76EKS1_S1_EviT_PT9_S3_lS5_S3_lPT10_S3_li.has_recursion, 0
	.set _ZL37rocblas_syrkx_herkx_restricted_kernelIi19rocblas_complex_numIdELi16ELi32ELi8ELi1ELi1ELb1ELc84ELc76EKS1_S1_EviT_PT9_S3_lS5_S3_lPT10_S3_li.has_indirect_call, 0
	.section	.AMDGPU.csdata,"",@progbits
; Kernel info:
; codeLenInByte = 2940
; TotalNumSgprs: 26
; NumVgprs: 52
; ScratchSize: 0
; MemoryBound: 0
; FloatMode: 240
; IeeeMode: 1
; LDSByteSize: 8192 bytes/workgroup (compile time only)
; SGPRBlocks: 8
; VGPRBlocks: 12
; NumSGPRsForWavesPerEU: 65
; NumVGPRsForWavesPerEU: 52
; Occupancy: 4
; WaveLimiterHint : 0
; COMPUTE_PGM_RSRC2:SCRATCH_EN: 0
; COMPUTE_PGM_RSRC2:USER_SGPR: 6
; COMPUTE_PGM_RSRC2:TRAP_HANDLER: 0
; COMPUTE_PGM_RSRC2:TGID_X_EN: 1
; COMPUTE_PGM_RSRC2:TGID_Y_EN: 1
; COMPUTE_PGM_RSRC2:TGID_Z_EN: 1
; COMPUTE_PGM_RSRC2:TIDIG_COMP_CNT: 1
	.section	.text._ZL37rocblas_syrkx_herkx_restricted_kernelIi19rocblas_complex_numIdELi16ELi32ELi8ELi1ELi1ELb1ELc67ELc76EKS1_S1_EviT_PT9_S3_lS5_S3_lPT10_S3_li,"axG",@progbits,_ZL37rocblas_syrkx_herkx_restricted_kernelIi19rocblas_complex_numIdELi16ELi32ELi8ELi1ELi1ELb1ELc67ELc76EKS1_S1_EviT_PT9_S3_lS5_S3_lPT10_S3_li,comdat
	.globl	_ZL37rocblas_syrkx_herkx_restricted_kernelIi19rocblas_complex_numIdELi16ELi32ELi8ELi1ELi1ELb1ELc67ELc76EKS1_S1_EviT_PT9_S3_lS5_S3_lPT10_S3_li ; -- Begin function _ZL37rocblas_syrkx_herkx_restricted_kernelIi19rocblas_complex_numIdELi16ELi32ELi8ELi1ELi1ELb1ELc67ELc76EKS1_S1_EviT_PT9_S3_lS5_S3_lPT10_S3_li
	.p2align	8
	.type	_ZL37rocblas_syrkx_herkx_restricted_kernelIi19rocblas_complex_numIdELi16ELi32ELi8ELi1ELi1ELb1ELc67ELc76EKS1_S1_EviT_PT9_S3_lS5_S3_lPT10_S3_li,@function
_ZL37rocblas_syrkx_herkx_restricted_kernelIi19rocblas_complex_numIdELi16ELi32ELi8ELi1ELi1ELb1ELc67ELc76EKS1_S1_EviT_PT9_S3_lS5_S3_lPT10_S3_li: ; @_ZL37rocblas_syrkx_herkx_restricted_kernelIi19rocblas_complex_numIdELi16ELi32ELi8ELi1ELi1ELb1ELc67ELc76EKS1_S1_EviT_PT9_S3_lS5_S3_lPT10_S3_li
; %bb.0:
	s_load_dwordx2 s[10:11], s[4:5], 0x0
	s_load_dwordx4 s[0:3], s[4:5], 0x30
	s_lshl_b32 s6, s6, 5
	s_lshl_b32 s7, s7, 5
	s_mov_b32 s9, 0
	s_waitcnt lgkmcnt(0)
	s_cmp_lt_i32 s11, 1
	s_cbranch_scc1 .LBB388_3
; %bb.1:
	s_load_dwordx2 s[16:17], s[4:5], 0x8
	s_load_dword s20, s[4:5], 0x10
	s_load_dwordx4 s[12:15], s[4:5], 0x18
	s_load_dword s18, s[4:5], 0x28
	v_lshl_add_u32 v6, v1, 4, v0
	v_lshrrev_b32_e32 v8, 3, v6
	v_add_u32_e32 v4, s7, v8
	v_and_b32_e32 v2, 7, v0
	v_mov_b32_e32 v3, 0
	s_waitcnt lgkmcnt(0)
	v_mad_i64_i32 v[4:5], s[18:19], s18, v4, v[2:3]
	v_lshlrev_b32_e32 v2, 4, v2
	v_lshl_or_b32 v2, v8, 7, v2
	v_and_b32_e32 v9, 31, v6
	v_add_u32_e32 v23, 0x1000, v2
	v_mov_b32_e32 v2, 0x1000
	v_lshrrev_b32_e32 v6, 5, v6
	v_mov_b32_e32 v7, v3
	v_lshlrev_b32_e32 v3, 4, v9
	v_lshl_add_u32 v25, v1, 7, v2
	v_add_u32_e32 v2, s6, v9
	v_lshl_or_b32 v22, v6, 9, v3
	v_mad_i64_i32 v[2:3], s[18:19], s20, v2, v[6:7]
	s_mul_i32 s13, s13, s8
	s_mul_hi_u32 s21, s12, s8
	s_add_i32 s13, s21, s13
	s_mul_i32 s12, s12, s8
	s_lshl_b64 s[12:13], s[12:13], 4
	v_lshlrev_b64 v[2:3], 4, v[2:3]
	s_add_u32 s12, s16, s12
	s_addc_u32 s13, s17, s13
	v_add_co_u32_e32 v2, vcc, s12, v2
	s_mul_i32 s1, s1, s8
	s_mul_hi_u32 s12, s0, s8
	v_mov_b32_e32 v6, s13
	s_add_i32 s1, s12, s1
	s_mul_i32 s0, s0, s8
	v_addc_co_u32_e32 v3, vcc, v6, v3, vcc
	s_lshl_b64 s[0:1], s[0:1], 4
	v_add_co_u32_e32 v2, vcc, 8, v2
	v_lshlrev_b64 v[4:5], 4, v[4:5]
	s_add_u32 s0, s14, s0
	v_addc_co_u32_e32 v3, vcc, 0, v3, vcc
	s_addc_u32 s1, s15, s1
	v_mov_b32_e32 v6, s1
	v_add_co_u32_e32 v4, vcc, s0, v4
	v_addc_co_u32_e32 v5, vcc, v6, v5, vcc
	v_mov_b32_e32 v10, 0
	v_mov_b32_e32 v12, 0
	;; [unrolled: 1-line block ×8, first 2 shown]
	v_add_co_u32_e32 v4, vcc, 8, v4
	v_lshlrev_b32_e32 v24, 4, v0
	v_mov_b32_e32 v11, 0
	v_mov_b32_e32 v13, 0
	;; [unrolled: 1-line block ×8, first 2 shown]
	v_addc_co_u32_e32 v5, vcc, 0, v5, vcc
.LBB388_2:                              ; =>This Inner Loop Header: Depth=1
	global_load_dwordx4 v[26:29], v[2:3], off offset:-8
	v_add_co_u32_e32 v2, vcc, 0x80, v2
	v_addc_co_u32_e32 v3, vcc, 0, v3, vcc
	s_add_i32 s9, s9, 8
	s_cmp_ge_i32 s9, s11
	s_waitcnt vmcnt(0)
	v_xor_b32_e32 v29, 0x80000000, v29
	ds_write_b128 v22, v[26:29]
	global_load_dwordx4 v[26:29], v[4:5], off offset:-8
	v_add_co_u32_e32 v4, vcc, 0x80, v4
	v_addc_co_u32_e32 v5, vcc, 0, v5, vcc
	s_waitcnt vmcnt(0)
	ds_write_b128 v23, v[26:29]
	s_waitcnt lgkmcnt(0)
	s_barrier
	ds_read_b128 v[26:29], v25
	ds_read_b128 v[30:33], v25 offset:16
	ds_read_b128 v[34:37], v25 offset:32
	;; [unrolled: 1-line block ×3, first 2 shown]
	ds_read_b128 v[42:45], v24
	s_waitcnt lgkmcnt(0)
	v_mul_f64 v[46:47], v[28:29], v[44:45]
	v_mul_f64 v[48:49], v[26:27], v[44:45]
	v_fma_f64 v[46:47], v[26:27], v[42:43], -v[46:47]
	v_fma_f64 v[48:49], v[28:29], v[42:43], v[48:49]
	v_add_f64 v[14:15], v[14:15], v[46:47]
	v_add_f64 v[18:19], v[48:49], v[18:19]
	ds_read_b128 v[46:49], v24 offset:256
	s_waitcnt lgkmcnt(0)
	v_mul_f64 v[50:51], v[28:29], v[48:49]
	v_fma_f64 v[50:51], v[26:27], v[46:47], -v[50:51]
	v_mul_f64 v[26:27], v[26:27], v[48:49]
	v_fma_f64 v[26:27], v[28:29], v[46:47], v[26:27]
	v_add_f64 v[28:29], v[6:7], v[50:51]
	v_add_f64 v[26:27], v[26:27], v[8:9]
	ds_read_b128 v[6:9], v25 offset:2048
	s_waitcnt lgkmcnt(0)
	v_mul_f64 v[50:51], v[8:9], v[44:45]
	v_mul_f64 v[44:45], v[6:7], v[44:45]
	v_fma_f64 v[50:51], v[6:7], v[42:43], -v[50:51]
	v_fma_f64 v[42:43], v[8:9], v[42:43], v[44:45]
	v_add_f64 v[44:45], v[16:17], v[50:51]
	v_mul_f64 v[16:17], v[8:9], v[48:49]
	v_add_f64 v[20:21], v[42:43], v[20:21]
	v_fma_f64 v[16:17], v[6:7], v[46:47], -v[16:17]
	v_mul_f64 v[6:7], v[6:7], v[48:49]
	v_add_f64 v[42:43], v[12:13], v[16:17]
	v_fma_f64 v[6:7], v[8:9], v[46:47], v[6:7]
	v_add_f64 v[46:47], v[6:7], v[10:11]
	ds_read_b128 v[6:9], v24 offset:512
	s_waitcnt lgkmcnt(0)
	v_mul_f64 v[10:11], v[32:33], v[8:9]
	v_mul_f64 v[12:13], v[30:31], v[8:9]
	v_fma_f64 v[10:11], v[30:31], v[6:7], -v[10:11]
	v_fma_f64 v[12:13], v[32:33], v[6:7], v[12:13]
	v_add_f64 v[48:49], v[14:15], v[10:11]
	v_add_f64 v[18:19], v[12:13], v[18:19]
	ds_read_b128 v[10:13], v24 offset:768
	s_waitcnt lgkmcnt(0)
	v_mul_f64 v[14:15], v[32:33], v[12:13]
	v_mul_f64 v[16:17], v[30:31], v[12:13]
	v_fma_f64 v[14:15], v[30:31], v[10:11], -v[14:15]
	v_fma_f64 v[16:17], v[32:33], v[10:11], v[16:17]
	v_add_f64 v[28:29], v[28:29], v[14:15]
	v_add_f64 v[26:27], v[16:17], v[26:27]
	ds_read_b128 v[14:17], v25 offset:2064
	s_waitcnt lgkmcnt(0)
	v_mul_f64 v[30:31], v[16:17], v[8:9]
	v_mul_f64 v[8:9], v[14:15], v[8:9]
	v_fma_f64 v[30:31], v[14:15], v[6:7], -v[30:31]
	v_fma_f64 v[6:7], v[16:17], v[6:7], v[8:9]
	v_mul_f64 v[8:9], v[14:15], v[12:13]
	v_add_f64 v[30:31], v[44:45], v[30:31]
	v_add_f64 v[20:21], v[6:7], v[20:21]
	v_mul_f64 v[6:7], v[16:17], v[12:13]
	v_fma_f64 v[8:9], v[16:17], v[10:11], v[8:9]
	v_fma_f64 v[6:7], v[14:15], v[10:11], -v[6:7]
	v_add_f64 v[32:33], v[42:43], v[6:7]
	v_add_f64 v[42:43], v[8:9], v[46:47]
	ds_read_b128 v[6:9], v24 offset:1024
	s_waitcnt lgkmcnt(0)
	v_mul_f64 v[10:11], v[36:37], v[8:9]
	v_mul_f64 v[12:13], v[34:35], v[8:9]
	v_fma_f64 v[10:11], v[34:35], v[6:7], -v[10:11]
	v_fma_f64 v[12:13], v[36:37], v[6:7], v[12:13]
	v_add_f64 v[44:45], v[48:49], v[10:11]
	v_add_f64 v[18:19], v[12:13], v[18:19]
	ds_read_b128 v[10:13], v24 offset:1280
	s_waitcnt lgkmcnt(0)
	v_mul_f64 v[14:15], v[36:37], v[12:13]
	v_mul_f64 v[16:17], v[34:35], v[12:13]
	v_fma_f64 v[14:15], v[34:35], v[10:11], -v[14:15]
	v_fma_f64 v[16:17], v[36:37], v[10:11], v[16:17]
	v_add_f64 v[28:29], v[28:29], v[14:15]
	v_add_f64 v[26:27], v[16:17], v[26:27]
	ds_read_b128 v[14:17], v25 offset:2080
	s_waitcnt lgkmcnt(0)
	v_mul_f64 v[34:35], v[16:17], v[8:9]
	v_mul_f64 v[8:9], v[14:15], v[8:9]
	v_fma_f64 v[34:35], v[14:15], v[6:7], -v[34:35]
	v_fma_f64 v[6:7], v[16:17], v[6:7], v[8:9]
	v_mul_f64 v[8:9], v[14:15], v[12:13]
	v_add_f64 v[30:31], v[30:31], v[34:35]
	v_add_f64 v[20:21], v[6:7], v[20:21]
	v_mul_f64 v[6:7], v[16:17], v[12:13]
	v_fma_f64 v[8:9], v[16:17], v[10:11], v[8:9]
	v_fma_f64 v[6:7], v[14:15], v[10:11], -v[6:7]
	v_add_f64 v[34:35], v[8:9], v[42:43]
	;; [unrolled: 30-line block ×3, first 2 shown]
	v_add_f64 v[32:33], v[32:33], v[6:7]
	ds_read_b128 v[6:9], v25 offset:64
	ds_read_b128 v[10:13], v24 offset:2048
	s_waitcnt lgkmcnt(0)
	v_mul_f64 v[14:15], v[8:9], v[12:13]
	v_mul_f64 v[16:17], v[6:7], v[12:13]
	v_fma_f64 v[14:15], v[6:7], v[10:11], -v[14:15]
	v_fma_f64 v[16:17], v[8:9], v[10:11], v[16:17]
	v_add_f64 v[36:37], v[36:37], v[14:15]
	v_add_f64 v[18:19], v[16:17], v[18:19]
	ds_read_b128 v[14:17], v24 offset:2304
	s_waitcnt lgkmcnt(0)
	v_mul_f64 v[38:39], v[8:9], v[16:17]
	v_fma_f64 v[38:39], v[6:7], v[14:15], -v[38:39]
	v_mul_f64 v[6:7], v[6:7], v[16:17]
	v_add_f64 v[28:29], v[28:29], v[38:39]
	v_fma_f64 v[6:7], v[8:9], v[14:15], v[6:7]
	v_add_f64 v[26:27], v[6:7], v[26:27]
	ds_read_b128 v[6:9], v25 offset:2112
	s_waitcnt lgkmcnt(0)
	v_mul_f64 v[38:39], v[8:9], v[12:13]
	v_mul_f64 v[12:13], v[6:7], v[12:13]
	v_fma_f64 v[38:39], v[6:7], v[10:11], -v[38:39]
	v_fma_f64 v[10:11], v[8:9], v[10:11], v[12:13]
	v_add_f64 v[30:31], v[30:31], v[38:39]
	v_add_f64 v[20:21], v[10:11], v[20:21]
	v_mul_f64 v[10:11], v[8:9], v[16:17]
	v_fma_f64 v[10:11], v[6:7], v[14:15], -v[10:11]
	v_mul_f64 v[6:7], v[6:7], v[16:17]
	v_add_f64 v[32:33], v[32:33], v[10:11]
	v_fma_f64 v[6:7], v[8:9], v[14:15], v[6:7]
	v_add_f64 v[34:35], v[6:7], v[34:35]
	ds_read_b128 v[6:9], v25 offset:80
	ds_read_b128 v[10:13], v24 offset:2560
	s_waitcnt lgkmcnt(0)
	v_mul_f64 v[14:15], v[8:9], v[12:13]
	v_mul_f64 v[16:17], v[6:7], v[12:13]
	v_fma_f64 v[14:15], v[6:7], v[10:11], -v[14:15]
	v_fma_f64 v[16:17], v[8:9], v[10:11], v[16:17]
	v_add_f64 v[36:37], v[36:37], v[14:15]
	v_add_f64 v[18:19], v[16:17], v[18:19]
	ds_read_b128 v[14:17], v24 offset:2816
	s_waitcnt lgkmcnt(0)
	v_mul_f64 v[38:39], v[8:9], v[16:17]
	v_fma_f64 v[38:39], v[6:7], v[14:15], -v[38:39]
	v_mul_f64 v[6:7], v[6:7], v[16:17]
	v_add_f64 v[28:29], v[28:29], v[38:39]
	v_fma_f64 v[6:7], v[8:9], v[14:15], v[6:7]
	v_add_f64 v[26:27], v[6:7], v[26:27]
	ds_read_b128 v[6:9], v25 offset:2128
	s_waitcnt lgkmcnt(0)
	v_mul_f64 v[38:39], v[8:9], v[12:13]
	v_mul_f64 v[12:13], v[6:7], v[12:13]
	v_fma_f64 v[38:39], v[6:7], v[10:11], -v[38:39]
	v_fma_f64 v[10:11], v[8:9], v[10:11], v[12:13]
	v_add_f64 v[30:31], v[30:31], v[38:39]
	v_add_f64 v[20:21], v[10:11], v[20:21]
	v_mul_f64 v[10:11], v[8:9], v[16:17]
	v_fma_f64 v[10:11], v[6:7], v[14:15], -v[10:11]
	v_mul_f64 v[6:7], v[6:7], v[16:17]
	v_add_f64 v[32:33], v[32:33], v[10:11]
	v_fma_f64 v[6:7], v[8:9], v[14:15], v[6:7]
	;; [unrolled: 31-line block ×3, first 2 shown]
	v_add_f64 v[34:35], v[6:7], v[34:35]
	ds_read_b128 v[6:9], v25 offset:112
	ds_read_b128 v[10:13], v24 offset:3584
	;; [unrolled: 1-line block ×4, first 2 shown]
	s_waitcnt lgkmcnt(0)
	s_barrier
	v_mul_f64 v[16:17], v[6:7], v[12:13]
	v_mul_f64 v[14:15], v[8:9], v[12:13]
	v_fma_f64 v[16:17], v[8:9], v[10:11], v[16:17]
	v_fma_f64 v[14:15], v[6:7], v[10:11], -v[14:15]
	v_add_f64 v[18:19], v[16:17], v[18:19]
	v_mul_f64 v[16:17], v[8:9], v[28:29]
	v_add_f64 v[14:15], v[36:37], v[14:15]
	v_fma_f64 v[16:17], v[6:7], v[26:27], -v[16:17]
	v_mul_f64 v[6:7], v[6:7], v[28:29]
	v_fma_f64 v[8:9], v[8:9], v[26:27], v[6:7]
	v_add_f64 v[6:7], v[38:39], v[16:17]
	v_mul_f64 v[16:17], v[32:33], v[12:13]
	v_mul_f64 v[12:13], v[30:31], v[12:13]
	v_add_f64 v[8:9], v[8:9], v[40:41]
	v_fma_f64 v[16:17], v[30:31], v[10:11], -v[16:17]
	v_fma_f64 v[10:11], v[32:33], v[10:11], v[12:13]
	v_mul_f64 v[12:13], v[30:31], v[28:29]
	v_add_f64 v[16:17], v[42:43], v[16:17]
	v_add_f64 v[20:21], v[10:11], v[20:21]
	v_mul_f64 v[10:11], v[32:33], v[28:29]
	v_fma_f64 v[10:11], v[30:31], v[26:27], -v[10:11]
	v_fma_f64 v[26:27], v[32:33], v[26:27], v[12:13]
	v_add_f64 v[12:13], v[44:45], v[10:11]
	v_add_f64 v[10:11], v[26:27], v[34:35]
	s_cbranch_scc0 .LBB388_2
	s_branch .LBB388_4
.LBB388_3:
	v_mov_b32_e32 v14, 0
	v_mov_b32_e32 v18, 0
	;; [unrolled: 1-line block ×16, first 2 shown]
.LBB388_4:
	s_load_dwordx2 s[0:1], s[4:5], 0x48
	s_load_dword s9, s[4:5], 0x40
	v_add_u32_e32 v4, s7, v1
	v_add_u32_e32 v0, s6, v0
	s_waitcnt lgkmcnt(0)
	s_mul_i32 s1, s1, s8
	s_mul_hi_u32 s4, s0, s8
	s_add_i32 s1, s4, s1
	v_mad_i64_i32 v[1:2], s[4:5], v4, s9, 0
	s_mul_i32 s0, s0, s8
	s_lshl_b64 s[0:1], s[0:1], 4
	s_add_u32 s7, s2, s0
	v_lshlrev_b64 v[1:2], 4, v[1:2]
	s_addc_u32 s8, s3, s1
	v_mov_b32_e32 v3, s8
	v_add_co_u32_e32 v5, vcc, s7, v1
	v_addc_co_u32_e32 v22, vcc, v3, v2, vcc
	v_cmp_le_i32_e64 s[0:1], v4, v0
	v_cmp_gt_i32_e32 vcc, s10, v0
	s_and_b64 s[0:1], s[0:1], vcc
	s_and_saveexec_b64 s[2:3], s[0:1]
	s_cbranch_execz .LBB388_6
; %bb.5:
	v_ashrrev_i32_e32 v1, 31, v0
	v_lshlrev_b64 v[1:2], 4, v[0:1]
	v_add_co_u32_e64 v1, s[0:1], v5, v1
	v_addc_co_u32_e64 v2, s[0:1], v22, v2, s[0:1]
	global_load_dwordx4 v[23:26], v[1:2], off
	v_cmp_ne_u32_e64 s[0:1], v4, v0
	s_waitcnt vmcnt(0)
	v_add_f64 v[18:19], v[18:19], v[25:26]
	v_add_f64 v[23:24], v[14:15], v[23:24]
	v_cndmask_b32_e64 v26, 0, v19, s[0:1]
	v_cndmask_b32_e64 v25, 0, v18, s[0:1]
	global_store_dwordx4 v[1:2], v[23:26], off
.LBB388_6:
	s_or_b64 exec, exec, s[2:3]
	v_add_u32_e32 v2, 16, v0
	v_cmp_le_i32_e64 s[2:3], v4, v2
	v_cmp_gt_i32_e64 s[0:1], s10, v2
	s_and_b64 s[2:3], s[2:3], s[0:1]
	s_and_saveexec_b64 s[4:5], s[2:3]
	s_cbranch_execz .LBB388_8
; %bb.7:
	v_ashrrev_i32_e32 v3, 31, v2
	v_lshlrev_b64 v[14:15], 4, v[2:3]
	v_add_co_u32_e64 v14, s[2:3], v5, v14
	v_addc_co_u32_e64 v15, s[2:3], v22, v15, s[2:3]
	global_load_dwordx4 v[22:25], v[14:15], off
	v_cmp_ne_u32_e64 s[2:3], v4, v2
	s_waitcnt vmcnt(0)
	v_add_f64 v[18:19], v[8:9], v[24:25]
	v_add_f64 v[5:6], v[6:7], v[22:23]
	v_cndmask_b32_e64 v8, 0, v19, s[2:3]
	v_cndmask_b32_e64 v7, 0, v18, s[2:3]
	global_store_dwordx4 v[14:15], v[5:8], off
.LBB388_8:
	s_or_b64 exec, exec, s[4:5]
	v_add_u32_e32 v3, 16, v4
	v_mad_i64_i32 v[5:6], s[2:3], v3, s9, 0
	v_mov_b32_e32 v1, s8
	v_lshlrev_b64 v[5:6], 4, v[5:6]
	v_add_co_u32_e64 v5, s[2:3], s7, v5
	v_addc_co_u32_e64 v6, s[2:3], v1, v6, s[2:3]
	v_cmp_le_i32_e64 s[2:3], v3, v0
	s_and_b64 s[4:5], s[2:3], vcc
	s_and_saveexec_b64 s[2:3], s[4:5]
	s_cbranch_execz .LBB388_10
; %bb.9:
	v_ashrrev_i32_e32 v1, 31, v0
	v_lshlrev_b64 v[7:8], 4, v[0:1]
	v_add_co_u32_e32 v7, vcc, v5, v7
	v_addc_co_u32_e32 v8, vcc, v6, v8, vcc
	global_load_dwordx4 v[22:25], v[7:8], off
	v_cmp_ne_u32_e32 vcc, v3, v0
	s_waitcnt vmcnt(0)
	v_add_f64 v[18:19], v[20:21], v[24:25]
	v_add_f64 v[14:15], v[16:17], v[22:23]
	v_cndmask_b32_e32 v17, 0, v19, vcc
	v_cndmask_b32_e32 v16, 0, v18, vcc
	global_store_dwordx4 v[7:8], v[14:17], off
.LBB388_10:
	s_or_b64 exec, exec, s[2:3]
	v_cmp_le_i32_e32 vcc, v3, v2
	s_and_b64 s[0:1], vcc, s[0:1]
	s_and_saveexec_b64 s[2:3], s[0:1]
	s_cbranch_execz .LBB388_12
; %bb.11:
	v_ashrrev_i32_e32 v3, 31, v2
	v_lshlrev_b64 v[1:2], 4, v[2:3]
	v_add_co_u32_e32 v14, vcc, v5, v1
	v_addc_co_u32_e32 v15, vcc, v6, v2, vcc
	global_load_dwordx4 v[5:8], v[14:15], off
	v_cmp_ne_u32_e32 vcc, v4, v0
	s_waitcnt vmcnt(0)
	v_add_f64 v[7:8], v[10:11], v[7:8]
	v_add_f64 v[1:2], v[12:13], v[5:6]
	v_cndmask_b32_e32 v4, 0, v8, vcc
	v_cndmask_b32_e32 v3, 0, v7, vcc
	global_store_dwordx4 v[14:15], v[1:4], off
.LBB388_12:
	s_endpgm
	.section	.rodata,"a",@progbits
	.p2align	6, 0x0
	.amdhsa_kernel _ZL37rocblas_syrkx_herkx_restricted_kernelIi19rocblas_complex_numIdELi16ELi32ELi8ELi1ELi1ELb1ELc67ELc76EKS1_S1_EviT_PT9_S3_lS5_S3_lPT10_S3_li
		.amdhsa_group_segment_fixed_size 8192
		.amdhsa_private_segment_fixed_size 0
		.amdhsa_kernarg_size 84
		.amdhsa_user_sgpr_count 6
		.amdhsa_user_sgpr_private_segment_buffer 1
		.amdhsa_user_sgpr_dispatch_ptr 0
		.amdhsa_user_sgpr_queue_ptr 0
		.amdhsa_user_sgpr_kernarg_segment_ptr 1
		.amdhsa_user_sgpr_dispatch_id 0
		.amdhsa_user_sgpr_flat_scratch_init 0
		.amdhsa_user_sgpr_private_segment_size 0
		.amdhsa_uses_dynamic_stack 0
		.amdhsa_system_sgpr_private_segment_wavefront_offset 0
		.amdhsa_system_sgpr_workgroup_id_x 1
		.amdhsa_system_sgpr_workgroup_id_y 1
		.amdhsa_system_sgpr_workgroup_id_z 1
		.amdhsa_system_sgpr_workgroup_info 0
		.amdhsa_system_vgpr_workitem_id 1
		.amdhsa_next_free_vgpr 52
		.amdhsa_next_free_sgpr 61
		.amdhsa_reserve_vcc 1
		.amdhsa_reserve_flat_scratch 0
		.amdhsa_float_round_mode_32 0
		.amdhsa_float_round_mode_16_64 0
		.amdhsa_float_denorm_mode_32 3
		.amdhsa_float_denorm_mode_16_64 3
		.amdhsa_dx10_clamp 1
		.amdhsa_ieee_mode 1
		.amdhsa_fp16_overflow 0
		.amdhsa_exception_fp_ieee_invalid_op 0
		.amdhsa_exception_fp_denorm_src 0
		.amdhsa_exception_fp_ieee_div_zero 0
		.amdhsa_exception_fp_ieee_overflow 0
		.amdhsa_exception_fp_ieee_underflow 0
		.amdhsa_exception_fp_ieee_inexact 0
		.amdhsa_exception_int_div_zero 0
	.end_amdhsa_kernel
	.section	.text._ZL37rocblas_syrkx_herkx_restricted_kernelIi19rocblas_complex_numIdELi16ELi32ELi8ELi1ELi1ELb1ELc67ELc76EKS1_S1_EviT_PT9_S3_lS5_S3_lPT10_S3_li,"axG",@progbits,_ZL37rocblas_syrkx_herkx_restricted_kernelIi19rocblas_complex_numIdELi16ELi32ELi8ELi1ELi1ELb1ELc67ELc76EKS1_S1_EviT_PT9_S3_lS5_S3_lPT10_S3_li,comdat
.Lfunc_end388:
	.size	_ZL37rocblas_syrkx_herkx_restricted_kernelIi19rocblas_complex_numIdELi16ELi32ELi8ELi1ELi1ELb1ELc67ELc76EKS1_S1_EviT_PT9_S3_lS5_S3_lPT10_S3_li, .Lfunc_end388-_ZL37rocblas_syrkx_herkx_restricted_kernelIi19rocblas_complex_numIdELi16ELi32ELi8ELi1ELi1ELb1ELc67ELc76EKS1_S1_EviT_PT9_S3_lS5_S3_lPT10_S3_li
                                        ; -- End function
	.set _ZL37rocblas_syrkx_herkx_restricted_kernelIi19rocblas_complex_numIdELi16ELi32ELi8ELi1ELi1ELb1ELc67ELc76EKS1_S1_EviT_PT9_S3_lS5_S3_lPT10_S3_li.num_vgpr, 52
	.set _ZL37rocblas_syrkx_herkx_restricted_kernelIi19rocblas_complex_numIdELi16ELi32ELi8ELi1ELi1ELb1ELc67ELc76EKS1_S1_EviT_PT9_S3_lS5_S3_lPT10_S3_li.num_agpr, 0
	.set _ZL37rocblas_syrkx_herkx_restricted_kernelIi19rocblas_complex_numIdELi16ELi32ELi8ELi1ELi1ELb1ELc67ELc76EKS1_S1_EviT_PT9_S3_lS5_S3_lPT10_S3_li.numbered_sgpr, 22
	.set _ZL37rocblas_syrkx_herkx_restricted_kernelIi19rocblas_complex_numIdELi16ELi32ELi8ELi1ELi1ELb1ELc67ELc76EKS1_S1_EviT_PT9_S3_lS5_S3_lPT10_S3_li.num_named_barrier, 0
	.set _ZL37rocblas_syrkx_herkx_restricted_kernelIi19rocblas_complex_numIdELi16ELi32ELi8ELi1ELi1ELb1ELc67ELc76EKS1_S1_EviT_PT9_S3_lS5_S3_lPT10_S3_li.private_seg_size, 0
	.set _ZL37rocblas_syrkx_herkx_restricted_kernelIi19rocblas_complex_numIdELi16ELi32ELi8ELi1ELi1ELb1ELc67ELc76EKS1_S1_EviT_PT9_S3_lS5_S3_lPT10_S3_li.uses_vcc, 1
	.set _ZL37rocblas_syrkx_herkx_restricted_kernelIi19rocblas_complex_numIdELi16ELi32ELi8ELi1ELi1ELb1ELc67ELc76EKS1_S1_EviT_PT9_S3_lS5_S3_lPT10_S3_li.uses_flat_scratch, 0
	.set _ZL37rocblas_syrkx_herkx_restricted_kernelIi19rocblas_complex_numIdELi16ELi32ELi8ELi1ELi1ELb1ELc67ELc76EKS1_S1_EviT_PT9_S3_lS5_S3_lPT10_S3_li.has_dyn_sized_stack, 0
	.set _ZL37rocblas_syrkx_herkx_restricted_kernelIi19rocblas_complex_numIdELi16ELi32ELi8ELi1ELi1ELb1ELc67ELc76EKS1_S1_EviT_PT9_S3_lS5_S3_lPT10_S3_li.has_recursion, 0
	.set _ZL37rocblas_syrkx_herkx_restricted_kernelIi19rocblas_complex_numIdELi16ELi32ELi8ELi1ELi1ELb1ELc67ELc76EKS1_S1_EviT_PT9_S3_lS5_S3_lPT10_S3_li.has_indirect_call, 0
	.section	.AMDGPU.csdata,"",@progbits
; Kernel info:
; codeLenInByte = 2948
; TotalNumSgprs: 26
; NumVgprs: 52
; ScratchSize: 0
; MemoryBound: 0
; FloatMode: 240
; IeeeMode: 1
; LDSByteSize: 8192 bytes/workgroup (compile time only)
; SGPRBlocks: 8
; VGPRBlocks: 12
; NumSGPRsForWavesPerEU: 65
; NumVGPRsForWavesPerEU: 52
; Occupancy: 4
; WaveLimiterHint : 0
; COMPUTE_PGM_RSRC2:SCRATCH_EN: 0
; COMPUTE_PGM_RSRC2:USER_SGPR: 6
; COMPUTE_PGM_RSRC2:TRAP_HANDLER: 0
; COMPUTE_PGM_RSRC2:TGID_X_EN: 1
; COMPUTE_PGM_RSRC2:TGID_Y_EN: 1
; COMPUTE_PGM_RSRC2:TGID_Z_EN: 1
; COMPUTE_PGM_RSRC2:TIDIG_COMP_CNT: 1
	.section	.text._ZL37rocblas_syrkx_herkx_restricted_kernelIi19rocblas_complex_numIdELi16ELi32ELi8ELi1ELi1ELb1ELc78ELc76EKS1_S1_EviT_PT9_S3_lS5_S3_lPT10_S3_li,"axG",@progbits,_ZL37rocblas_syrkx_herkx_restricted_kernelIi19rocblas_complex_numIdELi16ELi32ELi8ELi1ELi1ELb1ELc78ELc76EKS1_S1_EviT_PT9_S3_lS5_S3_lPT10_S3_li,comdat
	.globl	_ZL37rocblas_syrkx_herkx_restricted_kernelIi19rocblas_complex_numIdELi16ELi32ELi8ELi1ELi1ELb1ELc78ELc76EKS1_S1_EviT_PT9_S3_lS5_S3_lPT10_S3_li ; -- Begin function _ZL37rocblas_syrkx_herkx_restricted_kernelIi19rocblas_complex_numIdELi16ELi32ELi8ELi1ELi1ELb1ELc78ELc76EKS1_S1_EviT_PT9_S3_lS5_S3_lPT10_S3_li
	.p2align	8
	.type	_ZL37rocblas_syrkx_herkx_restricted_kernelIi19rocblas_complex_numIdELi16ELi32ELi8ELi1ELi1ELb1ELc78ELc76EKS1_S1_EviT_PT9_S3_lS5_S3_lPT10_S3_li,@function
_ZL37rocblas_syrkx_herkx_restricted_kernelIi19rocblas_complex_numIdELi16ELi32ELi8ELi1ELi1ELb1ELc78ELc76EKS1_S1_EviT_PT9_S3_lS5_S3_lPT10_S3_li: ; @_ZL37rocblas_syrkx_herkx_restricted_kernelIi19rocblas_complex_numIdELi16ELi32ELi8ELi1ELi1ELb1ELc78ELc76EKS1_S1_EviT_PT9_S3_lS5_S3_lPT10_S3_li
; %bb.0:
	s_load_dwordx2 s[10:11], s[4:5], 0x0
	s_load_dwordx4 s[0:3], s[4:5], 0x30
	s_lshl_b32 s9, s6, 5
	s_lshl_b32 s16, s7, 5
	s_mov_b32 s17, 0
	s_waitcnt lgkmcnt(0)
	s_cmp_lt_i32 s11, 1
	s_cbranch_scc1 .LBB389_3
; %bb.1:
	v_lshl_add_u32 v7, v1, 4, v0
	s_load_dword s6, s[4:5], 0x10
	s_load_dword s18, s[4:5], 0x28
	s_load_dwordx2 s[20:21], s[4:5], 0x8
	s_load_dwordx4 s[12:15], s[4:5], 0x18
	v_lshrrev_b32_e32 v8, 3, v7
	v_add_u32_e32 v2, s16, v8
	v_and_b32_e32 v6, 7, v0
	v_ashrrev_i32_e32 v3, 31, v2
	s_waitcnt lgkmcnt(0)
	v_mad_i64_i32 v[4:5], s[22:23], s18, v6, v[2:3]
	v_and_b32_e32 v2, 31, v7
	v_lshrrev_b32_e32 v9, 5, v7
	v_lshlrev_b32_e32 v3, 4, v2
	v_lshl_or_b32 v22, v9, 9, v3
	v_lshlrev_b32_e32 v3, 4, v6
	v_lshl_or_b32 v3, v8, 7, v3
	v_add_u32_e32 v23, 0x1000, v3
	v_mov_b32_e32 v3, 0x1000
	v_add_u32_e32 v2, s9, v2
	v_lshl_add_u32 v25, v1, 7, v3
	v_ashrrev_i32_e32 v3, 31, v2
	v_mad_i64_i32 v[2:3], s[22:23], s6, v9, v[2:3]
	s_mul_i32 s13, s13, s8
	s_mul_hi_u32 s24, s12, s8
	s_add_i32 s13, s24, s13
	s_mul_i32 s12, s12, s8
	s_ashr_i32 s7, s6, 31
	s_ashr_i32 s19, s18, 31
	s_lshl_b64 s[12:13], s[12:13], 4
	v_lshlrev_b64 v[2:3], 4, v[2:3]
	s_add_u32 s12, s20, s12
	s_addc_u32 s13, s21, s13
	v_add_co_u32_e32 v2, vcc, s12, v2
	s_mul_i32 s1, s1, s8
	s_mul_hi_u32 s12, s0, s8
	v_mov_b32_e32 v6, s13
	s_add_i32 s1, s12, s1
	s_mul_i32 s0, s0, s8
	v_addc_co_u32_e32 v3, vcc, v6, v3, vcc
	s_lshl_b64 s[6:7], s[6:7], 7
	s_lshl_b64 s[0:1], s[0:1], 4
	v_add_co_u32_e32 v2, vcc, 8, v2
	v_lshlrev_b64 v[4:5], 4, v[4:5]
	s_add_u32 s0, s14, s0
	v_addc_co_u32_e32 v3, vcc, 0, v3, vcc
	s_addc_u32 s1, s15, s1
	v_mov_b32_e32 v6, s1
	v_add_co_u32_e32 v4, vcc, s0, v4
	v_addc_co_u32_e32 v5, vcc, v6, v5, vcc
	v_add_co_u32_e32 v4, vcc, 8, v4
	s_lshl_b64 s[0:1], s[18:19], 7
	v_mov_b32_e32 v10, 0
	v_mov_b32_e32 v12, 0
	;; [unrolled: 1-line block ×8, first 2 shown]
	v_lshlrev_b32_e32 v24, 4, v0
	v_addc_co_u32_e32 v5, vcc, 0, v5, vcc
	v_mov_b32_e32 v11, 0
	v_mov_b32_e32 v26, s7
	;; [unrolled: 1-line block ×10, first 2 shown]
.LBB389_2:                              ; =>This Inner Loop Header: Depth=1
	global_load_dwordx4 v[28:31], v[2:3], off offset:-8
	v_add_co_u32_e32 v2, vcc, s6, v2
	v_addc_co_u32_e32 v3, vcc, v3, v26, vcc
	s_add_i32 s17, s17, 8
	s_cmp_ge_i32 s17, s11
	s_waitcnt vmcnt(0)
	ds_write_b128 v22, v[28:31]
	global_load_dwordx4 v[28:31], v[4:5], off offset:-8
	v_add_co_u32_e32 v4, vcc, s0, v4
	v_addc_co_u32_e32 v5, vcc, v5, v27, vcc
	s_waitcnt vmcnt(0)
	v_xor_b32_e32 v31, 0x80000000, v31
	ds_write_b128 v23, v[28:31]
	s_waitcnt lgkmcnt(0)
	s_barrier
	ds_read_b128 v[28:31], v25
	ds_read_b128 v[32:35], v25 offset:16
	ds_read_b128 v[36:39], v25 offset:32
	;; [unrolled: 1-line block ×3, first 2 shown]
	ds_read_b128 v[44:47], v24
	s_waitcnt lgkmcnt(0)
	v_mul_f64 v[48:49], v[30:31], v[46:47]
	v_mul_f64 v[50:51], v[28:29], v[46:47]
	v_fma_f64 v[48:49], v[28:29], v[44:45], -v[48:49]
	v_fma_f64 v[50:51], v[30:31], v[44:45], v[50:51]
	v_add_f64 v[48:49], v[18:19], v[48:49]
	v_add_f64 v[50:51], v[50:51], v[20:21]
	ds_read_b128 v[18:21], v24 offset:256
	s_waitcnt lgkmcnt(0)
	v_mul_f64 v[52:53], v[30:31], v[20:21]
	v_fma_f64 v[52:53], v[28:29], v[18:19], -v[52:53]
	v_mul_f64 v[28:29], v[28:29], v[20:21]
	v_fma_f64 v[28:29], v[30:31], v[18:19], v[28:29]
	v_add_f64 v[30:31], v[6:7], v[52:53]
	v_add_f64 v[28:29], v[28:29], v[8:9]
	ds_read_b128 v[6:9], v25 offset:2048
	s_waitcnt lgkmcnt(0)
	v_mul_f64 v[52:53], v[8:9], v[46:47]
	v_mul_f64 v[46:47], v[6:7], v[46:47]
	v_fma_f64 v[52:53], v[6:7], v[44:45], -v[52:53]
	v_fma_f64 v[44:45], v[8:9], v[44:45], v[46:47]
	v_add_f64 v[46:47], v[14:15], v[52:53]
	v_mul_f64 v[14:15], v[8:9], v[20:21]
	v_add_f64 v[44:45], v[44:45], v[16:17]
	v_fma_f64 v[14:15], v[6:7], v[18:19], -v[14:15]
	v_mul_f64 v[6:7], v[6:7], v[20:21]
	v_fma_f64 v[6:7], v[8:9], v[18:19], v[6:7]
	v_add_f64 v[18:19], v[12:13], v[14:15]
	v_add_f64 v[20:21], v[6:7], v[10:11]
	ds_read_b128 v[6:9], v24 offset:512
	s_waitcnt lgkmcnt(0)
	v_mul_f64 v[10:11], v[34:35], v[8:9]
	v_mul_f64 v[12:13], v[32:33], v[8:9]
	v_fma_f64 v[10:11], v[32:33], v[6:7], -v[10:11]
	v_fma_f64 v[12:13], v[34:35], v[6:7], v[12:13]
	v_add_f64 v[48:49], v[48:49], v[10:11]
	v_add_f64 v[50:51], v[12:13], v[50:51]
	ds_read_b128 v[10:13], v24 offset:768
	s_waitcnt lgkmcnt(0)
	v_mul_f64 v[14:15], v[34:35], v[12:13]
	v_mul_f64 v[16:17], v[32:33], v[12:13]
	v_fma_f64 v[14:15], v[32:33], v[10:11], -v[14:15]
	v_fma_f64 v[16:17], v[34:35], v[10:11], v[16:17]
	v_add_f64 v[30:31], v[30:31], v[14:15]
	v_add_f64 v[28:29], v[16:17], v[28:29]
	ds_read_b128 v[14:17], v25 offset:2064
	s_waitcnt lgkmcnt(0)
	v_mul_f64 v[32:33], v[16:17], v[8:9]
	v_mul_f64 v[8:9], v[14:15], v[8:9]
	v_fma_f64 v[32:33], v[14:15], v[6:7], -v[32:33]
	v_fma_f64 v[6:7], v[16:17], v[6:7], v[8:9]
	v_mul_f64 v[8:9], v[14:15], v[12:13]
	v_add_f64 v[32:33], v[46:47], v[32:33]
	v_add_f64 v[34:35], v[6:7], v[44:45]
	v_mul_f64 v[6:7], v[16:17], v[12:13]
	v_fma_f64 v[8:9], v[16:17], v[10:11], v[8:9]
	v_fma_f64 v[6:7], v[14:15], v[10:11], -v[6:7]
	v_add_f64 v[20:21], v[8:9], v[20:21]
	v_add_f64 v[18:19], v[18:19], v[6:7]
	ds_read_b128 v[6:9], v24 offset:1024
	s_waitcnt lgkmcnt(0)
	v_mul_f64 v[10:11], v[38:39], v[8:9]
	v_mul_f64 v[12:13], v[36:37], v[8:9]
	v_fma_f64 v[10:11], v[36:37], v[6:7], -v[10:11]
	v_fma_f64 v[12:13], v[38:39], v[6:7], v[12:13]
	v_add_f64 v[44:45], v[48:49], v[10:11]
	v_add_f64 v[46:47], v[12:13], v[50:51]
	ds_read_b128 v[10:13], v24 offset:1280
	s_waitcnt lgkmcnt(0)
	v_mul_f64 v[14:15], v[38:39], v[12:13]
	v_mul_f64 v[16:17], v[36:37], v[12:13]
	v_fma_f64 v[14:15], v[36:37], v[10:11], -v[14:15]
	v_fma_f64 v[16:17], v[38:39], v[10:11], v[16:17]
	;; [unrolled: 8-line block ×3, first 2 shown]
	v_mul_f64 v[8:9], v[14:15], v[12:13]
	v_add_f64 v[32:33], v[32:33], v[36:37]
	v_add_f64 v[34:35], v[6:7], v[34:35]
	v_mul_f64 v[6:7], v[16:17], v[12:13]
	v_fma_f64 v[8:9], v[16:17], v[10:11], v[8:9]
	v_fma_f64 v[6:7], v[14:15], v[10:11], -v[6:7]
	v_add_f64 v[20:21], v[8:9], v[20:21]
	v_add_f64 v[18:19], v[18:19], v[6:7]
	ds_read_b128 v[6:9], v24 offset:1536
	s_waitcnt lgkmcnt(0)
	v_mul_f64 v[10:11], v[42:43], v[8:9]
	v_mul_f64 v[12:13], v[40:41], v[8:9]
	v_fma_f64 v[10:11], v[40:41], v[6:7], -v[10:11]
	v_fma_f64 v[12:13], v[42:43], v[6:7], v[12:13]
	v_add_f64 v[36:37], v[44:45], v[10:11]
	v_add_f64 v[38:39], v[12:13], v[46:47]
	ds_read_b128 v[10:13], v24 offset:1792
	s_waitcnt lgkmcnt(0)
	v_mul_f64 v[14:15], v[42:43], v[12:13]
	v_mul_f64 v[16:17], v[40:41], v[12:13]
	v_fma_f64 v[14:15], v[40:41], v[10:11], -v[14:15]
	v_fma_f64 v[16:17], v[42:43], v[10:11], v[16:17]
	;; [unrolled: 8-line block ×3, first 2 shown]
	v_mul_f64 v[8:9], v[14:15], v[12:13]
	v_add_f64 v[32:33], v[32:33], v[40:41]
	v_add_f64 v[34:35], v[6:7], v[34:35]
	v_mul_f64 v[6:7], v[16:17], v[12:13]
	v_fma_f64 v[8:9], v[16:17], v[10:11], v[8:9]
	v_fma_f64 v[6:7], v[14:15], v[10:11], -v[6:7]
	v_add_f64 v[20:21], v[8:9], v[20:21]
	v_add_f64 v[18:19], v[18:19], v[6:7]
	ds_read_b128 v[6:9], v25 offset:64
	ds_read_b128 v[10:13], v24 offset:2048
	s_waitcnt lgkmcnt(0)
	v_mul_f64 v[14:15], v[8:9], v[12:13]
	v_mul_f64 v[16:17], v[6:7], v[12:13]
	v_fma_f64 v[14:15], v[6:7], v[10:11], -v[14:15]
	v_fma_f64 v[16:17], v[8:9], v[10:11], v[16:17]
	v_add_f64 v[36:37], v[36:37], v[14:15]
	v_add_f64 v[38:39], v[16:17], v[38:39]
	ds_read_b128 v[14:17], v24 offset:2304
	s_waitcnt lgkmcnt(0)
	v_mul_f64 v[40:41], v[8:9], v[16:17]
	v_fma_f64 v[40:41], v[6:7], v[14:15], -v[40:41]
	v_mul_f64 v[6:7], v[6:7], v[16:17]
	v_add_f64 v[30:31], v[30:31], v[40:41]
	v_fma_f64 v[6:7], v[8:9], v[14:15], v[6:7]
	v_add_f64 v[28:29], v[6:7], v[28:29]
	ds_read_b128 v[6:9], v25 offset:2112
	s_waitcnt lgkmcnt(0)
	v_mul_f64 v[40:41], v[8:9], v[12:13]
	v_mul_f64 v[12:13], v[6:7], v[12:13]
	v_fma_f64 v[40:41], v[6:7], v[10:11], -v[40:41]
	v_fma_f64 v[10:11], v[8:9], v[10:11], v[12:13]
	v_add_f64 v[32:33], v[32:33], v[40:41]
	v_add_f64 v[34:35], v[10:11], v[34:35]
	v_mul_f64 v[10:11], v[8:9], v[16:17]
	v_fma_f64 v[10:11], v[6:7], v[14:15], -v[10:11]
	v_mul_f64 v[6:7], v[6:7], v[16:17]
	v_add_f64 v[18:19], v[18:19], v[10:11]
	v_fma_f64 v[6:7], v[8:9], v[14:15], v[6:7]
	v_add_f64 v[20:21], v[6:7], v[20:21]
	ds_read_b128 v[6:9], v25 offset:80
	ds_read_b128 v[10:13], v24 offset:2560
	s_waitcnt lgkmcnt(0)
	v_mul_f64 v[14:15], v[8:9], v[12:13]
	v_mul_f64 v[16:17], v[6:7], v[12:13]
	v_fma_f64 v[14:15], v[6:7], v[10:11], -v[14:15]
	v_fma_f64 v[16:17], v[8:9], v[10:11], v[16:17]
	v_add_f64 v[36:37], v[36:37], v[14:15]
	v_add_f64 v[38:39], v[16:17], v[38:39]
	ds_read_b128 v[14:17], v24 offset:2816
	s_waitcnt lgkmcnt(0)
	v_mul_f64 v[40:41], v[8:9], v[16:17]
	v_fma_f64 v[40:41], v[6:7], v[14:15], -v[40:41]
	v_mul_f64 v[6:7], v[6:7], v[16:17]
	v_add_f64 v[30:31], v[30:31], v[40:41]
	v_fma_f64 v[6:7], v[8:9], v[14:15], v[6:7]
	v_add_f64 v[28:29], v[6:7], v[28:29]
	ds_read_b128 v[6:9], v25 offset:2128
	s_waitcnt lgkmcnt(0)
	v_mul_f64 v[40:41], v[8:9], v[12:13]
	v_mul_f64 v[12:13], v[6:7], v[12:13]
	v_fma_f64 v[40:41], v[6:7], v[10:11], -v[40:41]
	v_fma_f64 v[10:11], v[8:9], v[10:11], v[12:13]
	v_add_f64 v[32:33], v[32:33], v[40:41]
	v_add_f64 v[34:35], v[10:11], v[34:35]
	v_mul_f64 v[10:11], v[8:9], v[16:17]
	v_fma_f64 v[10:11], v[6:7], v[14:15], -v[10:11]
	v_mul_f64 v[6:7], v[6:7], v[16:17]
	v_add_f64 v[18:19], v[18:19], v[10:11]
	v_fma_f64 v[6:7], v[8:9], v[14:15], v[6:7]
	;; [unrolled: 31-line block ×3, first 2 shown]
	v_add_f64 v[50:51], v[6:7], v[20:21]
	ds_read_b128 v[6:9], v25 offset:112
	ds_read_b128 v[10:13], v24 offset:3584
	;; [unrolled: 1-line block ×4, first 2 shown]
	s_waitcnt lgkmcnt(0)
	s_barrier
	v_mul_f64 v[14:15], v[8:9], v[12:13]
	v_mul_f64 v[16:17], v[6:7], v[12:13]
	v_fma_f64 v[14:15], v[6:7], v[10:11], -v[14:15]
	v_fma_f64 v[16:17], v[8:9], v[10:11], v[16:17]
	v_add_f64 v[18:19], v[36:37], v[14:15]
	v_mul_f64 v[14:15], v[8:9], v[30:31]
	v_add_f64 v[20:21], v[16:17], v[38:39]
	v_fma_f64 v[14:15], v[6:7], v[28:29], -v[14:15]
	v_mul_f64 v[6:7], v[6:7], v[30:31]
	v_fma_f64 v[8:9], v[8:9], v[28:29], v[6:7]
	v_add_f64 v[6:7], v[40:41], v[14:15]
	v_mul_f64 v[14:15], v[34:35], v[12:13]
	v_mul_f64 v[12:13], v[32:33], v[12:13]
	v_add_f64 v[8:9], v[8:9], v[42:43]
	v_fma_f64 v[14:15], v[32:33], v[10:11], -v[14:15]
	v_fma_f64 v[10:11], v[34:35], v[10:11], v[12:13]
	v_mul_f64 v[12:13], v[32:33], v[30:31]
	v_add_f64 v[14:15], v[44:45], v[14:15]
	v_add_f64 v[16:17], v[10:11], v[46:47]
	v_mul_f64 v[10:11], v[34:35], v[30:31]
	v_fma_f64 v[10:11], v[32:33], v[28:29], -v[10:11]
	v_fma_f64 v[28:29], v[34:35], v[28:29], v[12:13]
	v_add_f64 v[12:13], v[48:49], v[10:11]
	v_add_f64 v[10:11], v[28:29], v[50:51]
	s_cbranch_scc0 .LBB389_2
	s_branch .LBB389_4
.LBB389_3:
	v_mov_b32_e32 v18, 0
	v_mov_b32_e32 v20, 0
	;; [unrolled: 1-line block ×16, first 2 shown]
.LBB389_4:
	s_load_dwordx2 s[0:1], s[4:5], 0x48
	s_load_dword s6, s[4:5], 0x40
	v_add_u32_e32 v4, s16, v1
	v_add_u32_e32 v0, s9, v0
	s_waitcnt lgkmcnt(0)
	s_mul_i32 s1, s1, s8
	s_mul_hi_u32 s4, s0, s8
	s_add_i32 s1, s4, s1
	v_mad_i64_i32 v[1:2], s[4:5], v4, s6, 0
	s_mul_i32 s0, s0, s8
	s_lshl_b64 s[0:1], s[0:1], 4
	s_add_u32 s7, s2, s0
	v_lshlrev_b64 v[1:2], 4, v[1:2]
	s_addc_u32 s8, s3, s1
	v_mov_b32_e32 v3, s8
	v_add_co_u32_e32 v5, vcc, s7, v1
	v_addc_co_u32_e32 v22, vcc, v3, v2, vcc
	v_cmp_le_i32_e64 s[0:1], v4, v0
	v_cmp_gt_i32_e32 vcc, s10, v0
	s_and_b64 s[0:1], s[0:1], vcc
	s_and_saveexec_b64 s[2:3], s[0:1]
	s_cbranch_execz .LBB389_6
; %bb.5:
	v_ashrrev_i32_e32 v1, 31, v0
	v_lshlrev_b64 v[1:2], 4, v[0:1]
	v_add_co_u32_e64 v1, s[0:1], v5, v1
	v_addc_co_u32_e64 v2, s[0:1], v22, v2, s[0:1]
	global_load_dwordx4 v[23:26], v[1:2], off
	v_cmp_ne_u32_e64 s[0:1], v4, v0
	s_waitcnt vmcnt(0)
	v_add_f64 v[20:21], v[20:21], v[25:26]
	v_add_f64 v[18:19], v[18:19], v[23:24]
	v_cndmask_b32_e64 v21, 0, v21, s[0:1]
	v_cndmask_b32_e64 v20, 0, v20, s[0:1]
	global_store_dwordx4 v[1:2], v[18:21], off
.LBB389_6:
	s_or_b64 exec, exec, s[2:3]
	v_add_u32_e32 v2, 16, v0
	v_cmp_le_i32_e64 s[2:3], v4, v2
	v_cmp_gt_i32_e64 s[0:1], s10, v2
	s_and_b64 s[2:3], s[2:3], s[0:1]
	s_and_saveexec_b64 s[4:5], s[2:3]
	s_cbranch_execz .LBB389_8
; %bb.7:
	v_ashrrev_i32_e32 v3, 31, v2
	v_lshlrev_b64 v[18:19], 4, v[2:3]
	v_add_co_u32_e64 v23, s[2:3], v5, v18
	v_addc_co_u32_e64 v24, s[2:3], v22, v19, s[2:3]
	global_load_dwordx4 v[18:21], v[23:24], off
	v_cmp_ne_u32_e64 s[2:3], v4, v2
	s_waitcnt vmcnt(0)
	v_add_f64 v[20:21], v[8:9], v[20:21]
	v_add_f64 v[5:6], v[6:7], v[18:19]
	v_cndmask_b32_e64 v8, 0, v21, s[2:3]
	v_cndmask_b32_e64 v7, 0, v20, s[2:3]
	global_store_dwordx4 v[23:24], v[5:8], off
.LBB389_8:
	s_or_b64 exec, exec, s[4:5]
	v_add_u32_e32 v3, 16, v4
	v_mad_i64_i32 v[5:6], s[2:3], v3, s6, 0
	v_mov_b32_e32 v1, s8
	v_lshlrev_b64 v[5:6], 4, v[5:6]
	v_add_co_u32_e64 v5, s[2:3], s7, v5
	v_addc_co_u32_e64 v6, s[2:3], v1, v6, s[2:3]
	v_cmp_le_i32_e64 s[2:3], v3, v0
	s_and_b64 s[4:5], s[2:3], vcc
	s_and_saveexec_b64 s[2:3], s[4:5]
	s_cbranch_execz .LBB389_10
; %bb.9:
	v_ashrrev_i32_e32 v1, 31, v0
	v_lshlrev_b64 v[7:8], 4, v[0:1]
	v_add_co_u32_e32 v7, vcc, v5, v7
	v_addc_co_u32_e32 v8, vcc, v6, v8, vcc
	global_load_dwordx4 v[18:21], v[7:8], off
	v_cmp_ne_u32_e32 vcc, v3, v0
	s_waitcnt vmcnt(0)
	v_add_f64 v[16:17], v[16:17], v[20:21]
	v_add_f64 v[14:15], v[14:15], v[18:19]
	v_cndmask_b32_e32 v17, 0, v17, vcc
	v_cndmask_b32_e32 v16, 0, v16, vcc
	global_store_dwordx4 v[7:8], v[14:17], off
.LBB389_10:
	s_or_b64 exec, exec, s[2:3]
	v_cmp_le_i32_e32 vcc, v3, v2
	s_and_b64 s[0:1], vcc, s[0:1]
	s_and_saveexec_b64 s[2:3], s[0:1]
	s_cbranch_execz .LBB389_12
; %bb.11:
	v_ashrrev_i32_e32 v3, 31, v2
	v_lshlrev_b64 v[1:2], 4, v[2:3]
	v_add_co_u32_e32 v14, vcc, v5, v1
	v_addc_co_u32_e32 v15, vcc, v6, v2, vcc
	global_load_dwordx4 v[5:8], v[14:15], off
	v_cmp_ne_u32_e32 vcc, v4, v0
	s_waitcnt vmcnt(0)
	v_add_f64 v[7:8], v[10:11], v[7:8]
	v_add_f64 v[1:2], v[12:13], v[5:6]
	v_cndmask_b32_e32 v4, 0, v8, vcc
	v_cndmask_b32_e32 v3, 0, v7, vcc
	global_store_dwordx4 v[14:15], v[1:4], off
.LBB389_12:
	s_endpgm
	.section	.rodata,"a",@progbits
	.p2align	6, 0x0
	.amdhsa_kernel _ZL37rocblas_syrkx_herkx_restricted_kernelIi19rocblas_complex_numIdELi16ELi32ELi8ELi1ELi1ELb1ELc78ELc76EKS1_S1_EviT_PT9_S3_lS5_S3_lPT10_S3_li
		.amdhsa_group_segment_fixed_size 8192
		.amdhsa_private_segment_fixed_size 0
		.amdhsa_kernarg_size 84
		.amdhsa_user_sgpr_count 6
		.amdhsa_user_sgpr_private_segment_buffer 1
		.amdhsa_user_sgpr_dispatch_ptr 0
		.amdhsa_user_sgpr_queue_ptr 0
		.amdhsa_user_sgpr_kernarg_segment_ptr 1
		.amdhsa_user_sgpr_dispatch_id 0
		.amdhsa_user_sgpr_flat_scratch_init 0
		.amdhsa_user_sgpr_private_segment_size 0
		.amdhsa_uses_dynamic_stack 0
		.amdhsa_system_sgpr_private_segment_wavefront_offset 0
		.amdhsa_system_sgpr_workgroup_id_x 1
		.amdhsa_system_sgpr_workgroup_id_y 1
		.amdhsa_system_sgpr_workgroup_id_z 1
		.amdhsa_system_sgpr_workgroup_info 0
		.amdhsa_system_vgpr_workitem_id 1
		.amdhsa_next_free_vgpr 54
		.amdhsa_next_free_sgpr 61
		.amdhsa_reserve_vcc 1
		.amdhsa_reserve_flat_scratch 0
		.amdhsa_float_round_mode_32 0
		.amdhsa_float_round_mode_16_64 0
		.amdhsa_float_denorm_mode_32 3
		.amdhsa_float_denorm_mode_16_64 3
		.amdhsa_dx10_clamp 1
		.amdhsa_ieee_mode 1
		.amdhsa_fp16_overflow 0
		.amdhsa_exception_fp_ieee_invalid_op 0
		.amdhsa_exception_fp_denorm_src 0
		.amdhsa_exception_fp_ieee_div_zero 0
		.amdhsa_exception_fp_ieee_overflow 0
		.amdhsa_exception_fp_ieee_underflow 0
		.amdhsa_exception_fp_ieee_inexact 0
		.amdhsa_exception_int_div_zero 0
	.end_amdhsa_kernel
	.section	.text._ZL37rocblas_syrkx_herkx_restricted_kernelIi19rocblas_complex_numIdELi16ELi32ELi8ELi1ELi1ELb1ELc78ELc76EKS1_S1_EviT_PT9_S3_lS5_S3_lPT10_S3_li,"axG",@progbits,_ZL37rocblas_syrkx_herkx_restricted_kernelIi19rocblas_complex_numIdELi16ELi32ELi8ELi1ELi1ELb1ELc78ELc76EKS1_S1_EviT_PT9_S3_lS5_S3_lPT10_S3_li,comdat
.Lfunc_end389:
	.size	_ZL37rocblas_syrkx_herkx_restricted_kernelIi19rocblas_complex_numIdELi16ELi32ELi8ELi1ELi1ELb1ELc78ELc76EKS1_S1_EviT_PT9_S3_lS5_S3_lPT10_S3_li, .Lfunc_end389-_ZL37rocblas_syrkx_herkx_restricted_kernelIi19rocblas_complex_numIdELi16ELi32ELi8ELi1ELi1ELb1ELc78ELc76EKS1_S1_EviT_PT9_S3_lS5_S3_lPT10_S3_li
                                        ; -- End function
	.set _ZL37rocblas_syrkx_herkx_restricted_kernelIi19rocblas_complex_numIdELi16ELi32ELi8ELi1ELi1ELb1ELc78ELc76EKS1_S1_EviT_PT9_S3_lS5_S3_lPT10_S3_li.num_vgpr, 54
	.set _ZL37rocblas_syrkx_herkx_restricted_kernelIi19rocblas_complex_numIdELi16ELi32ELi8ELi1ELi1ELb1ELc78ELc76EKS1_S1_EviT_PT9_S3_lS5_S3_lPT10_S3_li.num_agpr, 0
	.set _ZL37rocblas_syrkx_herkx_restricted_kernelIi19rocblas_complex_numIdELi16ELi32ELi8ELi1ELi1ELb1ELc78ELc76EKS1_S1_EviT_PT9_S3_lS5_S3_lPT10_S3_li.numbered_sgpr, 25
	.set _ZL37rocblas_syrkx_herkx_restricted_kernelIi19rocblas_complex_numIdELi16ELi32ELi8ELi1ELi1ELb1ELc78ELc76EKS1_S1_EviT_PT9_S3_lS5_S3_lPT10_S3_li.num_named_barrier, 0
	.set _ZL37rocblas_syrkx_herkx_restricted_kernelIi19rocblas_complex_numIdELi16ELi32ELi8ELi1ELi1ELb1ELc78ELc76EKS1_S1_EviT_PT9_S3_lS5_S3_lPT10_S3_li.private_seg_size, 0
	.set _ZL37rocblas_syrkx_herkx_restricted_kernelIi19rocblas_complex_numIdELi16ELi32ELi8ELi1ELi1ELb1ELc78ELc76EKS1_S1_EviT_PT9_S3_lS5_S3_lPT10_S3_li.uses_vcc, 1
	.set _ZL37rocblas_syrkx_herkx_restricted_kernelIi19rocblas_complex_numIdELi16ELi32ELi8ELi1ELi1ELb1ELc78ELc76EKS1_S1_EviT_PT9_S3_lS5_S3_lPT10_S3_li.uses_flat_scratch, 0
	.set _ZL37rocblas_syrkx_herkx_restricted_kernelIi19rocblas_complex_numIdELi16ELi32ELi8ELi1ELi1ELb1ELc78ELc76EKS1_S1_EviT_PT9_S3_lS5_S3_lPT10_S3_li.has_dyn_sized_stack, 0
	.set _ZL37rocblas_syrkx_herkx_restricted_kernelIi19rocblas_complex_numIdELi16ELi32ELi8ELi1ELi1ELb1ELc78ELc76EKS1_S1_EviT_PT9_S3_lS5_S3_lPT10_S3_li.has_recursion, 0
	.set _ZL37rocblas_syrkx_herkx_restricted_kernelIi19rocblas_complex_numIdELi16ELi32ELi8ELi1ELi1ELb1ELc78ELc76EKS1_S1_EviT_PT9_S3_lS5_S3_lPT10_S3_li.has_indirect_call, 0
	.section	.AMDGPU.csdata,"",@progbits
; Kernel info:
; codeLenInByte = 2964
; TotalNumSgprs: 29
; NumVgprs: 54
; ScratchSize: 0
; MemoryBound: 0
; FloatMode: 240
; IeeeMode: 1
; LDSByteSize: 8192 bytes/workgroup (compile time only)
; SGPRBlocks: 8
; VGPRBlocks: 13
; NumSGPRsForWavesPerEU: 65
; NumVGPRsForWavesPerEU: 54
; Occupancy: 4
; WaveLimiterHint : 0
; COMPUTE_PGM_RSRC2:SCRATCH_EN: 0
; COMPUTE_PGM_RSRC2:USER_SGPR: 6
; COMPUTE_PGM_RSRC2:TRAP_HANDLER: 0
; COMPUTE_PGM_RSRC2:TGID_X_EN: 1
; COMPUTE_PGM_RSRC2:TGID_Y_EN: 1
; COMPUTE_PGM_RSRC2:TGID_Z_EN: 1
; COMPUTE_PGM_RSRC2:TIDIG_COMP_CNT: 1
	.section	.text._ZL37rocblas_syrkx_herkx_restricted_kernelIi19rocblas_complex_numIdELi16ELi32ELi8ELi1ELi1ELb1ELc84ELc85EKS1_S1_EviT_PT9_S3_lS5_S3_lPT10_S3_li,"axG",@progbits,_ZL37rocblas_syrkx_herkx_restricted_kernelIi19rocblas_complex_numIdELi16ELi32ELi8ELi1ELi1ELb1ELc84ELc85EKS1_S1_EviT_PT9_S3_lS5_S3_lPT10_S3_li,comdat
	.globl	_ZL37rocblas_syrkx_herkx_restricted_kernelIi19rocblas_complex_numIdELi16ELi32ELi8ELi1ELi1ELb1ELc84ELc85EKS1_S1_EviT_PT9_S3_lS5_S3_lPT10_S3_li ; -- Begin function _ZL37rocblas_syrkx_herkx_restricted_kernelIi19rocblas_complex_numIdELi16ELi32ELi8ELi1ELi1ELb1ELc84ELc85EKS1_S1_EviT_PT9_S3_lS5_S3_lPT10_S3_li
	.p2align	8
	.type	_ZL37rocblas_syrkx_herkx_restricted_kernelIi19rocblas_complex_numIdELi16ELi32ELi8ELi1ELi1ELb1ELc84ELc85EKS1_S1_EviT_PT9_S3_lS5_S3_lPT10_S3_li,@function
_ZL37rocblas_syrkx_herkx_restricted_kernelIi19rocblas_complex_numIdELi16ELi32ELi8ELi1ELi1ELb1ELc84ELc85EKS1_S1_EviT_PT9_S3_lS5_S3_lPT10_S3_li: ; @_ZL37rocblas_syrkx_herkx_restricted_kernelIi19rocblas_complex_numIdELi16ELi32ELi8ELi1ELi1ELb1ELc84ELc85EKS1_S1_EviT_PT9_S3_lS5_S3_lPT10_S3_li
; %bb.0:
	s_load_dwordx2 s[10:11], s[4:5], 0x0
	s_load_dwordx4 s[0:3], s[4:5], 0x30
	s_lshl_b32 s6, s6, 5
	s_lshl_b32 s7, s7, 5
	s_mov_b32 s9, 0
	s_waitcnt lgkmcnt(0)
	s_cmp_lt_i32 s11, 1
	s_cbranch_scc1 .LBB390_3
; %bb.1:
	s_load_dwordx2 s[16:17], s[4:5], 0x8
	s_load_dword s20, s[4:5], 0x10
	s_load_dwordx4 s[12:15], s[4:5], 0x18
	s_load_dword s18, s[4:5], 0x28
	v_lshl_add_u32 v6, v1, 4, v0
	v_lshrrev_b32_e32 v8, 3, v6
	v_add_u32_e32 v4, s7, v8
	v_and_b32_e32 v2, 7, v0
	v_mov_b32_e32 v3, 0
	s_waitcnt lgkmcnt(0)
	v_mad_i64_i32 v[4:5], s[18:19], s18, v4, v[2:3]
	v_lshlrev_b32_e32 v2, 4, v2
	v_lshl_or_b32 v2, v8, 7, v2
	v_and_b32_e32 v9, 31, v6
	v_add_u32_e32 v23, 0x1000, v2
	v_mov_b32_e32 v2, 0x1000
	v_lshrrev_b32_e32 v6, 5, v6
	v_mov_b32_e32 v7, v3
	v_lshlrev_b32_e32 v3, 4, v9
	v_lshl_add_u32 v25, v1, 7, v2
	v_add_u32_e32 v2, s6, v9
	v_lshl_or_b32 v22, v6, 9, v3
	v_mad_i64_i32 v[2:3], s[18:19], s20, v2, v[6:7]
	s_mul_i32 s13, s13, s8
	s_mul_hi_u32 s21, s12, s8
	s_add_i32 s13, s21, s13
	s_mul_i32 s12, s12, s8
	s_lshl_b64 s[12:13], s[12:13], 4
	v_lshlrev_b64 v[2:3], 4, v[2:3]
	s_add_u32 s12, s16, s12
	s_addc_u32 s13, s17, s13
	v_add_co_u32_e32 v2, vcc, s12, v2
	s_mul_i32 s1, s1, s8
	s_mul_hi_u32 s12, s0, s8
	v_mov_b32_e32 v6, s13
	s_add_i32 s1, s12, s1
	s_mul_i32 s0, s0, s8
	v_addc_co_u32_e32 v3, vcc, v6, v3, vcc
	s_lshl_b64 s[0:1], s[0:1], 4
	v_add_co_u32_e32 v2, vcc, 8, v2
	v_lshlrev_b64 v[4:5], 4, v[4:5]
	s_add_u32 s0, s14, s0
	v_addc_co_u32_e32 v3, vcc, 0, v3, vcc
	s_addc_u32 s1, s15, s1
	v_mov_b32_e32 v6, s1
	v_add_co_u32_e32 v4, vcc, s0, v4
	v_addc_co_u32_e32 v5, vcc, v6, v5, vcc
	v_mov_b32_e32 v10, 0
	v_mov_b32_e32 v12, 0
	;; [unrolled: 1-line block ×8, first 2 shown]
	v_add_co_u32_e32 v4, vcc, 8, v4
	v_lshlrev_b32_e32 v24, 4, v0
	v_mov_b32_e32 v11, 0
	v_mov_b32_e32 v13, 0
	;; [unrolled: 1-line block ×8, first 2 shown]
	v_addc_co_u32_e32 v5, vcc, 0, v5, vcc
.LBB390_2:                              ; =>This Inner Loop Header: Depth=1
	global_load_dwordx4 v[26:29], v[2:3], off offset:-8
	v_add_co_u32_e32 v2, vcc, 0x80, v2
	v_addc_co_u32_e32 v3, vcc, 0, v3, vcc
	s_add_i32 s9, s9, 8
	s_cmp_ge_i32 s9, s11
	s_waitcnt vmcnt(0)
	ds_write_b128 v22, v[26:29]
	global_load_dwordx4 v[26:29], v[4:5], off offset:-8
	v_add_co_u32_e32 v4, vcc, 0x80, v4
	v_addc_co_u32_e32 v5, vcc, 0, v5, vcc
	s_waitcnt vmcnt(0)
	ds_write_b128 v23, v[26:29]
	s_waitcnt lgkmcnt(0)
	s_barrier
	ds_read_b128 v[26:29], v25
	ds_read_b128 v[30:33], v25 offset:16
	ds_read_b128 v[34:37], v25 offset:32
	;; [unrolled: 1-line block ×3, first 2 shown]
	ds_read_b128 v[42:45], v24
	s_waitcnt lgkmcnt(0)
	v_mul_f64 v[46:47], v[28:29], v[44:45]
	v_mul_f64 v[48:49], v[26:27], v[44:45]
	v_fma_f64 v[46:47], v[26:27], v[42:43], -v[46:47]
	v_fma_f64 v[48:49], v[28:29], v[42:43], v[48:49]
	v_add_f64 v[14:15], v[14:15], v[46:47]
	v_add_f64 v[20:21], v[48:49], v[20:21]
	ds_read_b128 v[46:49], v24 offset:256
	s_waitcnt lgkmcnt(0)
	v_mul_f64 v[50:51], v[28:29], v[48:49]
	v_fma_f64 v[50:51], v[26:27], v[46:47], -v[50:51]
	v_mul_f64 v[26:27], v[26:27], v[48:49]
	v_fma_f64 v[26:27], v[28:29], v[46:47], v[26:27]
	v_add_f64 v[28:29], v[6:7], v[50:51]
	v_add_f64 v[26:27], v[26:27], v[8:9]
	ds_read_b128 v[6:9], v25 offset:2048
	s_waitcnt lgkmcnt(0)
	v_mul_f64 v[50:51], v[8:9], v[44:45]
	v_mul_f64 v[44:45], v[6:7], v[44:45]
	v_fma_f64 v[50:51], v[6:7], v[42:43], -v[50:51]
	v_fma_f64 v[42:43], v[8:9], v[42:43], v[44:45]
	v_add_f64 v[44:45], v[16:17], v[50:51]
	v_mul_f64 v[16:17], v[8:9], v[48:49]
	v_add_f64 v[18:19], v[42:43], v[18:19]
	v_fma_f64 v[16:17], v[6:7], v[46:47], -v[16:17]
	v_mul_f64 v[6:7], v[6:7], v[48:49]
	v_add_f64 v[42:43], v[12:13], v[16:17]
	v_fma_f64 v[6:7], v[8:9], v[46:47], v[6:7]
	v_add_f64 v[46:47], v[6:7], v[10:11]
	ds_read_b128 v[6:9], v24 offset:512
	s_waitcnt lgkmcnt(0)
	v_mul_f64 v[10:11], v[32:33], v[8:9]
	v_mul_f64 v[12:13], v[30:31], v[8:9]
	v_fma_f64 v[10:11], v[30:31], v[6:7], -v[10:11]
	v_fma_f64 v[12:13], v[32:33], v[6:7], v[12:13]
	v_add_f64 v[48:49], v[14:15], v[10:11]
	v_add_f64 v[20:21], v[12:13], v[20:21]
	ds_read_b128 v[10:13], v24 offset:768
	s_waitcnt lgkmcnt(0)
	v_mul_f64 v[14:15], v[32:33], v[12:13]
	v_mul_f64 v[16:17], v[30:31], v[12:13]
	v_fma_f64 v[14:15], v[30:31], v[10:11], -v[14:15]
	v_fma_f64 v[16:17], v[32:33], v[10:11], v[16:17]
	v_add_f64 v[28:29], v[28:29], v[14:15]
	v_add_f64 v[26:27], v[16:17], v[26:27]
	ds_read_b128 v[14:17], v25 offset:2064
	s_waitcnt lgkmcnt(0)
	v_mul_f64 v[30:31], v[16:17], v[8:9]
	v_mul_f64 v[8:9], v[14:15], v[8:9]
	v_fma_f64 v[30:31], v[14:15], v[6:7], -v[30:31]
	v_fma_f64 v[6:7], v[16:17], v[6:7], v[8:9]
	v_mul_f64 v[8:9], v[14:15], v[12:13]
	v_add_f64 v[30:31], v[44:45], v[30:31]
	v_add_f64 v[18:19], v[6:7], v[18:19]
	v_mul_f64 v[6:7], v[16:17], v[12:13]
	v_fma_f64 v[8:9], v[16:17], v[10:11], v[8:9]
	v_fma_f64 v[6:7], v[14:15], v[10:11], -v[6:7]
	v_add_f64 v[32:33], v[42:43], v[6:7]
	v_add_f64 v[42:43], v[8:9], v[46:47]
	ds_read_b128 v[6:9], v24 offset:1024
	s_waitcnt lgkmcnt(0)
	v_mul_f64 v[10:11], v[36:37], v[8:9]
	v_mul_f64 v[12:13], v[34:35], v[8:9]
	v_fma_f64 v[10:11], v[34:35], v[6:7], -v[10:11]
	v_fma_f64 v[12:13], v[36:37], v[6:7], v[12:13]
	v_add_f64 v[44:45], v[48:49], v[10:11]
	v_add_f64 v[20:21], v[12:13], v[20:21]
	ds_read_b128 v[10:13], v24 offset:1280
	s_waitcnt lgkmcnt(0)
	v_mul_f64 v[14:15], v[36:37], v[12:13]
	v_mul_f64 v[16:17], v[34:35], v[12:13]
	v_fma_f64 v[14:15], v[34:35], v[10:11], -v[14:15]
	v_fma_f64 v[16:17], v[36:37], v[10:11], v[16:17]
	v_add_f64 v[28:29], v[28:29], v[14:15]
	v_add_f64 v[26:27], v[16:17], v[26:27]
	ds_read_b128 v[14:17], v25 offset:2080
	s_waitcnt lgkmcnt(0)
	v_mul_f64 v[34:35], v[16:17], v[8:9]
	v_mul_f64 v[8:9], v[14:15], v[8:9]
	v_fma_f64 v[34:35], v[14:15], v[6:7], -v[34:35]
	v_fma_f64 v[6:7], v[16:17], v[6:7], v[8:9]
	v_mul_f64 v[8:9], v[14:15], v[12:13]
	v_add_f64 v[30:31], v[30:31], v[34:35]
	v_add_f64 v[18:19], v[6:7], v[18:19]
	v_mul_f64 v[6:7], v[16:17], v[12:13]
	v_fma_f64 v[8:9], v[16:17], v[10:11], v[8:9]
	v_fma_f64 v[6:7], v[14:15], v[10:11], -v[6:7]
	v_add_f64 v[34:35], v[8:9], v[42:43]
	;; [unrolled: 30-line block ×3, first 2 shown]
	v_add_f64 v[32:33], v[32:33], v[6:7]
	ds_read_b128 v[6:9], v25 offset:64
	ds_read_b128 v[10:13], v24 offset:2048
	s_waitcnt lgkmcnt(0)
	v_mul_f64 v[14:15], v[8:9], v[12:13]
	v_mul_f64 v[16:17], v[6:7], v[12:13]
	v_fma_f64 v[14:15], v[6:7], v[10:11], -v[14:15]
	v_fma_f64 v[16:17], v[8:9], v[10:11], v[16:17]
	v_add_f64 v[36:37], v[36:37], v[14:15]
	v_add_f64 v[20:21], v[16:17], v[20:21]
	ds_read_b128 v[14:17], v24 offset:2304
	s_waitcnt lgkmcnt(0)
	v_mul_f64 v[38:39], v[8:9], v[16:17]
	v_fma_f64 v[38:39], v[6:7], v[14:15], -v[38:39]
	v_mul_f64 v[6:7], v[6:7], v[16:17]
	v_add_f64 v[28:29], v[28:29], v[38:39]
	v_fma_f64 v[6:7], v[8:9], v[14:15], v[6:7]
	v_add_f64 v[26:27], v[6:7], v[26:27]
	ds_read_b128 v[6:9], v25 offset:2112
	s_waitcnt lgkmcnt(0)
	v_mul_f64 v[38:39], v[8:9], v[12:13]
	v_mul_f64 v[12:13], v[6:7], v[12:13]
	v_fma_f64 v[38:39], v[6:7], v[10:11], -v[38:39]
	v_fma_f64 v[10:11], v[8:9], v[10:11], v[12:13]
	v_add_f64 v[30:31], v[30:31], v[38:39]
	v_add_f64 v[18:19], v[10:11], v[18:19]
	v_mul_f64 v[10:11], v[8:9], v[16:17]
	v_fma_f64 v[10:11], v[6:7], v[14:15], -v[10:11]
	v_mul_f64 v[6:7], v[6:7], v[16:17]
	v_add_f64 v[32:33], v[32:33], v[10:11]
	v_fma_f64 v[6:7], v[8:9], v[14:15], v[6:7]
	v_add_f64 v[34:35], v[6:7], v[34:35]
	ds_read_b128 v[6:9], v25 offset:80
	ds_read_b128 v[10:13], v24 offset:2560
	s_waitcnt lgkmcnt(0)
	v_mul_f64 v[14:15], v[8:9], v[12:13]
	v_mul_f64 v[16:17], v[6:7], v[12:13]
	v_fma_f64 v[14:15], v[6:7], v[10:11], -v[14:15]
	v_fma_f64 v[16:17], v[8:9], v[10:11], v[16:17]
	v_add_f64 v[36:37], v[36:37], v[14:15]
	v_add_f64 v[20:21], v[16:17], v[20:21]
	ds_read_b128 v[14:17], v24 offset:2816
	s_waitcnt lgkmcnt(0)
	v_mul_f64 v[38:39], v[8:9], v[16:17]
	v_fma_f64 v[38:39], v[6:7], v[14:15], -v[38:39]
	v_mul_f64 v[6:7], v[6:7], v[16:17]
	v_add_f64 v[28:29], v[28:29], v[38:39]
	v_fma_f64 v[6:7], v[8:9], v[14:15], v[6:7]
	v_add_f64 v[26:27], v[6:7], v[26:27]
	ds_read_b128 v[6:9], v25 offset:2128
	s_waitcnt lgkmcnt(0)
	v_mul_f64 v[38:39], v[8:9], v[12:13]
	v_mul_f64 v[12:13], v[6:7], v[12:13]
	v_fma_f64 v[38:39], v[6:7], v[10:11], -v[38:39]
	v_fma_f64 v[10:11], v[8:9], v[10:11], v[12:13]
	v_add_f64 v[30:31], v[30:31], v[38:39]
	v_add_f64 v[18:19], v[10:11], v[18:19]
	v_mul_f64 v[10:11], v[8:9], v[16:17]
	v_fma_f64 v[10:11], v[6:7], v[14:15], -v[10:11]
	v_mul_f64 v[6:7], v[6:7], v[16:17]
	v_add_f64 v[32:33], v[32:33], v[10:11]
	v_fma_f64 v[6:7], v[8:9], v[14:15], v[6:7]
	v_add_f64 v[34:35], v[6:7], v[34:35]
	ds_read_b128 v[6:9], v25 offset:96
	ds_read_b128 v[10:13], v24 offset:3072
	s_waitcnt lgkmcnt(0)
	v_mul_f64 v[14:15], v[8:9], v[12:13]
	v_mul_f64 v[16:17], v[6:7], v[12:13]
	v_fma_f64 v[14:15], v[6:7], v[10:11], -v[14:15]
	v_fma_f64 v[16:17], v[8:9], v[10:11], v[16:17]
	v_add_f64 v[36:37], v[36:37], v[14:15]
	v_add_f64 v[20:21], v[16:17], v[20:21]
	ds_read_b128 v[14:17], v24 offset:3328
	s_waitcnt lgkmcnt(0)
	v_mul_f64 v[38:39], v[8:9], v[16:17]
	v_fma_f64 v[38:39], v[6:7], v[14:15], -v[38:39]
	v_mul_f64 v[6:7], v[6:7], v[16:17]
	v_add_f64 v[38:39], v[28:29], v[38:39]
	v_fma_f64 v[6:7], v[8:9], v[14:15], v[6:7]
	v_add_f64 v[40:41], v[6:7], v[26:27]
	ds_read_b128 v[6:9], v25 offset:2144
	s_waitcnt lgkmcnt(0)
	v_mul_f64 v[26:27], v[8:9], v[12:13]
	v_mul_f64 v[12:13], v[6:7], v[12:13]
	v_fma_f64 v[26:27], v[6:7], v[10:11], -v[26:27]
	v_fma_f64 v[10:11], v[8:9], v[10:11], v[12:13]
	v_add_f64 v[42:43], v[30:31], v[26:27]
	v_add_f64 v[18:19], v[10:11], v[18:19]
	v_mul_f64 v[10:11], v[8:9], v[16:17]
	v_fma_f64 v[10:11], v[6:7], v[14:15], -v[10:11]
	v_mul_f64 v[6:7], v[6:7], v[16:17]
	v_add_f64 v[44:45], v[32:33], v[10:11]
	v_fma_f64 v[6:7], v[8:9], v[14:15], v[6:7]
	v_add_f64 v[34:35], v[6:7], v[34:35]
	ds_read_b128 v[6:9], v25 offset:112
	ds_read_b128 v[10:13], v24 offset:3584
	;; [unrolled: 1-line block ×4, first 2 shown]
	s_waitcnt lgkmcnt(0)
	s_barrier
	v_mul_f64 v[16:17], v[6:7], v[12:13]
	v_mul_f64 v[14:15], v[8:9], v[12:13]
	v_fma_f64 v[16:17], v[8:9], v[10:11], v[16:17]
	v_fma_f64 v[14:15], v[6:7], v[10:11], -v[14:15]
	v_add_f64 v[20:21], v[16:17], v[20:21]
	v_mul_f64 v[16:17], v[8:9], v[28:29]
	v_add_f64 v[14:15], v[36:37], v[14:15]
	v_fma_f64 v[16:17], v[6:7], v[26:27], -v[16:17]
	v_mul_f64 v[6:7], v[6:7], v[28:29]
	v_fma_f64 v[8:9], v[8:9], v[26:27], v[6:7]
	v_add_f64 v[6:7], v[38:39], v[16:17]
	v_mul_f64 v[16:17], v[32:33], v[12:13]
	v_mul_f64 v[12:13], v[30:31], v[12:13]
	v_add_f64 v[8:9], v[8:9], v[40:41]
	v_fma_f64 v[16:17], v[30:31], v[10:11], -v[16:17]
	v_fma_f64 v[10:11], v[32:33], v[10:11], v[12:13]
	v_mul_f64 v[12:13], v[30:31], v[28:29]
	v_add_f64 v[16:17], v[42:43], v[16:17]
	v_add_f64 v[18:19], v[10:11], v[18:19]
	v_mul_f64 v[10:11], v[32:33], v[28:29]
	v_fma_f64 v[10:11], v[30:31], v[26:27], -v[10:11]
	v_fma_f64 v[26:27], v[32:33], v[26:27], v[12:13]
	v_add_f64 v[12:13], v[44:45], v[10:11]
	v_add_f64 v[10:11], v[26:27], v[34:35]
	s_cbranch_scc0 .LBB390_2
	s_branch .LBB390_4
.LBB390_3:
	v_mov_b32_e32 v14, 0
	v_mov_b32_e32 v20, 0
	;; [unrolled: 1-line block ×16, first 2 shown]
.LBB390_4:
	s_load_dwordx2 s[0:1], s[4:5], 0x48
	s_load_dword s9, s[4:5], 0x40
	v_add_u32_e32 v4, s7, v1
	v_add_u32_e32 v0, s6, v0
	v_cmp_gt_i32_e32 vcc, s10, v4
	s_waitcnt lgkmcnt(0)
	s_mul_i32 s1, s1, s8
	v_mad_i64_i32 v[1:2], s[12:13], v4, s9, 0
	s_mul_hi_u32 s4, s0, s8
	s_mul_i32 s0, s0, s8
	s_add_i32 s1, s4, s1
	s_lshl_b64 s[0:1], s[0:1], 4
	s_add_u32 s4, s2, s0
	v_lshlrev_b64 v[1:2], 4, v[1:2]
	s_addc_u32 s5, s3, s1
	v_mov_b32_e32 v3, s5
	v_add_co_u32_e64 v5, s[0:1], s4, v1
	v_addc_co_u32_e64 v22, s[0:1], v3, v2, s[0:1]
	v_cmp_le_i32_e64 s[0:1], v0, v4
	s_and_b64 s[0:1], vcc, s[0:1]
	s_and_saveexec_b64 s[2:3], s[0:1]
	s_cbranch_execz .LBB390_6
; %bb.5:
	v_ashrrev_i32_e32 v1, 31, v0
	v_lshlrev_b64 v[1:2], 4, v[0:1]
	v_add_co_u32_e64 v1, s[0:1], v5, v1
	v_addc_co_u32_e64 v2, s[0:1], v22, v2, s[0:1]
	global_load_dwordx4 v[23:26], v[1:2], off
	v_cmp_ne_u32_e64 s[0:1], v4, v0
	s_waitcnt vmcnt(0)
	v_add_f64 v[20:21], v[20:21], v[25:26]
	v_add_f64 v[23:24], v[14:15], v[23:24]
	v_cndmask_b32_e64 v26, 0, v21, s[0:1]
	v_cndmask_b32_e64 v25, 0, v20, s[0:1]
	global_store_dwordx4 v[1:2], v[23:26], off
.LBB390_6:
	s_or_b64 exec, exec, s[2:3]
	v_add_u32_e32 v2, 16, v0
	v_cmp_le_i32_e64 s[0:1], v2, v4
	s_and_b64 s[2:3], vcc, s[0:1]
	s_and_saveexec_b64 s[0:1], s[2:3]
	s_cbranch_execz .LBB390_8
; %bb.7:
	v_ashrrev_i32_e32 v3, 31, v2
	v_lshlrev_b64 v[14:15], 4, v[2:3]
	v_add_co_u32_e32 v14, vcc, v5, v14
	v_addc_co_u32_e32 v15, vcc, v22, v15, vcc
	global_load_dwordx4 v[20:23], v[14:15], off
	v_cmp_ne_u32_e32 vcc, v4, v2
	s_waitcnt vmcnt(0)
	v_add_f64 v[22:23], v[8:9], v[22:23]
	v_add_f64 v[5:6], v[6:7], v[20:21]
	v_cndmask_b32_e32 v8, 0, v23, vcc
	v_cndmask_b32_e32 v7, 0, v22, vcc
	global_store_dwordx4 v[14:15], v[5:8], off
.LBB390_8:
	s_or_b64 exec, exec, s[0:1]
	v_add_u32_e32 v3, 16, v4
	v_mad_i64_i32 v[5:6], s[0:1], v3, s9, 0
	v_mov_b32_e32 v1, s5
	v_cmp_gt_i32_e32 vcc, s10, v3
	v_lshlrev_b64 v[5:6], 4, v[5:6]
	v_add_co_u32_e64 v5, s[0:1], s4, v5
	v_addc_co_u32_e64 v6, s[0:1], v1, v6, s[0:1]
	v_cmp_le_i32_e64 s[0:1], v0, v3
	s_and_b64 s[0:1], vcc, s[0:1]
	s_and_saveexec_b64 s[2:3], s[0:1]
	s_cbranch_execz .LBB390_10
; %bb.9:
	v_ashrrev_i32_e32 v1, 31, v0
	v_lshlrev_b64 v[7:8], 4, v[0:1]
	v_add_co_u32_e64 v7, s[0:1], v5, v7
	v_addc_co_u32_e64 v8, s[0:1], v6, v8, s[0:1]
	global_load_dwordx4 v[20:23], v[7:8], off
	v_cmp_ne_u32_e64 s[0:1], v3, v0
	s_waitcnt vmcnt(0)
	v_add_f64 v[18:19], v[18:19], v[22:23]
	v_add_f64 v[14:15], v[16:17], v[20:21]
	v_cndmask_b32_e64 v17, 0, v19, s[0:1]
	v_cndmask_b32_e64 v16, 0, v18, s[0:1]
	global_store_dwordx4 v[7:8], v[14:17], off
.LBB390_10:
	s_or_b64 exec, exec, s[2:3]
	v_cmp_le_i32_e64 s[0:1], v2, v3
	s_and_b64 s[0:1], vcc, s[0:1]
	s_and_saveexec_b64 s[2:3], s[0:1]
	s_cbranch_execz .LBB390_12
; %bb.11:
	v_ashrrev_i32_e32 v3, 31, v2
	v_lshlrev_b64 v[1:2], 4, v[2:3]
	v_add_co_u32_e32 v14, vcc, v5, v1
	v_addc_co_u32_e32 v15, vcc, v6, v2, vcc
	global_load_dwordx4 v[5:8], v[14:15], off
	v_cmp_ne_u32_e32 vcc, v4, v0
	s_waitcnt vmcnt(0)
	v_add_f64 v[7:8], v[10:11], v[7:8]
	v_add_f64 v[1:2], v[12:13], v[5:6]
	v_cndmask_b32_e32 v4, 0, v8, vcc
	v_cndmask_b32_e32 v3, 0, v7, vcc
	global_store_dwordx4 v[14:15], v[1:4], off
.LBB390_12:
	s_endpgm
	.section	.rodata,"a",@progbits
	.p2align	6, 0x0
	.amdhsa_kernel _ZL37rocblas_syrkx_herkx_restricted_kernelIi19rocblas_complex_numIdELi16ELi32ELi8ELi1ELi1ELb1ELc84ELc85EKS1_S1_EviT_PT9_S3_lS5_S3_lPT10_S3_li
		.amdhsa_group_segment_fixed_size 8192
		.amdhsa_private_segment_fixed_size 0
		.amdhsa_kernarg_size 84
		.amdhsa_user_sgpr_count 6
		.amdhsa_user_sgpr_private_segment_buffer 1
		.amdhsa_user_sgpr_dispatch_ptr 0
		.amdhsa_user_sgpr_queue_ptr 0
		.amdhsa_user_sgpr_kernarg_segment_ptr 1
		.amdhsa_user_sgpr_dispatch_id 0
		.amdhsa_user_sgpr_flat_scratch_init 0
		.amdhsa_user_sgpr_private_segment_size 0
		.amdhsa_uses_dynamic_stack 0
		.amdhsa_system_sgpr_private_segment_wavefront_offset 0
		.amdhsa_system_sgpr_workgroup_id_x 1
		.amdhsa_system_sgpr_workgroup_id_y 1
		.amdhsa_system_sgpr_workgroup_id_z 1
		.amdhsa_system_sgpr_workgroup_info 0
		.amdhsa_system_vgpr_workitem_id 1
		.amdhsa_next_free_vgpr 52
		.amdhsa_next_free_sgpr 61
		.amdhsa_reserve_vcc 1
		.amdhsa_reserve_flat_scratch 0
		.amdhsa_float_round_mode_32 0
		.amdhsa_float_round_mode_16_64 0
		.amdhsa_float_denorm_mode_32 3
		.amdhsa_float_denorm_mode_16_64 3
		.amdhsa_dx10_clamp 1
		.amdhsa_ieee_mode 1
		.amdhsa_fp16_overflow 0
		.amdhsa_exception_fp_ieee_invalid_op 0
		.amdhsa_exception_fp_denorm_src 0
		.amdhsa_exception_fp_ieee_div_zero 0
		.amdhsa_exception_fp_ieee_overflow 0
		.amdhsa_exception_fp_ieee_underflow 0
		.amdhsa_exception_fp_ieee_inexact 0
		.amdhsa_exception_int_div_zero 0
	.end_amdhsa_kernel
	.section	.text._ZL37rocblas_syrkx_herkx_restricted_kernelIi19rocblas_complex_numIdELi16ELi32ELi8ELi1ELi1ELb1ELc84ELc85EKS1_S1_EviT_PT9_S3_lS5_S3_lPT10_S3_li,"axG",@progbits,_ZL37rocblas_syrkx_herkx_restricted_kernelIi19rocblas_complex_numIdELi16ELi32ELi8ELi1ELi1ELb1ELc84ELc85EKS1_S1_EviT_PT9_S3_lS5_S3_lPT10_S3_li,comdat
.Lfunc_end390:
	.size	_ZL37rocblas_syrkx_herkx_restricted_kernelIi19rocblas_complex_numIdELi16ELi32ELi8ELi1ELi1ELb1ELc84ELc85EKS1_S1_EviT_PT9_S3_lS5_S3_lPT10_S3_li, .Lfunc_end390-_ZL37rocblas_syrkx_herkx_restricted_kernelIi19rocblas_complex_numIdELi16ELi32ELi8ELi1ELi1ELb1ELc84ELc85EKS1_S1_EviT_PT9_S3_lS5_S3_lPT10_S3_li
                                        ; -- End function
	.set _ZL37rocblas_syrkx_herkx_restricted_kernelIi19rocblas_complex_numIdELi16ELi32ELi8ELi1ELi1ELb1ELc84ELc85EKS1_S1_EviT_PT9_S3_lS5_S3_lPT10_S3_li.num_vgpr, 52
	.set _ZL37rocblas_syrkx_herkx_restricted_kernelIi19rocblas_complex_numIdELi16ELi32ELi8ELi1ELi1ELb1ELc84ELc85EKS1_S1_EviT_PT9_S3_lS5_S3_lPT10_S3_li.num_agpr, 0
	.set _ZL37rocblas_syrkx_herkx_restricted_kernelIi19rocblas_complex_numIdELi16ELi32ELi8ELi1ELi1ELb1ELc84ELc85EKS1_S1_EviT_PT9_S3_lS5_S3_lPT10_S3_li.numbered_sgpr, 22
	.set _ZL37rocblas_syrkx_herkx_restricted_kernelIi19rocblas_complex_numIdELi16ELi32ELi8ELi1ELi1ELb1ELc84ELc85EKS1_S1_EviT_PT9_S3_lS5_S3_lPT10_S3_li.num_named_barrier, 0
	.set _ZL37rocblas_syrkx_herkx_restricted_kernelIi19rocblas_complex_numIdELi16ELi32ELi8ELi1ELi1ELb1ELc84ELc85EKS1_S1_EviT_PT9_S3_lS5_S3_lPT10_S3_li.private_seg_size, 0
	.set _ZL37rocblas_syrkx_herkx_restricted_kernelIi19rocblas_complex_numIdELi16ELi32ELi8ELi1ELi1ELb1ELc84ELc85EKS1_S1_EviT_PT9_S3_lS5_S3_lPT10_S3_li.uses_vcc, 1
	.set _ZL37rocblas_syrkx_herkx_restricted_kernelIi19rocblas_complex_numIdELi16ELi32ELi8ELi1ELi1ELb1ELc84ELc85EKS1_S1_EviT_PT9_S3_lS5_S3_lPT10_S3_li.uses_flat_scratch, 0
	.set _ZL37rocblas_syrkx_herkx_restricted_kernelIi19rocblas_complex_numIdELi16ELi32ELi8ELi1ELi1ELb1ELc84ELc85EKS1_S1_EviT_PT9_S3_lS5_S3_lPT10_S3_li.has_dyn_sized_stack, 0
	.set _ZL37rocblas_syrkx_herkx_restricted_kernelIi19rocblas_complex_numIdELi16ELi32ELi8ELi1ELi1ELb1ELc84ELc85EKS1_S1_EviT_PT9_S3_lS5_S3_lPT10_S3_li.has_recursion, 0
	.set _ZL37rocblas_syrkx_herkx_restricted_kernelIi19rocblas_complex_numIdELi16ELi32ELi8ELi1ELi1ELb1ELc84ELc85EKS1_S1_EviT_PT9_S3_lS5_S3_lPT10_S3_li.has_indirect_call, 0
	.section	.AMDGPU.csdata,"",@progbits
; Kernel info:
; codeLenInByte = 2948
; TotalNumSgprs: 26
; NumVgprs: 52
; ScratchSize: 0
; MemoryBound: 0
; FloatMode: 240
; IeeeMode: 1
; LDSByteSize: 8192 bytes/workgroup (compile time only)
; SGPRBlocks: 8
; VGPRBlocks: 12
; NumSGPRsForWavesPerEU: 65
; NumVGPRsForWavesPerEU: 52
; Occupancy: 4
; WaveLimiterHint : 0
; COMPUTE_PGM_RSRC2:SCRATCH_EN: 0
; COMPUTE_PGM_RSRC2:USER_SGPR: 6
; COMPUTE_PGM_RSRC2:TRAP_HANDLER: 0
; COMPUTE_PGM_RSRC2:TGID_X_EN: 1
; COMPUTE_PGM_RSRC2:TGID_Y_EN: 1
; COMPUTE_PGM_RSRC2:TGID_Z_EN: 1
; COMPUTE_PGM_RSRC2:TIDIG_COMP_CNT: 1
	.section	.text._ZL37rocblas_syrkx_herkx_restricted_kernelIi19rocblas_complex_numIdELi16ELi32ELi8ELi1ELi1ELb1ELc67ELc85EKS1_S1_EviT_PT9_S3_lS5_S3_lPT10_S3_li,"axG",@progbits,_ZL37rocblas_syrkx_herkx_restricted_kernelIi19rocblas_complex_numIdELi16ELi32ELi8ELi1ELi1ELb1ELc67ELc85EKS1_S1_EviT_PT9_S3_lS5_S3_lPT10_S3_li,comdat
	.globl	_ZL37rocblas_syrkx_herkx_restricted_kernelIi19rocblas_complex_numIdELi16ELi32ELi8ELi1ELi1ELb1ELc67ELc85EKS1_S1_EviT_PT9_S3_lS5_S3_lPT10_S3_li ; -- Begin function _ZL37rocblas_syrkx_herkx_restricted_kernelIi19rocblas_complex_numIdELi16ELi32ELi8ELi1ELi1ELb1ELc67ELc85EKS1_S1_EviT_PT9_S3_lS5_S3_lPT10_S3_li
	.p2align	8
	.type	_ZL37rocblas_syrkx_herkx_restricted_kernelIi19rocblas_complex_numIdELi16ELi32ELi8ELi1ELi1ELb1ELc67ELc85EKS1_S1_EviT_PT9_S3_lS5_S3_lPT10_S3_li,@function
_ZL37rocblas_syrkx_herkx_restricted_kernelIi19rocblas_complex_numIdELi16ELi32ELi8ELi1ELi1ELb1ELc67ELc85EKS1_S1_EviT_PT9_S3_lS5_S3_lPT10_S3_li: ; @_ZL37rocblas_syrkx_herkx_restricted_kernelIi19rocblas_complex_numIdELi16ELi32ELi8ELi1ELi1ELb1ELc67ELc85EKS1_S1_EviT_PT9_S3_lS5_S3_lPT10_S3_li
; %bb.0:
	s_load_dwordx2 s[10:11], s[4:5], 0x0
	s_load_dwordx4 s[0:3], s[4:5], 0x30
	s_lshl_b32 s6, s6, 5
	s_lshl_b32 s7, s7, 5
	s_mov_b32 s9, 0
	s_waitcnt lgkmcnt(0)
	s_cmp_lt_i32 s11, 1
	s_cbranch_scc1 .LBB391_3
; %bb.1:
	s_load_dwordx2 s[16:17], s[4:5], 0x8
	s_load_dword s20, s[4:5], 0x10
	s_load_dwordx4 s[12:15], s[4:5], 0x18
	s_load_dword s18, s[4:5], 0x28
	v_lshl_add_u32 v6, v1, 4, v0
	v_lshrrev_b32_e32 v8, 3, v6
	v_add_u32_e32 v4, s7, v8
	v_and_b32_e32 v2, 7, v0
	v_mov_b32_e32 v3, 0
	s_waitcnt lgkmcnt(0)
	v_mad_i64_i32 v[4:5], s[18:19], s18, v4, v[2:3]
	v_lshlrev_b32_e32 v2, 4, v2
	v_lshl_or_b32 v2, v8, 7, v2
	v_and_b32_e32 v9, 31, v6
	v_add_u32_e32 v23, 0x1000, v2
	v_mov_b32_e32 v2, 0x1000
	v_lshrrev_b32_e32 v6, 5, v6
	v_mov_b32_e32 v7, v3
	v_lshlrev_b32_e32 v3, 4, v9
	v_lshl_add_u32 v25, v1, 7, v2
	v_add_u32_e32 v2, s6, v9
	v_lshl_or_b32 v22, v6, 9, v3
	v_mad_i64_i32 v[2:3], s[18:19], s20, v2, v[6:7]
	s_mul_i32 s13, s13, s8
	s_mul_hi_u32 s21, s12, s8
	s_add_i32 s13, s21, s13
	s_mul_i32 s12, s12, s8
	s_lshl_b64 s[12:13], s[12:13], 4
	v_lshlrev_b64 v[2:3], 4, v[2:3]
	s_add_u32 s12, s16, s12
	s_addc_u32 s13, s17, s13
	v_add_co_u32_e32 v2, vcc, s12, v2
	s_mul_i32 s1, s1, s8
	s_mul_hi_u32 s12, s0, s8
	v_mov_b32_e32 v6, s13
	s_add_i32 s1, s12, s1
	s_mul_i32 s0, s0, s8
	v_addc_co_u32_e32 v3, vcc, v6, v3, vcc
	s_lshl_b64 s[0:1], s[0:1], 4
	v_add_co_u32_e32 v2, vcc, 8, v2
	v_lshlrev_b64 v[4:5], 4, v[4:5]
	s_add_u32 s0, s14, s0
	v_addc_co_u32_e32 v3, vcc, 0, v3, vcc
	s_addc_u32 s1, s15, s1
	v_mov_b32_e32 v6, s1
	v_add_co_u32_e32 v4, vcc, s0, v4
	v_addc_co_u32_e32 v5, vcc, v6, v5, vcc
	v_mov_b32_e32 v10, 0
	v_mov_b32_e32 v12, 0
	;; [unrolled: 1-line block ×8, first 2 shown]
	v_add_co_u32_e32 v4, vcc, 8, v4
	v_lshlrev_b32_e32 v24, 4, v0
	v_mov_b32_e32 v11, 0
	v_mov_b32_e32 v13, 0
	;; [unrolled: 1-line block ×8, first 2 shown]
	v_addc_co_u32_e32 v5, vcc, 0, v5, vcc
.LBB391_2:                              ; =>This Inner Loop Header: Depth=1
	global_load_dwordx4 v[26:29], v[2:3], off offset:-8
	v_add_co_u32_e32 v2, vcc, 0x80, v2
	v_addc_co_u32_e32 v3, vcc, 0, v3, vcc
	s_add_i32 s9, s9, 8
	s_cmp_ge_i32 s9, s11
	s_waitcnt vmcnt(0)
	v_xor_b32_e32 v29, 0x80000000, v29
	ds_write_b128 v22, v[26:29]
	global_load_dwordx4 v[26:29], v[4:5], off offset:-8
	v_add_co_u32_e32 v4, vcc, 0x80, v4
	v_addc_co_u32_e32 v5, vcc, 0, v5, vcc
	s_waitcnt vmcnt(0)
	ds_write_b128 v23, v[26:29]
	s_waitcnt lgkmcnt(0)
	s_barrier
	ds_read_b128 v[26:29], v25
	ds_read_b128 v[30:33], v25 offset:16
	ds_read_b128 v[34:37], v25 offset:32
	;; [unrolled: 1-line block ×3, first 2 shown]
	ds_read_b128 v[42:45], v24
	s_waitcnt lgkmcnt(0)
	v_mul_f64 v[46:47], v[28:29], v[44:45]
	v_mul_f64 v[48:49], v[26:27], v[44:45]
	v_fma_f64 v[46:47], v[26:27], v[42:43], -v[46:47]
	v_fma_f64 v[48:49], v[28:29], v[42:43], v[48:49]
	v_add_f64 v[14:15], v[14:15], v[46:47]
	v_add_f64 v[20:21], v[48:49], v[20:21]
	ds_read_b128 v[46:49], v24 offset:256
	s_waitcnt lgkmcnt(0)
	v_mul_f64 v[50:51], v[28:29], v[48:49]
	v_fma_f64 v[50:51], v[26:27], v[46:47], -v[50:51]
	v_mul_f64 v[26:27], v[26:27], v[48:49]
	v_fma_f64 v[26:27], v[28:29], v[46:47], v[26:27]
	v_add_f64 v[28:29], v[6:7], v[50:51]
	v_add_f64 v[26:27], v[26:27], v[8:9]
	ds_read_b128 v[6:9], v25 offset:2048
	s_waitcnt lgkmcnt(0)
	v_mul_f64 v[50:51], v[8:9], v[44:45]
	v_mul_f64 v[44:45], v[6:7], v[44:45]
	v_fma_f64 v[50:51], v[6:7], v[42:43], -v[50:51]
	v_fma_f64 v[42:43], v[8:9], v[42:43], v[44:45]
	v_add_f64 v[44:45], v[16:17], v[50:51]
	v_mul_f64 v[16:17], v[8:9], v[48:49]
	v_add_f64 v[18:19], v[42:43], v[18:19]
	v_fma_f64 v[16:17], v[6:7], v[46:47], -v[16:17]
	v_mul_f64 v[6:7], v[6:7], v[48:49]
	v_add_f64 v[42:43], v[12:13], v[16:17]
	v_fma_f64 v[6:7], v[8:9], v[46:47], v[6:7]
	v_add_f64 v[46:47], v[6:7], v[10:11]
	ds_read_b128 v[6:9], v24 offset:512
	s_waitcnt lgkmcnt(0)
	v_mul_f64 v[10:11], v[32:33], v[8:9]
	v_mul_f64 v[12:13], v[30:31], v[8:9]
	v_fma_f64 v[10:11], v[30:31], v[6:7], -v[10:11]
	v_fma_f64 v[12:13], v[32:33], v[6:7], v[12:13]
	v_add_f64 v[48:49], v[14:15], v[10:11]
	v_add_f64 v[20:21], v[12:13], v[20:21]
	ds_read_b128 v[10:13], v24 offset:768
	s_waitcnt lgkmcnt(0)
	v_mul_f64 v[14:15], v[32:33], v[12:13]
	v_mul_f64 v[16:17], v[30:31], v[12:13]
	v_fma_f64 v[14:15], v[30:31], v[10:11], -v[14:15]
	v_fma_f64 v[16:17], v[32:33], v[10:11], v[16:17]
	v_add_f64 v[28:29], v[28:29], v[14:15]
	v_add_f64 v[26:27], v[16:17], v[26:27]
	ds_read_b128 v[14:17], v25 offset:2064
	s_waitcnt lgkmcnt(0)
	v_mul_f64 v[30:31], v[16:17], v[8:9]
	v_mul_f64 v[8:9], v[14:15], v[8:9]
	v_fma_f64 v[30:31], v[14:15], v[6:7], -v[30:31]
	v_fma_f64 v[6:7], v[16:17], v[6:7], v[8:9]
	v_mul_f64 v[8:9], v[14:15], v[12:13]
	v_add_f64 v[30:31], v[44:45], v[30:31]
	v_add_f64 v[18:19], v[6:7], v[18:19]
	v_mul_f64 v[6:7], v[16:17], v[12:13]
	v_fma_f64 v[8:9], v[16:17], v[10:11], v[8:9]
	v_fma_f64 v[6:7], v[14:15], v[10:11], -v[6:7]
	v_add_f64 v[32:33], v[42:43], v[6:7]
	v_add_f64 v[42:43], v[8:9], v[46:47]
	ds_read_b128 v[6:9], v24 offset:1024
	s_waitcnt lgkmcnt(0)
	v_mul_f64 v[10:11], v[36:37], v[8:9]
	v_mul_f64 v[12:13], v[34:35], v[8:9]
	v_fma_f64 v[10:11], v[34:35], v[6:7], -v[10:11]
	v_fma_f64 v[12:13], v[36:37], v[6:7], v[12:13]
	v_add_f64 v[44:45], v[48:49], v[10:11]
	v_add_f64 v[20:21], v[12:13], v[20:21]
	ds_read_b128 v[10:13], v24 offset:1280
	s_waitcnt lgkmcnt(0)
	v_mul_f64 v[14:15], v[36:37], v[12:13]
	v_mul_f64 v[16:17], v[34:35], v[12:13]
	v_fma_f64 v[14:15], v[34:35], v[10:11], -v[14:15]
	v_fma_f64 v[16:17], v[36:37], v[10:11], v[16:17]
	v_add_f64 v[28:29], v[28:29], v[14:15]
	v_add_f64 v[26:27], v[16:17], v[26:27]
	ds_read_b128 v[14:17], v25 offset:2080
	s_waitcnt lgkmcnt(0)
	v_mul_f64 v[34:35], v[16:17], v[8:9]
	v_mul_f64 v[8:9], v[14:15], v[8:9]
	v_fma_f64 v[34:35], v[14:15], v[6:7], -v[34:35]
	v_fma_f64 v[6:7], v[16:17], v[6:7], v[8:9]
	v_mul_f64 v[8:9], v[14:15], v[12:13]
	v_add_f64 v[30:31], v[30:31], v[34:35]
	v_add_f64 v[18:19], v[6:7], v[18:19]
	v_mul_f64 v[6:7], v[16:17], v[12:13]
	v_fma_f64 v[8:9], v[16:17], v[10:11], v[8:9]
	v_fma_f64 v[6:7], v[14:15], v[10:11], -v[6:7]
	v_add_f64 v[34:35], v[8:9], v[42:43]
	v_add_f64 v[32:33], v[32:33], v[6:7]
	ds_read_b128 v[6:9], v24 offset:1536
	s_waitcnt lgkmcnt(0)
	v_mul_f64 v[10:11], v[40:41], v[8:9]
	v_mul_f64 v[12:13], v[38:39], v[8:9]
	v_fma_f64 v[10:11], v[38:39], v[6:7], -v[10:11]
	v_fma_f64 v[12:13], v[40:41], v[6:7], v[12:13]
	v_add_f64 v[36:37], v[44:45], v[10:11]
	v_add_f64 v[20:21], v[12:13], v[20:21]
	ds_read_b128 v[10:13], v24 offset:1792
	s_waitcnt lgkmcnt(0)
	v_mul_f64 v[14:15], v[40:41], v[12:13]
	v_mul_f64 v[16:17], v[38:39], v[12:13]
	v_fma_f64 v[14:15], v[38:39], v[10:11], -v[14:15]
	v_fma_f64 v[16:17], v[40:41], v[10:11], v[16:17]
	v_add_f64 v[28:29], v[28:29], v[14:15]
	v_add_f64 v[26:27], v[16:17], v[26:27]
	ds_read_b128 v[14:17], v25 offset:2096
	s_waitcnt lgkmcnt(0)
	v_mul_f64 v[38:39], v[16:17], v[8:9]
	v_mul_f64 v[8:9], v[14:15], v[8:9]
	v_fma_f64 v[38:39], v[14:15], v[6:7], -v[38:39]
	v_fma_f64 v[6:7], v[16:17], v[6:7], v[8:9]
	v_mul_f64 v[8:9], v[14:15], v[12:13]
	v_add_f64 v[30:31], v[30:31], v[38:39]
	v_add_f64 v[18:19], v[6:7], v[18:19]
	v_mul_f64 v[6:7], v[16:17], v[12:13]
	v_fma_f64 v[8:9], v[16:17], v[10:11], v[8:9]
	v_fma_f64 v[6:7], v[14:15], v[10:11], -v[6:7]
	v_add_f64 v[34:35], v[8:9], v[34:35]
	v_add_f64 v[32:33], v[32:33], v[6:7]
	ds_read_b128 v[6:9], v25 offset:64
	ds_read_b128 v[10:13], v24 offset:2048
	s_waitcnt lgkmcnt(0)
	v_mul_f64 v[14:15], v[8:9], v[12:13]
	v_mul_f64 v[16:17], v[6:7], v[12:13]
	v_fma_f64 v[14:15], v[6:7], v[10:11], -v[14:15]
	v_fma_f64 v[16:17], v[8:9], v[10:11], v[16:17]
	v_add_f64 v[36:37], v[36:37], v[14:15]
	v_add_f64 v[20:21], v[16:17], v[20:21]
	ds_read_b128 v[14:17], v24 offset:2304
	s_waitcnt lgkmcnt(0)
	v_mul_f64 v[38:39], v[8:9], v[16:17]
	v_fma_f64 v[38:39], v[6:7], v[14:15], -v[38:39]
	v_mul_f64 v[6:7], v[6:7], v[16:17]
	v_add_f64 v[28:29], v[28:29], v[38:39]
	v_fma_f64 v[6:7], v[8:9], v[14:15], v[6:7]
	v_add_f64 v[26:27], v[6:7], v[26:27]
	ds_read_b128 v[6:9], v25 offset:2112
	s_waitcnt lgkmcnt(0)
	v_mul_f64 v[38:39], v[8:9], v[12:13]
	v_mul_f64 v[12:13], v[6:7], v[12:13]
	v_fma_f64 v[38:39], v[6:7], v[10:11], -v[38:39]
	v_fma_f64 v[10:11], v[8:9], v[10:11], v[12:13]
	v_add_f64 v[30:31], v[30:31], v[38:39]
	v_add_f64 v[18:19], v[10:11], v[18:19]
	v_mul_f64 v[10:11], v[8:9], v[16:17]
	v_fma_f64 v[10:11], v[6:7], v[14:15], -v[10:11]
	v_mul_f64 v[6:7], v[6:7], v[16:17]
	v_add_f64 v[32:33], v[32:33], v[10:11]
	v_fma_f64 v[6:7], v[8:9], v[14:15], v[6:7]
	v_add_f64 v[34:35], v[6:7], v[34:35]
	ds_read_b128 v[6:9], v25 offset:80
	ds_read_b128 v[10:13], v24 offset:2560
	s_waitcnt lgkmcnt(0)
	v_mul_f64 v[14:15], v[8:9], v[12:13]
	v_mul_f64 v[16:17], v[6:7], v[12:13]
	v_fma_f64 v[14:15], v[6:7], v[10:11], -v[14:15]
	v_fma_f64 v[16:17], v[8:9], v[10:11], v[16:17]
	v_add_f64 v[36:37], v[36:37], v[14:15]
	v_add_f64 v[20:21], v[16:17], v[20:21]
	ds_read_b128 v[14:17], v24 offset:2816
	s_waitcnt lgkmcnt(0)
	v_mul_f64 v[38:39], v[8:9], v[16:17]
	v_fma_f64 v[38:39], v[6:7], v[14:15], -v[38:39]
	v_mul_f64 v[6:7], v[6:7], v[16:17]
	v_add_f64 v[28:29], v[28:29], v[38:39]
	v_fma_f64 v[6:7], v[8:9], v[14:15], v[6:7]
	v_add_f64 v[26:27], v[6:7], v[26:27]
	ds_read_b128 v[6:9], v25 offset:2128
	s_waitcnt lgkmcnt(0)
	v_mul_f64 v[38:39], v[8:9], v[12:13]
	v_mul_f64 v[12:13], v[6:7], v[12:13]
	v_fma_f64 v[38:39], v[6:7], v[10:11], -v[38:39]
	v_fma_f64 v[10:11], v[8:9], v[10:11], v[12:13]
	v_add_f64 v[30:31], v[30:31], v[38:39]
	v_add_f64 v[18:19], v[10:11], v[18:19]
	v_mul_f64 v[10:11], v[8:9], v[16:17]
	v_fma_f64 v[10:11], v[6:7], v[14:15], -v[10:11]
	v_mul_f64 v[6:7], v[6:7], v[16:17]
	v_add_f64 v[32:33], v[32:33], v[10:11]
	v_fma_f64 v[6:7], v[8:9], v[14:15], v[6:7]
	;; [unrolled: 31-line block ×3, first 2 shown]
	v_add_f64 v[34:35], v[6:7], v[34:35]
	ds_read_b128 v[6:9], v25 offset:112
	ds_read_b128 v[10:13], v24 offset:3584
	;; [unrolled: 1-line block ×4, first 2 shown]
	s_waitcnt lgkmcnt(0)
	s_barrier
	v_mul_f64 v[16:17], v[6:7], v[12:13]
	v_mul_f64 v[14:15], v[8:9], v[12:13]
	v_fma_f64 v[16:17], v[8:9], v[10:11], v[16:17]
	v_fma_f64 v[14:15], v[6:7], v[10:11], -v[14:15]
	v_add_f64 v[20:21], v[16:17], v[20:21]
	v_mul_f64 v[16:17], v[8:9], v[28:29]
	v_add_f64 v[14:15], v[36:37], v[14:15]
	v_fma_f64 v[16:17], v[6:7], v[26:27], -v[16:17]
	v_mul_f64 v[6:7], v[6:7], v[28:29]
	v_fma_f64 v[8:9], v[8:9], v[26:27], v[6:7]
	v_add_f64 v[6:7], v[38:39], v[16:17]
	v_mul_f64 v[16:17], v[32:33], v[12:13]
	v_mul_f64 v[12:13], v[30:31], v[12:13]
	v_add_f64 v[8:9], v[8:9], v[40:41]
	v_fma_f64 v[16:17], v[30:31], v[10:11], -v[16:17]
	v_fma_f64 v[10:11], v[32:33], v[10:11], v[12:13]
	v_mul_f64 v[12:13], v[30:31], v[28:29]
	v_add_f64 v[16:17], v[42:43], v[16:17]
	v_add_f64 v[18:19], v[10:11], v[18:19]
	v_mul_f64 v[10:11], v[32:33], v[28:29]
	v_fma_f64 v[10:11], v[30:31], v[26:27], -v[10:11]
	v_fma_f64 v[26:27], v[32:33], v[26:27], v[12:13]
	v_add_f64 v[12:13], v[44:45], v[10:11]
	v_add_f64 v[10:11], v[26:27], v[34:35]
	s_cbranch_scc0 .LBB391_2
	s_branch .LBB391_4
.LBB391_3:
	v_mov_b32_e32 v14, 0
	v_mov_b32_e32 v20, 0
	;; [unrolled: 1-line block ×16, first 2 shown]
.LBB391_4:
	s_load_dwordx2 s[0:1], s[4:5], 0x48
	s_load_dword s9, s[4:5], 0x40
	v_add_u32_e32 v4, s7, v1
	v_add_u32_e32 v0, s6, v0
	v_cmp_gt_i32_e32 vcc, s10, v4
	s_waitcnt lgkmcnt(0)
	s_mul_i32 s1, s1, s8
	v_mad_i64_i32 v[1:2], s[12:13], v4, s9, 0
	s_mul_hi_u32 s4, s0, s8
	s_mul_i32 s0, s0, s8
	s_add_i32 s1, s4, s1
	s_lshl_b64 s[0:1], s[0:1], 4
	s_add_u32 s4, s2, s0
	v_lshlrev_b64 v[1:2], 4, v[1:2]
	s_addc_u32 s5, s3, s1
	v_mov_b32_e32 v3, s5
	v_add_co_u32_e64 v5, s[0:1], s4, v1
	v_addc_co_u32_e64 v22, s[0:1], v3, v2, s[0:1]
	v_cmp_le_i32_e64 s[0:1], v0, v4
	s_and_b64 s[0:1], vcc, s[0:1]
	s_and_saveexec_b64 s[2:3], s[0:1]
	s_cbranch_execz .LBB391_6
; %bb.5:
	v_ashrrev_i32_e32 v1, 31, v0
	v_lshlrev_b64 v[1:2], 4, v[0:1]
	v_add_co_u32_e64 v1, s[0:1], v5, v1
	v_addc_co_u32_e64 v2, s[0:1], v22, v2, s[0:1]
	global_load_dwordx4 v[23:26], v[1:2], off
	v_cmp_ne_u32_e64 s[0:1], v4, v0
	s_waitcnt vmcnt(0)
	v_add_f64 v[20:21], v[20:21], v[25:26]
	v_add_f64 v[23:24], v[14:15], v[23:24]
	v_cndmask_b32_e64 v26, 0, v21, s[0:1]
	v_cndmask_b32_e64 v25, 0, v20, s[0:1]
	global_store_dwordx4 v[1:2], v[23:26], off
.LBB391_6:
	s_or_b64 exec, exec, s[2:3]
	v_add_u32_e32 v2, 16, v0
	v_cmp_le_i32_e64 s[0:1], v2, v4
	s_and_b64 s[2:3], vcc, s[0:1]
	s_and_saveexec_b64 s[0:1], s[2:3]
	s_cbranch_execz .LBB391_8
; %bb.7:
	v_ashrrev_i32_e32 v3, 31, v2
	v_lshlrev_b64 v[14:15], 4, v[2:3]
	v_add_co_u32_e32 v14, vcc, v5, v14
	v_addc_co_u32_e32 v15, vcc, v22, v15, vcc
	global_load_dwordx4 v[20:23], v[14:15], off
	v_cmp_ne_u32_e32 vcc, v4, v2
	s_waitcnt vmcnt(0)
	v_add_f64 v[22:23], v[8:9], v[22:23]
	v_add_f64 v[5:6], v[6:7], v[20:21]
	v_cndmask_b32_e32 v8, 0, v23, vcc
	v_cndmask_b32_e32 v7, 0, v22, vcc
	global_store_dwordx4 v[14:15], v[5:8], off
.LBB391_8:
	s_or_b64 exec, exec, s[0:1]
	v_add_u32_e32 v3, 16, v4
	v_mad_i64_i32 v[5:6], s[0:1], v3, s9, 0
	v_mov_b32_e32 v1, s5
	v_cmp_gt_i32_e32 vcc, s10, v3
	v_lshlrev_b64 v[5:6], 4, v[5:6]
	v_add_co_u32_e64 v5, s[0:1], s4, v5
	v_addc_co_u32_e64 v6, s[0:1], v1, v6, s[0:1]
	v_cmp_le_i32_e64 s[0:1], v0, v3
	s_and_b64 s[0:1], vcc, s[0:1]
	s_and_saveexec_b64 s[2:3], s[0:1]
	s_cbranch_execz .LBB391_10
; %bb.9:
	v_ashrrev_i32_e32 v1, 31, v0
	v_lshlrev_b64 v[7:8], 4, v[0:1]
	v_add_co_u32_e64 v7, s[0:1], v5, v7
	v_addc_co_u32_e64 v8, s[0:1], v6, v8, s[0:1]
	global_load_dwordx4 v[20:23], v[7:8], off
	v_cmp_ne_u32_e64 s[0:1], v3, v0
	s_waitcnt vmcnt(0)
	v_add_f64 v[18:19], v[18:19], v[22:23]
	v_add_f64 v[14:15], v[16:17], v[20:21]
	v_cndmask_b32_e64 v17, 0, v19, s[0:1]
	v_cndmask_b32_e64 v16, 0, v18, s[0:1]
	global_store_dwordx4 v[7:8], v[14:17], off
.LBB391_10:
	s_or_b64 exec, exec, s[2:3]
	v_cmp_le_i32_e64 s[0:1], v2, v3
	s_and_b64 s[0:1], vcc, s[0:1]
	s_and_saveexec_b64 s[2:3], s[0:1]
	s_cbranch_execz .LBB391_12
; %bb.11:
	v_ashrrev_i32_e32 v3, 31, v2
	v_lshlrev_b64 v[1:2], 4, v[2:3]
	v_add_co_u32_e32 v14, vcc, v5, v1
	v_addc_co_u32_e32 v15, vcc, v6, v2, vcc
	global_load_dwordx4 v[5:8], v[14:15], off
	v_cmp_ne_u32_e32 vcc, v4, v0
	s_waitcnt vmcnt(0)
	v_add_f64 v[7:8], v[10:11], v[7:8]
	v_add_f64 v[1:2], v[12:13], v[5:6]
	v_cndmask_b32_e32 v4, 0, v8, vcc
	v_cndmask_b32_e32 v3, 0, v7, vcc
	global_store_dwordx4 v[14:15], v[1:4], off
.LBB391_12:
	s_endpgm
	.section	.rodata,"a",@progbits
	.p2align	6, 0x0
	.amdhsa_kernel _ZL37rocblas_syrkx_herkx_restricted_kernelIi19rocblas_complex_numIdELi16ELi32ELi8ELi1ELi1ELb1ELc67ELc85EKS1_S1_EviT_PT9_S3_lS5_S3_lPT10_S3_li
		.amdhsa_group_segment_fixed_size 8192
		.amdhsa_private_segment_fixed_size 0
		.amdhsa_kernarg_size 84
		.amdhsa_user_sgpr_count 6
		.amdhsa_user_sgpr_private_segment_buffer 1
		.amdhsa_user_sgpr_dispatch_ptr 0
		.amdhsa_user_sgpr_queue_ptr 0
		.amdhsa_user_sgpr_kernarg_segment_ptr 1
		.amdhsa_user_sgpr_dispatch_id 0
		.amdhsa_user_sgpr_flat_scratch_init 0
		.amdhsa_user_sgpr_private_segment_size 0
		.amdhsa_uses_dynamic_stack 0
		.amdhsa_system_sgpr_private_segment_wavefront_offset 0
		.amdhsa_system_sgpr_workgroup_id_x 1
		.amdhsa_system_sgpr_workgroup_id_y 1
		.amdhsa_system_sgpr_workgroup_id_z 1
		.amdhsa_system_sgpr_workgroup_info 0
		.amdhsa_system_vgpr_workitem_id 1
		.amdhsa_next_free_vgpr 52
		.amdhsa_next_free_sgpr 61
		.amdhsa_reserve_vcc 1
		.amdhsa_reserve_flat_scratch 0
		.amdhsa_float_round_mode_32 0
		.amdhsa_float_round_mode_16_64 0
		.amdhsa_float_denorm_mode_32 3
		.amdhsa_float_denorm_mode_16_64 3
		.amdhsa_dx10_clamp 1
		.amdhsa_ieee_mode 1
		.amdhsa_fp16_overflow 0
		.amdhsa_exception_fp_ieee_invalid_op 0
		.amdhsa_exception_fp_denorm_src 0
		.amdhsa_exception_fp_ieee_div_zero 0
		.amdhsa_exception_fp_ieee_overflow 0
		.amdhsa_exception_fp_ieee_underflow 0
		.amdhsa_exception_fp_ieee_inexact 0
		.amdhsa_exception_int_div_zero 0
	.end_amdhsa_kernel
	.section	.text._ZL37rocblas_syrkx_herkx_restricted_kernelIi19rocblas_complex_numIdELi16ELi32ELi8ELi1ELi1ELb1ELc67ELc85EKS1_S1_EviT_PT9_S3_lS5_S3_lPT10_S3_li,"axG",@progbits,_ZL37rocblas_syrkx_herkx_restricted_kernelIi19rocblas_complex_numIdELi16ELi32ELi8ELi1ELi1ELb1ELc67ELc85EKS1_S1_EviT_PT9_S3_lS5_S3_lPT10_S3_li,comdat
.Lfunc_end391:
	.size	_ZL37rocblas_syrkx_herkx_restricted_kernelIi19rocblas_complex_numIdELi16ELi32ELi8ELi1ELi1ELb1ELc67ELc85EKS1_S1_EviT_PT9_S3_lS5_S3_lPT10_S3_li, .Lfunc_end391-_ZL37rocblas_syrkx_herkx_restricted_kernelIi19rocblas_complex_numIdELi16ELi32ELi8ELi1ELi1ELb1ELc67ELc85EKS1_S1_EviT_PT9_S3_lS5_S3_lPT10_S3_li
                                        ; -- End function
	.set _ZL37rocblas_syrkx_herkx_restricted_kernelIi19rocblas_complex_numIdELi16ELi32ELi8ELi1ELi1ELb1ELc67ELc85EKS1_S1_EviT_PT9_S3_lS5_S3_lPT10_S3_li.num_vgpr, 52
	.set _ZL37rocblas_syrkx_herkx_restricted_kernelIi19rocblas_complex_numIdELi16ELi32ELi8ELi1ELi1ELb1ELc67ELc85EKS1_S1_EviT_PT9_S3_lS5_S3_lPT10_S3_li.num_agpr, 0
	.set _ZL37rocblas_syrkx_herkx_restricted_kernelIi19rocblas_complex_numIdELi16ELi32ELi8ELi1ELi1ELb1ELc67ELc85EKS1_S1_EviT_PT9_S3_lS5_S3_lPT10_S3_li.numbered_sgpr, 22
	.set _ZL37rocblas_syrkx_herkx_restricted_kernelIi19rocblas_complex_numIdELi16ELi32ELi8ELi1ELi1ELb1ELc67ELc85EKS1_S1_EviT_PT9_S3_lS5_S3_lPT10_S3_li.num_named_barrier, 0
	.set _ZL37rocblas_syrkx_herkx_restricted_kernelIi19rocblas_complex_numIdELi16ELi32ELi8ELi1ELi1ELb1ELc67ELc85EKS1_S1_EviT_PT9_S3_lS5_S3_lPT10_S3_li.private_seg_size, 0
	.set _ZL37rocblas_syrkx_herkx_restricted_kernelIi19rocblas_complex_numIdELi16ELi32ELi8ELi1ELi1ELb1ELc67ELc85EKS1_S1_EviT_PT9_S3_lS5_S3_lPT10_S3_li.uses_vcc, 1
	.set _ZL37rocblas_syrkx_herkx_restricted_kernelIi19rocblas_complex_numIdELi16ELi32ELi8ELi1ELi1ELb1ELc67ELc85EKS1_S1_EviT_PT9_S3_lS5_S3_lPT10_S3_li.uses_flat_scratch, 0
	.set _ZL37rocblas_syrkx_herkx_restricted_kernelIi19rocblas_complex_numIdELi16ELi32ELi8ELi1ELi1ELb1ELc67ELc85EKS1_S1_EviT_PT9_S3_lS5_S3_lPT10_S3_li.has_dyn_sized_stack, 0
	.set _ZL37rocblas_syrkx_herkx_restricted_kernelIi19rocblas_complex_numIdELi16ELi32ELi8ELi1ELi1ELb1ELc67ELc85EKS1_S1_EviT_PT9_S3_lS5_S3_lPT10_S3_li.has_recursion, 0
	.set _ZL37rocblas_syrkx_herkx_restricted_kernelIi19rocblas_complex_numIdELi16ELi32ELi8ELi1ELi1ELb1ELc67ELc85EKS1_S1_EviT_PT9_S3_lS5_S3_lPT10_S3_li.has_indirect_call, 0
	.section	.AMDGPU.csdata,"",@progbits
; Kernel info:
; codeLenInByte = 2956
; TotalNumSgprs: 26
; NumVgprs: 52
; ScratchSize: 0
; MemoryBound: 0
; FloatMode: 240
; IeeeMode: 1
; LDSByteSize: 8192 bytes/workgroup (compile time only)
; SGPRBlocks: 8
; VGPRBlocks: 12
; NumSGPRsForWavesPerEU: 65
; NumVGPRsForWavesPerEU: 52
; Occupancy: 4
; WaveLimiterHint : 0
; COMPUTE_PGM_RSRC2:SCRATCH_EN: 0
; COMPUTE_PGM_RSRC2:USER_SGPR: 6
; COMPUTE_PGM_RSRC2:TRAP_HANDLER: 0
; COMPUTE_PGM_RSRC2:TGID_X_EN: 1
; COMPUTE_PGM_RSRC2:TGID_Y_EN: 1
; COMPUTE_PGM_RSRC2:TGID_Z_EN: 1
; COMPUTE_PGM_RSRC2:TIDIG_COMP_CNT: 1
	.section	.text._ZL37rocblas_syrkx_herkx_restricted_kernelIi19rocblas_complex_numIdELi16ELi32ELi8ELi1ELi1ELb1ELc78ELc85EKS1_S1_EviT_PT9_S3_lS5_S3_lPT10_S3_li,"axG",@progbits,_ZL37rocblas_syrkx_herkx_restricted_kernelIi19rocblas_complex_numIdELi16ELi32ELi8ELi1ELi1ELb1ELc78ELc85EKS1_S1_EviT_PT9_S3_lS5_S3_lPT10_S3_li,comdat
	.globl	_ZL37rocblas_syrkx_herkx_restricted_kernelIi19rocblas_complex_numIdELi16ELi32ELi8ELi1ELi1ELb1ELc78ELc85EKS1_S1_EviT_PT9_S3_lS5_S3_lPT10_S3_li ; -- Begin function _ZL37rocblas_syrkx_herkx_restricted_kernelIi19rocblas_complex_numIdELi16ELi32ELi8ELi1ELi1ELb1ELc78ELc85EKS1_S1_EviT_PT9_S3_lS5_S3_lPT10_S3_li
	.p2align	8
	.type	_ZL37rocblas_syrkx_herkx_restricted_kernelIi19rocblas_complex_numIdELi16ELi32ELi8ELi1ELi1ELb1ELc78ELc85EKS1_S1_EviT_PT9_S3_lS5_S3_lPT10_S3_li,@function
_ZL37rocblas_syrkx_herkx_restricted_kernelIi19rocblas_complex_numIdELi16ELi32ELi8ELi1ELi1ELb1ELc78ELc85EKS1_S1_EviT_PT9_S3_lS5_S3_lPT10_S3_li: ; @_ZL37rocblas_syrkx_herkx_restricted_kernelIi19rocblas_complex_numIdELi16ELi32ELi8ELi1ELi1ELb1ELc78ELc85EKS1_S1_EviT_PT9_S3_lS5_S3_lPT10_S3_li
; %bb.0:
	s_load_dwordx2 s[10:11], s[4:5], 0x0
	s_load_dwordx4 s[0:3], s[4:5], 0x30
	s_lshl_b32 s9, s6, 5
	s_lshl_b32 s16, s7, 5
	s_mov_b32 s17, 0
	s_waitcnt lgkmcnt(0)
	s_cmp_lt_i32 s11, 1
	s_cbranch_scc1 .LBB392_3
; %bb.1:
	v_lshl_add_u32 v7, v1, 4, v0
	s_load_dword s6, s[4:5], 0x10
	s_load_dword s18, s[4:5], 0x28
	s_load_dwordx2 s[20:21], s[4:5], 0x8
	s_load_dwordx4 s[12:15], s[4:5], 0x18
	v_lshrrev_b32_e32 v8, 3, v7
	v_add_u32_e32 v2, s16, v8
	v_and_b32_e32 v6, 7, v0
	v_ashrrev_i32_e32 v3, 31, v2
	s_waitcnt lgkmcnt(0)
	v_mad_i64_i32 v[4:5], s[22:23], s18, v6, v[2:3]
	v_and_b32_e32 v2, 31, v7
	v_lshrrev_b32_e32 v9, 5, v7
	v_lshlrev_b32_e32 v3, 4, v2
	v_lshl_or_b32 v22, v9, 9, v3
	v_lshlrev_b32_e32 v3, 4, v6
	v_lshl_or_b32 v3, v8, 7, v3
	v_add_u32_e32 v23, 0x1000, v3
	v_mov_b32_e32 v3, 0x1000
	v_add_u32_e32 v2, s9, v2
	v_lshl_add_u32 v25, v1, 7, v3
	v_ashrrev_i32_e32 v3, 31, v2
	v_mad_i64_i32 v[2:3], s[22:23], s6, v9, v[2:3]
	s_mul_i32 s13, s13, s8
	s_mul_hi_u32 s24, s12, s8
	s_add_i32 s13, s24, s13
	s_mul_i32 s12, s12, s8
	s_ashr_i32 s7, s6, 31
	s_ashr_i32 s19, s18, 31
	s_lshl_b64 s[12:13], s[12:13], 4
	v_lshlrev_b64 v[2:3], 4, v[2:3]
	s_add_u32 s12, s20, s12
	s_addc_u32 s13, s21, s13
	v_add_co_u32_e32 v2, vcc, s12, v2
	s_mul_i32 s1, s1, s8
	s_mul_hi_u32 s12, s0, s8
	v_mov_b32_e32 v6, s13
	s_add_i32 s1, s12, s1
	s_mul_i32 s0, s0, s8
	v_addc_co_u32_e32 v3, vcc, v6, v3, vcc
	s_lshl_b64 s[6:7], s[6:7], 7
	s_lshl_b64 s[0:1], s[0:1], 4
	v_add_co_u32_e32 v2, vcc, 8, v2
	v_lshlrev_b64 v[4:5], 4, v[4:5]
	s_add_u32 s0, s14, s0
	v_addc_co_u32_e32 v3, vcc, 0, v3, vcc
	s_addc_u32 s1, s15, s1
	v_mov_b32_e32 v6, s1
	v_add_co_u32_e32 v4, vcc, s0, v4
	v_addc_co_u32_e32 v5, vcc, v6, v5, vcc
	v_add_co_u32_e32 v4, vcc, 8, v4
	s_lshl_b64 s[0:1], s[18:19], 7
	v_mov_b32_e32 v10, 0
	v_mov_b32_e32 v12, 0
	v_mov_b32_e32 v16, 0
	v_mov_b32_e32 v14, 0
	v_mov_b32_e32 v8, 0
	v_mov_b32_e32 v6, 0
	v_mov_b32_e32 v20, 0
	v_mov_b32_e32 v18, 0
	v_lshlrev_b32_e32 v24, 4, v0
	v_addc_co_u32_e32 v5, vcc, 0, v5, vcc
	v_mov_b32_e32 v11, 0
	v_mov_b32_e32 v26, s7
	;; [unrolled: 1-line block ×10, first 2 shown]
.LBB392_2:                              ; =>This Inner Loop Header: Depth=1
	global_load_dwordx4 v[28:31], v[2:3], off offset:-8
	v_add_co_u32_e32 v2, vcc, s6, v2
	v_addc_co_u32_e32 v3, vcc, v3, v26, vcc
	s_add_i32 s17, s17, 8
	s_cmp_ge_i32 s17, s11
	s_waitcnt vmcnt(0)
	ds_write_b128 v22, v[28:31]
	global_load_dwordx4 v[28:31], v[4:5], off offset:-8
	v_add_co_u32_e32 v4, vcc, s0, v4
	v_addc_co_u32_e32 v5, vcc, v5, v27, vcc
	s_waitcnt vmcnt(0)
	v_xor_b32_e32 v31, 0x80000000, v31
	ds_write_b128 v23, v[28:31]
	s_waitcnt lgkmcnt(0)
	s_barrier
	ds_read_b128 v[28:31], v25
	ds_read_b128 v[32:35], v25 offset:16
	ds_read_b128 v[36:39], v25 offset:32
	;; [unrolled: 1-line block ×3, first 2 shown]
	ds_read_b128 v[44:47], v24
	s_waitcnt lgkmcnt(0)
	v_mul_f64 v[48:49], v[30:31], v[46:47]
	v_mul_f64 v[50:51], v[28:29], v[46:47]
	v_fma_f64 v[48:49], v[28:29], v[44:45], -v[48:49]
	v_fma_f64 v[50:51], v[30:31], v[44:45], v[50:51]
	v_add_f64 v[48:49], v[18:19], v[48:49]
	v_add_f64 v[50:51], v[50:51], v[20:21]
	ds_read_b128 v[18:21], v24 offset:256
	s_waitcnt lgkmcnt(0)
	v_mul_f64 v[52:53], v[30:31], v[20:21]
	v_fma_f64 v[52:53], v[28:29], v[18:19], -v[52:53]
	v_mul_f64 v[28:29], v[28:29], v[20:21]
	v_fma_f64 v[28:29], v[30:31], v[18:19], v[28:29]
	v_add_f64 v[30:31], v[6:7], v[52:53]
	v_add_f64 v[28:29], v[28:29], v[8:9]
	ds_read_b128 v[6:9], v25 offset:2048
	s_waitcnt lgkmcnt(0)
	v_mul_f64 v[52:53], v[8:9], v[46:47]
	v_mul_f64 v[46:47], v[6:7], v[46:47]
	v_fma_f64 v[52:53], v[6:7], v[44:45], -v[52:53]
	v_fma_f64 v[44:45], v[8:9], v[44:45], v[46:47]
	v_add_f64 v[46:47], v[14:15], v[52:53]
	v_mul_f64 v[14:15], v[8:9], v[20:21]
	v_add_f64 v[44:45], v[44:45], v[16:17]
	v_fma_f64 v[14:15], v[6:7], v[18:19], -v[14:15]
	v_mul_f64 v[6:7], v[6:7], v[20:21]
	v_fma_f64 v[6:7], v[8:9], v[18:19], v[6:7]
	v_add_f64 v[18:19], v[12:13], v[14:15]
	v_add_f64 v[20:21], v[6:7], v[10:11]
	ds_read_b128 v[6:9], v24 offset:512
	s_waitcnt lgkmcnt(0)
	v_mul_f64 v[10:11], v[34:35], v[8:9]
	v_mul_f64 v[12:13], v[32:33], v[8:9]
	v_fma_f64 v[10:11], v[32:33], v[6:7], -v[10:11]
	v_fma_f64 v[12:13], v[34:35], v[6:7], v[12:13]
	v_add_f64 v[48:49], v[48:49], v[10:11]
	v_add_f64 v[50:51], v[12:13], v[50:51]
	ds_read_b128 v[10:13], v24 offset:768
	s_waitcnt lgkmcnt(0)
	v_mul_f64 v[14:15], v[34:35], v[12:13]
	v_mul_f64 v[16:17], v[32:33], v[12:13]
	v_fma_f64 v[14:15], v[32:33], v[10:11], -v[14:15]
	;; [unrolled: 8-line block ×3, first 2 shown]
	v_fma_f64 v[6:7], v[16:17], v[6:7], v[8:9]
	v_mul_f64 v[8:9], v[14:15], v[12:13]
	v_add_f64 v[32:33], v[46:47], v[32:33]
	v_add_f64 v[34:35], v[6:7], v[44:45]
	v_mul_f64 v[6:7], v[16:17], v[12:13]
	v_fma_f64 v[8:9], v[16:17], v[10:11], v[8:9]
	v_fma_f64 v[6:7], v[14:15], v[10:11], -v[6:7]
	v_add_f64 v[20:21], v[8:9], v[20:21]
	v_add_f64 v[18:19], v[18:19], v[6:7]
	ds_read_b128 v[6:9], v24 offset:1024
	s_waitcnt lgkmcnt(0)
	v_mul_f64 v[10:11], v[38:39], v[8:9]
	v_mul_f64 v[12:13], v[36:37], v[8:9]
	v_fma_f64 v[10:11], v[36:37], v[6:7], -v[10:11]
	v_fma_f64 v[12:13], v[38:39], v[6:7], v[12:13]
	v_add_f64 v[44:45], v[48:49], v[10:11]
	v_add_f64 v[46:47], v[12:13], v[50:51]
	ds_read_b128 v[10:13], v24 offset:1280
	s_waitcnt lgkmcnt(0)
	v_mul_f64 v[14:15], v[38:39], v[12:13]
	v_mul_f64 v[16:17], v[36:37], v[12:13]
	v_fma_f64 v[14:15], v[36:37], v[10:11], -v[14:15]
	v_fma_f64 v[16:17], v[38:39], v[10:11], v[16:17]
	v_add_f64 v[30:31], v[30:31], v[14:15]
	v_add_f64 v[28:29], v[16:17], v[28:29]
	ds_read_b128 v[14:17], v25 offset:2080
	s_waitcnt lgkmcnt(0)
	v_mul_f64 v[36:37], v[16:17], v[8:9]
	v_mul_f64 v[8:9], v[14:15], v[8:9]
	v_fma_f64 v[36:37], v[14:15], v[6:7], -v[36:37]
	v_fma_f64 v[6:7], v[16:17], v[6:7], v[8:9]
	v_mul_f64 v[8:9], v[14:15], v[12:13]
	v_add_f64 v[32:33], v[32:33], v[36:37]
	v_add_f64 v[34:35], v[6:7], v[34:35]
	v_mul_f64 v[6:7], v[16:17], v[12:13]
	v_fma_f64 v[8:9], v[16:17], v[10:11], v[8:9]
	v_fma_f64 v[6:7], v[14:15], v[10:11], -v[6:7]
	v_add_f64 v[20:21], v[8:9], v[20:21]
	v_add_f64 v[18:19], v[18:19], v[6:7]
	ds_read_b128 v[6:9], v24 offset:1536
	s_waitcnt lgkmcnt(0)
	v_mul_f64 v[10:11], v[42:43], v[8:9]
	v_mul_f64 v[12:13], v[40:41], v[8:9]
	v_fma_f64 v[10:11], v[40:41], v[6:7], -v[10:11]
	v_fma_f64 v[12:13], v[42:43], v[6:7], v[12:13]
	v_add_f64 v[36:37], v[44:45], v[10:11]
	v_add_f64 v[38:39], v[12:13], v[46:47]
	ds_read_b128 v[10:13], v24 offset:1792
	s_waitcnt lgkmcnt(0)
	v_mul_f64 v[14:15], v[42:43], v[12:13]
	v_mul_f64 v[16:17], v[40:41], v[12:13]
	v_fma_f64 v[14:15], v[40:41], v[10:11], -v[14:15]
	v_fma_f64 v[16:17], v[42:43], v[10:11], v[16:17]
	;; [unrolled: 8-line block ×3, first 2 shown]
	v_mul_f64 v[8:9], v[14:15], v[12:13]
	v_add_f64 v[32:33], v[32:33], v[40:41]
	v_add_f64 v[34:35], v[6:7], v[34:35]
	v_mul_f64 v[6:7], v[16:17], v[12:13]
	v_fma_f64 v[8:9], v[16:17], v[10:11], v[8:9]
	v_fma_f64 v[6:7], v[14:15], v[10:11], -v[6:7]
	v_add_f64 v[20:21], v[8:9], v[20:21]
	v_add_f64 v[18:19], v[18:19], v[6:7]
	ds_read_b128 v[6:9], v25 offset:64
	ds_read_b128 v[10:13], v24 offset:2048
	s_waitcnt lgkmcnt(0)
	v_mul_f64 v[14:15], v[8:9], v[12:13]
	v_mul_f64 v[16:17], v[6:7], v[12:13]
	v_fma_f64 v[14:15], v[6:7], v[10:11], -v[14:15]
	v_fma_f64 v[16:17], v[8:9], v[10:11], v[16:17]
	v_add_f64 v[36:37], v[36:37], v[14:15]
	v_add_f64 v[38:39], v[16:17], v[38:39]
	ds_read_b128 v[14:17], v24 offset:2304
	s_waitcnt lgkmcnt(0)
	v_mul_f64 v[40:41], v[8:9], v[16:17]
	v_fma_f64 v[40:41], v[6:7], v[14:15], -v[40:41]
	v_mul_f64 v[6:7], v[6:7], v[16:17]
	v_add_f64 v[30:31], v[30:31], v[40:41]
	v_fma_f64 v[6:7], v[8:9], v[14:15], v[6:7]
	v_add_f64 v[28:29], v[6:7], v[28:29]
	ds_read_b128 v[6:9], v25 offset:2112
	s_waitcnt lgkmcnt(0)
	v_mul_f64 v[40:41], v[8:9], v[12:13]
	v_mul_f64 v[12:13], v[6:7], v[12:13]
	v_fma_f64 v[40:41], v[6:7], v[10:11], -v[40:41]
	v_fma_f64 v[10:11], v[8:9], v[10:11], v[12:13]
	v_add_f64 v[32:33], v[32:33], v[40:41]
	v_add_f64 v[34:35], v[10:11], v[34:35]
	v_mul_f64 v[10:11], v[8:9], v[16:17]
	v_fma_f64 v[10:11], v[6:7], v[14:15], -v[10:11]
	v_mul_f64 v[6:7], v[6:7], v[16:17]
	v_add_f64 v[18:19], v[18:19], v[10:11]
	v_fma_f64 v[6:7], v[8:9], v[14:15], v[6:7]
	v_add_f64 v[20:21], v[6:7], v[20:21]
	ds_read_b128 v[6:9], v25 offset:80
	ds_read_b128 v[10:13], v24 offset:2560
	s_waitcnt lgkmcnt(0)
	v_mul_f64 v[14:15], v[8:9], v[12:13]
	v_mul_f64 v[16:17], v[6:7], v[12:13]
	v_fma_f64 v[14:15], v[6:7], v[10:11], -v[14:15]
	v_fma_f64 v[16:17], v[8:9], v[10:11], v[16:17]
	v_add_f64 v[36:37], v[36:37], v[14:15]
	v_add_f64 v[38:39], v[16:17], v[38:39]
	ds_read_b128 v[14:17], v24 offset:2816
	s_waitcnt lgkmcnt(0)
	v_mul_f64 v[40:41], v[8:9], v[16:17]
	v_fma_f64 v[40:41], v[6:7], v[14:15], -v[40:41]
	v_mul_f64 v[6:7], v[6:7], v[16:17]
	v_add_f64 v[30:31], v[30:31], v[40:41]
	v_fma_f64 v[6:7], v[8:9], v[14:15], v[6:7]
	v_add_f64 v[28:29], v[6:7], v[28:29]
	ds_read_b128 v[6:9], v25 offset:2128
	s_waitcnt lgkmcnt(0)
	v_mul_f64 v[40:41], v[8:9], v[12:13]
	v_mul_f64 v[12:13], v[6:7], v[12:13]
	v_fma_f64 v[40:41], v[6:7], v[10:11], -v[40:41]
	v_fma_f64 v[10:11], v[8:9], v[10:11], v[12:13]
	v_add_f64 v[32:33], v[32:33], v[40:41]
	v_add_f64 v[34:35], v[10:11], v[34:35]
	v_mul_f64 v[10:11], v[8:9], v[16:17]
	v_fma_f64 v[10:11], v[6:7], v[14:15], -v[10:11]
	v_mul_f64 v[6:7], v[6:7], v[16:17]
	v_add_f64 v[18:19], v[18:19], v[10:11]
	v_fma_f64 v[6:7], v[8:9], v[14:15], v[6:7]
	;; [unrolled: 31-line block ×3, first 2 shown]
	v_add_f64 v[50:51], v[6:7], v[20:21]
	ds_read_b128 v[6:9], v25 offset:112
	ds_read_b128 v[10:13], v24 offset:3584
	;; [unrolled: 1-line block ×4, first 2 shown]
	s_waitcnt lgkmcnt(0)
	s_barrier
	v_mul_f64 v[14:15], v[8:9], v[12:13]
	v_mul_f64 v[16:17], v[6:7], v[12:13]
	v_fma_f64 v[14:15], v[6:7], v[10:11], -v[14:15]
	v_fma_f64 v[16:17], v[8:9], v[10:11], v[16:17]
	v_add_f64 v[18:19], v[36:37], v[14:15]
	v_mul_f64 v[14:15], v[8:9], v[30:31]
	v_add_f64 v[20:21], v[16:17], v[38:39]
	v_fma_f64 v[14:15], v[6:7], v[28:29], -v[14:15]
	v_mul_f64 v[6:7], v[6:7], v[30:31]
	v_fma_f64 v[8:9], v[8:9], v[28:29], v[6:7]
	v_add_f64 v[6:7], v[40:41], v[14:15]
	v_mul_f64 v[14:15], v[34:35], v[12:13]
	v_mul_f64 v[12:13], v[32:33], v[12:13]
	v_add_f64 v[8:9], v[8:9], v[42:43]
	v_fma_f64 v[14:15], v[32:33], v[10:11], -v[14:15]
	v_fma_f64 v[10:11], v[34:35], v[10:11], v[12:13]
	v_mul_f64 v[12:13], v[32:33], v[30:31]
	v_add_f64 v[14:15], v[44:45], v[14:15]
	v_add_f64 v[16:17], v[10:11], v[46:47]
	v_mul_f64 v[10:11], v[34:35], v[30:31]
	v_fma_f64 v[10:11], v[32:33], v[28:29], -v[10:11]
	v_fma_f64 v[28:29], v[34:35], v[28:29], v[12:13]
	v_add_f64 v[12:13], v[48:49], v[10:11]
	v_add_f64 v[10:11], v[28:29], v[50:51]
	s_cbranch_scc0 .LBB392_2
	s_branch .LBB392_4
.LBB392_3:
	v_mov_b32_e32 v18, 0
	v_mov_b32_e32 v20, 0
	;; [unrolled: 1-line block ×16, first 2 shown]
.LBB392_4:
	s_load_dwordx2 s[0:1], s[4:5], 0x48
	s_load_dword s6, s[4:5], 0x40
	v_add_u32_e32 v4, s16, v1
	v_add_u32_e32 v0, s9, v0
	v_cmp_gt_i32_e32 vcc, s10, v4
	s_waitcnt lgkmcnt(0)
	s_mul_i32 s1, s1, s8
	v_mad_i64_i32 v[1:2], s[12:13], v4, s6, 0
	s_mul_hi_u32 s4, s0, s8
	s_mul_i32 s0, s0, s8
	s_add_i32 s1, s4, s1
	s_lshl_b64 s[0:1], s[0:1], 4
	s_add_u32 s4, s2, s0
	v_lshlrev_b64 v[1:2], 4, v[1:2]
	s_addc_u32 s5, s3, s1
	v_mov_b32_e32 v3, s5
	v_add_co_u32_e64 v5, s[0:1], s4, v1
	v_addc_co_u32_e64 v22, s[0:1], v3, v2, s[0:1]
	v_cmp_le_i32_e64 s[0:1], v0, v4
	s_and_b64 s[0:1], vcc, s[0:1]
	s_and_saveexec_b64 s[2:3], s[0:1]
	s_cbranch_execz .LBB392_6
; %bb.5:
	v_ashrrev_i32_e32 v1, 31, v0
	v_lshlrev_b64 v[1:2], 4, v[0:1]
	v_add_co_u32_e64 v1, s[0:1], v5, v1
	v_addc_co_u32_e64 v2, s[0:1], v22, v2, s[0:1]
	global_load_dwordx4 v[23:26], v[1:2], off
	v_cmp_ne_u32_e64 s[0:1], v4, v0
	s_waitcnt vmcnt(0)
	v_add_f64 v[20:21], v[20:21], v[25:26]
	v_add_f64 v[18:19], v[18:19], v[23:24]
	v_cndmask_b32_e64 v21, 0, v21, s[0:1]
	v_cndmask_b32_e64 v20, 0, v20, s[0:1]
	global_store_dwordx4 v[1:2], v[18:21], off
.LBB392_6:
	s_or_b64 exec, exec, s[2:3]
	v_add_u32_e32 v2, 16, v0
	v_cmp_le_i32_e64 s[0:1], v2, v4
	s_and_b64 s[2:3], vcc, s[0:1]
	s_and_saveexec_b64 s[0:1], s[2:3]
	s_cbranch_execz .LBB392_8
; %bb.7:
	v_ashrrev_i32_e32 v3, 31, v2
	v_lshlrev_b64 v[18:19], 4, v[2:3]
	v_add_co_u32_e32 v23, vcc, v5, v18
	v_addc_co_u32_e32 v24, vcc, v22, v19, vcc
	global_load_dwordx4 v[18:21], v[23:24], off
	v_cmp_ne_u32_e32 vcc, v4, v2
	s_waitcnt vmcnt(0)
	v_add_f64 v[20:21], v[8:9], v[20:21]
	v_add_f64 v[5:6], v[6:7], v[18:19]
	v_cndmask_b32_e32 v8, 0, v21, vcc
	v_cndmask_b32_e32 v7, 0, v20, vcc
	global_store_dwordx4 v[23:24], v[5:8], off
.LBB392_8:
	s_or_b64 exec, exec, s[0:1]
	v_add_u32_e32 v3, 16, v4
	v_mad_i64_i32 v[5:6], s[0:1], v3, s6, 0
	v_mov_b32_e32 v1, s5
	v_cmp_gt_i32_e32 vcc, s10, v3
	v_lshlrev_b64 v[5:6], 4, v[5:6]
	v_add_co_u32_e64 v5, s[0:1], s4, v5
	v_addc_co_u32_e64 v6, s[0:1], v1, v6, s[0:1]
	v_cmp_le_i32_e64 s[0:1], v0, v3
	s_and_b64 s[0:1], vcc, s[0:1]
	s_and_saveexec_b64 s[2:3], s[0:1]
	s_cbranch_execz .LBB392_10
; %bb.9:
	v_ashrrev_i32_e32 v1, 31, v0
	v_lshlrev_b64 v[7:8], 4, v[0:1]
	v_add_co_u32_e64 v7, s[0:1], v5, v7
	v_addc_co_u32_e64 v8, s[0:1], v6, v8, s[0:1]
	global_load_dwordx4 v[18:21], v[7:8], off
	v_cmp_ne_u32_e64 s[0:1], v3, v0
	s_waitcnt vmcnt(0)
	v_add_f64 v[16:17], v[16:17], v[20:21]
	v_add_f64 v[14:15], v[14:15], v[18:19]
	v_cndmask_b32_e64 v17, 0, v17, s[0:1]
	v_cndmask_b32_e64 v16, 0, v16, s[0:1]
	global_store_dwordx4 v[7:8], v[14:17], off
.LBB392_10:
	s_or_b64 exec, exec, s[2:3]
	v_cmp_le_i32_e64 s[0:1], v2, v3
	s_and_b64 s[0:1], vcc, s[0:1]
	s_and_saveexec_b64 s[2:3], s[0:1]
	s_cbranch_execz .LBB392_12
; %bb.11:
	v_ashrrev_i32_e32 v3, 31, v2
	v_lshlrev_b64 v[1:2], 4, v[2:3]
	v_add_co_u32_e32 v14, vcc, v5, v1
	v_addc_co_u32_e32 v15, vcc, v6, v2, vcc
	global_load_dwordx4 v[5:8], v[14:15], off
	v_cmp_ne_u32_e32 vcc, v4, v0
	s_waitcnt vmcnt(0)
	v_add_f64 v[7:8], v[10:11], v[7:8]
	v_add_f64 v[1:2], v[12:13], v[5:6]
	v_cndmask_b32_e32 v4, 0, v8, vcc
	v_cndmask_b32_e32 v3, 0, v7, vcc
	global_store_dwordx4 v[14:15], v[1:4], off
.LBB392_12:
	s_endpgm
	.section	.rodata,"a",@progbits
	.p2align	6, 0x0
	.amdhsa_kernel _ZL37rocblas_syrkx_herkx_restricted_kernelIi19rocblas_complex_numIdELi16ELi32ELi8ELi1ELi1ELb1ELc78ELc85EKS1_S1_EviT_PT9_S3_lS5_S3_lPT10_S3_li
		.amdhsa_group_segment_fixed_size 8192
		.amdhsa_private_segment_fixed_size 0
		.amdhsa_kernarg_size 84
		.amdhsa_user_sgpr_count 6
		.amdhsa_user_sgpr_private_segment_buffer 1
		.amdhsa_user_sgpr_dispatch_ptr 0
		.amdhsa_user_sgpr_queue_ptr 0
		.amdhsa_user_sgpr_kernarg_segment_ptr 1
		.amdhsa_user_sgpr_dispatch_id 0
		.amdhsa_user_sgpr_flat_scratch_init 0
		.amdhsa_user_sgpr_private_segment_size 0
		.amdhsa_uses_dynamic_stack 0
		.amdhsa_system_sgpr_private_segment_wavefront_offset 0
		.amdhsa_system_sgpr_workgroup_id_x 1
		.amdhsa_system_sgpr_workgroup_id_y 1
		.amdhsa_system_sgpr_workgroup_id_z 1
		.amdhsa_system_sgpr_workgroup_info 0
		.amdhsa_system_vgpr_workitem_id 1
		.amdhsa_next_free_vgpr 54
		.amdhsa_next_free_sgpr 61
		.amdhsa_reserve_vcc 1
		.amdhsa_reserve_flat_scratch 0
		.amdhsa_float_round_mode_32 0
		.amdhsa_float_round_mode_16_64 0
		.amdhsa_float_denorm_mode_32 3
		.amdhsa_float_denorm_mode_16_64 3
		.amdhsa_dx10_clamp 1
		.amdhsa_ieee_mode 1
		.amdhsa_fp16_overflow 0
		.amdhsa_exception_fp_ieee_invalid_op 0
		.amdhsa_exception_fp_denorm_src 0
		.amdhsa_exception_fp_ieee_div_zero 0
		.amdhsa_exception_fp_ieee_overflow 0
		.amdhsa_exception_fp_ieee_underflow 0
		.amdhsa_exception_fp_ieee_inexact 0
		.amdhsa_exception_int_div_zero 0
	.end_amdhsa_kernel
	.section	.text._ZL37rocblas_syrkx_herkx_restricted_kernelIi19rocblas_complex_numIdELi16ELi32ELi8ELi1ELi1ELb1ELc78ELc85EKS1_S1_EviT_PT9_S3_lS5_S3_lPT10_S3_li,"axG",@progbits,_ZL37rocblas_syrkx_herkx_restricted_kernelIi19rocblas_complex_numIdELi16ELi32ELi8ELi1ELi1ELb1ELc78ELc85EKS1_S1_EviT_PT9_S3_lS5_S3_lPT10_S3_li,comdat
.Lfunc_end392:
	.size	_ZL37rocblas_syrkx_herkx_restricted_kernelIi19rocblas_complex_numIdELi16ELi32ELi8ELi1ELi1ELb1ELc78ELc85EKS1_S1_EviT_PT9_S3_lS5_S3_lPT10_S3_li, .Lfunc_end392-_ZL37rocblas_syrkx_herkx_restricted_kernelIi19rocblas_complex_numIdELi16ELi32ELi8ELi1ELi1ELb1ELc78ELc85EKS1_S1_EviT_PT9_S3_lS5_S3_lPT10_S3_li
                                        ; -- End function
	.set _ZL37rocblas_syrkx_herkx_restricted_kernelIi19rocblas_complex_numIdELi16ELi32ELi8ELi1ELi1ELb1ELc78ELc85EKS1_S1_EviT_PT9_S3_lS5_S3_lPT10_S3_li.num_vgpr, 54
	.set _ZL37rocblas_syrkx_herkx_restricted_kernelIi19rocblas_complex_numIdELi16ELi32ELi8ELi1ELi1ELb1ELc78ELc85EKS1_S1_EviT_PT9_S3_lS5_S3_lPT10_S3_li.num_agpr, 0
	.set _ZL37rocblas_syrkx_herkx_restricted_kernelIi19rocblas_complex_numIdELi16ELi32ELi8ELi1ELi1ELb1ELc78ELc85EKS1_S1_EviT_PT9_S3_lS5_S3_lPT10_S3_li.numbered_sgpr, 25
	.set _ZL37rocblas_syrkx_herkx_restricted_kernelIi19rocblas_complex_numIdELi16ELi32ELi8ELi1ELi1ELb1ELc78ELc85EKS1_S1_EviT_PT9_S3_lS5_S3_lPT10_S3_li.num_named_barrier, 0
	.set _ZL37rocblas_syrkx_herkx_restricted_kernelIi19rocblas_complex_numIdELi16ELi32ELi8ELi1ELi1ELb1ELc78ELc85EKS1_S1_EviT_PT9_S3_lS5_S3_lPT10_S3_li.private_seg_size, 0
	.set _ZL37rocblas_syrkx_herkx_restricted_kernelIi19rocblas_complex_numIdELi16ELi32ELi8ELi1ELi1ELb1ELc78ELc85EKS1_S1_EviT_PT9_S3_lS5_S3_lPT10_S3_li.uses_vcc, 1
	.set _ZL37rocblas_syrkx_herkx_restricted_kernelIi19rocblas_complex_numIdELi16ELi32ELi8ELi1ELi1ELb1ELc78ELc85EKS1_S1_EviT_PT9_S3_lS5_S3_lPT10_S3_li.uses_flat_scratch, 0
	.set _ZL37rocblas_syrkx_herkx_restricted_kernelIi19rocblas_complex_numIdELi16ELi32ELi8ELi1ELi1ELb1ELc78ELc85EKS1_S1_EviT_PT9_S3_lS5_S3_lPT10_S3_li.has_dyn_sized_stack, 0
	.set _ZL37rocblas_syrkx_herkx_restricted_kernelIi19rocblas_complex_numIdELi16ELi32ELi8ELi1ELi1ELb1ELc78ELc85EKS1_S1_EviT_PT9_S3_lS5_S3_lPT10_S3_li.has_recursion, 0
	.set _ZL37rocblas_syrkx_herkx_restricted_kernelIi19rocblas_complex_numIdELi16ELi32ELi8ELi1ELi1ELb1ELc78ELc85EKS1_S1_EviT_PT9_S3_lS5_S3_lPT10_S3_li.has_indirect_call, 0
	.section	.AMDGPU.csdata,"",@progbits
; Kernel info:
; codeLenInByte = 2972
; TotalNumSgprs: 29
; NumVgprs: 54
; ScratchSize: 0
; MemoryBound: 0
; FloatMode: 240
; IeeeMode: 1
; LDSByteSize: 8192 bytes/workgroup (compile time only)
; SGPRBlocks: 8
; VGPRBlocks: 13
; NumSGPRsForWavesPerEU: 65
; NumVGPRsForWavesPerEU: 54
; Occupancy: 4
; WaveLimiterHint : 0
; COMPUTE_PGM_RSRC2:SCRATCH_EN: 0
; COMPUTE_PGM_RSRC2:USER_SGPR: 6
; COMPUTE_PGM_RSRC2:TRAP_HANDLER: 0
; COMPUTE_PGM_RSRC2:TGID_X_EN: 1
; COMPUTE_PGM_RSRC2:TGID_Y_EN: 1
; COMPUTE_PGM_RSRC2:TGID_Z_EN: 1
; COMPUTE_PGM_RSRC2:TIDIG_COMP_CNT: 1
	.section	.text._ZL37rocblas_syrkx_herkx_restricted_kernelIi19rocblas_complex_numIdELi16ELi32ELi8ELi1ELin1ELb1ELc84ELc76EKS1_S1_EviT_PT9_S3_lS5_S3_lPT10_S3_li,"axG",@progbits,_ZL37rocblas_syrkx_herkx_restricted_kernelIi19rocblas_complex_numIdELi16ELi32ELi8ELi1ELin1ELb1ELc84ELc76EKS1_S1_EviT_PT9_S3_lS5_S3_lPT10_S3_li,comdat
	.globl	_ZL37rocblas_syrkx_herkx_restricted_kernelIi19rocblas_complex_numIdELi16ELi32ELi8ELi1ELin1ELb1ELc84ELc76EKS1_S1_EviT_PT9_S3_lS5_S3_lPT10_S3_li ; -- Begin function _ZL37rocblas_syrkx_herkx_restricted_kernelIi19rocblas_complex_numIdELi16ELi32ELi8ELi1ELin1ELb1ELc84ELc76EKS1_S1_EviT_PT9_S3_lS5_S3_lPT10_S3_li
	.p2align	8
	.type	_ZL37rocblas_syrkx_herkx_restricted_kernelIi19rocblas_complex_numIdELi16ELi32ELi8ELi1ELin1ELb1ELc84ELc76EKS1_S1_EviT_PT9_S3_lS5_S3_lPT10_S3_li,@function
_ZL37rocblas_syrkx_herkx_restricted_kernelIi19rocblas_complex_numIdELi16ELi32ELi8ELi1ELin1ELb1ELc84ELc76EKS1_S1_EviT_PT9_S3_lS5_S3_lPT10_S3_li: ; @_ZL37rocblas_syrkx_herkx_restricted_kernelIi19rocblas_complex_numIdELi16ELi32ELi8ELi1ELin1ELb1ELc84ELc76EKS1_S1_EviT_PT9_S3_lS5_S3_lPT10_S3_li
; %bb.0:
	s_load_dwordx2 s[10:11], s[4:5], 0x0
	s_load_dwordx4 s[0:3], s[4:5], 0x30
	s_lshl_b32 s6, s6, 5
	s_lshl_b32 s7, s7, 5
	s_mov_b32 s9, 0
	s_waitcnt lgkmcnt(0)
	s_cmp_lt_i32 s11, 1
	s_cbranch_scc1 .LBB393_3
; %bb.1:
	s_load_dwordx2 s[16:17], s[4:5], 0x8
	s_load_dword s20, s[4:5], 0x10
	s_load_dwordx4 s[12:15], s[4:5], 0x18
	s_load_dword s18, s[4:5], 0x28
	v_lshl_add_u32 v6, v1, 4, v0
	v_lshrrev_b32_e32 v8, 3, v6
	v_add_u32_e32 v4, s7, v8
	v_and_b32_e32 v2, 7, v0
	v_mov_b32_e32 v3, 0
	s_waitcnt lgkmcnt(0)
	v_mad_i64_i32 v[4:5], s[18:19], s18, v4, v[2:3]
	v_lshlrev_b32_e32 v2, 4, v2
	v_lshl_or_b32 v2, v8, 7, v2
	v_and_b32_e32 v9, 31, v6
	v_add_u32_e32 v23, 0x1000, v2
	v_mov_b32_e32 v2, 0x1000
	v_lshrrev_b32_e32 v6, 5, v6
	v_mov_b32_e32 v7, v3
	v_lshlrev_b32_e32 v3, 4, v9
	v_lshl_add_u32 v25, v1, 7, v2
	v_add_u32_e32 v2, s6, v9
	v_lshl_or_b32 v22, v6, 9, v3
	v_mad_i64_i32 v[2:3], s[18:19], s20, v2, v[6:7]
	s_mul_i32 s13, s13, s8
	s_mul_hi_u32 s21, s12, s8
	s_add_i32 s13, s21, s13
	s_mul_i32 s12, s12, s8
	s_lshl_b64 s[12:13], s[12:13], 4
	v_lshlrev_b64 v[2:3], 4, v[2:3]
	s_add_u32 s12, s16, s12
	s_addc_u32 s13, s17, s13
	v_add_co_u32_e32 v2, vcc, s12, v2
	s_mul_i32 s1, s1, s8
	s_mul_hi_u32 s12, s0, s8
	v_mov_b32_e32 v6, s13
	s_add_i32 s1, s12, s1
	s_mul_i32 s0, s0, s8
	v_addc_co_u32_e32 v3, vcc, v6, v3, vcc
	s_lshl_b64 s[0:1], s[0:1], 4
	v_add_co_u32_e32 v2, vcc, 8, v2
	v_lshlrev_b64 v[4:5], 4, v[4:5]
	s_add_u32 s0, s14, s0
	v_addc_co_u32_e32 v3, vcc, 0, v3, vcc
	s_addc_u32 s1, s15, s1
	v_mov_b32_e32 v6, s1
	v_add_co_u32_e32 v4, vcc, s0, v4
	v_addc_co_u32_e32 v5, vcc, v6, v5, vcc
	v_mov_b32_e32 v10, 0
	v_mov_b32_e32 v12, 0
	;; [unrolled: 1-line block ×8, first 2 shown]
	v_add_co_u32_e32 v4, vcc, 8, v4
	v_lshlrev_b32_e32 v24, 4, v0
	v_mov_b32_e32 v11, 0
	v_mov_b32_e32 v13, 0
	;; [unrolled: 1-line block ×8, first 2 shown]
	v_addc_co_u32_e32 v5, vcc, 0, v5, vcc
.LBB393_2:                              ; =>This Inner Loop Header: Depth=1
	global_load_dwordx4 v[26:29], v[2:3], off offset:-8
	v_add_co_u32_e32 v2, vcc, 0x80, v2
	v_addc_co_u32_e32 v3, vcc, 0, v3, vcc
	s_add_i32 s9, s9, 8
	s_cmp_ge_i32 s9, s11
	s_waitcnt vmcnt(0)
	ds_write_b128 v22, v[26:29]
	global_load_dwordx4 v[26:29], v[4:5], off offset:-8
	v_add_co_u32_e32 v4, vcc, 0x80, v4
	v_addc_co_u32_e32 v5, vcc, 0, v5, vcc
	s_waitcnt vmcnt(0)
	ds_write_b128 v23, v[26:29]
	s_waitcnt lgkmcnt(0)
	s_barrier
	ds_read_b128 v[26:29], v25
	ds_read_b128 v[30:33], v25 offset:16
	ds_read_b128 v[34:37], v25 offset:32
	;; [unrolled: 1-line block ×3, first 2 shown]
	ds_read_b128 v[42:45], v24
	s_waitcnt lgkmcnt(0)
	v_mul_f64 v[46:47], v[28:29], v[44:45]
	v_mul_f64 v[48:49], v[26:27], v[44:45]
	v_fma_f64 v[46:47], v[26:27], v[42:43], -v[46:47]
	v_fma_f64 v[48:49], v[28:29], v[42:43], v[48:49]
	v_add_f64 v[14:15], v[14:15], v[46:47]
	v_add_f64 v[18:19], v[48:49], v[18:19]
	ds_read_b128 v[46:49], v24 offset:256
	s_waitcnt lgkmcnt(0)
	v_mul_f64 v[50:51], v[28:29], v[48:49]
	v_fma_f64 v[50:51], v[26:27], v[46:47], -v[50:51]
	v_mul_f64 v[26:27], v[26:27], v[48:49]
	v_fma_f64 v[26:27], v[28:29], v[46:47], v[26:27]
	v_add_f64 v[28:29], v[6:7], v[50:51]
	v_add_f64 v[26:27], v[26:27], v[8:9]
	ds_read_b128 v[6:9], v25 offset:2048
	s_waitcnt lgkmcnt(0)
	v_mul_f64 v[50:51], v[8:9], v[44:45]
	v_mul_f64 v[44:45], v[6:7], v[44:45]
	v_fma_f64 v[50:51], v[6:7], v[42:43], -v[50:51]
	v_fma_f64 v[42:43], v[8:9], v[42:43], v[44:45]
	v_add_f64 v[44:45], v[16:17], v[50:51]
	v_mul_f64 v[16:17], v[8:9], v[48:49]
	v_add_f64 v[20:21], v[42:43], v[20:21]
	v_fma_f64 v[16:17], v[6:7], v[46:47], -v[16:17]
	v_mul_f64 v[6:7], v[6:7], v[48:49]
	v_add_f64 v[42:43], v[12:13], v[16:17]
	v_fma_f64 v[6:7], v[8:9], v[46:47], v[6:7]
	v_add_f64 v[46:47], v[6:7], v[10:11]
	ds_read_b128 v[6:9], v24 offset:512
	s_waitcnt lgkmcnt(0)
	v_mul_f64 v[10:11], v[32:33], v[8:9]
	v_mul_f64 v[12:13], v[30:31], v[8:9]
	v_fma_f64 v[10:11], v[30:31], v[6:7], -v[10:11]
	v_fma_f64 v[12:13], v[32:33], v[6:7], v[12:13]
	v_add_f64 v[48:49], v[14:15], v[10:11]
	v_add_f64 v[18:19], v[12:13], v[18:19]
	ds_read_b128 v[10:13], v24 offset:768
	s_waitcnt lgkmcnt(0)
	v_mul_f64 v[14:15], v[32:33], v[12:13]
	v_mul_f64 v[16:17], v[30:31], v[12:13]
	v_fma_f64 v[14:15], v[30:31], v[10:11], -v[14:15]
	v_fma_f64 v[16:17], v[32:33], v[10:11], v[16:17]
	v_add_f64 v[28:29], v[28:29], v[14:15]
	v_add_f64 v[26:27], v[16:17], v[26:27]
	ds_read_b128 v[14:17], v25 offset:2064
	s_waitcnt lgkmcnt(0)
	v_mul_f64 v[30:31], v[16:17], v[8:9]
	v_mul_f64 v[8:9], v[14:15], v[8:9]
	v_fma_f64 v[30:31], v[14:15], v[6:7], -v[30:31]
	v_fma_f64 v[6:7], v[16:17], v[6:7], v[8:9]
	v_mul_f64 v[8:9], v[14:15], v[12:13]
	v_add_f64 v[30:31], v[44:45], v[30:31]
	v_add_f64 v[20:21], v[6:7], v[20:21]
	v_mul_f64 v[6:7], v[16:17], v[12:13]
	v_fma_f64 v[8:9], v[16:17], v[10:11], v[8:9]
	v_fma_f64 v[6:7], v[14:15], v[10:11], -v[6:7]
	v_add_f64 v[32:33], v[42:43], v[6:7]
	v_add_f64 v[42:43], v[8:9], v[46:47]
	ds_read_b128 v[6:9], v24 offset:1024
	s_waitcnt lgkmcnt(0)
	v_mul_f64 v[10:11], v[36:37], v[8:9]
	v_mul_f64 v[12:13], v[34:35], v[8:9]
	v_fma_f64 v[10:11], v[34:35], v[6:7], -v[10:11]
	v_fma_f64 v[12:13], v[36:37], v[6:7], v[12:13]
	v_add_f64 v[44:45], v[48:49], v[10:11]
	v_add_f64 v[18:19], v[12:13], v[18:19]
	ds_read_b128 v[10:13], v24 offset:1280
	s_waitcnt lgkmcnt(0)
	v_mul_f64 v[14:15], v[36:37], v[12:13]
	v_mul_f64 v[16:17], v[34:35], v[12:13]
	v_fma_f64 v[14:15], v[34:35], v[10:11], -v[14:15]
	v_fma_f64 v[16:17], v[36:37], v[10:11], v[16:17]
	v_add_f64 v[28:29], v[28:29], v[14:15]
	v_add_f64 v[26:27], v[16:17], v[26:27]
	ds_read_b128 v[14:17], v25 offset:2080
	s_waitcnt lgkmcnt(0)
	v_mul_f64 v[34:35], v[16:17], v[8:9]
	v_mul_f64 v[8:9], v[14:15], v[8:9]
	v_fma_f64 v[34:35], v[14:15], v[6:7], -v[34:35]
	v_fma_f64 v[6:7], v[16:17], v[6:7], v[8:9]
	v_mul_f64 v[8:9], v[14:15], v[12:13]
	v_add_f64 v[30:31], v[30:31], v[34:35]
	v_add_f64 v[20:21], v[6:7], v[20:21]
	v_mul_f64 v[6:7], v[16:17], v[12:13]
	v_fma_f64 v[8:9], v[16:17], v[10:11], v[8:9]
	v_fma_f64 v[6:7], v[14:15], v[10:11], -v[6:7]
	v_add_f64 v[34:35], v[8:9], v[42:43]
	;; [unrolled: 30-line block ×3, first 2 shown]
	v_add_f64 v[32:33], v[32:33], v[6:7]
	ds_read_b128 v[6:9], v25 offset:64
	ds_read_b128 v[10:13], v24 offset:2048
	s_waitcnt lgkmcnt(0)
	v_mul_f64 v[14:15], v[8:9], v[12:13]
	v_mul_f64 v[16:17], v[6:7], v[12:13]
	v_fma_f64 v[14:15], v[6:7], v[10:11], -v[14:15]
	v_fma_f64 v[16:17], v[8:9], v[10:11], v[16:17]
	v_add_f64 v[36:37], v[36:37], v[14:15]
	v_add_f64 v[18:19], v[16:17], v[18:19]
	ds_read_b128 v[14:17], v24 offset:2304
	s_waitcnt lgkmcnt(0)
	v_mul_f64 v[38:39], v[8:9], v[16:17]
	v_fma_f64 v[38:39], v[6:7], v[14:15], -v[38:39]
	v_mul_f64 v[6:7], v[6:7], v[16:17]
	v_add_f64 v[28:29], v[28:29], v[38:39]
	v_fma_f64 v[6:7], v[8:9], v[14:15], v[6:7]
	v_add_f64 v[26:27], v[6:7], v[26:27]
	ds_read_b128 v[6:9], v25 offset:2112
	s_waitcnt lgkmcnt(0)
	v_mul_f64 v[38:39], v[8:9], v[12:13]
	v_mul_f64 v[12:13], v[6:7], v[12:13]
	v_fma_f64 v[38:39], v[6:7], v[10:11], -v[38:39]
	v_fma_f64 v[10:11], v[8:9], v[10:11], v[12:13]
	v_add_f64 v[30:31], v[30:31], v[38:39]
	v_add_f64 v[20:21], v[10:11], v[20:21]
	v_mul_f64 v[10:11], v[8:9], v[16:17]
	v_fma_f64 v[10:11], v[6:7], v[14:15], -v[10:11]
	v_mul_f64 v[6:7], v[6:7], v[16:17]
	v_add_f64 v[32:33], v[32:33], v[10:11]
	v_fma_f64 v[6:7], v[8:9], v[14:15], v[6:7]
	v_add_f64 v[34:35], v[6:7], v[34:35]
	ds_read_b128 v[6:9], v25 offset:80
	ds_read_b128 v[10:13], v24 offset:2560
	s_waitcnt lgkmcnt(0)
	v_mul_f64 v[14:15], v[8:9], v[12:13]
	v_mul_f64 v[16:17], v[6:7], v[12:13]
	v_fma_f64 v[14:15], v[6:7], v[10:11], -v[14:15]
	v_fma_f64 v[16:17], v[8:9], v[10:11], v[16:17]
	v_add_f64 v[36:37], v[36:37], v[14:15]
	v_add_f64 v[18:19], v[16:17], v[18:19]
	ds_read_b128 v[14:17], v24 offset:2816
	s_waitcnt lgkmcnt(0)
	v_mul_f64 v[38:39], v[8:9], v[16:17]
	v_fma_f64 v[38:39], v[6:7], v[14:15], -v[38:39]
	v_mul_f64 v[6:7], v[6:7], v[16:17]
	v_add_f64 v[28:29], v[28:29], v[38:39]
	v_fma_f64 v[6:7], v[8:9], v[14:15], v[6:7]
	v_add_f64 v[26:27], v[6:7], v[26:27]
	ds_read_b128 v[6:9], v25 offset:2128
	s_waitcnt lgkmcnt(0)
	v_mul_f64 v[38:39], v[8:9], v[12:13]
	v_mul_f64 v[12:13], v[6:7], v[12:13]
	v_fma_f64 v[38:39], v[6:7], v[10:11], -v[38:39]
	v_fma_f64 v[10:11], v[8:9], v[10:11], v[12:13]
	v_add_f64 v[30:31], v[30:31], v[38:39]
	v_add_f64 v[20:21], v[10:11], v[20:21]
	v_mul_f64 v[10:11], v[8:9], v[16:17]
	v_fma_f64 v[10:11], v[6:7], v[14:15], -v[10:11]
	v_mul_f64 v[6:7], v[6:7], v[16:17]
	v_add_f64 v[32:33], v[32:33], v[10:11]
	v_fma_f64 v[6:7], v[8:9], v[14:15], v[6:7]
	;; [unrolled: 31-line block ×3, first 2 shown]
	v_add_f64 v[34:35], v[6:7], v[34:35]
	ds_read_b128 v[6:9], v25 offset:112
	ds_read_b128 v[10:13], v24 offset:3584
	;; [unrolled: 1-line block ×4, first 2 shown]
	s_waitcnt lgkmcnt(0)
	s_barrier
	v_mul_f64 v[16:17], v[6:7], v[12:13]
	v_mul_f64 v[14:15], v[8:9], v[12:13]
	v_fma_f64 v[16:17], v[8:9], v[10:11], v[16:17]
	v_fma_f64 v[14:15], v[6:7], v[10:11], -v[14:15]
	v_add_f64 v[18:19], v[16:17], v[18:19]
	v_mul_f64 v[16:17], v[8:9], v[28:29]
	v_add_f64 v[14:15], v[36:37], v[14:15]
	v_fma_f64 v[16:17], v[6:7], v[26:27], -v[16:17]
	v_mul_f64 v[6:7], v[6:7], v[28:29]
	v_fma_f64 v[8:9], v[8:9], v[26:27], v[6:7]
	v_add_f64 v[6:7], v[38:39], v[16:17]
	v_mul_f64 v[16:17], v[32:33], v[12:13]
	v_mul_f64 v[12:13], v[30:31], v[12:13]
	v_add_f64 v[8:9], v[8:9], v[40:41]
	v_fma_f64 v[16:17], v[30:31], v[10:11], -v[16:17]
	v_fma_f64 v[10:11], v[32:33], v[10:11], v[12:13]
	v_mul_f64 v[12:13], v[30:31], v[28:29]
	v_add_f64 v[16:17], v[42:43], v[16:17]
	v_add_f64 v[20:21], v[10:11], v[20:21]
	v_mul_f64 v[10:11], v[32:33], v[28:29]
	v_fma_f64 v[10:11], v[30:31], v[26:27], -v[10:11]
	v_fma_f64 v[26:27], v[32:33], v[26:27], v[12:13]
	v_add_f64 v[12:13], v[44:45], v[10:11]
	v_add_f64 v[10:11], v[26:27], v[34:35]
	s_cbranch_scc0 .LBB393_2
	s_branch .LBB393_4
.LBB393_3:
	v_mov_b32_e32 v14, 0
	v_mov_b32_e32 v18, 0
	;; [unrolled: 1-line block ×16, first 2 shown]
.LBB393_4:
	s_load_dwordx2 s[0:1], s[4:5], 0x48
	s_load_dword s9, s[4:5], 0x40
	v_add_u32_e32 v4, s7, v1
	v_add_u32_e32 v0, s6, v0
	s_waitcnt lgkmcnt(0)
	s_mul_i32 s1, s1, s8
	s_mul_hi_u32 s4, s0, s8
	s_add_i32 s1, s4, s1
	v_mad_i64_i32 v[1:2], s[4:5], v4, s9, 0
	s_mul_i32 s0, s0, s8
	s_lshl_b64 s[0:1], s[0:1], 4
	s_add_u32 s7, s2, s0
	v_lshlrev_b64 v[1:2], 4, v[1:2]
	s_addc_u32 s8, s3, s1
	v_mov_b32_e32 v3, s8
	v_add_co_u32_e32 v5, vcc, s7, v1
	v_addc_co_u32_e32 v22, vcc, v3, v2, vcc
	v_cmp_le_i32_e64 s[0:1], v4, v0
	v_cmp_gt_i32_e32 vcc, s10, v0
	s_and_b64 s[0:1], s[0:1], vcc
	s_and_saveexec_b64 s[2:3], s[0:1]
	s_cbranch_execz .LBB393_6
; %bb.5:
	v_ashrrev_i32_e32 v1, 31, v0
	v_lshlrev_b64 v[1:2], 4, v[0:1]
	v_add_co_u32_e64 v1, s[0:1], v5, v1
	v_addc_co_u32_e64 v2, s[0:1], v22, v2, s[0:1]
	global_load_dwordx4 v[23:26], v[1:2], off
	v_cmp_ne_u32_e64 s[0:1], v4, v0
	s_waitcnt vmcnt(0)
	v_add_f64 v[18:19], v[18:19], -v[25:26]
	v_add_f64 v[23:24], v[14:15], -v[23:24]
	v_cndmask_b32_e64 v26, 0, v19, s[0:1]
	v_cndmask_b32_e64 v25, 0, v18, s[0:1]
	global_store_dwordx4 v[1:2], v[23:26], off
.LBB393_6:
	s_or_b64 exec, exec, s[2:3]
	v_add_u32_e32 v2, 16, v0
	v_cmp_le_i32_e64 s[2:3], v4, v2
	v_cmp_gt_i32_e64 s[0:1], s10, v2
	s_and_b64 s[2:3], s[2:3], s[0:1]
	s_and_saveexec_b64 s[4:5], s[2:3]
	s_cbranch_execz .LBB393_8
; %bb.7:
	v_ashrrev_i32_e32 v3, 31, v2
	v_lshlrev_b64 v[14:15], 4, v[2:3]
	v_add_co_u32_e64 v14, s[2:3], v5, v14
	v_addc_co_u32_e64 v15, s[2:3], v22, v15, s[2:3]
	global_load_dwordx4 v[22:25], v[14:15], off
	v_cmp_ne_u32_e64 s[2:3], v4, v2
	s_waitcnt vmcnt(0)
	v_add_f64 v[18:19], v[8:9], -v[24:25]
	v_add_f64 v[5:6], v[6:7], -v[22:23]
	v_cndmask_b32_e64 v8, 0, v19, s[2:3]
	v_cndmask_b32_e64 v7, 0, v18, s[2:3]
	global_store_dwordx4 v[14:15], v[5:8], off
.LBB393_8:
	s_or_b64 exec, exec, s[4:5]
	v_add_u32_e32 v3, 16, v4
	v_mad_i64_i32 v[5:6], s[2:3], v3, s9, 0
	v_mov_b32_e32 v1, s8
	v_lshlrev_b64 v[5:6], 4, v[5:6]
	v_add_co_u32_e64 v5, s[2:3], s7, v5
	v_addc_co_u32_e64 v6, s[2:3], v1, v6, s[2:3]
	v_cmp_le_i32_e64 s[2:3], v3, v0
	s_and_b64 s[4:5], s[2:3], vcc
	s_and_saveexec_b64 s[2:3], s[4:5]
	s_cbranch_execz .LBB393_10
; %bb.9:
	v_ashrrev_i32_e32 v1, 31, v0
	v_lshlrev_b64 v[7:8], 4, v[0:1]
	v_add_co_u32_e32 v7, vcc, v5, v7
	v_addc_co_u32_e32 v8, vcc, v6, v8, vcc
	global_load_dwordx4 v[22:25], v[7:8], off
	v_cmp_ne_u32_e32 vcc, v3, v0
	s_waitcnt vmcnt(0)
	v_add_f64 v[18:19], v[20:21], -v[24:25]
	v_add_f64 v[14:15], v[16:17], -v[22:23]
	v_cndmask_b32_e32 v17, 0, v19, vcc
	v_cndmask_b32_e32 v16, 0, v18, vcc
	global_store_dwordx4 v[7:8], v[14:17], off
.LBB393_10:
	s_or_b64 exec, exec, s[2:3]
	v_cmp_le_i32_e32 vcc, v3, v2
	s_and_b64 s[0:1], vcc, s[0:1]
	s_and_saveexec_b64 s[2:3], s[0:1]
	s_cbranch_execz .LBB393_12
; %bb.11:
	v_ashrrev_i32_e32 v3, 31, v2
	v_lshlrev_b64 v[1:2], 4, v[2:3]
	v_add_co_u32_e32 v14, vcc, v5, v1
	v_addc_co_u32_e32 v15, vcc, v6, v2, vcc
	global_load_dwordx4 v[5:8], v[14:15], off
	v_cmp_ne_u32_e32 vcc, v4, v0
	s_waitcnt vmcnt(0)
	v_add_f64 v[7:8], v[10:11], -v[7:8]
	v_add_f64 v[1:2], v[12:13], -v[5:6]
	v_cndmask_b32_e32 v4, 0, v8, vcc
	v_cndmask_b32_e32 v3, 0, v7, vcc
	global_store_dwordx4 v[14:15], v[1:4], off
.LBB393_12:
	s_endpgm
	.section	.rodata,"a",@progbits
	.p2align	6, 0x0
	.amdhsa_kernel _ZL37rocblas_syrkx_herkx_restricted_kernelIi19rocblas_complex_numIdELi16ELi32ELi8ELi1ELin1ELb1ELc84ELc76EKS1_S1_EviT_PT9_S3_lS5_S3_lPT10_S3_li
		.amdhsa_group_segment_fixed_size 8192
		.amdhsa_private_segment_fixed_size 0
		.amdhsa_kernarg_size 84
		.amdhsa_user_sgpr_count 6
		.amdhsa_user_sgpr_private_segment_buffer 1
		.amdhsa_user_sgpr_dispatch_ptr 0
		.amdhsa_user_sgpr_queue_ptr 0
		.amdhsa_user_sgpr_kernarg_segment_ptr 1
		.amdhsa_user_sgpr_dispatch_id 0
		.amdhsa_user_sgpr_flat_scratch_init 0
		.amdhsa_user_sgpr_private_segment_size 0
		.amdhsa_uses_dynamic_stack 0
		.amdhsa_system_sgpr_private_segment_wavefront_offset 0
		.amdhsa_system_sgpr_workgroup_id_x 1
		.amdhsa_system_sgpr_workgroup_id_y 1
		.amdhsa_system_sgpr_workgroup_id_z 1
		.amdhsa_system_sgpr_workgroup_info 0
		.amdhsa_system_vgpr_workitem_id 1
		.amdhsa_next_free_vgpr 52
		.amdhsa_next_free_sgpr 61
		.amdhsa_reserve_vcc 1
		.amdhsa_reserve_flat_scratch 0
		.amdhsa_float_round_mode_32 0
		.amdhsa_float_round_mode_16_64 0
		.amdhsa_float_denorm_mode_32 3
		.amdhsa_float_denorm_mode_16_64 3
		.amdhsa_dx10_clamp 1
		.amdhsa_ieee_mode 1
		.amdhsa_fp16_overflow 0
		.amdhsa_exception_fp_ieee_invalid_op 0
		.amdhsa_exception_fp_denorm_src 0
		.amdhsa_exception_fp_ieee_div_zero 0
		.amdhsa_exception_fp_ieee_overflow 0
		.amdhsa_exception_fp_ieee_underflow 0
		.amdhsa_exception_fp_ieee_inexact 0
		.amdhsa_exception_int_div_zero 0
	.end_amdhsa_kernel
	.section	.text._ZL37rocblas_syrkx_herkx_restricted_kernelIi19rocblas_complex_numIdELi16ELi32ELi8ELi1ELin1ELb1ELc84ELc76EKS1_S1_EviT_PT9_S3_lS5_S3_lPT10_S3_li,"axG",@progbits,_ZL37rocblas_syrkx_herkx_restricted_kernelIi19rocblas_complex_numIdELi16ELi32ELi8ELi1ELin1ELb1ELc84ELc76EKS1_S1_EviT_PT9_S3_lS5_S3_lPT10_S3_li,comdat
.Lfunc_end393:
	.size	_ZL37rocblas_syrkx_herkx_restricted_kernelIi19rocblas_complex_numIdELi16ELi32ELi8ELi1ELin1ELb1ELc84ELc76EKS1_S1_EviT_PT9_S3_lS5_S3_lPT10_S3_li, .Lfunc_end393-_ZL37rocblas_syrkx_herkx_restricted_kernelIi19rocblas_complex_numIdELi16ELi32ELi8ELi1ELin1ELb1ELc84ELc76EKS1_S1_EviT_PT9_S3_lS5_S3_lPT10_S3_li
                                        ; -- End function
	.set _ZL37rocblas_syrkx_herkx_restricted_kernelIi19rocblas_complex_numIdELi16ELi32ELi8ELi1ELin1ELb1ELc84ELc76EKS1_S1_EviT_PT9_S3_lS5_S3_lPT10_S3_li.num_vgpr, 52
	.set _ZL37rocblas_syrkx_herkx_restricted_kernelIi19rocblas_complex_numIdELi16ELi32ELi8ELi1ELin1ELb1ELc84ELc76EKS1_S1_EviT_PT9_S3_lS5_S3_lPT10_S3_li.num_agpr, 0
	.set _ZL37rocblas_syrkx_herkx_restricted_kernelIi19rocblas_complex_numIdELi16ELi32ELi8ELi1ELin1ELb1ELc84ELc76EKS1_S1_EviT_PT9_S3_lS5_S3_lPT10_S3_li.numbered_sgpr, 22
	.set _ZL37rocblas_syrkx_herkx_restricted_kernelIi19rocblas_complex_numIdELi16ELi32ELi8ELi1ELin1ELb1ELc84ELc76EKS1_S1_EviT_PT9_S3_lS5_S3_lPT10_S3_li.num_named_barrier, 0
	.set _ZL37rocblas_syrkx_herkx_restricted_kernelIi19rocblas_complex_numIdELi16ELi32ELi8ELi1ELin1ELb1ELc84ELc76EKS1_S1_EviT_PT9_S3_lS5_S3_lPT10_S3_li.private_seg_size, 0
	.set _ZL37rocblas_syrkx_herkx_restricted_kernelIi19rocblas_complex_numIdELi16ELi32ELi8ELi1ELin1ELb1ELc84ELc76EKS1_S1_EviT_PT9_S3_lS5_S3_lPT10_S3_li.uses_vcc, 1
	.set _ZL37rocblas_syrkx_herkx_restricted_kernelIi19rocblas_complex_numIdELi16ELi32ELi8ELi1ELin1ELb1ELc84ELc76EKS1_S1_EviT_PT9_S3_lS5_S3_lPT10_S3_li.uses_flat_scratch, 0
	.set _ZL37rocblas_syrkx_herkx_restricted_kernelIi19rocblas_complex_numIdELi16ELi32ELi8ELi1ELin1ELb1ELc84ELc76EKS1_S1_EviT_PT9_S3_lS5_S3_lPT10_S3_li.has_dyn_sized_stack, 0
	.set _ZL37rocblas_syrkx_herkx_restricted_kernelIi19rocblas_complex_numIdELi16ELi32ELi8ELi1ELin1ELb1ELc84ELc76EKS1_S1_EviT_PT9_S3_lS5_S3_lPT10_S3_li.has_recursion, 0
	.set _ZL37rocblas_syrkx_herkx_restricted_kernelIi19rocblas_complex_numIdELi16ELi32ELi8ELi1ELin1ELb1ELc84ELc76EKS1_S1_EviT_PT9_S3_lS5_S3_lPT10_S3_li.has_indirect_call, 0
	.section	.AMDGPU.csdata,"",@progbits
; Kernel info:
; codeLenInByte = 2940
; TotalNumSgprs: 26
; NumVgprs: 52
; ScratchSize: 0
; MemoryBound: 0
; FloatMode: 240
; IeeeMode: 1
; LDSByteSize: 8192 bytes/workgroup (compile time only)
; SGPRBlocks: 8
; VGPRBlocks: 12
; NumSGPRsForWavesPerEU: 65
; NumVGPRsForWavesPerEU: 52
; Occupancy: 4
; WaveLimiterHint : 0
; COMPUTE_PGM_RSRC2:SCRATCH_EN: 0
; COMPUTE_PGM_RSRC2:USER_SGPR: 6
; COMPUTE_PGM_RSRC2:TRAP_HANDLER: 0
; COMPUTE_PGM_RSRC2:TGID_X_EN: 1
; COMPUTE_PGM_RSRC2:TGID_Y_EN: 1
; COMPUTE_PGM_RSRC2:TGID_Z_EN: 1
; COMPUTE_PGM_RSRC2:TIDIG_COMP_CNT: 1
	.section	.text._ZL37rocblas_syrkx_herkx_restricted_kernelIi19rocblas_complex_numIdELi16ELi32ELi8ELi1ELin1ELb1ELc67ELc76EKS1_S1_EviT_PT9_S3_lS5_S3_lPT10_S3_li,"axG",@progbits,_ZL37rocblas_syrkx_herkx_restricted_kernelIi19rocblas_complex_numIdELi16ELi32ELi8ELi1ELin1ELb1ELc67ELc76EKS1_S1_EviT_PT9_S3_lS5_S3_lPT10_S3_li,comdat
	.globl	_ZL37rocblas_syrkx_herkx_restricted_kernelIi19rocblas_complex_numIdELi16ELi32ELi8ELi1ELin1ELb1ELc67ELc76EKS1_S1_EviT_PT9_S3_lS5_S3_lPT10_S3_li ; -- Begin function _ZL37rocblas_syrkx_herkx_restricted_kernelIi19rocblas_complex_numIdELi16ELi32ELi8ELi1ELin1ELb1ELc67ELc76EKS1_S1_EviT_PT9_S3_lS5_S3_lPT10_S3_li
	.p2align	8
	.type	_ZL37rocblas_syrkx_herkx_restricted_kernelIi19rocblas_complex_numIdELi16ELi32ELi8ELi1ELin1ELb1ELc67ELc76EKS1_S1_EviT_PT9_S3_lS5_S3_lPT10_S3_li,@function
_ZL37rocblas_syrkx_herkx_restricted_kernelIi19rocblas_complex_numIdELi16ELi32ELi8ELi1ELin1ELb1ELc67ELc76EKS1_S1_EviT_PT9_S3_lS5_S3_lPT10_S3_li: ; @_ZL37rocblas_syrkx_herkx_restricted_kernelIi19rocblas_complex_numIdELi16ELi32ELi8ELi1ELin1ELb1ELc67ELc76EKS1_S1_EviT_PT9_S3_lS5_S3_lPT10_S3_li
; %bb.0:
	s_load_dwordx2 s[10:11], s[4:5], 0x0
	s_load_dwordx4 s[0:3], s[4:5], 0x30
	s_lshl_b32 s6, s6, 5
	s_lshl_b32 s7, s7, 5
	s_mov_b32 s9, 0
	s_waitcnt lgkmcnt(0)
	s_cmp_lt_i32 s11, 1
	s_cbranch_scc1 .LBB394_3
; %bb.1:
	s_load_dwordx2 s[16:17], s[4:5], 0x8
	s_load_dword s20, s[4:5], 0x10
	s_load_dwordx4 s[12:15], s[4:5], 0x18
	s_load_dword s18, s[4:5], 0x28
	v_lshl_add_u32 v6, v1, 4, v0
	v_lshrrev_b32_e32 v8, 3, v6
	v_add_u32_e32 v4, s7, v8
	v_and_b32_e32 v2, 7, v0
	v_mov_b32_e32 v3, 0
	s_waitcnt lgkmcnt(0)
	v_mad_i64_i32 v[4:5], s[18:19], s18, v4, v[2:3]
	v_lshlrev_b32_e32 v2, 4, v2
	v_lshl_or_b32 v2, v8, 7, v2
	v_and_b32_e32 v9, 31, v6
	v_add_u32_e32 v23, 0x1000, v2
	v_mov_b32_e32 v2, 0x1000
	v_lshrrev_b32_e32 v6, 5, v6
	v_mov_b32_e32 v7, v3
	v_lshlrev_b32_e32 v3, 4, v9
	v_lshl_add_u32 v25, v1, 7, v2
	v_add_u32_e32 v2, s6, v9
	v_lshl_or_b32 v22, v6, 9, v3
	v_mad_i64_i32 v[2:3], s[18:19], s20, v2, v[6:7]
	s_mul_i32 s13, s13, s8
	s_mul_hi_u32 s21, s12, s8
	s_add_i32 s13, s21, s13
	s_mul_i32 s12, s12, s8
	s_lshl_b64 s[12:13], s[12:13], 4
	v_lshlrev_b64 v[2:3], 4, v[2:3]
	s_add_u32 s12, s16, s12
	s_addc_u32 s13, s17, s13
	v_add_co_u32_e32 v2, vcc, s12, v2
	s_mul_i32 s1, s1, s8
	s_mul_hi_u32 s12, s0, s8
	v_mov_b32_e32 v6, s13
	s_add_i32 s1, s12, s1
	s_mul_i32 s0, s0, s8
	v_addc_co_u32_e32 v3, vcc, v6, v3, vcc
	s_lshl_b64 s[0:1], s[0:1], 4
	v_add_co_u32_e32 v2, vcc, 8, v2
	v_lshlrev_b64 v[4:5], 4, v[4:5]
	s_add_u32 s0, s14, s0
	v_addc_co_u32_e32 v3, vcc, 0, v3, vcc
	s_addc_u32 s1, s15, s1
	v_mov_b32_e32 v6, s1
	v_add_co_u32_e32 v4, vcc, s0, v4
	v_addc_co_u32_e32 v5, vcc, v6, v5, vcc
	v_mov_b32_e32 v10, 0
	v_mov_b32_e32 v12, 0
	;; [unrolled: 1-line block ×8, first 2 shown]
	v_add_co_u32_e32 v4, vcc, 8, v4
	v_lshlrev_b32_e32 v24, 4, v0
	v_mov_b32_e32 v11, 0
	v_mov_b32_e32 v13, 0
	;; [unrolled: 1-line block ×8, first 2 shown]
	v_addc_co_u32_e32 v5, vcc, 0, v5, vcc
.LBB394_2:                              ; =>This Inner Loop Header: Depth=1
	global_load_dwordx4 v[26:29], v[2:3], off offset:-8
	v_add_co_u32_e32 v2, vcc, 0x80, v2
	v_addc_co_u32_e32 v3, vcc, 0, v3, vcc
	s_add_i32 s9, s9, 8
	s_cmp_ge_i32 s9, s11
	s_waitcnt vmcnt(0)
	v_xor_b32_e32 v29, 0x80000000, v29
	ds_write_b128 v22, v[26:29]
	global_load_dwordx4 v[26:29], v[4:5], off offset:-8
	v_add_co_u32_e32 v4, vcc, 0x80, v4
	v_addc_co_u32_e32 v5, vcc, 0, v5, vcc
	s_waitcnt vmcnt(0)
	ds_write_b128 v23, v[26:29]
	s_waitcnt lgkmcnt(0)
	s_barrier
	ds_read_b128 v[26:29], v25
	ds_read_b128 v[30:33], v25 offset:16
	ds_read_b128 v[34:37], v25 offset:32
	;; [unrolled: 1-line block ×3, first 2 shown]
	ds_read_b128 v[42:45], v24
	s_waitcnt lgkmcnt(0)
	v_mul_f64 v[46:47], v[28:29], v[44:45]
	v_mul_f64 v[48:49], v[26:27], v[44:45]
	v_fma_f64 v[46:47], v[26:27], v[42:43], -v[46:47]
	v_fma_f64 v[48:49], v[28:29], v[42:43], v[48:49]
	v_add_f64 v[14:15], v[14:15], v[46:47]
	v_add_f64 v[18:19], v[48:49], v[18:19]
	ds_read_b128 v[46:49], v24 offset:256
	s_waitcnt lgkmcnt(0)
	v_mul_f64 v[50:51], v[28:29], v[48:49]
	v_fma_f64 v[50:51], v[26:27], v[46:47], -v[50:51]
	v_mul_f64 v[26:27], v[26:27], v[48:49]
	v_fma_f64 v[26:27], v[28:29], v[46:47], v[26:27]
	v_add_f64 v[28:29], v[6:7], v[50:51]
	v_add_f64 v[26:27], v[26:27], v[8:9]
	ds_read_b128 v[6:9], v25 offset:2048
	s_waitcnt lgkmcnt(0)
	v_mul_f64 v[50:51], v[8:9], v[44:45]
	v_mul_f64 v[44:45], v[6:7], v[44:45]
	v_fma_f64 v[50:51], v[6:7], v[42:43], -v[50:51]
	v_fma_f64 v[42:43], v[8:9], v[42:43], v[44:45]
	v_add_f64 v[44:45], v[16:17], v[50:51]
	v_mul_f64 v[16:17], v[8:9], v[48:49]
	v_add_f64 v[20:21], v[42:43], v[20:21]
	v_fma_f64 v[16:17], v[6:7], v[46:47], -v[16:17]
	v_mul_f64 v[6:7], v[6:7], v[48:49]
	v_add_f64 v[42:43], v[12:13], v[16:17]
	v_fma_f64 v[6:7], v[8:9], v[46:47], v[6:7]
	v_add_f64 v[46:47], v[6:7], v[10:11]
	ds_read_b128 v[6:9], v24 offset:512
	s_waitcnt lgkmcnt(0)
	v_mul_f64 v[10:11], v[32:33], v[8:9]
	v_mul_f64 v[12:13], v[30:31], v[8:9]
	v_fma_f64 v[10:11], v[30:31], v[6:7], -v[10:11]
	v_fma_f64 v[12:13], v[32:33], v[6:7], v[12:13]
	v_add_f64 v[48:49], v[14:15], v[10:11]
	v_add_f64 v[18:19], v[12:13], v[18:19]
	ds_read_b128 v[10:13], v24 offset:768
	s_waitcnt lgkmcnt(0)
	v_mul_f64 v[14:15], v[32:33], v[12:13]
	v_mul_f64 v[16:17], v[30:31], v[12:13]
	v_fma_f64 v[14:15], v[30:31], v[10:11], -v[14:15]
	v_fma_f64 v[16:17], v[32:33], v[10:11], v[16:17]
	v_add_f64 v[28:29], v[28:29], v[14:15]
	v_add_f64 v[26:27], v[16:17], v[26:27]
	ds_read_b128 v[14:17], v25 offset:2064
	s_waitcnt lgkmcnt(0)
	v_mul_f64 v[30:31], v[16:17], v[8:9]
	v_mul_f64 v[8:9], v[14:15], v[8:9]
	v_fma_f64 v[30:31], v[14:15], v[6:7], -v[30:31]
	v_fma_f64 v[6:7], v[16:17], v[6:7], v[8:9]
	v_mul_f64 v[8:9], v[14:15], v[12:13]
	v_add_f64 v[30:31], v[44:45], v[30:31]
	v_add_f64 v[20:21], v[6:7], v[20:21]
	v_mul_f64 v[6:7], v[16:17], v[12:13]
	v_fma_f64 v[8:9], v[16:17], v[10:11], v[8:9]
	v_fma_f64 v[6:7], v[14:15], v[10:11], -v[6:7]
	v_add_f64 v[32:33], v[42:43], v[6:7]
	v_add_f64 v[42:43], v[8:9], v[46:47]
	ds_read_b128 v[6:9], v24 offset:1024
	s_waitcnt lgkmcnt(0)
	v_mul_f64 v[10:11], v[36:37], v[8:9]
	v_mul_f64 v[12:13], v[34:35], v[8:9]
	v_fma_f64 v[10:11], v[34:35], v[6:7], -v[10:11]
	v_fma_f64 v[12:13], v[36:37], v[6:7], v[12:13]
	v_add_f64 v[44:45], v[48:49], v[10:11]
	v_add_f64 v[18:19], v[12:13], v[18:19]
	ds_read_b128 v[10:13], v24 offset:1280
	s_waitcnt lgkmcnt(0)
	v_mul_f64 v[14:15], v[36:37], v[12:13]
	v_mul_f64 v[16:17], v[34:35], v[12:13]
	v_fma_f64 v[14:15], v[34:35], v[10:11], -v[14:15]
	v_fma_f64 v[16:17], v[36:37], v[10:11], v[16:17]
	v_add_f64 v[28:29], v[28:29], v[14:15]
	v_add_f64 v[26:27], v[16:17], v[26:27]
	ds_read_b128 v[14:17], v25 offset:2080
	s_waitcnt lgkmcnt(0)
	v_mul_f64 v[34:35], v[16:17], v[8:9]
	v_mul_f64 v[8:9], v[14:15], v[8:9]
	v_fma_f64 v[34:35], v[14:15], v[6:7], -v[34:35]
	v_fma_f64 v[6:7], v[16:17], v[6:7], v[8:9]
	v_mul_f64 v[8:9], v[14:15], v[12:13]
	v_add_f64 v[30:31], v[30:31], v[34:35]
	v_add_f64 v[20:21], v[6:7], v[20:21]
	v_mul_f64 v[6:7], v[16:17], v[12:13]
	v_fma_f64 v[8:9], v[16:17], v[10:11], v[8:9]
	v_fma_f64 v[6:7], v[14:15], v[10:11], -v[6:7]
	v_add_f64 v[34:35], v[8:9], v[42:43]
	;; [unrolled: 30-line block ×3, first 2 shown]
	v_add_f64 v[32:33], v[32:33], v[6:7]
	ds_read_b128 v[6:9], v25 offset:64
	ds_read_b128 v[10:13], v24 offset:2048
	s_waitcnt lgkmcnt(0)
	v_mul_f64 v[14:15], v[8:9], v[12:13]
	v_mul_f64 v[16:17], v[6:7], v[12:13]
	v_fma_f64 v[14:15], v[6:7], v[10:11], -v[14:15]
	v_fma_f64 v[16:17], v[8:9], v[10:11], v[16:17]
	v_add_f64 v[36:37], v[36:37], v[14:15]
	v_add_f64 v[18:19], v[16:17], v[18:19]
	ds_read_b128 v[14:17], v24 offset:2304
	s_waitcnt lgkmcnt(0)
	v_mul_f64 v[38:39], v[8:9], v[16:17]
	v_fma_f64 v[38:39], v[6:7], v[14:15], -v[38:39]
	v_mul_f64 v[6:7], v[6:7], v[16:17]
	v_add_f64 v[28:29], v[28:29], v[38:39]
	v_fma_f64 v[6:7], v[8:9], v[14:15], v[6:7]
	v_add_f64 v[26:27], v[6:7], v[26:27]
	ds_read_b128 v[6:9], v25 offset:2112
	s_waitcnt lgkmcnt(0)
	v_mul_f64 v[38:39], v[8:9], v[12:13]
	v_mul_f64 v[12:13], v[6:7], v[12:13]
	v_fma_f64 v[38:39], v[6:7], v[10:11], -v[38:39]
	v_fma_f64 v[10:11], v[8:9], v[10:11], v[12:13]
	v_add_f64 v[30:31], v[30:31], v[38:39]
	v_add_f64 v[20:21], v[10:11], v[20:21]
	v_mul_f64 v[10:11], v[8:9], v[16:17]
	v_fma_f64 v[10:11], v[6:7], v[14:15], -v[10:11]
	v_mul_f64 v[6:7], v[6:7], v[16:17]
	v_add_f64 v[32:33], v[32:33], v[10:11]
	v_fma_f64 v[6:7], v[8:9], v[14:15], v[6:7]
	v_add_f64 v[34:35], v[6:7], v[34:35]
	ds_read_b128 v[6:9], v25 offset:80
	ds_read_b128 v[10:13], v24 offset:2560
	s_waitcnt lgkmcnt(0)
	v_mul_f64 v[14:15], v[8:9], v[12:13]
	v_mul_f64 v[16:17], v[6:7], v[12:13]
	v_fma_f64 v[14:15], v[6:7], v[10:11], -v[14:15]
	v_fma_f64 v[16:17], v[8:9], v[10:11], v[16:17]
	v_add_f64 v[36:37], v[36:37], v[14:15]
	v_add_f64 v[18:19], v[16:17], v[18:19]
	ds_read_b128 v[14:17], v24 offset:2816
	s_waitcnt lgkmcnt(0)
	v_mul_f64 v[38:39], v[8:9], v[16:17]
	v_fma_f64 v[38:39], v[6:7], v[14:15], -v[38:39]
	v_mul_f64 v[6:7], v[6:7], v[16:17]
	v_add_f64 v[28:29], v[28:29], v[38:39]
	v_fma_f64 v[6:7], v[8:9], v[14:15], v[6:7]
	v_add_f64 v[26:27], v[6:7], v[26:27]
	ds_read_b128 v[6:9], v25 offset:2128
	s_waitcnt lgkmcnt(0)
	v_mul_f64 v[38:39], v[8:9], v[12:13]
	v_mul_f64 v[12:13], v[6:7], v[12:13]
	v_fma_f64 v[38:39], v[6:7], v[10:11], -v[38:39]
	v_fma_f64 v[10:11], v[8:9], v[10:11], v[12:13]
	v_add_f64 v[30:31], v[30:31], v[38:39]
	v_add_f64 v[20:21], v[10:11], v[20:21]
	v_mul_f64 v[10:11], v[8:9], v[16:17]
	v_fma_f64 v[10:11], v[6:7], v[14:15], -v[10:11]
	v_mul_f64 v[6:7], v[6:7], v[16:17]
	v_add_f64 v[32:33], v[32:33], v[10:11]
	v_fma_f64 v[6:7], v[8:9], v[14:15], v[6:7]
	;; [unrolled: 31-line block ×3, first 2 shown]
	v_add_f64 v[34:35], v[6:7], v[34:35]
	ds_read_b128 v[6:9], v25 offset:112
	ds_read_b128 v[10:13], v24 offset:3584
	;; [unrolled: 1-line block ×4, first 2 shown]
	s_waitcnt lgkmcnt(0)
	s_barrier
	v_mul_f64 v[16:17], v[6:7], v[12:13]
	v_mul_f64 v[14:15], v[8:9], v[12:13]
	v_fma_f64 v[16:17], v[8:9], v[10:11], v[16:17]
	v_fma_f64 v[14:15], v[6:7], v[10:11], -v[14:15]
	v_add_f64 v[18:19], v[16:17], v[18:19]
	v_mul_f64 v[16:17], v[8:9], v[28:29]
	v_add_f64 v[14:15], v[36:37], v[14:15]
	v_fma_f64 v[16:17], v[6:7], v[26:27], -v[16:17]
	v_mul_f64 v[6:7], v[6:7], v[28:29]
	v_fma_f64 v[8:9], v[8:9], v[26:27], v[6:7]
	v_add_f64 v[6:7], v[38:39], v[16:17]
	v_mul_f64 v[16:17], v[32:33], v[12:13]
	v_mul_f64 v[12:13], v[30:31], v[12:13]
	v_add_f64 v[8:9], v[8:9], v[40:41]
	v_fma_f64 v[16:17], v[30:31], v[10:11], -v[16:17]
	v_fma_f64 v[10:11], v[32:33], v[10:11], v[12:13]
	v_mul_f64 v[12:13], v[30:31], v[28:29]
	v_add_f64 v[16:17], v[42:43], v[16:17]
	v_add_f64 v[20:21], v[10:11], v[20:21]
	v_mul_f64 v[10:11], v[32:33], v[28:29]
	v_fma_f64 v[10:11], v[30:31], v[26:27], -v[10:11]
	v_fma_f64 v[26:27], v[32:33], v[26:27], v[12:13]
	v_add_f64 v[12:13], v[44:45], v[10:11]
	v_add_f64 v[10:11], v[26:27], v[34:35]
	s_cbranch_scc0 .LBB394_2
	s_branch .LBB394_4
.LBB394_3:
	v_mov_b32_e32 v14, 0
	v_mov_b32_e32 v18, 0
	;; [unrolled: 1-line block ×16, first 2 shown]
.LBB394_4:
	s_load_dwordx2 s[0:1], s[4:5], 0x48
	s_load_dword s9, s[4:5], 0x40
	v_add_u32_e32 v4, s7, v1
	v_add_u32_e32 v0, s6, v0
	s_waitcnt lgkmcnt(0)
	s_mul_i32 s1, s1, s8
	s_mul_hi_u32 s4, s0, s8
	s_add_i32 s1, s4, s1
	v_mad_i64_i32 v[1:2], s[4:5], v4, s9, 0
	s_mul_i32 s0, s0, s8
	s_lshl_b64 s[0:1], s[0:1], 4
	s_add_u32 s7, s2, s0
	v_lshlrev_b64 v[1:2], 4, v[1:2]
	s_addc_u32 s8, s3, s1
	v_mov_b32_e32 v3, s8
	v_add_co_u32_e32 v5, vcc, s7, v1
	v_addc_co_u32_e32 v22, vcc, v3, v2, vcc
	v_cmp_le_i32_e64 s[0:1], v4, v0
	v_cmp_gt_i32_e32 vcc, s10, v0
	s_and_b64 s[0:1], s[0:1], vcc
	s_and_saveexec_b64 s[2:3], s[0:1]
	s_cbranch_execz .LBB394_6
; %bb.5:
	v_ashrrev_i32_e32 v1, 31, v0
	v_lshlrev_b64 v[1:2], 4, v[0:1]
	v_add_co_u32_e64 v1, s[0:1], v5, v1
	v_addc_co_u32_e64 v2, s[0:1], v22, v2, s[0:1]
	global_load_dwordx4 v[23:26], v[1:2], off
	v_cmp_ne_u32_e64 s[0:1], v4, v0
	s_waitcnt vmcnt(0)
	v_add_f64 v[18:19], v[18:19], -v[25:26]
	v_add_f64 v[23:24], v[14:15], -v[23:24]
	v_cndmask_b32_e64 v26, 0, v19, s[0:1]
	v_cndmask_b32_e64 v25, 0, v18, s[0:1]
	global_store_dwordx4 v[1:2], v[23:26], off
.LBB394_6:
	s_or_b64 exec, exec, s[2:3]
	v_add_u32_e32 v2, 16, v0
	v_cmp_le_i32_e64 s[2:3], v4, v2
	v_cmp_gt_i32_e64 s[0:1], s10, v2
	s_and_b64 s[2:3], s[2:3], s[0:1]
	s_and_saveexec_b64 s[4:5], s[2:3]
	s_cbranch_execz .LBB394_8
; %bb.7:
	v_ashrrev_i32_e32 v3, 31, v2
	v_lshlrev_b64 v[14:15], 4, v[2:3]
	v_add_co_u32_e64 v14, s[2:3], v5, v14
	v_addc_co_u32_e64 v15, s[2:3], v22, v15, s[2:3]
	global_load_dwordx4 v[22:25], v[14:15], off
	v_cmp_ne_u32_e64 s[2:3], v4, v2
	s_waitcnt vmcnt(0)
	v_add_f64 v[18:19], v[8:9], -v[24:25]
	v_add_f64 v[5:6], v[6:7], -v[22:23]
	v_cndmask_b32_e64 v8, 0, v19, s[2:3]
	v_cndmask_b32_e64 v7, 0, v18, s[2:3]
	global_store_dwordx4 v[14:15], v[5:8], off
.LBB394_8:
	s_or_b64 exec, exec, s[4:5]
	v_add_u32_e32 v3, 16, v4
	v_mad_i64_i32 v[5:6], s[2:3], v3, s9, 0
	v_mov_b32_e32 v1, s8
	v_lshlrev_b64 v[5:6], 4, v[5:6]
	v_add_co_u32_e64 v5, s[2:3], s7, v5
	v_addc_co_u32_e64 v6, s[2:3], v1, v6, s[2:3]
	v_cmp_le_i32_e64 s[2:3], v3, v0
	s_and_b64 s[4:5], s[2:3], vcc
	s_and_saveexec_b64 s[2:3], s[4:5]
	s_cbranch_execz .LBB394_10
; %bb.9:
	v_ashrrev_i32_e32 v1, 31, v0
	v_lshlrev_b64 v[7:8], 4, v[0:1]
	v_add_co_u32_e32 v7, vcc, v5, v7
	v_addc_co_u32_e32 v8, vcc, v6, v8, vcc
	global_load_dwordx4 v[22:25], v[7:8], off
	v_cmp_ne_u32_e32 vcc, v3, v0
	s_waitcnt vmcnt(0)
	v_add_f64 v[18:19], v[20:21], -v[24:25]
	v_add_f64 v[14:15], v[16:17], -v[22:23]
	v_cndmask_b32_e32 v17, 0, v19, vcc
	v_cndmask_b32_e32 v16, 0, v18, vcc
	global_store_dwordx4 v[7:8], v[14:17], off
.LBB394_10:
	s_or_b64 exec, exec, s[2:3]
	v_cmp_le_i32_e32 vcc, v3, v2
	s_and_b64 s[0:1], vcc, s[0:1]
	s_and_saveexec_b64 s[2:3], s[0:1]
	s_cbranch_execz .LBB394_12
; %bb.11:
	v_ashrrev_i32_e32 v3, 31, v2
	v_lshlrev_b64 v[1:2], 4, v[2:3]
	v_add_co_u32_e32 v14, vcc, v5, v1
	v_addc_co_u32_e32 v15, vcc, v6, v2, vcc
	global_load_dwordx4 v[5:8], v[14:15], off
	v_cmp_ne_u32_e32 vcc, v4, v0
	s_waitcnt vmcnt(0)
	v_add_f64 v[7:8], v[10:11], -v[7:8]
	v_add_f64 v[1:2], v[12:13], -v[5:6]
	v_cndmask_b32_e32 v4, 0, v8, vcc
	v_cndmask_b32_e32 v3, 0, v7, vcc
	global_store_dwordx4 v[14:15], v[1:4], off
.LBB394_12:
	s_endpgm
	.section	.rodata,"a",@progbits
	.p2align	6, 0x0
	.amdhsa_kernel _ZL37rocblas_syrkx_herkx_restricted_kernelIi19rocblas_complex_numIdELi16ELi32ELi8ELi1ELin1ELb1ELc67ELc76EKS1_S1_EviT_PT9_S3_lS5_S3_lPT10_S3_li
		.amdhsa_group_segment_fixed_size 8192
		.amdhsa_private_segment_fixed_size 0
		.amdhsa_kernarg_size 84
		.amdhsa_user_sgpr_count 6
		.amdhsa_user_sgpr_private_segment_buffer 1
		.amdhsa_user_sgpr_dispatch_ptr 0
		.amdhsa_user_sgpr_queue_ptr 0
		.amdhsa_user_sgpr_kernarg_segment_ptr 1
		.amdhsa_user_sgpr_dispatch_id 0
		.amdhsa_user_sgpr_flat_scratch_init 0
		.amdhsa_user_sgpr_private_segment_size 0
		.amdhsa_uses_dynamic_stack 0
		.amdhsa_system_sgpr_private_segment_wavefront_offset 0
		.amdhsa_system_sgpr_workgroup_id_x 1
		.amdhsa_system_sgpr_workgroup_id_y 1
		.amdhsa_system_sgpr_workgroup_id_z 1
		.amdhsa_system_sgpr_workgroup_info 0
		.amdhsa_system_vgpr_workitem_id 1
		.amdhsa_next_free_vgpr 52
		.amdhsa_next_free_sgpr 61
		.amdhsa_reserve_vcc 1
		.amdhsa_reserve_flat_scratch 0
		.amdhsa_float_round_mode_32 0
		.amdhsa_float_round_mode_16_64 0
		.amdhsa_float_denorm_mode_32 3
		.amdhsa_float_denorm_mode_16_64 3
		.amdhsa_dx10_clamp 1
		.amdhsa_ieee_mode 1
		.amdhsa_fp16_overflow 0
		.amdhsa_exception_fp_ieee_invalid_op 0
		.amdhsa_exception_fp_denorm_src 0
		.amdhsa_exception_fp_ieee_div_zero 0
		.amdhsa_exception_fp_ieee_overflow 0
		.amdhsa_exception_fp_ieee_underflow 0
		.amdhsa_exception_fp_ieee_inexact 0
		.amdhsa_exception_int_div_zero 0
	.end_amdhsa_kernel
	.section	.text._ZL37rocblas_syrkx_herkx_restricted_kernelIi19rocblas_complex_numIdELi16ELi32ELi8ELi1ELin1ELb1ELc67ELc76EKS1_S1_EviT_PT9_S3_lS5_S3_lPT10_S3_li,"axG",@progbits,_ZL37rocblas_syrkx_herkx_restricted_kernelIi19rocblas_complex_numIdELi16ELi32ELi8ELi1ELin1ELb1ELc67ELc76EKS1_S1_EviT_PT9_S3_lS5_S3_lPT10_S3_li,comdat
.Lfunc_end394:
	.size	_ZL37rocblas_syrkx_herkx_restricted_kernelIi19rocblas_complex_numIdELi16ELi32ELi8ELi1ELin1ELb1ELc67ELc76EKS1_S1_EviT_PT9_S3_lS5_S3_lPT10_S3_li, .Lfunc_end394-_ZL37rocblas_syrkx_herkx_restricted_kernelIi19rocblas_complex_numIdELi16ELi32ELi8ELi1ELin1ELb1ELc67ELc76EKS1_S1_EviT_PT9_S3_lS5_S3_lPT10_S3_li
                                        ; -- End function
	.set _ZL37rocblas_syrkx_herkx_restricted_kernelIi19rocblas_complex_numIdELi16ELi32ELi8ELi1ELin1ELb1ELc67ELc76EKS1_S1_EviT_PT9_S3_lS5_S3_lPT10_S3_li.num_vgpr, 52
	.set _ZL37rocblas_syrkx_herkx_restricted_kernelIi19rocblas_complex_numIdELi16ELi32ELi8ELi1ELin1ELb1ELc67ELc76EKS1_S1_EviT_PT9_S3_lS5_S3_lPT10_S3_li.num_agpr, 0
	.set _ZL37rocblas_syrkx_herkx_restricted_kernelIi19rocblas_complex_numIdELi16ELi32ELi8ELi1ELin1ELb1ELc67ELc76EKS1_S1_EviT_PT9_S3_lS5_S3_lPT10_S3_li.numbered_sgpr, 22
	.set _ZL37rocblas_syrkx_herkx_restricted_kernelIi19rocblas_complex_numIdELi16ELi32ELi8ELi1ELin1ELb1ELc67ELc76EKS1_S1_EviT_PT9_S3_lS5_S3_lPT10_S3_li.num_named_barrier, 0
	.set _ZL37rocblas_syrkx_herkx_restricted_kernelIi19rocblas_complex_numIdELi16ELi32ELi8ELi1ELin1ELb1ELc67ELc76EKS1_S1_EviT_PT9_S3_lS5_S3_lPT10_S3_li.private_seg_size, 0
	.set _ZL37rocblas_syrkx_herkx_restricted_kernelIi19rocblas_complex_numIdELi16ELi32ELi8ELi1ELin1ELb1ELc67ELc76EKS1_S1_EviT_PT9_S3_lS5_S3_lPT10_S3_li.uses_vcc, 1
	.set _ZL37rocblas_syrkx_herkx_restricted_kernelIi19rocblas_complex_numIdELi16ELi32ELi8ELi1ELin1ELb1ELc67ELc76EKS1_S1_EviT_PT9_S3_lS5_S3_lPT10_S3_li.uses_flat_scratch, 0
	.set _ZL37rocblas_syrkx_herkx_restricted_kernelIi19rocblas_complex_numIdELi16ELi32ELi8ELi1ELin1ELb1ELc67ELc76EKS1_S1_EviT_PT9_S3_lS5_S3_lPT10_S3_li.has_dyn_sized_stack, 0
	.set _ZL37rocblas_syrkx_herkx_restricted_kernelIi19rocblas_complex_numIdELi16ELi32ELi8ELi1ELin1ELb1ELc67ELc76EKS1_S1_EviT_PT9_S3_lS5_S3_lPT10_S3_li.has_recursion, 0
	.set _ZL37rocblas_syrkx_herkx_restricted_kernelIi19rocblas_complex_numIdELi16ELi32ELi8ELi1ELin1ELb1ELc67ELc76EKS1_S1_EviT_PT9_S3_lS5_S3_lPT10_S3_li.has_indirect_call, 0
	.section	.AMDGPU.csdata,"",@progbits
; Kernel info:
; codeLenInByte = 2948
; TotalNumSgprs: 26
; NumVgprs: 52
; ScratchSize: 0
; MemoryBound: 0
; FloatMode: 240
; IeeeMode: 1
; LDSByteSize: 8192 bytes/workgroup (compile time only)
; SGPRBlocks: 8
; VGPRBlocks: 12
; NumSGPRsForWavesPerEU: 65
; NumVGPRsForWavesPerEU: 52
; Occupancy: 4
; WaveLimiterHint : 0
; COMPUTE_PGM_RSRC2:SCRATCH_EN: 0
; COMPUTE_PGM_RSRC2:USER_SGPR: 6
; COMPUTE_PGM_RSRC2:TRAP_HANDLER: 0
; COMPUTE_PGM_RSRC2:TGID_X_EN: 1
; COMPUTE_PGM_RSRC2:TGID_Y_EN: 1
; COMPUTE_PGM_RSRC2:TGID_Z_EN: 1
; COMPUTE_PGM_RSRC2:TIDIG_COMP_CNT: 1
	.section	.text._ZL37rocblas_syrkx_herkx_restricted_kernelIi19rocblas_complex_numIdELi16ELi32ELi8ELi1ELin1ELb1ELc78ELc76EKS1_S1_EviT_PT9_S3_lS5_S3_lPT10_S3_li,"axG",@progbits,_ZL37rocblas_syrkx_herkx_restricted_kernelIi19rocblas_complex_numIdELi16ELi32ELi8ELi1ELin1ELb1ELc78ELc76EKS1_S1_EviT_PT9_S3_lS5_S3_lPT10_S3_li,comdat
	.globl	_ZL37rocblas_syrkx_herkx_restricted_kernelIi19rocblas_complex_numIdELi16ELi32ELi8ELi1ELin1ELb1ELc78ELc76EKS1_S1_EviT_PT9_S3_lS5_S3_lPT10_S3_li ; -- Begin function _ZL37rocblas_syrkx_herkx_restricted_kernelIi19rocblas_complex_numIdELi16ELi32ELi8ELi1ELin1ELb1ELc78ELc76EKS1_S1_EviT_PT9_S3_lS5_S3_lPT10_S3_li
	.p2align	8
	.type	_ZL37rocblas_syrkx_herkx_restricted_kernelIi19rocblas_complex_numIdELi16ELi32ELi8ELi1ELin1ELb1ELc78ELc76EKS1_S1_EviT_PT9_S3_lS5_S3_lPT10_S3_li,@function
_ZL37rocblas_syrkx_herkx_restricted_kernelIi19rocblas_complex_numIdELi16ELi32ELi8ELi1ELin1ELb1ELc78ELc76EKS1_S1_EviT_PT9_S3_lS5_S3_lPT10_S3_li: ; @_ZL37rocblas_syrkx_herkx_restricted_kernelIi19rocblas_complex_numIdELi16ELi32ELi8ELi1ELin1ELb1ELc78ELc76EKS1_S1_EviT_PT9_S3_lS5_S3_lPT10_S3_li
; %bb.0:
	s_load_dwordx2 s[10:11], s[4:5], 0x0
	s_load_dwordx4 s[0:3], s[4:5], 0x30
	s_lshl_b32 s9, s6, 5
	s_lshl_b32 s16, s7, 5
	s_mov_b32 s17, 0
	s_waitcnt lgkmcnt(0)
	s_cmp_lt_i32 s11, 1
	s_cbranch_scc1 .LBB395_3
; %bb.1:
	v_lshl_add_u32 v7, v1, 4, v0
	s_load_dword s6, s[4:5], 0x10
	s_load_dword s18, s[4:5], 0x28
	s_load_dwordx2 s[20:21], s[4:5], 0x8
	s_load_dwordx4 s[12:15], s[4:5], 0x18
	v_lshrrev_b32_e32 v8, 3, v7
	v_add_u32_e32 v2, s16, v8
	v_and_b32_e32 v6, 7, v0
	v_ashrrev_i32_e32 v3, 31, v2
	s_waitcnt lgkmcnt(0)
	v_mad_i64_i32 v[4:5], s[22:23], s18, v6, v[2:3]
	v_and_b32_e32 v2, 31, v7
	v_lshrrev_b32_e32 v9, 5, v7
	v_lshlrev_b32_e32 v3, 4, v2
	v_lshl_or_b32 v22, v9, 9, v3
	v_lshlrev_b32_e32 v3, 4, v6
	v_lshl_or_b32 v3, v8, 7, v3
	v_add_u32_e32 v23, 0x1000, v3
	v_mov_b32_e32 v3, 0x1000
	v_add_u32_e32 v2, s9, v2
	v_lshl_add_u32 v25, v1, 7, v3
	v_ashrrev_i32_e32 v3, 31, v2
	v_mad_i64_i32 v[2:3], s[22:23], s6, v9, v[2:3]
	s_mul_i32 s13, s13, s8
	s_mul_hi_u32 s24, s12, s8
	s_add_i32 s13, s24, s13
	s_mul_i32 s12, s12, s8
	s_ashr_i32 s7, s6, 31
	s_ashr_i32 s19, s18, 31
	s_lshl_b64 s[12:13], s[12:13], 4
	v_lshlrev_b64 v[2:3], 4, v[2:3]
	s_add_u32 s12, s20, s12
	s_addc_u32 s13, s21, s13
	v_add_co_u32_e32 v2, vcc, s12, v2
	s_mul_i32 s1, s1, s8
	s_mul_hi_u32 s12, s0, s8
	v_mov_b32_e32 v6, s13
	s_add_i32 s1, s12, s1
	s_mul_i32 s0, s0, s8
	v_addc_co_u32_e32 v3, vcc, v6, v3, vcc
	s_lshl_b64 s[6:7], s[6:7], 7
	s_lshl_b64 s[0:1], s[0:1], 4
	v_add_co_u32_e32 v2, vcc, 8, v2
	v_lshlrev_b64 v[4:5], 4, v[4:5]
	s_add_u32 s0, s14, s0
	v_addc_co_u32_e32 v3, vcc, 0, v3, vcc
	s_addc_u32 s1, s15, s1
	v_mov_b32_e32 v6, s1
	v_add_co_u32_e32 v4, vcc, s0, v4
	v_addc_co_u32_e32 v5, vcc, v6, v5, vcc
	v_add_co_u32_e32 v4, vcc, 8, v4
	s_lshl_b64 s[0:1], s[18:19], 7
	v_mov_b32_e32 v10, 0
	v_mov_b32_e32 v12, 0
	;; [unrolled: 1-line block ×8, first 2 shown]
	v_lshlrev_b32_e32 v24, 4, v0
	v_addc_co_u32_e32 v5, vcc, 0, v5, vcc
	v_mov_b32_e32 v11, 0
	v_mov_b32_e32 v26, s7
	;; [unrolled: 1-line block ×10, first 2 shown]
.LBB395_2:                              ; =>This Inner Loop Header: Depth=1
	global_load_dwordx4 v[28:31], v[2:3], off offset:-8
	v_add_co_u32_e32 v2, vcc, s6, v2
	v_addc_co_u32_e32 v3, vcc, v3, v26, vcc
	s_add_i32 s17, s17, 8
	s_cmp_ge_i32 s17, s11
	s_waitcnt vmcnt(0)
	ds_write_b128 v22, v[28:31]
	global_load_dwordx4 v[28:31], v[4:5], off offset:-8
	v_add_co_u32_e32 v4, vcc, s0, v4
	v_addc_co_u32_e32 v5, vcc, v5, v27, vcc
	s_waitcnt vmcnt(0)
	v_xor_b32_e32 v31, 0x80000000, v31
	ds_write_b128 v23, v[28:31]
	s_waitcnt lgkmcnt(0)
	s_barrier
	ds_read_b128 v[28:31], v25
	ds_read_b128 v[32:35], v25 offset:16
	ds_read_b128 v[36:39], v25 offset:32
	;; [unrolled: 1-line block ×3, first 2 shown]
	ds_read_b128 v[44:47], v24
	s_waitcnt lgkmcnt(0)
	v_mul_f64 v[48:49], v[30:31], v[46:47]
	v_mul_f64 v[50:51], v[28:29], v[46:47]
	v_fma_f64 v[48:49], v[28:29], v[44:45], -v[48:49]
	v_fma_f64 v[50:51], v[30:31], v[44:45], v[50:51]
	v_add_f64 v[48:49], v[18:19], v[48:49]
	v_add_f64 v[50:51], v[50:51], v[20:21]
	ds_read_b128 v[18:21], v24 offset:256
	s_waitcnt lgkmcnt(0)
	v_mul_f64 v[52:53], v[30:31], v[20:21]
	v_fma_f64 v[52:53], v[28:29], v[18:19], -v[52:53]
	v_mul_f64 v[28:29], v[28:29], v[20:21]
	v_fma_f64 v[28:29], v[30:31], v[18:19], v[28:29]
	v_add_f64 v[30:31], v[6:7], v[52:53]
	v_add_f64 v[28:29], v[28:29], v[8:9]
	ds_read_b128 v[6:9], v25 offset:2048
	s_waitcnt lgkmcnt(0)
	v_mul_f64 v[52:53], v[8:9], v[46:47]
	v_mul_f64 v[46:47], v[6:7], v[46:47]
	v_fma_f64 v[52:53], v[6:7], v[44:45], -v[52:53]
	v_fma_f64 v[44:45], v[8:9], v[44:45], v[46:47]
	v_add_f64 v[46:47], v[14:15], v[52:53]
	v_mul_f64 v[14:15], v[8:9], v[20:21]
	v_add_f64 v[44:45], v[44:45], v[16:17]
	v_fma_f64 v[14:15], v[6:7], v[18:19], -v[14:15]
	v_mul_f64 v[6:7], v[6:7], v[20:21]
	v_fma_f64 v[6:7], v[8:9], v[18:19], v[6:7]
	v_add_f64 v[18:19], v[12:13], v[14:15]
	v_add_f64 v[20:21], v[6:7], v[10:11]
	ds_read_b128 v[6:9], v24 offset:512
	s_waitcnt lgkmcnt(0)
	v_mul_f64 v[10:11], v[34:35], v[8:9]
	v_mul_f64 v[12:13], v[32:33], v[8:9]
	v_fma_f64 v[10:11], v[32:33], v[6:7], -v[10:11]
	v_fma_f64 v[12:13], v[34:35], v[6:7], v[12:13]
	v_add_f64 v[48:49], v[48:49], v[10:11]
	v_add_f64 v[50:51], v[12:13], v[50:51]
	ds_read_b128 v[10:13], v24 offset:768
	s_waitcnt lgkmcnt(0)
	v_mul_f64 v[14:15], v[34:35], v[12:13]
	v_mul_f64 v[16:17], v[32:33], v[12:13]
	v_fma_f64 v[14:15], v[32:33], v[10:11], -v[14:15]
	;; [unrolled: 8-line block ×3, first 2 shown]
	v_fma_f64 v[6:7], v[16:17], v[6:7], v[8:9]
	v_mul_f64 v[8:9], v[14:15], v[12:13]
	v_add_f64 v[32:33], v[46:47], v[32:33]
	v_add_f64 v[34:35], v[6:7], v[44:45]
	v_mul_f64 v[6:7], v[16:17], v[12:13]
	v_fma_f64 v[8:9], v[16:17], v[10:11], v[8:9]
	v_fma_f64 v[6:7], v[14:15], v[10:11], -v[6:7]
	v_add_f64 v[20:21], v[8:9], v[20:21]
	v_add_f64 v[18:19], v[18:19], v[6:7]
	ds_read_b128 v[6:9], v24 offset:1024
	s_waitcnt lgkmcnt(0)
	v_mul_f64 v[10:11], v[38:39], v[8:9]
	v_mul_f64 v[12:13], v[36:37], v[8:9]
	v_fma_f64 v[10:11], v[36:37], v[6:7], -v[10:11]
	v_fma_f64 v[12:13], v[38:39], v[6:7], v[12:13]
	v_add_f64 v[44:45], v[48:49], v[10:11]
	v_add_f64 v[46:47], v[12:13], v[50:51]
	ds_read_b128 v[10:13], v24 offset:1280
	s_waitcnt lgkmcnt(0)
	v_mul_f64 v[14:15], v[38:39], v[12:13]
	v_mul_f64 v[16:17], v[36:37], v[12:13]
	v_fma_f64 v[14:15], v[36:37], v[10:11], -v[14:15]
	v_fma_f64 v[16:17], v[38:39], v[10:11], v[16:17]
	;; [unrolled: 8-line block ×3, first 2 shown]
	v_mul_f64 v[8:9], v[14:15], v[12:13]
	v_add_f64 v[32:33], v[32:33], v[36:37]
	v_add_f64 v[34:35], v[6:7], v[34:35]
	v_mul_f64 v[6:7], v[16:17], v[12:13]
	v_fma_f64 v[8:9], v[16:17], v[10:11], v[8:9]
	v_fma_f64 v[6:7], v[14:15], v[10:11], -v[6:7]
	v_add_f64 v[20:21], v[8:9], v[20:21]
	v_add_f64 v[18:19], v[18:19], v[6:7]
	ds_read_b128 v[6:9], v24 offset:1536
	s_waitcnt lgkmcnt(0)
	v_mul_f64 v[10:11], v[42:43], v[8:9]
	v_mul_f64 v[12:13], v[40:41], v[8:9]
	v_fma_f64 v[10:11], v[40:41], v[6:7], -v[10:11]
	v_fma_f64 v[12:13], v[42:43], v[6:7], v[12:13]
	v_add_f64 v[36:37], v[44:45], v[10:11]
	v_add_f64 v[38:39], v[12:13], v[46:47]
	ds_read_b128 v[10:13], v24 offset:1792
	s_waitcnt lgkmcnt(0)
	v_mul_f64 v[14:15], v[42:43], v[12:13]
	v_mul_f64 v[16:17], v[40:41], v[12:13]
	v_fma_f64 v[14:15], v[40:41], v[10:11], -v[14:15]
	v_fma_f64 v[16:17], v[42:43], v[10:11], v[16:17]
	;; [unrolled: 8-line block ×3, first 2 shown]
	v_mul_f64 v[8:9], v[14:15], v[12:13]
	v_add_f64 v[32:33], v[32:33], v[40:41]
	v_add_f64 v[34:35], v[6:7], v[34:35]
	v_mul_f64 v[6:7], v[16:17], v[12:13]
	v_fma_f64 v[8:9], v[16:17], v[10:11], v[8:9]
	v_fma_f64 v[6:7], v[14:15], v[10:11], -v[6:7]
	v_add_f64 v[20:21], v[8:9], v[20:21]
	v_add_f64 v[18:19], v[18:19], v[6:7]
	ds_read_b128 v[6:9], v25 offset:64
	ds_read_b128 v[10:13], v24 offset:2048
	s_waitcnt lgkmcnt(0)
	v_mul_f64 v[14:15], v[8:9], v[12:13]
	v_mul_f64 v[16:17], v[6:7], v[12:13]
	v_fma_f64 v[14:15], v[6:7], v[10:11], -v[14:15]
	v_fma_f64 v[16:17], v[8:9], v[10:11], v[16:17]
	v_add_f64 v[36:37], v[36:37], v[14:15]
	v_add_f64 v[38:39], v[16:17], v[38:39]
	ds_read_b128 v[14:17], v24 offset:2304
	s_waitcnt lgkmcnt(0)
	v_mul_f64 v[40:41], v[8:9], v[16:17]
	v_fma_f64 v[40:41], v[6:7], v[14:15], -v[40:41]
	v_mul_f64 v[6:7], v[6:7], v[16:17]
	v_add_f64 v[30:31], v[30:31], v[40:41]
	v_fma_f64 v[6:7], v[8:9], v[14:15], v[6:7]
	v_add_f64 v[28:29], v[6:7], v[28:29]
	ds_read_b128 v[6:9], v25 offset:2112
	s_waitcnt lgkmcnt(0)
	v_mul_f64 v[40:41], v[8:9], v[12:13]
	v_mul_f64 v[12:13], v[6:7], v[12:13]
	v_fma_f64 v[40:41], v[6:7], v[10:11], -v[40:41]
	v_fma_f64 v[10:11], v[8:9], v[10:11], v[12:13]
	v_add_f64 v[32:33], v[32:33], v[40:41]
	v_add_f64 v[34:35], v[10:11], v[34:35]
	v_mul_f64 v[10:11], v[8:9], v[16:17]
	v_fma_f64 v[10:11], v[6:7], v[14:15], -v[10:11]
	v_mul_f64 v[6:7], v[6:7], v[16:17]
	v_add_f64 v[18:19], v[18:19], v[10:11]
	v_fma_f64 v[6:7], v[8:9], v[14:15], v[6:7]
	v_add_f64 v[20:21], v[6:7], v[20:21]
	ds_read_b128 v[6:9], v25 offset:80
	ds_read_b128 v[10:13], v24 offset:2560
	s_waitcnt lgkmcnt(0)
	v_mul_f64 v[14:15], v[8:9], v[12:13]
	v_mul_f64 v[16:17], v[6:7], v[12:13]
	v_fma_f64 v[14:15], v[6:7], v[10:11], -v[14:15]
	v_fma_f64 v[16:17], v[8:9], v[10:11], v[16:17]
	v_add_f64 v[36:37], v[36:37], v[14:15]
	v_add_f64 v[38:39], v[16:17], v[38:39]
	ds_read_b128 v[14:17], v24 offset:2816
	s_waitcnt lgkmcnt(0)
	v_mul_f64 v[40:41], v[8:9], v[16:17]
	v_fma_f64 v[40:41], v[6:7], v[14:15], -v[40:41]
	v_mul_f64 v[6:7], v[6:7], v[16:17]
	v_add_f64 v[30:31], v[30:31], v[40:41]
	v_fma_f64 v[6:7], v[8:9], v[14:15], v[6:7]
	v_add_f64 v[28:29], v[6:7], v[28:29]
	ds_read_b128 v[6:9], v25 offset:2128
	s_waitcnt lgkmcnt(0)
	v_mul_f64 v[40:41], v[8:9], v[12:13]
	v_mul_f64 v[12:13], v[6:7], v[12:13]
	v_fma_f64 v[40:41], v[6:7], v[10:11], -v[40:41]
	v_fma_f64 v[10:11], v[8:9], v[10:11], v[12:13]
	v_add_f64 v[32:33], v[32:33], v[40:41]
	v_add_f64 v[34:35], v[10:11], v[34:35]
	v_mul_f64 v[10:11], v[8:9], v[16:17]
	v_fma_f64 v[10:11], v[6:7], v[14:15], -v[10:11]
	v_mul_f64 v[6:7], v[6:7], v[16:17]
	v_add_f64 v[18:19], v[18:19], v[10:11]
	v_fma_f64 v[6:7], v[8:9], v[14:15], v[6:7]
	;; [unrolled: 31-line block ×3, first 2 shown]
	v_add_f64 v[50:51], v[6:7], v[20:21]
	ds_read_b128 v[6:9], v25 offset:112
	ds_read_b128 v[10:13], v24 offset:3584
	;; [unrolled: 1-line block ×4, first 2 shown]
	s_waitcnt lgkmcnt(0)
	s_barrier
	v_mul_f64 v[14:15], v[8:9], v[12:13]
	v_mul_f64 v[16:17], v[6:7], v[12:13]
	v_fma_f64 v[14:15], v[6:7], v[10:11], -v[14:15]
	v_fma_f64 v[16:17], v[8:9], v[10:11], v[16:17]
	v_add_f64 v[18:19], v[36:37], v[14:15]
	v_mul_f64 v[14:15], v[8:9], v[30:31]
	v_add_f64 v[20:21], v[16:17], v[38:39]
	v_fma_f64 v[14:15], v[6:7], v[28:29], -v[14:15]
	v_mul_f64 v[6:7], v[6:7], v[30:31]
	v_fma_f64 v[8:9], v[8:9], v[28:29], v[6:7]
	v_add_f64 v[6:7], v[40:41], v[14:15]
	v_mul_f64 v[14:15], v[34:35], v[12:13]
	v_mul_f64 v[12:13], v[32:33], v[12:13]
	v_add_f64 v[8:9], v[8:9], v[42:43]
	v_fma_f64 v[14:15], v[32:33], v[10:11], -v[14:15]
	v_fma_f64 v[10:11], v[34:35], v[10:11], v[12:13]
	v_mul_f64 v[12:13], v[32:33], v[30:31]
	v_add_f64 v[14:15], v[44:45], v[14:15]
	v_add_f64 v[16:17], v[10:11], v[46:47]
	v_mul_f64 v[10:11], v[34:35], v[30:31]
	v_fma_f64 v[10:11], v[32:33], v[28:29], -v[10:11]
	v_fma_f64 v[28:29], v[34:35], v[28:29], v[12:13]
	v_add_f64 v[12:13], v[48:49], v[10:11]
	v_add_f64 v[10:11], v[28:29], v[50:51]
	s_cbranch_scc0 .LBB395_2
	s_branch .LBB395_4
.LBB395_3:
	v_mov_b32_e32 v18, 0
	v_mov_b32_e32 v20, 0
	;; [unrolled: 1-line block ×16, first 2 shown]
.LBB395_4:
	s_load_dwordx2 s[0:1], s[4:5], 0x48
	s_load_dword s6, s[4:5], 0x40
	v_add_u32_e32 v4, s16, v1
	v_add_u32_e32 v0, s9, v0
	s_waitcnt lgkmcnt(0)
	s_mul_i32 s1, s1, s8
	s_mul_hi_u32 s4, s0, s8
	s_add_i32 s1, s4, s1
	v_mad_i64_i32 v[1:2], s[4:5], v4, s6, 0
	s_mul_i32 s0, s0, s8
	s_lshl_b64 s[0:1], s[0:1], 4
	s_add_u32 s7, s2, s0
	v_lshlrev_b64 v[1:2], 4, v[1:2]
	s_addc_u32 s8, s3, s1
	v_mov_b32_e32 v3, s8
	v_add_co_u32_e32 v5, vcc, s7, v1
	v_addc_co_u32_e32 v22, vcc, v3, v2, vcc
	v_cmp_le_i32_e64 s[0:1], v4, v0
	v_cmp_gt_i32_e32 vcc, s10, v0
	s_and_b64 s[0:1], s[0:1], vcc
	s_and_saveexec_b64 s[2:3], s[0:1]
	s_cbranch_execz .LBB395_6
; %bb.5:
	v_ashrrev_i32_e32 v1, 31, v0
	v_lshlrev_b64 v[1:2], 4, v[0:1]
	v_add_co_u32_e64 v1, s[0:1], v5, v1
	v_addc_co_u32_e64 v2, s[0:1], v22, v2, s[0:1]
	global_load_dwordx4 v[23:26], v[1:2], off
	v_cmp_ne_u32_e64 s[0:1], v4, v0
	s_waitcnt vmcnt(0)
	v_add_f64 v[20:21], v[20:21], -v[25:26]
	v_add_f64 v[18:19], v[18:19], -v[23:24]
	v_cndmask_b32_e64 v21, 0, v21, s[0:1]
	v_cndmask_b32_e64 v20, 0, v20, s[0:1]
	global_store_dwordx4 v[1:2], v[18:21], off
.LBB395_6:
	s_or_b64 exec, exec, s[2:3]
	v_add_u32_e32 v2, 16, v0
	v_cmp_le_i32_e64 s[2:3], v4, v2
	v_cmp_gt_i32_e64 s[0:1], s10, v2
	s_and_b64 s[2:3], s[2:3], s[0:1]
	s_and_saveexec_b64 s[4:5], s[2:3]
	s_cbranch_execz .LBB395_8
; %bb.7:
	v_ashrrev_i32_e32 v3, 31, v2
	v_lshlrev_b64 v[18:19], 4, v[2:3]
	v_add_co_u32_e64 v23, s[2:3], v5, v18
	v_addc_co_u32_e64 v24, s[2:3], v22, v19, s[2:3]
	global_load_dwordx4 v[18:21], v[23:24], off
	v_cmp_ne_u32_e64 s[2:3], v4, v2
	s_waitcnt vmcnt(0)
	v_add_f64 v[20:21], v[8:9], -v[20:21]
	v_add_f64 v[5:6], v[6:7], -v[18:19]
	v_cndmask_b32_e64 v8, 0, v21, s[2:3]
	v_cndmask_b32_e64 v7, 0, v20, s[2:3]
	global_store_dwordx4 v[23:24], v[5:8], off
.LBB395_8:
	s_or_b64 exec, exec, s[4:5]
	v_add_u32_e32 v3, 16, v4
	v_mad_i64_i32 v[5:6], s[2:3], v3, s6, 0
	v_mov_b32_e32 v1, s8
	v_lshlrev_b64 v[5:6], 4, v[5:6]
	v_add_co_u32_e64 v5, s[2:3], s7, v5
	v_addc_co_u32_e64 v6, s[2:3], v1, v6, s[2:3]
	v_cmp_le_i32_e64 s[2:3], v3, v0
	s_and_b64 s[4:5], s[2:3], vcc
	s_and_saveexec_b64 s[2:3], s[4:5]
	s_cbranch_execz .LBB395_10
; %bb.9:
	v_ashrrev_i32_e32 v1, 31, v0
	v_lshlrev_b64 v[7:8], 4, v[0:1]
	v_add_co_u32_e32 v7, vcc, v5, v7
	v_addc_co_u32_e32 v8, vcc, v6, v8, vcc
	global_load_dwordx4 v[18:21], v[7:8], off
	v_cmp_ne_u32_e32 vcc, v3, v0
	s_waitcnt vmcnt(0)
	v_add_f64 v[16:17], v[16:17], -v[20:21]
	v_add_f64 v[14:15], v[14:15], -v[18:19]
	v_cndmask_b32_e32 v17, 0, v17, vcc
	v_cndmask_b32_e32 v16, 0, v16, vcc
	global_store_dwordx4 v[7:8], v[14:17], off
.LBB395_10:
	s_or_b64 exec, exec, s[2:3]
	v_cmp_le_i32_e32 vcc, v3, v2
	s_and_b64 s[0:1], vcc, s[0:1]
	s_and_saveexec_b64 s[2:3], s[0:1]
	s_cbranch_execz .LBB395_12
; %bb.11:
	v_ashrrev_i32_e32 v3, 31, v2
	v_lshlrev_b64 v[1:2], 4, v[2:3]
	v_add_co_u32_e32 v14, vcc, v5, v1
	v_addc_co_u32_e32 v15, vcc, v6, v2, vcc
	global_load_dwordx4 v[5:8], v[14:15], off
	v_cmp_ne_u32_e32 vcc, v4, v0
	s_waitcnt vmcnt(0)
	v_add_f64 v[7:8], v[10:11], -v[7:8]
	v_add_f64 v[1:2], v[12:13], -v[5:6]
	v_cndmask_b32_e32 v4, 0, v8, vcc
	v_cndmask_b32_e32 v3, 0, v7, vcc
	global_store_dwordx4 v[14:15], v[1:4], off
.LBB395_12:
	s_endpgm
	.section	.rodata,"a",@progbits
	.p2align	6, 0x0
	.amdhsa_kernel _ZL37rocblas_syrkx_herkx_restricted_kernelIi19rocblas_complex_numIdELi16ELi32ELi8ELi1ELin1ELb1ELc78ELc76EKS1_S1_EviT_PT9_S3_lS5_S3_lPT10_S3_li
		.amdhsa_group_segment_fixed_size 8192
		.amdhsa_private_segment_fixed_size 0
		.amdhsa_kernarg_size 84
		.amdhsa_user_sgpr_count 6
		.amdhsa_user_sgpr_private_segment_buffer 1
		.amdhsa_user_sgpr_dispatch_ptr 0
		.amdhsa_user_sgpr_queue_ptr 0
		.amdhsa_user_sgpr_kernarg_segment_ptr 1
		.amdhsa_user_sgpr_dispatch_id 0
		.amdhsa_user_sgpr_flat_scratch_init 0
		.amdhsa_user_sgpr_private_segment_size 0
		.amdhsa_uses_dynamic_stack 0
		.amdhsa_system_sgpr_private_segment_wavefront_offset 0
		.amdhsa_system_sgpr_workgroup_id_x 1
		.amdhsa_system_sgpr_workgroup_id_y 1
		.amdhsa_system_sgpr_workgroup_id_z 1
		.amdhsa_system_sgpr_workgroup_info 0
		.amdhsa_system_vgpr_workitem_id 1
		.amdhsa_next_free_vgpr 54
		.amdhsa_next_free_sgpr 61
		.amdhsa_reserve_vcc 1
		.amdhsa_reserve_flat_scratch 0
		.amdhsa_float_round_mode_32 0
		.amdhsa_float_round_mode_16_64 0
		.amdhsa_float_denorm_mode_32 3
		.amdhsa_float_denorm_mode_16_64 3
		.amdhsa_dx10_clamp 1
		.amdhsa_ieee_mode 1
		.amdhsa_fp16_overflow 0
		.amdhsa_exception_fp_ieee_invalid_op 0
		.amdhsa_exception_fp_denorm_src 0
		.amdhsa_exception_fp_ieee_div_zero 0
		.amdhsa_exception_fp_ieee_overflow 0
		.amdhsa_exception_fp_ieee_underflow 0
		.amdhsa_exception_fp_ieee_inexact 0
		.amdhsa_exception_int_div_zero 0
	.end_amdhsa_kernel
	.section	.text._ZL37rocblas_syrkx_herkx_restricted_kernelIi19rocblas_complex_numIdELi16ELi32ELi8ELi1ELin1ELb1ELc78ELc76EKS1_S1_EviT_PT9_S3_lS5_S3_lPT10_S3_li,"axG",@progbits,_ZL37rocblas_syrkx_herkx_restricted_kernelIi19rocblas_complex_numIdELi16ELi32ELi8ELi1ELin1ELb1ELc78ELc76EKS1_S1_EviT_PT9_S3_lS5_S3_lPT10_S3_li,comdat
.Lfunc_end395:
	.size	_ZL37rocblas_syrkx_herkx_restricted_kernelIi19rocblas_complex_numIdELi16ELi32ELi8ELi1ELin1ELb1ELc78ELc76EKS1_S1_EviT_PT9_S3_lS5_S3_lPT10_S3_li, .Lfunc_end395-_ZL37rocblas_syrkx_herkx_restricted_kernelIi19rocblas_complex_numIdELi16ELi32ELi8ELi1ELin1ELb1ELc78ELc76EKS1_S1_EviT_PT9_S3_lS5_S3_lPT10_S3_li
                                        ; -- End function
	.set _ZL37rocblas_syrkx_herkx_restricted_kernelIi19rocblas_complex_numIdELi16ELi32ELi8ELi1ELin1ELb1ELc78ELc76EKS1_S1_EviT_PT9_S3_lS5_S3_lPT10_S3_li.num_vgpr, 54
	.set _ZL37rocblas_syrkx_herkx_restricted_kernelIi19rocblas_complex_numIdELi16ELi32ELi8ELi1ELin1ELb1ELc78ELc76EKS1_S1_EviT_PT9_S3_lS5_S3_lPT10_S3_li.num_agpr, 0
	.set _ZL37rocblas_syrkx_herkx_restricted_kernelIi19rocblas_complex_numIdELi16ELi32ELi8ELi1ELin1ELb1ELc78ELc76EKS1_S1_EviT_PT9_S3_lS5_S3_lPT10_S3_li.numbered_sgpr, 25
	.set _ZL37rocblas_syrkx_herkx_restricted_kernelIi19rocblas_complex_numIdELi16ELi32ELi8ELi1ELin1ELb1ELc78ELc76EKS1_S1_EviT_PT9_S3_lS5_S3_lPT10_S3_li.num_named_barrier, 0
	.set _ZL37rocblas_syrkx_herkx_restricted_kernelIi19rocblas_complex_numIdELi16ELi32ELi8ELi1ELin1ELb1ELc78ELc76EKS1_S1_EviT_PT9_S3_lS5_S3_lPT10_S3_li.private_seg_size, 0
	.set _ZL37rocblas_syrkx_herkx_restricted_kernelIi19rocblas_complex_numIdELi16ELi32ELi8ELi1ELin1ELb1ELc78ELc76EKS1_S1_EviT_PT9_S3_lS5_S3_lPT10_S3_li.uses_vcc, 1
	.set _ZL37rocblas_syrkx_herkx_restricted_kernelIi19rocblas_complex_numIdELi16ELi32ELi8ELi1ELin1ELb1ELc78ELc76EKS1_S1_EviT_PT9_S3_lS5_S3_lPT10_S3_li.uses_flat_scratch, 0
	.set _ZL37rocblas_syrkx_herkx_restricted_kernelIi19rocblas_complex_numIdELi16ELi32ELi8ELi1ELin1ELb1ELc78ELc76EKS1_S1_EviT_PT9_S3_lS5_S3_lPT10_S3_li.has_dyn_sized_stack, 0
	.set _ZL37rocblas_syrkx_herkx_restricted_kernelIi19rocblas_complex_numIdELi16ELi32ELi8ELi1ELin1ELb1ELc78ELc76EKS1_S1_EviT_PT9_S3_lS5_S3_lPT10_S3_li.has_recursion, 0
	.set _ZL37rocblas_syrkx_herkx_restricted_kernelIi19rocblas_complex_numIdELi16ELi32ELi8ELi1ELin1ELb1ELc78ELc76EKS1_S1_EviT_PT9_S3_lS5_S3_lPT10_S3_li.has_indirect_call, 0
	.section	.AMDGPU.csdata,"",@progbits
; Kernel info:
; codeLenInByte = 2964
; TotalNumSgprs: 29
; NumVgprs: 54
; ScratchSize: 0
; MemoryBound: 0
; FloatMode: 240
; IeeeMode: 1
; LDSByteSize: 8192 bytes/workgroup (compile time only)
; SGPRBlocks: 8
; VGPRBlocks: 13
; NumSGPRsForWavesPerEU: 65
; NumVGPRsForWavesPerEU: 54
; Occupancy: 4
; WaveLimiterHint : 0
; COMPUTE_PGM_RSRC2:SCRATCH_EN: 0
; COMPUTE_PGM_RSRC2:USER_SGPR: 6
; COMPUTE_PGM_RSRC2:TRAP_HANDLER: 0
; COMPUTE_PGM_RSRC2:TGID_X_EN: 1
; COMPUTE_PGM_RSRC2:TGID_Y_EN: 1
; COMPUTE_PGM_RSRC2:TGID_Z_EN: 1
; COMPUTE_PGM_RSRC2:TIDIG_COMP_CNT: 1
	.section	.text._ZL37rocblas_syrkx_herkx_restricted_kernelIi19rocblas_complex_numIdELi16ELi32ELi8ELi1ELin1ELb1ELc84ELc85EKS1_S1_EviT_PT9_S3_lS5_S3_lPT10_S3_li,"axG",@progbits,_ZL37rocblas_syrkx_herkx_restricted_kernelIi19rocblas_complex_numIdELi16ELi32ELi8ELi1ELin1ELb1ELc84ELc85EKS1_S1_EviT_PT9_S3_lS5_S3_lPT10_S3_li,comdat
	.globl	_ZL37rocblas_syrkx_herkx_restricted_kernelIi19rocblas_complex_numIdELi16ELi32ELi8ELi1ELin1ELb1ELc84ELc85EKS1_S1_EviT_PT9_S3_lS5_S3_lPT10_S3_li ; -- Begin function _ZL37rocblas_syrkx_herkx_restricted_kernelIi19rocblas_complex_numIdELi16ELi32ELi8ELi1ELin1ELb1ELc84ELc85EKS1_S1_EviT_PT9_S3_lS5_S3_lPT10_S3_li
	.p2align	8
	.type	_ZL37rocblas_syrkx_herkx_restricted_kernelIi19rocblas_complex_numIdELi16ELi32ELi8ELi1ELin1ELb1ELc84ELc85EKS1_S1_EviT_PT9_S3_lS5_S3_lPT10_S3_li,@function
_ZL37rocblas_syrkx_herkx_restricted_kernelIi19rocblas_complex_numIdELi16ELi32ELi8ELi1ELin1ELb1ELc84ELc85EKS1_S1_EviT_PT9_S3_lS5_S3_lPT10_S3_li: ; @_ZL37rocblas_syrkx_herkx_restricted_kernelIi19rocblas_complex_numIdELi16ELi32ELi8ELi1ELin1ELb1ELc84ELc85EKS1_S1_EviT_PT9_S3_lS5_S3_lPT10_S3_li
; %bb.0:
	s_load_dwordx2 s[10:11], s[4:5], 0x0
	s_load_dwordx4 s[0:3], s[4:5], 0x30
	s_lshl_b32 s6, s6, 5
	s_lshl_b32 s7, s7, 5
	s_mov_b32 s9, 0
	s_waitcnt lgkmcnt(0)
	s_cmp_lt_i32 s11, 1
	s_cbranch_scc1 .LBB396_3
; %bb.1:
	s_load_dwordx2 s[16:17], s[4:5], 0x8
	s_load_dword s20, s[4:5], 0x10
	s_load_dwordx4 s[12:15], s[4:5], 0x18
	s_load_dword s18, s[4:5], 0x28
	v_lshl_add_u32 v6, v1, 4, v0
	v_lshrrev_b32_e32 v8, 3, v6
	v_add_u32_e32 v4, s7, v8
	v_and_b32_e32 v2, 7, v0
	v_mov_b32_e32 v3, 0
	s_waitcnt lgkmcnt(0)
	v_mad_i64_i32 v[4:5], s[18:19], s18, v4, v[2:3]
	v_lshlrev_b32_e32 v2, 4, v2
	v_lshl_or_b32 v2, v8, 7, v2
	v_and_b32_e32 v9, 31, v6
	v_add_u32_e32 v23, 0x1000, v2
	v_mov_b32_e32 v2, 0x1000
	v_lshrrev_b32_e32 v6, 5, v6
	v_mov_b32_e32 v7, v3
	v_lshlrev_b32_e32 v3, 4, v9
	v_lshl_add_u32 v25, v1, 7, v2
	v_add_u32_e32 v2, s6, v9
	v_lshl_or_b32 v22, v6, 9, v3
	v_mad_i64_i32 v[2:3], s[18:19], s20, v2, v[6:7]
	s_mul_i32 s13, s13, s8
	s_mul_hi_u32 s21, s12, s8
	s_add_i32 s13, s21, s13
	s_mul_i32 s12, s12, s8
	s_lshl_b64 s[12:13], s[12:13], 4
	v_lshlrev_b64 v[2:3], 4, v[2:3]
	s_add_u32 s12, s16, s12
	s_addc_u32 s13, s17, s13
	v_add_co_u32_e32 v2, vcc, s12, v2
	s_mul_i32 s1, s1, s8
	s_mul_hi_u32 s12, s0, s8
	v_mov_b32_e32 v6, s13
	s_add_i32 s1, s12, s1
	s_mul_i32 s0, s0, s8
	v_addc_co_u32_e32 v3, vcc, v6, v3, vcc
	s_lshl_b64 s[0:1], s[0:1], 4
	v_add_co_u32_e32 v2, vcc, 8, v2
	v_lshlrev_b64 v[4:5], 4, v[4:5]
	s_add_u32 s0, s14, s0
	v_addc_co_u32_e32 v3, vcc, 0, v3, vcc
	s_addc_u32 s1, s15, s1
	v_mov_b32_e32 v6, s1
	v_add_co_u32_e32 v4, vcc, s0, v4
	v_addc_co_u32_e32 v5, vcc, v6, v5, vcc
	v_mov_b32_e32 v10, 0
	v_mov_b32_e32 v12, 0
	;; [unrolled: 1-line block ×8, first 2 shown]
	v_add_co_u32_e32 v4, vcc, 8, v4
	v_lshlrev_b32_e32 v24, 4, v0
	v_mov_b32_e32 v11, 0
	v_mov_b32_e32 v13, 0
	;; [unrolled: 1-line block ×8, first 2 shown]
	v_addc_co_u32_e32 v5, vcc, 0, v5, vcc
.LBB396_2:                              ; =>This Inner Loop Header: Depth=1
	global_load_dwordx4 v[26:29], v[2:3], off offset:-8
	v_add_co_u32_e32 v2, vcc, 0x80, v2
	v_addc_co_u32_e32 v3, vcc, 0, v3, vcc
	s_add_i32 s9, s9, 8
	s_cmp_ge_i32 s9, s11
	s_waitcnt vmcnt(0)
	ds_write_b128 v22, v[26:29]
	global_load_dwordx4 v[26:29], v[4:5], off offset:-8
	v_add_co_u32_e32 v4, vcc, 0x80, v4
	v_addc_co_u32_e32 v5, vcc, 0, v5, vcc
	s_waitcnt vmcnt(0)
	ds_write_b128 v23, v[26:29]
	s_waitcnt lgkmcnt(0)
	s_barrier
	ds_read_b128 v[26:29], v25
	ds_read_b128 v[30:33], v25 offset:16
	ds_read_b128 v[34:37], v25 offset:32
	;; [unrolled: 1-line block ×3, first 2 shown]
	ds_read_b128 v[42:45], v24
	s_waitcnt lgkmcnt(0)
	v_mul_f64 v[46:47], v[28:29], v[44:45]
	v_mul_f64 v[48:49], v[26:27], v[44:45]
	v_fma_f64 v[46:47], v[26:27], v[42:43], -v[46:47]
	v_fma_f64 v[48:49], v[28:29], v[42:43], v[48:49]
	v_add_f64 v[14:15], v[14:15], v[46:47]
	v_add_f64 v[20:21], v[48:49], v[20:21]
	ds_read_b128 v[46:49], v24 offset:256
	s_waitcnt lgkmcnt(0)
	v_mul_f64 v[50:51], v[28:29], v[48:49]
	v_fma_f64 v[50:51], v[26:27], v[46:47], -v[50:51]
	v_mul_f64 v[26:27], v[26:27], v[48:49]
	v_fma_f64 v[26:27], v[28:29], v[46:47], v[26:27]
	v_add_f64 v[28:29], v[6:7], v[50:51]
	v_add_f64 v[26:27], v[26:27], v[8:9]
	ds_read_b128 v[6:9], v25 offset:2048
	s_waitcnt lgkmcnt(0)
	v_mul_f64 v[50:51], v[8:9], v[44:45]
	v_mul_f64 v[44:45], v[6:7], v[44:45]
	v_fma_f64 v[50:51], v[6:7], v[42:43], -v[50:51]
	v_fma_f64 v[42:43], v[8:9], v[42:43], v[44:45]
	v_add_f64 v[44:45], v[16:17], v[50:51]
	v_mul_f64 v[16:17], v[8:9], v[48:49]
	v_add_f64 v[18:19], v[42:43], v[18:19]
	v_fma_f64 v[16:17], v[6:7], v[46:47], -v[16:17]
	v_mul_f64 v[6:7], v[6:7], v[48:49]
	v_add_f64 v[42:43], v[12:13], v[16:17]
	v_fma_f64 v[6:7], v[8:9], v[46:47], v[6:7]
	v_add_f64 v[46:47], v[6:7], v[10:11]
	ds_read_b128 v[6:9], v24 offset:512
	s_waitcnt lgkmcnt(0)
	v_mul_f64 v[10:11], v[32:33], v[8:9]
	v_mul_f64 v[12:13], v[30:31], v[8:9]
	v_fma_f64 v[10:11], v[30:31], v[6:7], -v[10:11]
	v_fma_f64 v[12:13], v[32:33], v[6:7], v[12:13]
	v_add_f64 v[48:49], v[14:15], v[10:11]
	v_add_f64 v[20:21], v[12:13], v[20:21]
	ds_read_b128 v[10:13], v24 offset:768
	s_waitcnt lgkmcnt(0)
	v_mul_f64 v[14:15], v[32:33], v[12:13]
	v_mul_f64 v[16:17], v[30:31], v[12:13]
	v_fma_f64 v[14:15], v[30:31], v[10:11], -v[14:15]
	v_fma_f64 v[16:17], v[32:33], v[10:11], v[16:17]
	v_add_f64 v[28:29], v[28:29], v[14:15]
	v_add_f64 v[26:27], v[16:17], v[26:27]
	ds_read_b128 v[14:17], v25 offset:2064
	s_waitcnt lgkmcnt(0)
	v_mul_f64 v[30:31], v[16:17], v[8:9]
	v_mul_f64 v[8:9], v[14:15], v[8:9]
	v_fma_f64 v[30:31], v[14:15], v[6:7], -v[30:31]
	v_fma_f64 v[6:7], v[16:17], v[6:7], v[8:9]
	v_mul_f64 v[8:9], v[14:15], v[12:13]
	v_add_f64 v[30:31], v[44:45], v[30:31]
	v_add_f64 v[18:19], v[6:7], v[18:19]
	v_mul_f64 v[6:7], v[16:17], v[12:13]
	v_fma_f64 v[8:9], v[16:17], v[10:11], v[8:9]
	v_fma_f64 v[6:7], v[14:15], v[10:11], -v[6:7]
	v_add_f64 v[32:33], v[42:43], v[6:7]
	v_add_f64 v[42:43], v[8:9], v[46:47]
	ds_read_b128 v[6:9], v24 offset:1024
	s_waitcnt lgkmcnt(0)
	v_mul_f64 v[10:11], v[36:37], v[8:9]
	v_mul_f64 v[12:13], v[34:35], v[8:9]
	v_fma_f64 v[10:11], v[34:35], v[6:7], -v[10:11]
	v_fma_f64 v[12:13], v[36:37], v[6:7], v[12:13]
	v_add_f64 v[44:45], v[48:49], v[10:11]
	v_add_f64 v[20:21], v[12:13], v[20:21]
	ds_read_b128 v[10:13], v24 offset:1280
	s_waitcnt lgkmcnt(0)
	v_mul_f64 v[14:15], v[36:37], v[12:13]
	v_mul_f64 v[16:17], v[34:35], v[12:13]
	v_fma_f64 v[14:15], v[34:35], v[10:11], -v[14:15]
	v_fma_f64 v[16:17], v[36:37], v[10:11], v[16:17]
	v_add_f64 v[28:29], v[28:29], v[14:15]
	v_add_f64 v[26:27], v[16:17], v[26:27]
	ds_read_b128 v[14:17], v25 offset:2080
	s_waitcnt lgkmcnt(0)
	v_mul_f64 v[34:35], v[16:17], v[8:9]
	v_mul_f64 v[8:9], v[14:15], v[8:9]
	v_fma_f64 v[34:35], v[14:15], v[6:7], -v[34:35]
	v_fma_f64 v[6:7], v[16:17], v[6:7], v[8:9]
	v_mul_f64 v[8:9], v[14:15], v[12:13]
	v_add_f64 v[30:31], v[30:31], v[34:35]
	v_add_f64 v[18:19], v[6:7], v[18:19]
	v_mul_f64 v[6:7], v[16:17], v[12:13]
	v_fma_f64 v[8:9], v[16:17], v[10:11], v[8:9]
	v_fma_f64 v[6:7], v[14:15], v[10:11], -v[6:7]
	v_add_f64 v[34:35], v[8:9], v[42:43]
	;; [unrolled: 30-line block ×3, first 2 shown]
	v_add_f64 v[32:33], v[32:33], v[6:7]
	ds_read_b128 v[6:9], v25 offset:64
	ds_read_b128 v[10:13], v24 offset:2048
	s_waitcnt lgkmcnt(0)
	v_mul_f64 v[14:15], v[8:9], v[12:13]
	v_mul_f64 v[16:17], v[6:7], v[12:13]
	v_fma_f64 v[14:15], v[6:7], v[10:11], -v[14:15]
	v_fma_f64 v[16:17], v[8:9], v[10:11], v[16:17]
	v_add_f64 v[36:37], v[36:37], v[14:15]
	v_add_f64 v[20:21], v[16:17], v[20:21]
	ds_read_b128 v[14:17], v24 offset:2304
	s_waitcnt lgkmcnt(0)
	v_mul_f64 v[38:39], v[8:9], v[16:17]
	v_fma_f64 v[38:39], v[6:7], v[14:15], -v[38:39]
	v_mul_f64 v[6:7], v[6:7], v[16:17]
	v_add_f64 v[28:29], v[28:29], v[38:39]
	v_fma_f64 v[6:7], v[8:9], v[14:15], v[6:7]
	v_add_f64 v[26:27], v[6:7], v[26:27]
	ds_read_b128 v[6:9], v25 offset:2112
	s_waitcnt lgkmcnt(0)
	v_mul_f64 v[38:39], v[8:9], v[12:13]
	v_mul_f64 v[12:13], v[6:7], v[12:13]
	v_fma_f64 v[38:39], v[6:7], v[10:11], -v[38:39]
	v_fma_f64 v[10:11], v[8:9], v[10:11], v[12:13]
	v_add_f64 v[30:31], v[30:31], v[38:39]
	v_add_f64 v[18:19], v[10:11], v[18:19]
	v_mul_f64 v[10:11], v[8:9], v[16:17]
	v_fma_f64 v[10:11], v[6:7], v[14:15], -v[10:11]
	v_mul_f64 v[6:7], v[6:7], v[16:17]
	v_add_f64 v[32:33], v[32:33], v[10:11]
	v_fma_f64 v[6:7], v[8:9], v[14:15], v[6:7]
	v_add_f64 v[34:35], v[6:7], v[34:35]
	ds_read_b128 v[6:9], v25 offset:80
	ds_read_b128 v[10:13], v24 offset:2560
	s_waitcnt lgkmcnt(0)
	v_mul_f64 v[14:15], v[8:9], v[12:13]
	v_mul_f64 v[16:17], v[6:7], v[12:13]
	v_fma_f64 v[14:15], v[6:7], v[10:11], -v[14:15]
	v_fma_f64 v[16:17], v[8:9], v[10:11], v[16:17]
	v_add_f64 v[36:37], v[36:37], v[14:15]
	v_add_f64 v[20:21], v[16:17], v[20:21]
	ds_read_b128 v[14:17], v24 offset:2816
	s_waitcnt lgkmcnt(0)
	v_mul_f64 v[38:39], v[8:9], v[16:17]
	v_fma_f64 v[38:39], v[6:7], v[14:15], -v[38:39]
	v_mul_f64 v[6:7], v[6:7], v[16:17]
	v_add_f64 v[28:29], v[28:29], v[38:39]
	v_fma_f64 v[6:7], v[8:9], v[14:15], v[6:7]
	v_add_f64 v[26:27], v[6:7], v[26:27]
	ds_read_b128 v[6:9], v25 offset:2128
	s_waitcnt lgkmcnt(0)
	v_mul_f64 v[38:39], v[8:9], v[12:13]
	v_mul_f64 v[12:13], v[6:7], v[12:13]
	v_fma_f64 v[38:39], v[6:7], v[10:11], -v[38:39]
	v_fma_f64 v[10:11], v[8:9], v[10:11], v[12:13]
	v_add_f64 v[30:31], v[30:31], v[38:39]
	v_add_f64 v[18:19], v[10:11], v[18:19]
	v_mul_f64 v[10:11], v[8:9], v[16:17]
	v_fma_f64 v[10:11], v[6:7], v[14:15], -v[10:11]
	v_mul_f64 v[6:7], v[6:7], v[16:17]
	v_add_f64 v[32:33], v[32:33], v[10:11]
	v_fma_f64 v[6:7], v[8:9], v[14:15], v[6:7]
	;; [unrolled: 31-line block ×3, first 2 shown]
	v_add_f64 v[34:35], v[6:7], v[34:35]
	ds_read_b128 v[6:9], v25 offset:112
	ds_read_b128 v[10:13], v24 offset:3584
	;; [unrolled: 1-line block ×4, first 2 shown]
	s_waitcnt lgkmcnt(0)
	s_barrier
	v_mul_f64 v[16:17], v[6:7], v[12:13]
	v_mul_f64 v[14:15], v[8:9], v[12:13]
	v_fma_f64 v[16:17], v[8:9], v[10:11], v[16:17]
	v_fma_f64 v[14:15], v[6:7], v[10:11], -v[14:15]
	v_add_f64 v[20:21], v[16:17], v[20:21]
	v_mul_f64 v[16:17], v[8:9], v[28:29]
	v_add_f64 v[14:15], v[36:37], v[14:15]
	v_fma_f64 v[16:17], v[6:7], v[26:27], -v[16:17]
	v_mul_f64 v[6:7], v[6:7], v[28:29]
	v_fma_f64 v[8:9], v[8:9], v[26:27], v[6:7]
	v_add_f64 v[6:7], v[38:39], v[16:17]
	v_mul_f64 v[16:17], v[32:33], v[12:13]
	v_mul_f64 v[12:13], v[30:31], v[12:13]
	v_add_f64 v[8:9], v[8:9], v[40:41]
	v_fma_f64 v[16:17], v[30:31], v[10:11], -v[16:17]
	v_fma_f64 v[10:11], v[32:33], v[10:11], v[12:13]
	v_mul_f64 v[12:13], v[30:31], v[28:29]
	v_add_f64 v[16:17], v[42:43], v[16:17]
	v_add_f64 v[18:19], v[10:11], v[18:19]
	v_mul_f64 v[10:11], v[32:33], v[28:29]
	v_fma_f64 v[10:11], v[30:31], v[26:27], -v[10:11]
	v_fma_f64 v[26:27], v[32:33], v[26:27], v[12:13]
	v_add_f64 v[12:13], v[44:45], v[10:11]
	v_add_f64 v[10:11], v[26:27], v[34:35]
	s_cbranch_scc0 .LBB396_2
	s_branch .LBB396_4
.LBB396_3:
	v_mov_b32_e32 v14, 0
	v_mov_b32_e32 v20, 0
	;; [unrolled: 1-line block ×16, first 2 shown]
.LBB396_4:
	s_load_dwordx2 s[0:1], s[4:5], 0x48
	s_load_dword s9, s[4:5], 0x40
	v_add_u32_e32 v4, s7, v1
	v_add_u32_e32 v0, s6, v0
	v_cmp_gt_i32_e32 vcc, s10, v4
	s_waitcnt lgkmcnt(0)
	s_mul_i32 s1, s1, s8
	v_mad_i64_i32 v[1:2], s[12:13], v4, s9, 0
	s_mul_hi_u32 s4, s0, s8
	s_mul_i32 s0, s0, s8
	s_add_i32 s1, s4, s1
	s_lshl_b64 s[0:1], s[0:1], 4
	s_add_u32 s4, s2, s0
	v_lshlrev_b64 v[1:2], 4, v[1:2]
	s_addc_u32 s5, s3, s1
	v_mov_b32_e32 v3, s5
	v_add_co_u32_e64 v5, s[0:1], s4, v1
	v_addc_co_u32_e64 v22, s[0:1], v3, v2, s[0:1]
	v_cmp_le_i32_e64 s[0:1], v0, v4
	s_and_b64 s[0:1], vcc, s[0:1]
	s_and_saveexec_b64 s[2:3], s[0:1]
	s_cbranch_execz .LBB396_6
; %bb.5:
	v_ashrrev_i32_e32 v1, 31, v0
	v_lshlrev_b64 v[1:2], 4, v[0:1]
	v_add_co_u32_e64 v1, s[0:1], v5, v1
	v_addc_co_u32_e64 v2, s[0:1], v22, v2, s[0:1]
	global_load_dwordx4 v[23:26], v[1:2], off
	v_cmp_ne_u32_e64 s[0:1], v4, v0
	s_waitcnt vmcnt(0)
	v_add_f64 v[20:21], v[20:21], -v[25:26]
	v_add_f64 v[23:24], v[14:15], -v[23:24]
	v_cndmask_b32_e64 v26, 0, v21, s[0:1]
	v_cndmask_b32_e64 v25, 0, v20, s[0:1]
	global_store_dwordx4 v[1:2], v[23:26], off
.LBB396_6:
	s_or_b64 exec, exec, s[2:3]
	v_add_u32_e32 v2, 16, v0
	v_cmp_le_i32_e64 s[0:1], v2, v4
	s_and_b64 s[2:3], vcc, s[0:1]
	s_and_saveexec_b64 s[0:1], s[2:3]
	s_cbranch_execz .LBB396_8
; %bb.7:
	v_ashrrev_i32_e32 v3, 31, v2
	v_lshlrev_b64 v[14:15], 4, v[2:3]
	v_add_co_u32_e32 v14, vcc, v5, v14
	v_addc_co_u32_e32 v15, vcc, v22, v15, vcc
	global_load_dwordx4 v[20:23], v[14:15], off
	v_cmp_ne_u32_e32 vcc, v4, v2
	s_waitcnt vmcnt(0)
	v_add_f64 v[22:23], v[8:9], -v[22:23]
	v_add_f64 v[5:6], v[6:7], -v[20:21]
	v_cndmask_b32_e32 v8, 0, v23, vcc
	v_cndmask_b32_e32 v7, 0, v22, vcc
	global_store_dwordx4 v[14:15], v[5:8], off
.LBB396_8:
	s_or_b64 exec, exec, s[0:1]
	v_add_u32_e32 v3, 16, v4
	v_mad_i64_i32 v[5:6], s[0:1], v3, s9, 0
	v_mov_b32_e32 v1, s5
	v_cmp_gt_i32_e32 vcc, s10, v3
	v_lshlrev_b64 v[5:6], 4, v[5:6]
	v_add_co_u32_e64 v5, s[0:1], s4, v5
	v_addc_co_u32_e64 v6, s[0:1], v1, v6, s[0:1]
	v_cmp_le_i32_e64 s[0:1], v0, v3
	s_and_b64 s[0:1], vcc, s[0:1]
	s_and_saveexec_b64 s[2:3], s[0:1]
	s_cbranch_execz .LBB396_10
; %bb.9:
	v_ashrrev_i32_e32 v1, 31, v0
	v_lshlrev_b64 v[7:8], 4, v[0:1]
	v_add_co_u32_e64 v7, s[0:1], v5, v7
	v_addc_co_u32_e64 v8, s[0:1], v6, v8, s[0:1]
	global_load_dwordx4 v[20:23], v[7:8], off
	v_cmp_ne_u32_e64 s[0:1], v3, v0
	s_waitcnt vmcnt(0)
	v_add_f64 v[18:19], v[18:19], -v[22:23]
	v_add_f64 v[14:15], v[16:17], -v[20:21]
	v_cndmask_b32_e64 v17, 0, v19, s[0:1]
	v_cndmask_b32_e64 v16, 0, v18, s[0:1]
	global_store_dwordx4 v[7:8], v[14:17], off
.LBB396_10:
	s_or_b64 exec, exec, s[2:3]
	v_cmp_le_i32_e64 s[0:1], v2, v3
	s_and_b64 s[0:1], vcc, s[0:1]
	s_and_saveexec_b64 s[2:3], s[0:1]
	s_cbranch_execz .LBB396_12
; %bb.11:
	v_ashrrev_i32_e32 v3, 31, v2
	v_lshlrev_b64 v[1:2], 4, v[2:3]
	v_add_co_u32_e32 v14, vcc, v5, v1
	v_addc_co_u32_e32 v15, vcc, v6, v2, vcc
	global_load_dwordx4 v[5:8], v[14:15], off
	v_cmp_ne_u32_e32 vcc, v4, v0
	s_waitcnt vmcnt(0)
	v_add_f64 v[7:8], v[10:11], -v[7:8]
	v_add_f64 v[1:2], v[12:13], -v[5:6]
	v_cndmask_b32_e32 v4, 0, v8, vcc
	v_cndmask_b32_e32 v3, 0, v7, vcc
	global_store_dwordx4 v[14:15], v[1:4], off
.LBB396_12:
	s_endpgm
	.section	.rodata,"a",@progbits
	.p2align	6, 0x0
	.amdhsa_kernel _ZL37rocblas_syrkx_herkx_restricted_kernelIi19rocblas_complex_numIdELi16ELi32ELi8ELi1ELin1ELb1ELc84ELc85EKS1_S1_EviT_PT9_S3_lS5_S3_lPT10_S3_li
		.amdhsa_group_segment_fixed_size 8192
		.amdhsa_private_segment_fixed_size 0
		.amdhsa_kernarg_size 84
		.amdhsa_user_sgpr_count 6
		.amdhsa_user_sgpr_private_segment_buffer 1
		.amdhsa_user_sgpr_dispatch_ptr 0
		.amdhsa_user_sgpr_queue_ptr 0
		.amdhsa_user_sgpr_kernarg_segment_ptr 1
		.amdhsa_user_sgpr_dispatch_id 0
		.amdhsa_user_sgpr_flat_scratch_init 0
		.amdhsa_user_sgpr_private_segment_size 0
		.amdhsa_uses_dynamic_stack 0
		.amdhsa_system_sgpr_private_segment_wavefront_offset 0
		.amdhsa_system_sgpr_workgroup_id_x 1
		.amdhsa_system_sgpr_workgroup_id_y 1
		.amdhsa_system_sgpr_workgroup_id_z 1
		.amdhsa_system_sgpr_workgroup_info 0
		.amdhsa_system_vgpr_workitem_id 1
		.amdhsa_next_free_vgpr 52
		.amdhsa_next_free_sgpr 61
		.amdhsa_reserve_vcc 1
		.amdhsa_reserve_flat_scratch 0
		.amdhsa_float_round_mode_32 0
		.amdhsa_float_round_mode_16_64 0
		.amdhsa_float_denorm_mode_32 3
		.amdhsa_float_denorm_mode_16_64 3
		.amdhsa_dx10_clamp 1
		.amdhsa_ieee_mode 1
		.amdhsa_fp16_overflow 0
		.amdhsa_exception_fp_ieee_invalid_op 0
		.amdhsa_exception_fp_denorm_src 0
		.amdhsa_exception_fp_ieee_div_zero 0
		.amdhsa_exception_fp_ieee_overflow 0
		.amdhsa_exception_fp_ieee_underflow 0
		.amdhsa_exception_fp_ieee_inexact 0
		.amdhsa_exception_int_div_zero 0
	.end_amdhsa_kernel
	.section	.text._ZL37rocblas_syrkx_herkx_restricted_kernelIi19rocblas_complex_numIdELi16ELi32ELi8ELi1ELin1ELb1ELc84ELc85EKS1_S1_EviT_PT9_S3_lS5_S3_lPT10_S3_li,"axG",@progbits,_ZL37rocblas_syrkx_herkx_restricted_kernelIi19rocblas_complex_numIdELi16ELi32ELi8ELi1ELin1ELb1ELc84ELc85EKS1_S1_EviT_PT9_S3_lS5_S3_lPT10_S3_li,comdat
.Lfunc_end396:
	.size	_ZL37rocblas_syrkx_herkx_restricted_kernelIi19rocblas_complex_numIdELi16ELi32ELi8ELi1ELin1ELb1ELc84ELc85EKS1_S1_EviT_PT9_S3_lS5_S3_lPT10_S3_li, .Lfunc_end396-_ZL37rocblas_syrkx_herkx_restricted_kernelIi19rocblas_complex_numIdELi16ELi32ELi8ELi1ELin1ELb1ELc84ELc85EKS1_S1_EviT_PT9_S3_lS5_S3_lPT10_S3_li
                                        ; -- End function
	.set _ZL37rocblas_syrkx_herkx_restricted_kernelIi19rocblas_complex_numIdELi16ELi32ELi8ELi1ELin1ELb1ELc84ELc85EKS1_S1_EviT_PT9_S3_lS5_S3_lPT10_S3_li.num_vgpr, 52
	.set _ZL37rocblas_syrkx_herkx_restricted_kernelIi19rocblas_complex_numIdELi16ELi32ELi8ELi1ELin1ELb1ELc84ELc85EKS1_S1_EviT_PT9_S3_lS5_S3_lPT10_S3_li.num_agpr, 0
	.set _ZL37rocblas_syrkx_herkx_restricted_kernelIi19rocblas_complex_numIdELi16ELi32ELi8ELi1ELin1ELb1ELc84ELc85EKS1_S1_EviT_PT9_S3_lS5_S3_lPT10_S3_li.numbered_sgpr, 22
	.set _ZL37rocblas_syrkx_herkx_restricted_kernelIi19rocblas_complex_numIdELi16ELi32ELi8ELi1ELin1ELb1ELc84ELc85EKS1_S1_EviT_PT9_S3_lS5_S3_lPT10_S3_li.num_named_barrier, 0
	.set _ZL37rocblas_syrkx_herkx_restricted_kernelIi19rocblas_complex_numIdELi16ELi32ELi8ELi1ELin1ELb1ELc84ELc85EKS1_S1_EviT_PT9_S3_lS5_S3_lPT10_S3_li.private_seg_size, 0
	.set _ZL37rocblas_syrkx_herkx_restricted_kernelIi19rocblas_complex_numIdELi16ELi32ELi8ELi1ELin1ELb1ELc84ELc85EKS1_S1_EviT_PT9_S3_lS5_S3_lPT10_S3_li.uses_vcc, 1
	.set _ZL37rocblas_syrkx_herkx_restricted_kernelIi19rocblas_complex_numIdELi16ELi32ELi8ELi1ELin1ELb1ELc84ELc85EKS1_S1_EviT_PT9_S3_lS5_S3_lPT10_S3_li.uses_flat_scratch, 0
	.set _ZL37rocblas_syrkx_herkx_restricted_kernelIi19rocblas_complex_numIdELi16ELi32ELi8ELi1ELin1ELb1ELc84ELc85EKS1_S1_EviT_PT9_S3_lS5_S3_lPT10_S3_li.has_dyn_sized_stack, 0
	.set _ZL37rocblas_syrkx_herkx_restricted_kernelIi19rocblas_complex_numIdELi16ELi32ELi8ELi1ELin1ELb1ELc84ELc85EKS1_S1_EviT_PT9_S3_lS5_S3_lPT10_S3_li.has_recursion, 0
	.set _ZL37rocblas_syrkx_herkx_restricted_kernelIi19rocblas_complex_numIdELi16ELi32ELi8ELi1ELin1ELb1ELc84ELc85EKS1_S1_EviT_PT9_S3_lS5_S3_lPT10_S3_li.has_indirect_call, 0
	.section	.AMDGPU.csdata,"",@progbits
; Kernel info:
; codeLenInByte = 2948
; TotalNumSgprs: 26
; NumVgprs: 52
; ScratchSize: 0
; MemoryBound: 0
; FloatMode: 240
; IeeeMode: 1
; LDSByteSize: 8192 bytes/workgroup (compile time only)
; SGPRBlocks: 8
; VGPRBlocks: 12
; NumSGPRsForWavesPerEU: 65
; NumVGPRsForWavesPerEU: 52
; Occupancy: 4
; WaveLimiterHint : 0
; COMPUTE_PGM_RSRC2:SCRATCH_EN: 0
; COMPUTE_PGM_RSRC2:USER_SGPR: 6
; COMPUTE_PGM_RSRC2:TRAP_HANDLER: 0
; COMPUTE_PGM_RSRC2:TGID_X_EN: 1
; COMPUTE_PGM_RSRC2:TGID_Y_EN: 1
; COMPUTE_PGM_RSRC2:TGID_Z_EN: 1
; COMPUTE_PGM_RSRC2:TIDIG_COMP_CNT: 1
	.section	.text._ZL37rocblas_syrkx_herkx_restricted_kernelIi19rocblas_complex_numIdELi16ELi32ELi8ELi1ELin1ELb1ELc67ELc85EKS1_S1_EviT_PT9_S3_lS5_S3_lPT10_S3_li,"axG",@progbits,_ZL37rocblas_syrkx_herkx_restricted_kernelIi19rocblas_complex_numIdELi16ELi32ELi8ELi1ELin1ELb1ELc67ELc85EKS1_S1_EviT_PT9_S3_lS5_S3_lPT10_S3_li,comdat
	.globl	_ZL37rocblas_syrkx_herkx_restricted_kernelIi19rocblas_complex_numIdELi16ELi32ELi8ELi1ELin1ELb1ELc67ELc85EKS1_S1_EviT_PT9_S3_lS5_S3_lPT10_S3_li ; -- Begin function _ZL37rocblas_syrkx_herkx_restricted_kernelIi19rocblas_complex_numIdELi16ELi32ELi8ELi1ELin1ELb1ELc67ELc85EKS1_S1_EviT_PT9_S3_lS5_S3_lPT10_S3_li
	.p2align	8
	.type	_ZL37rocblas_syrkx_herkx_restricted_kernelIi19rocblas_complex_numIdELi16ELi32ELi8ELi1ELin1ELb1ELc67ELc85EKS1_S1_EviT_PT9_S3_lS5_S3_lPT10_S3_li,@function
_ZL37rocblas_syrkx_herkx_restricted_kernelIi19rocblas_complex_numIdELi16ELi32ELi8ELi1ELin1ELb1ELc67ELc85EKS1_S1_EviT_PT9_S3_lS5_S3_lPT10_S3_li: ; @_ZL37rocblas_syrkx_herkx_restricted_kernelIi19rocblas_complex_numIdELi16ELi32ELi8ELi1ELin1ELb1ELc67ELc85EKS1_S1_EviT_PT9_S3_lS5_S3_lPT10_S3_li
; %bb.0:
	s_load_dwordx2 s[10:11], s[4:5], 0x0
	s_load_dwordx4 s[0:3], s[4:5], 0x30
	s_lshl_b32 s6, s6, 5
	s_lshl_b32 s7, s7, 5
	s_mov_b32 s9, 0
	s_waitcnt lgkmcnt(0)
	s_cmp_lt_i32 s11, 1
	s_cbranch_scc1 .LBB397_3
; %bb.1:
	s_load_dwordx2 s[16:17], s[4:5], 0x8
	s_load_dword s20, s[4:5], 0x10
	s_load_dwordx4 s[12:15], s[4:5], 0x18
	s_load_dword s18, s[4:5], 0x28
	v_lshl_add_u32 v6, v1, 4, v0
	v_lshrrev_b32_e32 v8, 3, v6
	v_add_u32_e32 v4, s7, v8
	v_and_b32_e32 v2, 7, v0
	v_mov_b32_e32 v3, 0
	s_waitcnt lgkmcnt(0)
	v_mad_i64_i32 v[4:5], s[18:19], s18, v4, v[2:3]
	v_lshlrev_b32_e32 v2, 4, v2
	v_lshl_or_b32 v2, v8, 7, v2
	v_and_b32_e32 v9, 31, v6
	v_add_u32_e32 v23, 0x1000, v2
	v_mov_b32_e32 v2, 0x1000
	v_lshrrev_b32_e32 v6, 5, v6
	v_mov_b32_e32 v7, v3
	v_lshlrev_b32_e32 v3, 4, v9
	v_lshl_add_u32 v25, v1, 7, v2
	v_add_u32_e32 v2, s6, v9
	v_lshl_or_b32 v22, v6, 9, v3
	v_mad_i64_i32 v[2:3], s[18:19], s20, v2, v[6:7]
	s_mul_i32 s13, s13, s8
	s_mul_hi_u32 s21, s12, s8
	s_add_i32 s13, s21, s13
	s_mul_i32 s12, s12, s8
	s_lshl_b64 s[12:13], s[12:13], 4
	v_lshlrev_b64 v[2:3], 4, v[2:3]
	s_add_u32 s12, s16, s12
	s_addc_u32 s13, s17, s13
	v_add_co_u32_e32 v2, vcc, s12, v2
	s_mul_i32 s1, s1, s8
	s_mul_hi_u32 s12, s0, s8
	v_mov_b32_e32 v6, s13
	s_add_i32 s1, s12, s1
	s_mul_i32 s0, s0, s8
	v_addc_co_u32_e32 v3, vcc, v6, v3, vcc
	s_lshl_b64 s[0:1], s[0:1], 4
	v_add_co_u32_e32 v2, vcc, 8, v2
	v_lshlrev_b64 v[4:5], 4, v[4:5]
	s_add_u32 s0, s14, s0
	v_addc_co_u32_e32 v3, vcc, 0, v3, vcc
	s_addc_u32 s1, s15, s1
	v_mov_b32_e32 v6, s1
	v_add_co_u32_e32 v4, vcc, s0, v4
	v_addc_co_u32_e32 v5, vcc, v6, v5, vcc
	v_mov_b32_e32 v10, 0
	v_mov_b32_e32 v12, 0
	v_mov_b32_e32 v18, 0
	v_mov_b32_e32 v16, 0
	v_mov_b32_e32 v8, 0
	v_mov_b32_e32 v6, 0
	v_mov_b32_e32 v20, 0
	v_mov_b32_e32 v14, 0
	v_add_co_u32_e32 v4, vcc, 8, v4
	v_lshlrev_b32_e32 v24, 4, v0
	v_mov_b32_e32 v11, 0
	v_mov_b32_e32 v13, 0
	;; [unrolled: 1-line block ×8, first 2 shown]
	v_addc_co_u32_e32 v5, vcc, 0, v5, vcc
.LBB397_2:                              ; =>This Inner Loop Header: Depth=1
	global_load_dwordx4 v[26:29], v[2:3], off offset:-8
	v_add_co_u32_e32 v2, vcc, 0x80, v2
	v_addc_co_u32_e32 v3, vcc, 0, v3, vcc
	s_add_i32 s9, s9, 8
	s_cmp_ge_i32 s9, s11
	s_waitcnt vmcnt(0)
	v_xor_b32_e32 v29, 0x80000000, v29
	ds_write_b128 v22, v[26:29]
	global_load_dwordx4 v[26:29], v[4:5], off offset:-8
	v_add_co_u32_e32 v4, vcc, 0x80, v4
	v_addc_co_u32_e32 v5, vcc, 0, v5, vcc
	s_waitcnt vmcnt(0)
	ds_write_b128 v23, v[26:29]
	s_waitcnt lgkmcnt(0)
	s_barrier
	ds_read_b128 v[26:29], v25
	ds_read_b128 v[30:33], v25 offset:16
	ds_read_b128 v[34:37], v25 offset:32
	;; [unrolled: 1-line block ×3, first 2 shown]
	ds_read_b128 v[42:45], v24
	s_waitcnt lgkmcnt(0)
	v_mul_f64 v[46:47], v[28:29], v[44:45]
	v_mul_f64 v[48:49], v[26:27], v[44:45]
	v_fma_f64 v[46:47], v[26:27], v[42:43], -v[46:47]
	v_fma_f64 v[48:49], v[28:29], v[42:43], v[48:49]
	v_add_f64 v[14:15], v[14:15], v[46:47]
	v_add_f64 v[20:21], v[48:49], v[20:21]
	ds_read_b128 v[46:49], v24 offset:256
	s_waitcnt lgkmcnt(0)
	v_mul_f64 v[50:51], v[28:29], v[48:49]
	v_fma_f64 v[50:51], v[26:27], v[46:47], -v[50:51]
	v_mul_f64 v[26:27], v[26:27], v[48:49]
	v_fma_f64 v[26:27], v[28:29], v[46:47], v[26:27]
	v_add_f64 v[28:29], v[6:7], v[50:51]
	v_add_f64 v[26:27], v[26:27], v[8:9]
	ds_read_b128 v[6:9], v25 offset:2048
	s_waitcnt lgkmcnt(0)
	v_mul_f64 v[50:51], v[8:9], v[44:45]
	v_mul_f64 v[44:45], v[6:7], v[44:45]
	v_fma_f64 v[50:51], v[6:7], v[42:43], -v[50:51]
	v_fma_f64 v[42:43], v[8:9], v[42:43], v[44:45]
	v_add_f64 v[44:45], v[16:17], v[50:51]
	v_mul_f64 v[16:17], v[8:9], v[48:49]
	v_add_f64 v[18:19], v[42:43], v[18:19]
	v_fma_f64 v[16:17], v[6:7], v[46:47], -v[16:17]
	v_mul_f64 v[6:7], v[6:7], v[48:49]
	v_add_f64 v[42:43], v[12:13], v[16:17]
	v_fma_f64 v[6:7], v[8:9], v[46:47], v[6:7]
	v_add_f64 v[46:47], v[6:7], v[10:11]
	ds_read_b128 v[6:9], v24 offset:512
	s_waitcnt lgkmcnt(0)
	v_mul_f64 v[10:11], v[32:33], v[8:9]
	v_mul_f64 v[12:13], v[30:31], v[8:9]
	v_fma_f64 v[10:11], v[30:31], v[6:7], -v[10:11]
	v_fma_f64 v[12:13], v[32:33], v[6:7], v[12:13]
	v_add_f64 v[48:49], v[14:15], v[10:11]
	v_add_f64 v[20:21], v[12:13], v[20:21]
	ds_read_b128 v[10:13], v24 offset:768
	s_waitcnt lgkmcnt(0)
	v_mul_f64 v[14:15], v[32:33], v[12:13]
	v_mul_f64 v[16:17], v[30:31], v[12:13]
	v_fma_f64 v[14:15], v[30:31], v[10:11], -v[14:15]
	v_fma_f64 v[16:17], v[32:33], v[10:11], v[16:17]
	v_add_f64 v[28:29], v[28:29], v[14:15]
	v_add_f64 v[26:27], v[16:17], v[26:27]
	ds_read_b128 v[14:17], v25 offset:2064
	s_waitcnt lgkmcnt(0)
	v_mul_f64 v[30:31], v[16:17], v[8:9]
	v_mul_f64 v[8:9], v[14:15], v[8:9]
	v_fma_f64 v[30:31], v[14:15], v[6:7], -v[30:31]
	v_fma_f64 v[6:7], v[16:17], v[6:7], v[8:9]
	v_mul_f64 v[8:9], v[14:15], v[12:13]
	v_add_f64 v[30:31], v[44:45], v[30:31]
	v_add_f64 v[18:19], v[6:7], v[18:19]
	v_mul_f64 v[6:7], v[16:17], v[12:13]
	v_fma_f64 v[8:9], v[16:17], v[10:11], v[8:9]
	v_fma_f64 v[6:7], v[14:15], v[10:11], -v[6:7]
	v_add_f64 v[32:33], v[42:43], v[6:7]
	v_add_f64 v[42:43], v[8:9], v[46:47]
	ds_read_b128 v[6:9], v24 offset:1024
	s_waitcnt lgkmcnt(0)
	v_mul_f64 v[10:11], v[36:37], v[8:9]
	v_mul_f64 v[12:13], v[34:35], v[8:9]
	v_fma_f64 v[10:11], v[34:35], v[6:7], -v[10:11]
	v_fma_f64 v[12:13], v[36:37], v[6:7], v[12:13]
	v_add_f64 v[44:45], v[48:49], v[10:11]
	v_add_f64 v[20:21], v[12:13], v[20:21]
	ds_read_b128 v[10:13], v24 offset:1280
	s_waitcnt lgkmcnt(0)
	v_mul_f64 v[14:15], v[36:37], v[12:13]
	v_mul_f64 v[16:17], v[34:35], v[12:13]
	v_fma_f64 v[14:15], v[34:35], v[10:11], -v[14:15]
	v_fma_f64 v[16:17], v[36:37], v[10:11], v[16:17]
	v_add_f64 v[28:29], v[28:29], v[14:15]
	v_add_f64 v[26:27], v[16:17], v[26:27]
	ds_read_b128 v[14:17], v25 offset:2080
	s_waitcnt lgkmcnt(0)
	v_mul_f64 v[34:35], v[16:17], v[8:9]
	v_mul_f64 v[8:9], v[14:15], v[8:9]
	v_fma_f64 v[34:35], v[14:15], v[6:7], -v[34:35]
	v_fma_f64 v[6:7], v[16:17], v[6:7], v[8:9]
	v_mul_f64 v[8:9], v[14:15], v[12:13]
	v_add_f64 v[30:31], v[30:31], v[34:35]
	v_add_f64 v[18:19], v[6:7], v[18:19]
	v_mul_f64 v[6:7], v[16:17], v[12:13]
	v_fma_f64 v[8:9], v[16:17], v[10:11], v[8:9]
	v_fma_f64 v[6:7], v[14:15], v[10:11], -v[6:7]
	v_add_f64 v[34:35], v[8:9], v[42:43]
	;; [unrolled: 30-line block ×3, first 2 shown]
	v_add_f64 v[32:33], v[32:33], v[6:7]
	ds_read_b128 v[6:9], v25 offset:64
	ds_read_b128 v[10:13], v24 offset:2048
	s_waitcnt lgkmcnt(0)
	v_mul_f64 v[14:15], v[8:9], v[12:13]
	v_mul_f64 v[16:17], v[6:7], v[12:13]
	v_fma_f64 v[14:15], v[6:7], v[10:11], -v[14:15]
	v_fma_f64 v[16:17], v[8:9], v[10:11], v[16:17]
	v_add_f64 v[36:37], v[36:37], v[14:15]
	v_add_f64 v[20:21], v[16:17], v[20:21]
	ds_read_b128 v[14:17], v24 offset:2304
	s_waitcnt lgkmcnt(0)
	v_mul_f64 v[38:39], v[8:9], v[16:17]
	v_fma_f64 v[38:39], v[6:7], v[14:15], -v[38:39]
	v_mul_f64 v[6:7], v[6:7], v[16:17]
	v_add_f64 v[28:29], v[28:29], v[38:39]
	v_fma_f64 v[6:7], v[8:9], v[14:15], v[6:7]
	v_add_f64 v[26:27], v[6:7], v[26:27]
	ds_read_b128 v[6:9], v25 offset:2112
	s_waitcnt lgkmcnt(0)
	v_mul_f64 v[38:39], v[8:9], v[12:13]
	v_mul_f64 v[12:13], v[6:7], v[12:13]
	v_fma_f64 v[38:39], v[6:7], v[10:11], -v[38:39]
	v_fma_f64 v[10:11], v[8:9], v[10:11], v[12:13]
	v_add_f64 v[30:31], v[30:31], v[38:39]
	v_add_f64 v[18:19], v[10:11], v[18:19]
	v_mul_f64 v[10:11], v[8:9], v[16:17]
	v_fma_f64 v[10:11], v[6:7], v[14:15], -v[10:11]
	v_mul_f64 v[6:7], v[6:7], v[16:17]
	v_add_f64 v[32:33], v[32:33], v[10:11]
	v_fma_f64 v[6:7], v[8:9], v[14:15], v[6:7]
	v_add_f64 v[34:35], v[6:7], v[34:35]
	ds_read_b128 v[6:9], v25 offset:80
	ds_read_b128 v[10:13], v24 offset:2560
	s_waitcnt lgkmcnt(0)
	v_mul_f64 v[14:15], v[8:9], v[12:13]
	v_mul_f64 v[16:17], v[6:7], v[12:13]
	v_fma_f64 v[14:15], v[6:7], v[10:11], -v[14:15]
	v_fma_f64 v[16:17], v[8:9], v[10:11], v[16:17]
	v_add_f64 v[36:37], v[36:37], v[14:15]
	v_add_f64 v[20:21], v[16:17], v[20:21]
	ds_read_b128 v[14:17], v24 offset:2816
	s_waitcnt lgkmcnt(0)
	v_mul_f64 v[38:39], v[8:9], v[16:17]
	v_fma_f64 v[38:39], v[6:7], v[14:15], -v[38:39]
	v_mul_f64 v[6:7], v[6:7], v[16:17]
	v_add_f64 v[28:29], v[28:29], v[38:39]
	v_fma_f64 v[6:7], v[8:9], v[14:15], v[6:7]
	v_add_f64 v[26:27], v[6:7], v[26:27]
	ds_read_b128 v[6:9], v25 offset:2128
	s_waitcnt lgkmcnt(0)
	v_mul_f64 v[38:39], v[8:9], v[12:13]
	v_mul_f64 v[12:13], v[6:7], v[12:13]
	v_fma_f64 v[38:39], v[6:7], v[10:11], -v[38:39]
	v_fma_f64 v[10:11], v[8:9], v[10:11], v[12:13]
	v_add_f64 v[30:31], v[30:31], v[38:39]
	v_add_f64 v[18:19], v[10:11], v[18:19]
	v_mul_f64 v[10:11], v[8:9], v[16:17]
	v_fma_f64 v[10:11], v[6:7], v[14:15], -v[10:11]
	v_mul_f64 v[6:7], v[6:7], v[16:17]
	v_add_f64 v[32:33], v[32:33], v[10:11]
	v_fma_f64 v[6:7], v[8:9], v[14:15], v[6:7]
	;; [unrolled: 31-line block ×3, first 2 shown]
	v_add_f64 v[34:35], v[6:7], v[34:35]
	ds_read_b128 v[6:9], v25 offset:112
	ds_read_b128 v[10:13], v24 offset:3584
	;; [unrolled: 1-line block ×4, first 2 shown]
	s_waitcnt lgkmcnt(0)
	s_barrier
	v_mul_f64 v[16:17], v[6:7], v[12:13]
	v_mul_f64 v[14:15], v[8:9], v[12:13]
	v_fma_f64 v[16:17], v[8:9], v[10:11], v[16:17]
	v_fma_f64 v[14:15], v[6:7], v[10:11], -v[14:15]
	v_add_f64 v[20:21], v[16:17], v[20:21]
	v_mul_f64 v[16:17], v[8:9], v[28:29]
	v_add_f64 v[14:15], v[36:37], v[14:15]
	v_fma_f64 v[16:17], v[6:7], v[26:27], -v[16:17]
	v_mul_f64 v[6:7], v[6:7], v[28:29]
	v_fma_f64 v[8:9], v[8:9], v[26:27], v[6:7]
	v_add_f64 v[6:7], v[38:39], v[16:17]
	v_mul_f64 v[16:17], v[32:33], v[12:13]
	v_mul_f64 v[12:13], v[30:31], v[12:13]
	v_add_f64 v[8:9], v[8:9], v[40:41]
	v_fma_f64 v[16:17], v[30:31], v[10:11], -v[16:17]
	v_fma_f64 v[10:11], v[32:33], v[10:11], v[12:13]
	v_mul_f64 v[12:13], v[30:31], v[28:29]
	v_add_f64 v[16:17], v[42:43], v[16:17]
	v_add_f64 v[18:19], v[10:11], v[18:19]
	v_mul_f64 v[10:11], v[32:33], v[28:29]
	v_fma_f64 v[10:11], v[30:31], v[26:27], -v[10:11]
	v_fma_f64 v[26:27], v[32:33], v[26:27], v[12:13]
	v_add_f64 v[12:13], v[44:45], v[10:11]
	v_add_f64 v[10:11], v[26:27], v[34:35]
	s_cbranch_scc0 .LBB397_2
	s_branch .LBB397_4
.LBB397_3:
	v_mov_b32_e32 v14, 0
	v_mov_b32_e32 v20, 0
	;; [unrolled: 1-line block ×16, first 2 shown]
.LBB397_4:
	s_load_dwordx2 s[0:1], s[4:5], 0x48
	s_load_dword s9, s[4:5], 0x40
	v_add_u32_e32 v4, s7, v1
	v_add_u32_e32 v0, s6, v0
	v_cmp_gt_i32_e32 vcc, s10, v4
	s_waitcnt lgkmcnt(0)
	s_mul_i32 s1, s1, s8
	v_mad_i64_i32 v[1:2], s[12:13], v4, s9, 0
	s_mul_hi_u32 s4, s0, s8
	s_mul_i32 s0, s0, s8
	s_add_i32 s1, s4, s1
	s_lshl_b64 s[0:1], s[0:1], 4
	s_add_u32 s4, s2, s0
	v_lshlrev_b64 v[1:2], 4, v[1:2]
	s_addc_u32 s5, s3, s1
	v_mov_b32_e32 v3, s5
	v_add_co_u32_e64 v5, s[0:1], s4, v1
	v_addc_co_u32_e64 v22, s[0:1], v3, v2, s[0:1]
	v_cmp_le_i32_e64 s[0:1], v0, v4
	s_and_b64 s[0:1], vcc, s[0:1]
	s_and_saveexec_b64 s[2:3], s[0:1]
	s_cbranch_execz .LBB397_6
; %bb.5:
	v_ashrrev_i32_e32 v1, 31, v0
	v_lshlrev_b64 v[1:2], 4, v[0:1]
	v_add_co_u32_e64 v1, s[0:1], v5, v1
	v_addc_co_u32_e64 v2, s[0:1], v22, v2, s[0:1]
	global_load_dwordx4 v[23:26], v[1:2], off
	v_cmp_ne_u32_e64 s[0:1], v4, v0
	s_waitcnt vmcnt(0)
	v_add_f64 v[20:21], v[20:21], -v[25:26]
	v_add_f64 v[23:24], v[14:15], -v[23:24]
	v_cndmask_b32_e64 v26, 0, v21, s[0:1]
	v_cndmask_b32_e64 v25, 0, v20, s[0:1]
	global_store_dwordx4 v[1:2], v[23:26], off
.LBB397_6:
	s_or_b64 exec, exec, s[2:3]
	v_add_u32_e32 v2, 16, v0
	v_cmp_le_i32_e64 s[0:1], v2, v4
	s_and_b64 s[2:3], vcc, s[0:1]
	s_and_saveexec_b64 s[0:1], s[2:3]
	s_cbranch_execz .LBB397_8
; %bb.7:
	v_ashrrev_i32_e32 v3, 31, v2
	v_lshlrev_b64 v[14:15], 4, v[2:3]
	v_add_co_u32_e32 v14, vcc, v5, v14
	v_addc_co_u32_e32 v15, vcc, v22, v15, vcc
	global_load_dwordx4 v[20:23], v[14:15], off
	v_cmp_ne_u32_e32 vcc, v4, v2
	s_waitcnt vmcnt(0)
	v_add_f64 v[22:23], v[8:9], -v[22:23]
	v_add_f64 v[5:6], v[6:7], -v[20:21]
	v_cndmask_b32_e32 v8, 0, v23, vcc
	v_cndmask_b32_e32 v7, 0, v22, vcc
	global_store_dwordx4 v[14:15], v[5:8], off
.LBB397_8:
	s_or_b64 exec, exec, s[0:1]
	v_add_u32_e32 v3, 16, v4
	v_mad_i64_i32 v[5:6], s[0:1], v3, s9, 0
	v_mov_b32_e32 v1, s5
	v_cmp_gt_i32_e32 vcc, s10, v3
	v_lshlrev_b64 v[5:6], 4, v[5:6]
	v_add_co_u32_e64 v5, s[0:1], s4, v5
	v_addc_co_u32_e64 v6, s[0:1], v1, v6, s[0:1]
	v_cmp_le_i32_e64 s[0:1], v0, v3
	s_and_b64 s[0:1], vcc, s[0:1]
	s_and_saveexec_b64 s[2:3], s[0:1]
	s_cbranch_execz .LBB397_10
; %bb.9:
	v_ashrrev_i32_e32 v1, 31, v0
	v_lshlrev_b64 v[7:8], 4, v[0:1]
	v_add_co_u32_e64 v7, s[0:1], v5, v7
	v_addc_co_u32_e64 v8, s[0:1], v6, v8, s[0:1]
	global_load_dwordx4 v[20:23], v[7:8], off
	v_cmp_ne_u32_e64 s[0:1], v3, v0
	s_waitcnt vmcnt(0)
	v_add_f64 v[18:19], v[18:19], -v[22:23]
	v_add_f64 v[14:15], v[16:17], -v[20:21]
	v_cndmask_b32_e64 v17, 0, v19, s[0:1]
	v_cndmask_b32_e64 v16, 0, v18, s[0:1]
	global_store_dwordx4 v[7:8], v[14:17], off
.LBB397_10:
	s_or_b64 exec, exec, s[2:3]
	v_cmp_le_i32_e64 s[0:1], v2, v3
	s_and_b64 s[0:1], vcc, s[0:1]
	s_and_saveexec_b64 s[2:3], s[0:1]
	s_cbranch_execz .LBB397_12
; %bb.11:
	v_ashrrev_i32_e32 v3, 31, v2
	v_lshlrev_b64 v[1:2], 4, v[2:3]
	v_add_co_u32_e32 v14, vcc, v5, v1
	v_addc_co_u32_e32 v15, vcc, v6, v2, vcc
	global_load_dwordx4 v[5:8], v[14:15], off
	v_cmp_ne_u32_e32 vcc, v4, v0
	s_waitcnt vmcnt(0)
	v_add_f64 v[7:8], v[10:11], -v[7:8]
	v_add_f64 v[1:2], v[12:13], -v[5:6]
	v_cndmask_b32_e32 v4, 0, v8, vcc
	v_cndmask_b32_e32 v3, 0, v7, vcc
	global_store_dwordx4 v[14:15], v[1:4], off
.LBB397_12:
	s_endpgm
	.section	.rodata,"a",@progbits
	.p2align	6, 0x0
	.amdhsa_kernel _ZL37rocblas_syrkx_herkx_restricted_kernelIi19rocblas_complex_numIdELi16ELi32ELi8ELi1ELin1ELb1ELc67ELc85EKS1_S1_EviT_PT9_S3_lS5_S3_lPT10_S3_li
		.amdhsa_group_segment_fixed_size 8192
		.amdhsa_private_segment_fixed_size 0
		.amdhsa_kernarg_size 84
		.amdhsa_user_sgpr_count 6
		.amdhsa_user_sgpr_private_segment_buffer 1
		.amdhsa_user_sgpr_dispatch_ptr 0
		.amdhsa_user_sgpr_queue_ptr 0
		.amdhsa_user_sgpr_kernarg_segment_ptr 1
		.amdhsa_user_sgpr_dispatch_id 0
		.amdhsa_user_sgpr_flat_scratch_init 0
		.amdhsa_user_sgpr_private_segment_size 0
		.amdhsa_uses_dynamic_stack 0
		.amdhsa_system_sgpr_private_segment_wavefront_offset 0
		.amdhsa_system_sgpr_workgroup_id_x 1
		.amdhsa_system_sgpr_workgroup_id_y 1
		.amdhsa_system_sgpr_workgroup_id_z 1
		.amdhsa_system_sgpr_workgroup_info 0
		.amdhsa_system_vgpr_workitem_id 1
		.amdhsa_next_free_vgpr 52
		.amdhsa_next_free_sgpr 61
		.amdhsa_reserve_vcc 1
		.amdhsa_reserve_flat_scratch 0
		.amdhsa_float_round_mode_32 0
		.amdhsa_float_round_mode_16_64 0
		.amdhsa_float_denorm_mode_32 3
		.amdhsa_float_denorm_mode_16_64 3
		.amdhsa_dx10_clamp 1
		.amdhsa_ieee_mode 1
		.amdhsa_fp16_overflow 0
		.amdhsa_exception_fp_ieee_invalid_op 0
		.amdhsa_exception_fp_denorm_src 0
		.amdhsa_exception_fp_ieee_div_zero 0
		.amdhsa_exception_fp_ieee_overflow 0
		.amdhsa_exception_fp_ieee_underflow 0
		.amdhsa_exception_fp_ieee_inexact 0
		.amdhsa_exception_int_div_zero 0
	.end_amdhsa_kernel
	.section	.text._ZL37rocblas_syrkx_herkx_restricted_kernelIi19rocblas_complex_numIdELi16ELi32ELi8ELi1ELin1ELb1ELc67ELc85EKS1_S1_EviT_PT9_S3_lS5_S3_lPT10_S3_li,"axG",@progbits,_ZL37rocblas_syrkx_herkx_restricted_kernelIi19rocblas_complex_numIdELi16ELi32ELi8ELi1ELin1ELb1ELc67ELc85EKS1_S1_EviT_PT9_S3_lS5_S3_lPT10_S3_li,comdat
.Lfunc_end397:
	.size	_ZL37rocblas_syrkx_herkx_restricted_kernelIi19rocblas_complex_numIdELi16ELi32ELi8ELi1ELin1ELb1ELc67ELc85EKS1_S1_EviT_PT9_S3_lS5_S3_lPT10_S3_li, .Lfunc_end397-_ZL37rocblas_syrkx_herkx_restricted_kernelIi19rocblas_complex_numIdELi16ELi32ELi8ELi1ELin1ELb1ELc67ELc85EKS1_S1_EviT_PT9_S3_lS5_S3_lPT10_S3_li
                                        ; -- End function
	.set _ZL37rocblas_syrkx_herkx_restricted_kernelIi19rocblas_complex_numIdELi16ELi32ELi8ELi1ELin1ELb1ELc67ELc85EKS1_S1_EviT_PT9_S3_lS5_S3_lPT10_S3_li.num_vgpr, 52
	.set _ZL37rocblas_syrkx_herkx_restricted_kernelIi19rocblas_complex_numIdELi16ELi32ELi8ELi1ELin1ELb1ELc67ELc85EKS1_S1_EviT_PT9_S3_lS5_S3_lPT10_S3_li.num_agpr, 0
	.set _ZL37rocblas_syrkx_herkx_restricted_kernelIi19rocblas_complex_numIdELi16ELi32ELi8ELi1ELin1ELb1ELc67ELc85EKS1_S1_EviT_PT9_S3_lS5_S3_lPT10_S3_li.numbered_sgpr, 22
	.set _ZL37rocblas_syrkx_herkx_restricted_kernelIi19rocblas_complex_numIdELi16ELi32ELi8ELi1ELin1ELb1ELc67ELc85EKS1_S1_EviT_PT9_S3_lS5_S3_lPT10_S3_li.num_named_barrier, 0
	.set _ZL37rocblas_syrkx_herkx_restricted_kernelIi19rocblas_complex_numIdELi16ELi32ELi8ELi1ELin1ELb1ELc67ELc85EKS1_S1_EviT_PT9_S3_lS5_S3_lPT10_S3_li.private_seg_size, 0
	.set _ZL37rocblas_syrkx_herkx_restricted_kernelIi19rocblas_complex_numIdELi16ELi32ELi8ELi1ELin1ELb1ELc67ELc85EKS1_S1_EviT_PT9_S3_lS5_S3_lPT10_S3_li.uses_vcc, 1
	.set _ZL37rocblas_syrkx_herkx_restricted_kernelIi19rocblas_complex_numIdELi16ELi32ELi8ELi1ELin1ELb1ELc67ELc85EKS1_S1_EviT_PT9_S3_lS5_S3_lPT10_S3_li.uses_flat_scratch, 0
	.set _ZL37rocblas_syrkx_herkx_restricted_kernelIi19rocblas_complex_numIdELi16ELi32ELi8ELi1ELin1ELb1ELc67ELc85EKS1_S1_EviT_PT9_S3_lS5_S3_lPT10_S3_li.has_dyn_sized_stack, 0
	.set _ZL37rocblas_syrkx_herkx_restricted_kernelIi19rocblas_complex_numIdELi16ELi32ELi8ELi1ELin1ELb1ELc67ELc85EKS1_S1_EviT_PT9_S3_lS5_S3_lPT10_S3_li.has_recursion, 0
	.set _ZL37rocblas_syrkx_herkx_restricted_kernelIi19rocblas_complex_numIdELi16ELi32ELi8ELi1ELin1ELb1ELc67ELc85EKS1_S1_EviT_PT9_S3_lS5_S3_lPT10_S3_li.has_indirect_call, 0
	.section	.AMDGPU.csdata,"",@progbits
; Kernel info:
; codeLenInByte = 2956
; TotalNumSgprs: 26
; NumVgprs: 52
; ScratchSize: 0
; MemoryBound: 0
; FloatMode: 240
; IeeeMode: 1
; LDSByteSize: 8192 bytes/workgroup (compile time only)
; SGPRBlocks: 8
; VGPRBlocks: 12
; NumSGPRsForWavesPerEU: 65
; NumVGPRsForWavesPerEU: 52
; Occupancy: 4
; WaveLimiterHint : 0
; COMPUTE_PGM_RSRC2:SCRATCH_EN: 0
; COMPUTE_PGM_RSRC2:USER_SGPR: 6
; COMPUTE_PGM_RSRC2:TRAP_HANDLER: 0
; COMPUTE_PGM_RSRC2:TGID_X_EN: 1
; COMPUTE_PGM_RSRC2:TGID_Y_EN: 1
; COMPUTE_PGM_RSRC2:TGID_Z_EN: 1
; COMPUTE_PGM_RSRC2:TIDIG_COMP_CNT: 1
	.section	.text._ZL37rocblas_syrkx_herkx_restricted_kernelIi19rocblas_complex_numIdELi16ELi32ELi8ELi1ELin1ELb1ELc78ELc85EKS1_S1_EviT_PT9_S3_lS5_S3_lPT10_S3_li,"axG",@progbits,_ZL37rocblas_syrkx_herkx_restricted_kernelIi19rocblas_complex_numIdELi16ELi32ELi8ELi1ELin1ELb1ELc78ELc85EKS1_S1_EviT_PT9_S3_lS5_S3_lPT10_S3_li,comdat
	.globl	_ZL37rocblas_syrkx_herkx_restricted_kernelIi19rocblas_complex_numIdELi16ELi32ELi8ELi1ELin1ELb1ELc78ELc85EKS1_S1_EviT_PT9_S3_lS5_S3_lPT10_S3_li ; -- Begin function _ZL37rocblas_syrkx_herkx_restricted_kernelIi19rocblas_complex_numIdELi16ELi32ELi8ELi1ELin1ELb1ELc78ELc85EKS1_S1_EviT_PT9_S3_lS5_S3_lPT10_S3_li
	.p2align	8
	.type	_ZL37rocblas_syrkx_herkx_restricted_kernelIi19rocblas_complex_numIdELi16ELi32ELi8ELi1ELin1ELb1ELc78ELc85EKS1_S1_EviT_PT9_S3_lS5_S3_lPT10_S3_li,@function
_ZL37rocblas_syrkx_herkx_restricted_kernelIi19rocblas_complex_numIdELi16ELi32ELi8ELi1ELin1ELb1ELc78ELc85EKS1_S1_EviT_PT9_S3_lS5_S3_lPT10_S3_li: ; @_ZL37rocblas_syrkx_herkx_restricted_kernelIi19rocblas_complex_numIdELi16ELi32ELi8ELi1ELin1ELb1ELc78ELc85EKS1_S1_EviT_PT9_S3_lS5_S3_lPT10_S3_li
; %bb.0:
	s_load_dwordx2 s[10:11], s[4:5], 0x0
	s_load_dwordx4 s[0:3], s[4:5], 0x30
	s_lshl_b32 s9, s6, 5
	s_lshl_b32 s16, s7, 5
	s_mov_b32 s17, 0
	s_waitcnt lgkmcnt(0)
	s_cmp_lt_i32 s11, 1
	s_cbranch_scc1 .LBB398_3
; %bb.1:
	v_lshl_add_u32 v7, v1, 4, v0
	s_load_dword s6, s[4:5], 0x10
	s_load_dword s18, s[4:5], 0x28
	s_load_dwordx2 s[20:21], s[4:5], 0x8
	s_load_dwordx4 s[12:15], s[4:5], 0x18
	v_lshrrev_b32_e32 v8, 3, v7
	v_add_u32_e32 v2, s16, v8
	v_and_b32_e32 v6, 7, v0
	v_ashrrev_i32_e32 v3, 31, v2
	s_waitcnt lgkmcnt(0)
	v_mad_i64_i32 v[4:5], s[22:23], s18, v6, v[2:3]
	v_and_b32_e32 v2, 31, v7
	v_lshrrev_b32_e32 v9, 5, v7
	v_lshlrev_b32_e32 v3, 4, v2
	v_lshl_or_b32 v22, v9, 9, v3
	v_lshlrev_b32_e32 v3, 4, v6
	v_lshl_or_b32 v3, v8, 7, v3
	v_add_u32_e32 v23, 0x1000, v3
	v_mov_b32_e32 v3, 0x1000
	v_add_u32_e32 v2, s9, v2
	v_lshl_add_u32 v25, v1, 7, v3
	v_ashrrev_i32_e32 v3, 31, v2
	v_mad_i64_i32 v[2:3], s[22:23], s6, v9, v[2:3]
	s_mul_i32 s13, s13, s8
	s_mul_hi_u32 s24, s12, s8
	s_add_i32 s13, s24, s13
	s_mul_i32 s12, s12, s8
	s_ashr_i32 s7, s6, 31
	s_ashr_i32 s19, s18, 31
	s_lshl_b64 s[12:13], s[12:13], 4
	v_lshlrev_b64 v[2:3], 4, v[2:3]
	s_add_u32 s12, s20, s12
	s_addc_u32 s13, s21, s13
	v_add_co_u32_e32 v2, vcc, s12, v2
	s_mul_i32 s1, s1, s8
	s_mul_hi_u32 s12, s0, s8
	v_mov_b32_e32 v6, s13
	s_add_i32 s1, s12, s1
	s_mul_i32 s0, s0, s8
	v_addc_co_u32_e32 v3, vcc, v6, v3, vcc
	s_lshl_b64 s[6:7], s[6:7], 7
	s_lshl_b64 s[0:1], s[0:1], 4
	v_add_co_u32_e32 v2, vcc, 8, v2
	v_lshlrev_b64 v[4:5], 4, v[4:5]
	s_add_u32 s0, s14, s0
	v_addc_co_u32_e32 v3, vcc, 0, v3, vcc
	s_addc_u32 s1, s15, s1
	v_mov_b32_e32 v6, s1
	v_add_co_u32_e32 v4, vcc, s0, v4
	v_addc_co_u32_e32 v5, vcc, v6, v5, vcc
	v_add_co_u32_e32 v4, vcc, 8, v4
	s_lshl_b64 s[0:1], s[18:19], 7
	v_mov_b32_e32 v10, 0
	v_mov_b32_e32 v12, 0
	;; [unrolled: 1-line block ×8, first 2 shown]
	v_lshlrev_b32_e32 v24, 4, v0
	v_addc_co_u32_e32 v5, vcc, 0, v5, vcc
	v_mov_b32_e32 v11, 0
	v_mov_b32_e32 v26, s7
	;; [unrolled: 1-line block ×10, first 2 shown]
.LBB398_2:                              ; =>This Inner Loop Header: Depth=1
	global_load_dwordx4 v[28:31], v[2:3], off offset:-8
	v_add_co_u32_e32 v2, vcc, s6, v2
	v_addc_co_u32_e32 v3, vcc, v3, v26, vcc
	s_add_i32 s17, s17, 8
	s_cmp_ge_i32 s17, s11
	s_waitcnt vmcnt(0)
	ds_write_b128 v22, v[28:31]
	global_load_dwordx4 v[28:31], v[4:5], off offset:-8
	v_add_co_u32_e32 v4, vcc, s0, v4
	v_addc_co_u32_e32 v5, vcc, v5, v27, vcc
	s_waitcnt vmcnt(0)
	v_xor_b32_e32 v31, 0x80000000, v31
	ds_write_b128 v23, v[28:31]
	s_waitcnt lgkmcnt(0)
	s_barrier
	ds_read_b128 v[28:31], v25
	ds_read_b128 v[32:35], v25 offset:16
	ds_read_b128 v[36:39], v25 offset:32
	;; [unrolled: 1-line block ×3, first 2 shown]
	ds_read_b128 v[44:47], v24
	s_waitcnt lgkmcnt(0)
	v_mul_f64 v[48:49], v[30:31], v[46:47]
	v_mul_f64 v[50:51], v[28:29], v[46:47]
	v_fma_f64 v[48:49], v[28:29], v[44:45], -v[48:49]
	v_fma_f64 v[50:51], v[30:31], v[44:45], v[50:51]
	v_add_f64 v[48:49], v[18:19], v[48:49]
	v_add_f64 v[50:51], v[50:51], v[20:21]
	ds_read_b128 v[18:21], v24 offset:256
	s_waitcnt lgkmcnt(0)
	v_mul_f64 v[52:53], v[30:31], v[20:21]
	v_fma_f64 v[52:53], v[28:29], v[18:19], -v[52:53]
	v_mul_f64 v[28:29], v[28:29], v[20:21]
	v_fma_f64 v[28:29], v[30:31], v[18:19], v[28:29]
	v_add_f64 v[30:31], v[6:7], v[52:53]
	v_add_f64 v[28:29], v[28:29], v[8:9]
	ds_read_b128 v[6:9], v25 offset:2048
	s_waitcnt lgkmcnt(0)
	v_mul_f64 v[52:53], v[8:9], v[46:47]
	v_mul_f64 v[46:47], v[6:7], v[46:47]
	v_fma_f64 v[52:53], v[6:7], v[44:45], -v[52:53]
	v_fma_f64 v[44:45], v[8:9], v[44:45], v[46:47]
	v_add_f64 v[46:47], v[14:15], v[52:53]
	v_mul_f64 v[14:15], v[8:9], v[20:21]
	v_add_f64 v[44:45], v[44:45], v[16:17]
	v_fma_f64 v[14:15], v[6:7], v[18:19], -v[14:15]
	v_mul_f64 v[6:7], v[6:7], v[20:21]
	v_fma_f64 v[6:7], v[8:9], v[18:19], v[6:7]
	v_add_f64 v[18:19], v[12:13], v[14:15]
	v_add_f64 v[20:21], v[6:7], v[10:11]
	ds_read_b128 v[6:9], v24 offset:512
	s_waitcnt lgkmcnt(0)
	v_mul_f64 v[10:11], v[34:35], v[8:9]
	v_mul_f64 v[12:13], v[32:33], v[8:9]
	v_fma_f64 v[10:11], v[32:33], v[6:7], -v[10:11]
	v_fma_f64 v[12:13], v[34:35], v[6:7], v[12:13]
	v_add_f64 v[48:49], v[48:49], v[10:11]
	v_add_f64 v[50:51], v[12:13], v[50:51]
	ds_read_b128 v[10:13], v24 offset:768
	s_waitcnt lgkmcnt(0)
	v_mul_f64 v[14:15], v[34:35], v[12:13]
	v_mul_f64 v[16:17], v[32:33], v[12:13]
	v_fma_f64 v[14:15], v[32:33], v[10:11], -v[14:15]
	;; [unrolled: 8-line block ×3, first 2 shown]
	v_fma_f64 v[6:7], v[16:17], v[6:7], v[8:9]
	v_mul_f64 v[8:9], v[14:15], v[12:13]
	v_add_f64 v[32:33], v[46:47], v[32:33]
	v_add_f64 v[34:35], v[6:7], v[44:45]
	v_mul_f64 v[6:7], v[16:17], v[12:13]
	v_fma_f64 v[8:9], v[16:17], v[10:11], v[8:9]
	v_fma_f64 v[6:7], v[14:15], v[10:11], -v[6:7]
	v_add_f64 v[20:21], v[8:9], v[20:21]
	v_add_f64 v[18:19], v[18:19], v[6:7]
	ds_read_b128 v[6:9], v24 offset:1024
	s_waitcnt lgkmcnt(0)
	v_mul_f64 v[10:11], v[38:39], v[8:9]
	v_mul_f64 v[12:13], v[36:37], v[8:9]
	v_fma_f64 v[10:11], v[36:37], v[6:7], -v[10:11]
	v_fma_f64 v[12:13], v[38:39], v[6:7], v[12:13]
	v_add_f64 v[44:45], v[48:49], v[10:11]
	v_add_f64 v[46:47], v[12:13], v[50:51]
	ds_read_b128 v[10:13], v24 offset:1280
	s_waitcnt lgkmcnt(0)
	v_mul_f64 v[14:15], v[38:39], v[12:13]
	v_mul_f64 v[16:17], v[36:37], v[12:13]
	v_fma_f64 v[14:15], v[36:37], v[10:11], -v[14:15]
	v_fma_f64 v[16:17], v[38:39], v[10:11], v[16:17]
	;; [unrolled: 8-line block ×3, first 2 shown]
	v_mul_f64 v[8:9], v[14:15], v[12:13]
	v_add_f64 v[32:33], v[32:33], v[36:37]
	v_add_f64 v[34:35], v[6:7], v[34:35]
	v_mul_f64 v[6:7], v[16:17], v[12:13]
	v_fma_f64 v[8:9], v[16:17], v[10:11], v[8:9]
	v_fma_f64 v[6:7], v[14:15], v[10:11], -v[6:7]
	v_add_f64 v[20:21], v[8:9], v[20:21]
	v_add_f64 v[18:19], v[18:19], v[6:7]
	ds_read_b128 v[6:9], v24 offset:1536
	s_waitcnt lgkmcnt(0)
	v_mul_f64 v[10:11], v[42:43], v[8:9]
	v_mul_f64 v[12:13], v[40:41], v[8:9]
	v_fma_f64 v[10:11], v[40:41], v[6:7], -v[10:11]
	v_fma_f64 v[12:13], v[42:43], v[6:7], v[12:13]
	v_add_f64 v[36:37], v[44:45], v[10:11]
	v_add_f64 v[38:39], v[12:13], v[46:47]
	ds_read_b128 v[10:13], v24 offset:1792
	s_waitcnt lgkmcnt(0)
	v_mul_f64 v[14:15], v[42:43], v[12:13]
	v_mul_f64 v[16:17], v[40:41], v[12:13]
	v_fma_f64 v[14:15], v[40:41], v[10:11], -v[14:15]
	v_fma_f64 v[16:17], v[42:43], v[10:11], v[16:17]
	;; [unrolled: 8-line block ×3, first 2 shown]
	v_mul_f64 v[8:9], v[14:15], v[12:13]
	v_add_f64 v[32:33], v[32:33], v[40:41]
	v_add_f64 v[34:35], v[6:7], v[34:35]
	v_mul_f64 v[6:7], v[16:17], v[12:13]
	v_fma_f64 v[8:9], v[16:17], v[10:11], v[8:9]
	v_fma_f64 v[6:7], v[14:15], v[10:11], -v[6:7]
	v_add_f64 v[20:21], v[8:9], v[20:21]
	v_add_f64 v[18:19], v[18:19], v[6:7]
	ds_read_b128 v[6:9], v25 offset:64
	ds_read_b128 v[10:13], v24 offset:2048
	s_waitcnt lgkmcnt(0)
	v_mul_f64 v[14:15], v[8:9], v[12:13]
	v_mul_f64 v[16:17], v[6:7], v[12:13]
	v_fma_f64 v[14:15], v[6:7], v[10:11], -v[14:15]
	v_fma_f64 v[16:17], v[8:9], v[10:11], v[16:17]
	v_add_f64 v[36:37], v[36:37], v[14:15]
	v_add_f64 v[38:39], v[16:17], v[38:39]
	ds_read_b128 v[14:17], v24 offset:2304
	s_waitcnt lgkmcnt(0)
	v_mul_f64 v[40:41], v[8:9], v[16:17]
	v_fma_f64 v[40:41], v[6:7], v[14:15], -v[40:41]
	v_mul_f64 v[6:7], v[6:7], v[16:17]
	v_add_f64 v[30:31], v[30:31], v[40:41]
	v_fma_f64 v[6:7], v[8:9], v[14:15], v[6:7]
	v_add_f64 v[28:29], v[6:7], v[28:29]
	ds_read_b128 v[6:9], v25 offset:2112
	s_waitcnt lgkmcnt(0)
	v_mul_f64 v[40:41], v[8:9], v[12:13]
	v_mul_f64 v[12:13], v[6:7], v[12:13]
	v_fma_f64 v[40:41], v[6:7], v[10:11], -v[40:41]
	v_fma_f64 v[10:11], v[8:9], v[10:11], v[12:13]
	v_add_f64 v[32:33], v[32:33], v[40:41]
	v_add_f64 v[34:35], v[10:11], v[34:35]
	v_mul_f64 v[10:11], v[8:9], v[16:17]
	v_fma_f64 v[10:11], v[6:7], v[14:15], -v[10:11]
	v_mul_f64 v[6:7], v[6:7], v[16:17]
	v_add_f64 v[18:19], v[18:19], v[10:11]
	v_fma_f64 v[6:7], v[8:9], v[14:15], v[6:7]
	v_add_f64 v[20:21], v[6:7], v[20:21]
	ds_read_b128 v[6:9], v25 offset:80
	ds_read_b128 v[10:13], v24 offset:2560
	s_waitcnt lgkmcnt(0)
	v_mul_f64 v[14:15], v[8:9], v[12:13]
	v_mul_f64 v[16:17], v[6:7], v[12:13]
	v_fma_f64 v[14:15], v[6:7], v[10:11], -v[14:15]
	v_fma_f64 v[16:17], v[8:9], v[10:11], v[16:17]
	v_add_f64 v[36:37], v[36:37], v[14:15]
	v_add_f64 v[38:39], v[16:17], v[38:39]
	ds_read_b128 v[14:17], v24 offset:2816
	s_waitcnt lgkmcnt(0)
	v_mul_f64 v[40:41], v[8:9], v[16:17]
	v_fma_f64 v[40:41], v[6:7], v[14:15], -v[40:41]
	v_mul_f64 v[6:7], v[6:7], v[16:17]
	v_add_f64 v[30:31], v[30:31], v[40:41]
	v_fma_f64 v[6:7], v[8:9], v[14:15], v[6:7]
	v_add_f64 v[28:29], v[6:7], v[28:29]
	ds_read_b128 v[6:9], v25 offset:2128
	s_waitcnt lgkmcnt(0)
	v_mul_f64 v[40:41], v[8:9], v[12:13]
	v_mul_f64 v[12:13], v[6:7], v[12:13]
	v_fma_f64 v[40:41], v[6:7], v[10:11], -v[40:41]
	v_fma_f64 v[10:11], v[8:9], v[10:11], v[12:13]
	v_add_f64 v[32:33], v[32:33], v[40:41]
	v_add_f64 v[34:35], v[10:11], v[34:35]
	v_mul_f64 v[10:11], v[8:9], v[16:17]
	v_fma_f64 v[10:11], v[6:7], v[14:15], -v[10:11]
	v_mul_f64 v[6:7], v[6:7], v[16:17]
	v_add_f64 v[18:19], v[18:19], v[10:11]
	v_fma_f64 v[6:7], v[8:9], v[14:15], v[6:7]
	;; [unrolled: 31-line block ×3, first 2 shown]
	v_add_f64 v[50:51], v[6:7], v[20:21]
	ds_read_b128 v[6:9], v25 offset:112
	ds_read_b128 v[10:13], v24 offset:3584
	;; [unrolled: 1-line block ×4, first 2 shown]
	s_waitcnt lgkmcnt(0)
	s_barrier
	v_mul_f64 v[14:15], v[8:9], v[12:13]
	v_mul_f64 v[16:17], v[6:7], v[12:13]
	v_fma_f64 v[14:15], v[6:7], v[10:11], -v[14:15]
	v_fma_f64 v[16:17], v[8:9], v[10:11], v[16:17]
	v_add_f64 v[18:19], v[36:37], v[14:15]
	v_mul_f64 v[14:15], v[8:9], v[30:31]
	v_add_f64 v[20:21], v[16:17], v[38:39]
	v_fma_f64 v[14:15], v[6:7], v[28:29], -v[14:15]
	v_mul_f64 v[6:7], v[6:7], v[30:31]
	v_fma_f64 v[8:9], v[8:9], v[28:29], v[6:7]
	v_add_f64 v[6:7], v[40:41], v[14:15]
	v_mul_f64 v[14:15], v[34:35], v[12:13]
	v_mul_f64 v[12:13], v[32:33], v[12:13]
	v_add_f64 v[8:9], v[8:9], v[42:43]
	v_fma_f64 v[14:15], v[32:33], v[10:11], -v[14:15]
	v_fma_f64 v[10:11], v[34:35], v[10:11], v[12:13]
	v_mul_f64 v[12:13], v[32:33], v[30:31]
	v_add_f64 v[14:15], v[44:45], v[14:15]
	v_add_f64 v[16:17], v[10:11], v[46:47]
	v_mul_f64 v[10:11], v[34:35], v[30:31]
	v_fma_f64 v[10:11], v[32:33], v[28:29], -v[10:11]
	v_fma_f64 v[28:29], v[34:35], v[28:29], v[12:13]
	v_add_f64 v[12:13], v[48:49], v[10:11]
	v_add_f64 v[10:11], v[28:29], v[50:51]
	s_cbranch_scc0 .LBB398_2
	s_branch .LBB398_4
.LBB398_3:
	v_mov_b32_e32 v18, 0
	v_mov_b32_e32 v20, 0
	;; [unrolled: 1-line block ×16, first 2 shown]
.LBB398_4:
	s_load_dwordx2 s[0:1], s[4:5], 0x48
	s_load_dword s6, s[4:5], 0x40
	v_add_u32_e32 v4, s16, v1
	v_add_u32_e32 v0, s9, v0
	v_cmp_gt_i32_e32 vcc, s10, v4
	s_waitcnt lgkmcnt(0)
	s_mul_i32 s1, s1, s8
	v_mad_i64_i32 v[1:2], s[12:13], v4, s6, 0
	s_mul_hi_u32 s4, s0, s8
	s_mul_i32 s0, s0, s8
	s_add_i32 s1, s4, s1
	s_lshl_b64 s[0:1], s[0:1], 4
	s_add_u32 s4, s2, s0
	v_lshlrev_b64 v[1:2], 4, v[1:2]
	s_addc_u32 s5, s3, s1
	v_mov_b32_e32 v3, s5
	v_add_co_u32_e64 v5, s[0:1], s4, v1
	v_addc_co_u32_e64 v22, s[0:1], v3, v2, s[0:1]
	v_cmp_le_i32_e64 s[0:1], v0, v4
	s_and_b64 s[0:1], vcc, s[0:1]
	s_and_saveexec_b64 s[2:3], s[0:1]
	s_cbranch_execz .LBB398_6
; %bb.5:
	v_ashrrev_i32_e32 v1, 31, v0
	v_lshlrev_b64 v[1:2], 4, v[0:1]
	v_add_co_u32_e64 v1, s[0:1], v5, v1
	v_addc_co_u32_e64 v2, s[0:1], v22, v2, s[0:1]
	global_load_dwordx4 v[23:26], v[1:2], off
	v_cmp_ne_u32_e64 s[0:1], v4, v0
	s_waitcnt vmcnt(0)
	v_add_f64 v[20:21], v[20:21], -v[25:26]
	v_add_f64 v[18:19], v[18:19], -v[23:24]
	v_cndmask_b32_e64 v21, 0, v21, s[0:1]
	v_cndmask_b32_e64 v20, 0, v20, s[0:1]
	global_store_dwordx4 v[1:2], v[18:21], off
.LBB398_6:
	s_or_b64 exec, exec, s[2:3]
	v_add_u32_e32 v2, 16, v0
	v_cmp_le_i32_e64 s[0:1], v2, v4
	s_and_b64 s[2:3], vcc, s[0:1]
	s_and_saveexec_b64 s[0:1], s[2:3]
	s_cbranch_execz .LBB398_8
; %bb.7:
	v_ashrrev_i32_e32 v3, 31, v2
	v_lshlrev_b64 v[18:19], 4, v[2:3]
	v_add_co_u32_e32 v23, vcc, v5, v18
	v_addc_co_u32_e32 v24, vcc, v22, v19, vcc
	global_load_dwordx4 v[18:21], v[23:24], off
	v_cmp_ne_u32_e32 vcc, v4, v2
	s_waitcnt vmcnt(0)
	v_add_f64 v[20:21], v[8:9], -v[20:21]
	v_add_f64 v[5:6], v[6:7], -v[18:19]
	v_cndmask_b32_e32 v8, 0, v21, vcc
	v_cndmask_b32_e32 v7, 0, v20, vcc
	global_store_dwordx4 v[23:24], v[5:8], off
.LBB398_8:
	s_or_b64 exec, exec, s[0:1]
	v_add_u32_e32 v3, 16, v4
	v_mad_i64_i32 v[5:6], s[0:1], v3, s6, 0
	v_mov_b32_e32 v1, s5
	v_cmp_gt_i32_e32 vcc, s10, v3
	v_lshlrev_b64 v[5:6], 4, v[5:6]
	v_add_co_u32_e64 v5, s[0:1], s4, v5
	v_addc_co_u32_e64 v6, s[0:1], v1, v6, s[0:1]
	v_cmp_le_i32_e64 s[0:1], v0, v3
	s_and_b64 s[0:1], vcc, s[0:1]
	s_and_saveexec_b64 s[2:3], s[0:1]
	s_cbranch_execz .LBB398_10
; %bb.9:
	v_ashrrev_i32_e32 v1, 31, v0
	v_lshlrev_b64 v[7:8], 4, v[0:1]
	v_add_co_u32_e64 v7, s[0:1], v5, v7
	v_addc_co_u32_e64 v8, s[0:1], v6, v8, s[0:1]
	global_load_dwordx4 v[18:21], v[7:8], off
	v_cmp_ne_u32_e64 s[0:1], v3, v0
	s_waitcnt vmcnt(0)
	v_add_f64 v[16:17], v[16:17], -v[20:21]
	v_add_f64 v[14:15], v[14:15], -v[18:19]
	v_cndmask_b32_e64 v17, 0, v17, s[0:1]
	v_cndmask_b32_e64 v16, 0, v16, s[0:1]
	global_store_dwordx4 v[7:8], v[14:17], off
.LBB398_10:
	s_or_b64 exec, exec, s[2:3]
	v_cmp_le_i32_e64 s[0:1], v2, v3
	s_and_b64 s[0:1], vcc, s[0:1]
	s_and_saveexec_b64 s[2:3], s[0:1]
	s_cbranch_execz .LBB398_12
; %bb.11:
	v_ashrrev_i32_e32 v3, 31, v2
	v_lshlrev_b64 v[1:2], 4, v[2:3]
	v_add_co_u32_e32 v14, vcc, v5, v1
	v_addc_co_u32_e32 v15, vcc, v6, v2, vcc
	global_load_dwordx4 v[5:8], v[14:15], off
	v_cmp_ne_u32_e32 vcc, v4, v0
	s_waitcnt vmcnt(0)
	v_add_f64 v[7:8], v[10:11], -v[7:8]
	v_add_f64 v[1:2], v[12:13], -v[5:6]
	v_cndmask_b32_e32 v4, 0, v8, vcc
	v_cndmask_b32_e32 v3, 0, v7, vcc
	global_store_dwordx4 v[14:15], v[1:4], off
.LBB398_12:
	s_endpgm
	.section	.rodata,"a",@progbits
	.p2align	6, 0x0
	.amdhsa_kernel _ZL37rocblas_syrkx_herkx_restricted_kernelIi19rocblas_complex_numIdELi16ELi32ELi8ELi1ELin1ELb1ELc78ELc85EKS1_S1_EviT_PT9_S3_lS5_S3_lPT10_S3_li
		.amdhsa_group_segment_fixed_size 8192
		.amdhsa_private_segment_fixed_size 0
		.amdhsa_kernarg_size 84
		.amdhsa_user_sgpr_count 6
		.amdhsa_user_sgpr_private_segment_buffer 1
		.amdhsa_user_sgpr_dispatch_ptr 0
		.amdhsa_user_sgpr_queue_ptr 0
		.amdhsa_user_sgpr_kernarg_segment_ptr 1
		.amdhsa_user_sgpr_dispatch_id 0
		.amdhsa_user_sgpr_flat_scratch_init 0
		.amdhsa_user_sgpr_private_segment_size 0
		.amdhsa_uses_dynamic_stack 0
		.amdhsa_system_sgpr_private_segment_wavefront_offset 0
		.amdhsa_system_sgpr_workgroup_id_x 1
		.amdhsa_system_sgpr_workgroup_id_y 1
		.amdhsa_system_sgpr_workgroup_id_z 1
		.amdhsa_system_sgpr_workgroup_info 0
		.amdhsa_system_vgpr_workitem_id 1
		.amdhsa_next_free_vgpr 54
		.amdhsa_next_free_sgpr 61
		.amdhsa_reserve_vcc 1
		.amdhsa_reserve_flat_scratch 0
		.amdhsa_float_round_mode_32 0
		.amdhsa_float_round_mode_16_64 0
		.amdhsa_float_denorm_mode_32 3
		.amdhsa_float_denorm_mode_16_64 3
		.amdhsa_dx10_clamp 1
		.amdhsa_ieee_mode 1
		.amdhsa_fp16_overflow 0
		.amdhsa_exception_fp_ieee_invalid_op 0
		.amdhsa_exception_fp_denorm_src 0
		.amdhsa_exception_fp_ieee_div_zero 0
		.amdhsa_exception_fp_ieee_overflow 0
		.amdhsa_exception_fp_ieee_underflow 0
		.amdhsa_exception_fp_ieee_inexact 0
		.amdhsa_exception_int_div_zero 0
	.end_amdhsa_kernel
	.section	.text._ZL37rocblas_syrkx_herkx_restricted_kernelIi19rocblas_complex_numIdELi16ELi32ELi8ELi1ELin1ELb1ELc78ELc85EKS1_S1_EviT_PT9_S3_lS5_S3_lPT10_S3_li,"axG",@progbits,_ZL37rocblas_syrkx_herkx_restricted_kernelIi19rocblas_complex_numIdELi16ELi32ELi8ELi1ELin1ELb1ELc78ELc85EKS1_S1_EviT_PT9_S3_lS5_S3_lPT10_S3_li,comdat
.Lfunc_end398:
	.size	_ZL37rocblas_syrkx_herkx_restricted_kernelIi19rocblas_complex_numIdELi16ELi32ELi8ELi1ELin1ELb1ELc78ELc85EKS1_S1_EviT_PT9_S3_lS5_S3_lPT10_S3_li, .Lfunc_end398-_ZL37rocblas_syrkx_herkx_restricted_kernelIi19rocblas_complex_numIdELi16ELi32ELi8ELi1ELin1ELb1ELc78ELc85EKS1_S1_EviT_PT9_S3_lS5_S3_lPT10_S3_li
                                        ; -- End function
	.set _ZL37rocblas_syrkx_herkx_restricted_kernelIi19rocblas_complex_numIdELi16ELi32ELi8ELi1ELin1ELb1ELc78ELc85EKS1_S1_EviT_PT9_S3_lS5_S3_lPT10_S3_li.num_vgpr, 54
	.set _ZL37rocblas_syrkx_herkx_restricted_kernelIi19rocblas_complex_numIdELi16ELi32ELi8ELi1ELin1ELb1ELc78ELc85EKS1_S1_EviT_PT9_S3_lS5_S3_lPT10_S3_li.num_agpr, 0
	.set _ZL37rocblas_syrkx_herkx_restricted_kernelIi19rocblas_complex_numIdELi16ELi32ELi8ELi1ELin1ELb1ELc78ELc85EKS1_S1_EviT_PT9_S3_lS5_S3_lPT10_S3_li.numbered_sgpr, 25
	.set _ZL37rocblas_syrkx_herkx_restricted_kernelIi19rocblas_complex_numIdELi16ELi32ELi8ELi1ELin1ELb1ELc78ELc85EKS1_S1_EviT_PT9_S3_lS5_S3_lPT10_S3_li.num_named_barrier, 0
	.set _ZL37rocblas_syrkx_herkx_restricted_kernelIi19rocblas_complex_numIdELi16ELi32ELi8ELi1ELin1ELb1ELc78ELc85EKS1_S1_EviT_PT9_S3_lS5_S3_lPT10_S3_li.private_seg_size, 0
	.set _ZL37rocblas_syrkx_herkx_restricted_kernelIi19rocblas_complex_numIdELi16ELi32ELi8ELi1ELin1ELb1ELc78ELc85EKS1_S1_EviT_PT9_S3_lS5_S3_lPT10_S3_li.uses_vcc, 1
	.set _ZL37rocblas_syrkx_herkx_restricted_kernelIi19rocblas_complex_numIdELi16ELi32ELi8ELi1ELin1ELb1ELc78ELc85EKS1_S1_EviT_PT9_S3_lS5_S3_lPT10_S3_li.uses_flat_scratch, 0
	.set _ZL37rocblas_syrkx_herkx_restricted_kernelIi19rocblas_complex_numIdELi16ELi32ELi8ELi1ELin1ELb1ELc78ELc85EKS1_S1_EviT_PT9_S3_lS5_S3_lPT10_S3_li.has_dyn_sized_stack, 0
	.set _ZL37rocblas_syrkx_herkx_restricted_kernelIi19rocblas_complex_numIdELi16ELi32ELi8ELi1ELin1ELb1ELc78ELc85EKS1_S1_EviT_PT9_S3_lS5_S3_lPT10_S3_li.has_recursion, 0
	.set _ZL37rocblas_syrkx_herkx_restricted_kernelIi19rocblas_complex_numIdELi16ELi32ELi8ELi1ELin1ELb1ELc78ELc85EKS1_S1_EviT_PT9_S3_lS5_S3_lPT10_S3_li.has_indirect_call, 0
	.section	.AMDGPU.csdata,"",@progbits
; Kernel info:
; codeLenInByte = 2972
; TotalNumSgprs: 29
; NumVgprs: 54
; ScratchSize: 0
; MemoryBound: 0
; FloatMode: 240
; IeeeMode: 1
; LDSByteSize: 8192 bytes/workgroup (compile time only)
; SGPRBlocks: 8
; VGPRBlocks: 13
; NumSGPRsForWavesPerEU: 65
; NumVGPRsForWavesPerEU: 54
; Occupancy: 4
; WaveLimiterHint : 0
; COMPUTE_PGM_RSRC2:SCRATCH_EN: 0
; COMPUTE_PGM_RSRC2:USER_SGPR: 6
; COMPUTE_PGM_RSRC2:TRAP_HANDLER: 0
; COMPUTE_PGM_RSRC2:TGID_X_EN: 1
; COMPUTE_PGM_RSRC2:TGID_Y_EN: 1
; COMPUTE_PGM_RSRC2:TGID_Z_EN: 1
; COMPUTE_PGM_RSRC2:TIDIG_COMP_CNT: 1
	.section	.text._ZL37rocblas_syrkx_herkx_restricted_kernelIi19rocblas_complex_numIdELi16ELi32ELi8ELi1ELi0ELb1ELc84ELc76EKS1_S1_EviT_PT9_S3_lS5_S3_lPT10_S3_li,"axG",@progbits,_ZL37rocblas_syrkx_herkx_restricted_kernelIi19rocblas_complex_numIdELi16ELi32ELi8ELi1ELi0ELb1ELc84ELc76EKS1_S1_EviT_PT9_S3_lS5_S3_lPT10_S3_li,comdat
	.globl	_ZL37rocblas_syrkx_herkx_restricted_kernelIi19rocblas_complex_numIdELi16ELi32ELi8ELi1ELi0ELb1ELc84ELc76EKS1_S1_EviT_PT9_S3_lS5_S3_lPT10_S3_li ; -- Begin function _ZL37rocblas_syrkx_herkx_restricted_kernelIi19rocblas_complex_numIdELi16ELi32ELi8ELi1ELi0ELb1ELc84ELc76EKS1_S1_EviT_PT9_S3_lS5_S3_lPT10_S3_li
	.p2align	8
	.type	_ZL37rocblas_syrkx_herkx_restricted_kernelIi19rocblas_complex_numIdELi16ELi32ELi8ELi1ELi0ELb1ELc84ELc76EKS1_S1_EviT_PT9_S3_lS5_S3_lPT10_S3_li,@function
_ZL37rocblas_syrkx_herkx_restricted_kernelIi19rocblas_complex_numIdELi16ELi32ELi8ELi1ELi0ELb1ELc84ELc76EKS1_S1_EviT_PT9_S3_lS5_S3_lPT10_S3_li: ; @_ZL37rocblas_syrkx_herkx_restricted_kernelIi19rocblas_complex_numIdELi16ELi32ELi8ELi1ELi0ELb1ELc84ELc76EKS1_S1_EviT_PT9_S3_lS5_S3_lPT10_S3_li
; %bb.0:
	s_load_dwordx2 s[10:11], s[4:5], 0x0
	s_load_dwordx4 s[0:3], s[4:5], 0x30
	s_lshl_b32 s6, s6, 5
	s_lshl_b32 s7, s7, 5
	s_mov_b32 s9, 0
	s_waitcnt lgkmcnt(0)
	s_cmp_lt_i32 s11, 1
	s_cbranch_scc1 .LBB399_3
; %bb.1:
	s_load_dwordx2 s[16:17], s[4:5], 0x8
	s_load_dword s20, s[4:5], 0x10
	s_load_dwordx4 s[12:15], s[4:5], 0x18
	s_load_dword s18, s[4:5], 0x28
	v_lshl_add_u32 v4, v1, 4, v0
	v_lshrrev_b32_e32 v8, 3, v4
	v_add_u32_e32 v5, s7, v8
	v_and_b32_e32 v2, 7, v0
	v_mov_b32_e32 v3, 0
	s_waitcnt lgkmcnt(0)
	v_mad_i64_i32 v[6:7], s[18:19], s18, v5, v[2:3]
	v_lshlrev_b32_e32 v2, 4, v2
	v_lshl_or_b32 v2, v8, 7, v2
	v_and_b32_e32 v9, 31, v4
	v_add_u32_e32 v23, 0x1000, v2
	v_mov_b32_e32 v2, 0x1000
	v_lshrrev_b32_e32 v4, 5, v4
	v_mov_b32_e32 v5, v3
	v_lshlrev_b32_e32 v3, 4, v9
	v_lshl_add_u32 v25, v1, 7, v2
	v_add_u32_e32 v2, s6, v9
	v_lshl_or_b32 v22, v4, 9, v3
	v_mad_i64_i32 v[2:3], s[18:19], s20, v2, v[4:5]
	s_mul_i32 s13, s13, s8
	s_mul_hi_u32 s21, s12, s8
	s_add_i32 s13, s21, s13
	s_mul_i32 s12, s12, s8
	s_lshl_b64 s[12:13], s[12:13], 4
	v_lshlrev_b64 v[2:3], 4, v[2:3]
	s_add_u32 s12, s16, s12
	s_addc_u32 s13, s17, s13
	v_mov_b32_e32 v4, s13
	v_add_co_u32_e32 v2, vcc, s12, v2
	s_mul_i32 s1, s1, s8
	s_mul_hi_u32 s12, s0, s8
	v_addc_co_u32_e32 v3, vcc, v4, v3, vcc
	s_add_i32 s1, s12, s1
	s_mul_i32 s0, s0, s8
	v_add_co_u32_e32 v4, vcc, 8, v2
	s_lshl_b64 s[0:1], s[0:1], 4
	v_addc_co_u32_e32 v5, vcc, 0, v3, vcc
	v_lshlrev_b64 v[2:3], 4, v[6:7]
	s_add_u32 s0, s14, s0
	s_addc_u32 s1, s15, s1
	v_mov_b32_e32 v6, s1
	v_add_co_u32_e32 v12, vcc, s0, v2
	v_addc_co_u32_e32 v13, vcc, v6, v3, vcc
	v_mov_b32_e32 v16, 0
	v_mov_b32_e32 v6, 0
	;; [unrolled: 1-line block ×8, first 2 shown]
	v_add_co_u32_e32 v12, vcc, 8, v12
	v_lshlrev_b32_e32 v24, 4, v0
	v_mov_b32_e32 v17, 0
	v_mov_b32_e32 v7, 0
	;; [unrolled: 1-line block ×8, first 2 shown]
	v_addc_co_u32_e32 v13, vcc, 0, v13, vcc
.LBB399_2:                              ; =>This Inner Loop Header: Depth=1
	global_load_dwordx4 v[26:29], v[4:5], off offset:-8
	v_add_co_u32_e32 v4, vcc, 0x80, v4
	v_addc_co_u32_e32 v5, vcc, 0, v5, vcc
	s_add_i32 s9, s9, 8
	s_cmp_ge_i32 s9, s11
	s_waitcnt vmcnt(0)
	ds_write_b128 v22, v[26:29]
	global_load_dwordx4 v[26:29], v[12:13], off offset:-8
	v_add_co_u32_e32 v12, vcc, 0x80, v12
	v_addc_co_u32_e32 v13, vcc, 0, v13, vcc
	s_waitcnt vmcnt(0)
	ds_write_b128 v23, v[26:29]
	s_waitcnt lgkmcnt(0)
	s_barrier
	ds_read_b128 v[26:29], v25
	ds_read_b128 v[30:33], v25 offset:16
	ds_read_b128 v[34:37], v25 offset:32
	;; [unrolled: 1-line block ×3, first 2 shown]
	ds_read_b128 v[42:45], v24
	s_waitcnt lgkmcnt(0)
	v_mul_f64 v[46:47], v[28:29], v[44:45]
	v_mul_f64 v[48:49], v[26:27], v[44:45]
	v_fma_f64 v[46:47], v[26:27], v[42:43], -v[46:47]
	v_fma_f64 v[48:49], v[28:29], v[42:43], v[48:49]
	v_add_f64 v[10:11], v[10:11], v[46:47]
	v_add_f64 v[20:21], v[48:49], v[20:21]
	ds_read_b128 v[46:49], v24 offset:256
	s_waitcnt lgkmcnt(0)
	v_mul_f64 v[50:51], v[28:29], v[48:49]
	v_fma_f64 v[50:51], v[26:27], v[46:47], -v[50:51]
	v_mul_f64 v[26:27], v[26:27], v[48:49]
	v_add_f64 v[2:3], v[2:3], v[50:51]
	v_fma_f64 v[26:27], v[28:29], v[46:47], v[26:27]
	v_add_f64 v[50:51], v[26:27], v[14:15]
	ds_read_b128 v[26:29], v25 offset:2048
	s_waitcnt lgkmcnt(0)
	v_mul_f64 v[14:15], v[28:29], v[44:45]
	v_mul_f64 v[44:45], v[26:27], v[44:45]
	v_fma_f64 v[14:15], v[26:27], v[42:43], -v[14:15]
	v_fma_f64 v[42:43], v[28:29], v[42:43], v[44:45]
	v_add_f64 v[44:45], v[8:9], v[14:15]
	v_mul_f64 v[8:9], v[28:29], v[48:49]
	v_mul_f64 v[14:15], v[26:27], v[48:49]
	v_add_f64 v[42:43], v[42:43], v[18:19]
	v_fma_f64 v[8:9], v[26:27], v[46:47], -v[8:9]
	v_fma_f64 v[14:15], v[28:29], v[46:47], v[14:15]
	v_add_f64 v[26:27], v[6:7], v[8:9]
	ds_read_b128 v[6:9], v24 offset:512
	v_add_f64 v[28:29], v[14:15], v[16:17]
	s_waitcnt lgkmcnt(0)
	v_mul_f64 v[14:15], v[32:33], v[8:9]
	v_mul_f64 v[16:17], v[30:31], v[8:9]
	v_fma_f64 v[14:15], v[30:31], v[6:7], -v[14:15]
	v_fma_f64 v[16:17], v[32:33], v[6:7], v[16:17]
	v_add_f64 v[10:11], v[10:11], v[14:15]
	v_add_f64 v[46:47], v[16:17], v[20:21]
	ds_read_b128 v[14:17], v24 offset:768
	s_waitcnt lgkmcnt(0)
	v_mul_f64 v[18:19], v[32:33], v[16:17]
	v_mul_f64 v[20:21], v[30:31], v[16:17]
	v_fma_f64 v[18:19], v[30:31], v[14:15], -v[18:19]
	v_fma_f64 v[20:21], v[32:33], v[14:15], v[20:21]
	v_add_f64 v[2:3], v[2:3], v[18:19]
	v_add_f64 v[30:31], v[20:21], v[50:51]
	ds_read_b128 v[18:21], v25 offset:2064
	s_waitcnt lgkmcnt(0)
	v_mul_f64 v[32:33], v[20:21], v[8:9]
	v_mul_f64 v[8:9], v[18:19], v[8:9]
	v_fma_f64 v[32:33], v[18:19], v[6:7], -v[32:33]
	v_fma_f64 v[6:7], v[20:21], v[6:7], v[8:9]
	v_mul_f64 v[8:9], v[18:19], v[16:17]
	v_add_f64 v[32:33], v[44:45], v[32:33]
	v_add_f64 v[42:43], v[6:7], v[42:43]
	v_mul_f64 v[6:7], v[20:21], v[16:17]
	v_fma_f64 v[8:9], v[20:21], v[14:15], v[8:9]
	v_fma_f64 v[6:7], v[18:19], v[14:15], -v[6:7]
	v_add_f64 v[28:29], v[8:9], v[28:29]
	v_add_f64 v[26:27], v[26:27], v[6:7]
	ds_read_b128 v[6:9], v24 offset:1024
	s_waitcnt lgkmcnt(0)
	v_mul_f64 v[14:15], v[36:37], v[8:9]
	v_mul_f64 v[16:17], v[34:35], v[8:9]
	v_fma_f64 v[14:15], v[34:35], v[6:7], -v[14:15]
	v_fma_f64 v[16:17], v[36:37], v[6:7], v[16:17]
	v_add_f64 v[10:11], v[10:11], v[14:15]
	v_add_f64 v[44:45], v[16:17], v[46:47]
	ds_read_b128 v[14:17], v24 offset:1280
	s_waitcnt lgkmcnt(0)
	v_mul_f64 v[18:19], v[36:37], v[16:17]
	v_mul_f64 v[20:21], v[34:35], v[16:17]
	v_fma_f64 v[18:19], v[34:35], v[14:15], -v[18:19]
	v_fma_f64 v[20:21], v[36:37], v[14:15], v[20:21]
	v_add_f64 v[2:3], v[2:3], v[18:19]
	v_add_f64 v[30:31], v[20:21], v[30:31]
	ds_read_b128 v[18:21], v25 offset:2080
	s_waitcnt lgkmcnt(0)
	v_mul_f64 v[34:35], v[20:21], v[8:9]
	v_mul_f64 v[8:9], v[18:19], v[8:9]
	v_fma_f64 v[34:35], v[18:19], v[6:7], -v[34:35]
	v_fma_f64 v[6:7], v[20:21], v[6:7], v[8:9]
	v_mul_f64 v[8:9], v[18:19], v[16:17]
	v_add_f64 v[32:33], v[32:33], v[34:35]
	v_add_f64 v[34:35], v[6:7], v[42:43]
	v_mul_f64 v[6:7], v[20:21], v[16:17]
	v_fma_f64 v[8:9], v[20:21], v[14:15], v[8:9]
	v_fma_f64 v[6:7], v[18:19], v[14:15], -v[6:7]
	v_add_f64 v[28:29], v[8:9], v[28:29]
	v_add_f64 v[26:27], v[26:27], v[6:7]
	ds_read_b128 v[6:9], v24 offset:1536
	;; [unrolled: 30-line block ×3, first 2 shown]
	ds_read_b128 v[14:17], v24 offset:2048
	s_waitcnt lgkmcnt(0)
	v_mul_f64 v[18:19], v[8:9], v[16:17]
	v_mul_f64 v[20:21], v[6:7], v[16:17]
	v_fma_f64 v[18:19], v[6:7], v[14:15], -v[18:19]
	v_fma_f64 v[20:21], v[8:9], v[14:15], v[20:21]
	v_add_f64 v[10:11], v[10:11], v[18:19]
	v_add_f64 v[36:37], v[20:21], v[36:37]
	ds_read_b128 v[18:21], v24 offset:2304
	s_waitcnt lgkmcnt(0)
	v_mul_f64 v[38:39], v[8:9], v[20:21]
	v_fma_f64 v[38:39], v[6:7], v[18:19], -v[38:39]
	v_mul_f64 v[6:7], v[6:7], v[20:21]
	v_add_f64 v[2:3], v[2:3], v[38:39]
	v_fma_f64 v[6:7], v[8:9], v[18:19], v[6:7]
	v_add_f64 v[30:31], v[6:7], v[30:31]
	ds_read_b128 v[6:9], v25 offset:2112
	s_waitcnt lgkmcnt(0)
	v_mul_f64 v[38:39], v[8:9], v[16:17]
	v_mul_f64 v[16:17], v[6:7], v[16:17]
	v_fma_f64 v[38:39], v[6:7], v[14:15], -v[38:39]
	v_fma_f64 v[14:15], v[8:9], v[14:15], v[16:17]
	v_add_f64 v[32:33], v[32:33], v[38:39]
	v_add_f64 v[34:35], v[14:15], v[34:35]
	v_mul_f64 v[14:15], v[8:9], v[20:21]
	v_fma_f64 v[14:15], v[6:7], v[18:19], -v[14:15]
	v_mul_f64 v[6:7], v[6:7], v[20:21]
	v_add_f64 v[26:27], v[26:27], v[14:15]
	v_fma_f64 v[6:7], v[8:9], v[18:19], v[6:7]
	v_add_f64 v[28:29], v[6:7], v[28:29]
	ds_read_b128 v[6:9], v25 offset:80
	ds_read_b128 v[14:17], v24 offset:2560
	s_waitcnt lgkmcnt(0)
	v_mul_f64 v[18:19], v[8:9], v[16:17]
	v_mul_f64 v[20:21], v[6:7], v[16:17]
	v_fma_f64 v[18:19], v[6:7], v[14:15], -v[18:19]
	v_fma_f64 v[20:21], v[8:9], v[14:15], v[20:21]
	v_add_f64 v[10:11], v[10:11], v[18:19]
	v_add_f64 v[36:37], v[20:21], v[36:37]
	ds_read_b128 v[18:21], v24 offset:2816
	s_waitcnt lgkmcnt(0)
	v_mul_f64 v[38:39], v[8:9], v[20:21]
	v_fma_f64 v[38:39], v[6:7], v[18:19], -v[38:39]
	v_mul_f64 v[6:7], v[6:7], v[20:21]
	v_add_f64 v[2:3], v[2:3], v[38:39]
	v_fma_f64 v[6:7], v[8:9], v[18:19], v[6:7]
	v_add_f64 v[30:31], v[6:7], v[30:31]
	ds_read_b128 v[6:9], v25 offset:2128
	s_waitcnt lgkmcnt(0)
	v_mul_f64 v[38:39], v[8:9], v[16:17]
	v_mul_f64 v[16:17], v[6:7], v[16:17]
	v_fma_f64 v[38:39], v[6:7], v[14:15], -v[38:39]
	v_fma_f64 v[14:15], v[8:9], v[14:15], v[16:17]
	v_add_f64 v[32:33], v[32:33], v[38:39]
	v_add_f64 v[34:35], v[14:15], v[34:35]
	v_mul_f64 v[14:15], v[8:9], v[20:21]
	v_fma_f64 v[14:15], v[6:7], v[18:19], -v[14:15]
	v_mul_f64 v[6:7], v[6:7], v[20:21]
	v_add_f64 v[26:27], v[26:27], v[14:15]
	v_fma_f64 v[6:7], v[8:9], v[18:19], v[6:7]
	v_add_f64 v[28:29], v[6:7], v[28:29]
	ds_read_b128 v[6:9], v25 offset:96
	;; [unrolled: 31-line block ×3, first 2 shown]
	ds_read_b128 v[16:19], v24 offset:3584
	ds_read_b128 v[26:29], v24 offset:3840
	s_waitcnt lgkmcnt(1)
	v_mul_f64 v[14:15], v[8:9], v[18:19]
	v_mul_f64 v[20:21], v[6:7], v[18:19]
	v_fma_f64 v[14:15], v[6:7], v[16:17], -v[14:15]
	v_fma_f64 v[20:21], v[8:9], v[16:17], v[20:21]
	v_add_f64 v[10:11], v[10:11], v[14:15]
	s_waitcnt lgkmcnt(0)
	v_mul_f64 v[14:15], v[8:9], v[28:29]
	v_add_f64 v[20:21], v[20:21], v[36:37]
	v_fma_f64 v[14:15], v[6:7], v[26:27], -v[14:15]
	v_mul_f64 v[6:7], v[6:7], v[28:29]
	v_add_f64 v[2:3], v[2:3], v[14:15]
	v_fma_f64 v[6:7], v[8:9], v[26:27], v[6:7]
	v_add_f64 v[14:15], v[6:7], v[30:31]
	ds_read_b128 v[30:33], v25 offset:2160
	s_waitcnt lgkmcnt(0)
	s_barrier
	v_mul_f64 v[6:7], v[32:33], v[18:19]
	v_mul_f64 v[8:9], v[30:31], v[18:19]
	v_fma_f64 v[6:7], v[30:31], v[16:17], -v[6:7]
	v_fma_f64 v[16:17], v[32:33], v[16:17], v[8:9]
	v_add_f64 v[8:9], v[38:39], v[6:7]
	v_add_f64 v[18:19], v[16:17], v[34:35]
	v_mul_f64 v[6:7], v[32:33], v[28:29]
	v_mul_f64 v[16:17], v[30:31], v[28:29]
	v_fma_f64 v[6:7], v[30:31], v[26:27], -v[6:7]
	v_fma_f64 v[16:17], v[32:33], v[26:27], v[16:17]
	v_add_f64 v[6:7], v[40:41], v[6:7]
	v_add_f64 v[16:17], v[16:17], v[42:43]
	s_cbranch_scc0 .LBB399_2
	s_branch .LBB399_4
.LBB399_3:
	v_mov_b32_e32 v10, 0
	v_mov_b32_e32 v20, 0
	;; [unrolled: 1-line block ×16, first 2 shown]
.LBB399_4:
	s_load_dwordx2 s[0:1], s[4:5], 0x48
	s_load_dword s9, s[4:5], 0x40
	v_add_u32_e32 v22, s7, v1
	v_add_u32_e32 v0, s6, v0
	s_waitcnt lgkmcnt(0)
	s_mul_i32 s1, s1, s8
	s_mul_hi_u32 s4, s0, s8
	s_add_i32 s1, s4, s1
	v_mad_i64_i32 v[4:5], s[4:5], v22, s9, 0
	s_mul_i32 s0, s0, s8
	s_lshl_b64 s[0:1], s[0:1], 4
	s_add_u32 s7, s2, s0
	v_lshlrev_b64 v[4:5], 4, v[4:5]
	s_addc_u32 s8, s3, s1
	v_mov_b32_e32 v1, s8
	v_add_co_u32_e32 v4, vcc, s7, v4
	v_addc_co_u32_e32 v5, vcc, v1, v5, vcc
	v_cmp_le_i32_e64 s[0:1], v22, v0
	v_cmp_gt_i32_e32 vcc, s10, v0
	s_and_b64 s[0:1], s[0:1], vcc
	s_and_saveexec_b64 s[2:3], s[0:1]
	s_cbranch_execz .LBB399_6
; %bb.5:
	v_ashrrev_i32_e32 v1, 31, v0
	v_lshlrev_b64 v[12:13], 4, v[0:1]
	v_add_co_u32_e64 v23, s[0:1], v4, v12
	v_addc_co_u32_e64 v24, s[0:1], v5, v13, s[0:1]
	v_cmp_ne_u32_e64 s[0:1], v22, v0
	v_cndmask_b32_e64 v13, 0, v21, s[0:1]
	v_cndmask_b32_e64 v12, 0, v20, s[0:1]
	global_store_dwordx4 v[23:24], v[10:13], off
.LBB399_6:
	s_or_b64 exec, exec, s[2:3]
	v_add_u32_e32 v12, 16, v0
	v_cmp_le_i32_e64 s[2:3], v22, v12
	v_cmp_gt_i32_e64 s[0:1], s10, v12
	s_and_b64 s[2:3], s[2:3], s[0:1]
	s_and_saveexec_b64 s[4:5], s[2:3]
	s_cbranch_execz .LBB399_8
; %bb.7:
	v_ashrrev_i32_e32 v13, 31, v12
	v_lshlrev_b64 v[10:11], 4, v[12:13]
	v_add_co_u32_e64 v10, s[2:3], v4, v10
	v_addc_co_u32_e64 v11, s[2:3], v5, v11, s[2:3]
	v_cmp_ne_u32_e64 s[2:3], v22, v12
	v_cndmask_b32_e64 v5, 0, v15, s[2:3]
	v_cndmask_b32_e64 v4, 0, v14, s[2:3]
	global_store_dwordx4 v[10:11], v[2:5], off
.LBB399_8:
	s_or_b64 exec, exec, s[4:5]
	v_add_u32_e32 v4, 16, v22
	v_mad_i64_i32 v[1:2], s[2:3], v4, s9, 0
	v_mov_b32_e32 v5, s8
	v_lshlrev_b64 v[2:3], 4, v[1:2]
	v_add_co_u32_e64 v2, s[2:3], s7, v2
	v_addc_co_u32_e64 v3, s[2:3], v5, v3, s[2:3]
	v_cmp_le_i32_e64 s[2:3], v4, v0
	s_and_b64 s[4:5], s[2:3], vcc
	s_and_saveexec_b64 s[2:3], s[4:5]
	s_cbranch_execz .LBB399_10
; %bb.9:
	v_ashrrev_i32_e32 v1, 31, v0
	v_lshlrev_b64 v[10:11], 4, v[0:1]
	v_add_co_u32_e32 v13, vcc, v2, v10
	v_addc_co_u32_e32 v14, vcc, v3, v11, vcc
	v_cmp_ne_u32_e32 vcc, v4, v0
	v_cndmask_b32_e32 v11, 0, v19, vcc
	v_cndmask_b32_e32 v10, 0, v18, vcc
	global_store_dwordx4 v[13:14], v[8:11], off
.LBB399_10:
	s_or_b64 exec, exec, s[2:3]
	v_cmp_le_i32_e32 vcc, v4, v12
	s_and_b64 s[0:1], vcc, s[0:1]
	s_and_saveexec_b64 s[2:3], s[0:1]
	s_cbranch_execz .LBB399_12
; %bb.11:
	v_ashrrev_i32_e32 v13, 31, v12
	v_lshlrev_b64 v[4:5], 4, v[12:13]
	v_add_co_u32_e32 v1, vcc, v2, v4
	v_addc_co_u32_e32 v2, vcc, v3, v5, vcc
	v_cmp_ne_u32_e32 vcc, v22, v0
	v_cndmask_b32_e32 v9, 0, v17, vcc
	v_cndmask_b32_e32 v8, 0, v16, vcc
	global_store_dwordx4 v[1:2], v[6:9], off
.LBB399_12:
	s_endpgm
	.section	.rodata,"a",@progbits
	.p2align	6, 0x0
	.amdhsa_kernel _ZL37rocblas_syrkx_herkx_restricted_kernelIi19rocblas_complex_numIdELi16ELi32ELi8ELi1ELi0ELb1ELc84ELc76EKS1_S1_EviT_PT9_S3_lS5_S3_lPT10_S3_li
		.amdhsa_group_segment_fixed_size 8192
		.amdhsa_private_segment_fixed_size 0
		.amdhsa_kernarg_size 84
		.amdhsa_user_sgpr_count 6
		.amdhsa_user_sgpr_private_segment_buffer 1
		.amdhsa_user_sgpr_dispatch_ptr 0
		.amdhsa_user_sgpr_queue_ptr 0
		.amdhsa_user_sgpr_kernarg_segment_ptr 1
		.amdhsa_user_sgpr_dispatch_id 0
		.amdhsa_user_sgpr_flat_scratch_init 0
		.amdhsa_user_sgpr_private_segment_size 0
		.amdhsa_uses_dynamic_stack 0
		.amdhsa_system_sgpr_private_segment_wavefront_offset 0
		.amdhsa_system_sgpr_workgroup_id_x 1
		.amdhsa_system_sgpr_workgroup_id_y 1
		.amdhsa_system_sgpr_workgroup_id_z 1
		.amdhsa_system_sgpr_workgroup_info 0
		.amdhsa_system_vgpr_workitem_id 1
		.amdhsa_next_free_vgpr 52
		.amdhsa_next_free_sgpr 61
		.amdhsa_reserve_vcc 1
		.amdhsa_reserve_flat_scratch 0
		.amdhsa_float_round_mode_32 0
		.amdhsa_float_round_mode_16_64 0
		.amdhsa_float_denorm_mode_32 3
		.amdhsa_float_denorm_mode_16_64 3
		.amdhsa_dx10_clamp 1
		.amdhsa_ieee_mode 1
		.amdhsa_fp16_overflow 0
		.amdhsa_exception_fp_ieee_invalid_op 0
		.amdhsa_exception_fp_denorm_src 0
		.amdhsa_exception_fp_ieee_div_zero 0
		.amdhsa_exception_fp_ieee_overflow 0
		.amdhsa_exception_fp_ieee_underflow 0
		.amdhsa_exception_fp_ieee_inexact 0
		.amdhsa_exception_int_div_zero 0
	.end_amdhsa_kernel
	.section	.text._ZL37rocblas_syrkx_herkx_restricted_kernelIi19rocblas_complex_numIdELi16ELi32ELi8ELi1ELi0ELb1ELc84ELc76EKS1_S1_EviT_PT9_S3_lS5_S3_lPT10_S3_li,"axG",@progbits,_ZL37rocblas_syrkx_herkx_restricted_kernelIi19rocblas_complex_numIdELi16ELi32ELi8ELi1ELi0ELb1ELc84ELc76EKS1_S1_EviT_PT9_S3_lS5_S3_lPT10_S3_li,comdat
.Lfunc_end399:
	.size	_ZL37rocblas_syrkx_herkx_restricted_kernelIi19rocblas_complex_numIdELi16ELi32ELi8ELi1ELi0ELb1ELc84ELc76EKS1_S1_EviT_PT9_S3_lS5_S3_lPT10_S3_li, .Lfunc_end399-_ZL37rocblas_syrkx_herkx_restricted_kernelIi19rocblas_complex_numIdELi16ELi32ELi8ELi1ELi0ELb1ELc84ELc76EKS1_S1_EviT_PT9_S3_lS5_S3_lPT10_S3_li
                                        ; -- End function
	.set _ZL37rocblas_syrkx_herkx_restricted_kernelIi19rocblas_complex_numIdELi16ELi32ELi8ELi1ELi0ELb1ELc84ELc76EKS1_S1_EviT_PT9_S3_lS5_S3_lPT10_S3_li.num_vgpr, 52
	.set _ZL37rocblas_syrkx_herkx_restricted_kernelIi19rocblas_complex_numIdELi16ELi32ELi8ELi1ELi0ELb1ELc84ELc76EKS1_S1_EviT_PT9_S3_lS5_S3_lPT10_S3_li.num_agpr, 0
	.set _ZL37rocblas_syrkx_herkx_restricted_kernelIi19rocblas_complex_numIdELi16ELi32ELi8ELi1ELi0ELb1ELc84ELc76EKS1_S1_EviT_PT9_S3_lS5_S3_lPT10_S3_li.numbered_sgpr, 22
	.set _ZL37rocblas_syrkx_herkx_restricted_kernelIi19rocblas_complex_numIdELi16ELi32ELi8ELi1ELi0ELb1ELc84ELc76EKS1_S1_EviT_PT9_S3_lS5_S3_lPT10_S3_li.num_named_barrier, 0
	.set _ZL37rocblas_syrkx_herkx_restricted_kernelIi19rocblas_complex_numIdELi16ELi32ELi8ELi1ELi0ELb1ELc84ELc76EKS1_S1_EviT_PT9_S3_lS5_S3_lPT10_S3_li.private_seg_size, 0
	.set _ZL37rocblas_syrkx_herkx_restricted_kernelIi19rocblas_complex_numIdELi16ELi32ELi8ELi1ELi0ELb1ELc84ELc76EKS1_S1_EviT_PT9_S3_lS5_S3_lPT10_S3_li.uses_vcc, 1
	.set _ZL37rocblas_syrkx_herkx_restricted_kernelIi19rocblas_complex_numIdELi16ELi32ELi8ELi1ELi0ELb1ELc84ELc76EKS1_S1_EviT_PT9_S3_lS5_S3_lPT10_S3_li.uses_flat_scratch, 0
	.set _ZL37rocblas_syrkx_herkx_restricted_kernelIi19rocblas_complex_numIdELi16ELi32ELi8ELi1ELi0ELb1ELc84ELc76EKS1_S1_EviT_PT9_S3_lS5_S3_lPT10_S3_li.has_dyn_sized_stack, 0
	.set _ZL37rocblas_syrkx_herkx_restricted_kernelIi19rocblas_complex_numIdELi16ELi32ELi8ELi1ELi0ELb1ELc84ELc76EKS1_S1_EviT_PT9_S3_lS5_S3_lPT10_S3_li.has_recursion, 0
	.set _ZL37rocblas_syrkx_herkx_restricted_kernelIi19rocblas_complex_numIdELi16ELi32ELi8ELi1ELi0ELb1ELc84ELc76EKS1_S1_EviT_PT9_S3_lS5_S3_lPT10_S3_li.has_indirect_call, 0
	.section	.AMDGPU.csdata,"",@progbits
; Kernel info:
; codeLenInByte = 2836
; TotalNumSgprs: 26
; NumVgprs: 52
; ScratchSize: 0
; MemoryBound: 0
; FloatMode: 240
; IeeeMode: 1
; LDSByteSize: 8192 bytes/workgroup (compile time only)
; SGPRBlocks: 8
; VGPRBlocks: 12
; NumSGPRsForWavesPerEU: 65
; NumVGPRsForWavesPerEU: 52
; Occupancy: 4
; WaveLimiterHint : 0
; COMPUTE_PGM_RSRC2:SCRATCH_EN: 0
; COMPUTE_PGM_RSRC2:USER_SGPR: 6
; COMPUTE_PGM_RSRC2:TRAP_HANDLER: 0
; COMPUTE_PGM_RSRC2:TGID_X_EN: 1
; COMPUTE_PGM_RSRC2:TGID_Y_EN: 1
; COMPUTE_PGM_RSRC2:TGID_Z_EN: 1
; COMPUTE_PGM_RSRC2:TIDIG_COMP_CNT: 1
	.section	.text._ZL37rocblas_syrkx_herkx_restricted_kernelIi19rocblas_complex_numIdELi16ELi32ELi8ELi1ELi0ELb1ELc67ELc76EKS1_S1_EviT_PT9_S3_lS5_S3_lPT10_S3_li,"axG",@progbits,_ZL37rocblas_syrkx_herkx_restricted_kernelIi19rocblas_complex_numIdELi16ELi32ELi8ELi1ELi0ELb1ELc67ELc76EKS1_S1_EviT_PT9_S3_lS5_S3_lPT10_S3_li,comdat
	.globl	_ZL37rocblas_syrkx_herkx_restricted_kernelIi19rocblas_complex_numIdELi16ELi32ELi8ELi1ELi0ELb1ELc67ELc76EKS1_S1_EviT_PT9_S3_lS5_S3_lPT10_S3_li ; -- Begin function _ZL37rocblas_syrkx_herkx_restricted_kernelIi19rocblas_complex_numIdELi16ELi32ELi8ELi1ELi0ELb1ELc67ELc76EKS1_S1_EviT_PT9_S3_lS5_S3_lPT10_S3_li
	.p2align	8
	.type	_ZL37rocblas_syrkx_herkx_restricted_kernelIi19rocblas_complex_numIdELi16ELi32ELi8ELi1ELi0ELb1ELc67ELc76EKS1_S1_EviT_PT9_S3_lS5_S3_lPT10_S3_li,@function
_ZL37rocblas_syrkx_herkx_restricted_kernelIi19rocblas_complex_numIdELi16ELi32ELi8ELi1ELi0ELb1ELc67ELc76EKS1_S1_EviT_PT9_S3_lS5_S3_lPT10_S3_li: ; @_ZL37rocblas_syrkx_herkx_restricted_kernelIi19rocblas_complex_numIdELi16ELi32ELi8ELi1ELi0ELb1ELc67ELc76EKS1_S1_EviT_PT9_S3_lS5_S3_lPT10_S3_li
; %bb.0:
	s_load_dwordx2 s[10:11], s[4:5], 0x0
	s_load_dwordx4 s[0:3], s[4:5], 0x30
	s_lshl_b32 s6, s6, 5
	s_lshl_b32 s7, s7, 5
	s_mov_b32 s9, 0
	s_waitcnt lgkmcnt(0)
	s_cmp_lt_i32 s11, 1
	s_cbranch_scc1 .LBB400_3
; %bb.1:
	s_load_dwordx2 s[16:17], s[4:5], 0x8
	s_load_dword s20, s[4:5], 0x10
	s_load_dwordx4 s[12:15], s[4:5], 0x18
	s_load_dword s18, s[4:5], 0x28
	v_lshl_add_u32 v4, v1, 4, v0
	v_lshrrev_b32_e32 v8, 3, v4
	v_add_u32_e32 v5, s7, v8
	v_and_b32_e32 v2, 7, v0
	v_mov_b32_e32 v3, 0
	s_waitcnt lgkmcnt(0)
	v_mad_i64_i32 v[6:7], s[18:19], s18, v5, v[2:3]
	v_lshlrev_b32_e32 v2, 4, v2
	v_lshl_or_b32 v2, v8, 7, v2
	v_and_b32_e32 v9, 31, v4
	v_add_u32_e32 v23, 0x1000, v2
	v_mov_b32_e32 v2, 0x1000
	v_lshrrev_b32_e32 v4, 5, v4
	v_mov_b32_e32 v5, v3
	v_lshlrev_b32_e32 v3, 4, v9
	v_lshl_add_u32 v25, v1, 7, v2
	v_add_u32_e32 v2, s6, v9
	v_lshl_or_b32 v22, v4, 9, v3
	v_mad_i64_i32 v[2:3], s[18:19], s20, v2, v[4:5]
	s_mul_i32 s13, s13, s8
	s_mul_hi_u32 s21, s12, s8
	s_add_i32 s13, s21, s13
	s_mul_i32 s12, s12, s8
	s_lshl_b64 s[12:13], s[12:13], 4
	v_lshlrev_b64 v[2:3], 4, v[2:3]
	s_add_u32 s12, s16, s12
	s_addc_u32 s13, s17, s13
	v_mov_b32_e32 v4, s13
	v_add_co_u32_e32 v2, vcc, s12, v2
	s_mul_i32 s1, s1, s8
	s_mul_hi_u32 s12, s0, s8
	v_addc_co_u32_e32 v3, vcc, v4, v3, vcc
	s_add_i32 s1, s12, s1
	s_mul_i32 s0, s0, s8
	v_add_co_u32_e32 v4, vcc, 8, v2
	s_lshl_b64 s[0:1], s[0:1], 4
	v_addc_co_u32_e32 v5, vcc, 0, v3, vcc
	v_lshlrev_b64 v[2:3], 4, v[6:7]
	s_add_u32 s0, s14, s0
	s_addc_u32 s1, s15, s1
	v_mov_b32_e32 v6, s1
	v_add_co_u32_e32 v12, vcc, s0, v2
	v_addc_co_u32_e32 v13, vcc, v6, v3, vcc
	v_mov_b32_e32 v16, 0
	v_mov_b32_e32 v6, 0
	;; [unrolled: 1-line block ×8, first 2 shown]
	v_add_co_u32_e32 v12, vcc, 8, v12
	v_lshlrev_b32_e32 v24, 4, v0
	v_mov_b32_e32 v17, 0
	v_mov_b32_e32 v7, 0
	;; [unrolled: 1-line block ×8, first 2 shown]
	v_addc_co_u32_e32 v13, vcc, 0, v13, vcc
.LBB400_2:                              ; =>This Inner Loop Header: Depth=1
	global_load_dwordx4 v[26:29], v[4:5], off offset:-8
	v_add_co_u32_e32 v4, vcc, 0x80, v4
	v_addc_co_u32_e32 v5, vcc, 0, v5, vcc
	s_add_i32 s9, s9, 8
	s_cmp_ge_i32 s9, s11
	s_waitcnt vmcnt(0)
	v_xor_b32_e32 v29, 0x80000000, v29
	ds_write_b128 v22, v[26:29]
	global_load_dwordx4 v[26:29], v[12:13], off offset:-8
	v_add_co_u32_e32 v12, vcc, 0x80, v12
	v_addc_co_u32_e32 v13, vcc, 0, v13, vcc
	s_waitcnt vmcnt(0)
	ds_write_b128 v23, v[26:29]
	s_waitcnt lgkmcnt(0)
	s_barrier
	ds_read_b128 v[26:29], v25
	ds_read_b128 v[30:33], v25 offset:16
	ds_read_b128 v[34:37], v25 offset:32
	;; [unrolled: 1-line block ×3, first 2 shown]
	ds_read_b128 v[42:45], v24
	s_waitcnt lgkmcnt(0)
	v_mul_f64 v[46:47], v[28:29], v[44:45]
	v_mul_f64 v[48:49], v[26:27], v[44:45]
	v_fma_f64 v[46:47], v[26:27], v[42:43], -v[46:47]
	v_fma_f64 v[48:49], v[28:29], v[42:43], v[48:49]
	v_add_f64 v[10:11], v[10:11], v[46:47]
	v_add_f64 v[20:21], v[48:49], v[20:21]
	ds_read_b128 v[46:49], v24 offset:256
	s_waitcnt lgkmcnt(0)
	v_mul_f64 v[50:51], v[28:29], v[48:49]
	v_fma_f64 v[50:51], v[26:27], v[46:47], -v[50:51]
	v_mul_f64 v[26:27], v[26:27], v[48:49]
	v_add_f64 v[2:3], v[2:3], v[50:51]
	v_fma_f64 v[26:27], v[28:29], v[46:47], v[26:27]
	v_add_f64 v[50:51], v[26:27], v[14:15]
	ds_read_b128 v[26:29], v25 offset:2048
	s_waitcnt lgkmcnt(0)
	v_mul_f64 v[14:15], v[28:29], v[44:45]
	v_mul_f64 v[44:45], v[26:27], v[44:45]
	v_fma_f64 v[14:15], v[26:27], v[42:43], -v[14:15]
	v_fma_f64 v[42:43], v[28:29], v[42:43], v[44:45]
	v_add_f64 v[44:45], v[8:9], v[14:15]
	v_mul_f64 v[8:9], v[28:29], v[48:49]
	v_mul_f64 v[14:15], v[26:27], v[48:49]
	v_add_f64 v[42:43], v[42:43], v[18:19]
	v_fma_f64 v[8:9], v[26:27], v[46:47], -v[8:9]
	v_fma_f64 v[14:15], v[28:29], v[46:47], v[14:15]
	v_add_f64 v[26:27], v[6:7], v[8:9]
	ds_read_b128 v[6:9], v24 offset:512
	v_add_f64 v[28:29], v[14:15], v[16:17]
	s_waitcnt lgkmcnt(0)
	v_mul_f64 v[14:15], v[32:33], v[8:9]
	v_mul_f64 v[16:17], v[30:31], v[8:9]
	v_fma_f64 v[14:15], v[30:31], v[6:7], -v[14:15]
	v_fma_f64 v[16:17], v[32:33], v[6:7], v[16:17]
	v_add_f64 v[10:11], v[10:11], v[14:15]
	v_add_f64 v[46:47], v[16:17], v[20:21]
	ds_read_b128 v[14:17], v24 offset:768
	s_waitcnt lgkmcnt(0)
	v_mul_f64 v[18:19], v[32:33], v[16:17]
	v_mul_f64 v[20:21], v[30:31], v[16:17]
	v_fma_f64 v[18:19], v[30:31], v[14:15], -v[18:19]
	v_fma_f64 v[20:21], v[32:33], v[14:15], v[20:21]
	v_add_f64 v[2:3], v[2:3], v[18:19]
	v_add_f64 v[30:31], v[20:21], v[50:51]
	ds_read_b128 v[18:21], v25 offset:2064
	s_waitcnt lgkmcnt(0)
	v_mul_f64 v[32:33], v[20:21], v[8:9]
	v_mul_f64 v[8:9], v[18:19], v[8:9]
	v_fma_f64 v[32:33], v[18:19], v[6:7], -v[32:33]
	v_fma_f64 v[6:7], v[20:21], v[6:7], v[8:9]
	v_mul_f64 v[8:9], v[18:19], v[16:17]
	v_add_f64 v[32:33], v[44:45], v[32:33]
	v_add_f64 v[42:43], v[6:7], v[42:43]
	v_mul_f64 v[6:7], v[20:21], v[16:17]
	v_fma_f64 v[8:9], v[20:21], v[14:15], v[8:9]
	v_fma_f64 v[6:7], v[18:19], v[14:15], -v[6:7]
	v_add_f64 v[28:29], v[8:9], v[28:29]
	v_add_f64 v[26:27], v[26:27], v[6:7]
	ds_read_b128 v[6:9], v24 offset:1024
	s_waitcnt lgkmcnt(0)
	v_mul_f64 v[14:15], v[36:37], v[8:9]
	v_mul_f64 v[16:17], v[34:35], v[8:9]
	v_fma_f64 v[14:15], v[34:35], v[6:7], -v[14:15]
	v_fma_f64 v[16:17], v[36:37], v[6:7], v[16:17]
	v_add_f64 v[10:11], v[10:11], v[14:15]
	v_add_f64 v[44:45], v[16:17], v[46:47]
	ds_read_b128 v[14:17], v24 offset:1280
	s_waitcnt lgkmcnt(0)
	v_mul_f64 v[18:19], v[36:37], v[16:17]
	v_mul_f64 v[20:21], v[34:35], v[16:17]
	v_fma_f64 v[18:19], v[34:35], v[14:15], -v[18:19]
	v_fma_f64 v[20:21], v[36:37], v[14:15], v[20:21]
	v_add_f64 v[2:3], v[2:3], v[18:19]
	v_add_f64 v[30:31], v[20:21], v[30:31]
	ds_read_b128 v[18:21], v25 offset:2080
	s_waitcnt lgkmcnt(0)
	v_mul_f64 v[34:35], v[20:21], v[8:9]
	v_mul_f64 v[8:9], v[18:19], v[8:9]
	v_fma_f64 v[34:35], v[18:19], v[6:7], -v[34:35]
	v_fma_f64 v[6:7], v[20:21], v[6:7], v[8:9]
	v_mul_f64 v[8:9], v[18:19], v[16:17]
	v_add_f64 v[32:33], v[32:33], v[34:35]
	v_add_f64 v[34:35], v[6:7], v[42:43]
	v_mul_f64 v[6:7], v[20:21], v[16:17]
	v_fma_f64 v[8:9], v[20:21], v[14:15], v[8:9]
	v_fma_f64 v[6:7], v[18:19], v[14:15], -v[6:7]
	v_add_f64 v[28:29], v[8:9], v[28:29]
	v_add_f64 v[26:27], v[26:27], v[6:7]
	ds_read_b128 v[6:9], v24 offset:1536
	;; [unrolled: 30-line block ×3, first 2 shown]
	ds_read_b128 v[14:17], v24 offset:2048
	s_waitcnt lgkmcnt(0)
	v_mul_f64 v[18:19], v[8:9], v[16:17]
	v_mul_f64 v[20:21], v[6:7], v[16:17]
	v_fma_f64 v[18:19], v[6:7], v[14:15], -v[18:19]
	v_fma_f64 v[20:21], v[8:9], v[14:15], v[20:21]
	v_add_f64 v[10:11], v[10:11], v[18:19]
	v_add_f64 v[36:37], v[20:21], v[36:37]
	ds_read_b128 v[18:21], v24 offset:2304
	s_waitcnt lgkmcnt(0)
	v_mul_f64 v[38:39], v[8:9], v[20:21]
	v_fma_f64 v[38:39], v[6:7], v[18:19], -v[38:39]
	v_mul_f64 v[6:7], v[6:7], v[20:21]
	v_add_f64 v[2:3], v[2:3], v[38:39]
	v_fma_f64 v[6:7], v[8:9], v[18:19], v[6:7]
	v_add_f64 v[30:31], v[6:7], v[30:31]
	ds_read_b128 v[6:9], v25 offset:2112
	s_waitcnt lgkmcnt(0)
	v_mul_f64 v[38:39], v[8:9], v[16:17]
	v_mul_f64 v[16:17], v[6:7], v[16:17]
	v_fma_f64 v[38:39], v[6:7], v[14:15], -v[38:39]
	v_fma_f64 v[14:15], v[8:9], v[14:15], v[16:17]
	v_add_f64 v[32:33], v[32:33], v[38:39]
	v_add_f64 v[34:35], v[14:15], v[34:35]
	v_mul_f64 v[14:15], v[8:9], v[20:21]
	v_fma_f64 v[14:15], v[6:7], v[18:19], -v[14:15]
	v_mul_f64 v[6:7], v[6:7], v[20:21]
	v_add_f64 v[26:27], v[26:27], v[14:15]
	v_fma_f64 v[6:7], v[8:9], v[18:19], v[6:7]
	v_add_f64 v[28:29], v[6:7], v[28:29]
	ds_read_b128 v[6:9], v25 offset:80
	ds_read_b128 v[14:17], v24 offset:2560
	s_waitcnt lgkmcnt(0)
	v_mul_f64 v[18:19], v[8:9], v[16:17]
	v_mul_f64 v[20:21], v[6:7], v[16:17]
	v_fma_f64 v[18:19], v[6:7], v[14:15], -v[18:19]
	v_fma_f64 v[20:21], v[8:9], v[14:15], v[20:21]
	v_add_f64 v[10:11], v[10:11], v[18:19]
	v_add_f64 v[36:37], v[20:21], v[36:37]
	ds_read_b128 v[18:21], v24 offset:2816
	s_waitcnt lgkmcnt(0)
	v_mul_f64 v[38:39], v[8:9], v[20:21]
	v_fma_f64 v[38:39], v[6:7], v[18:19], -v[38:39]
	v_mul_f64 v[6:7], v[6:7], v[20:21]
	v_add_f64 v[2:3], v[2:3], v[38:39]
	v_fma_f64 v[6:7], v[8:9], v[18:19], v[6:7]
	v_add_f64 v[30:31], v[6:7], v[30:31]
	ds_read_b128 v[6:9], v25 offset:2128
	s_waitcnt lgkmcnt(0)
	v_mul_f64 v[38:39], v[8:9], v[16:17]
	v_mul_f64 v[16:17], v[6:7], v[16:17]
	v_fma_f64 v[38:39], v[6:7], v[14:15], -v[38:39]
	v_fma_f64 v[14:15], v[8:9], v[14:15], v[16:17]
	v_add_f64 v[32:33], v[32:33], v[38:39]
	v_add_f64 v[34:35], v[14:15], v[34:35]
	v_mul_f64 v[14:15], v[8:9], v[20:21]
	v_fma_f64 v[14:15], v[6:7], v[18:19], -v[14:15]
	v_mul_f64 v[6:7], v[6:7], v[20:21]
	v_add_f64 v[26:27], v[26:27], v[14:15]
	v_fma_f64 v[6:7], v[8:9], v[18:19], v[6:7]
	v_add_f64 v[28:29], v[6:7], v[28:29]
	ds_read_b128 v[6:9], v25 offset:96
	;; [unrolled: 31-line block ×3, first 2 shown]
	ds_read_b128 v[16:19], v24 offset:3584
	ds_read_b128 v[26:29], v24 offset:3840
	s_waitcnt lgkmcnt(1)
	v_mul_f64 v[14:15], v[8:9], v[18:19]
	v_mul_f64 v[20:21], v[6:7], v[18:19]
	v_fma_f64 v[14:15], v[6:7], v[16:17], -v[14:15]
	v_fma_f64 v[20:21], v[8:9], v[16:17], v[20:21]
	v_add_f64 v[10:11], v[10:11], v[14:15]
	s_waitcnt lgkmcnt(0)
	v_mul_f64 v[14:15], v[8:9], v[28:29]
	v_add_f64 v[20:21], v[20:21], v[36:37]
	v_fma_f64 v[14:15], v[6:7], v[26:27], -v[14:15]
	v_mul_f64 v[6:7], v[6:7], v[28:29]
	v_add_f64 v[2:3], v[2:3], v[14:15]
	v_fma_f64 v[6:7], v[8:9], v[26:27], v[6:7]
	v_add_f64 v[14:15], v[6:7], v[30:31]
	ds_read_b128 v[30:33], v25 offset:2160
	s_waitcnt lgkmcnt(0)
	s_barrier
	v_mul_f64 v[6:7], v[32:33], v[18:19]
	v_mul_f64 v[8:9], v[30:31], v[18:19]
	v_fma_f64 v[6:7], v[30:31], v[16:17], -v[6:7]
	v_fma_f64 v[16:17], v[32:33], v[16:17], v[8:9]
	v_add_f64 v[8:9], v[38:39], v[6:7]
	v_add_f64 v[18:19], v[16:17], v[34:35]
	v_mul_f64 v[6:7], v[32:33], v[28:29]
	v_mul_f64 v[16:17], v[30:31], v[28:29]
	v_fma_f64 v[6:7], v[30:31], v[26:27], -v[6:7]
	v_fma_f64 v[16:17], v[32:33], v[26:27], v[16:17]
	v_add_f64 v[6:7], v[40:41], v[6:7]
	v_add_f64 v[16:17], v[16:17], v[42:43]
	s_cbranch_scc0 .LBB400_2
	s_branch .LBB400_4
.LBB400_3:
	v_mov_b32_e32 v10, 0
	v_mov_b32_e32 v20, 0
	;; [unrolled: 1-line block ×16, first 2 shown]
.LBB400_4:
	s_load_dwordx2 s[0:1], s[4:5], 0x48
	s_load_dword s9, s[4:5], 0x40
	v_add_u32_e32 v22, s7, v1
	v_add_u32_e32 v0, s6, v0
	s_waitcnt lgkmcnt(0)
	s_mul_i32 s1, s1, s8
	s_mul_hi_u32 s4, s0, s8
	s_add_i32 s1, s4, s1
	v_mad_i64_i32 v[4:5], s[4:5], v22, s9, 0
	s_mul_i32 s0, s0, s8
	s_lshl_b64 s[0:1], s[0:1], 4
	s_add_u32 s7, s2, s0
	v_lshlrev_b64 v[4:5], 4, v[4:5]
	s_addc_u32 s8, s3, s1
	v_mov_b32_e32 v1, s8
	v_add_co_u32_e32 v4, vcc, s7, v4
	v_addc_co_u32_e32 v5, vcc, v1, v5, vcc
	v_cmp_le_i32_e64 s[0:1], v22, v0
	v_cmp_gt_i32_e32 vcc, s10, v0
	s_and_b64 s[0:1], s[0:1], vcc
	s_and_saveexec_b64 s[2:3], s[0:1]
	s_cbranch_execz .LBB400_6
; %bb.5:
	v_ashrrev_i32_e32 v1, 31, v0
	v_lshlrev_b64 v[12:13], 4, v[0:1]
	v_add_co_u32_e64 v23, s[0:1], v4, v12
	v_addc_co_u32_e64 v24, s[0:1], v5, v13, s[0:1]
	v_cmp_ne_u32_e64 s[0:1], v22, v0
	v_cndmask_b32_e64 v13, 0, v21, s[0:1]
	v_cndmask_b32_e64 v12, 0, v20, s[0:1]
	global_store_dwordx4 v[23:24], v[10:13], off
.LBB400_6:
	s_or_b64 exec, exec, s[2:3]
	v_add_u32_e32 v12, 16, v0
	v_cmp_le_i32_e64 s[2:3], v22, v12
	v_cmp_gt_i32_e64 s[0:1], s10, v12
	s_and_b64 s[2:3], s[2:3], s[0:1]
	s_and_saveexec_b64 s[4:5], s[2:3]
	s_cbranch_execz .LBB400_8
; %bb.7:
	v_ashrrev_i32_e32 v13, 31, v12
	v_lshlrev_b64 v[10:11], 4, v[12:13]
	v_add_co_u32_e64 v10, s[2:3], v4, v10
	v_addc_co_u32_e64 v11, s[2:3], v5, v11, s[2:3]
	v_cmp_ne_u32_e64 s[2:3], v22, v12
	v_cndmask_b32_e64 v5, 0, v15, s[2:3]
	v_cndmask_b32_e64 v4, 0, v14, s[2:3]
	global_store_dwordx4 v[10:11], v[2:5], off
.LBB400_8:
	s_or_b64 exec, exec, s[4:5]
	v_add_u32_e32 v4, 16, v22
	v_mad_i64_i32 v[1:2], s[2:3], v4, s9, 0
	v_mov_b32_e32 v5, s8
	v_lshlrev_b64 v[2:3], 4, v[1:2]
	v_add_co_u32_e64 v2, s[2:3], s7, v2
	v_addc_co_u32_e64 v3, s[2:3], v5, v3, s[2:3]
	v_cmp_le_i32_e64 s[2:3], v4, v0
	s_and_b64 s[4:5], s[2:3], vcc
	s_and_saveexec_b64 s[2:3], s[4:5]
	s_cbranch_execz .LBB400_10
; %bb.9:
	v_ashrrev_i32_e32 v1, 31, v0
	v_lshlrev_b64 v[10:11], 4, v[0:1]
	v_add_co_u32_e32 v13, vcc, v2, v10
	v_addc_co_u32_e32 v14, vcc, v3, v11, vcc
	v_cmp_ne_u32_e32 vcc, v4, v0
	v_cndmask_b32_e32 v11, 0, v19, vcc
	v_cndmask_b32_e32 v10, 0, v18, vcc
	global_store_dwordx4 v[13:14], v[8:11], off
.LBB400_10:
	s_or_b64 exec, exec, s[2:3]
	v_cmp_le_i32_e32 vcc, v4, v12
	s_and_b64 s[0:1], vcc, s[0:1]
	s_and_saveexec_b64 s[2:3], s[0:1]
	s_cbranch_execz .LBB400_12
; %bb.11:
	v_ashrrev_i32_e32 v13, 31, v12
	v_lshlrev_b64 v[4:5], 4, v[12:13]
	v_add_co_u32_e32 v1, vcc, v2, v4
	v_addc_co_u32_e32 v2, vcc, v3, v5, vcc
	v_cmp_ne_u32_e32 vcc, v22, v0
	v_cndmask_b32_e32 v9, 0, v17, vcc
	v_cndmask_b32_e32 v8, 0, v16, vcc
	global_store_dwordx4 v[1:2], v[6:9], off
.LBB400_12:
	s_endpgm
	.section	.rodata,"a",@progbits
	.p2align	6, 0x0
	.amdhsa_kernel _ZL37rocblas_syrkx_herkx_restricted_kernelIi19rocblas_complex_numIdELi16ELi32ELi8ELi1ELi0ELb1ELc67ELc76EKS1_S1_EviT_PT9_S3_lS5_S3_lPT10_S3_li
		.amdhsa_group_segment_fixed_size 8192
		.amdhsa_private_segment_fixed_size 0
		.amdhsa_kernarg_size 84
		.amdhsa_user_sgpr_count 6
		.amdhsa_user_sgpr_private_segment_buffer 1
		.amdhsa_user_sgpr_dispatch_ptr 0
		.amdhsa_user_sgpr_queue_ptr 0
		.amdhsa_user_sgpr_kernarg_segment_ptr 1
		.amdhsa_user_sgpr_dispatch_id 0
		.amdhsa_user_sgpr_flat_scratch_init 0
		.amdhsa_user_sgpr_private_segment_size 0
		.amdhsa_uses_dynamic_stack 0
		.amdhsa_system_sgpr_private_segment_wavefront_offset 0
		.amdhsa_system_sgpr_workgroup_id_x 1
		.amdhsa_system_sgpr_workgroup_id_y 1
		.amdhsa_system_sgpr_workgroup_id_z 1
		.amdhsa_system_sgpr_workgroup_info 0
		.amdhsa_system_vgpr_workitem_id 1
		.amdhsa_next_free_vgpr 52
		.amdhsa_next_free_sgpr 61
		.amdhsa_reserve_vcc 1
		.amdhsa_reserve_flat_scratch 0
		.amdhsa_float_round_mode_32 0
		.amdhsa_float_round_mode_16_64 0
		.amdhsa_float_denorm_mode_32 3
		.amdhsa_float_denorm_mode_16_64 3
		.amdhsa_dx10_clamp 1
		.amdhsa_ieee_mode 1
		.amdhsa_fp16_overflow 0
		.amdhsa_exception_fp_ieee_invalid_op 0
		.amdhsa_exception_fp_denorm_src 0
		.amdhsa_exception_fp_ieee_div_zero 0
		.amdhsa_exception_fp_ieee_overflow 0
		.amdhsa_exception_fp_ieee_underflow 0
		.amdhsa_exception_fp_ieee_inexact 0
		.amdhsa_exception_int_div_zero 0
	.end_amdhsa_kernel
	.section	.text._ZL37rocblas_syrkx_herkx_restricted_kernelIi19rocblas_complex_numIdELi16ELi32ELi8ELi1ELi0ELb1ELc67ELc76EKS1_S1_EviT_PT9_S3_lS5_S3_lPT10_S3_li,"axG",@progbits,_ZL37rocblas_syrkx_herkx_restricted_kernelIi19rocblas_complex_numIdELi16ELi32ELi8ELi1ELi0ELb1ELc67ELc76EKS1_S1_EviT_PT9_S3_lS5_S3_lPT10_S3_li,comdat
.Lfunc_end400:
	.size	_ZL37rocblas_syrkx_herkx_restricted_kernelIi19rocblas_complex_numIdELi16ELi32ELi8ELi1ELi0ELb1ELc67ELc76EKS1_S1_EviT_PT9_S3_lS5_S3_lPT10_S3_li, .Lfunc_end400-_ZL37rocblas_syrkx_herkx_restricted_kernelIi19rocblas_complex_numIdELi16ELi32ELi8ELi1ELi0ELb1ELc67ELc76EKS1_S1_EviT_PT9_S3_lS5_S3_lPT10_S3_li
                                        ; -- End function
	.set _ZL37rocblas_syrkx_herkx_restricted_kernelIi19rocblas_complex_numIdELi16ELi32ELi8ELi1ELi0ELb1ELc67ELc76EKS1_S1_EviT_PT9_S3_lS5_S3_lPT10_S3_li.num_vgpr, 52
	.set _ZL37rocblas_syrkx_herkx_restricted_kernelIi19rocblas_complex_numIdELi16ELi32ELi8ELi1ELi0ELb1ELc67ELc76EKS1_S1_EviT_PT9_S3_lS5_S3_lPT10_S3_li.num_agpr, 0
	.set _ZL37rocblas_syrkx_herkx_restricted_kernelIi19rocblas_complex_numIdELi16ELi32ELi8ELi1ELi0ELb1ELc67ELc76EKS1_S1_EviT_PT9_S3_lS5_S3_lPT10_S3_li.numbered_sgpr, 22
	.set _ZL37rocblas_syrkx_herkx_restricted_kernelIi19rocblas_complex_numIdELi16ELi32ELi8ELi1ELi0ELb1ELc67ELc76EKS1_S1_EviT_PT9_S3_lS5_S3_lPT10_S3_li.num_named_barrier, 0
	.set _ZL37rocblas_syrkx_herkx_restricted_kernelIi19rocblas_complex_numIdELi16ELi32ELi8ELi1ELi0ELb1ELc67ELc76EKS1_S1_EviT_PT9_S3_lS5_S3_lPT10_S3_li.private_seg_size, 0
	.set _ZL37rocblas_syrkx_herkx_restricted_kernelIi19rocblas_complex_numIdELi16ELi32ELi8ELi1ELi0ELb1ELc67ELc76EKS1_S1_EviT_PT9_S3_lS5_S3_lPT10_S3_li.uses_vcc, 1
	.set _ZL37rocblas_syrkx_herkx_restricted_kernelIi19rocblas_complex_numIdELi16ELi32ELi8ELi1ELi0ELb1ELc67ELc76EKS1_S1_EviT_PT9_S3_lS5_S3_lPT10_S3_li.uses_flat_scratch, 0
	.set _ZL37rocblas_syrkx_herkx_restricted_kernelIi19rocblas_complex_numIdELi16ELi32ELi8ELi1ELi0ELb1ELc67ELc76EKS1_S1_EviT_PT9_S3_lS5_S3_lPT10_S3_li.has_dyn_sized_stack, 0
	.set _ZL37rocblas_syrkx_herkx_restricted_kernelIi19rocblas_complex_numIdELi16ELi32ELi8ELi1ELi0ELb1ELc67ELc76EKS1_S1_EviT_PT9_S3_lS5_S3_lPT10_S3_li.has_recursion, 0
	.set _ZL37rocblas_syrkx_herkx_restricted_kernelIi19rocblas_complex_numIdELi16ELi32ELi8ELi1ELi0ELb1ELc67ELc76EKS1_S1_EviT_PT9_S3_lS5_S3_lPT10_S3_li.has_indirect_call, 0
	.section	.AMDGPU.csdata,"",@progbits
; Kernel info:
; codeLenInByte = 2844
; TotalNumSgprs: 26
; NumVgprs: 52
; ScratchSize: 0
; MemoryBound: 0
; FloatMode: 240
; IeeeMode: 1
; LDSByteSize: 8192 bytes/workgroup (compile time only)
; SGPRBlocks: 8
; VGPRBlocks: 12
; NumSGPRsForWavesPerEU: 65
; NumVGPRsForWavesPerEU: 52
; Occupancy: 4
; WaveLimiterHint : 0
; COMPUTE_PGM_RSRC2:SCRATCH_EN: 0
; COMPUTE_PGM_RSRC2:USER_SGPR: 6
; COMPUTE_PGM_RSRC2:TRAP_HANDLER: 0
; COMPUTE_PGM_RSRC2:TGID_X_EN: 1
; COMPUTE_PGM_RSRC2:TGID_Y_EN: 1
; COMPUTE_PGM_RSRC2:TGID_Z_EN: 1
; COMPUTE_PGM_RSRC2:TIDIG_COMP_CNT: 1
	.section	.text._ZL37rocblas_syrkx_herkx_restricted_kernelIi19rocblas_complex_numIdELi16ELi32ELi8ELi1ELi0ELb1ELc78ELc76EKS1_S1_EviT_PT9_S3_lS5_S3_lPT10_S3_li,"axG",@progbits,_ZL37rocblas_syrkx_herkx_restricted_kernelIi19rocblas_complex_numIdELi16ELi32ELi8ELi1ELi0ELb1ELc78ELc76EKS1_S1_EviT_PT9_S3_lS5_S3_lPT10_S3_li,comdat
	.globl	_ZL37rocblas_syrkx_herkx_restricted_kernelIi19rocblas_complex_numIdELi16ELi32ELi8ELi1ELi0ELb1ELc78ELc76EKS1_S1_EviT_PT9_S3_lS5_S3_lPT10_S3_li ; -- Begin function _ZL37rocblas_syrkx_herkx_restricted_kernelIi19rocblas_complex_numIdELi16ELi32ELi8ELi1ELi0ELb1ELc78ELc76EKS1_S1_EviT_PT9_S3_lS5_S3_lPT10_S3_li
	.p2align	8
	.type	_ZL37rocblas_syrkx_herkx_restricted_kernelIi19rocblas_complex_numIdELi16ELi32ELi8ELi1ELi0ELb1ELc78ELc76EKS1_S1_EviT_PT9_S3_lS5_S3_lPT10_S3_li,@function
_ZL37rocblas_syrkx_herkx_restricted_kernelIi19rocblas_complex_numIdELi16ELi32ELi8ELi1ELi0ELb1ELc78ELc76EKS1_S1_EviT_PT9_S3_lS5_S3_lPT10_S3_li: ; @_ZL37rocblas_syrkx_herkx_restricted_kernelIi19rocblas_complex_numIdELi16ELi32ELi8ELi1ELi0ELb1ELc78ELc76EKS1_S1_EviT_PT9_S3_lS5_S3_lPT10_S3_li
; %bb.0:
	s_load_dwordx2 s[10:11], s[4:5], 0x0
	s_load_dwordx4 s[0:3], s[4:5], 0x30
	s_lshl_b32 s9, s6, 5
	s_lshl_b32 s16, s7, 5
	s_mov_b32 s17, 0
	s_waitcnt lgkmcnt(0)
	s_cmp_lt_i32 s11, 1
	s_cbranch_scc1 .LBB401_3
; %bb.1:
	v_lshl_add_u32 v5, v1, 4, v0
	s_load_dword s6, s[4:5], 0x10
	s_load_dword s18, s[4:5], 0x28
	s_load_dwordx2 s[20:21], s[4:5], 0x8
	s_load_dwordx4 s[12:15], s[4:5], 0x18
	v_lshrrev_b32_e32 v6, 3, v5
	v_add_u32_e32 v2, s16, v6
	v_and_b32_e32 v4, 7, v0
	v_ashrrev_i32_e32 v3, 31, v2
	s_waitcnt lgkmcnt(0)
	v_mad_i64_i32 v[2:3], s[22:23], s18, v4, v[2:3]
	v_lshlrev_b32_e32 v4, 4, v4
	v_lshl_or_b32 v4, v6, 7, v4
	v_lshrrev_b32_e32 v7, 5, v5
	v_and_b32_e32 v5, 31, v5
	v_add_u32_e32 v23, 0x1000, v4
	v_mov_b32_e32 v4, 0x1000
	v_lshl_add_u32 v25, v1, 7, v4
	v_add_u32_e32 v4, s9, v5
	v_lshlrev_b32_e32 v8, 4, v5
	v_ashrrev_i32_e32 v5, 31, v4
	v_mad_i64_i32 v[4:5], s[22:23], s6, v7, v[4:5]
	s_mul_i32 s13, s13, s8
	s_mul_hi_u32 s24, s12, s8
	s_add_i32 s13, s24, s13
	s_mul_i32 s12, s12, s8
	s_ashr_i32 s7, s6, 31
	s_ashr_i32 s19, s18, 31
	s_lshl_b64 s[12:13], s[12:13], 4
	v_lshlrev_b64 v[4:5], 4, v[4:5]
	s_add_u32 s12, s20, s12
	s_addc_u32 s13, s21, s13
	v_add_co_u32_e32 v4, vcc, s12, v4
	s_mul_i32 s1, s1, s8
	s_mul_hi_u32 s12, s0, s8
	v_mov_b32_e32 v6, s13
	s_add_i32 s1, s12, s1
	s_mul_i32 s0, s0, s8
	v_addc_co_u32_e32 v5, vcc, v6, v5, vcc
	s_lshl_b64 s[6:7], s[6:7], 7
	s_lshl_b64 s[0:1], s[0:1], 4
	v_add_co_u32_e32 v4, vcc, 8, v4
	v_lshlrev_b64 v[2:3], 4, v[2:3]
	s_add_u32 s0, s14, s0
	v_addc_co_u32_e32 v5, vcc, 0, v5, vcc
	s_addc_u32 s1, s15, s1
	v_mov_b32_e32 v6, s1
	v_add_co_u32_e32 v2, vcc, s0, v2
	v_addc_co_u32_e32 v3, vcc, v6, v3, vcc
	v_add_co_u32_e32 v12, vcc, 8, v2
	v_lshl_or_b32 v22, v7, 9, v8
	v_addc_co_u32_e32 v13, vcc, 0, v3, vcc
	s_lshl_b64 s[0:1], s[18:19], 7
	v_mov_b32_e32 v16, 0
	v_mov_b32_e32 v6, 0
	;; [unrolled: 1-line block ×8, first 2 shown]
	v_lshlrev_b32_e32 v24, 4, v0
	v_mov_b32_e32 v17, 0
	v_mov_b32_e32 v26, s7
	;; [unrolled: 1-line block ×10, first 2 shown]
.LBB401_2:                              ; =>This Inner Loop Header: Depth=1
	global_load_dwordx4 v[28:31], v[4:5], off offset:-8
	v_add_co_u32_e32 v4, vcc, s6, v4
	v_addc_co_u32_e32 v5, vcc, v5, v26, vcc
	s_add_i32 s17, s17, 8
	s_cmp_ge_i32 s17, s11
	s_waitcnt vmcnt(0)
	ds_write_b128 v22, v[28:31]
	global_load_dwordx4 v[28:31], v[12:13], off offset:-8
	v_add_co_u32_e32 v12, vcc, s0, v12
	v_addc_co_u32_e32 v13, vcc, v13, v27, vcc
	s_waitcnt vmcnt(0)
	v_xor_b32_e32 v31, 0x80000000, v31
	ds_write_b128 v23, v[28:31]
	s_waitcnt lgkmcnt(0)
	s_barrier
	ds_read_b128 v[28:31], v25
	ds_read_b128 v[32:35], v25 offset:16
	ds_read_b128 v[36:39], v25 offset:32
	;; [unrolled: 1-line block ×3, first 2 shown]
	ds_read_b128 v[44:47], v24
	s_waitcnt lgkmcnt(0)
	v_mul_f64 v[48:49], v[30:31], v[46:47]
	v_mul_f64 v[50:51], v[28:29], v[46:47]
	v_fma_f64 v[48:49], v[28:29], v[44:45], -v[48:49]
	v_fma_f64 v[50:51], v[30:31], v[44:45], v[50:51]
	v_add_f64 v[10:11], v[10:11], v[48:49]
	v_add_f64 v[20:21], v[50:51], v[20:21]
	ds_read_b128 v[48:51], v24 offset:256
	s_waitcnt lgkmcnt(0)
	v_mul_f64 v[52:53], v[30:31], v[50:51]
	v_fma_f64 v[52:53], v[28:29], v[48:49], -v[52:53]
	v_mul_f64 v[28:29], v[28:29], v[50:51]
	v_add_f64 v[2:3], v[2:3], v[52:53]
	v_fma_f64 v[28:29], v[30:31], v[48:49], v[28:29]
	v_add_f64 v[52:53], v[28:29], v[14:15]
	ds_read_b128 v[28:31], v25 offset:2048
	s_waitcnt lgkmcnt(0)
	v_mul_f64 v[14:15], v[30:31], v[46:47]
	v_mul_f64 v[46:47], v[28:29], v[46:47]
	v_fma_f64 v[14:15], v[28:29], v[44:45], -v[14:15]
	v_fma_f64 v[44:45], v[30:31], v[44:45], v[46:47]
	v_add_f64 v[46:47], v[8:9], v[14:15]
	v_mul_f64 v[8:9], v[30:31], v[50:51]
	v_mul_f64 v[14:15], v[28:29], v[50:51]
	v_add_f64 v[44:45], v[44:45], v[18:19]
	v_fma_f64 v[8:9], v[28:29], v[48:49], -v[8:9]
	v_fma_f64 v[14:15], v[30:31], v[48:49], v[14:15]
	v_add_f64 v[28:29], v[6:7], v[8:9]
	ds_read_b128 v[6:9], v24 offset:512
	v_add_f64 v[30:31], v[14:15], v[16:17]
	s_waitcnt lgkmcnt(0)
	v_mul_f64 v[14:15], v[34:35], v[8:9]
	v_mul_f64 v[16:17], v[32:33], v[8:9]
	v_fma_f64 v[14:15], v[32:33], v[6:7], -v[14:15]
	v_fma_f64 v[16:17], v[34:35], v[6:7], v[16:17]
	v_add_f64 v[10:11], v[10:11], v[14:15]
	v_add_f64 v[48:49], v[16:17], v[20:21]
	ds_read_b128 v[14:17], v24 offset:768
	s_waitcnt lgkmcnt(0)
	v_mul_f64 v[18:19], v[34:35], v[16:17]
	v_mul_f64 v[20:21], v[32:33], v[16:17]
	v_fma_f64 v[18:19], v[32:33], v[14:15], -v[18:19]
	v_fma_f64 v[20:21], v[34:35], v[14:15], v[20:21]
	v_add_f64 v[2:3], v[2:3], v[18:19]
	v_add_f64 v[32:33], v[20:21], v[52:53]
	ds_read_b128 v[18:21], v25 offset:2064
	s_waitcnt lgkmcnt(0)
	v_mul_f64 v[34:35], v[20:21], v[8:9]
	v_mul_f64 v[8:9], v[18:19], v[8:9]
	v_fma_f64 v[34:35], v[18:19], v[6:7], -v[34:35]
	v_fma_f64 v[6:7], v[20:21], v[6:7], v[8:9]
	v_mul_f64 v[8:9], v[18:19], v[16:17]
	v_add_f64 v[34:35], v[46:47], v[34:35]
	v_add_f64 v[44:45], v[6:7], v[44:45]
	v_mul_f64 v[6:7], v[20:21], v[16:17]
	v_fma_f64 v[8:9], v[20:21], v[14:15], v[8:9]
	v_fma_f64 v[6:7], v[18:19], v[14:15], -v[6:7]
	v_add_f64 v[30:31], v[8:9], v[30:31]
	v_add_f64 v[28:29], v[28:29], v[6:7]
	ds_read_b128 v[6:9], v24 offset:1024
	s_waitcnt lgkmcnt(0)
	v_mul_f64 v[14:15], v[38:39], v[8:9]
	v_mul_f64 v[16:17], v[36:37], v[8:9]
	v_fma_f64 v[14:15], v[36:37], v[6:7], -v[14:15]
	v_fma_f64 v[16:17], v[38:39], v[6:7], v[16:17]
	v_add_f64 v[10:11], v[10:11], v[14:15]
	v_add_f64 v[46:47], v[16:17], v[48:49]
	ds_read_b128 v[14:17], v24 offset:1280
	s_waitcnt lgkmcnt(0)
	v_mul_f64 v[18:19], v[38:39], v[16:17]
	v_mul_f64 v[20:21], v[36:37], v[16:17]
	v_fma_f64 v[18:19], v[36:37], v[14:15], -v[18:19]
	v_fma_f64 v[20:21], v[38:39], v[14:15], v[20:21]
	v_add_f64 v[2:3], v[2:3], v[18:19]
	v_add_f64 v[32:33], v[20:21], v[32:33]
	ds_read_b128 v[18:21], v25 offset:2080
	s_waitcnt lgkmcnt(0)
	v_mul_f64 v[36:37], v[20:21], v[8:9]
	v_mul_f64 v[8:9], v[18:19], v[8:9]
	v_fma_f64 v[36:37], v[18:19], v[6:7], -v[36:37]
	v_fma_f64 v[6:7], v[20:21], v[6:7], v[8:9]
	v_mul_f64 v[8:9], v[18:19], v[16:17]
	v_add_f64 v[34:35], v[34:35], v[36:37]
	v_add_f64 v[36:37], v[6:7], v[44:45]
	v_mul_f64 v[6:7], v[20:21], v[16:17]
	v_fma_f64 v[8:9], v[20:21], v[14:15], v[8:9]
	v_fma_f64 v[6:7], v[18:19], v[14:15], -v[6:7]
	v_add_f64 v[30:31], v[8:9], v[30:31]
	v_add_f64 v[28:29], v[28:29], v[6:7]
	ds_read_b128 v[6:9], v24 offset:1536
	;; [unrolled: 30-line block ×3, first 2 shown]
	ds_read_b128 v[14:17], v24 offset:2048
	s_waitcnt lgkmcnt(0)
	v_mul_f64 v[18:19], v[8:9], v[16:17]
	v_mul_f64 v[20:21], v[6:7], v[16:17]
	v_fma_f64 v[18:19], v[6:7], v[14:15], -v[18:19]
	v_fma_f64 v[20:21], v[8:9], v[14:15], v[20:21]
	v_add_f64 v[10:11], v[10:11], v[18:19]
	v_add_f64 v[38:39], v[20:21], v[38:39]
	ds_read_b128 v[18:21], v24 offset:2304
	s_waitcnt lgkmcnt(0)
	v_mul_f64 v[40:41], v[8:9], v[20:21]
	v_fma_f64 v[40:41], v[6:7], v[18:19], -v[40:41]
	v_mul_f64 v[6:7], v[6:7], v[20:21]
	v_add_f64 v[2:3], v[2:3], v[40:41]
	v_fma_f64 v[6:7], v[8:9], v[18:19], v[6:7]
	v_add_f64 v[32:33], v[6:7], v[32:33]
	ds_read_b128 v[6:9], v25 offset:2112
	s_waitcnt lgkmcnt(0)
	v_mul_f64 v[40:41], v[8:9], v[16:17]
	v_mul_f64 v[16:17], v[6:7], v[16:17]
	v_fma_f64 v[40:41], v[6:7], v[14:15], -v[40:41]
	v_fma_f64 v[14:15], v[8:9], v[14:15], v[16:17]
	v_add_f64 v[34:35], v[34:35], v[40:41]
	v_add_f64 v[36:37], v[14:15], v[36:37]
	v_mul_f64 v[14:15], v[8:9], v[20:21]
	v_fma_f64 v[14:15], v[6:7], v[18:19], -v[14:15]
	v_mul_f64 v[6:7], v[6:7], v[20:21]
	v_add_f64 v[28:29], v[28:29], v[14:15]
	v_fma_f64 v[6:7], v[8:9], v[18:19], v[6:7]
	v_add_f64 v[30:31], v[6:7], v[30:31]
	ds_read_b128 v[6:9], v25 offset:80
	ds_read_b128 v[14:17], v24 offset:2560
	s_waitcnt lgkmcnt(0)
	v_mul_f64 v[18:19], v[8:9], v[16:17]
	v_mul_f64 v[20:21], v[6:7], v[16:17]
	v_fma_f64 v[18:19], v[6:7], v[14:15], -v[18:19]
	v_fma_f64 v[20:21], v[8:9], v[14:15], v[20:21]
	v_add_f64 v[10:11], v[10:11], v[18:19]
	v_add_f64 v[38:39], v[20:21], v[38:39]
	ds_read_b128 v[18:21], v24 offset:2816
	s_waitcnt lgkmcnt(0)
	v_mul_f64 v[40:41], v[8:9], v[20:21]
	v_fma_f64 v[40:41], v[6:7], v[18:19], -v[40:41]
	v_mul_f64 v[6:7], v[6:7], v[20:21]
	v_add_f64 v[2:3], v[2:3], v[40:41]
	v_fma_f64 v[6:7], v[8:9], v[18:19], v[6:7]
	v_add_f64 v[32:33], v[6:7], v[32:33]
	ds_read_b128 v[6:9], v25 offset:2128
	s_waitcnt lgkmcnt(0)
	v_mul_f64 v[40:41], v[8:9], v[16:17]
	v_mul_f64 v[16:17], v[6:7], v[16:17]
	v_fma_f64 v[40:41], v[6:7], v[14:15], -v[40:41]
	v_fma_f64 v[14:15], v[8:9], v[14:15], v[16:17]
	v_add_f64 v[34:35], v[34:35], v[40:41]
	v_add_f64 v[36:37], v[14:15], v[36:37]
	v_mul_f64 v[14:15], v[8:9], v[20:21]
	v_fma_f64 v[14:15], v[6:7], v[18:19], -v[14:15]
	v_mul_f64 v[6:7], v[6:7], v[20:21]
	v_add_f64 v[28:29], v[28:29], v[14:15]
	v_fma_f64 v[6:7], v[8:9], v[18:19], v[6:7]
	v_add_f64 v[30:31], v[6:7], v[30:31]
	ds_read_b128 v[6:9], v25 offset:96
	;; [unrolled: 31-line block ×3, first 2 shown]
	ds_read_b128 v[16:19], v24 offset:3584
	ds_read_b128 v[28:31], v24 offset:3840
	s_waitcnt lgkmcnt(1)
	v_mul_f64 v[14:15], v[8:9], v[18:19]
	v_mul_f64 v[20:21], v[6:7], v[18:19]
	v_fma_f64 v[14:15], v[6:7], v[16:17], -v[14:15]
	v_fma_f64 v[20:21], v[8:9], v[16:17], v[20:21]
	v_add_f64 v[10:11], v[10:11], v[14:15]
	s_waitcnt lgkmcnt(0)
	v_mul_f64 v[14:15], v[8:9], v[30:31]
	v_add_f64 v[20:21], v[20:21], v[38:39]
	v_fma_f64 v[14:15], v[6:7], v[28:29], -v[14:15]
	v_mul_f64 v[6:7], v[6:7], v[30:31]
	v_add_f64 v[2:3], v[2:3], v[14:15]
	v_fma_f64 v[6:7], v[8:9], v[28:29], v[6:7]
	v_add_f64 v[14:15], v[6:7], v[32:33]
	ds_read_b128 v[32:35], v25 offset:2160
	s_waitcnt lgkmcnt(0)
	s_barrier
	v_mul_f64 v[6:7], v[34:35], v[18:19]
	v_mul_f64 v[8:9], v[32:33], v[18:19]
	v_fma_f64 v[6:7], v[32:33], v[16:17], -v[6:7]
	v_fma_f64 v[16:17], v[34:35], v[16:17], v[8:9]
	v_add_f64 v[8:9], v[40:41], v[6:7]
	v_add_f64 v[18:19], v[16:17], v[36:37]
	v_mul_f64 v[6:7], v[34:35], v[30:31]
	v_mul_f64 v[16:17], v[32:33], v[30:31]
	v_fma_f64 v[6:7], v[32:33], v[28:29], -v[6:7]
	v_fma_f64 v[16:17], v[34:35], v[28:29], v[16:17]
	v_add_f64 v[6:7], v[42:43], v[6:7]
	v_add_f64 v[16:17], v[16:17], v[44:45]
	s_cbranch_scc0 .LBB401_2
	s_branch .LBB401_4
.LBB401_3:
	v_mov_b32_e32 v10, 0
	v_mov_b32_e32 v20, 0
	;; [unrolled: 1-line block ×16, first 2 shown]
.LBB401_4:
	s_load_dwordx2 s[0:1], s[4:5], 0x48
	s_load_dword s6, s[4:5], 0x40
	v_add_u32_e32 v22, s16, v1
	v_add_u32_e32 v0, s9, v0
	s_waitcnt lgkmcnt(0)
	s_mul_i32 s1, s1, s8
	s_mul_hi_u32 s4, s0, s8
	s_add_i32 s1, s4, s1
	v_mad_i64_i32 v[4:5], s[4:5], v22, s6, 0
	s_mul_i32 s0, s0, s8
	s_lshl_b64 s[0:1], s[0:1], 4
	s_add_u32 s7, s2, s0
	v_lshlrev_b64 v[4:5], 4, v[4:5]
	s_addc_u32 s8, s3, s1
	v_mov_b32_e32 v1, s8
	v_add_co_u32_e32 v4, vcc, s7, v4
	v_addc_co_u32_e32 v5, vcc, v1, v5, vcc
	v_cmp_le_i32_e64 s[0:1], v22, v0
	v_cmp_gt_i32_e32 vcc, s10, v0
	s_and_b64 s[0:1], s[0:1], vcc
	s_and_saveexec_b64 s[2:3], s[0:1]
	s_cbranch_execz .LBB401_6
; %bb.5:
	v_ashrrev_i32_e32 v1, 31, v0
	v_lshlrev_b64 v[12:13], 4, v[0:1]
	v_add_co_u32_e64 v23, s[0:1], v4, v12
	v_addc_co_u32_e64 v24, s[0:1], v5, v13, s[0:1]
	v_cmp_ne_u32_e64 s[0:1], v22, v0
	v_cndmask_b32_e64 v13, 0, v21, s[0:1]
	v_cndmask_b32_e64 v12, 0, v20, s[0:1]
	global_store_dwordx4 v[23:24], v[10:13], off
.LBB401_6:
	s_or_b64 exec, exec, s[2:3]
	v_add_u32_e32 v12, 16, v0
	v_cmp_le_i32_e64 s[2:3], v22, v12
	v_cmp_gt_i32_e64 s[0:1], s10, v12
	s_and_b64 s[2:3], s[2:3], s[0:1]
	s_and_saveexec_b64 s[4:5], s[2:3]
	s_cbranch_execz .LBB401_8
; %bb.7:
	v_ashrrev_i32_e32 v13, 31, v12
	v_lshlrev_b64 v[10:11], 4, v[12:13]
	v_add_co_u32_e64 v10, s[2:3], v4, v10
	v_addc_co_u32_e64 v11, s[2:3], v5, v11, s[2:3]
	v_cmp_ne_u32_e64 s[2:3], v22, v12
	v_cndmask_b32_e64 v5, 0, v15, s[2:3]
	v_cndmask_b32_e64 v4, 0, v14, s[2:3]
	global_store_dwordx4 v[10:11], v[2:5], off
.LBB401_8:
	s_or_b64 exec, exec, s[4:5]
	v_add_u32_e32 v4, 16, v22
	v_mad_i64_i32 v[1:2], s[2:3], v4, s6, 0
	v_mov_b32_e32 v5, s8
	v_lshlrev_b64 v[2:3], 4, v[1:2]
	v_add_co_u32_e64 v2, s[2:3], s7, v2
	v_addc_co_u32_e64 v3, s[2:3], v5, v3, s[2:3]
	v_cmp_le_i32_e64 s[2:3], v4, v0
	s_and_b64 s[4:5], s[2:3], vcc
	s_and_saveexec_b64 s[2:3], s[4:5]
	s_cbranch_execz .LBB401_10
; %bb.9:
	v_ashrrev_i32_e32 v1, 31, v0
	v_lshlrev_b64 v[10:11], 4, v[0:1]
	v_add_co_u32_e32 v13, vcc, v2, v10
	v_addc_co_u32_e32 v14, vcc, v3, v11, vcc
	v_cmp_ne_u32_e32 vcc, v4, v0
	v_cndmask_b32_e32 v11, 0, v19, vcc
	v_cndmask_b32_e32 v10, 0, v18, vcc
	global_store_dwordx4 v[13:14], v[8:11], off
.LBB401_10:
	s_or_b64 exec, exec, s[2:3]
	v_cmp_le_i32_e32 vcc, v4, v12
	s_and_b64 s[0:1], vcc, s[0:1]
	s_and_saveexec_b64 s[2:3], s[0:1]
	s_cbranch_execz .LBB401_12
; %bb.11:
	v_ashrrev_i32_e32 v13, 31, v12
	v_lshlrev_b64 v[4:5], 4, v[12:13]
	v_add_co_u32_e32 v1, vcc, v2, v4
	v_addc_co_u32_e32 v2, vcc, v3, v5, vcc
	v_cmp_ne_u32_e32 vcc, v22, v0
	v_cndmask_b32_e32 v9, 0, v17, vcc
	v_cndmask_b32_e32 v8, 0, v16, vcc
	global_store_dwordx4 v[1:2], v[6:9], off
.LBB401_12:
	s_endpgm
	.section	.rodata,"a",@progbits
	.p2align	6, 0x0
	.amdhsa_kernel _ZL37rocblas_syrkx_herkx_restricted_kernelIi19rocblas_complex_numIdELi16ELi32ELi8ELi1ELi0ELb1ELc78ELc76EKS1_S1_EviT_PT9_S3_lS5_S3_lPT10_S3_li
		.amdhsa_group_segment_fixed_size 8192
		.amdhsa_private_segment_fixed_size 0
		.amdhsa_kernarg_size 84
		.amdhsa_user_sgpr_count 6
		.amdhsa_user_sgpr_private_segment_buffer 1
		.amdhsa_user_sgpr_dispatch_ptr 0
		.amdhsa_user_sgpr_queue_ptr 0
		.amdhsa_user_sgpr_kernarg_segment_ptr 1
		.amdhsa_user_sgpr_dispatch_id 0
		.amdhsa_user_sgpr_flat_scratch_init 0
		.amdhsa_user_sgpr_private_segment_size 0
		.amdhsa_uses_dynamic_stack 0
		.amdhsa_system_sgpr_private_segment_wavefront_offset 0
		.amdhsa_system_sgpr_workgroup_id_x 1
		.amdhsa_system_sgpr_workgroup_id_y 1
		.amdhsa_system_sgpr_workgroup_id_z 1
		.amdhsa_system_sgpr_workgroup_info 0
		.amdhsa_system_vgpr_workitem_id 1
		.amdhsa_next_free_vgpr 54
		.amdhsa_next_free_sgpr 61
		.amdhsa_reserve_vcc 1
		.amdhsa_reserve_flat_scratch 0
		.amdhsa_float_round_mode_32 0
		.amdhsa_float_round_mode_16_64 0
		.amdhsa_float_denorm_mode_32 3
		.amdhsa_float_denorm_mode_16_64 3
		.amdhsa_dx10_clamp 1
		.amdhsa_ieee_mode 1
		.amdhsa_fp16_overflow 0
		.amdhsa_exception_fp_ieee_invalid_op 0
		.amdhsa_exception_fp_denorm_src 0
		.amdhsa_exception_fp_ieee_div_zero 0
		.amdhsa_exception_fp_ieee_overflow 0
		.amdhsa_exception_fp_ieee_underflow 0
		.amdhsa_exception_fp_ieee_inexact 0
		.amdhsa_exception_int_div_zero 0
	.end_amdhsa_kernel
	.section	.text._ZL37rocblas_syrkx_herkx_restricted_kernelIi19rocblas_complex_numIdELi16ELi32ELi8ELi1ELi0ELb1ELc78ELc76EKS1_S1_EviT_PT9_S3_lS5_S3_lPT10_S3_li,"axG",@progbits,_ZL37rocblas_syrkx_herkx_restricted_kernelIi19rocblas_complex_numIdELi16ELi32ELi8ELi1ELi0ELb1ELc78ELc76EKS1_S1_EviT_PT9_S3_lS5_S3_lPT10_S3_li,comdat
.Lfunc_end401:
	.size	_ZL37rocblas_syrkx_herkx_restricted_kernelIi19rocblas_complex_numIdELi16ELi32ELi8ELi1ELi0ELb1ELc78ELc76EKS1_S1_EviT_PT9_S3_lS5_S3_lPT10_S3_li, .Lfunc_end401-_ZL37rocblas_syrkx_herkx_restricted_kernelIi19rocblas_complex_numIdELi16ELi32ELi8ELi1ELi0ELb1ELc78ELc76EKS1_S1_EviT_PT9_S3_lS5_S3_lPT10_S3_li
                                        ; -- End function
	.set _ZL37rocblas_syrkx_herkx_restricted_kernelIi19rocblas_complex_numIdELi16ELi32ELi8ELi1ELi0ELb1ELc78ELc76EKS1_S1_EviT_PT9_S3_lS5_S3_lPT10_S3_li.num_vgpr, 54
	.set _ZL37rocblas_syrkx_herkx_restricted_kernelIi19rocblas_complex_numIdELi16ELi32ELi8ELi1ELi0ELb1ELc78ELc76EKS1_S1_EviT_PT9_S3_lS5_S3_lPT10_S3_li.num_agpr, 0
	.set _ZL37rocblas_syrkx_herkx_restricted_kernelIi19rocblas_complex_numIdELi16ELi32ELi8ELi1ELi0ELb1ELc78ELc76EKS1_S1_EviT_PT9_S3_lS5_S3_lPT10_S3_li.numbered_sgpr, 25
	.set _ZL37rocblas_syrkx_herkx_restricted_kernelIi19rocblas_complex_numIdELi16ELi32ELi8ELi1ELi0ELb1ELc78ELc76EKS1_S1_EviT_PT9_S3_lS5_S3_lPT10_S3_li.num_named_barrier, 0
	.set _ZL37rocblas_syrkx_herkx_restricted_kernelIi19rocblas_complex_numIdELi16ELi32ELi8ELi1ELi0ELb1ELc78ELc76EKS1_S1_EviT_PT9_S3_lS5_S3_lPT10_S3_li.private_seg_size, 0
	.set _ZL37rocblas_syrkx_herkx_restricted_kernelIi19rocblas_complex_numIdELi16ELi32ELi8ELi1ELi0ELb1ELc78ELc76EKS1_S1_EviT_PT9_S3_lS5_S3_lPT10_S3_li.uses_vcc, 1
	.set _ZL37rocblas_syrkx_herkx_restricted_kernelIi19rocblas_complex_numIdELi16ELi32ELi8ELi1ELi0ELb1ELc78ELc76EKS1_S1_EviT_PT9_S3_lS5_S3_lPT10_S3_li.uses_flat_scratch, 0
	.set _ZL37rocblas_syrkx_herkx_restricted_kernelIi19rocblas_complex_numIdELi16ELi32ELi8ELi1ELi0ELb1ELc78ELc76EKS1_S1_EviT_PT9_S3_lS5_S3_lPT10_S3_li.has_dyn_sized_stack, 0
	.set _ZL37rocblas_syrkx_herkx_restricted_kernelIi19rocblas_complex_numIdELi16ELi32ELi8ELi1ELi0ELb1ELc78ELc76EKS1_S1_EviT_PT9_S3_lS5_S3_lPT10_S3_li.has_recursion, 0
	.set _ZL37rocblas_syrkx_herkx_restricted_kernelIi19rocblas_complex_numIdELi16ELi32ELi8ELi1ELi0ELb1ELc78ELc76EKS1_S1_EviT_PT9_S3_lS5_S3_lPT10_S3_li.has_indirect_call, 0
	.section	.AMDGPU.csdata,"",@progbits
; Kernel info:
; codeLenInByte = 2860
; TotalNumSgprs: 29
; NumVgprs: 54
; ScratchSize: 0
; MemoryBound: 0
; FloatMode: 240
; IeeeMode: 1
; LDSByteSize: 8192 bytes/workgroup (compile time only)
; SGPRBlocks: 8
; VGPRBlocks: 13
; NumSGPRsForWavesPerEU: 65
; NumVGPRsForWavesPerEU: 54
; Occupancy: 4
; WaveLimiterHint : 0
; COMPUTE_PGM_RSRC2:SCRATCH_EN: 0
; COMPUTE_PGM_RSRC2:USER_SGPR: 6
; COMPUTE_PGM_RSRC2:TRAP_HANDLER: 0
; COMPUTE_PGM_RSRC2:TGID_X_EN: 1
; COMPUTE_PGM_RSRC2:TGID_Y_EN: 1
; COMPUTE_PGM_RSRC2:TGID_Z_EN: 1
; COMPUTE_PGM_RSRC2:TIDIG_COMP_CNT: 1
	.section	.text._ZL37rocblas_syrkx_herkx_restricted_kernelIi19rocblas_complex_numIdELi16ELi32ELi8ELi1ELi0ELb1ELc84ELc85EKS1_S1_EviT_PT9_S3_lS5_S3_lPT10_S3_li,"axG",@progbits,_ZL37rocblas_syrkx_herkx_restricted_kernelIi19rocblas_complex_numIdELi16ELi32ELi8ELi1ELi0ELb1ELc84ELc85EKS1_S1_EviT_PT9_S3_lS5_S3_lPT10_S3_li,comdat
	.globl	_ZL37rocblas_syrkx_herkx_restricted_kernelIi19rocblas_complex_numIdELi16ELi32ELi8ELi1ELi0ELb1ELc84ELc85EKS1_S1_EviT_PT9_S3_lS5_S3_lPT10_S3_li ; -- Begin function _ZL37rocblas_syrkx_herkx_restricted_kernelIi19rocblas_complex_numIdELi16ELi32ELi8ELi1ELi0ELb1ELc84ELc85EKS1_S1_EviT_PT9_S3_lS5_S3_lPT10_S3_li
	.p2align	8
	.type	_ZL37rocblas_syrkx_herkx_restricted_kernelIi19rocblas_complex_numIdELi16ELi32ELi8ELi1ELi0ELb1ELc84ELc85EKS1_S1_EviT_PT9_S3_lS5_S3_lPT10_S3_li,@function
_ZL37rocblas_syrkx_herkx_restricted_kernelIi19rocblas_complex_numIdELi16ELi32ELi8ELi1ELi0ELb1ELc84ELc85EKS1_S1_EviT_PT9_S3_lS5_S3_lPT10_S3_li: ; @_ZL37rocblas_syrkx_herkx_restricted_kernelIi19rocblas_complex_numIdELi16ELi32ELi8ELi1ELi0ELb1ELc84ELc85EKS1_S1_EviT_PT9_S3_lS5_S3_lPT10_S3_li
; %bb.0:
	s_load_dwordx2 s[10:11], s[4:5], 0x0
	s_load_dwordx4 s[0:3], s[4:5], 0x30
	s_lshl_b32 s6, s6, 5
	s_lshl_b32 s7, s7, 5
	s_mov_b32 s9, 0
	s_waitcnt lgkmcnt(0)
	s_cmp_lt_i32 s11, 1
	s_cbranch_scc1 .LBB402_3
; %bb.1:
	s_load_dwordx2 s[16:17], s[4:5], 0x8
	s_load_dword s20, s[4:5], 0x10
	s_load_dwordx4 s[12:15], s[4:5], 0x18
	s_load_dword s18, s[4:5], 0x28
	v_lshl_add_u32 v4, v1, 4, v0
	v_lshrrev_b32_e32 v8, 3, v4
	v_add_u32_e32 v5, s7, v8
	v_and_b32_e32 v2, 7, v0
	v_mov_b32_e32 v3, 0
	s_waitcnt lgkmcnt(0)
	v_mad_i64_i32 v[6:7], s[18:19], s18, v5, v[2:3]
	v_lshlrev_b32_e32 v2, 4, v2
	v_lshl_or_b32 v2, v8, 7, v2
	v_and_b32_e32 v9, 31, v4
	v_add_u32_e32 v23, 0x1000, v2
	v_mov_b32_e32 v2, 0x1000
	v_lshrrev_b32_e32 v4, 5, v4
	v_mov_b32_e32 v5, v3
	v_lshlrev_b32_e32 v3, 4, v9
	v_lshl_add_u32 v25, v1, 7, v2
	v_add_u32_e32 v2, s6, v9
	v_lshl_or_b32 v22, v4, 9, v3
	v_mad_i64_i32 v[2:3], s[18:19], s20, v2, v[4:5]
	s_mul_i32 s13, s13, s8
	s_mul_hi_u32 s21, s12, s8
	s_add_i32 s13, s21, s13
	s_mul_i32 s12, s12, s8
	s_lshl_b64 s[12:13], s[12:13], 4
	v_lshlrev_b64 v[2:3], 4, v[2:3]
	s_add_u32 s12, s16, s12
	s_addc_u32 s13, s17, s13
	v_mov_b32_e32 v4, s13
	v_add_co_u32_e32 v2, vcc, s12, v2
	s_mul_i32 s1, s1, s8
	s_mul_hi_u32 s12, s0, s8
	v_addc_co_u32_e32 v3, vcc, v4, v3, vcc
	s_add_i32 s1, s12, s1
	s_mul_i32 s0, s0, s8
	v_add_co_u32_e32 v4, vcc, 8, v2
	s_lshl_b64 s[0:1], s[0:1], 4
	v_addc_co_u32_e32 v5, vcc, 0, v3, vcc
	v_lshlrev_b64 v[2:3], 4, v[6:7]
	s_add_u32 s0, s14, s0
	s_addc_u32 s1, s15, s1
	v_mov_b32_e32 v6, s1
	v_add_co_u32_e32 v12, vcc, s0, v2
	v_addc_co_u32_e32 v13, vcc, v6, v3, vcc
	v_mov_b32_e32 v16, 0
	v_mov_b32_e32 v6, 0
	;; [unrolled: 1-line block ×8, first 2 shown]
	v_add_co_u32_e32 v12, vcc, 8, v12
	v_lshlrev_b32_e32 v24, 4, v0
	v_mov_b32_e32 v17, 0
	v_mov_b32_e32 v7, 0
	;; [unrolled: 1-line block ×8, first 2 shown]
	v_addc_co_u32_e32 v13, vcc, 0, v13, vcc
.LBB402_2:                              ; =>This Inner Loop Header: Depth=1
	global_load_dwordx4 v[26:29], v[4:5], off offset:-8
	v_add_co_u32_e32 v4, vcc, 0x80, v4
	v_addc_co_u32_e32 v5, vcc, 0, v5, vcc
	s_add_i32 s9, s9, 8
	s_cmp_ge_i32 s9, s11
	s_waitcnt vmcnt(0)
	ds_write_b128 v22, v[26:29]
	global_load_dwordx4 v[26:29], v[12:13], off offset:-8
	v_add_co_u32_e32 v12, vcc, 0x80, v12
	v_addc_co_u32_e32 v13, vcc, 0, v13, vcc
	s_waitcnt vmcnt(0)
	ds_write_b128 v23, v[26:29]
	s_waitcnt lgkmcnt(0)
	s_barrier
	ds_read_b128 v[26:29], v25
	ds_read_b128 v[30:33], v25 offset:16
	ds_read_b128 v[34:37], v25 offset:32
	ds_read_b128 v[38:41], v25 offset:48
	ds_read_b128 v[42:45], v24
	s_waitcnt lgkmcnt(0)
	v_mul_f64 v[46:47], v[28:29], v[44:45]
	v_mul_f64 v[48:49], v[26:27], v[44:45]
	v_fma_f64 v[46:47], v[26:27], v[42:43], -v[46:47]
	v_fma_f64 v[48:49], v[28:29], v[42:43], v[48:49]
	v_add_f64 v[10:11], v[10:11], v[46:47]
	v_add_f64 v[20:21], v[48:49], v[20:21]
	ds_read_b128 v[46:49], v24 offset:256
	s_waitcnt lgkmcnt(0)
	v_mul_f64 v[50:51], v[28:29], v[48:49]
	v_fma_f64 v[50:51], v[26:27], v[46:47], -v[50:51]
	v_mul_f64 v[26:27], v[26:27], v[48:49]
	v_add_f64 v[2:3], v[2:3], v[50:51]
	v_fma_f64 v[26:27], v[28:29], v[46:47], v[26:27]
	v_add_f64 v[50:51], v[26:27], v[14:15]
	ds_read_b128 v[26:29], v25 offset:2048
	s_waitcnt lgkmcnt(0)
	v_mul_f64 v[14:15], v[28:29], v[44:45]
	v_mul_f64 v[44:45], v[26:27], v[44:45]
	v_fma_f64 v[14:15], v[26:27], v[42:43], -v[14:15]
	v_fma_f64 v[42:43], v[28:29], v[42:43], v[44:45]
	v_add_f64 v[44:45], v[8:9], v[14:15]
	v_mul_f64 v[8:9], v[28:29], v[48:49]
	v_mul_f64 v[14:15], v[26:27], v[48:49]
	v_add_f64 v[42:43], v[42:43], v[18:19]
	v_fma_f64 v[8:9], v[26:27], v[46:47], -v[8:9]
	v_fma_f64 v[14:15], v[28:29], v[46:47], v[14:15]
	v_add_f64 v[26:27], v[6:7], v[8:9]
	ds_read_b128 v[6:9], v24 offset:512
	v_add_f64 v[28:29], v[14:15], v[16:17]
	s_waitcnt lgkmcnt(0)
	v_mul_f64 v[14:15], v[32:33], v[8:9]
	v_mul_f64 v[16:17], v[30:31], v[8:9]
	v_fma_f64 v[14:15], v[30:31], v[6:7], -v[14:15]
	v_fma_f64 v[16:17], v[32:33], v[6:7], v[16:17]
	v_add_f64 v[10:11], v[10:11], v[14:15]
	v_add_f64 v[46:47], v[16:17], v[20:21]
	ds_read_b128 v[14:17], v24 offset:768
	s_waitcnt lgkmcnt(0)
	v_mul_f64 v[18:19], v[32:33], v[16:17]
	v_mul_f64 v[20:21], v[30:31], v[16:17]
	v_fma_f64 v[18:19], v[30:31], v[14:15], -v[18:19]
	v_fma_f64 v[20:21], v[32:33], v[14:15], v[20:21]
	v_add_f64 v[2:3], v[2:3], v[18:19]
	v_add_f64 v[30:31], v[20:21], v[50:51]
	ds_read_b128 v[18:21], v25 offset:2064
	s_waitcnt lgkmcnt(0)
	v_mul_f64 v[32:33], v[20:21], v[8:9]
	v_mul_f64 v[8:9], v[18:19], v[8:9]
	v_fma_f64 v[32:33], v[18:19], v[6:7], -v[32:33]
	v_fma_f64 v[6:7], v[20:21], v[6:7], v[8:9]
	v_mul_f64 v[8:9], v[18:19], v[16:17]
	v_add_f64 v[32:33], v[44:45], v[32:33]
	v_add_f64 v[42:43], v[6:7], v[42:43]
	v_mul_f64 v[6:7], v[20:21], v[16:17]
	v_fma_f64 v[8:9], v[20:21], v[14:15], v[8:9]
	v_fma_f64 v[6:7], v[18:19], v[14:15], -v[6:7]
	v_add_f64 v[28:29], v[8:9], v[28:29]
	v_add_f64 v[26:27], v[26:27], v[6:7]
	ds_read_b128 v[6:9], v24 offset:1024
	s_waitcnt lgkmcnt(0)
	v_mul_f64 v[14:15], v[36:37], v[8:9]
	v_mul_f64 v[16:17], v[34:35], v[8:9]
	v_fma_f64 v[14:15], v[34:35], v[6:7], -v[14:15]
	v_fma_f64 v[16:17], v[36:37], v[6:7], v[16:17]
	v_add_f64 v[10:11], v[10:11], v[14:15]
	v_add_f64 v[44:45], v[16:17], v[46:47]
	ds_read_b128 v[14:17], v24 offset:1280
	s_waitcnt lgkmcnt(0)
	v_mul_f64 v[18:19], v[36:37], v[16:17]
	v_mul_f64 v[20:21], v[34:35], v[16:17]
	v_fma_f64 v[18:19], v[34:35], v[14:15], -v[18:19]
	v_fma_f64 v[20:21], v[36:37], v[14:15], v[20:21]
	v_add_f64 v[2:3], v[2:3], v[18:19]
	v_add_f64 v[30:31], v[20:21], v[30:31]
	ds_read_b128 v[18:21], v25 offset:2080
	s_waitcnt lgkmcnt(0)
	v_mul_f64 v[34:35], v[20:21], v[8:9]
	v_mul_f64 v[8:9], v[18:19], v[8:9]
	v_fma_f64 v[34:35], v[18:19], v[6:7], -v[34:35]
	v_fma_f64 v[6:7], v[20:21], v[6:7], v[8:9]
	v_mul_f64 v[8:9], v[18:19], v[16:17]
	v_add_f64 v[32:33], v[32:33], v[34:35]
	v_add_f64 v[34:35], v[6:7], v[42:43]
	v_mul_f64 v[6:7], v[20:21], v[16:17]
	v_fma_f64 v[8:9], v[20:21], v[14:15], v[8:9]
	v_fma_f64 v[6:7], v[18:19], v[14:15], -v[6:7]
	v_add_f64 v[28:29], v[8:9], v[28:29]
	v_add_f64 v[26:27], v[26:27], v[6:7]
	ds_read_b128 v[6:9], v24 offset:1536
	;; [unrolled: 30-line block ×3, first 2 shown]
	ds_read_b128 v[14:17], v24 offset:2048
	s_waitcnt lgkmcnt(0)
	v_mul_f64 v[18:19], v[8:9], v[16:17]
	v_mul_f64 v[20:21], v[6:7], v[16:17]
	v_fma_f64 v[18:19], v[6:7], v[14:15], -v[18:19]
	v_fma_f64 v[20:21], v[8:9], v[14:15], v[20:21]
	v_add_f64 v[10:11], v[10:11], v[18:19]
	v_add_f64 v[36:37], v[20:21], v[36:37]
	ds_read_b128 v[18:21], v24 offset:2304
	s_waitcnt lgkmcnt(0)
	v_mul_f64 v[38:39], v[8:9], v[20:21]
	v_fma_f64 v[38:39], v[6:7], v[18:19], -v[38:39]
	v_mul_f64 v[6:7], v[6:7], v[20:21]
	v_add_f64 v[2:3], v[2:3], v[38:39]
	v_fma_f64 v[6:7], v[8:9], v[18:19], v[6:7]
	v_add_f64 v[30:31], v[6:7], v[30:31]
	ds_read_b128 v[6:9], v25 offset:2112
	s_waitcnt lgkmcnt(0)
	v_mul_f64 v[38:39], v[8:9], v[16:17]
	v_mul_f64 v[16:17], v[6:7], v[16:17]
	v_fma_f64 v[38:39], v[6:7], v[14:15], -v[38:39]
	v_fma_f64 v[14:15], v[8:9], v[14:15], v[16:17]
	v_add_f64 v[32:33], v[32:33], v[38:39]
	v_add_f64 v[34:35], v[14:15], v[34:35]
	v_mul_f64 v[14:15], v[8:9], v[20:21]
	v_fma_f64 v[14:15], v[6:7], v[18:19], -v[14:15]
	v_mul_f64 v[6:7], v[6:7], v[20:21]
	v_add_f64 v[26:27], v[26:27], v[14:15]
	v_fma_f64 v[6:7], v[8:9], v[18:19], v[6:7]
	v_add_f64 v[28:29], v[6:7], v[28:29]
	ds_read_b128 v[6:9], v25 offset:80
	ds_read_b128 v[14:17], v24 offset:2560
	s_waitcnt lgkmcnt(0)
	v_mul_f64 v[18:19], v[8:9], v[16:17]
	v_mul_f64 v[20:21], v[6:7], v[16:17]
	v_fma_f64 v[18:19], v[6:7], v[14:15], -v[18:19]
	v_fma_f64 v[20:21], v[8:9], v[14:15], v[20:21]
	v_add_f64 v[10:11], v[10:11], v[18:19]
	v_add_f64 v[36:37], v[20:21], v[36:37]
	ds_read_b128 v[18:21], v24 offset:2816
	s_waitcnt lgkmcnt(0)
	v_mul_f64 v[38:39], v[8:9], v[20:21]
	v_fma_f64 v[38:39], v[6:7], v[18:19], -v[38:39]
	v_mul_f64 v[6:7], v[6:7], v[20:21]
	v_add_f64 v[2:3], v[2:3], v[38:39]
	v_fma_f64 v[6:7], v[8:9], v[18:19], v[6:7]
	v_add_f64 v[30:31], v[6:7], v[30:31]
	ds_read_b128 v[6:9], v25 offset:2128
	s_waitcnt lgkmcnt(0)
	v_mul_f64 v[38:39], v[8:9], v[16:17]
	v_mul_f64 v[16:17], v[6:7], v[16:17]
	v_fma_f64 v[38:39], v[6:7], v[14:15], -v[38:39]
	v_fma_f64 v[14:15], v[8:9], v[14:15], v[16:17]
	v_add_f64 v[32:33], v[32:33], v[38:39]
	v_add_f64 v[34:35], v[14:15], v[34:35]
	v_mul_f64 v[14:15], v[8:9], v[20:21]
	v_fma_f64 v[14:15], v[6:7], v[18:19], -v[14:15]
	v_mul_f64 v[6:7], v[6:7], v[20:21]
	v_add_f64 v[26:27], v[26:27], v[14:15]
	v_fma_f64 v[6:7], v[8:9], v[18:19], v[6:7]
	v_add_f64 v[28:29], v[6:7], v[28:29]
	ds_read_b128 v[6:9], v25 offset:96
	;; [unrolled: 31-line block ×3, first 2 shown]
	ds_read_b128 v[16:19], v24 offset:3584
	ds_read_b128 v[26:29], v24 offset:3840
	s_waitcnt lgkmcnt(1)
	v_mul_f64 v[14:15], v[8:9], v[18:19]
	v_mul_f64 v[20:21], v[6:7], v[18:19]
	v_fma_f64 v[14:15], v[6:7], v[16:17], -v[14:15]
	v_fma_f64 v[20:21], v[8:9], v[16:17], v[20:21]
	v_add_f64 v[10:11], v[10:11], v[14:15]
	s_waitcnt lgkmcnt(0)
	v_mul_f64 v[14:15], v[8:9], v[28:29]
	v_add_f64 v[20:21], v[20:21], v[36:37]
	v_fma_f64 v[14:15], v[6:7], v[26:27], -v[14:15]
	v_mul_f64 v[6:7], v[6:7], v[28:29]
	v_add_f64 v[2:3], v[2:3], v[14:15]
	v_fma_f64 v[6:7], v[8:9], v[26:27], v[6:7]
	v_add_f64 v[14:15], v[6:7], v[30:31]
	ds_read_b128 v[30:33], v25 offset:2160
	s_waitcnt lgkmcnt(0)
	s_barrier
	v_mul_f64 v[6:7], v[32:33], v[18:19]
	v_mul_f64 v[8:9], v[30:31], v[18:19]
	v_fma_f64 v[6:7], v[30:31], v[16:17], -v[6:7]
	v_fma_f64 v[16:17], v[32:33], v[16:17], v[8:9]
	v_add_f64 v[8:9], v[38:39], v[6:7]
	v_add_f64 v[18:19], v[16:17], v[34:35]
	v_mul_f64 v[6:7], v[32:33], v[28:29]
	v_mul_f64 v[16:17], v[30:31], v[28:29]
	v_fma_f64 v[6:7], v[30:31], v[26:27], -v[6:7]
	v_fma_f64 v[16:17], v[32:33], v[26:27], v[16:17]
	v_add_f64 v[6:7], v[40:41], v[6:7]
	v_add_f64 v[16:17], v[16:17], v[42:43]
	s_cbranch_scc0 .LBB402_2
	s_branch .LBB402_4
.LBB402_3:
	v_mov_b32_e32 v10, 0
	v_mov_b32_e32 v20, 0
	;; [unrolled: 1-line block ×16, first 2 shown]
.LBB402_4:
	s_load_dwordx2 s[0:1], s[4:5], 0x48
	s_load_dword s9, s[4:5], 0x40
	v_add_u32_e32 v22, s7, v1
	v_add_u32_e32 v0, s6, v0
	v_cmp_gt_i32_e32 vcc, s10, v22
	s_waitcnt lgkmcnt(0)
	s_mul_i32 s1, s1, s8
	v_mad_i64_i32 v[4:5], s[12:13], v22, s9, 0
	s_mul_hi_u32 s4, s0, s8
	s_mul_i32 s0, s0, s8
	s_add_i32 s1, s4, s1
	s_lshl_b64 s[0:1], s[0:1], 4
	s_add_u32 s4, s2, s0
	v_lshlrev_b64 v[4:5], 4, v[4:5]
	s_addc_u32 s5, s3, s1
	v_mov_b32_e32 v1, s5
	v_add_co_u32_e64 v4, s[0:1], s4, v4
	v_addc_co_u32_e64 v5, s[0:1], v1, v5, s[0:1]
	v_cmp_le_i32_e64 s[0:1], v0, v22
	s_and_b64 s[0:1], vcc, s[0:1]
	s_and_saveexec_b64 s[2:3], s[0:1]
	s_cbranch_execz .LBB402_6
; %bb.5:
	v_ashrrev_i32_e32 v1, 31, v0
	v_lshlrev_b64 v[12:13], 4, v[0:1]
	v_add_co_u32_e64 v23, s[0:1], v4, v12
	v_addc_co_u32_e64 v24, s[0:1], v5, v13, s[0:1]
	v_cmp_ne_u32_e64 s[0:1], v22, v0
	v_cndmask_b32_e64 v13, 0, v21, s[0:1]
	v_cndmask_b32_e64 v12, 0, v20, s[0:1]
	global_store_dwordx4 v[23:24], v[10:13], off
.LBB402_6:
	s_or_b64 exec, exec, s[2:3]
	v_add_u32_e32 v12, 16, v0
	v_cmp_le_i32_e64 s[0:1], v12, v22
	s_and_b64 s[2:3], vcc, s[0:1]
	s_and_saveexec_b64 s[0:1], s[2:3]
	s_cbranch_execz .LBB402_8
; %bb.7:
	v_ashrrev_i32_e32 v13, 31, v12
	v_lshlrev_b64 v[10:11], 4, v[12:13]
	v_add_co_u32_e32 v10, vcc, v4, v10
	v_addc_co_u32_e32 v11, vcc, v5, v11, vcc
	v_cmp_ne_u32_e32 vcc, v22, v12
	v_cndmask_b32_e32 v5, 0, v15, vcc
	v_cndmask_b32_e32 v4, 0, v14, vcc
	global_store_dwordx4 v[10:11], v[2:5], off
.LBB402_8:
	s_or_b64 exec, exec, s[0:1]
	v_add_u32_e32 v4, 16, v22
	v_mad_i64_i32 v[1:2], s[0:1], v4, s9, 0
	v_mov_b32_e32 v5, s5
	v_cmp_gt_i32_e32 vcc, s10, v4
	v_lshlrev_b64 v[2:3], 4, v[1:2]
	v_add_co_u32_e64 v2, s[0:1], s4, v2
	v_addc_co_u32_e64 v3, s[0:1], v5, v3, s[0:1]
	v_cmp_le_i32_e64 s[0:1], v0, v4
	s_and_b64 s[0:1], vcc, s[0:1]
	s_and_saveexec_b64 s[2:3], s[0:1]
	s_cbranch_execz .LBB402_10
; %bb.9:
	v_ashrrev_i32_e32 v1, 31, v0
	v_lshlrev_b64 v[10:11], 4, v[0:1]
	v_add_co_u32_e64 v13, s[0:1], v2, v10
	v_addc_co_u32_e64 v14, s[0:1], v3, v11, s[0:1]
	v_cmp_ne_u32_e64 s[0:1], v4, v0
	v_cndmask_b32_e64 v11, 0, v19, s[0:1]
	v_cndmask_b32_e64 v10, 0, v18, s[0:1]
	global_store_dwordx4 v[13:14], v[8:11], off
.LBB402_10:
	s_or_b64 exec, exec, s[2:3]
	v_cmp_le_i32_e64 s[0:1], v12, v4
	s_and_b64 s[0:1], vcc, s[0:1]
	s_and_saveexec_b64 s[2:3], s[0:1]
	s_cbranch_execz .LBB402_12
; %bb.11:
	v_ashrrev_i32_e32 v13, 31, v12
	v_lshlrev_b64 v[4:5], 4, v[12:13]
	v_add_co_u32_e32 v1, vcc, v2, v4
	v_addc_co_u32_e32 v2, vcc, v3, v5, vcc
	v_cmp_ne_u32_e32 vcc, v22, v0
	v_cndmask_b32_e32 v9, 0, v17, vcc
	v_cndmask_b32_e32 v8, 0, v16, vcc
	global_store_dwordx4 v[1:2], v[6:9], off
.LBB402_12:
	s_endpgm
	.section	.rodata,"a",@progbits
	.p2align	6, 0x0
	.amdhsa_kernel _ZL37rocblas_syrkx_herkx_restricted_kernelIi19rocblas_complex_numIdELi16ELi32ELi8ELi1ELi0ELb1ELc84ELc85EKS1_S1_EviT_PT9_S3_lS5_S3_lPT10_S3_li
		.amdhsa_group_segment_fixed_size 8192
		.amdhsa_private_segment_fixed_size 0
		.amdhsa_kernarg_size 84
		.amdhsa_user_sgpr_count 6
		.amdhsa_user_sgpr_private_segment_buffer 1
		.amdhsa_user_sgpr_dispatch_ptr 0
		.amdhsa_user_sgpr_queue_ptr 0
		.amdhsa_user_sgpr_kernarg_segment_ptr 1
		.amdhsa_user_sgpr_dispatch_id 0
		.amdhsa_user_sgpr_flat_scratch_init 0
		.amdhsa_user_sgpr_private_segment_size 0
		.amdhsa_uses_dynamic_stack 0
		.amdhsa_system_sgpr_private_segment_wavefront_offset 0
		.amdhsa_system_sgpr_workgroup_id_x 1
		.amdhsa_system_sgpr_workgroup_id_y 1
		.amdhsa_system_sgpr_workgroup_id_z 1
		.amdhsa_system_sgpr_workgroup_info 0
		.amdhsa_system_vgpr_workitem_id 1
		.amdhsa_next_free_vgpr 52
		.amdhsa_next_free_sgpr 61
		.amdhsa_reserve_vcc 1
		.amdhsa_reserve_flat_scratch 0
		.amdhsa_float_round_mode_32 0
		.amdhsa_float_round_mode_16_64 0
		.amdhsa_float_denorm_mode_32 3
		.amdhsa_float_denorm_mode_16_64 3
		.amdhsa_dx10_clamp 1
		.amdhsa_ieee_mode 1
		.amdhsa_fp16_overflow 0
		.amdhsa_exception_fp_ieee_invalid_op 0
		.amdhsa_exception_fp_denorm_src 0
		.amdhsa_exception_fp_ieee_div_zero 0
		.amdhsa_exception_fp_ieee_overflow 0
		.amdhsa_exception_fp_ieee_underflow 0
		.amdhsa_exception_fp_ieee_inexact 0
		.amdhsa_exception_int_div_zero 0
	.end_amdhsa_kernel
	.section	.text._ZL37rocblas_syrkx_herkx_restricted_kernelIi19rocblas_complex_numIdELi16ELi32ELi8ELi1ELi0ELb1ELc84ELc85EKS1_S1_EviT_PT9_S3_lS5_S3_lPT10_S3_li,"axG",@progbits,_ZL37rocblas_syrkx_herkx_restricted_kernelIi19rocblas_complex_numIdELi16ELi32ELi8ELi1ELi0ELb1ELc84ELc85EKS1_S1_EviT_PT9_S3_lS5_S3_lPT10_S3_li,comdat
.Lfunc_end402:
	.size	_ZL37rocblas_syrkx_herkx_restricted_kernelIi19rocblas_complex_numIdELi16ELi32ELi8ELi1ELi0ELb1ELc84ELc85EKS1_S1_EviT_PT9_S3_lS5_S3_lPT10_S3_li, .Lfunc_end402-_ZL37rocblas_syrkx_herkx_restricted_kernelIi19rocblas_complex_numIdELi16ELi32ELi8ELi1ELi0ELb1ELc84ELc85EKS1_S1_EviT_PT9_S3_lS5_S3_lPT10_S3_li
                                        ; -- End function
	.set _ZL37rocblas_syrkx_herkx_restricted_kernelIi19rocblas_complex_numIdELi16ELi32ELi8ELi1ELi0ELb1ELc84ELc85EKS1_S1_EviT_PT9_S3_lS5_S3_lPT10_S3_li.num_vgpr, 52
	.set _ZL37rocblas_syrkx_herkx_restricted_kernelIi19rocblas_complex_numIdELi16ELi32ELi8ELi1ELi0ELb1ELc84ELc85EKS1_S1_EviT_PT9_S3_lS5_S3_lPT10_S3_li.num_agpr, 0
	.set _ZL37rocblas_syrkx_herkx_restricted_kernelIi19rocblas_complex_numIdELi16ELi32ELi8ELi1ELi0ELb1ELc84ELc85EKS1_S1_EviT_PT9_S3_lS5_S3_lPT10_S3_li.numbered_sgpr, 22
	.set _ZL37rocblas_syrkx_herkx_restricted_kernelIi19rocblas_complex_numIdELi16ELi32ELi8ELi1ELi0ELb1ELc84ELc85EKS1_S1_EviT_PT9_S3_lS5_S3_lPT10_S3_li.num_named_barrier, 0
	.set _ZL37rocblas_syrkx_herkx_restricted_kernelIi19rocblas_complex_numIdELi16ELi32ELi8ELi1ELi0ELb1ELc84ELc85EKS1_S1_EviT_PT9_S3_lS5_S3_lPT10_S3_li.private_seg_size, 0
	.set _ZL37rocblas_syrkx_herkx_restricted_kernelIi19rocblas_complex_numIdELi16ELi32ELi8ELi1ELi0ELb1ELc84ELc85EKS1_S1_EviT_PT9_S3_lS5_S3_lPT10_S3_li.uses_vcc, 1
	.set _ZL37rocblas_syrkx_herkx_restricted_kernelIi19rocblas_complex_numIdELi16ELi32ELi8ELi1ELi0ELb1ELc84ELc85EKS1_S1_EviT_PT9_S3_lS5_S3_lPT10_S3_li.uses_flat_scratch, 0
	.set _ZL37rocblas_syrkx_herkx_restricted_kernelIi19rocblas_complex_numIdELi16ELi32ELi8ELi1ELi0ELb1ELc84ELc85EKS1_S1_EviT_PT9_S3_lS5_S3_lPT10_S3_li.has_dyn_sized_stack, 0
	.set _ZL37rocblas_syrkx_herkx_restricted_kernelIi19rocblas_complex_numIdELi16ELi32ELi8ELi1ELi0ELb1ELc84ELc85EKS1_S1_EviT_PT9_S3_lS5_S3_lPT10_S3_li.has_recursion, 0
	.set _ZL37rocblas_syrkx_herkx_restricted_kernelIi19rocblas_complex_numIdELi16ELi32ELi8ELi1ELi0ELb1ELc84ELc85EKS1_S1_EviT_PT9_S3_lS5_S3_lPT10_S3_li.has_indirect_call, 0
	.section	.AMDGPU.csdata,"",@progbits
; Kernel info:
; codeLenInByte = 2844
; TotalNumSgprs: 26
; NumVgprs: 52
; ScratchSize: 0
; MemoryBound: 0
; FloatMode: 240
; IeeeMode: 1
; LDSByteSize: 8192 bytes/workgroup (compile time only)
; SGPRBlocks: 8
; VGPRBlocks: 12
; NumSGPRsForWavesPerEU: 65
; NumVGPRsForWavesPerEU: 52
; Occupancy: 4
; WaveLimiterHint : 0
; COMPUTE_PGM_RSRC2:SCRATCH_EN: 0
; COMPUTE_PGM_RSRC2:USER_SGPR: 6
; COMPUTE_PGM_RSRC2:TRAP_HANDLER: 0
; COMPUTE_PGM_RSRC2:TGID_X_EN: 1
; COMPUTE_PGM_RSRC2:TGID_Y_EN: 1
; COMPUTE_PGM_RSRC2:TGID_Z_EN: 1
; COMPUTE_PGM_RSRC2:TIDIG_COMP_CNT: 1
	.section	.text._ZL37rocblas_syrkx_herkx_restricted_kernelIi19rocblas_complex_numIdELi16ELi32ELi8ELi1ELi0ELb1ELc67ELc85EKS1_S1_EviT_PT9_S3_lS5_S3_lPT10_S3_li,"axG",@progbits,_ZL37rocblas_syrkx_herkx_restricted_kernelIi19rocblas_complex_numIdELi16ELi32ELi8ELi1ELi0ELb1ELc67ELc85EKS1_S1_EviT_PT9_S3_lS5_S3_lPT10_S3_li,comdat
	.globl	_ZL37rocblas_syrkx_herkx_restricted_kernelIi19rocblas_complex_numIdELi16ELi32ELi8ELi1ELi0ELb1ELc67ELc85EKS1_S1_EviT_PT9_S3_lS5_S3_lPT10_S3_li ; -- Begin function _ZL37rocblas_syrkx_herkx_restricted_kernelIi19rocblas_complex_numIdELi16ELi32ELi8ELi1ELi0ELb1ELc67ELc85EKS1_S1_EviT_PT9_S3_lS5_S3_lPT10_S3_li
	.p2align	8
	.type	_ZL37rocblas_syrkx_herkx_restricted_kernelIi19rocblas_complex_numIdELi16ELi32ELi8ELi1ELi0ELb1ELc67ELc85EKS1_S1_EviT_PT9_S3_lS5_S3_lPT10_S3_li,@function
_ZL37rocblas_syrkx_herkx_restricted_kernelIi19rocblas_complex_numIdELi16ELi32ELi8ELi1ELi0ELb1ELc67ELc85EKS1_S1_EviT_PT9_S3_lS5_S3_lPT10_S3_li: ; @_ZL37rocblas_syrkx_herkx_restricted_kernelIi19rocblas_complex_numIdELi16ELi32ELi8ELi1ELi0ELb1ELc67ELc85EKS1_S1_EviT_PT9_S3_lS5_S3_lPT10_S3_li
; %bb.0:
	s_load_dwordx2 s[10:11], s[4:5], 0x0
	s_load_dwordx4 s[0:3], s[4:5], 0x30
	s_lshl_b32 s6, s6, 5
	s_lshl_b32 s7, s7, 5
	s_mov_b32 s9, 0
	s_waitcnt lgkmcnt(0)
	s_cmp_lt_i32 s11, 1
	s_cbranch_scc1 .LBB403_3
; %bb.1:
	s_load_dwordx2 s[16:17], s[4:5], 0x8
	s_load_dword s20, s[4:5], 0x10
	s_load_dwordx4 s[12:15], s[4:5], 0x18
	s_load_dword s18, s[4:5], 0x28
	v_lshl_add_u32 v4, v1, 4, v0
	v_lshrrev_b32_e32 v8, 3, v4
	v_add_u32_e32 v5, s7, v8
	v_and_b32_e32 v2, 7, v0
	v_mov_b32_e32 v3, 0
	s_waitcnt lgkmcnt(0)
	v_mad_i64_i32 v[6:7], s[18:19], s18, v5, v[2:3]
	v_lshlrev_b32_e32 v2, 4, v2
	v_lshl_or_b32 v2, v8, 7, v2
	v_and_b32_e32 v9, 31, v4
	v_add_u32_e32 v23, 0x1000, v2
	v_mov_b32_e32 v2, 0x1000
	v_lshrrev_b32_e32 v4, 5, v4
	v_mov_b32_e32 v5, v3
	v_lshlrev_b32_e32 v3, 4, v9
	v_lshl_add_u32 v25, v1, 7, v2
	v_add_u32_e32 v2, s6, v9
	v_lshl_or_b32 v22, v4, 9, v3
	v_mad_i64_i32 v[2:3], s[18:19], s20, v2, v[4:5]
	s_mul_i32 s13, s13, s8
	s_mul_hi_u32 s21, s12, s8
	s_add_i32 s13, s21, s13
	s_mul_i32 s12, s12, s8
	s_lshl_b64 s[12:13], s[12:13], 4
	v_lshlrev_b64 v[2:3], 4, v[2:3]
	s_add_u32 s12, s16, s12
	s_addc_u32 s13, s17, s13
	v_mov_b32_e32 v4, s13
	v_add_co_u32_e32 v2, vcc, s12, v2
	s_mul_i32 s1, s1, s8
	s_mul_hi_u32 s12, s0, s8
	v_addc_co_u32_e32 v3, vcc, v4, v3, vcc
	s_add_i32 s1, s12, s1
	s_mul_i32 s0, s0, s8
	v_add_co_u32_e32 v4, vcc, 8, v2
	s_lshl_b64 s[0:1], s[0:1], 4
	v_addc_co_u32_e32 v5, vcc, 0, v3, vcc
	v_lshlrev_b64 v[2:3], 4, v[6:7]
	s_add_u32 s0, s14, s0
	s_addc_u32 s1, s15, s1
	v_mov_b32_e32 v6, s1
	v_add_co_u32_e32 v12, vcc, s0, v2
	v_addc_co_u32_e32 v13, vcc, v6, v3, vcc
	v_mov_b32_e32 v16, 0
	v_mov_b32_e32 v6, 0
	;; [unrolled: 1-line block ×8, first 2 shown]
	v_add_co_u32_e32 v12, vcc, 8, v12
	v_lshlrev_b32_e32 v24, 4, v0
	v_mov_b32_e32 v17, 0
	v_mov_b32_e32 v7, 0
	v_mov_b32_e32 v19, 0
	v_mov_b32_e32 v9, 0
	v_mov_b32_e32 v15, 0
	v_mov_b32_e32 v3, 0
	v_mov_b32_e32 v21, 0
	v_mov_b32_e32 v11, 0
	v_addc_co_u32_e32 v13, vcc, 0, v13, vcc
.LBB403_2:                              ; =>This Inner Loop Header: Depth=1
	global_load_dwordx4 v[26:29], v[4:5], off offset:-8
	v_add_co_u32_e32 v4, vcc, 0x80, v4
	v_addc_co_u32_e32 v5, vcc, 0, v5, vcc
	s_add_i32 s9, s9, 8
	s_cmp_ge_i32 s9, s11
	s_waitcnt vmcnt(0)
	v_xor_b32_e32 v29, 0x80000000, v29
	ds_write_b128 v22, v[26:29]
	global_load_dwordx4 v[26:29], v[12:13], off offset:-8
	v_add_co_u32_e32 v12, vcc, 0x80, v12
	v_addc_co_u32_e32 v13, vcc, 0, v13, vcc
	s_waitcnt vmcnt(0)
	ds_write_b128 v23, v[26:29]
	s_waitcnt lgkmcnt(0)
	s_barrier
	ds_read_b128 v[26:29], v25
	ds_read_b128 v[30:33], v25 offset:16
	ds_read_b128 v[34:37], v25 offset:32
	;; [unrolled: 1-line block ×3, first 2 shown]
	ds_read_b128 v[42:45], v24
	s_waitcnt lgkmcnt(0)
	v_mul_f64 v[46:47], v[28:29], v[44:45]
	v_mul_f64 v[48:49], v[26:27], v[44:45]
	v_fma_f64 v[46:47], v[26:27], v[42:43], -v[46:47]
	v_fma_f64 v[48:49], v[28:29], v[42:43], v[48:49]
	v_add_f64 v[10:11], v[10:11], v[46:47]
	v_add_f64 v[20:21], v[48:49], v[20:21]
	ds_read_b128 v[46:49], v24 offset:256
	s_waitcnt lgkmcnt(0)
	v_mul_f64 v[50:51], v[28:29], v[48:49]
	v_fma_f64 v[50:51], v[26:27], v[46:47], -v[50:51]
	v_mul_f64 v[26:27], v[26:27], v[48:49]
	v_add_f64 v[2:3], v[2:3], v[50:51]
	v_fma_f64 v[26:27], v[28:29], v[46:47], v[26:27]
	v_add_f64 v[50:51], v[26:27], v[14:15]
	ds_read_b128 v[26:29], v25 offset:2048
	s_waitcnt lgkmcnt(0)
	v_mul_f64 v[14:15], v[28:29], v[44:45]
	v_mul_f64 v[44:45], v[26:27], v[44:45]
	v_fma_f64 v[14:15], v[26:27], v[42:43], -v[14:15]
	v_fma_f64 v[42:43], v[28:29], v[42:43], v[44:45]
	v_add_f64 v[44:45], v[8:9], v[14:15]
	v_mul_f64 v[8:9], v[28:29], v[48:49]
	v_mul_f64 v[14:15], v[26:27], v[48:49]
	v_add_f64 v[42:43], v[42:43], v[18:19]
	v_fma_f64 v[8:9], v[26:27], v[46:47], -v[8:9]
	v_fma_f64 v[14:15], v[28:29], v[46:47], v[14:15]
	v_add_f64 v[26:27], v[6:7], v[8:9]
	ds_read_b128 v[6:9], v24 offset:512
	v_add_f64 v[28:29], v[14:15], v[16:17]
	s_waitcnt lgkmcnt(0)
	v_mul_f64 v[14:15], v[32:33], v[8:9]
	v_mul_f64 v[16:17], v[30:31], v[8:9]
	v_fma_f64 v[14:15], v[30:31], v[6:7], -v[14:15]
	v_fma_f64 v[16:17], v[32:33], v[6:7], v[16:17]
	v_add_f64 v[10:11], v[10:11], v[14:15]
	v_add_f64 v[46:47], v[16:17], v[20:21]
	ds_read_b128 v[14:17], v24 offset:768
	s_waitcnt lgkmcnt(0)
	v_mul_f64 v[18:19], v[32:33], v[16:17]
	v_mul_f64 v[20:21], v[30:31], v[16:17]
	v_fma_f64 v[18:19], v[30:31], v[14:15], -v[18:19]
	v_fma_f64 v[20:21], v[32:33], v[14:15], v[20:21]
	v_add_f64 v[2:3], v[2:3], v[18:19]
	v_add_f64 v[30:31], v[20:21], v[50:51]
	ds_read_b128 v[18:21], v25 offset:2064
	s_waitcnt lgkmcnt(0)
	v_mul_f64 v[32:33], v[20:21], v[8:9]
	v_mul_f64 v[8:9], v[18:19], v[8:9]
	v_fma_f64 v[32:33], v[18:19], v[6:7], -v[32:33]
	v_fma_f64 v[6:7], v[20:21], v[6:7], v[8:9]
	v_mul_f64 v[8:9], v[18:19], v[16:17]
	v_add_f64 v[32:33], v[44:45], v[32:33]
	v_add_f64 v[42:43], v[6:7], v[42:43]
	v_mul_f64 v[6:7], v[20:21], v[16:17]
	v_fma_f64 v[8:9], v[20:21], v[14:15], v[8:9]
	v_fma_f64 v[6:7], v[18:19], v[14:15], -v[6:7]
	v_add_f64 v[28:29], v[8:9], v[28:29]
	v_add_f64 v[26:27], v[26:27], v[6:7]
	ds_read_b128 v[6:9], v24 offset:1024
	s_waitcnt lgkmcnt(0)
	v_mul_f64 v[14:15], v[36:37], v[8:9]
	v_mul_f64 v[16:17], v[34:35], v[8:9]
	v_fma_f64 v[14:15], v[34:35], v[6:7], -v[14:15]
	v_fma_f64 v[16:17], v[36:37], v[6:7], v[16:17]
	v_add_f64 v[10:11], v[10:11], v[14:15]
	v_add_f64 v[44:45], v[16:17], v[46:47]
	ds_read_b128 v[14:17], v24 offset:1280
	s_waitcnt lgkmcnt(0)
	v_mul_f64 v[18:19], v[36:37], v[16:17]
	v_mul_f64 v[20:21], v[34:35], v[16:17]
	v_fma_f64 v[18:19], v[34:35], v[14:15], -v[18:19]
	v_fma_f64 v[20:21], v[36:37], v[14:15], v[20:21]
	v_add_f64 v[2:3], v[2:3], v[18:19]
	v_add_f64 v[30:31], v[20:21], v[30:31]
	ds_read_b128 v[18:21], v25 offset:2080
	s_waitcnt lgkmcnt(0)
	v_mul_f64 v[34:35], v[20:21], v[8:9]
	v_mul_f64 v[8:9], v[18:19], v[8:9]
	v_fma_f64 v[34:35], v[18:19], v[6:7], -v[34:35]
	v_fma_f64 v[6:7], v[20:21], v[6:7], v[8:9]
	v_mul_f64 v[8:9], v[18:19], v[16:17]
	v_add_f64 v[32:33], v[32:33], v[34:35]
	v_add_f64 v[34:35], v[6:7], v[42:43]
	v_mul_f64 v[6:7], v[20:21], v[16:17]
	v_fma_f64 v[8:9], v[20:21], v[14:15], v[8:9]
	v_fma_f64 v[6:7], v[18:19], v[14:15], -v[6:7]
	v_add_f64 v[28:29], v[8:9], v[28:29]
	v_add_f64 v[26:27], v[26:27], v[6:7]
	ds_read_b128 v[6:9], v24 offset:1536
	;; [unrolled: 30-line block ×3, first 2 shown]
	ds_read_b128 v[14:17], v24 offset:2048
	s_waitcnt lgkmcnt(0)
	v_mul_f64 v[18:19], v[8:9], v[16:17]
	v_mul_f64 v[20:21], v[6:7], v[16:17]
	v_fma_f64 v[18:19], v[6:7], v[14:15], -v[18:19]
	v_fma_f64 v[20:21], v[8:9], v[14:15], v[20:21]
	v_add_f64 v[10:11], v[10:11], v[18:19]
	v_add_f64 v[36:37], v[20:21], v[36:37]
	ds_read_b128 v[18:21], v24 offset:2304
	s_waitcnt lgkmcnt(0)
	v_mul_f64 v[38:39], v[8:9], v[20:21]
	v_fma_f64 v[38:39], v[6:7], v[18:19], -v[38:39]
	v_mul_f64 v[6:7], v[6:7], v[20:21]
	v_add_f64 v[2:3], v[2:3], v[38:39]
	v_fma_f64 v[6:7], v[8:9], v[18:19], v[6:7]
	v_add_f64 v[30:31], v[6:7], v[30:31]
	ds_read_b128 v[6:9], v25 offset:2112
	s_waitcnt lgkmcnt(0)
	v_mul_f64 v[38:39], v[8:9], v[16:17]
	v_mul_f64 v[16:17], v[6:7], v[16:17]
	v_fma_f64 v[38:39], v[6:7], v[14:15], -v[38:39]
	v_fma_f64 v[14:15], v[8:9], v[14:15], v[16:17]
	v_add_f64 v[32:33], v[32:33], v[38:39]
	v_add_f64 v[34:35], v[14:15], v[34:35]
	v_mul_f64 v[14:15], v[8:9], v[20:21]
	v_fma_f64 v[14:15], v[6:7], v[18:19], -v[14:15]
	v_mul_f64 v[6:7], v[6:7], v[20:21]
	v_add_f64 v[26:27], v[26:27], v[14:15]
	v_fma_f64 v[6:7], v[8:9], v[18:19], v[6:7]
	v_add_f64 v[28:29], v[6:7], v[28:29]
	ds_read_b128 v[6:9], v25 offset:80
	ds_read_b128 v[14:17], v24 offset:2560
	s_waitcnt lgkmcnt(0)
	v_mul_f64 v[18:19], v[8:9], v[16:17]
	v_mul_f64 v[20:21], v[6:7], v[16:17]
	v_fma_f64 v[18:19], v[6:7], v[14:15], -v[18:19]
	v_fma_f64 v[20:21], v[8:9], v[14:15], v[20:21]
	v_add_f64 v[10:11], v[10:11], v[18:19]
	v_add_f64 v[36:37], v[20:21], v[36:37]
	ds_read_b128 v[18:21], v24 offset:2816
	s_waitcnt lgkmcnt(0)
	v_mul_f64 v[38:39], v[8:9], v[20:21]
	v_fma_f64 v[38:39], v[6:7], v[18:19], -v[38:39]
	v_mul_f64 v[6:7], v[6:7], v[20:21]
	v_add_f64 v[2:3], v[2:3], v[38:39]
	v_fma_f64 v[6:7], v[8:9], v[18:19], v[6:7]
	v_add_f64 v[30:31], v[6:7], v[30:31]
	ds_read_b128 v[6:9], v25 offset:2128
	s_waitcnt lgkmcnt(0)
	v_mul_f64 v[38:39], v[8:9], v[16:17]
	v_mul_f64 v[16:17], v[6:7], v[16:17]
	v_fma_f64 v[38:39], v[6:7], v[14:15], -v[38:39]
	v_fma_f64 v[14:15], v[8:9], v[14:15], v[16:17]
	v_add_f64 v[32:33], v[32:33], v[38:39]
	v_add_f64 v[34:35], v[14:15], v[34:35]
	v_mul_f64 v[14:15], v[8:9], v[20:21]
	v_fma_f64 v[14:15], v[6:7], v[18:19], -v[14:15]
	v_mul_f64 v[6:7], v[6:7], v[20:21]
	v_add_f64 v[26:27], v[26:27], v[14:15]
	v_fma_f64 v[6:7], v[8:9], v[18:19], v[6:7]
	v_add_f64 v[28:29], v[6:7], v[28:29]
	ds_read_b128 v[6:9], v25 offset:96
	;; [unrolled: 31-line block ×3, first 2 shown]
	ds_read_b128 v[16:19], v24 offset:3584
	ds_read_b128 v[26:29], v24 offset:3840
	s_waitcnt lgkmcnt(1)
	v_mul_f64 v[14:15], v[8:9], v[18:19]
	v_mul_f64 v[20:21], v[6:7], v[18:19]
	v_fma_f64 v[14:15], v[6:7], v[16:17], -v[14:15]
	v_fma_f64 v[20:21], v[8:9], v[16:17], v[20:21]
	v_add_f64 v[10:11], v[10:11], v[14:15]
	s_waitcnt lgkmcnt(0)
	v_mul_f64 v[14:15], v[8:9], v[28:29]
	v_add_f64 v[20:21], v[20:21], v[36:37]
	v_fma_f64 v[14:15], v[6:7], v[26:27], -v[14:15]
	v_mul_f64 v[6:7], v[6:7], v[28:29]
	v_add_f64 v[2:3], v[2:3], v[14:15]
	v_fma_f64 v[6:7], v[8:9], v[26:27], v[6:7]
	v_add_f64 v[14:15], v[6:7], v[30:31]
	ds_read_b128 v[30:33], v25 offset:2160
	s_waitcnt lgkmcnt(0)
	s_barrier
	v_mul_f64 v[6:7], v[32:33], v[18:19]
	v_mul_f64 v[8:9], v[30:31], v[18:19]
	v_fma_f64 v[6:7], v[30:31], v[16:17], -v[6:7]
	v_fma_f64 v[16:17], v[32:33], v[16:17], v[8:9]
	v_add_f64 v[8:9], v[38:39], v[6:7]
	v_add_f64 v[18:19], v[16:17], v[34:35]
	v_mul_f64 v[6:7], v[32:33], v[28:29]
	v_mul_f64 v[16:17], v[30:31], v[28:29]
	v_fma_f64 v[6:7], v[30:31], v[26:27], -v[6:7]
	v_fma_f64 v[16:17], v[32:33], v[26:27], v[16:17]
	v_add_f64 v[6:7], v[40:41], v[6:7]
	v_add_f64 v[16:17], v[16:17], v[42:43]
	s_cbranch_scc0 .LBB403_2
	s_branch .LBB403_4
.LBB403_3:
	v_mov_b32_e32 v10, 0
	v_mov_b32_e32 v20, 0
	;; [unrolled: 1-line block ×16, first 2 shown]
.LBB403_4:
	s_load_dwordx2 s[0:1], s[4:5], 0x48
	s_load_dword s9, s[4:5], 0x40
	v_add_u32_e32 v22, s7, v1
	v_add_u32_e32 v0, s6, v0
	v_cmp_gt_i32_e32 vcc, s10, v22
	s_waitcnt lgkmcnt(0)
	s_mul_i32 s1, s1, s8
	v_mad_i64_i32 v[4:5], s[12:13], v22, s9, 0
	s_mul_hi_u32 s4, s0, s8
	s_mul_i32 s0, s0, s8
	s_add_i32 s1, s4, s1
	s_lshl_b64 s[0:1], s[0:1], 4
	s_add_u32 s4, s2, s0
	v_lshlrev_b64 v[4:5], 4, v[4:5]
	s_addc_u32 s5, s3, s1
	v_mov_b32_e32 v1, s5
	v_add_co_u32_e64 v4, s[0:1], s4, v4
	v_addc_co_u32_e64 v5, s[0:1], v1, v5, s[0:1]
	v_cmp_le_i32_e64 s[0:1], v0, v22
	s_and_b64 s[0:1], vcc, s[0:1]
	s_and_saveexec_b64 s[2:3], s[0:1]
	s_cbranch_execz .LBB403_6
; %bb.5:
	v_ashrrev_i32_e32 v1, 31, v0
	v_lshlrev_b64 v[12:13], 4, v[0:1]
	v_add_co_u32_e64 v23, s[0:1], v4, v12
	v_addc_co_u32_e64 v24, s[0:1], v5, v13, s[0:1]
	v_cmp_ne_u32_e64 s[0:1], v22, v0
	v_cndmask_b32_e64 v13, 0, v21, s[0:1]
	v_cndmask_b32_e64 v12, 0, v20, s[0:1]
	global_store_dwordx4 v[23:24], v[10:13], off
.LBB403_6:
	s_or_b64 exec, exec, s[2:3]
	v_add_u32_e32 v12, 16, v0
	v_cmp_le_i32_e64 s[0:1], v12, v22
	s_and_b64 s[2:3], vcc, s[0:1]
	s_and_saveexec_b64 s[0:1], s[2:3]
	s_cbranch_execz .LBB403_8
; %bb.7:
	v_ashrrev_i32_e32 v13, 31, v12
	v_lshlrev_b64 v[10:11], 4, v[12:13]
	v_add_co_u32_e32 v10, vcc, v4, v10
	v_addc_co_u32_e32 v11, vcc, v5, v11, vcc
	v_cmp_ne_u32_e32 vcc, v22, v12
	v_cndmask_b32_e32 v5, 0, v15, vcc
	v_cndmask_b32_e32 v4, 0, v14, vcc
	global_store_dwordx4 v[10:11], v[2:5], off
.LBB403_8:
	s_or_b64 exec, exec, s[0:1]
	v_add_u32_e32 v4, 16, v22
	v_mad_i64_i32 v[1:2], s[0:1], v4, s9, 0
	v_mov_b32_e32 v5, s5
	v_cmp_gt_i32_e32 vcc, s10, v4
	v_lshlrev_b64 v[2:3], 4, v[1:2]
	v_add_co_u32_e64 v2, s[0:1], s4, v2
	v_addc_co_u32_e64 v3, s[0:1], v5, v3, s[0:1]
	v_cmp_le_i32_e64 s[0:1], v0, v4
	s_and_b64 s[0:1], vcc, s[0:1]
	s_and_saveexec_b64 s[2:3], s[0:1]
	s_cbranch_execz .LBB403_10
; %bb.9:
	v_ashrrev_i32_e32 v1, 31, v0
	v_lshlrev_b64 v[10:11], 4, v[0:1]
	v_add_co_u32_e64 v13, s[0:1], v2, v10
	v_addc_co_u32_e64 v14, s[0:1], v3, v11, s[0:1]
	v_cmp_ne_u32_e64 s[0:1], v4, v0
	v_cndmask_b32_e64 v11, 0, v19, s[0:1]
	v_cndmask_b32_e64 v10, 0, v18, s[0:1]
	global_store_dwordx4 v[13:14], v[8:11], off
.LBB403_10:
	s_or_b64 exec, exec, s[2:3]
	v_cmp_le_i32_e64 s[0:1], v12, v4
	s_and_b64 s[0:1], vcc, s[0:1]
	s_and_saveexec_b64 s[2:3], s[0:1]
	s_cbranch_execz .LBB403_12
; %bb.11:
	v_ashrrev_i32_e32 v13, 31, v12
	v_lshlrev_b64 v[4:5], 4, v[12:13]
	v_add_co_u32_e32 v1, vcc, v2, v4
	v_addc_co_u32_e32 v2, vcc, v3, v5, vcc
	v_cmp_ne_u32_e32 vcc, v22, v0
	v_cndmask_b32_e32 v9, 0, v17, vcc
	v_cndmask_b32_e32 v8, 0, v16, vcc
	global_store_dwordx4 v[1:2], v[6:9], off
.LBB403_12:
	s_endpgm
	.section	.rodata,"a",@progbits
	.p2align	6, 0x0
	.amdhsa_kernel _ZL37rocblas_syrkx_herkx_restricted_kernelIi19rocblas_complex_numIdELi16ELi32ELi8ELi1ELi0ELb1ELc67ELc85EKS1_S1_EviT_PT9_S3_lS5_S3_lPT10_S3_li
		.amdhsa_group_segment_fixed_size 8192
		.amdhsa_private_segment_fixed_size 0
		.amdhsa_kernarg_size 84
		.amdhsa_user_sgpr_count 6
		.amdhsa_user_sgpr_private_segment_buffer 1
		.amdhsa_user_sgpr_dispatch_ptr 0
		.amdhsa_user_sgpr_queue_ptr 0
		.amdhsa_user_sgpr_kernarg_segment_ptr 1
		.amdhsa_user_sgpr_dispatch_id 0
		.amdhsa_user_sgpr_flat_scratch_init 0
		.amdhsa_user_sgpr_private_segment_size 0
		.amdhsa_uses_dynamic_stack 0
		.amdhsa_system_sgpr_private_segment_wavefront_offset 0
		.amdhsa_system_sgpr_workgroup_id_x 1
		.amdhsa_system_sgpr_workgroup_id_y 1
		.amdhsa_system_sgpr_workgroup_id_z 1
		.amdhsa_system_sgpr_workgroup_info 0
		.amdhsa_system_vgpr_workitem_id 1
		.amdhsa_next_free_vgpr 52
		.amdhsa_next_free_sgpr 61
		.amdhsa_reserve_vcc 1
		.amdhsa_reserve_flat_scratch 0
		.amdhsa_float_round_mode_32 0
		.amdhsa_float_round_mode_16_64 0
		.amdhsa_float_denorm_mode_32 3
		.amdhsa_float_denorm_mode_16_64 3
		.amdhsa_dx10_clamp 1
		.amdhsa_ieee_mode 1
		.amdhsa_fp16_overflow 0
		.amdhsa_exception_fp_ieee_invalid_op 0
		.amdhsa_exception_fp_denorm_src 0
		.amdhsa_exception_fp_ieee_div_zero 0
		.amdhsa_exception_fp_ieee_overflow 0
		.amdhsa_exception_fp_ieee_underflow 0
		.amdhsa_exception_fp_ieee_inexact 0
		.amdhsa_exception_int_div_zero 0
	.end_amdhsa_kernel
	.section	.text._ZL37rocblas_syrkx_herkx_restricted_kernelIi19rocblas_complex_numIdELi16ELi32ELi8ELi1ELi0ELb1ELc67ELc85EKS1_S1_EviT_PT9_S3_lS5_S3_lPT10_S3_li,"axG",@progbits,_ZL37rocblas_syrkx_herkx_restricted_kernelIi19rocblas_complex_numIdELi16ELi32ELi8ELi1ELi0ELb1ELc67ELc85EKS1_S1_EviT_PT9_S3_lS5_S3_lPT10_S3_li,comdat
.Lfunc_end403:
	.size	_ZL37rocblas_syrkx_herkx_restricted_kernelIi19rocblas_complex_numIdELi16ELi32ELi8ELi1ELi0ELb1ELc67ELc85EKS1_S1_EviT_PT9_S3_lS5_S3_lPT10_S3_li, .Lfunc_end403-_ZL37rocblas_syrkx_herkx_restricted_kernelIi19rocblas_complex_numIdELi16ELi32ELi8ELi1ELi0ELb1ELc67ELc85EKS1_S1_EviT_PT9_S3_lS5_S3_lPT10_S3_li
                                        ; -- End function
	.set _ZL37rocblas_syrkx_herkx_restricted_kernelIi19rocblas_complex_numIdELi16ELi32ELi8ELi1ELi0ELb1ELc67ELc85EKS1_S1_EviT_PT9_S3_lS5_S3_lPT10_S3_li.num_vgpr, 52
	.set _ZL37rocblas_syrkx_herkx_restricted_kernelIi19rocblas_complex_numIdELi16ELi32ELi8ELi1ELi0ELb1ELc67ELc85EKS1_S1_EviT_PT9_S3_lS5_S3_lPT10_S3_li.num_agpr, 0
	.set _ZL37rocblas_syrkx_herkx_restricted_kernelIi19rocblas_complex_numIdELi16ELi32ELi8ELi1ELi0ELb1ELc67ELc85EKS1_S1_EviT_PT9_S3_lS5_S3_lPT10_S3_li.numbered_sgpr, 22
	.set _ZL37rocblas_syrkx_herkx_restricted_kernelIi19rocblas_complex_numIdELi16ELi32ELi8ELi1ELi0ELb1ELc67ELc85EKS1_S1_EviT_PT9_S3_lS5_S3_lPT10_S3_li.num_named_barrier, 0
	.set _ZL37rocblas_syrkx_herkx_restricted_kernelIi19rocblas_complex_numIdELi16ELi32ELi8ELi1ELi0ELb1ELc67ELc85EKS1_S1_EviT_PT9_S3_lS5_S3_lPT10_S3_li.private_seg_size, 0
	.set _ZL37rocblas_syrkx_herkx_restricted_kernelIi19rocblas_complex_numIdELi16ELi32ELi8ELi1ELi0ELb1ELc67ELc85EKS1_S1_EviT_PT9_S3_lS5_S3_lPT10_S3_li.uses_vcc, 1
	.set _ZL37rocblas_syrkx_herkx_restricted_kernelIi19rocblas_complex_numIdELi16ELi32ELi8ELi1ELi0ELb1ELc67ELc85EKS1_S1_EviT_PT9_S3_lS5_S3_lPT10_S3_li.uses_flat_scratch, 0
	.set _ZL37rocblas_syrkx_herkx_restricted_kernelIi19rocblas_complex_numIdELi16ELi32ELi8ELi1ELi0ELb1ELc67ELc85EKS1_S1_EviT_PT9_S3_lS5_S3_lPT10_S3_li.has_dyn_sized_stack, 0
	.set _ZL37rocblas_syrkx_herkx_restricted_kernelIi19rocblas_complex_numIdELi16ELi32ELi8ELi1ELi0ELb1ELc67ELc85EKS1_S1_EviT_PT9_S3_lS5_S3_lPT10_S3_li.has_recursion, 0
	.set _ZL37rocblas_syrkx_herkx_restricted_kernelIi19rocblas_complex_numIdELi16ELi32ELi8ELi1ELi0ELb1ELc67ELc85EKS1_S1_EviT_PT9_S3_lS5_S3_lPT10_S3_li.has_indirect_call, 0
	.section	.AMDGPU.csdata,"",@progbits
; Kernel info:
; codeLenInByte = 2852
; TotalNumSgprs: 26
; NumVgprs: 52
; ScratchSize: 0
; MemoryBound: 0
; FloatMode: 240
; IeeeMode: 1
; LDSByteSize: 8192 bytes/workgroup (compile time only)
; SGPRBlocks: 8
; VGPRBlocks: 12
; NumSGPRsForWavesPerEU: 65
; NumVGPRsForWavesPerEU: 52
; Occupancy: 4
; WaveLimiterHint : 0
; COMPUTE_PGM_RSRC2:SCRATCH_EN: 0
; COMPUTE_PGM_RSRC2:USER_SGPR: 6
; COMPUTE_PGM_RSRC2:TRAP_HANDLER: 0
; COMPUTE_PGM_RSRC2:TGID_X_EN: 1
; COMPUTE_PGM_RSRC2:TGID_Y_EN: 1
; COMPUTE_PGM_RSRC2:TGID_Z_EN: 1
; COMPUTE_PGM_RSRC2:TIDIG_COMP_CNT: 1
	.section	.text._ZL37rocblas_syrkx_herkx_restricted_kernelIi19rocblas_complex_numIdELi16ELi32ELi8ELi1ELi0ELb1ELc78ELc85EKS1_S1_EviT_PT9_S3_lS5_S3_lPT10_S3_li,"axG",@progbits,_ZL37rocblas_syrkx_herkx_restricted_kernelIi19rocblas_complex_numIdELi16ELi32ELi8ELi1ELi0ELb1ELc78ELc85EKS1_S1_EviT_PT9_S3_lS5_S3_lPT10_S3_li,comdat
	.globl	_ZL37rocblas_syrkx_herkx_restricted_kernelIi19rocblas_complex_numIdELi16ELi32ELi8ELi1ELi0ELb1ELc78ELc85EKS1_S1_EviT_PT9_S3_lS5_S3_lPT10_S3_li ; -- Begin function _ZL37rocblas_syrkx_herkx_restricted_kernelIi19rocblas_complex_numIdELi16ELi32ELi8ELi1ELi0ELb1ELc78ELc85EKS1_S1_EviT_PT9_S3_lS5_S3_lPT10_S3_li
	.p2align	8
	.type	_ZL37rocblas_syrkx_herkx_restricted_kernelIi19rocblas_complex_numIdELi16ELi32ELi8ELi1ELi0ELb1ELc78ELc85EKS1_S1_EviT_PT9_S3_lS5_S3_lPT10_S3_li,@function
_ZL37rocblas_syrkx_herkx_restricted_kernelIi19rocblas_complex_numIdELi16ELi32ELi8ELi1ELi0ELb1ELc78ELc85EKS1_S1_EviT_PT9_S3_lS5_S3_lPT10_S3_li: ; @_ZL37rocblas_syrkx_herkx_restricted_kernelIi19rocblas_complex_numIdELi16ELi32ELi8ELi1ELi0ELb1ELc78ELc85EKS1_S1_EviT_PT9_S3_lS5_S3_lPT10_S3_li
; %bb.0:
	s_load_dwordx2 s[10:11], s[4:5], 0x0
	s_load_dwordx4 s[0:3], s[4:5], 0x30
	s_lshl_b32 s9, s6, 5
	s_lshl_b32 s16, s7, 5
	s_mov_b32 s17, 0
	s_waitcnt lgkmcnt(0)
	s_cmp_lt_i32 s11, 1
	s_cbranch_scc1 .LBB404_3
; %bb.1:
	v_lshl_add_u32 v5, v1, 4, v0
	s_load_dword s6, s[4:5], 0x10
	s_load_dword s18, s[4:5], 0x28
	s_load_dwordx2 s[20:21], s[4:5], 0x8
	s_load_dwordx4 s[12:15], s[4:5], 0x18
	v_lshrrev_b32_e32 v6, 3, v5
	v_add_u32_e32 v2, s16, v6
	v_and_b32_e32 v4, 7, v0
	v_ashrrev_i32_e32 v3, 31, v2
	s_waitcnt lgkmcnt(0)
	v_mad_i64_i32 v[2:3], s[22:23], s18, v4, v[2:3]
	v_lshlrev_b32_e32 v4, 4, v4
	v_lshl_or_b32 v4, v6, 7, v4
	v_lshrrev_b32_e32 v7, 5, v5
	v_and_b32_e32 v5, 31, v5
	v_add_u32_e32 v23, 0x1000, v4
	v_mov_b32_e32 v4, 0x1000
	v_lshl_add_u32 v25, v1, 7, v4
	v_add_u32_e32 v4, s9, v5
	v_lshlrev_b32_e32 v8, 4, v5
	v_ashrrev_i32_e32 v5, 31, v4
	v_mad_i64_i32 v[4:5], s[22:23], s6, v7, v[4:5]
	s_mul_i32 s13, s13, s8
	s_mul_hi_u32 s24, s12, s8
	s_add_i32 s13, s24, s13
	s_mul_i32 s12, s12, s8
	s_ashr_i32 s7, s6, 31
	s_ashr_i32 s19, s18, 31
	s_lshl_b64 s[12:13], s[12:13], 4
	v_lshlrev_b64 v[4:5], 4, v[4:5]
	s_add_u32 s12, s20, s12
	s_addc_u32 s13, s21, s13
	v_add_co_u32_e32 v4, vcc, s12, v4
	s_mul_i32 s1, s1, s8
	s_mul_hi_u32 s12, s0, s8
	v_mov_b32_e32 v6, s13
	s_add_i32 s1, s12, s1
	s_mul_i32 s0, s0, s8
	v_addc_co_u32_e32 v5, vcc, v6, v5, vcc
	s_lshl_b64 s[6:7], s[6:7], 7
	s_lshl_b64 s[0:1], s[0:1], 4
	v_add_co_u32_e32 v4, vcc, 8, v4
	v_lshlrev_b64 v[2:3], 4, v[2:3]
	s_add_u32 s0, s14, s0
	v_addc_co_u32_e32 v5, vcc, 0, v5, vcc
	s_addc_u32 s1, s15, s1
	v_mov_b32_e32 v6, s1
	v_add_co_u32_e32 v2, vcc, s0, v2
	v_addc_co_u32_e32 v3, vcc, v6, v3, vcc
	v_add_co_u32_e32 v12, vcc, 8, v2
	v_lshl_or_b32 v22, v7, 9, v8
	v_addc_co_u32_e32 v13, vcc, 0, v3, vcc
	s_lshl_b64 s[0:1], s[18:19], 7
	v_mov_b32_e32 v16, 0
	v_mov_b32_e32 v6, 0
	;; [unrolled: 1-line block ×8, first 2 shown]
	v_lshlrev_b32_e32 v24, 4, v0
	v_mov_b32_e32 v17, 0
	v_mov_b32_e32 v26, s7
	;; [unrolled: 1-line block ×10, first 2 shown]
.LBB404_2:                              ; =>This Inner Loop Header: Depth=1
	global_load_dwordx4 v[28:31], v[4:5], off offset:-8
	v_add_co_u32_e32 v4, vcc, s6, v4
	v_addc_co_u32_e32 v5, vcc, v5, v26, vcc
	s_add_i32 s17, s17, 8
	s_cmp_ge_i32 s17, s11
	s_waitcnt vmcnt(0)
	ds_write_b128 v22, v[28:31]
	global_load_dwordx4 v[28:31], v[12:13], off offset:-8
	v_add_co_u32_e32 v12, vcc, s0, v12
	v_addc_co_u32_e32 v13, vcc, v13, v27, vcc
	s_waitcnt vmcnt(0)
	v_xor_b32_e32 v31, 0x80000000, v31
	ds_write_b128 v23, v[28:31]
	s_waitcnt lgkmcnt(0)
	s_barrier
	ds_read_b128 v[28:31], v25
	ds_read_b128 v[32:35], v25 offset:16
	ds_read_b128 v[36:39], v25 offset:32
	;; [unrolled: 1-line block ×3, first 2 shown]
	ds_read_b128 v[44:47], v24
	s_waitcnt lgkmcnt(0)
	v_mul_f64 v[48:49], v[30:31], v[46:47]
	v_mul_f64 v[50:51], v[28:29], v[46:47]
	v_fma_f64 v[48:49], v[28:29], v[44:45], -v[48:49]
	v_fma_f64 v[50:51], v[30:31], v[44:45], v[50:51]
	v_add_f64 v[10:11], v[10:11], v[48:49]
	v_add_f64 v[20:21], v[50:51], v[20:21]
	ds_read_b128 v[48:51], v24 offset:256
	s_waitcnt lgkmcnt(0)
	v_mul_f64 v[52:53], v[30:31], v[50:51]
	v_fma_f64 v[52:53], v[28:29], v[48:49], -v[52:53]
	v_mul_f64 v[28:29], v[28:29], v[50:51]
	v_add_f64 v[2:3], v[2:3], v[52:53]
	v_fma_f64 v[28:29], v[30:31], v[48:49], v[28:29]
	v_add_f64 v[52:53], v[28:29], v[14:15]
	ds_read_b128 v[28:31], v25 offset:2048
	s_waitcnt lgkmcnt(0)
	v_mul_f64 v[14:15], v[30:31], v[46:47]
	v_mul_f64 v[46:47], v[28:29], v[46:47]
	v_fma_f64 v[14:15], v[28:29], v[44:45], -v[14:15]
	v_fma_f64 v[44:45], v[30:31], v[44:45], v[46:47]
	v_add_f64 v[46:47], v[8:9], v[14:15]
	v_mul_f64 v[8:9], v[30:31], v[50:51]
	v_mul_f64 v[14:15], v[28:29], v[50:51]
	v_add_f64 v[44:45], v[44:45], v[18:19]
	v_fma_f64 v[8:9], v[28:29], v[48:49], -v[8:9]
	v_fma_f64 v[14:15], v[30:31], v[48:49], v[14:15]
	v_add_f64 v[28:29], v[6:7], v[8:9]
	ds_read_b128 v[6:9], v24 offset:512
	v_add_f64 v[30:31], v[14:15], v[16:17]
	s_waitcnt lgkmcnt(0)
	v_mul_f64 v[14:15], v[34:35], v[8:9]
	v_mul_f64 v[16:17], v[32:33], v[8:9]
	v_fma_f64 v[14:15], v[32:33], v[6:7], -v[14:15]
	v_fma_f64 v[16:17], v[34:35], v[6:7], v[16:17]
	v_add_f64 v[10:11], v[10:11], v[14:15]
	v_add_f64 v[48:49], v[16:17], v[20:21]
	ds_read_b128 v[14:17], v24 offset:768
	s_waitcnt lgkmcnt(0)
	v_mul_f64 v[18:19], v[34:35], v[16:17]
	v_mul_f64 v[20:21], v[32:33], v[16:17]
	v_fma_f64 v[18:19], v[32:33], v[14:15], -v[18:19]
	v_fma_f64 v[20:21], v[34:35], v[14:15], v[20:21]
	v_add_f64 v[2:3], v[2:3], v[18:19]
	v_add_f64 v[32:33], v[20:21], v[52:53]
	ds_read_b128 v[18:21], v25 offset:2064
	s_waitcnt lgkmcnt(0)
	v_mul_f64 v[34:35], v[20:21], v[8:9]
	v_mul_f64 v[8:9], v[18:19], v[8:9]
	v_fma_f64 v[34:35], v[18:19], v[6:7], -v[34:35]
	v_fma_f64 v[6:7], v[20:21], v[6:7], v[8:9]
	v_mul_f64 v[8:9], v[18:19], v[16:17]
	v_add_f64 v[34:35], v[46:47], v[34:35]
	v_add_f64 v[44:45], v[6:7], v[44:45]
	v_mul_f64 v[6:7], v[20:21], v[16:17]
	v_fma_f64 v[8:9], v[20:21], v[14:15], v[8:9]
	v_fma_f64 v[6:7], v[18:19], v[14:15], -v[6:7]
	v_add_f64 v[30:31], v[8:9], v[30:31]
	v_add_f64 v[28:29], v[28:29], v[6:7]
	ds_read_b128 v[6:9], v24 offset:1024
	s_waitcnt lgkmcnt(0)
	v_mul_f64 v[14:15], v[38:39], v[8:9]
	v_mul_f64 v[16:17], v[36:37], v[8:9]
	v_fma_f64 v[14:15], v[36:37], v[6:7], -v[14:15]
	v_fma_f64 v[16:17], v[38:39], v[6:7], v[16:17]
	v_add_f64 v[10:11], v[10:11], v[14:15]
	v_add_f64 v[46:47], v[16:17], v[48:49]
	ds_read_b128 v[14:17], v24 offset:1280
	s_waitcnt lgkmcnt(0)
	v_mul_f64 v[18:19], v[38:39], v[16:17]
	v_mul_f64 v[20:21], v[36:37], v[16:17]
	v_fma_f64 v[18:19], v[36:37], v[14:15], -v[18:19]
	v_fma_f64 v[20:21], v[38:39], v[14:15], v[20:21]
	v_add_f64 v[2:3], v[2:3], v[18:19]
	v_add_f64 v[32:33], v[20:21], v[32:33]
	ds_read_b128 v[18:21], v25 offset:2080
	s_waitcnt lgkmcnt(0)
	v_mul_f64 v[36:37], v[20:21], v[8:9]
	v_mul_f64 v[8:9], v[18:19], v[8:9]
	v_fma_f64 v[36:37], v[18:19], v[6:7], -v[36:37]
	v_fma_f64 v[6:7], v[20:21], v[6:7], v[8:9]
	v_mul_f64 v[8:9], v[18:19], v[16:17]
	v_add_f64 v[34:35], v[34:35], v[36:37]
	v_add_f64 v[36:37], v[6:7], v[44:45]
	v_mul_f64 v[6:7], v[20:21], v[16:17]
	v_fma_f64 v[8:9], v[20:21], v[14:15], v[8:9]
	v_fma_f64 v[6:7], v[18:19], v[14:15], -v[6:7]
	v_add_f64 v[30:31], v[8:9], v[30:31]
	v_add_f64 v[28:29], v[28:29], v[6:7]
	ds_read_b128 v[6:9], v24 offset:1536
	;; [unrolled: 30-line block ×3, first 2 shown]
	ds_read_b128 v[14:17], v24 offset:2048
	s_waitcnt lgkmcnt(0)
	v_mul_f64 v[18:19], v[8:9], v[16:17]
	v_mul_f64 v[20:21], v[6:7], v[16:17]
	v_fma_f64 v[18:19], v[6:7], v[14:15], -v[18:19]
	v_fma_f64 v[20:21], v[8:9], v[14:15], v[20:21]
	v_add_f64 v[10:11], v[10:11], v[18:19]
	v_add_f64 v[38:39], v[20:21], v[38:39]
	ds_read_b128 v[18:21], v24 offset:2304
	s_waitcnt lgkmcnt(0)
	v_mul_f64 v[40:41], v[8:9], v[20:21]
	v_fma_f64 v[40:41], v[6:7], v[18:19], -v[40:41]
	v_mul_f64 v[6:7], v[6:7], v[20:21]
	v_add_f64 v[2:3], v[2:3], v[40:41]
	v_fma_f64 v[6:7], v[8:9], v[18:19], v[6:7]
	v_add_f64 v[32:33], v[6:7], v[32:33]
	ds_read_b128 v[6:9], v25 offset:2112
	s_waitcnt lgkmcnt(0)
	v_mul_f64 v[40:41], v[8:9], v[16:17]
	v_mul_f64 v[16:17], v[6:7], v[16:17]
	v_fma_f64 v[40:41], v[6:7], v[14:15], -v[40:41]
	v_fma_f64 v[14:15], v[8:9], v[14:15], v[16:17]
	v_add_f64 v[34:35], v[34:35], v[40:41]
	v_add_f64 v[36:37], v[14:15], v[36:37]
	v_mul_f64 v[14:15], v[8:9], v[20:21]
	v_fma_f64 v[14:15], v[6:7], v[18:19], -v[14:15]
	v_mul_f64 v[6:7], v[6:7], v[20:21]
	v_add_f64 v[28:29], v[28:29], v[14:15]
	v_fma_f64 v[6:7], v[8:9], v[18:19], v[6:7]
	v_add_f64 v[30:31], v[6:7], v[30:31]
	ds_read_b128 v[6:9], v25 offset:80
	ds_read_b128 v[14:17], v24 offset:2560
	s_waitcnt lgkmcnt(0)
	v_mul_f64 v[18:19], v[8:9], v[16:17]
	v_mul_f64 v[20:21], v[6:7], v[16:17]
	v_fma_f64 v[18:19], v[6:7], v[14:15], -v[18:19]
	v_fma_f64 v[20:21], v[8:9], v[14:15], v[20:21]
	v_add_f64 v[10:11], v[10:11], v[18:19]
	v_add_f64 v[38:39], v[20:21], v[38:39]
	ds_read_b128 v[18:21], v24 offset:2816
	s_waitcnt lgkmcnt(0)
	v_mul_f64 v[40:41], v[8:9], v[20:21]
	v_fma_f64 v[40:41], v[6:7], v[18:19], -v[40:41]
	v_mul_f64 v[6:7], v[6:7], v[20:21]
	v_add_f64 v[2:3], v[2:3], v[40:41]
	v_fma_f64 v[6:7], v[8:9], v[18:19], v[6:7]
	v_add_f64 v[32:33], v[6:7], v[32:33]
	ds_read_b128 v[6:9], v25 offset:2128
	s_waitcnt lgkmcnt(0)
	v_mul_f64 v[40:41], v[8:9], v[16:17]
	v_mul_f64 v[16:17], v[6:7], v[16:17]
	v_fma_f64 v[40:41], v[6:7], v[14:15], -v[40:41]
	v_fma_f64 v[14:15], v[8:9], v[14:15], v[16:17]
	v_add_f64 v[34:35], v[34:35], v[40:41]
	v_add_f64 v[36:37], v[14:15], v[36:37]
	v_mul_f64 v[14:15], v[8:9], v[20:21]
	v_fma_f64 v[14:15], v[6:7], v[18:19], -v[14:15]
	v_mul_f64 v[6:7], v[6:7], v[20:21]
	v_add_f64 v[28:29], v[28:29], v[14:15]
	v_fma_f64 v[6:7], v[8:9], v[18:19], v[6:7]
	v_add_f64 v[30:31], v[6:7], v[30:31]
	ds_read_b128 v[6:9], v25 offset:96
	;; [unrolled: 31-line block ×3, first 2 shown]
	ds_read_b128 v[16:19], v24 offset:3584
	ds_read_b128 v[28:31], v24 offset:3840
	s_waitcnt lgkmcnt(1)
	v_mul_f64 v[14:15], v[8:9], v[18:19]
	v_mul_f64 v[20:21], v[6:7], v[18:19]
	v_fma_f64 v[14:15], v[6:7], v[16:17], -v[14:15]
	v_fma_f64 v[20:21], v[8:9], v[16:17], v[20:21]
	v_add_f64 v[10:11], v[10:11], v[14:15]
	s_waitcnt lgkmcnt(0)
	v_mul_f64 v[14:15], v[8:9], v[30:31]
	v_add_f64 v[20:21], v[20:21], v[38:39]
	v_fma_f64 v[14:15], v[6:7], v[28:29], -v[14:15]
	v_mul_f64 v[6:7], v[6:7], v[30:31]
	v_add_f64 v[2:3], v[2:3], v[14:15]
	v_fma_f64 v[6:7], v[8:9], v[28:29], v[6:7]
	v_add_f64 v[14:15], v[6:7], v[32:33]
	ds_read_b128 v[32:35], v25 offset:2160
	s_waitcnt lgkmcnt(0)
	s_barrier
	v_mul_f64 v[6:7], v[34:35], v[18:19]
	v_mul_f64 v[8:9], v[32:33], v[18:19]
	v_fma_f64 v[6:7], v[32:33], v[16:17], -v[6:7]
	v_fma_f64 v[16:17], v[34:35], v[16:17], v[8:9]
	v_add_f64 v[8:9], v[40:41], v[6:7]
	v_add_f64 v[18:19], v[16:17], v[36:37]
	v_mul_f64 v[6:7], v[34:35], v[30:31]
	v_mul_f64 v[16:17], v[32:33], v[30:31]
	v_fma_f64 v[6:7], v[32:33], v[28:29], -v[6:7]
	v_fma_f64 v[16:17], v[34:35], v[28:29], v[16:17]
	v_add_f64 v[6:7], v[42:43], v[6:7]
	v_add_f64 v[16:17], v[16:17], v[44:45]
	s_cbranch_scc0 .LBB404_2
	s_branch .LBB404_4
.LBB404_3:
	v_mov_b32_e32 v10, 0
	v_mov_b32_e32 v20, 0
	;; [unrolled: 1-line block ×16, first 2 shown]
.LBB404_4:
	s_load_dwordx2 s[0:1], s[4:5], 0x48
	s_load_dword s6, s[4:5], 0x40
	v_add_u32_e32 v22, s16, v1
	v_add_u32_e32 v0, s9, v0
	v_cmp_gt_i32_e32 vcc, s10, v22
	s_waitcnt lgkmcnt(0)
	s_mul_i32 s1, s1, s8
	v_mad_i64_i32 v[4:5], s[12:13], v22, s6, 0
	s_mul_hi_u32 s4, s0, s8
	s_mul_i32 s0, s0, s8
	s_add_i32 s1, s4, s1
	s_lshl_b64 s[0:1], s[0:1], 4
	s_add_u32 s4, s2, s0
	v_lshlrev_b64 v[4:5], 4, v[4:5]
	s_addc_u32 s5, s3, s1
	v_mov_b32_e32 v1, s5
	v_add_co_u32_e64 v4, s[0:1], s4, v4
	v_addc_co_u32_e64 v5, s[0:1], v1, v5, s[0:1]
	v_cmp_le_i32_e64 s[0:1], v0, v22
	s_and_b64 s[0:1], vcc, s[0:1]
	s_and_saveexec_b64 s[2:3], s[0:1]
	s_cbranch_execz .LBB404_6
; %bb.5:
	v_ashrrev_i32_e32 v1, 31, v0
	v_lshlrev_b64 v[12:13], 4, v[0:1]
	v_add_co_u32_e64 v23, s[0:1], v4, v12
	v_addc_co_u32_e64 v24, s[0:1], v5, v13, s[0:1]
	v_cmp_ne_u32_e64 s[0:1], v22, v0
	v_cndmask_b32_e64 v13, 0, v21, s[0:1]
	v_cndmask_b32_e64 v12, 0, v20, s[0:1]
	global_store_dwordx4 v[23:24], v[10:13], off
.LBB404_6:
	s_or_b64 exec, exec, s[2:3]
	v_add_u32_e32 v12, 16, v0
	v_cmp_le_i32_e64 s[0:1], v12, v22
	s_and_b64 s[2:3], vcc, s[0:1]
	s_and_saveexec_b64 s[0:1], s[2:3]
	s_cbranch_execz .LBB404_8
; %bb.7:
	v_ashrrev_i32_e32 v13, 31, v12
	v_lshlrev_b64 v[10:11], 4, v[12:13]
	v_add_co_u32_e32 v10, vcc, v4, v10
	v_addc_co_u32_e32 v11, vcc, v5, v11, vcc
	v_cmp_ne_u32_e32 vcc, v22, v12
	v_cndmask_b32_e32 v5, 0, v15, vcc
	v_cndmask_b32_e32 v4, 0, v14, vcc
	global_store_dwordx4 v[10:11], v[2:5], off
.LBB404_8:
	s_or_b64 exec, exec, s[0:1]
	v_add_u32_e32 v4, 16, v22
	v_mad_i64_i32 v[1:2], s[0:1], v4, s6, 0
	v_mov_b32_e32 v5, s5
	v_cmp_gt_i32_e32 vcc, s10, v4
	v_lshlrev_b64 v[2:3], 4, v[1:2]
	v_add_co_u32_e64 v2, s[0:1], s4, v2
	v_addc_co_u32_e64 v3, s[0:1], v5, v3, s[0:1]
	v_cmp_le_i32_e64 s[0:1], v0, v4
	s_and_b64 s[0:1], vcc, s[0:1]
	s_and_saveexec_b64 s[2:3], s[0:1]
	s_cbranch_execz .LBB404_10
; %bb.9:
	v_ashrrev_i32_e32 v1, 31, v0
	v_lshlrev_b64 v[10:11], 4, v[0:1]
	v_add_co_u32_e64 v13, s[0:1], v2, v10
	v_addc_co_u32_e64 v14, s[0:1], v3, v11, s[0:1]
	v_cmp_ne_u32_e64 s[0:1], v4, v0
	v_cndmask_b32_e64 v11, 0, v19, s[0:1]
	v_cndmask_b32_e64 v10, 0, v18, s[0:1]
	global_store_dwordx4 v[13:14], v[8:11], off
.LBB404_10:
	s_or_b64 exec, exec, s[2:3]
	v_cmp_le_i32_e64 s[0:1], v12, v4
	s_and_b64 s[0:1], vcc, s[0:1]
	s_and_saveexec_b64 s[2:3], s[0:1]
	s_cbranch_execz .LBB404_12
; %bb.11:
	v_ashrrev_i32_e32 v13, 31, v12
	v_lshlrev_b64 v[4:5], 4, v[12:13]
	v_add_co_u32_e32 v1, vcc, v2, v4
	v_addc_co_u32_e32 v2, vcc, v3, v5, vcc
	v_cmp_ne_u32_e32 vcc, v22, v0
	v_cndmask_b32_e32 v9, 0, v17, vcc
	v_cndmask_b32_e32 v8, 0, v16, vcc
	global_store_dwordx4 v[1:2], v[6:9], off
.LBB404_12:
	s_endpgm
	.section	.rodata,"a",@progbits
	.p2align	6, 0x0
	.amdhsa_kernel _ZL37rocblas_syrkx_herkx_restricted_kernelIi19rocblas_complex_numIdELi16ELi32ELi8ELi1ELi0ELb1ELc78ELc85EKS1_S1_EviT_PT9_S3_lS5_S3_lPT10_S3_li
		.amdhsa_group_segment_fixed_size 8192
		.amdhsa_private_segment_fixed_size 0
		.amdhsa_kernarg_size 84
		.amdhsa_user_sgpr_count 6
		.amdhsa_user_sgpr_private_segment_buffer 1
		.amdhsa_user_sgpr_dispatch_ptr 0
		.amdhsa_user_sgpr_queue_ptr 0
		.amdhsa_user_sgpr_kernarg_segment_ptr 1
		.amdhsa_user_sgpr_dispatch_id 0
		.amdhsa_user_sgpr_flat_scratch_init 0
		.amdhsa_user_sgpr_private_segment_size 0
		.amdhsa_uses_dynamic_stack 0
		.amdhsa_system_sgpr_private_segment_wavefront_offset 0
		.amdhsa_system_sgpr_workgroup_id_x 1
		.amdhsa_system_sgpr_workgroup_id_y 1
		.amdhsa_system_sgpr_workgroup_id_z 1
		.amdhsa_system_sgpr_workgroup_info 0
		.amdhsa_system_vgpr_workitem_id 1
		.amdhsa_next_free_vgpr 54
		.amdhsa_next_free_sgpr 61
		.amdhsa_reserve_vcc 1
		.amdhsa_reserve_flat_scratch 0
		.amdhsa_float_round_mode_32 0
		.amdhsa_float_round_mode_16_64 0
		.amdhsa_float_denorm_mode_32 3
		.amdhsa_float_denorm_mode_16_64 3
		.amdhsa_dx10_clamp 1
		.amdhsa_ieee_mode 1
		.amdhsa_fp16_overflow 0
		.amdhsa_exception_fp_ieee_invalid_op 0
		.amdhsa_exception_fp_denorm_src 0
		.amdhsa_exception_fp_ieee_div_zero 0
		.amdhsa_exception_fp_ieee_overflow 0
		.amdhsa_exception_fp_ieee_underflow 0
		.amdhsa_exception_fp_ieee_inexact 0
		.amdhsa_exception_int_div_zero 0
	.end_amdhsa_kernel
	.section	.text._ZL37rocblas_syrkx_herkx_restricted_kernelIi19rocblas_complex_numIdELi16ELi32ELi8ELi1ELi0ELb1ELc78ELc85EKS1_S1_EviT_PT9_S3_lS5_S3_lPT10_S3_li,"axG",@progbits,_ZL37rocblas_syrkx_herkx_restricted_kernelIi19rocblas_complex_numIdELi16ELi32ELi8ELi1ELi0ELb1ELc78ELc85EKS1_S1_EviT_PT9_S3_lS5_S3_lPT10_S3_li,comdat
.Lfunc_end404:
	.size	_ZL37rocblas_syrkx_herkx_restricted_kernelIi19rocblas_complex_numIdELi16ELi32ELi8ELi1ELi0ELb1ELc78ELc85EKS1_S1_EviT_PT9_S3_lS5_S3_lPT10_S3_li, .Lfunc_end404-_ZL37rocblas_syrkx_herkx_restricted_kernelIi19rocblas_complex_numIdELi16ELi32ELi8ELi1ELi0ELb1ELc78ELc85EKS1_S1_EviT_PT9_S3_lS5_S3_lPT10_S3_li
                                        ; -- End function
	.set _ZL37rocblas_syrkx_herkx_restricted_kernelIi19rocblas_complex_numIdELi16ELi32ELi8ELi1ELi0ELb1ELc78ELc85EKS1_S1_EviT_PT9_S3_lS5_S3_lPT10_S3_li.num_vgpr, 54
	.set _ZL37rocblas_syrkx_herkx_restricted_kernelIi19rocblas_complex_numIdELi16ELi32ELi8ELi1ELi0ELb1ELc78ELc85EKS1_S1_EviT_PT9_S3_lS5_S3_lPT10_S3_li.num_agpr, 0
	.set _ZL37rocblas_syrkx_herkx_restricted_kernelIi19rocblas_complex_numIdELi16ELi32ELi8ELi1ELi0ELb1ELc78ELc85EKS1_S1_EviT_PT9_S3_lS5_S3_lPT10_S3_li.numbered_sgpr, 25
	.set _ZL37rocblas_syrkx_herkx_restricted_kernelIi19rocblas_complex_numIdELi16ELi32ELi8ELi1ELi0ELb1ELc78ELc85EKS1_S1_EviT_PT9_S3_lS5_S3_lPT10_S3_li.num_named_barrier, 0
	.set _ZL37rocblas_syrkx_herkx_restricted_kernelIi19rocblas_complex_numIdELi16ELi32ELi8ELi1ELi0ELb1ELc78ELc85EKS1_S1_EviT_PT9_S3_lS5_S3_lPT10_S3_li.private_seg_size, 0
	.set _ZL37rocblas_syrkx_herkx_restricted_kernelIi19rocblas_complex_numIdELi16ELi32ELi8ELi1ELi0ELb1ELc78ELc85EKS1_S1_EviT_PT9_S3_lS5_S3_lPT10_S3_li.uses_vcc, 1
	.set _ZL37rocblas_syrkx_herkx_restricted_kernelIi19rocblas_complex_numIdELi16ELi32ELi8ELi1ELi0ELb1ELc78ELc85EKS1_S1_EviT_PT9_S3_lS5_S3_lPT10_S3_li.uses_flat_scratch, 0
	.set _ZL37rocblas_syrkx_herkx_restricted_kernelIi19rocblas_complex_numIdELi16ELi32ELi8ELi1ELi0ELb1ELc78ELc85EKS1_S1_EviT_PT9_S3_lS5_S3_lPT10_S3_li.has_dyn_sized_stack, 0
	.set _ZL37rocblas_syrkx_herkx_restricted_kernelIi19rocblas_complex_numIdELi16ELi32ELi8ELi1ELi0ELb1ELc78ELc85EKS1_S1_EviT_PT9_S3_lS5_S3_lPT10_S3_li.has_recursion, 0
	.set _ZL37rocblas_syrkx_herkx_restricted_kernelIi19rocblas_complex_numIdELi16ELi32ELi8ELi1ELi0ELb1ELc78ELc85EKS1_S1_EviT_PT9_S3_lS5_S3_lPT10_S3_li.has_indirect_call, 0
	.section	.AMDGPU.csdata,"",@progbits
; Kernel info:
; codeLenInByte = 2868
; TotalNumSgprs: 29
; NumVgprs: 54
; ScratchSize: 0
; MemoryBound: 0
; FloatMode: 240
; IeeeMode: 1
; LDSByteSize: 8192 bytes/workgroup (compile time only)
; SGPRBlocks: 8
; VGPRBlocks: 13
; NumSGPRsForWavesPerEU: 65
; NumVGPRsForWavesPerEU: 54
; Occupancy: 4
; WaveLimiterHint : 0
; COMPUTE_PGM_RSRC2:SCRATCH_EN: 0
; COMPUTE_PGM_RSRC2:USER_SGPR: 6
; COMPUTE_PGM_RSRC2:TRAP_HANDLER: 0
; COMPUTE_PGM_RSRC2:TGID_X_EN: 1
; COMPUTE_PGM_RSRC2:TGID_Y_EN: 1
; COMPUTE_PGM_RSRC2:TGID_Z_EN: 1
; COMPUTE_PGM_RSRC2:TIDIG_COMP_CNT: 1
	.section	.text._ZL37rocblas_syrkx_herkx_restricted_kernelIi19rocblas_complex_numIdELi16ELi32ELi8ELin1ELi0ELb1ELc84ELc76EKS1_S1_EviT_PT9_S3_lS5_S3_lPT10_S3_li,"axG",@progbits,_ZL37rocblas_syrkx_herkx_restricted_kernelIi19rocblas_complex_numIdELi16ELi32ELi8ELin1ELi0ELb1ELc84ELc76EKS1_S1_EviT_PT9_S3_lS5_S3_lPT10_S3_li,comdat
	.globl	_ZL37rocblas_syrkx_herkx_restricted_kernelIi19rocblas_complex_numIdELi16ELi32ELi8ELin1ELi0ELb1ELc84ELc76EKS1_S1_EviT_PT9_S3_lS5_S3_lPT10_S3_li ; -- Begin function _ZL37rocblas_syrkx_herkx_restricted_kernelIi19rocblas_complex_numIdELi16ELi32ELi8ELin1ELi0ELb1ELc84ELc76EKS1_S1_EviT_PT9_S3_lS5_S3_lPT10_S3_li
	.p2align	8
	.type	_ZL37rocblas_syrkx_herkx_restricted_kernelIi19rocblas_complex_numIdELi16ELi32ELi8ELin1ELi0ELb1ELc84ELc76EKS1_S1_EviT_PT9_S3_lS5_S3_lPT10_S3_li,@function
_ZL37rocblas_syrkx_herkx_restricted_kernelIi19rocblas_complex_numIdELi16ELi32ELi8ELin1ELi0ELb1ELc84ELc76EKS1_S1_EviT_PT9_S3_lS5_S3_lPT10_S3_li: ; @_ZL37rocblas_syrkx_herkx_restricted_kernelIi19rocblas_complex_numIdELi16ELi32ELi8ELin1ELi0ELb1ELc84ELc76EKS1_S1_EviT_PT9_S3_lS5_S3_lPT10_S3_li
; %bb.0:
	s_load_dwordx2 s[10:11], s[4:5], 0x0
	s_load_dwordx4 s[0:3], s[4:5], 0x30
	s_lshl_b32 s6, s6, 5
	s_lshl_b32 s7, s7, 5
	s_mov_b32 s9, 0
	s_waitcnt lgkmcnt(0)
	s_cmp_lt_i32 s11, 1
	s_cbranch_scc1 .LBB405_3
; %bb.1:
	s_load_dwordx2 s[16:17], s[4:5], 0x8
	s_load_dword s20, s[4:5], 0x10
	s_load_dwordx4 s[12:15], s[4:5], 0x18
	s_load_dword s18, s[4:5], 0x28
	v_lshl_add_u32 v4, v1, 4, v0
	v_lshrrev_b32_e32 v8, 3, v4
	v_add_u32_e32 v5, s7, v8
	v_and_b32_e32 v2, 7, v0
	v_mov_b32_e32 v3, 0
	s_waitcnt lgkmcnt(0)
	v_mad_i64_i32 v[6:7], s[18:19], s18, v5, v[2:3]
	v_lshlrev_b32_e32 v2, 4, v2
	v_lshl_or_b32 v2, v8, 7, v2
	v_and_b32_e32 v9, 31, v4
	v_add_u32_e32 v23, 0x1000, v2
	v_mov_b32_e32 v2, 0x1000
	v_lshrrev_b32_e32 v4, 5, v4
	v_mov_b32_e32 v5, v3
	v_lshlrev_b32_e32 v3, 4, v9
	v_lshl_add_u32 v25, v1, 7, v2
	v_add_u32_e32 v2, s6, v9
	v_lshl_or_b32 v22, v4, 9, v3
	v_mad_i64_i32 v[2:3], s[18:19], s20, v2, v[4:5]
	s_mul_i32 s13, s13, s8
	s_mul_hi_u32 s21, s12, s8
	s_add_i32 s13, s21, s13
	s_mul_i32 s12, s12, s8
	s_lshl_b64 s[12:13], s[12:13], 4
	v_lshlrev_b64 v[2:3], 4, v[2:3]
	s_add_u32 s12, s16, s12
	s_addc_u32 s13, s17, s13
	v_mov_b32_e32 v4, s13
	v_add_co_u32_e32 v2, vcc, s12, v2
	s_mul_i32 s1, s1, s8
	s_mul_hi_u32 s12, s0, s8
	v_addc_co_u32_e32 v3, vcc, v4, v3, vcc
	s_add_i32 s1, s12, s1
	s_mul_i32 s0, s0, s8
	v_add_co_u32_e32 v4, vcc, 8, v2
	s_lshl_b64 s[0:1], s[0:1], 4
	v_addc_co_u32_e32 v5, vcc, 0, v3, vcc
	v_lshlrev_b64 v[2:3], 4, v[6:7]
	s_add_u32 s0, s14, s0
	s_addc_u32 s1, s15, s1
	v_mov_b32_e32 v6, s1
	v_add_co_u32_e32 v12, vcc, s0, v2
	v_addc_co_u32_e32 v13, vcc, v6, v3, vcc
	v_mov_b32_e32 v16, 0
	v_mov_b32_e32 v6, 0
	v_mov_b32_e32 v18, 0
	v_mov_b32_e32 v8, 0
	v_mov_b32_e32 v14, 0
	v_mov_b32_e32 v2, 0
	v_mov_b32_e32 v20, 0
	v_mov_b32_e32 v10, 0
	v_add_co_u32_e32 v12, vcc, 8, v12
	v_lshlrev_b32_e32 v24, 4, v0
	v_mov_b32_e32 v17, 0
	v_mov_b32_e32 v7, 0
	v_mov_b32_e32 v19, 0
	v_mov_b32_e32 v9, 0
	v_mov_b32_e32 v15, 0
	v_mov_b32_e32 v3, 0
	v_mov_b32_e32 v21, 0
	v_mov_b32_e32 v11, 0
	v_addc_co_u32_e32 v13, vcc, 0, v13, vcc
.LBB405_2:                              ; =>This Inner Loop Header: Depth=1
	global_load_dwordx4 v[26:29], v[4:5], off offset:-8
	v_add_co_u32_e32 v4, vcc, 0x80, v4
	v_addc_co_u32_e32 v5, vcc, 0, v5, vcc
	s_add_i32 s9, s9, 8
	s_cmp_ge_i32 s9, s11
	s_waitcnt vmcnt(0)
	ds_write_b128 v22, v[26:29]
	global_load_dwordx4 v[26:29], v[12:13], off offset:-8
	v_add_co_u32_e32 v12, vcc, 0x80, v12
	v_addc_co_u32_e32 v13, vcc, 0, v13, vcc
	s_waitcnt vmcnt(0)
	ds_write_b128 v23, v[26:29]
	s_waitcnt lgkmcnt(0)
	s_barrier
	ds_read_b128 v[26:29], v25
	ds_read_b128 v[30:33], v25 offset:16
	ds_read_b128 v[34:37], v25 offset:32
	;; [unrolled: 1-line block ×3, first 2 shown]
	ds_read_b128 v[42:45], v24
	s_waitcnt lgkmcnt(0)
	v_mul_f64 v[46:47], v[28:29], v[44:45]
	v_mul_f64 v[48:49], v[26:27], v[44:45]
	v_fma_f64 v[46:47], v[26:27], v[42:43], -v[46:47]
	v_fma_f64 v[48:49], v[28:29], v[42:43], v[48:49]
	v_add_f64 v[10:11], v[10:11], v[46:47]
	v_add_f64 v[20:21], v[48:49], v[20:21]
	ds_read_b128 v[46:49], v24 offset:256
	s_waitcnt lgkmcnt(0)
	v_mul_f64 v[50:51], v[28:29], v[48:49]
	v_fma_f64 v[50:51], v[26:27], v[46:47], -v[50:51]
	v_mul_f64 v[26:27], v[26:27], v[48:49]
	v_add_f64 v[2:3], v[2:3], v[50:51]
	v_fma_f64 v[26:27], v[28:29], v[46:47], v[26:27]
	v_add_f64 v[50:51], v[26:27], v[14:15]
	ds_read_b128 v[26:29], v25 offset:2048
	s_waitcnt lgkmcnt(0)
	v_mul_f64 v[14:15], v[28:29], v[44:45]
	v_mul_f64 v[44:45], v[26:27], v[44:45]
	v_fma_f64 v[14:15], v[26:27], v[42:43], -v[14:15]
	v_fma_f64 v[42:43], v[28:29], v[42:43], v[44:45]
	v_add_f64 v[44:45], v[8:9], v[14:15]
	v_mul_f64 v[8:9], v[28:29], v[48:49]
	v_mul_f64 v[14:15], v[26:27], v[48:49]
	v_add_f64 v[42:43], v[42:43], v[18:19]
	v_fma_f64 v[8:9], v[26:27], v[46:47], -v[8:9]
	v_fma_f64 v[14:15], v[28:29], v[46:47], v[14:15]
	v_add_f64 v[26:27], v[6:7], v[8:9]
	ds_read_b128 v[6:9], v24 offset:512
	v_add_f64 v[28:29], v[14:15], v[16:17]
	s_waitcnt lgkmcnt(0)
	v_mul_f64 v[14:15], v[32:33], v[8:9]
	v_mul_f64 v[16:17], v[30:31], v[8:9]
	v_fma_f64 v[14:15], v[30:31], v[6:7], -v[14:15]
	v_fma_f64 v[16:17], v[32:33], v[6:7], v[16:17]
	v_add_f64 v[10:11], v[10:11], v[14:15]
	v_add_f64 v[46:47], v[16:17], v[20:21]
	ds_read_b128 v[14:17], v24 offset:768
	s_waitcnt lgkmcnt(0)
	v_mul_f64 v[18:19], v[32:33], v[16:17]
	v_mul_f64 v[20:21], v[30:31], v[16:17]
	v_fma_f64 v[18:19], v[30:31], v[14:15], -v[18:19]
	v_fma_f64 v[20:21], v[32:33], v[14:15], v[20:21]
	v_add_f64 v[2:3], v[2:3], v[18:19]
	v_add_f64 v[30:31], v[20:21], v[50:51]
	ds_read_b128 v[18:21], v25 offset:2064
	s_waitcnt lgkmcnt(0)
	v_mul_f64 v[32:33], v[20:21], v[8:9]
	v_mul_f64 v[8:9], v[18:19], v[8:9]
	v_fma_f64 v[32:33], v[18:19], v[6:7], -v[32:33]
	v_fma_f64 v[6:7], v[20:21], v[6:7], v[8:9]
	v_mul_f64 v[8:9], v[18:19], v[16:17]
	v_add_f64 v[32:33], v[44:45], v[32:33]
	v_add_f64 v[42:43], v[6:7], v[42:43]
	v_mul_f64 v[6:7], v[20:21], v[16:17]
	v_fma_f64 v[8:9], v[20:21], v[14:15], v[8:9]
	v_fma_f64 v[6:7], v[18:19], v[14:15], -v[6:7]
	v_add_f64 v[28:29], v[8:9], v[28:29]
	v_add_f64 v[26:27], v[26:27], v[6:7]
	ds_read_b128 v[6:9], v24 offset:1024
	s_waitcnt lgkmcnt(0)
	v_mul_f64 v[14:15], v[36:37], v[8:9]
	v_mul_f64 v[16:17], v[34:35], v[8:9]
	v_fma_f64 v[14:15], v[34:35], v[6:7], -v[14:15]
	v_fma_f64 v[16:17], v[36:37], v[6:7], v[16:17]
	v_add_f64 v[10:11], v[10:11], v[14:15]
	v_add_f64 v[44:45], v[16:17], v[46:47]
	ds_read_b128 v[14:17], v24 offset:1280
	s_waitcnt lgkmcnt(0)
	v_mul_f64 v[18:19], v[36:37], v[16:17]
	v_mul_f64 v[20:21], v[34:35], v[16:17]
	v_fma_f64 v[18:19], v[34:35], v[14:15], -v[18:19]
	v_fma_f64 v[20:21], v[36:37], v[14:15], v[20:21]
	v_add_f64 v[2:3], v[2:3], v[18:19]
	v_add_f64 v[30:31], v[20:21], v[30:31]
	ds_read_b128 v[18:21], v25 offset:2080
	s_waitcnt lgkmcnt(0)
	v_mul_f64 v[34:35], v[20:21], v[8:9]
	v_mul_f64 v[8:9], v[18:19], v[8:9]
	v_fma_f64 v[34:35], v[18:19], v[6:7], -v[34:35]
	v_fma_f64 v[6:7], v[20:21], v[6:7], v[8:9]
	v_mul_f64 v[8:9], v[18:19], v[16:17]
	v_add_f64 v[32:33], v[32:33], v[34:35]
	v_add_f64 v[34:35], v[6:7], v[42:43]
	v_mul_f64 v[6:7], v[20:21], v[16:17]
	v_fma_f64 v[8:9], v[20:21], v[14:15], v[8:9]
	v_fma_f64 v[6:7], v[18:19], v[14:15], -v[6:7]
	v_add_f64 v[28:29], v[8:9], v[28:29]
	v_add_f64 v[26:27], v[26:27], v[6:7]
	ds_read_b128 v[6:9], v24 offset:1536
	s_waitcnt lgkmcnt(0)
	v_mul_f64 v[14:15], v[40:41], v[8:9]
	v_mul_f64 v[16:17], v[38:39], v[8:9]
	v_fma_f64 v[14:15], v[38:39], v[6:7], -v[14:15]
	v_fma_f64 v[16:17], v[40:41], v[6:7], v[16:17]
	v_add_f64 v[10:11], v[10:11], v[14:15]
	v_add_f64 v[36:37], v[16:17], v[44:45]
	ds_read_b128 v[14:17], v24 offset:1792
	s_waitcnt lgkmcnt(0)
	v_mul_f64 v[18:19], v[40:41], v[16:17]
	v_mul_f64 v[20:21], v[38:39], v[16:17]
	v_fma_f64 v[18:19], v[38:39], v[14:15], -v[18:19]
	v_fma_f64 v[20:21], v[40:41], v[14:15], v[20:21]
	v_add_f64 v[2:3], v[2:3], v[18:19]
	v_add_f64 v[30:31], v[20:21], v[30:31]
	ds_read_b128 v[18:21], v25 offset:2096
	s_waitcnt lgkmcnt(0)
	v_mul_f64 v[38:39], v[20:21], v[8:9]
	v_mul_f64 v[8:9], v[18:19], v[8:9]
	v_fma_f64 v[38:39], v[18:19], v[6:7], -v[38:39]
	v_fma_f64 v[6:7], v[20:21], v[6:7], v[8:9]
	v_mul_f64 v[8:9], v[18:19], v[16:17]
	v_add_f64 v[32:33], v[32:33], v[38:39]
	v_add_f64 v[34:35], v[6:7], v[34:35]
	v_mul_f64 v[6:7], v[20:21], v[16:17]
	v_fma_f64 v[8:9], v[20:21], v[14:15], v[8:9]
	v_fma_f64 v[6:7], v[18:19], v[14:15], -v[6:7]
	v_add_f64 v[28:29], v[8:9], v[28:29]
	v_add_f64 v[26:27], v[26:27], v[6:7]
	ds_read_b128 v[6:9], v25 offset:64
	ds_read_b128 v[14:17], v24 offset:2048
	s_waitcnt lgkmcnt(0)
	v_mul_f64 v[18:19], v[8:9], v[16:17]
	v_mul_f64 v[20:21], v[6:7], v[16:17]
	v_fma_f64 v[18:19], v[6:7], v[14:15], -v[18:19]
	v_fma_f64 v[20:21], v[8:9], v[14:15], v[20:21]
	v_add_f64 v[10:11], v[10:11], v[18:19]
	v_add_f64 v[36:37], v[20:21], v[36:37]
	ds_read_b128 v[18:21], v24 offset:2304
	s_waitcnt lgkmcnt(0)
	v_mul_f64 v[38:39], v[8:9], v[20:21]
	v_fma_f64 v[38:39], v[6:7], v[18:19], -v[38:39]
	v_mul_f64 v[6:7], v[6:7], v[20:21]
	v_add_f64 v[2:3], v[2:3], v[38:39]
	v_fma_f64 v[6:7], v[8:9], v[18:19], v[6:7]
	v_add_f64 v[30:31], v[6:7], v[30:31]
	ds_read_b128 v[6:9], v25 offset:2112
	s_waitcnt lgkmcnt(0)
	v_mul_f64 v[38:39], v[8:9], v[16:17]
	v_mul_f64 v[16:17], v[6:7], v[16:17]
	v_fma_f64 v[38:39], v[6:7], v[14:15], -v[38:39]
	v_fma_f64 v[14:15], v[8:9], v[14:15], v[16:17]
	v_add_f64 v[32:33], v[32:33], v[38:39]
	v_add_f64 v[34:35], v[14:15], v[34:35]
	v_mul_f64 v[14:15], v[8:9], v[20:21]
	v_fma_f64 v[14:15], v[6:7], v[18:19], -v[14:15]
	v_mul_f64 v[6:7], v[6:7], v[20:21]
	v_add_f64 v[26:27], v[26:27], v[14:15]
	v_fma_f64 v[6:7], v[8:9], v[18:19], v[6:7]
	v_add_f64 v[28:29], v[6:7], v[28:29]
	ds_read_b128 v[6:9], v25 offset:80
	ds_read_b128 v[14:17], v24 offset:2560
	s_waitcnt lgkmcnt(0)
	v_mul_f64 v[18:19], v[8:9], v[16:17]
	v_mul_f64 v[20:21], v[6:7], v[16:17]
	v_fma_f64 v[18:19], v[6:7], v[14:15], -v[18:19]
	v_fma_f64 v[20:21], v[8:9], v[14:15], v[20:21]
	v_add_f64 v[10:11], v[10:11], v[18:19]
	v_add_f64 v[36:37], v[20:21], v[36:37]
	ds_read_b128 v[18:21], v24 offset:2816
	s_waitcnt lgkmcnt(0)
	v_mul_f64 v[38:39], v[8:9], v[20:21]
	v_fma_f64 v[38:39], v[6:7], v[18:19], -v[38:39]
	v_mul_f64 v[6:7], v[6:7], v[20:21]
	v_add_f64 v[2:3], v[2:3], v[38:39]
	v_fma_f64 v[6:7], v[8:9], v[18:19], v[6:7]
	v_add_f64 v[30:31], v[6:7], v[30:31]
	ds_read_b128 v[6:9], v25 offset:2128
	s_waitcnt lgkmcnt(0)
	v_mul_f64 v[38:39], v[8:9], v[16:17]
	v_mul_f64 v[16:17], v[6:7], v[16:17]
	v_fma_f64 v[38:39], v[6:7], v[14:15], -v[38:39]
	v_fma_f64 v[14:15], v[8:9], v[14:15], v[16:17]
	v_add_f64 v[32:33], v[32:33], v[38:39]
	v_add_f64 v[34:35], v[14:15], v[34:35]
	v_mul_f64 v[14:15], v[8:9], v[20:21]
	v_fma_f64 v[14:15], v[6:7], v[18:19], -v[14:15]
	v_mul_f64 v[6:7], v[6:7], v[20:21]
	v_add_f64 v[26:27], v[26:27], v[14:15]
	v_fma_f64 v[6:7], v[8:9], v[18:19], v[6:7]
	v_add_f64 v[28:29], v[6:7], v[28:29]
	ds_read_b128 v[6:9], v25 offset:96
	;; [unrolled: 31-line block ×3, first 2 shown]
	ds_read_b128 v[16:19], v24 offset:3584
	ds_read_b128 v[26:29], v24 offset:3840
	s_waitcnt lgkmcnt(1)
	v_mul_f64 v[14:15], v[8:9], v[18:19]
	v_mul_f64 v[20:21], v[6:7], v[18:19]
	v_fma_f64 v[14:15], v[6:7], v[16:17], -v[14:15]
	v_fma_f64 v[20:21], v[8:9], v[16:17], v[20:21]
	v_add_f64 v[10:11], v[10:11], v[14:15]
	s_waitcnt lgkmcnt(0)
	v_mul_f64 v[14:15], v[8:9], v[28:29]
	v_add_f64 v[20:21], v[20:21], v[36:37]
	v_fma_f64 v[14:15], v[6:7], v[26:27], -v[14:15]
	v_mul_f64 v[6:7], v[6:7], v[28:29]
	v_add_f64 v[2:3], v[2:3], v[14:15]
	v_fma_f64 v[6:7], v[8:9], v[26:27], v[6:7]
	v_add_f64 v[14:15], v[6:7], v[30:31]
	ds_read_b128 v[30:33], v25 offset:2160
	s_waitcnt lgkmcnt(0)
	s_barrier
	v_mul_f64 v[6:7], v[32:33], v[18:19]
	v_mul_f64 v[8:9], v[30:31], v[18:19]
	v_fma_f64 v[6:7], v[30:31], v[16:17], -v[6:7]
	v_fma_f64 v[16:17], v[32:33], v[16:17], v[8:9]
	v_add_f64 v[8:9], v[38:39], v[6:7]
	v_add_f64 v[18:19], v[16:17], v[34:35]
	v_mul_f64 v[6:7], v[32:33], v[28:29]
	v_mul_f64 v[16:17], v[30:31], v[28:29]
	v_fma_f64 v[6:7], v[30:31], v[26:27], -v[6:7]
	v_fma_f64 v[16:17], v[32:33], v[26:27], v[16:17]
	v_add_f64 v[6:7], v[40:41], v[6:7]
	v_add_f64 v[16:17], v[16:17], v[42:43]
	s_cbranch_scc0 .LBB405_2
	s_branch .LBB405_4
.LBB405_3:
	v_mov_b32_e32 v10, 0
	v_mov_b32_e32 v20, 0
	;; [unrolled: 1-line block ×16, first 2 shown]
.LBB405_4:
	s_load_dwordx2 s[0:1], s[4:5], 0x48
	s_load_dword s9, s[4:5], 0x40
	v_add_u32_e32 v22, s7, v1
	v_add_u32_e32 v0, s6, v0
	s_waitcnt lgkmcnt(0)
	s_mul_i32 s1, s1, s8
	s_mul_hi_u32 s4, s0, s8
	s_add_i32 s1, s4, s1
	v_mad_i64_i32 v[4:5], s[4:5], v22, s9, 0
	s_mul_i32 s0, s0, s8
	s_lshl_b64 s[0:1], s[0:1], 4
	s_add_u32 s7, s2, s0
	v_lshlrev_b64 v[4:5], 4, v[4:5]
	s_addc_u32 s8, s3, s1
	v_mov_b32_e32 v1, s8
	v_add_co_u32_e32 v4, vcc, s7, v4
	v_addc_co_u32_e32 v5, vcc, v1, v5, vcc
	v_cmp_le_i32_e64 s[0:1], v22, v0
	v_cmp_gt_i32_e32 vcc, s10, v0
	s_and_b64 s[0:1], s[0:1], vcc
	s_and_saveexec_b64 s[2:3], s[0:1]
	s_cbranch_execz .LBB405_6
; %bb.5:
	v_ashrrev_i32_e32 v1, 31, v0
	v_lshlrev_b64 v[12:13], 4, v[0:1]
	v_xor_b32_e32 v11, 0x80000000, v11
	v_add_co_u32_e64 v23, s[0:1], v4, v12
	v_addc_co_u32_e64 v24, s[0:1], v5, v13, s[0:1]
	v_cmp_ne_u32_e64 s[0:1], v22, v0
	v_cndmask_b32_e64 v13, 0, -v21, s[0:1]
	v_cndmask_b32_e64 v12, 0, v20, s[0:1]
	global_store_dwordx4 v[23:24], v[10:13], off
.LBB405_6:
	s_or_b64 exec, exec, s[2:3]
	v_add_u32_e32 v12, 16, v0
	v_cmp_le_i32_e64 s[2:3], v22, v12
	v_cmp_gt_i32_e64 s[0:1], s10, v12
	s_and_b64 s[2:3], s[2:3], s[0:1]
	s_and_saveexec_b64 s[4:5], s[2:3]
	s_cbranch_execz .LBB405_8
; %bb.7:
	v_ashrrev_i32_e32 v13, 31, v12
	v_lshlrev_b64 v[10:11], 4, v[12:13]
	v_xor_b32_e32 v3, 0x80000000, v3
	v_add_co_u32_e64 v10, s[2:3], v4, v10
	v_addc_co_u32_e64 v11, s[2:3], v5, v11, s[2:3]
	v_cmp_ne_u32_e64 s[2:3], v22, v12
	v_cndmask_b32_e64 v5, 0, -v15, s[2:3]
	v_cndmask_b32_e64 v4, 0, v14, s[2:3]
	global_store_dwordx4 v[10:11], v[2:5], off
.LBB405_8:
	s_or_b64 exec, exec, s[4:5]
	v_add_u32_e32 v4, 16, v22
	v_mad_i64_i32 v[1:2], s[2:3], v4, s9, 0
	v_mov_b32_e32 v5, s8
	v_lshlrev_b64 v[2:3], 4, v[1:2]
	v_add_co_u32_e64 v2, s[2:3], s7, v2
	v_addc_co_u32_e64 v3, s[2:3], v5, v3, s[2:3]
	v_cmp_le_i32_e64 s[2:3], v4, v0
	s_and_b64 s[4:5], s[2:3], vcc
	s_and_saveexec_b64 s[2:3], s[4:5]
	s_cbranch_execz .LBB405_10
; %bb.9:
	v_ashrrev_i32_e32 v1, 31, v0
	v_lshlrev_b64 v[10:11], 4, v[0:1]
	v_xor_b32_e32 v9, 0x80000000, v9
	v_add_co_u32_e32 v13, vcc, v2, v10
	v_addc_co_u32_e32 v14, vcc, v3, v11, vcc
	v_cmp_ne_u32_e32 vcc, v4, v0
	v_cndmask_b32_e64 v11, 0, -v19, vcc
	v_cndmask_b32_e32 v10, 0, v18, vcc
	global_store_dwordx4 v[13:14], v[8:11], off
.LBB405_10:
	s_or_b64 exec, exec, s[2:3]
	v_cmp_le_i32_e32 vcc, v4, v12
	s_and_b64 s[0:1], vcc, s[0:1]
	s_and_saveexec_b64 s[2:3], s[0:1]
	s_cbranch_execz .LBB405_12
; %bb.11:
	v_ashrrev_i32_e32 v13, 31, v12
	v_lshlrev_b64 v[4:5], 4, v[12:13]
	v_xor_b32_e32 v7, 0x80000000, v7
	v_add_co_u32_e32 v1, vcc, v2, v4
	v_addc_co_u32_e32 v2, vcc, v3, v5, vcc
	v_cmp_ne_u32_e32 vcc, v22, v0
	v_cndmask_b32_e64 v9, 0, -v17, vcc
	v_cndmask_b32_e32 v8, 0, v16, vcc
	global_store_dwordx4 v[1:2], v[6:9], off
.LBB405_12:
	s_endpgm
	.section	.rodata,"a",@progbits
	.p2align	6, 0x0
	.amdhsa_kernel _ZL37rocblas_syrkx_herkx_restricted_kernelIi19rocblas_complex_numIdELi16ELi32ELi8ELin1ELi0ELb1ELc84ELc76EKS1_S1_EviT_PT9_S3_lS5_S3_lPT10_S3_li
		.amdhsa_group_segment_fixed_size 8192
		.amdhsa_private_segment_fixed_size 0
		.amdhsa_kernarg_size 84
		.amdhsa_user_sgpr_count 6
		.amdhsa_user_sgpr_private_segment_buffer 1
		.amdhsa_user_sgpr_dispatch_ptr 0
		.amdhsa_user_sgpr_queue_ptr 0
		.amdhsa_user_sgpr_kernarg_segment_ptr 1
		.amdhsa_user_sgpr_dispatch_id 0
		.amdhsa_user_sgpr_flat_scratch_init 0
		.amdhsa_user_sgpr_private_segment_size 0
		.amdhsa_uses_dynamic_stack 0
		.amdhsa_system_sgpr_private_segment_wavefront_offset 0
		.amdhsa_system_sgpr_workgroup_id_x 1
		.amdhsa_system_sgpr_workgroup_id_y 1
		.amdhsa_system_sgpr_workgroup_id_z 1
		.amdhsa_system_sgpr_workgroup_info 0
		.amdhsa_system_vgpr_workitem_id 1
		.amdhsa_next_free_vgpr 52
		.amdhsa_next_free_sgpr 61
		.amdhsa_reserve_vcc 1
		.amdhsa_reserve_flat_scratch 0
		.amdhsa_float_round_mode_32 0
		.amdhsa_float_round_mode_16_64 0
		.amdhsa_float_denorm_mode_32 3
		.amdhsa_float_denorm_mode_16_64 3
		.amdhsa_dx10_clamp 1
		.amdhsa_ieee_mode 1
		.amdhsa_fp16_overflow 0
		.amdhsa_exception_fp_ieee_invalid_op 0
		.amdhsa_exception_fp_denorm_src 0
		.amdhsa_exception_fp_ieee_div_zero 0
		.amdhsa_exception_fp_ieee_overflow 0
		.amdhsa_exception_fp_ieee_underflow 0
		.amdhsa_exception_fp_ieee_inexact 0
		.amdhsa_exception_int_div_zero 0
	.end_amdhsa_kernel
	.section	.text._ZL37rocblas_syrkx_herkx_restricted_kernelIi19rocblas_complex_numIdELi16ELi32ELi8ELin1ELi0ELb1ELc84ELc76EKS1_S1_EviT_PT9_S3_lS5_S3_lPT10_S3_li,"axG",@progbits,_ZL37rocblas_syrkx_herkx_restricted_kernelIi19rocblas_complex_numIdELi16ELi32ELi8ELin1ELi0ELb1ELc84ELc76EKS1_S1_EviT_PT9_S3_lS5_S3_lPT10_S3_li,comdat
.Lfunc_end405:
	.size	_ZL37rocblas_syrkx_herkx_restricted_kernelIi19rocblas_complex_numIdELi16ELi32ELi8ELin1ELi0ELb1ELc84ELc76EKS1_S1_EviT_PT9_S3_lS5_S3_lPT10_S3_li, .Lfunc_end405-_ZL37rocblas_syrkx_herkx_restricted_kernelIi19rocblas_complex_numIdELi16ELi32ELi8ELin1ELi0ELb1ELc84ELc76EKS1_S1_EviT_PT9_S3_lS5_S3_lPT10_S3_li
                                        ; -- End function
	.set _ZL37rocblas_syrkx_herkx_restricted_kernelIi19rocblas_complex_numIdELi16ELi32ELi8ELin1ELi0ELb1ELc84ELc76EKS1_S1_EviT_PT9_S3_lS5_S3_lPT10_S3_li.num_vgpr, 52
	.set _ZL37rocblas_syrkx_herkx_restricted_kernelIi19rocblas_complex_numIdELi16ELi32ELi8ELin1ELi0ELb1ELc84ELc76EKS1_S1_EviT_PT9_S3_lS5_S3_lPT10_S3_li.num_agpr, 0
	.set _ZL37rocblas_syrkx_herkx_restricted_kernelIi19rocblas_complex_numIdELi16ELi32ELi8ELin1ELi0ELb1ELc84ELc76EKS1_S1_EviT_PT9_S3_lS5_S3_lPT10_S3_li.numbered_sgpr, 22
	.set _ZL37rocblas_syrkx_herkx_restricted_kernelIi19rocblas_complex_numIdELi16ELi32ELi8ELin1ELi0ELb1ELc84ELc76EKS1_S1_EviT_PT9_S3_lS5_S3_lPT10_S3_li.num_named_barrier, 0
	.set _ZL37rocblas_syrkx_herkx_restricted_kernelIi19rocblas_complex_numIdELi16ELi32ELi8ELin1ELi0ELb1ELc84ELc76EKS1_S1_EviT_PT9_S3_lS5_S3_lPT10_S3_li.private_seg_size, 0
	.set _ZL37rocblas_syrkx_herkx_restricted_kernelIi19rocblas_complex_numIdELi16ELi32ELi8ELin1ELi0ELb1ELc84ELc76EKS1_S1_EviT_PT9_S3_lS5_S3_lPT10_S3_li.uses_vcc, 1
	.set _ZL37rocblas_syrkx_herkx_restricted_kernelIi19rocblas_complex_numIdELi16ELi32ELi8ELin1ELi0ELb1ELc84ELc76EKS1_S1_EviT_PT9_S3_lS5_S3_lPT10_S3_li.uses_flat_scratch, 0
	.set _ZL37rocblas_syrkx_herkx_restricted_kernelIi19rocblas_complex_numIdELi16ELi32ELi8ELin1ELi0ELb1ELc84ELc76EKS1_S1_EviT_PT9_S3_lS5_S3_lPT10_S3_li.has_dyn_sized_stack, 0
	.set _ZL37rocblas_syrkx_herkx_restricted_kernelIi19rocblas_complex_numIdELi16ELi32ELi8ELin1ELi0ELb1ELc84ELc76EKS1_S1_EviT_PT9_S3_lS5_S3_lPT10_S3_li.has_recursion, 0
	.set _ZL37rocblas_syrkx_herkx_restricted_kernelIi19rocblas_complex_numIdELi16ELi32ELi8ELin1ELi0ELb1ELc84ELc76EKS1_S1_EviT_PT9_S3_lS5_S3_lPT10_S3_li.has_indirect_call, 0
	.section	.AMDGPU.csdata,"",@progbits
; Kernel info:
; codeLenInByte = 2876
; TotalNumSgprs: 26
; NumVgprs: 52
; ScratchSize: 0
; MemoryBound: 0
; FloatMode: 240
; IeeeMode: 1
; LDSByteSize: 8192 bytes/workgroup (compile time only)
; SGPRBlocks: 8
; VGPRBlocks: 12
; NumSGPRsForWavesPerEU: 65
; NumVGPRsForWavesPerEU: 52
; Occupancy: 4
; WaveLimiterHint : 0
; COMPUTE_PGM_RSRC2:SCRATCH_EN: 0
; COMPUTE_PGM_RSRC2:USER_SGPR: 6
; COMPUTE_PGM_RSRC2:TRAP_HANDLER: 0
; COMPUTE_PGM_RSRC2:TGID_X_EN: 1
; COMPUTE_PGM_RSRC2:TGID_Y_EN: 1
; COMPUTE_PGM_RSRC2:TGID_Z_EN: 1
; COMPUTE_PGM_RSRC2:TIDIG_COMP_CNT: 1
	.section	.text._ZL37rocblas_syrkx_herkx_restricted_kernelIi19rocblas_complex_numIdELi16ELi32ELi8ELin1ELi0ELb1ELc67ELc76EKS1_S1_EviT_PT9_S3_lS5_S3_lPT10_S3_li,"axG",@progbits,_ZL37rocblas_syrkx_herkx_restricted_kernelIi19rocblas_complex_numIdELi16ELi32ELi8ELin1ELi0ELb1ELc67ELc76EKS1_S1_EviT_PT9_S3_lS5_S3_lPT10_S3_li,comdat
	.globl	_ZL37rocblas_syrkx_herkx_restricted_kernelIi19rocblas_complex_numIdELi16ELi32ELi8ELin1ELi0ELb1ELc67ELc76EKS1_S1_EviT_PT9_S3_lS5_S3_lPT10_S3_li ; -- Begin function _ZL37rocblas_syrkx_herkx_restricted_kernelIi19rocblas_complex_numIdELi16ELi32ELi8ELin1ELi0ELb1ELc67ELc76EKS1_S1_EviT_PT9_S3_lS5_S3_lPT10_S3_li
	.p2align	8
	.type	_ZL37rocblas_syrkx_herkx_restricted_kernelIi19rocblas_complex_numIdELi16ELi32ELi8ELin1ELi0ELb1ELc67ELc76EKS1_S1_EviT_PT9_S3_lS5_S3_lPT10_S3_li,@function
_ZL37rocblas_syrkx_herkx_restricted_kernelIi19rocblas_complex_numIdELi16ELi32ELi8ELin1ELi0ELb1ELc67ELc76EKS1_S1_EviT_PT9_S3_lS5_S3_lPT10_S3_li: ; @_ZL37rocblas_syrkx_herkx_restricted_kernelIi19rocblas_complex_numIdELi16ELi32ELi8ELin1ELi0ELb1ELc67ELc76EKS1_S1_EviT_PT9_S3_lS5_S3_lPT10_S3_li
; %bb.0:
	s_load_dwordx2 s[10:11], s[4:5], 0x0
	s_load_dwordx4 s[0:3], s[4:5], 0x30
	s_lshl_b32 s6, s6, 5
	s_lshl_b32 s7, s7, 5
	s_mov_b32 s9, 0
	s_waitcnt lgkmcnt(0)
	s_cmp_lt_i32 s11, 1
	s_cbranch_scc1 .LBB406_3
; %bb.1:
	s_load_dwordx2 s[16:17], s[4:5], 0x8
	s_load_dword s20, s[4:5], 0x10
	s_load_dwordx4 s[12:15], s[4:5], 0x18
	s_load_dword s18, s[4:5], 0x28
	v_lshl_add_u32 v4, v1, 4, v0
	v_lshrrev_b32_e32 v8, 3, v4
	v_add_u32_e32 v5, s7, v8
	v_and_b32_e32 v2, 7, v0
	v_mov_b32_e32 v3, 0
	s_waitcnt lgkmcnt(0)
	v_mad_i64_i32 v[6:7], s[18:19], s18, v5, v[2:3]
	v_lshlrev_b32_e32 v2, 4, v2
	v_lshl_or_b32 v2, v8, 7, v2
	v_and_b32_e32 v9, 31, v4
	v_add_u32_e32 v23, 0x1000, v2
	v_mov_b32_e32 v2, 0x1000
	v_lshrrev_b32_e32 v4, 5, v4
	v_mov_b32_e32 v5, v3
	v_lshlrev_b32_e32 v3, 4, v9
	v_lshl_add_u32 v25, v1, 7, v2
	v_add_u32_e32 v2, s6, v9
	v_lshl_or_b32 v22, v4, 9, v3
	v_mad_i64_i32 v[2:3], s[18:19], s20, v2, v[4:5]
	s_mul_i32 s13, s13, s8
	s_mul_hi_u32 s21, s12, s8
	s_add_i32 s13, s21, s13
	s_mul_i32 s12, s12, s8
	s_lshl_b64 s[12:13], s[12:13], 4
	v_lshlrev_b64 v[2:3], 4, v[2:3]
	s_add_u32 s12, s16, s12
	s_addc_u32 s13, s17, s13
	v_mov_b32_e32 v4, s13
	v_add_co_u32_e32 v2, vcc, s12, v2
	s_mul_i32 s1, s1, s8
	s_mul_hi_u32 s12, s0, s8
	v_addc_co_u32_e32 v3, vcc, v4, v3, vcc
	s_add_i32 s1, s12, s1
	s_mul_i32 s0, s0, s8
	v_add_co_u32_e32 v4, vcc, 8, v2
	s_lshl_b64 s[0:1], s[0:1], 4
	v_addc_co_u32_e32 v5, vcc, 0, v3, vcc
	v_lshlrev_b64 v[2:3], 4, v[6:7]
	s_add_u32 s0, s14, s0
	s_addc_u32 s1, s15, s1
	v_mov_b32_e32 v6, s1
	v_add_co_u32_e32 v12, vcc, s0, v2
	v_addc_co_u32_e32 v13, vcc, v6, v3, vcc
	v_mov_b32_e32 v16, 0
	v_mov_b32_e32 v6, 0
	;; [unrolled: 1-line block ×8, first 2 shown]
	v_add_co_u32_e32 v12, vcc, 8, v12
	v_lshlrev_b32_e32 v24, 4, v0
	v_mov_b32_e32 v17, 0
	v_mov_b32_e32 v7, 0
	;; [unrolled: 1-line block ×8, first 2 shown]
	v_addc_co_u32_e32 v13, vcc, 0, v13, vcc
.LBB406_2:                              ; =>This Inner Loop Header: Depth=1
	global_load_dwordx4 v[26:29], v[4:5], off offset:-8
	v_add_co_u32_e32 v4, vcc, 0x80, v4
	v_addc_co_u32_e32 v5, vcc, 0, v5, vcc
	s_add_i32 s9, s9, 8
	s_cmp_ge_i32 s9, s11
	s_waitcnt vmcnt(0)
	v_xor_b32_e32 v29, 0x80000000, v29
	ds_write_b128 v22, v[26:29]
	global_load_dwordx4 v[26:29], v[12:13], off offset:-8
	v_add_co_u32_e32 v12, vcc, 0x80, v12
	v_addc_co_u32_e32 v13, vcc, 0, v13, vcc
	s_waitcnt vmcnt(0)
	ds_write_b128 v23, v[26:29]
	s_waitcnt lgkmcnt(0)
	s_barrier
	ds_read_b128 v[26:29], v25
	ds_read_b128 v[30:33], v25 offset:16
	ds_read_b128 v[34:37], v25 offset:32
	;; [unrolled: 1-line block ×3, first 2 shown]
	ds_read_b128 v[42:45], v24
	s_waitcnt lgkmcnt(0)
	v_mul_f64 v[46:47], v[28:29], v[44:45]
	v_mul_f64 v[48:49], v[26:27], v[44:45]
	v_fma_f64 v[46:47], v[26:27], v[42:43], -v[46:47]
	v_fma_f64 v[48:49], v[28:29], v[42:43], v[48:49]
	v_add_f64 v[10:11], v[10:11], v[46:47]
	v_add_f64 v[20:21], v[48:49], v[20:21]
	ds_read_b128 v[46:49], v24 offset:256
	s_waitcnt lgkmcnt(0)
	v_mul_f64 v[50:51], v[28:29], v[48:49]
	v_fma_f64 v[50:51], v[26:27], v[46:47], -v[50:51]
	v_mul_f64 v[26:27], v[26:27], v[48:49]
	v_add_f64 v[2:3], v[2:3], v[50:51]
	v_fma_f64 v[26:27], v[28:29], v[46:47], v[26:27]
	v_add_f64 v[50:51], v[26:27], v[14:15]
	ds_read_b128 v[26:29], v25 offset:2048
	s_waitcnt lgkmcnt(0)
	v_mul_f64 v[14:15], v[28:29], v[44:45]
	v_mul_f64 v[44:45], v[26:27], v[44:45]
	v_fma_f64 v[14:15], v[26:27], v[42:43], -v[14:15]
	v_fma_f64 v[42:43], v[28:29], v[42:43], v[44:45]
	v_add_f64 v[44:45], v[8:9], v[14:15]
	v_mul_f64 v[8:9], v[28:29], v[48:49]
	v_mul_f64 v[14:15], v[26:27], v[48:49]
	v_add_f64 v[42:43], v[42:43], v[18:19]
	v_fma_f64 v[8:9], v[26:27], v[46:47], -v[8:9]
	v_fma_f64 v[14:15], v[28:29], v[46:47], v[14:15]
	v_add_f64 v[26:27], v[6:7], v[8:9]
	ds_read_b128 v[6:9], v24 offset:512
	v_add_f64 v[28:29], v[14:15], v[16:17]
	s_waitcnt lgkmcnt(0)
	v_mul_f64 v[14:15], v[32:33], v[8:9]
	v_mul_f64 v[16:17], v[30:31], v[8:9]
	v_fma_f64 v[14:15], v[30:31], v[6:7], -v[14:15]
	v_fma_f64 v[16:17], v[32:33], v[6:7], v[16:17]
	v_add_f64 v[10:11], v[10:11], v[14:15]
	v_add_f64 v[46:47], v[16:17], v[20:21]
	ds_read_b128 v[14:17], v24 offset:768
	s_waitcnt lgkmcnt(0)
	v_mul_f64 v[18:19], v[32:33], v[16:17]
	v_mul_f64 v[20:21], v[30:31], v[16:17]
	v_fma_f64 v[18:19], v[30:31], v[14:15], -v[18:19]
	v_fma_f64 v[20:21], v[32:33], v[14:15], v[20:21]
	v_add_f64 v[2:3], v[2:3], v[18:19]
	v_add_f64 v[30:31], v[20:21], v[50:51]
	ds_read_b128 v[18:21], v25 offset:2064
	s_waitcnt lgkmcnt(0)
	v_mul_f64 v[32:33], v[20:21], v[8:9]
	v_mul_f64 v[8:9], v[18:19], v[8:9]
	v_fma_f64 v[32:33], v[18:19], v[6:7], -v[32:33]
	v_fma_f64 v[6:7], v[20:21], v[6:7], v[8:9]
	v_mul_f64 v[8:9], v[18:19], v[16:17]
	v_add_f64 v[32:33], v[44:45], v[32:33]
	v_add_f64 v[42:43], v[6:7], v[42:43]
	v_mul_f64 v[6:7], v[20:21], v[16:17]
	v_fma_f64 v[8:9], v[20:21], v[14:15], v[8:9]
	v_fma_f64 v[6:7], v[18:19], v[14:15], -v[6:7]
	v_add_f64 v[28:29], v[8:9], v[28:29]
	v_add_f64 v[26:27], v[26:27], v[6:7]
	ds_read_b128 v[6:9], v24 offset:1024
	s_waitcnt lgkmcnt(0)
	v_mul_f64 v[14:15], v[36:37], v[8:9]
	v_mul_f64 v[16:17], v[34:35], v[8:9]
	v_fma_f64 v[14:15], v[34:35], v[6:7], -v[14:15]
	v_fma_f64 v[16:17], v[36:37], v[6:7], v[16:17]
	v_add_f64 v[10:11], v[10:11], v[14:15]
	v_add_f64 v[44:45], v[16:17], v[46:47]
	ds_read_b128 v[14:17], v24 offset:1280
	s_waitcnt lgkmcnt(0)
	v_mul_f64 v[18:19], v[36:37], v[16:17]
	v_mul_f64 v[20:21], v[34:35], v[16:17]
	v_fma_f64 v[18:19], v[34:35], v[14:15], -v[18:19]
	v_fma_f64 v[20:21], v[36:37], v[14:15], v[20:21]
	v_add_f64 v[2:3], v[2:3], v[18:19]
	v_add_f64 v[30:31], v[20:21], v[30:31]
	ds_read_b128 v[18:21], v25 offset:2080
	s_waitcnt lgkmcnt(0)
	v_mul_f64 v[34:35], v[20:21], v[8:9]
	v_mul_f64 v[8:9], v[18:19], v[8:9]
	v_fma_f64 v[34:35], v[18:19], v[6:7], -v[34:35]
	v_fma_f64 v[6:7], v[20:21], v[6:7], v[8:9]
	v_mul_f64 v[8:9], v[18:19], v[16:17]
	v_add_f64 v[32:33], v[32:33], v[34:35]
	v_add_f64 v[34:35], v[6:7], v[42:43]
	v_mul_f64 v[6:7], v[20:21], v[16:17]
	v_fma_f64 v[8:9], v[20:21], v[14:15], v[8:9]
	v_fma_f64 v[6:7], v[18:19], v[14:15], -v[6:7]
	v_add_f64 v[28:29], v[8:9], v[28:29]
	v_add_f64 v[26:27], v[26:27], v[6:7]
	ds_read_b128 v[6:9], v24 offset:1536
	s_waitcnt lgkmcnt(0)
	v_mul_f64 v[14:15], v[40:41], v[8:9]
	v_mul_f64 v[16:17], v[38:39], v[8:9]
	v_fma_f64 v[14:15], v[38:39], v[6:7], -v[14:15]
	v_fma_f64 v[16:17], v[40:41], v[6:7], v[16:17]
	v_add_f64 v[10:11], v[10:11], v[14:15]
	v_add_f64 v[36:37], v[16:17], v[44:45]
	ds_read_b128 v[14:17], v24 offset:1792
	s_waitcnt lgkmcnt(0)
	v_mul_f64 v[18:19], v[40:41], v[16:17]
	v_mul_f64 v[20:21], v[38:39], v[16:17]
	v_fma_f64 v[18:19], v[38:39], v[14:15], -v[18:19]
	v_fma_f64 v[20:21], v[40:41], v[14:15], v[20:21]
	v_add_f64 v[2:3], v[2:3], v[18:19]
	v_add_f64 v[30:31], v[20:21], v[30:31]
	ds_read_b128 v[18:21], v25 offset:2096
	s_waitcnt lgkmcnt(0)
	v_mul_f64 v[38:39], v[20:21], v[8:9]
	v_mul_f64 v[8:9], v[18:19], v[8:9]
	v_fma_f64 v[38:39], v[18:19], v[6:7], -v[38:39]
	v_fma_f64 v[6:7], v[20:21], v[6:7], v[8:9]
	v_mul_f64 v[8:9], v[18:19], v[16:17]
	v_add_f64 v[32:33], v[32:33], v[38:39]
	v_add_f64 v[34:35], v[6:7], v[34:35]
	v_mul_f64 v[6:7], v[20:21], v[16:17]
	v_fma_f64 v[8:9], v[20:21], v[14:15], v[8:9]
	v_fma_f64 v[6:7], v[18:19], v[14:15], -v[6:7]
	v_add_f64 v[28:29], v[8:9], v[28:29]
	v_add_f64 v[26:27], v[26:27], v[6:7]
	ds_read_b128 v[6:9], v25 offset:64
	ds_read_b128 v[14:17], v24 offset:2048
	s_waitcnt lgkmcnt(0)
	v_mul_f64 v[18:19], v[8:9], v[16:17]
	v_mul_f64 v[20:21], v[6:7], v[16:17]
	v_fma_f64 v[18:19], v[6:7], v[14:15], -v[18:19]
	v_fma_f64 v[20:21], v[8:9], v[14:15], v[20:21]
	v_add_f64 v[10:11], v[10:11], v[18:19]
	v_add_f64 v[36:37], v[20:21], v[36:37]
	ds_read_b128 v[18:21], v24 offset:2304
	s_waitcnt lgkmcnt(0)
	v_mul_f64 v[38:39], v[8:9], v[20:21]
	v_fma_f64 v[38:39], v[6:7], v[18:19], -v[38:39]
	v_mul_f64 v[6:7], v[6:7], v[20:21]
	v_add_f64 v[2:3], v[2:3], v[38:39]
	v_fma_f64 v[6:7], v[8:9], v[18:19], v[6:7]
	v_add_f64 v[30:31], v[6:7], v[30:31]
	ds_read_b128 v[6:9], v25 offset:2112
	s_waitcnt lgkmcnt(0)
	v_mul_f64 v[38:39], v[8:9], v[16:17]
	v_mul_f64 v[16:17], v[6:7], v[16:17]
	v_fma_f64 v[38:39], v[6:7], v[14:15], -v[38:39]
	v_fma_f64 v[14:15], v[8:9], v[14:15], v[16:17]
	v_add_f64 v[32:33], v[32:33], v[38:39]
	v_add_f64 v[34:35], v[14:15], v[34:35]
	v_mul_f64 v[14:15], v[8:9], v[20:21]
	v_fma_f64 v[14:15], v[6:7], v[18:19], -v[14:15]
	v_mul_f64 v[6:7], v[6:7], v[20:21]
	v_add_f64 v[26:27], v[26:27], v[14:15]
	v_fma_f64 v[6:7], v[8:9], v[18:19], v[6:7]
	v_add_f64 v[28:29], v[6:7], v[28:29]
	ds_read_b128 v[6:9], v25 offset:80
	ds_read_b128 v[14:17], v24 offset:2560
	s_waitcnt lgkmcnt(0)
	v_mul_f64 v[18:19], v[8:9], v[16:17]
	v_mul_f64 v[20:21], v[6:7], v[16:17]
	v_fma_f64 v[18:19], v[6:7], v[14:15], -v[18:19]
	v_fma_f64 v[20:21], v[8:9], v[14:15], v[20:21]
	v_add_f64 v[10:11], v[10:11], v[18:19]
	v_add_f64 v[36:37], v[20:21], v[36:37]
	ds_read_b128 v[18:21], v24 offset:2816
	s_waitcnt lgkmcnt(0)
	v_mul_f64 v[38:39], v[8:9], v[20:21]
	v_fma_f64 v[38:39], v[6:7], v[18:19], -v[38:39]
	v_mul_f64 v[6:7], v[6:7], v[20:21]
	v_add_f64 v[2:3], v[2:3], v[38:39]
	v_fma_f64 v[6:7], v[8:9], v[18:19], v[6:7]
	v_add_f64 v[30:31], v[6:7], v[30:31]
	ds_read_b128 v[6:9], v25 offset:2128
	s_waitcnt lgkmcnt(0)
	v_mul_f64 v[38:39], v[8:9], v[16:17]
	v_mul_f64 v[16:17], v[6:7], v[16:17]
	v_fma_f64 v[38:39], v[6:7], v[14:15], -v[38:39]
	v_fma_f64 v[14:15], v[8:9], v[14:15], v[16:17]
	v_add_f64 v[32:33], v[32:33], v[38:39]
	v_add_f64 v[34:35], v[14:15], v[34:35]
	v_mul_f64 v[14:15], v[8:9], v[20:21]
	v_fma_f64 v[14:15], v[6:7], v[18:19], -v[14:15]
	v_mul_f64 v[6:7], v[6:7], v[20:21]
	v_add_f64 v[26:27], v[26:27], v[14:15]
	v_fma_f64 v[6:7], v[8:9], v[18:19], v[6:7]
	v_add_f64 v[28:29], v[6:7], v[28:29]
	ds_read_b128 v[6:9], v25 offset:96
	;; [unrolled: 31-line block ×3, first 2 shown]
	ds_read_b128 v[16:19], v24 offset:3584
	ds_read_b128 v[26:29], v24 offset:3840
	s_waitcnt lgkmcnt(1)
	v_mul_f64 v[14:15], v[8:9], v[18:19]
	v_mul_f64 v[20:21], v[6:7], v[18:19]
	v_fma_f64 v[14:15], v[6:7], v[16:17], -v[14:15]
	v_fma_f64 v[20:21], v[8:9], v[16:17], v[20:21]
	v_add_f64 v[10:11], v[10:11], v[14:15]
	s_waitcnt lgkmcnt(0)
	v_mul_f64 v[14:15], v[8:9], v[28:29]
	v_add_f64 v[20:21], v[20:21], v[36:37]
	v_fma_f64 v[14:15], v[6:7], v[26:27], -v[14:15]
	v_mul_f64 v[6:7], v[6:7], v[28:29]
	v_add_f64 v[2:3], v[2:3], v[14:15]
	v_fma_f64 v[6:7], v[8:9], v[26:27], v[6:7]
	v_add_f64 v[14:15], v[6:7], v[30:31]
	ds_read_b128 v[30:33], v25 offset:2160
	s_waitcnt lgkmcnt(0)
	s_barrier
	v_mul_f64 v[6:7], v[32:33], v[18:19]
	v_mul_f64 v[8:9], v[30:31], v[18:19]
	v_fma_f64 v[6:7], v[30:31], v[16:17], -v[6:7]
	v_fma_f64 v[16:17], v[32:33], v[16:17], v[8:9]
	v_add_f64 v[8:9], v[38:39], v[6:7]
	v_add_f64 v[18:19], v[16:17], v[34:35]
	v_mul_f64 v[6:7], v[32:33], v[28:29]
	v_mul_f64 v[16:17], v[30:31], v[28:29]
	v_fma_f64 v[6:7], v[30:31], v[26:27], -v[6:7]
	v_fma_f64 v[16:17], v[32:33], v[26:27], v[16:17]
	v_add_f64 v[6:7], v[40:41], v[6:7]
	v_add_f64 v[16:17], v[16:17], v[42:43]
	s_cbranch_scc0 .LBB406_2
	s_branch .LBB406_4
.LBB406_3:
	v_mov_b32_e32 v10, 0
	v_mov_b32_e32 v20, 0
	;; [unrolled: 1-line block ×16, first 2 shown]
.LBB406_4:
	s_load_dwordx2 s[0:1], s[4:5], 0x48
	s_load_dword s9, s[4:5], 0x40
	v_add_u32_e32 v22, s7, v1
	v_add_u32_e32 v0, s6, v0
	s_waitcnt lgkmcnt(0)
	s_mul_i32 s1, s1, s8
	s_mul_hi_u32 s4, s0, s8
	s_add_i32 s1, s4, s1
	v_mad_i64_i32 v[4:5], s[4:5], v22, s9, 0
	s_mul_i32 s0, s0, s8
	s_lshl_b64 s[0:1], s[0:1], 4
	s_add_u32 s7, s2, s0
	v_lshlrev_b64 v[4:5], 4, v[4:5]
	s_addc_u32 s8, s3, s1
	v_mov_b32_e32 v1, s8
	v_add_co_u32_e32 v4, vcc, s7, v4
	v_addc_co_u32_e32 v5, vcc, v1, v5, vcc
	v_cmp_le_i32_e64 s[0:1], v22, v0
	v_cmp_gt_i32_e32 vcc, s10, v0
	s_and_b64 s[0:1], s[0:1], vcc
	s_and_saveexec_b64 s[2:3], s[0:1]
	s_cbranch_execz .LBB406_6
; %bb.5:
	v_ashrrev_i32_e32 v1, 31, v0
	v_lshlrev_b64 v[12:13], 4, v[0:1]
	v_xor_b32_e32 v11, 0x80000000, v11
	v_add_co_u32_e64 v23, s[0:1], v4, v12
	v_addc_co_u32_e64 v24, s[0:1], v5, v13, s[0:1]
	v_cmp_ne_u32_e64 s[0:1], v22, v0
	v_cndmask_b32_e64 v13, 0, -v21, s[0:1]
	v_cndmask_b32_e64 v12, 0, v20, s[0:1]
	global_store_dwordx4 v[23:24], v[10:13], off
.LBB406_6:
	s_or_b64 exec, exec, s[2:3]
	v_add_u32_e32 v12, 16, v0
	v_cmp_le_i32_e64 s[2:3], v22, v12
	v_cmp_gt_i32_e64 s[0:1], s10, v12
	s_and_b64 s[2:3], s[2:3], s[0:1]
	s_and_saveexec_b64 s[4:5], s[2:3]
	s_cbranch_execz .LBB406_8
; %bb.7:
	v_ashrrev_i32_e32 v13, 31, v12
	v_lshlrev_b64 v[10:11], 4, v[12:13]
	v_xor_b32_e32 v3, 0x80000000, v3
	v_add_co_u32_e64 v10, s[2:3], v4, v10
	v_addc_co_u32_e64 v11, s[2:3], v5, v11, s[2:3]
	v_cmp_ne_u32_e64 s[2:3], v22, v12
	v_cndmask_b32_e64 v5, 0, -v15, s[2:3]
	v_cndmask_b32_e64 v4, 0, v14, s[2:3]
	global_store_dwordx4 v[10:11], v[2:5], off
.LBB406_8:
	s_or_b64 exec, exec, s[4:5]
	v_add_u32_e32 v4, 16, v22
	v_mad_i64_i32 v[1:2], s[2:3], v4, s9, 0
	v_mov_b32_e32 v5, s8
	v_lshlrev_b64 v[2:3], 4, v[1:2]
	v_add_co_u32_e64 v2, s[2:3], s7, v2
	v_addc_co_u32_e64 v3, s[2:3], v5, v3, s[2:3]
	v_cmp_le_i32_e64 s[2:3], v4, v0
	s_and_b64 s[4:5], s[2:3], vcc
	s_and_saveexec_b64 s[2:3], s[4:5]
	s_cbranch_execz .LBB406_10
; %bb.9:
	v_ashrrev_i32_e32 v1, 31, v0
	v_lshlrev_b64 v[10:11], 4, v[0:1]
	v_xor_b32_e32 v9, 0x80000000, v9
	v_add_co_u32_e32 v13, vcc, v2, v10
	v_addc_co_u32_e32 v14, vcc, v3, v11, vcc
	v_cmp_ne_u32_e32 vcc, v4, v0
	v_cndmask_b32_e64 v11, 0, -v19, vcc
	v_cndmask_b32_e32 v10, 0, v18, vcc
	global_store_dwordx4 v[13:14], v[8:11], off
.LBB406_10:
	s_or_b64 exec, exec, s[2:3]
	v_cmp_le_i32_e32 vcc, v4, v12
	s_and_b64 s[0:1], vcc, s[0:1]
	s_and_saveexec_b64 s[2:3], s[0:1]
	s_cbranch_execz .LBB406_12
; %bb.11:
	v_ashrrev_i32_e32 v13, 31, v12
	v_lshlrev_b64 v[4:5], 4, v[12:13]
	v_xor_b32_e32 v7, 0x80000000, v7
	v_add_co_u32_e32 v1, vcc, v2, v4
	v_addc_co_u32_e32 v2, vcc, v3, v5, vcc
	v_cmp_ne_u32_e32 vcc, v22, v0
	v_cndmask_b32_e64 v9, 0, -v17, vcc
	v_cndmask_b32_e32 v8, 0, v16, vcc
	global_store_dwordx4 v[1:2], v[6:9], off
.LBB406_12:
	s_endpgm
	.section	.rodata,"a",@progbits
	.p2align	6, 0x0
	.amdhsa_kernel _ZL37rocblas_syrkx_herkx_restricted_kernelIi19rocblas_complex_numIdELi16ELi32ELi8ELin1ELi0ELb1ELc67ELc76EKS1_S1_EviT_PT9_S3_lS5_S3_lPT10_S3_li
		.amdhsa_group_segment_fixed_size 8192
		.amdhsa_private_segment_fixed_size 0
		.amdhsa_kernarg_size 84
		.amdhsa_user_sgpr_count 6
		.amdhsa_user_sgpr_private_segment_buffer 1
		.amdhsa_user_sgpr_dispatch_ptr 0
		.amdhsa_user_sgpr_queue_ptr 0
		.amdhsa_user_sgpr_kernarg_segment_ptr 1
		.amdhsa_user_sgpr_dispatch_id 0
		.amdhsa_user_sgpr_flat_scratch_init 0
		.amdhsa_user_sgpr_private_segment_size 0
		.amdhsa_uses_dynamic_stack 0
		.amdhsa_system_sgpr_private_segment_wavefront_offset 0
		.amdhsa_system_sgpr_workgroup_id_x 1
		.amdhsa_system_sgpr_workgroup_id_y 1
		.amdhsa_system_sgpr_workgroup_id_z 1
		.amdhsa_system_sgpr_workgroup_info 0
		.amdhsa_system_vgpr_workitem_id 1
		.amdhsa_next_free_vgpr 52
		.amdhsa_next_free_sgpr 61
		.amdhsa_reserve_vcc 1
		.amdhsa_reserve_flat_scratch 0
		.amdhsa_float_round_mode_32 0
		.amdhsa_float_round_mode_16_64 0
		.amdhsa_float_denorm_mode_32 3
		.amdhsa_float_denorm_mode_16_64 3
		.amdhsa_dx10_clamp 1
		.amdhsa_ieee_mode 1
		.amdhsa_fp16_overflow 0
		.amdhsa_exception_fp_ieee_invalid_op 0
		.amdhsa_exception_fp_denorm_src 0
		.amdhsa_exception_fp_ieee_div_zero 0
		.amdhsa_exception_fp_ieee_overflow 0
		.amdhsa_exception_fp_ieee_underflow 0
		.amdhsa_exception_fp_ieee_inexact 0
		.amdhsa_exception_int_div_zero 0
	.end_amdhsa_kernel
	.section	.text._ZL37rocblas_syrkx_herkx_restricted_kernelIi19rocblas_complex_numIdELi16ELi32ELi8ELin1ELi0ELb1ELc67ELc76EKS1_S1_EviT_PT9_S3_lS5_S3_lPT10_S3_li,"axG",@progbits,_ZL37rocblas_syrkx_herkx_restricted_kernelIi19rocblas_complex_numIdELi16ELi32ELi8ELin1ELi0ELb1ELc67ELc76EKS1_S1_EviT_PT9_S3_lS5_S3_lPT10_S3_li,comdat
.Lfunc_end406:
	.size	_ZL37rocblas_syrkx_herkx_restricted_kernelIi19rocblas_complex_numIdELi16ELi32ELi8ELin1ELi0ELb1ELc67ELc76EKS1_S1_EviT_PT9_S3_lS5_S3_lPT10_S3_li, .Lfunc_end406-_ZL37rocblas_syrkx_herkx_restricted_kernelIi19rocblas_complex_numIdELi16ELi32ELi8ELin1ELi0ELb1ELc67ELc76EKS1_S1_EviT_PT9_S3_lS5_S3_lPT10_S3_li
                                        ; -- End function
	.set _ZL37rocblas_syrkx_herkx_restricted_kernelIi19rocblas_complex_numIdELi16ELi32ELi8ELin1ELi0ELb1ELc67ELc76EKS1_S1_EviT_PT9_S3_lS5_S3_lPT10_S3_li.num_vgpr, 52
	.set _ZL37rocblas_syrkx_herkx_restricted_kernelIi19rocblas_complex_numIdELi16ELi32ELi8ELin1ELi0ELb1ELc67ELc76EKS1_S1_EviT_PT9_S3_lS5_S3_lPT10_S3_li.num_agpr, 0
	.set _ZL37rocblas_syrkx_herkx_restricted_kernelIi19rocblas_complex_numIdELi16ELi32ELi8ELin1ELi0ELb1ELc67ELc76EKS1_S1_EviT_PT9_S3_lS5_S3_lPT10_S3_li.numbered_sgpr, 22
	.set _ZL37rocblas_syrkx_herkx_restricted_kernelIi19rocblas_complex_numIdELi16ELi32ELi8ELin1ELi0ELb1ELc67ELc76EKS1_S1_EviT_PT9_S3_lS5_S3_lPT10_S3_li.num_named_barrier, 0
	.set _ZL37rocblas_syrkx_herkx_restricted_kernelIi19rocblas_complex_numIdELi16ELi32ELi8ELin1ELi0ELb1ELc67ELc76EKS1_S1_EviT_PT9_S3_lS5_S3_lPT10_S3_li.private_seg_size, 0
	.set _ZL37rocblas_syrkx_herkx_restricted_kernelIi19rocblas_complex_numIdELi16ELi32ELi8ELin1ELi0ELb1ELc67ELc76EKS1_S1_EviT_PT9_S3_lS5_S3_lPT10_S3_li.uses_vcc, 1
	.set _ZL37rocblas_syrkx_herkx_restricted_kernelIi19rocblas_complex_numIdELi16ELi32ELi8ELin1ELi0ELb1ELc67ELc76EKS1_S1_EviT_PT9_S3_lS5_S3_lPT10_S3_li.uses_flat_scratch, 0
	.set _ZL37rocblas_syrkx_herkx_restricted_kernelIi19rocblas_complex_numIdELi16ELi32ELi8ELin1ELi0ELb1ELc67ELc76EKS1_S1_EviT_PT9_S3_lS5_S3_lPT10_S3_li.has_dyn_sized_stack, 0
	.set _ZL37rocblas_syrkx_herkx_restricted_kernelIi19rocblas_complex_numIdELi16ELi32ELi8ELin1ELi0ELb1ELc67ELc76EKS1_S1_EviT_PT9_S3_lS5_S3_lPT10_S3_li.has_recursion, 0
	.set _ZL37rocblas_syrkx_herkx_restricted_kernelIi19rocblas_complex_numIdELi16ELi32ELi8ELin1ELi0ELb1ELc67ELc76EKS1_S1_EviT_PT9_S3_lS5_S3_lPT10_S3_li.has_indirect_call, 0
	.section	.AMDGPU.csdata,"",@progbits
; Kernel info:
; codeLenInByte = 2884
; TotalNumSgprs: 26
; NumVgprs: 52
; ScratchSize: 0
; MemoryBound: 0
; FloatMode: 240
; IeeeMode: 1
; LDSByteSize: 8192 bytes/workgroup (compile time only)
; SGPRBlocks: 8
; VGPRBlocks: 12
; NumSGPRsForWavesPerEU: 65
; NumVGPRsForWavesPerEU: 52
; Occupancy: 4
; WaveLimiterHint : 0
; COMPUTE_PGM_RSRC2:SCRATCH_EN: 0
; COMPUTE_PGM_RSRC2:USER_SGPR: 6
; COMPUTE_PGM_RSRC2:TRAP_HANDLER: 0
; COMPUTE_PGM_RSRC2:TGID_X_EN: 1
; COMPUTE_PGM_RSRC2:TGID_Y_EN: 1
; COMPUTE_PGM_RSRC2:TGID_Z_EN: 1
; COMPUTE_PGM_RSRC2:TIDIG_COMP_CNT: 1
	.section	.text._ZL37rocblas_syrkx_herkx_restricted_kernelIi19rocblas_complex_numIdELi16ELi32ELi8ELin1ELi0ELb1ELc78ELc76EKS1_S1_EviT_PT9_S3_lS5_S3_lPT10_S3_li,"axG",@progbits,_ZL37rocblas_syrkx_herkx_restricted_kernelIi19rocblas_complex_numIdELi16ELi32ELi8ELin1ELi0ELb1ELc78ELc76EKS1_S1_EviT_PT9_S3_lS5_S3_lPT10_S3_li,comdat
	.globl	_ZL37rocblas_syrkx_herkx_restricted_kernelIi19rocblas_complex_numIdELi16ELi32ELi8ELin1ELi0ELb1ELc78ELc76EKS1_S1_EviT_PT9_S3_lS5_S3_lPT10_S3_li ; -- Begin function _ZL37rocblas_syrkx_herkx_restricted_kernelIi19rocblas_complex_numIdELi16ELi32ELi8ELin1ELi0ELb1ELc78ELc76EKS1_S1_EviT_PT9_S3_lS5_S3_lPT10_S3_li
	.p2align	8
	.type	_ZL37rocblas_syrkx_herkx_restricted_kernelIi19rocblas_complex_numIdELi16ELi32ELi8ELin1ELi0ELb1ELc78ELc76EKS1_S1_EviT_PT9_S3_lS5_S3_lPT10_S3_li,@function
_ZL37rocblas_syrkx_herkx_restricted_kernelIi19rocblas_complex_numIdELi16ELi32ELi8ELin1ELi0ELb1ELc78ELc76EKS1_S1_EviT_PT9_S3_lS5_S3_lPT10_S3_li: ; @_ZL37rocblas_syrkx_herkx_restricted_kernelIi19rocblas_complex_numIdELi16ELi32ELi8ELin1ELi0ELb1ELc78ELc76EKS1_S1_EviT_PT9_S3_lS5_S3_lPT10_S3_li
; %bb.0:
	s_load_dwordx2 s[10:11], s[4:5], 0x0
	s_load_dwordx4 s[0:3], s[4:5], 0x30
	s_lshl_b32 s9, s6, 5
	s_lshl_b32 s16, s7, 5
	s_mov_b32 s17, 0
	s_waitcnt lgkmcnt(0)
	s_cmp_lt_i32 s11, 1
	s_cbranch_scc1 .LBB407_3
; %bb.1:
	v_lshl_add_u32 v5, v1, 4, v0
	s_load_dword s6, s[4:5], 0x10
	s_load_dword s18, s[4:5], 0x28
	s_load_dwordx2 s[20:21], s[4:5], 0x8
	s_load_dwordx4 s[12:15], s[4:5], 0x18
	v_lshrrev_b32_e32 v6, 3, v5
	v_add_u32_e32 v2, s16, v6
	v_and_b32_e32 v4, 7, v0
	v_ashrrev_i32_e32 v3, 31, v2
	s_waitcnt lgkmcnt(0)
	v_mad_i64_i32 v[2:3], s[22:23], s18, v4, v[2:3]
	v_lshlrev_b32_e32 v4, 4, v4
	v_lshl_or_b32 v4, v6, 7, v4
	v_lshrrev_b32_e32 v7, 5, v5
	v_and_b32_e32 v5, 31, v5
	v_add_u32_e32 v23, 0x1000, v4
	v_mov_b32_e32 v4, 0x1000
	v_lshl_add_u32 v25, v1, 7, v4
	v_add_u32_e32 v4, s9, v5
	v_lshlrev_b32_e32 v8, 4, v5
	v_ashrrev_i32_e32 v5, 31, v4
	v_mad_i64_i32 v[4:5], s[22:23], s6, v7, v[4:5]
	s_mul_i32 s13, s13, s8
	s_mul_hi_u32 s24, s12, s8
	s_add_i32 s13, s24, s13
	s_mul_i32 s12, s12, s8
	s_ashr_i32 s7, s6, 31
	s_ashr_i32 s19, s18, 31
	s_lshl_b64 s[12:13], s[12:13], 4
	v_lshlrev_b64 v[4:5], 4, v[4:5]
	s_add_u32 s12, s20, s12
	s_addc_u32 s13, s21, s13
	v_add_co_u32_e32 v4, vcc, s12, v4
	s_mul_i32 s1, s1, s8
	s_mul_hi_u32 s12, s0, s8
	v_mov_b32_e32 v6, s13
	s_add_i32 s1, s12, s1
	s_mul_i32 s0, s0, s8
	v_addc_co_u32_e32 v5, vcc, v6, v5, vcc
	s_lshl_b64 s[6:7], s[6:7], 7
	s_lshl_b64 s[0:1], s[0:1], 4
	v_add_co_u32_e32 v4, vcc, 8, v4
	v_lshlrev_b64 v[2:3], 4, v[2:3]
	s_add_u32 s0, s14, s0
	v_addc_co_u32_e32 v5, vcc, 0, v5, vcc
	s_addc_u32 s1, s15, s1
	v_mov_b32_e32 v6, s1
	v_add_co_u32_e32 v2, vcc, s0, v2
	v_addc_co_u32_e32 v3, vcc, v6, v3, vcc
	v_add_co_u32_e32 v12, vcc, 8, v2
	v_lshl_or_b32 v22, v7, 9, v8
	v_addc_co_u32_e32 v13, vcc, 0, v3, vcc
	s_lshl_b64 s[0:1], s[18:19], 7
	v_mov_b32_e32 v16, 0
	v_mov_b32_e32 v6, 0
	;; [unrolled: 1-line block ×8, first 2 shown]
	v_lshlrev_b32_e32 v24, 4, v0
	v_mov_b32_e32 v17, 0
	v_mov_b32_e32 v26, s7
	;; [unrolled: 1-line block ×10, first 2 shown]
.LBB407_2:                              ; =>This Inner Loop Header: Depth=1
	global_load_dwordx4 v[28:31], v[4:5], off offset:-8
	v_add_co_u32_e32 v4, vcc, s6, v4
	v_addc_co_u32_e32 v5, vcc, v5, v26, vcc
	s_add_i32 s17, s17, 8
	s_cmp_ge_i32 s17, s11
	s_waitcnt vmcnt(0)
	ds_write_b128 v22, v[28:31]
	global_load_dwordx4 v[28:31], v[12:13], off offset:-8
	v_add_co_u32_e32 v12, vcc, s0, v12
	v_addc_co_u32_e32 v13, vcc, v13, v27, vcc
	s_waitcnt vmcnt(0)
	v_xor_b32_e32 v31, 0x80000000, v31
	ds_write_b128 v23, v[28:31]
	s_waitcnt lgkmcnt(0)
	s_barrier
	ds_read_b128 v[28:31], v25
	ds_read_b128 v[32:35], v25 offset:16
	ds_read_b128 v[36:39], v25 offset:32
	;; [unrolled: 1-line block ×3, first 2 shown]
	ds_read_b128 v[44:47], v24
	s_waitcnt lgkmcnt(0)
	v_mul_f64 v[48:49], v[30:31], v[46:47]
	v_mul_f64 v[50:51], v[28:29], v[46:47]
	v_fma_f64 v[48:49], v[28:29], v[44:45], -v[48:49]
	v_fma_f64 v[50:51], v[30:31], v[44:45], v[50:51]
	v_add_f64 v[10:11], v[10:11], v[48:49]
	v_add_f64 v[20:21], v[50:51], v[20:21]
	ds_read_b128 v[48:51], v24 offset:256
	s_waitcnt lgkmcnt(0)
	v_mul_f64 v[52:53], v[30:31], v[50:51]
	v_fma_f64 v[52:53], v[28:29], v[48:49], -v[52:53]
	v_mul_f64 v[28:29], v[28:29], v[50:51]
	v_add_f64 v[2:3], v[2:3], v[52:53]
	v_fma_f64 v[28:29], v[30:31], v[48:49], v[28:29]
	v_add_f64 v[52:53], v[28:29], v[14:15]
	ds_read_b128 v[28:31], v25 offset:2048
	s_waitcnt lgkmcnt(0)
	v_mul_f64 v[14:15], v[30:31], v[46:47]
	v_mul_f64 v[46:47], v[28:29], v[46:47]
	v_fma_f64 v[14:15], v[28:29], v[44:45], -v[14:15]
	v_fma_f64 v[44:45], v[30:31], v[44:45], v[46:47]
	v_add_f64 v[46:47], v[8:9], v[14:15]
	v_mul_f64 v[8:9], v[30:31], v[50:51]
	v_mul_f64 v[14:15], v[28:29], v[50:51]
	v_add_f64 v[44:45], v[44:45], v[18:19]
	v_fma_f64 v[8:9], v[28:29], v[48:49], -v[8:9]
	v_fma_f64 v[14:15], v[30:31], v[48:49], v[14:15]
	v_add_f64 v[28:29], v[6:7], v[8:9]
	ds_read_b128 v[6:9], v24 offset:512
	v_add_f64 v[30:31], v[14:15], v[16:17]
	s_waitcnt lgkmcnt(0)
	v_mul_f64 v[14:15], v[34:35], v[8:9]
	v_mul_f64 v[16:17], v[32:33], v[8:9]
	v_fma_f64 v[14:15], v[32:33], v[6:7], -v[14:15]
	v_fma_f64 v[16:17], v[34:35], v[6:7], v[16:17]
	v_add_f64 v[10:11], v[10:11], v[14:15]
	v_add_f64 v[48:49], v[16:17], v[20:21]
	ds_read_b128 v[14:17], v24 offset:768
	s_waitcnt lgkmcnt(0)
	v_mul_f64 v[18:19], v[34:35], v[16:17]
	v_mul_f64 v[20:21], v[32:33], v[16:17]
	v_fma_f64 v[18:19], v[32:33], v[14:15], -v[18:19]
	v_fma_f64 v[20:21], v[34:35], v[14:15], v[20:21]
	v_add_f64 v[2:3], v[2:3], v[18:19]
	v_add_f64 v[32:33], v[20:21], v[52:53]
	ds_read_b128 v[18:21], v25 offset:2064
	s_waitcnt lgkmcnt(0)
	v_mul_f64 v[34:35], v[20:21], v[8:9]
	v_mul_f64 v[8:9], v[18:19], v[8:9]
	v_fma_f64 v[34:35], v[18:19], v[6:7], -v[34:35]
	v_fma_f64 v[6:7], v[20:21], v[6:7], v[8:9]
	v_mul_f64 v[8:9], v[18:19], v[16:17]
	v_add_f64 v[34:35], v[46:47], v[34:35]
	v_add_f64 v[44:45], v[6:7], v[44:45]
	v_mul_f64 v[6:7], v[20:21], v[16:17]
	v_fma_f64 v[8:9], v[20:21], v[14:15], v[8:9]
	v_fma_f64 v[6:7], v[18:19], v[14:15], -v[6:7]
	v_add_f64 v[30:31], v[8:9], v[30:31]
	v_add_f64 v[28:29], v[28:29], v[6:7]
	ds_read_b128 v[6:9], v24 offset:1024
	s_waitcnt lgkmcnt(0)
	v_mul_f64 v[14:15], v[38:39], v[8:9]
	v_mul_f64 v[16:17], v[36:37], v[8:9]
	v_fma_f64 v[14:15], v[36:37], v[6:7], -v[14:15]
	v_fma_f64 v[16:17], v[38:39], v[6:7], v[16:17]
	v_add_f64 v[10:11], v[10:11], v[14:15]
	v_add_f64 v[46:47], v[16:17], v[48:49]
	ds_read_b128 v[14:17], v24 offset:1280
	s_waitcnt lgkmcnt(0)
	v_mul_f64 v[18:19], v[38:39], v[16:17]
	v_mul_f64 v[20:21], v[36:37], v[16:17]
	v_fma_f64 v[18:19], v[36:37], v[14:15], -v[18:19]
	v_fma_f64 v[20:21], v[38:39], v[14:15], v[20:21]
	v_add_f64 v[2:3], v[2:3], v[18:19]
	v_add_f64 v[32:33], v[20:21], v[32:33]
	ds_read_b128 v[18:21], v25 offset:2080
	s_waitcnt lgkmcnt(0)
	v_mul_f64 v[36:37], v[20:21], v[8:9]
	v_mul_f64 v[8:9], v[18:19], v[8:9]
	v_fma_f64 v[36:37], v[18:19], v[6:7], -v[36:37]
	v_fma_f64 v[6:7], v[20:21], v[6:7], v[8:9]
	v_mul_f64 v[8:9], v[18:19], v[16:17]
	v_add_f64 v[34:35], v[34:35], v[36:37]
	v_add_f64 v[36:37], v[6:7], v[44:45]
	v_mul_f64 v[6:7], v[20:21], v[16:17]
	v_fma_f64 v[8:9], v[20:21], v[14:15], v[8:9]
	v_fma_f64 v[6:7], v[18:19], v[14:15], -v[6:7]
	v_add_f64 v[30:31], v[8:9], v[30:31]
	v_add_f64 v[28:29], v[28:29], v[6:7]
	ds_read_b128 v[6:9], v24 offset:1536
	;; [unrolled: 30-line block ×3, first 2 shown]
	ds_read_b128 v[14:17], v24 offset:2048
	s_waitcnt lgkmcnt(0)
	v_mul_f64 v[18:19], v[8:9], v[16:17]
	v_mul_f64 v[20:21], v[6:7], v[16:17]
	v_fma_f64 v[18:19], v[6:7], v[14:15], -v[18:19]
	v_fma_f64 v[20:21], v[8:9], v[14:15], v[20:21]
	v_add_f64 v[10:11], v[10:11], v[18:19]
	v_add_f64 v[38:39], v[20:21], v[38:39]
	ds_read_b128 v[18:21], v24 offset:2304
	s_waitcnt lgkmcnt(0)
	v_mul_f64 v[40:41], v[8:9], v[20:21]
	v_fma_f64 v[40:41], v[6:7], v[18:19], -v[40:41]
	v_mul_f64 v[6:7], v[6:7], v[20:21]
	v_add_f64 v[2:3], v[2:3], v[40:41]
	v_fma_f64 v[6:7], v[8:9], v[18:19], v[6:7]
	v_add_f64 v[32:33], v[6:7], v[32:33]
	ds_read_b128 v[6:9], v25 offset:2112
	s_waitcnt lgkmcnt(0)
	v_mul_f64 v[40:41], v[8:9], v[16:17]
	v_mul_f64 v[16:17], v[6:7], v[16:17]
	v_fma_f64 v[40:41], v[6:7], v[14:15], -v[40:41]
	v_fma_f64 v[14:15], v[8:9], v[14:15], v[16:17]
	v_add_f64 v[34:35], v[34:35], v[40:41]
	v_add_f64 v[36:37], v[14:15], v[36:37]
	v_mul_f64 v[14:15], v[8:9], v[20:21]
	v_fma_f64 v[14:15], v[6:7], v[18:19], -v[14:15]
	v_mul_f64 v[6:7], v[6:7], v[20:21]
	v_add_f64 v[28:29], v[28:29], v[14:15]
	v_fma_f64 v[6:7], v[8:9], v[18:19], v[6:7]
	v_add_f64 v[30:31], v[6:7], v[30:31]
	ds_read_b128 v[6:9], v25 offset:80
	ds_read_b128 v[14:17], v24 offset:2560
	s_waitcnt lgkmcnt(0)
	v_mul_f64 v[18:19], v[8:9], v[16:17]
	v_mul_f64 v[20:21], v[6:7], v[16:17]
	v_fma_f64 v[18:19], v[6:7], v[14:15], -v[18:19]
	v_fma_f64 v[20:21], v[8:9], v[14:15], v[20:21]
	v_add_f64 v[10:11], v[10:11], v[18:19]
	v_add_f64 v[38:39], v[20:21], v[38:39]
	ds_read_b128 v[18:21], v24 offset:2816
	s_waitcnt lgkmcnt(0)
	v_mul_f64 v[40:41], v[8:9], v[20:21]
	v_fma_f64 v[40:41], v[6:7], v[18:19], -v[40:41]
	v_mul_f64 v[6:7], v[6:7], v[20:21]
	v_add_f64 v[2:3], v[2:3], v[40:41]
	v_fma_f64 v[6:7], v[8:9], v[18:19], v[6:7]
	v_add_f64 v[32:33], v[6:7], v[32:33]
	ds_read_b128 v[6:9], v25 offset:2128
	s_waitcnt lgkmcnt(0)
	v_mul_f64 v[40:41], v[8:9], v[16:17]
	v_mul_f64 v[16:17], v[6:7], v[16:17]
	v_fma_f64 v[40:41], v[6:7], v[14:15], -v[40:41]
	v_fma_f64 v[14:15], v[8:9], v[14:15], v[16:17]
	v_add_f64 v[34:35], v[34:35], v[40:41]
	v_add_f64 v[36:37], v[14:15], v[36:37]
	v_mul_f64 v[14:15], v[8:9], v[20:21]
	v_fma_f64 v[14:15], v[6:7], v[18:19], -v[14:15]
	v_mul_f64 v[6:7], v[6:7], v[20:21]
	v_add_f64 v[28:29], v[28:29], v[14:15]
	v_fma_f64 v[6:7], v[8:9], v[18:19], v[6:7]
	v_add_f64 v[30:31], v[6:7], v[30:31]
	ds_read_b128 v[6:9], v25 offset:96
	;; [unrolled: 31-line block ×3, first 2 shown]
	ds_read_b128 v[16:19], v24 offset:3584
	ds_read_b128 v[28:31], v24 offset:3840
	s_waitcnt lgkmcnt(1)
	v_mul_f64 v[14:15], v[8:9], v[18:19]
	v_mul_f64 v[20:21], v[6:7], v[18:19]
	v_fma_f64 v[14:15], v[6:7], v[16:17], -v[14:15]
	v_fma_f64 v[20:21], v[8:9], v[16:17], v[20:21]
	v_add_f64 v[10:11], v[10:11], v[14:15]
	s_waitcnt lgkmcnt(0)
	v_mul_f64 v[14:15], v[8:9], v[30:31]
	v_add_f64 v[20:21], v[20:21], v[38:39]
	v_fma_f64 v[14:15], v[6:7], v[28:29], -v[14:15]
	v_mul_f64 v[6:7], v[6:7], v[30:31]
	v_add_f64 v[2:3], v[2:3], v[14:15]
	v_fma_f64 v[6:7], v[8:9], v[28:29], v[6:7]
	v_add_f64 v[14:15], v[6:7], v[32:33]
	ds_read_b128 v[32:35], v25 offset:2160
	s_waitcnt lgkmcnt(0)
	s_barrier
	v_mul_f64 v[6:7], v[34:35], v[18:19]
	v_mul_f64 v[8:9], v[32:33], v[18:19]
	v_fma_f64 v[6:7], v[32:33], v[16:17], -v[6:7]
	v_fma_f64 v[16:17], v[34:35], v[16:17], v[8:9]
	v_add_f64 v[8:9], v[40:41], v[6:7]
	v_add_f64 v[18:19], v[16:17], v[36:37]
	v_mul_f64 v[6:7], v[34:35], v[30:31]
	v_mul_f64 v[16:17], v[32:33], v[30:31]
	v_fma_f64 v[6:7], v[32:33], v[28:29], -v[6:7]
	v_fma_f64 v[16:17], v[34:35], v[28:29], v[16:17]
	v_add_f64 v[6:7], v[42:43], v[6:7]
	v_add_f64 v[16:17], v[16:17], v[44:45]
	s_cbranch_scc0 .LBB407_2
	s_branch .LBB407_4
.LBB407_3:
	v_mov_b32_e32 v10, 0
	v_mov_b32_e32 v20, 0
	;; [unrolled: 1-line block ×16, first 2 shown]
.LBB407_4:
	s_load_dwordx2 s[0:1], s[4:5], 0x48
	s_load_dword s6, s[4:5], 0x40
	v_add_u32_e32 v22, s16, v1
	v_add_u32_e32 v0, s9, v0
	s_waitcnt lgkmcnt(0)
	s_mul_i32 s1, s1, s8
	s_mul_hi_u32 s4, s0, s8
	s_add_i32 s1, s4, s1
	v_mad_i64_i32 v[4:5], s[4:5], v22, s6, 0
	s_mul_i32 s0, s0, s8
	s_lshl_b64 s[0:1], s[0:1], 4
	s_add_u32 s7, s2, s0
	v_lshlrev_b64 v[4:5], 4, v[4:5]
	s_addc_u32 s8, s3, s1
	v_mov_b32_e32 v1, s8
	v_add_co_u32_e32 v4, vcc, s7, v4
	v_addc_co_u32_e32 v5, vcc, v1, v5, vcc
	v_cmp_le_i32_e64 s[0:1], v22, v0
	v_cmp_gt_i32_e32 vcc, s10, v0
	s_and_b64 s[0:1], s[0:1], vcc
	s_and_saveexec_b64 s[2:3], s[0:1]
	s_cbranch_execz .LBB407_6
; %bb.5:
	v_ashrrev_i32_e32 v1, 31, v0
	v_lshlrev_b64 v[12:13], 4, v[0:1]
	v_xor_b32_e32 v11, 0x80000000, v11
	v_add_co_u32_e64 v23, s[0:1], v4, v12
	v_addc_co_u32_e64 v24, s[0:1], v5, v13, s[0:1]
	v_cmp_ne_u32_e64 s[0:1], v22, v0
	v_cndmask_b32_e64 v13, 0, -v21, s[0:1]
	v_cndmask_b32_e64 v12, 0, v20, s[0:1]
	global_store_dwordx4 v[23:24], v[10:13], off
.LBB407_6:
	s_or_b64 exec, exec, s[2:3]
	v_add_u32_e32 v12, 16, v0
	v_cmp_le_i32_e64 s[2:3], v22, v12
	v_cmp_gt_i32_e64 s[0:1], s10, v12
	s_and_b64 s[2:3], s[2:3], s[0:1]
	s_and_saveexec_b64 s[4:5], s[2:3]
	s_cbranch_execz .LBB407_8
; %bb.7:
	v_ashrrev_i32_e32 v13, 31, v12
	v_lshlrev_b64 v[10:11], 4, v[12:13]
	v_xor_b32_e32 v3, 0x80000000, v3
	v_add_co_u32_e64 v10, s[2:3], v4, v10
	v_addc_co_u32_e64 v11, s[2:3], v5, v11, s[2:3]
	v_cmp_ne_u32_e64 s[2:3], v22, v12
	v_cndmask_b32_e64 v5, 0, -v15, s[2:3]
	v_cndmask_b32_e64 v4, 0, v14, s[2:3]
	global_store_dwordx4 v[10:11], v[2:5], off
.LBB407_8:
	s_or_b64 exec, exec, s[4:5]
	v_add_u32_e32 v4, 16, v22
	v_mad_i64_i32 v[1:2], s[2:3], v4, s6, 0
	v_mov_b32_e32 v5, s8
	v_lshlrev_b64 v[2:3], 4, v[1:2]
	v_add_co_u32_e64 v2, s[2:3], s7, v2
	v_addc_co_u32_e64 v3, s[2:3], v5, v3, s[2:3]
	v_cmp_le_i32_e64 s[2:3], v4, v0
	s_and_b64 s[4:5], s[2:3], vcc
	s_and_saveexec_b64 s[2:3], s[4:5]
	s_cbranch_execz .LBB407_10
; %bb.9:
	v_ashrrev_i32_e32 v1, 31, v0
	v_lshlrev_b64 v[10:11], 4, v[0:1]
	v_xor_b32_e32 v9, 0x80000000, v9
	v_add_co_u32_e32 v13, vcc, v2, v10
	v_addc_co_u32_e32 v14, vcc, v3, v11, vcc
	v_cmp_ne_u32_e32 vcc, v4, v0
	v_cndmask_b32_e64 v11, 0, -v19, vcc
	v_cndmask_b32_e32 v10, 0, v18, vcc
	global_store_dwordx4 v[13:14], v[8:11], off
.LBB407_10:
	s_or_b64 exec, exec, s[2:3]
	v_cmp_le_i32_e32 vcc, v4, v12
	s_and_b64 s[0:1], vcc, s[0:1]
	s_and_saveexec_b64 s[2:3], s[0:1]
	s_cbranch_execz .LBB407_12
; %bb.11:
	v_ashrrev_i32_e32 v13, 31, v12
	v_lshlrev_b64 v[4:5], 4, v[12:13]
	v_xor_b32_e32 v7, 0x80000000, v7
	v_add_co_u32_e32 v1, vcc, v2, v4
	v_addc_co_u32_e32 v2, vcc, v3, v5, vcc
	v_cmp_ne_u32_e32 vcc, v22, v0
	v_cndmask_b32_e64 v9, 0, -v17, vcc
	v_cndmask_b32_e32 v8, 0, v16, vcc
	global_store_dwordx4 v[1:2], v[6:9], off
.LBB407_12:
	s_endpgm
	.section	.rodata,"a",@progbits
	.p2align	6, 0x0
	.amdhsa_kernel _ZL37rocblas_syrkx_herkx_restricted_kernelIi19rocblas_complex_numIdELi16ELi32ELi8ELin1ELi0ELb1ELc78ELc76EKS1_S1_EviT_PT9_S3_lS5_S3_lPT10_S3_li
		.amdhsa_group_segment_fixed_size 8192
		.amdhsa_private_segment_fixed_size 0
		.amdhsa_kernarg_size 84
		.amdhsa_user_sgpr_count 6
		.amdhsa_user_sgpr_private_segment_buffer 1
		.amdhsa_user_sgpr_dispatch_ptr 0
		.amdhsa_user_sgpr_queue_ptr 0
		.amdhsa_user_sgpr_kernarg_segment_ptr 1
		.amdhsa_user_sgpr_dispatch_id 0
		.amdhsa_user_sgpr_flat_scratch_init 0
		.amdhsa_user_sgpr_private_segment_size 0
		.amdhsa_uses_dynamic_stack 0
		.amdhsa_system_sgpr_private_segment_wavefront_offset 0
		.amdhsa_system_sgpr_workgroup_id_x 1
		.amdhsa_system_sgpr_workgroup_id_y 1
		.amdhsa_system_sgpr_workgroup_id_z 1
		.amdhsa_system_sgpr_workgroup_info 0
		.amdhsa_system_vgpr_workitem_id 1
		.amdhsa_next_free_vgpr 54
		.amdhsa_next_free_sgpr 61
		.amdhsa_reserve_vcc 1
		.amdhsa_reserve_flat_scratch 0
		.amdhsa_float_round_mode_32 0
		.amdhsa_float_round_mode_16_64 0
		.amdhsa_float_denorm_mode_32 3
		.amdhsa_float_denorm_mode_16_64 3
		.amdhsa_dx10_clamp 1
		.amdhsa_ieee_mode 1
		.amdhsa_fp16_overflow 0
		.amdhsa_exception_fp_ieee_invalid_op 0
		.amdhsa_exception_fp_denorm_src 0
		.amdhsa_exception_fp_ieee_div_zero 0
		.amdhsa_exception_fp_ieee_overflow 0
		.amdhsa_exception_fp_ieee_underflow 0
		.amdhsa_exception_fp_ieee_inexact 0
		.amdhsa_exception_int_div_zero 0
	.end_amdhsa_kernel
	.section	.text._ZL37rocblas_syrkx_herkx_restricted_kernelIi19rocblas_complex_numIdELi16ELi32ELi8ELin1ELi0ELb1ELc78ELc76EKS1_S1_EviT_PT9_S3_lS5_S3_lPT10_S3_li,"axG",@progbits,_ZL37rocblas_syrkx_herkx_restricted_kernelIi19rocblas_complex_numIdELi16ELi32ELi8ELin1ELi0ELb1ELc78ELc76EKS1_S1_EviT_PT9_S3_lS5_S3_lPT10_S3_li,comdat
.Lfunc_end407:
	.size	_ZL37rocblas_syrkx_herkx_restricted_kernelIi19rocblas_complex_numIdELi16ELi32ELi8ELin1ELi0ELb1ELc78ELc76EKS1_S1_EviT_PT9_S3_lS5_S3_lPT10_S3_li, .Lfunc_end407-_ZL37rocblas_syrkx_herkx_restricted_kernelIi19rocblas_complex_numIdELi16ELi32ELi8ELin1ELi0ELb1ELc78ELc76EKS1_S1_EviT_PT9_S3_lS5_S3_lPT10_S3_li
                                        ; -- End function
	.set _ZL37rocblas_syrkx_herkx_restricted_kernelIi19rocblas_complex_numIdELi16ELi32ELi8ELin1ELi0ELb1ELc78ELc76EKS1_S1_EviT_PT9_S3_lS5_S3_lPT10_S3_li.num_vgpr, 54
	.set _ZL37rocblas_syrkx_herkx_restricted_kernelIi19rocblas_complex_numIdELi16ELi32ELi8ELin1ELi0ELb1ELc78ELc76EKS1_S1_EviT_PT9_S3_lS5_S3_lPT10_S3_li.num_agpr, 0
	.set _ZL37rocblas_syrkx_herkx_restricted_kernelIi19rocblas_complex_numIdELi16ELi32ELi8ELin1ELi0ELb1ELc78ELc76EKS1_S1_EviT_PT9_S3_lS5_S3_lPT10_S3_li.numbered_sgpr, 25
	.set _ZL37rocblas_syrkx_herkx_restricted_kernelIi19rocblas_complex_numIdELi16ELi32ELi8ELin1ELi0ELb1ELc78ELc76EKS1_S1_EviT_PT9_S3_lS5_S3_lPT10_S3_li.num_named_barrier, 0
	.set _ZL37rocblas_syrkx_herkx_restricted_kernelIi19rocblas_complex_numIdELi16ELi32ELi8ELin1ELi0ELb1ELc78ELc76EKS1_S1_EviT_PT9_S3_lS5_S3_lPT10_S3_li.private_seg_size, 0
	.set _ZL37rocblas_syrkx_herkx_restricted_kernelIi19rocblas_complex_numIdELi16ELi32ELi8ELin1ELi0ELb1ELc78ELc76EKS1_S1_EviT_PT9_S3_lS5_S3_lPT10_S3_li.uses_vcc, 1
	.set _ZL37rocblas_syrkx_herkx_restricted_kernelIi19rocblas_complex_numIdELi16ELi32ELi8ELin1ELi0ELb1ELc78ELc76EKS1_S1_EviT_PT9_S3_lS5_S3_lPT10_S3_li.uses_flat_scratch, 0
	.set _ZL37rocblas_syrkx_herkx_restricted_kernelIi19rocblas_complex_numIdELi16ELi32ELi8ELin1ELi0ELb1ELc78ELc76EKS1_S1_EviT_PT9_S3_lS5_S3_lPT10_S3_li.has_dyn_sized_stack, 0
	.set _ZL37rocblas_syrkx_herkx_restricted_kernelIi19rocblas_complex_numIdELi16ELi32ELi8ELin1ELi0ELb1ELc78ELc76EKS1_S1_EviT_PT9_S3_lS5_S3_lPT10_S3_li.has_recursion, 0
	.set _ZL37rocblas_syrkx_herkx_restricted_kernelIi19rocblas_complex_numIdELi16ELi32ELi8ELin1ELi0ELb1ELc78ELc76EKS1_S1_EviT_PT9_S3_lS5_S3_lPT10_S3_li.has_indirect_call, 0
	.section	.AMDGPU.csdata,"",@progbits
; Kernel info:
; codeLenInByte = 2900
; TotalNumSgprs: 29
; NumVgprs: 54
; ScratchSize: 0
; MemoryBound: 0
; FloatMode: 240
; IeeeMode: 1
; LDSByteSize: 8192 bytes/workgroup (compile time only)
; SGPRBlocks: 8
; VGPRBlocks: 13
; NumSGPRsForWavesPerEU: 65
; NumVGPRsForWavesPerEU: 54
; Occupancy: 4
; WaveLimiterHint : 0
; COMPUTE_PGM_RSRC2:SCRATCH_EN: 0
; COMPUTE_PGM_RSRC2:USER_SGPR: 6
; COMPUTE_PGM_RSRC2:TRAP_HANDLER: 0
; COMPUTE_PGM_RSRC2:TGID_X_EN: 1
; COMPUTE_PGM_RSRC2:TGID_Y_EN: 1
; COMPUTE_PGM_RSRC2:TGID_Z_EN: 1
; COMPUTE_PGM_RSRC2:TIDIG_COMP_CNT: 1
	.section	.text._ZL37rocblas_syrkx_herkx_restricted_kernelIi19rocblas_complex_numIdELi16ELi32ELi8ELin1ELi0ELb1ELc84ELc85EKS1_S1_EviT_PT9_S3_lS5_S3_lPT10_S3_li,"axG",@progbits,_ZL37rocblas_syrkx_herkx_restricted_kernelIi19rocblas_complex_numIdELi16ELi32ELi8ELin1ELi0ELb1ELc84ELc85EKS1_S1_EviT_PT9_S3_lS5_S3_lPT10_S3_li,comdat
	.globl	_ZL37rocblas_syrkx_herkx_restricted_kernelIi19rocblas_complex_numIdELi16ELi32ELi8ELin1ELi0ELb1ELc84ELc85EKS1_S1_EviT_PT9_S3_lS5_S3_lPT10_S3_li ; -- Begin function _ZL37rocblas_syrkx_herkx_restricted_kernelIi19rocblas_complex_numIdELi16ELi32ELi8ELin1ELi0ELb1ELc84ELc85EKS1_S1_EviT_PT9_S3_lS5_S3_lPT10_S3_li
	.p2align	8
	.type	_ZL37rocblas_syrkx_herkx_restricted_kernelIi19rocblas_complex_numIdELi16ELi32ELi8ELin1ELi0ELb1ELc84ELc85EKS1_S1_EviT_PT9_S3_lS5_S3_lPT10_S3_li,@function
_ZL37rocblas_syrkx_herkx_restricted_kernelIi19rocblas_complex_numIdELi16ELi32ELi8ELin1ELi0ELb1ELc84ELc85EKS1_S1_EviT_PT9_S3_lS5_S3_lPT10_S3_li: ; @_ZL37rocblas_syrkx_herkx_restricted_kernelIi19rocblas_complex_numIdELi16ELi32ELi8ELin1ELi0ELb1ELc84ELc85EKS1_S1_EviT_PT9_S3_lS5_S3_lPT10_S3_li
; %bb.0:
	s_load_dwordx2 s[10:11], s[4:5], 0x0
	s_load_dwordx4 s[0:3], s[4:5], 0x30
	s_lshl_b32 s6, s6, 5
	s_lshl_b32 s7, s7, 5
	s_mov_b32 s9, 0
	s_waitcnt lgkmcnt(0)
	s_cmp_lt_i32 s11, 1
	s_cbranch_scc1 .LBB408_3
; %bb.1:
	s_load_dwordx2 s[16:17], s[4:5], 0x8
	s_load_dword s20, s[4:5], 0x10
	s_load_dwordx4 s[12:15], s[4:5], 0x18
	s_load_dword s18, s[4:5], 0x28
	v_lshl_add_u32 v4, v1, 4, v0
	v_lshrrev_b32_e32 v8, 3, v4
	v_add_u32_e32 v5, s7, v8
	v_and_b32_e32 v2, 7, v0
	v_mov_b32_e32 v3, 0
	s_waitcnt lgkmcnt(0)
	v_mad_i64_i32 v[6:7], s[18:19], s18, v5, v[2:3]
	v_lshlrev_b32_e32 v2, 4, v2
	v_lshl_or_b32 v2, v8, 7, v2
	v_and_b32_e32 v9, 31, v4
	v_add_u32_e32 v23, 0x1000, v2
	v_mov_b32_e32 v2, 0x1000
	v_lshrrev_b32_e32 v4, 5, v4
	v_mov_b32_e32 v5, v3
	v_lshlrev_b32_e32 v3, 4, v9
	v_lshl_add_u32 v25, v1, 7, v2
	v_add_u32_e32 v2, s6, v9
	v_lshl_or_b32 v22, v4, 9, v3
	v_mad_i64_i32 v[2:3], s[18:19], s20, v2, v[4:5]
	s_mul_i32 s13, s13, s8
	s_mul_hi_u32 s21, s12, s8
	s_add_i32 s13, s21, s13
	s_mul_i32 s12, s12, s8
	s_lshl_b64 s[12:13], s[12:13], 4
	v_lshlrev_b64 v[2:3], 4, v[2:3]
	s_add_u32 s12, s16, s12
	s_addc_u32 s13, s17, s13
	v_mov_b32_e32 v4, s13
	v_add_co_u32_e32 v2, vcc, s12, v2
	s_mul_i32 s1, s1, s8
	s_mul_hi_u32 s12, s0, s8
	v_addc_co_u32_e32 v3, vcc, v4, v3, vcc
	s_add_i32 s1, s12, s1
	s_mul_i32 s0, s0, s8
	v_add_co_u32_e32 v4, vcc, 8, v2
	s_lshl_b64 s[0:1], s[0:1], 4
	v_addc_co_u32_e32 v5, vcc, 0, v3, vcc
	v_lshlrev_b64 v[2:3], 4, v[6:7]
	s_add_u32 s0, s14, s0
	s_addc_u32 s1, s15, s1
	v_mov_b32_e32 v6, s1
	v_add_co_u32_e32 v12, vcc, s0, v2
	v_addc_co_u32_e32 v13, vcc, v6, v3, vcc
	v_mov_b32_e32 v16, 0
	v_mov_b32_e32 v6, 0
	;; [unrolled: 1-line block ×8, first 2 shown]
	v_add_co_u32_e32 v12, vcc, 8, v12
	v_lshlrev_b32_e32 v24, 4, v0
	v_mov_b32_e32 v17, 0
	v_mov_b32_e32 v7, 0
	;; [unrolled: 1-line block ×8, first 2 shown]
	v_addc_co_u32_e32 v13, vcc, 0, v13, vcc
.LBB408_2:                              ; =>This Inner Loop Header: Depth=1
	global_load_dwordx4 v[26:29], v[4:5], off offset:-8
	v_add_co_u32_e32 v4, vcc, 0x80, v4
	v_addc_co_u32_e32 v5, vcc, 0, v5, vcc
	s_add_i32 s9, s9, 8
	s_cmp_ge_i32 s9, s11
	s_waitcnt vmcnt(0)
	ds_write_b128 v22, v[26:29]
	global_load_dwordx4 v[26:29], v[12:13], off offset:-8
	v_add_co_u32_e32 v12, vcc, 0x80, v12
	v_addc_co_u32_e32 v13, vcc, 0, v13, vcc
	s_waitcnt vmcnt(0)
	ds_write_b128 v23, v[26:29]
	s_waitcnt lgkmcnt(0)
	s_barrier
	ds_read_b128 v[26:29], v25
	ds_read_b128 v[30:33], v25 offset:16
	ds_read_b128 v[34:37], v25 offset:32
	;; [unrolled: 1-line block ×3, first 2 shown]
	ds_read_b128 v[42:45], v24
	s_waitcnt lgkmcnt(0)
	v_mul_f64 v[46:47], v[28:29], v[44:45]
	v_mul_f64 v[48:49], v[26:27], v[44:45]
	v_fma_f64 v[46:47], v[26:27], v[42:43], -v[46:47]
	v_fma_f64 v[48:49], v[28:29], v[42:43], v[48:49]
	v_add_f64 v[10:11], v[10:11], v[46:47]
	v_add_f64 v[20:21], v[48:49], v[20:21]
	ds_read_b128 v[46:49], v24 offset:256
	s_waitcnt lgkmcnt(0)
	v_mul_f64 v[50:51], v[28:29], v[48:49]
	v_fma_f64 v[50:51], v[26:27], v[46:47], -v[50:51]
	v_mul_f64 v[26:27], v[26:27], v[48:49]
	v_add_f64 v[2:3], v[2:3], v[50:51]
	v_fma_f64 v[26:27], v[28:29], v[46:47], v[26:27]
	v_add_f64 v[50:51], v[26:27], v[14:15]
	ds_read_b128 v[26:29], v25 offset:2048
	s_waitcnt lgkmcnt(0)
	v_mul_f64 v[14:15], v[28:29], v[44:45]
	v_mul_f64 v[44:45], v[26:27], v[44:45]
	v_fma_f64 v[14:15], v[26:27], v[42:43], -v[14:15]
	v_fma_f64 v[42:43], v[28:29], v[42:43], v[44:45]
	v_add_f64 v[44:45], v[8:9], v[14:15]
	v_mul_f64 v[8:9], v[28:29], v[48:49]
	v_mul_f64 v[14:15], v[26:27], v[48:49]
	v_add_f64 v[42:43], v[42:43], v[18:19]
	v_fma_f64 v[8:9], v[26:27], v[46:47], -v[8:9]
	v_fma_f64 v[14:15], v[28:29], v[46:47], v[14:15]
	v_add_f64 v[26:27], v[6:7], v[8:9]
	ds_read_b128 v[6:9], v24 offset:512
	v_add_f64 v[28:29], v[14:15], v[16:17]
	s_waitcnt lgkmcnt(0)
	v_mul_f64 v[14:15], v[32:33], v[8:9]
	v_mul_f64 v[16:17], v[30:31], v[8:9]
	v_fma_f64 v[14:15], v[30:31], v[6:7], -v[14:15]
	v_fma_f64 v[16:17], v[32:33], v[6:7], v[16:17]
	v_add_f64 v[10:11], v[10:11], v[14:15]
	v_add_f64 v[46:47], v[16:17], v[20:21]
	ds_read_b128 v[14:17], v24 offset:768
	s_waitcnt lgkmcnt(0)
	v_mul_f64 v[18:19], v[32:33], v[16:17]
	v_mul_f64 v[20:21], v[30:31], v[16:17]
	v_fma_f64 v[18:19], v[30:31], v[14:15], -v[18:19]
	v_fma_f64 v[20:21], v[32:33], v[14:15], v[20:21]
	v_add_f64 v[2:3], v[2:3], v[18:19]
	v_add_f64 v[30:31], v[20:21], v[50:51]
	ds_read_b128 v[18:21], v25 offset:2064
	s_waitcnt lgkmcnt(0)
	v_mul_f64 v[32:33], v[20:21], v[8:9]
	v_mul_f64 v[8:9], v[18:19], v[8:9]
	v_fma_f64 v[32:33], v[18:19], v[6:7], -v[32:33]
	v_fma_f64 v[6:7], v[20:21], v[6:7], v[8:9]
	v_mul_f64 v[8:9], v[18:19], v[16:17]
	v_add_f64 v[32:33], v[44:45], v[32:33]
	v_add_f64 v[42:43], v[6:7], v[42:43]
	v_mul_f64 v[6:7], v[20:21], v[16:17]
	v_fma_f64 v[8:9], v[20:21], v[14:15], v[8:9]
	v_fma_f64 v[6:7], v[18:19], v[14:15], -v[6:7]
	v_add_f64 v[28:29], v[8:9], v[28:29]
	v_add_f64 v[26:27], v[26:27], v[6:7]
	ds_read_b128 v[6:9], v24 offset:1024
	s_waitcnt lgkmcnt(0)
	v_mul_f64 v[14:15], v[36:37], v[8:9]
	v_mul_f64 v[16:17], v[34:35], v[8:9]
	v_fma_f64 v[14:15], v[34:35], v[6:7], -v[14:15]
	v_fma_f64 v[16:17], v[36:37], v[6:7], v[16:17]
	v_add_f64 v[10:11], v[10:11], v[14:15]
	v_add_f64 v[44:45], v[16:17], v[46:47]
	ds_read_b128 v[14:17], v24 offset:1280
	s_waitcnt lgkmcnt(0)
	v_mul_f64 v[18:19], v[36:37], v[16:17]
	v_mul_f64 v[20:21], v[34:35], v[16:17]
	v_fma_f64 v[18:19], v[34:35], v[14:15], -v[18:19]
	v_fma_f64 v[20:21], v[36:37], v[14:15], v[20:21]
	v_add_f64 v[2:3], v[2:3], v[18:19]
	v_add_f64 v[30:31], v[20:21], v[30:31]
	ds_read_b128 v[18:21], v25 offset:2080
	s_waitcnt lgkmcnt(0)
	v_mul_f64 v[34:35], v[20:21], v[8:9]
	v_mul_f64 v[8:9], v[18:19], v[8:9]
	v_fma_f64 v[34:35], v[18:19], v[6:7], -v[34:35]
	v_fma_f64 v[6:7], v[20:21], v[6:7], v[8:9]
	v_mul_f64 v[8:9], v[18:19], v[16:17]
	v_add_f64 v[32:33], v[32:33], v[34:35]
	v_add_f64 v[34:35], v[6:7], v[42:43]
	v_mul_f64 v[6:7], v[20:21], v[16:17]
	v_fma_f64 v[8:9], v[20:21], v[14:15], v[8:9]
	v_fma_f64 v[6:7], v[18:19], v[14:15], -v[6:7]
	v_add_f64 v[28:29], v[8:9], v[28:29]
	v_add_f64 v[26:27], v[26:27], v[6:7]
	ds_read_b128 v[6:9], v24 offset:1536
	;; [unrolled: 30-line block ×3, first 2 shown]
	ds_read_b128 v[14:17], v24 offset:2048
	s_waitcnt lgkmcnt(0)
	v_mul_f64 v[18:19], v[8:9], v[16:17]
	v_mul_f64 v[20:21], v[6:7], v[16:17]
	v_fma_f64 v[18:19], v[6:7], v[14:15], -v[18:19]
	v_fma_f64 v[20:21], v[8:9], v[14:15], v[20:21]
	v_add_f64 v[10:11], v[10:11], v[18:19]
	v_add_f64 v[36:37], v[20:21], v[36:37]
	ds_read_b128 v[18:21], v24 offset:2304
	s_waitcnt lgkmcnt(0)
	v_mul_f64 v[38:39], v[8:9], v[20:21]
	v_fma_f64 v[38:39], v[6:7], v[18:19], -v[38:39]
	v_mul_f64 v[6:7], v[6:7], v[20:21]
	v_add_f64 v[2:3], v[2:3], v[38:39]
	v_fma_f64 v[6:7], v[8:9], v[18:19], v[6:7]
	v_add_f64 v[30:31], v[6:7], v[30:31]
	ds_read_b128 v[6:9], v25 offset:2112
	s_waitcnt lgkmcnt(0)
	v_mul_f64 v[38:39], v[8:9], v[16:17]
	v_mul_f64 v[16:17], v[6:7], v[16:17]
	v_fma_f64 v[38:39], v[6:7], v[14:15], -v[38:39]
	v_fma_f64 v[14:15], v[8:9], v[14:15], v[16:17]
	v_add_f64 v[32:33], v[32:33], v[38:39]
	v_add_f64 v[34:35], v[14:15], v[34:35]
	v_mul_f64 v[14:15], v[8:9], v[20:21]
	v_fma_f64 v[14:15], v[6:7], v[18:19], -v[14:15]
	v_mul_f64 v[6:7], v[6:7], v[20:21]
	v_add_f64 v[26:27], v[26:27], v[14:15]
	v_fma_f64 v[6:7], v[8:9], v[18:19], v[6:7]
	v_add_f64 v[28:29], v[6:7], v[28:29]
	ds_read_b128 v[6:9], v25 offset:80
	ds_read_b128 v[14:17], v24 offset:2560
	s_waitcnt lgkmcnt(0)
	v_mul_f64 v[18:19], v[8:9], v[16:17]
	v_mul_f64 v[20:21], v[6:7], v[16:17]
	v_fma_f64 v[18:19], v[6:7], v[14:15], -v[18:19]
	v_fma_f64 v[20:21], v[8:9], v[14:15], v[20:21]
	v_add_f64 v[10:11], v[10:11], v[18:19]
	v_add_f64 v[36:37], v[20:21], v[36:37]
	ds_read_b128 v[18:21], v24 offset:2816
	s_waitcnt lgkmcnt(0)
	v_mul_f64 v[38:39], v[8:9], v[20:21]
	v_fma_f64 v[38:39], v[6:7], v[18:19], -v[38:39]
	v_mul_f64 v[6:7], v[6:7], v[20:21]
	v_add_f64 v[2:3], v[2:3], v[38:39]
	v_fma_f64 v[6:7], v[8:9], v[18:19], v[6:7]
	v_add_f64 v[30:31], v[6:7], v[30:31]
	ds_read_b128 v[6:9], v25 offset:2128
	s_waitcnt lgkmcnt(0)
	v_mul_f64 v[38:39], v[8:9], v[16:17]
	v_mul_f64 v[16:17], v[6:7], v[16:17]
	v_fma_f64 v[38:39], v[6:7], v[14:15], -v[38:39]
	v_fma_f64 v[14:15], v[8:9], v[14:15], v[16:17]
	v_add_f64 v[32:33], v[32:33], v[38:39]
	v_add_f64 v[34:35], v[14:15], v[34:35]
	v_mul_f64 v[14:15], v[8:9], v[20:21]
	v_fma_f64 v[14:15], v[6:7], v[18:19], -v[14:15]
	v_mul_f64 v[6:7], v[6:7], v[20:21]
	v_add_f64 v[26:27], v[26:27], v[14:15]
	v_fma_f64 v[6:7], v[8:9], v[18:19], v[6:7]
	v_add_f64 v[28:29], v[6:7], v[28:29]
	ds_read_b128 v[6:9], v25 offset:96
	ds_read_b128 v[14:17], v24 offset:3072
	s_waitcnt lgkmcnt(0)
	v_mul_f64 v[18:19], v[8:9], v[16:17]
	v_mul_f64 v[20:21], v[6:7], v[16:17]
	v_fma_f64 v[18:19], v[6:7], v[14:15], -v[18:19]
	v_fma_f64 v[20:21], v[8:9], v[14:15], v[20:21]
	v_add_f64 v[10:11], v[10:11], v[18:19]
	v_add_f64 v[36:37], v[20:21], v[36:37]
	ds_read_b128 v[18:21], v24 offset:3328
	s_waitcnt lgkmcnt(0)
	v_mul_f64 v[38:39], v[8:9], v[20:21]
	v_fma_f64 v[38:39], v[6:7], v[18:19], -v[38:39]
	v_mul_f64 v[6:7], v[6:7], v[20:21]
	v_add_f64 v[2:3], v[2:3], v[38:39]
	v_fma_f64 v[6:7], v[8:9], v[18:19], v[6:7]
	v_add_f64 v[30:31], v[6:7], v[30:31]
	ds_read_b128 v[6:9], v25 offset:2144
	s_waitcnt lgkmcnt(0)
	v_mul_f64 v[38:39], v[8:9], v[16:17]
	v_mul_f64 v[16:17], v[6:7], v[16:17]
	v_fma_f64 v[38:39], v[6:7], v[14:15], -v[38:39]
	v_fma_f64 v[14:15], v[8:9], v[14:15], v[16:17]
	v_add_f64 v[38:39], v[32:33], v[38:39]
	v_add_f64 v[34:35], v[14:15], v[34:35]
	v_mul_f64 v[14:15], v[8:9], v[20:21]
	v_fma_f64 v[14:15], v[6:7], v[18:19], -v[14:15]
	v_mul_f64 v[6:7], v[6:7], v[20:21]
	v_add_f64 v[40:41], v[26:27], v[14:15]
	v_fma_f64 v[6:7], v[8:9], v[18:19], v[6:7]
	v_add_f64 v[42:43], v[6:7], v[28:29]
	ds_read_b128 v[6:9], v25 offset:112
	ds_read_b128 v[16:19], v24 offset:3584
	ds_read_b128 v[26:29], v24 offset:3840
	s_waitcnt lgkmcnt(1)
	v_mul_f64 v[14:15], v[8:9], v[18:19]
	v_mul_f64 v[20:21], v[6:7], v[18:19]
	v_fma_f64 v[14:15], v[6:7], v[16:17], -v[14:15]
	v_fma_f64 v[20:21], v[8:9], v[16:17], v[20:21]
	v_add_f64 v[10:11], v[10:11], v[14:15]
	s_waitcnt lgkmcnt(0)
	v_mul_f64 v[14:15], v[8:9], v[28:29]
	v_add_f64 v[20:21], v[20:21], v[36:37]
	v_fma_f64 v[14:15], v[6:7], v[26:27], -v[14:15]
	v_mul_f64 v[6:7], v[6:7], v[28:29]
	v_add_f64 v[2:3], v[2:3], v[14:15]
	v_fma_f64 v[6:7], v[8:9], v[26:27], v[6:7]
	v_add_f64 v[14:15], v[6:7], v[30:31]
	ds_read_b128 v[30:33], v25 offset:2160
	s_waitcnt lgkmcnt(0)
	s_barrier
	v_mul_f64 v[6:7], v[32:33], v[18:19]
	v_mul_f64 v[8:9], v[30:31], v[18:19]
	v_fma_f64 v[6:7], v[30:31], v[16:17], -v[6:7]
	v_fma_f64 v[16:17], v[32:33], v[16:17], v[8:9]
	v_add_f64 v[8:9], v[38:39], v[6:7]
	v_add_f64 v[18:19], v[16:17], v[34:35]
	v_mul_f64 v[6:7], v[32:33], v[28:29]
	v_mul_f64 v[16:17], v[30:31], v[28:29]
	v_fma_f64 v[6:7], v[30:31], v[26:27], -v[6:7]
	v_fma_f64 v[16:17], v[32:33], v[26:27], v[16:17]
	v_add_f64 v[6:7], v[40:41], v[6:7]
	v_add_f64 v[16:17], v[16:17], v[42:43]
	s_cbranch_scc0 .LBB408_2
	s_branch .LBB408_4
.LBB408_3:
	v_mov_b32_e32 v10, 0
	v_mov_b32_e32 v20, 0
	;; [unrolled: 1-line block ×16, first 2 shown]
.LBB408_4:
	s_load_dwordx2 s[0:1], s[4:5], 0x48
	s_load_dword s9, s[4:5], 0x40
	v_add_u32_e32 v22, s7, v1
	v_add_u32_e32 v0, s6, v0
	v_cmp_gt_i32_e32 vcc, s10, v22
	s_waitcnt lgkmcnt(0)
	s_mul_i32 s1, s1, s8
	v_mad_i64_i32 v[4:5], s[12:13], v22, s9, 0
	s_mul_hi_u32 s4, s0, s8
	s_mul_i32 s0, s0, s8
	s_add_i32 s1, s4, s1
	s_lshl_b64 s[0:1], s[0:1], 4
	s_add_u32 s4, s2, s0
	v_lshlrev_b64 v[4:5], 4, v[4:5]
	s_addc_u32 s5, s3, s1
	v_mov_b32_e32 v1, s5
	v_add_co_u32_e64 v4, s[0:1], s4, v4
	v_addc_co_u32_e64 v5, s[0:1], v1, v5, s[0:1]
	v_cmp_le_i32_e64 s[0:1], v0, v22
	s_and_b64 s[0:1], vcc, s[0:1]
	s_and_saveexec_b64 s[2:3], s[0:1]
	s_cbranch_execz .LBB408_6
; %bb.5:
	v_ashrrev_i32_e32 v1, 31, v0
	v_lshlrev_b64 v[12:13], 4, v[0:1]
	v_xor_b32_e32 v11, 0x80000000, v11
	v_add_co_u32_e64 v23, s[0:1], v4, v12
	v_addc_co_u32_e64 v24, s[0:1], v5, v13, s[0:1]
	v_cmp_ne_u32_e64 s[0:1], v22, v0
	v_cndmask_b32_e64 v13, 0, -v21, s[0:1]
	v_cndmask_b32_e64 v12, 0, v20, s[0:1]
	global_store_dwordx4 v[23:24], v[10:13], off
.LBB408_6:
	s_or_b64 exec, exec, s[2:3]
	v_add_u32_e32 v12, 16, v0
	v_cmp_le_i32_e64 s[0:1], v12, v22
	s_and_b64 s[2:3], vcc, s[0:1]
	s_and_saveexec_b64 s[0:1], s[2:3]
	s_cbranch_execz .LBB408_8
; %bb.7:
	v_ashrrev_i32_e32 v13, 31, v12
	v_lshlrev_b64 v[10:11], 4, v[12:13]
	v_xor_b32_e32 v3, 0x80000000, v3
	v_add_co_u32_e32 v10, vcc, v4, v10
	v_addc_co_u32_e32 v11, vcc, v5, v11, vcc
	v_cmp_ne_u32_e32 vcc, v22, v12
	v_cndmask_b32_e64 v5, 0, -v15, vcc
	v_cndmask_b32_e32 v4, 0, v14, vcc
	global_store_dwordx4 v[10:11], v[2:5], off
.LBB408_8:
	s_or_b64 exec, exec, s[0:1]
	v_add_u32_e32 v4, 16, v22
	v_mad_i64_i32 v[1:2], s[0:1], v4, s9, 0
	v_mov_b32_e32 v5, s5
	v_cmp_gt_i32_e32 vcc, s10, v4
	v_lshlrev_b64 v[2:3], 4, v[1:2]
	v_add_co_u32_e64 v2, s[0:1], s4, v2
	v_addc_co_u32_e64 v3, s[0:1], v5, v3, s[0:1]
	v_cmp_le_i32_e64 s[0:1], v0, v4
	s_and_b64 s[0:1], vcc, s[0:1]
	s_and_saveexec_b64 s[2:3], s[0:1]
	s_cbranch_execz .LBB408_10
; %bb.9:
	v_ashrrev_i32_e32 v1, 31, v0
	v_lshlrev_b64 v[10:11], 4, v[0:1]
	v_xor_b32_e32 v9, 0x80000000, v9
	v_add_co_u32_e64 v13, s[0:1], v2, v10
	v_addc_co_u32_e64 v14, s[0:1], v3, v11, s[0:1]
	v_cmp_ne_u32_e64 s[0:1], v4, v0
	v_cndmask_b32_e64 v11, 0, -v19, s[0:1]
	v_cndmask_b32_e64 v10, 0, v18, s[0:1]
	global_store_dwordx4 v[13:14], v[8:11], off
.LBB408_10:
	s_or_b64 exec, exec, s[2:3]
	v_cmp_le_i32_e64 s[0:1], v12, v4
	s_and_b64 s[0:1], vcc, s[0:1]
	s_and_saveexec_b64 s[2:3], s[0:1]
	s_cbranch_execz .LBB408_12
; %bb.11:
	v_ashrrev_i32_e32 v13, 31, v12
	v_lshlrev_b64 v[4:5], 4, v[12:13]
	v_xor_b32_e32 v7, 0x80000000, v7
	v_add_co_u32_e32 v1, vcc, v2, v4
	v_addc_co_u32_e32 v2, vcc, v3, v5, vcc
	v_cmp_ne_u32_e32 vcc, v22, v0
	v_cndmask_b32_e64 v9, 0, -v17, vcc
	v_cndmask_b32_e32 v8, 0, v16, vcc
	global_store_dwordx4 v[1:2], v[6:9], off
.LBB408_12:
	s_endpgm
	.section	.rodata,"a",@progbits
	.p2align	6, 0x0
	.amdhsa_kernel _ZL37rocblas_syrkx_herkx_restricted_kernelIi19rocblas_complex_numIdELi16ELi32ELi8ELin1ELi0ELb1ELc84ELc85EKS1_S1_EviT_PT9_S3_lS5_S3_lPT10_S3_li
		.amdhsa_group_segment_fixed_size 8192
		.amdhsa_private_segment_fixed_size 0
		.amdhsa_kernarg_size 84
		.amdhsa_user_sgpr_count 6
		.amdhsa_user_sgpr_private_segment_buffer 1
		.amdhsa_user_sgpr_dispatch_ptr 0
		.amdhsa_user_sgpr_queue_ptr 0
		.amdhsa_user_sgpr_kernarg_segment_ptr 1
		.amdhsa_user_sgpr_dispatch_id 0
		.amdhsa_user_sgpr_flat_scratch_init 0
		.amdhsa_user_sgpr_private_segment_size 0
		.amdhsa_uses_dynamic_stack 0
		.amdhsa_system_sgpr_private_segment_wavefront_offset 0
		.amdhsa_system_sgpr_workgroup_id_x 1
		.amdhsa_system_sgpr_workgroup_id_y 1
		.amdhsa_system_sgpr_workgroup_id_z 1
		.amdhsa_system_sgpr_workgroup_info 0
		.amdhsa_system_vgpr_workitem_id 1
		.amdhsa_next_free_vgpr 52
		.amdhsa_next_free_sgpr 61
		.amdhsa_reserve_vcc 1
		.amdhsa_reserve_flat_scratch 0
		.amdhsa_float_round_mode_32 0
		.amdhsa_float_round_mode_16_64 0
		.amdhsa_float_denorm_mode_32 3
		.amdhsa_float_denorm_mode_16_64 3
		.amdhsa_dx10_clamp 1
		.amdhsa_ieee_mode 1
		.amdhsa_fp16_overflow 0
		.amdhsa_exception_fp_ieee_invalid_op 0
		.amdhsa_exception_fp_denorm_src 0
		.amdhsa_exception_fp_ieee_div_zero 0
		.amdhsa_exception_fp_ieee_overflow 0
		.amdhsa_exception_fp_ieee_underflow 0
		.amdhsa_exception_fp_ieee_inexact 0
		.amdhsa_exception_int_div_zero 0
	.end_amdhsa_kernel
	.section	.text._ZL37rocblas_syrkx_herkx_restricted_kernelIi19rocblas_complex_numIdELi16ELi32ELi8ELin1ELi0ELb1ELc84ELc85EKS1_S1_EviT_PT9_S3_lS5_S3_lPT10_S3_li,"axG",@progbits,_ZL37rocblas_syrkx_herkx_restricted_kernelIi19rocblas_complex_numIdELi16ELi32ELi8ELin1ELi0ELb1ELc84ELc85EKS1_S1_EviT_PT9_S3_lS5_S3_lPT10_S3_li,comdat
.Lfunc_end408:
	.size	_ZL37rocblas_syrkx_herkx_restricted_kernelIi19rocblas_complex_numIdELi16ELi32ELi8ELin1ELi0ELb1ELc84ELc85EKS1_S1_EviT_PT9_S3_lS5_S3_lPT10_S3_li, .Lfunc_end408-_ZL37rocblas_syrkx_herkx_restricted_kernelIi19rocblas_complex_numIdELi16ELi32ELi8ELin1ELi0ELb1ELc84ELc85EKS1_S1_EviT_PT9_S3_lS5_S3_lPT10_S3_li
                                        ; -- End function
	.set _ZL37rocblas_syrkx_herkx_restricted_kernelIi19rocblas_complex_numIdELi16ELi32ELi8ELin1ELi0ELb1ELc84ELc85EKS1_S1_EviT_PT9_S3_lS5_S3_lPT10_S3_li.num_vgpr, 52
	.set _ZL37rocblas_syrkx_herkx_restricted_kernelIi19rocblas_complex_numIdELi16ELi32ELi8ELin1ELi0ELb1ELc84ELc85EKS1_S1_EviT_PT9_S3_lS5_S3_lPT10_S3_li.num_agpr, 0
	.set _ZL37rocblas_syrkx_herkx_restricted_kernelIi19rocblas_complex_numIdELi16ELi32ELi8ELin1ELi0ELb1ELc84ELc85EKS1_S1_EviT_PT9_S3_lS5_S3_lPT10_S3_li.numbered_sgpr, 22
	.set _ZL37rocblas_syrkx_herkx_restricted_kernelIi19rocblas_complex_numIdELi16ELi32ELi8ELin1ELi0ELb1ELc84ELc85EKS1_S1_EviT_PT9_S3_lS5_S3_lPT10_S3_li.num_named_barrier, 0
	.set _ZL37rocblas_syrkx_herkx_restricted_kernelIi19rocblas_complex_numIdELi16ELi32ELi8ELin1ELi0ELb1ELc84ELc85EKS1_S1_EviT_PT9_S3_lS5_S3_lPT10_S3_li.private_seg_size, 0
	.set _ZL37rocblas_syrkx_herkx_restricted_kernelIi19rocblas_complex_numIdELi16ELi32ELi8ELin1ELi0ELb1ELc84ELc85EKS1_S1_EviT_PT9_S3_lS5_S3_lPT10_S3_li.uses_vcc, 1
	.set _ZL37rocblas_syrkx_herkx_restricted_kernelIi19rocblas_complex_numIdELi16ELi32ELi8ELin1ELi0ELb1ELc84ELc85EKS1_S1_EviT_PT9_S3_lS5_S3_lPT10_S3_li.uses_flat_scratch, 0
	.set _ZL37rocblas_syrkx_herkx_restricted_kernelIi19rocblas_complex_numIdELi16ELi32ELi8ELin1ELi0ELb1ELc84ELc85EKS1_S1_EviT_PT9_S3_lS5_S3_lPT10_S3_li.has_dyn_sized_stack, 0
	.set _ZL37rocblas_syrkx_herkx_restricted_kernelIi19rocblas_complex_numIdELi16ELi32ELi8ELin1ELi0ELb1ELc84ELc85EKS1_S1_EviT_PT9_S3_lS5_S3_lPT10_S3_li.has_recursion, 0
	.set _ZL37rocblas_syrkx_herkx_restricted_kernelIi19rocblas_complex_numIdELi16ELi32ELi8ELin1ELi0ELb1ELc84ELc85EKS1_S1_EviT_PT9_S3_lS5_S3_lPT10_S3_li.has_indirect_call, 0
	.section	.AMDGPU.csdata,"",@progbits
; Kernel info:
; codeLenInByte = 2884
; TotalNumSgprs: 26
; NumVgprs: 52
; ScratchSize: 0
; MemoryBound: 0
; FloatMode: 240
; IeeeMode: 1
; LDSByteSize: 8192 bytes/workgroup (compile time only)
; SGPRBlocks: 8
; VGPRBlocks: 12
; NumSGPRsForWavesPerEU: 65
; NumVGPRsForWavesPerEU: 52
; Occupancy: 4
; WaveLimiterHint : 0
; COMPUTE_PGM_RSRC2:SCRATCH_EN: 0
; COMPUTE_PGM_RSRC2:USER_SGPR: 6
; COMPUTE_PGM_RSRC2:TRAP_HANDLER: 0
; COMPUTE_PGM_RSRC2:TGID_X_EN: 1
; COMPUTE_PGM_RSRC2:TGID_Y_EN: 1
; COMPUTE_PGM_RSRC2:TGID_Z_EN: 1
; COMPUTE_PGM_RSRC2:TIDIG_COMP_CNT: 1
	.section	.text._ZL37rocblas_syrkx_herkx_restricted_kernelIi19rocblas_complex_numIdELi16ELi32ELi8ELin1ELi0ELb1ELc67ELc85EKS1_S1_EviT_PT9_S3_lS5_S3_lPT10_S3_li,"axG",@progbits,_ZL37rocblas_syrkx_herkx_restricted_kernelIi19rocblas_complex_numIdELi16ELi32ELi8ELin1ELi0ELb1ELc67ELc85EKS1_S1_EviT_PT9_S3_lS5_S3_lPT10_S3_li,comdat
	.globl	_ZL37rocblas_syrkx_herkx_restricted_kernelIi19rocblas_complex_numIdELi16ELi32ELi8ELin1ELi0ELb1ELc67ELc85EKS1_S1_EviT_PT9_S3_lS5_S3_lPT10_S3_li ; -- Begin function _ZL37rocblas_syrkx_herkx_restricted_kernelIi19rocblas_complex_numIdELi16ELi32ELi8ELin1ELi0ELb1ELc67ELc85EKS1_S1_EviT_PT9_S3_lS5_S3_lPT10_S3_li
	.p2align	8
	.type	_ZL37rocblas_syrkx_herkx_restricted_kernelIi19rocblas_complex_numIdELi16ELi32ELi8ELin1ELi0ELb1ELc67ELc85EKS1_S1_EviT_PT9_S3_lS5_S3_lPT10_S3_li,@function
_ZL37rocblas_syrkx_herkx_restricted_kernelIi19rocblas_complex_numIdELi16ELi32ELi8ELin1ELi0ELb1ELc67ELc85EKS1_S1_EviT_PT9_S3_lS5_S3_lPT10_S3_li: ; @_ZL37rocblas_syrkx_herkx_restricted_kernelIi19rocblas_complex_numIdELi16ELi32ELi8ELin1ELi0ELb1ELc67ELc85EKS1_S1_EviT_PT9_S3_lS5_S3_lPT10_S3_li
; %bb.0:
	s_load_dwordx2 s[10:11], s[4:5], 0x0
	s_load_dwordx4 s[0:3], s[4:5], 0x30
	s_lshl_b32 s6, s6, 5
	s_lshl_b32 s7, s7, 5
	s_mov_b32 s9, 0
	s_waitcnt lgkmcnt(0)
	s_cmp_lt_i32 s11, 1
	s_cbranch_scc1 .LBB409_3
; %bb.1:
	s_load_dwordx2 s[16:17], s[4:5], 0x8
	s_load_dword s20, s[4:5], 0x10
	s_load_dwordx4 s[12:15], s[4:5], 0x18
	s_load_dword s18, s[4:5], 0x28
	v_lshl_add_u32 v4, v1, 4, v0
	v_lshrrev_b32_e32 v8, 3, v4
	v_add_u32_e32 v5, s7, v8
	v_and_b32_e32 v2, 7, v0
	v_mov_b32_e32 v3, 0
	s_waitcnt lgkmcnt(0)
	v_mad_i64_i32 v[6:7], s[18:19], s18, v5, v[2:3]
	v_lshlrev_b32_e32 v2, 4, v2
	v_lshl_or_b32 v2, v8, 7, v2
	v_and_b32_e32 v9, 31, v4
	v_add_u32_e32 v23, 0x1000, v2
	v_mov_b32_e32 v2, 0x1000
	v_lshrrev_b32_e32 v4, 5, v4
	v_mov_b32_e32 v5, v3
	v_lshlrev_b32_e32 v3, 4, v9
	v_lshl_add_u32 v25, v1, 7, v2
	v_add_u32_e32 v2, s6, v9
	v_lshl_or_b32 v22, v4, 9, v3
	v_mad_i64_i32 v[2:3], s[18:19], s20, v2, v[4:5]
	s_mul_i32 s13, s13, s8
	s_mul_hi_u32 s21, s12, s8
	s_add_i32 s13, s21, s13
	s_mul_i32 s12, s12, s8
	s_lshl_b64 s[12:13], s[12:13], 4
	v_lshlrev_b64 v[2:3], 4, v[2:3]
	s_add_u32 s12, s16, s12
	s_addc_u32 s13, s17, s13
	v_mov_b32_e32 v4, s13
	v_add_co_u32_e32 v2, vcc, s12, v2
	s_mul_i32 s1, s1, s8
	s_mul_hi_u32 s12, s0, s8
	v_addc_co_u32_e32 v3, vcc, v4, v3, vcc
	s_add_i32 s1, s12, s1
	s_mul_i32 s0, s0, s8
	v_add_co_u32_e32 v4, vcc, 8, v2
	s_lshl_b64 s[0:1], s[0:1], 4
	v_addc_co_u32_e32 v5, vcc, 0, v3, vcc
	v_lshlrev_b64 v[2:3], 4, v[6:7]
	s_add_u32 s0, s14, s0
	s_addc_u32 s1, s15, s1
	v_mov_b32_e32 v6, s1
	v_add_co_u32_e32 v12, vcc, s0, v2
	v_addc_co_u32_e32 v13, vcc, v6, v3, vcc
	v_mov_b32_e32 v16, 0
	v_mov_b32_e32 v6, 0
	;; [unrolled: 1-line block ×8, first 2 shown]
	v_add_co_u32_e32 v12, vcc, 8, v12
	v_lshlrev_b32_e32 v24, 4, v0
	v_mov_b32_e32 v17, 0
	v_mov_b32_e32 v7, 0
	;; [unrolled: 1-line block ×8, first 2 shown]
	v_addc_co_u32_e32 v13, vcc, 0, v13, vcc
.LBB409_2:                              ; =>This Inner Loop Header: Depth=1
	global_load_dwordx4 v[26:29], v[4:5], off offset:-8
	v_add_co_u32_e32 v4, vcc, 0x80, v4
	v_addc_co_u32_e32 v5, vcc, 0, v5, vcc
	s_add_i32 s9, s9, 8
	s_cmp_ge_i32 s9, s11
	s_waitcnt vmcnt(0)
	v_xor_b32_e32 v29, 0x80000000, v29
	ds_write_b128 v22, v[26:29]
	global_load_dwordx4 v[26:29], v[12:13], off offset:-8
	v_add_co_u32_e32 v12, vcc, 0x80, v12
	v_addc_co_u32_e32 v13, vcc, 0, v13, vcc
	s_waitcnt vmcnt(0)
	ds_write_b128 v23, v[26:29]
	s_waitcnt lgkmcnt(0)
	s_barrier
	ds_read_b128 v[26:29], v25
	ds_read_b128 v[30:33], v25 offset:16
	ds_read_b128 v[34:37], v25 offset:32
	;; [unrolled: 1-line block ×3, first 2 shown]
	ds_read_b128 v[42:45], v24
	s_waitcnt lgkmcnt(0)
	v_mul_f64 v[46:47], v[28:29], v[44:45]
	v_mul_f64 v[48:49], v[26:27], v[44:45]
	v_fma_f64 v[46:47], v[26:27], v[42:43], -v[46:47]
	v_fma_f64 v[48:49], v[28:29], v[42:43], v[48:49]
	v_add_f64 v[10:11], v[10:11], v[46:47]
	v_add_f64 v[20:21], v[48:49], v[20:21]
	ds_read_b128 v[46:49], v24 offset:256
	s_waitcnt lgkmcnt(0)
	v_mul_f64 v[50:51], v[28:29], v[48:49]
	v_fma_f64 v[50:51], v[26:27], v[46:47], -v[50:51]
	v_mul_f64 v[26:27], v[26:27], v[48:49]
	v_add_f64 v[2:3], v[2:3], v[50:51]
	v_fma_f64 v[26:27], v[28:29], v[46:47], v[26:27]
	v_add_f64 v[50:51], v[26:27], v[14:15]
	ds_read_b128 v[26:29], v25 offset:2048
	s_waitcnt lgkmcnt(0)
	v_mul_f64 v[14:15], v[28:29], v[44:45]
	v_mul_f64 v[44:45], v[26:27], v[44:45]
	v_fma_f64 v[14:15], v[26:27], v[42:43], -v[14:15]
	v_fma_f64 v[42:43], v[28:29], v[42:43], v[44:45]
	v_add_f64 v[44:45], v[8:9], v[14:15]
	v_mul_f64 v[8:9], v[28:29], v[48:49]
	v_mul_f64 v[14:15], v[26:27], v[48:49]
	v_add_f64 v[42:43], v[42:43], v[18:19]
	v_fma_f64 v[8:9], v[26:27], v[46:47], -v[8:9]
	v_fma_f64 v[14:15], v[28:29], v[46:47], v[14:15]
	v_add_f64 v[26:27], v[6:7], v[8:9]
	ds_read_b128 v[6:9], v24 offset:512
	v_add_f64 v[28:29], v[14:15], v[16:17]
	s_waitcnt lgkmcnt(0)
	v_mul_f64 v[14:15], v[32:33], v[8:9]
	v_mul_f64 v[16:17], v[30:31], v[8:9]
	v_fma_f64 v[14:15], v[30:31], v[6:7], -v[14:15]
	v_fma_f64 v[16:17], v[32:33], v[6:7], v[16:17]
	v_add_f64 v[10:11], v[10:11], v[14:15]
	v_add_f64 v[46:47], v[16:17], v[20:21]
	ds_read_b128 v[14:17], v24 offset:768
	s_waitcnt lgkmcnt(0)
	v_mul_f64 v[18:19], v[32:33], v[16:17]
	v_mul_f64 v[20:21], v[30:31], v[16:17]
	v_fma_f64 v[18:19], v[30:31], v[14:15], -v[18:19]
	v_fma_f64 v[20:21], v[32:33], v[14:15], v[20:21]
	v_add_f64 v[2:3], v[2:3], v[18:19]
	v_add_f64 v[30:31], v[20:21], v[50:51]
	ds_read_b128 v[18:21], v25 offset:2064
	s_waitcnt lgkmcnt(0)
	v_mul_f64 v[32:33], v[20:21], v[8:9]
	v_mul_f64 v[8:9], v[18:19], v[8:9]
	v_fma_f64 v[32:33], v[18:19], v[6:7], -v[32:33]
	v_fma_f64 v[6:7], v[20:21], v[6:7], v[8:9]
	v_mul_f64 v[8:9], v[18:19], v[16:17]
	v_add_f64 v[32:33], v[44:45], v[32:33]
	v_add_f64 v[42:43], v[6:7], v[42:43]
	v_mul_f64 v[6:7], v[20:21], v[16:17]
	v_fma_f64 v[8:9], v[20:21], v[14:15], v[8:9]
	v_fma_f64 v[6:7], v[18:19], v[14:15], -v[6:7]
	v_add_f64 v[28:29], v[8:9], v[28:29]
	v_add_f64 v[26:27], v[26:27], v[6:7]
	ds_read_b128 v[6:9], v24 offset:1024
	s_waitcnt lgkmcnt(0)
	v_mul_f64 v[14:15], v[36:37], v[8:9]
	v_mul_f64 v[16:17], v[34:35], v[8:9]
	v_fma_f64 v[14:15], v[34:35], v[6:7], -v[14:15]
	v_fma_f64 v[16:17], v[36:37], v[6:7], v[16:17]
	v_add_f64 v[10:11], v[10:11], v[14:15]
	v_add_f64 v[44:45], v[16:17], v[46:47]
	ds_read_b128 v[14:17], v24 offset:1280
	s_waitcnt lgkmcnt(0)
	v_mul_f64 v[18:19], v[36:37], v[16:17]
	v_mul_f64 v[20:21], v[34:35], v[16:17]
	v_fma_f64 v[18:19], v[34:35], v[14:15], -v[18:19]
	v_fma_f64 v[20:21], v[36:37], v[14:15], v[20:21]
	v_add_f64 v[2:3], v[2:3], v[18:19]
	v_add_f64 v[30:31], v[20:21], v[30:31]
	ds_read_b128 v[18:21], v25 offset:2080
	s_waitcnt lgkmcnt(0)
	v_mul_f64 v[34:35], v[20:21], v[8:9]
	v_mul_f64 v[8:9], v[18:19], v[8:9]
	v_fma_f64 v[34:35], v[18:19], v[6:7], -v[34:35]
	v_fma_f64 v[6:7], v[20:21], v[6:7], v[8:9]
	v_mul_f64 v[8:9], v[18:19], v[16:17]
	v_add_f64 v[32:33], v[32:33], v[34:35]
	v_add_f64 v[34:35], v[6:7], v[42:43]
	v_mul_f64 v[6:7], v[20:21], v[16:17]
	v_fma_f64 v[8:9], v[20:21], v[14:15], v[8:9]
	v_fma_f64 v[6:7], v[18:19], v[14:15], -v[6:7]
	v_add_f64 v[28:29], v[8:9], v[28:29]
	v_add_f64 v[26:27], v[26:27], v[6:7]
	ds_read_b128 v[6:9], v24 offset:1536
	s_waitcnt lgkmcnt(0)
	v_mul_f64 v[14:15], v[40:41], v[8:9]
	v_mul_f64 v[16:17], v[38:39], v[8:9]
	v_fma_f64 v[14:15], v[38:39], v[6:7], -v[14:15]
	v_fma_f64 v[16:17], v[40:41], v[6:7], v[16:17]
	v_add_f64 v[10:11], v[10:11], v[14:15]
	v_add_f64 v[36:37], v[16:17], v[44:45]
	ds_read_b128 v[14:17], v24 offset:1792
	s_waitcnt lgkmcnt(0)
	v_mul_f64 v[18:19], v[40:41], v[16:17]
	v_mul_f64 v[20:21], v[38:39], v[16:17]
	v_fma_f64 v[18:19], v[38:39], v[14:15], -v[18:19]
	v_fma_f64 v[20:21], v[40:41], v[14:15], v[20:21]
	v_add_f64 v[2:3], v[2:3], v[18:19]
	v_add_f64 v[30:31], v[20:21], v[30:31]
	ds_read_b128 v[18:21], v25 offset:2096
	s_waitcnt lgkmcnt(0)
	v_mul_f64 v[38:39], v[20:21], v[8:9]
	v_mul_f64 v[8:9], v[18:19], v[8:9]
	v_fma_f64 v[38:39], v[18:19], v[6:7], -v[38:39]
	v_fma_f64 v[6:7], v[20:21], v[6:7], v[8:9]
	v_mul_f64 v[8:9], v[18:19], v[16:17]
	v_add_f64 v[32:33], v[32:33], v[38:39]
	v_add_f64 v[34:35], v[6:7], v[34:35]
	v_mul_f64 v[6:7], v[20:21], v[16:17]
	v_fma_f64 v[8:9], v[20:21], v[14:15], v[8:9]
	v_fma_f64 v[6:7], v[18:19], v[14:15], -v[6:7]
	v_add_f64 v[28:29], v[8:9], v[28:29]
	v_add_f64 v[26:27], v[26:27], v[6:7]
	ds_read_b128 v[6:9], v25 offset:64
	ds_read_b128 v[14:17], v24 offset:2048
	s_waitcnt lgkmcnt(0)
	v_mul_f64 v[18:19], v[8:9], v[16:17]
	v_mul_f64 v[20:21], v[6:7], v[16:17]
	v_fma_f64 v[18:19], v[6:7], v[14:15], -v[18:19]
	v_fma_f64 v[20:21], v[8:9], v[14:15], v[20:21]
	v_add_f64 v[10:11], v[10:11], v[18:19]
	v_add_f64 v[36:37], v[20:21], v[36:37]
	ds_read_b128 v[18:21], v24 offset:2304
	s_waitcnt lgkmcnt(0)
	v_mul_f64 v[38:39], v[8:9], v[20:21]
	v_fma_f64 v[38:39], v[6:7], v[18:19], -v[38:39]
	v_mul_f64 v[6:7], v[6:7], v[20:21]
	v_add_f64 v[2:3], v[2:3], v[38:39]
	v_fma_f64 v[6:7], v[8:9], v[18:19], v[6:7]
	v_add_f64 v[30:31], v[6:7], v[30:31]
	ds_read_b128 v[6:9], v25 offset:2112
	s_waitcnt lgkmcnt(0)
	v_mul_f64 v[38:39], v[8:9], v[16:17]
	v_mul_f64 v[16:17], v[6:7], v[16:17]
	v_fma_f64 v[38:39], v[6:7], v[14:15], -v[38:39]
	v_fma_f64 v[14:15], v[8:9], v[14:15], v[16:17]
	v_add_f64 v[32:33], v[32:33], v[38:39]
	v_add_f64 v[34:35], v[14:15], v[34:35]
	v_mul_f64 v[14:15], v[8:9], v[20:21]
	v_fma_f64 v[14:15], v[6:7], v[18:19], -v[14:15]
	v_mul_f64 v[6:7], v[6:7], v[20:21]
	v_add_f64 v[26:27], v[26:27], v[14:15]
	v_fma_f64 v[6:7], v[8:9], v[18:19], v[6:7]
	v_add_f64 v[28:29], v[6:7], v[28:29]
	ds_read_b128 v[6:9], v25 offset:80
	ds_read_b128 v[14:17], v24 offset:2560
	s_waitcnt lgkmcnt(0)
	v_mul_f64 v[18:19], v[8:9], v[16:17]
	v_mul_f64 v[20:21], v[6:7], v[16:17]
	v_fma_f64 v[18:19], v[6:7], v[14:15], -v[18:19]
	v_fma_f64 v[20:21], v[8:9], v[14:15], v[20:21]
	v_add_f64 v[10:11], v[10:11], v[18:19]
	v_add_f64 v[36:37], v[20:21], v[36:37]
	ds_read_b128 v[18:21], v24 offset:2816
	s_waitcnt lgkmcnt(0)
	v_mul_f64 v[38:39], v[8:9], v[20:21]
	v_fma_f64 v[38:39], v[6:7], v[18:19], -v[38:39]
	v_mul_f64 v[6:7], v[6:7], v[20:21]
	v_add_f64 v[2:3], v[2:3], v[38:39]
	v_fma_f64 v[6:7], v[8:9], v[18:19], v[6:7]
	v_add_f64 v[30:31], v[6:7], v[30:31]
	ds_read_b128 v[6:9], v25 offset:2128
	s_waitcnt lgkmcnt(0)
	v_mul_f64 v[38:39], v[8:9], v[16:17]
	v_mul_f64 v[16:17], v[6:7], v[16:17]
	v_fma_f64 v[38:39], v[6:7], v[14:15], -v[38:39]
	v_fma_f64 v[14:15], v[8:9], v[14:15], v[16:17]
	v_add_f64 v[32:33], v[32:33], v[38:39]
	v_add_f64 v[34:35], v[14:15], v[34:35]
	v_mul_f64 v[14:15], v[8:9], v[20:21]
	v_fma_f64 v[14:15], v[6:7], v[18:19], -v[14:15]
	v_mul_f64 v[6:7], v[6:7], v[20:21]
	v_add_f64 v[26:27], v[26:27], v[14:15]
	v_fma_f64 v[6:7], v[8:9], v[18:19], v[6:7]
	v_add_f64 v[28:29], v[6:7], v[28:29]
	ds_read_b128 v[6:9], v25 offset:96
	ds_read_b128 v[14:17], v24 offset:3072
	s_waitcnt lgkmcnt(0)
	v_mul_f64 v[18:19], v[8:9], v[16:17]
	v_mul_f64 v[20:21], v[6:7], v[16:17]
	v_fma_f64 v[18:19], v[6:7], v[14:15], -v[18:19]
	v_fma_f64 v[20:21], v[8:9], v[14:15], v[20:21]
	v_add_f64 v[10:11], v[10:11], v[18:19]
	v_add_f64 v[36:37], v[20:21], v[36:37]
	ds_read_b128 v[18:21], v24 offset:3328
	s_waitcnt lgkmcnt(0)
	v_mul_f64 v[38:39], v[8:9], v[20:21]
	v_fma_f64 v[38:39], v[6:7], v[18:19], -v[38:39]
	v_mul_f64 v[6:7], v[6:7], v[20:21]
	v_add_f64 v[2:3], v[2:3], v[38:39]
	v_fma_f64 v[6:7], v[8:9], v[18:19], v[6:7]
	v_add_f64 v[30:31], v[6:7], v[30:31]
	ds_read_b128 v[6:9], v25 offset:2144
	s_waitcnt lgkmcnt(0)
	v_mul_f64 v[38:39], v[8:9], v[16:17]
	v_mul_f64 v[16:17], v[6:7], v[16:17]
	v_fma_f64 v[38:39], v[6:7], v[14:15], -v[38:39]
	v_fma_f64 v[14:15], v[8:9], v[14:15], v[16:17]
	v_add_f64 v[38:39], v[32:33], v[38:39]
	v_add_f64 v[34:35], v[14:15], v[34:35]
	v_mul_f64 v[14:15], v[8:9], v[20:21]
	v_fma_f64 v[14:15], v[6:7], v[18:19], -v[14:15]
	v_mul_f64 v[6:7], v[6:7], v[20:21]
	v_add_f64 v[40:41], v[26:27], v[14:15]
	v_fma_f64 v[6:7], v[8:9], v[18:19], v[6:7]
	v_add_f64 v[42:43], v[6:7], v[28:29]
	ds_read_b128 v[6:9], v25 offset:112
	ds_read_b128 v[16:19], v24 offset:3584
	ds_read_b128 v[26:29], v24 offset:3840
	s_waitcnt lgkmcnt(1)
	v_mul_f64 v[14:15], v[8:9], v[18:19]
	v_mul_f64 v[20:21], v[6:7], v[18:19]
	v_fma_f64 v[14:15], v[6:7], v[16:17], -v[14:15]
	v_fma_f64 v[20:21], v[8:9], v[16:17], v[20:21]
	v_add_f64 v[10:11], v[10:11], v[14:15]
	s_waitcnt lgkmcnt(0)
	v_mul_f64 v[14:15], v[8:9], v[28:29]
	v_add_f64 v[20:21], v[20:21], v[36:37]
	v_fma_f64 v[14:15], v[6:7], v[26:27], -v[14:15]
	v_mul_f64 v[6:7], v[6:7], v[28:29]
	v_add_f64 v[2:3], v[2:3], v[14:15]
	v_fma_f64 v[6:7], v[8:9], v[26:27], v[6:7]
	v_add_f64 v[14:15], v[6:7], v[30:31]
	ds_read_b128 v[30:33], v25 offset:2160
	s_waitcnt lgkmcnt(0)
	s_barrier
	v_mul_f64 v[6:7], v[32:33], v[18:19]
	v_mul_f64 v[8:9], v[30:31], v[18:19]
	v_fma_f64 v[6:7], v[30:31], v[16:17], -v[6:7]
	v_fma_f64 v[16:17], v[32:33], v[16:17], v[8:9]
	v_add_f64 v[8:9], v[38:39], v[6:7]
	v_add_f64 v[18:19], v[16:17], v[34:35]
	v_mul_f64 v[6:7], v[32:33], v[28:29]
	v_mul_f64 v[16:17], v[30:31], v[28:29]
	v_fma_f64 v[6:7], v[30:31], v[26:27], -v[6:7]
	v_fma_f64 v[16:17], v[32:33], v[26:27], v[16:17]
	v_add_f64 v[6:7], v[40:41], v[6:7]
	v_add_f64 v[16:17], v[16:17], v[42:43]
	s_cbranch_scc0 .LBB409_2
	s_branch .LBB409_4
.LBB409_3:
	v_mov_b32_e32 v10, 0
	v_mov_b32_e32 v20, 0
	;; [unrolled: 1-line block ×16, first 2 shown]
.LBB409_4:
	s_load_dwordx2 s[0:1], s[4:5], 0x48
	s_load_dword s9, s[4:5], 0x40
	v_add_u32_e32 v22, s7, v1
	v_add_u32_e32 v0, s6, v0
	v_cmp_gt_i32_e32 vcc, s10, v22
	s_waitcnt lgkmcnt(0)
	s_mul_i32 s1, s1, s8
	v_mad_i64_i32 v[4:5], s[12:13], v22, s9, 0
	s_mul_hi_u32 s4, s0, s8
	s_mul_i32 s0, s0, s8
	s_add_i32 s1, s4, s1
	s_lshl_b64 s[0:1], s[0:1], 4
	s_add_u32 s4, s2, s0
	v_lshlrev_b64 v[4:5], 4, v[4:5]
	s_addc_u32 s5, s3, s1
	v_mov_b32_e32 v1, s5
	v_add_co_u32_e64 v4, s[0:1], s4, v4
	v_addc_co_u32_e64 v5, s[0:1], v1, v5, s[0:1]
	v_cmp_le_i32_e64 s[0:1], v0, v22
	s_and_b64 s[0:1], vcc, s[0:1]
	s_and_saveexec_b64 s[2:3], s[0:1]
	s_cbranch_execz .LBB409_6
; %bb.5:
	v_ashrrev_i32_e32 v1, 31, v0
	v_lshlrev_b64 v[12:13], 4, v[0:1]
	v_xor_b32_e32 v11, 0x80000000, v11
	v_add_co_u32_e64 v23, s[0:1], v4, v12
	v_addc_co_u32_e64 v24, s[0:1], v5, v13, s[0:1]
	v_cmp_ne_u32_e64 s[0:1], v22, v0
	v_cndmask_b32_e64 v13, 0, -v21, s[0:1]
	v_cndmask_b32_e64 v12, 0, v20, s[0:1]
	global_store_dwordx4 v[23:24], v[10:13], off
.LBB409_6:
	s_or_b64 exec, exec, s[2:3]
	v_add_u32_e32 v12, 16, v0
	v_cmp_le_i32_e64 s[0:1], v12, v22
	s_and_b64 s[2:3], vcc, s[0:1]
	s_and_saveexec_b64 s[0:1], s[2:3]
	s_cbranch_execz .LBB409_8
; %bb.7:
	v_ashrrev_i32_e32 v13, 31, v12
	v_lshlrev_b64 v[10:11], 4, v[12:13]
	v_xor_b32_e32 v3, 0x80000000, v3
	v_add_co_u32_e32 v10, vcc, v4, v10
	v_addc_co_u32_e32 v11, vcc, v5, v11, vcc
	v_cmp_ne_u32_e32 vcc, v22, v12
	v_cndmask_b32_e64 v5, 0, -v15, vcc
	v_cndmask_b32_e32 v4, 0, v14, vcc
	global_store_dwordx4 v[10:11], v[2:5], off
.LBB409_8:
	s_or_b64 exec, exec, s[0:1]
	v_add_u32_e32 v4, 16, v22
	v_mad_i64_i32 v[1:2], s[0:1], v4, s9, 0
	v_mov_b32_e32 v5, s5
	v_cmp_gt_i32_e32 vcc, s10, v4
	v_lshlrev_b64 v[2:3], 4, v[1:2]
	v_add_co_u32_e64 v2, s[0:1], s4, v2
	v_addc_co_u32_e64 v3, s[0:1], v5, v3, s[0:1]
	v_cmp_le_i32_e64 s[0:1], v0, v4
	s_and_b64 s[0:1], vcc, s[0:1]
	s_and_saveexec_b64 s[2:3], s[0:1]
	s_cbranch_execz .LBB409_10
; %bb.9:
	v_ashrrev_i32_e32 v1, 31, v0
	v_lshlrev_b64 v[10:11], 4, v[0:1]
	v_xor_b32_e32 v9, 0x80000000, v9
	v_add_co_u32_e64 v13, s[0:1], v2, v10
	v_addc_co_u32_e64 v14, s[0:1], v3, v11, s[0:1]
	v_cmp_ne_u32_e64 s[0:1], v4, v0
	v_cndmask_b32_e64 v11, 0, -v19, s[0:1]
	v_cndmask_b32_e64 v10, 0, v18, s[0:1]
	global_store_dwordx4 v[13:14], v[8:11], off
.LBB409_10:
	s_or_b64 exec, exec, s[2:3]
	v_cmp_le_i32_e64 s[0:1], v12, v4
	s_and_b64 s[0:1], vcc, s[0:1]
	s_and_saveexec_b64 s[2:3], s[0:1]
	s_cbranch_execz .LBB409_12
; %bb.11:
	v_ashrrev_i32_e32 v13, 31, v12
	v_lshlrev_b64 v[4:5], 4, v[12:13]
	v_xor_b32_e32 v7, 0x80000000, v7
	v_add_co_u32_e32 v1, vcc, v2, v4
	v_addc_co_u32_e32 v2, vcc, v3, v5, vcc
	v_cmp_ne_u32_e32 vcc, v22, v0
	v_cndmask_b32_e64 v9, 0, -v17, vcc
	v_cndmask_b32_e32 v8, 0, v16, vcc
	global_store_dwordx4 v[1:2], v[6:9], off
.LBB409_12:
	s_endpgm
	.section	.rodata,"a",@progbits
	.p2align	6, 0x0
	.amdhsa_kernel _ZL37rocblas_syrkx_herkx_restricted_kernelIi19rocblas_complex_numIdELi16ELi32ELi8ELin1ELi0ELb1ELc67ELc85EKS1_S1_EviT_PT9_S3_lS5_S3_lPT10_S3_li
		.amdhsa_group_segment_fixed_size 8192
		.amdhsa_private_segment_fixed_size 0
		.amdhsa_kernarg_size 84
		.amdhsa_user_sgpr_count 6
		.amdhsa_user_sgpr_private_segment_buffer 1
		.amdhsa_user_sgpr_dispatch_ptr 0
		.amdhsa_user_sgpr_queue_ptr 0
		.amdhsa_user_sgpr_kernarg_segment_ptr 1
		.amdhsa_user_sgpr_dispatch_id 0
		.amdhsa_user_sgpr_flat_scratch_init 0
		.amdhsa_user_sgpr_private_segment_size 0
		.amdhsa_uses_dynamic_stack 0
		.amdhsa_system_sgpr_private_segment_wavefront_offset 0
		.amdhsa_system_sgpr_workgroup_id_x 1
		.amdhsa_system_sgpr_workgroup_id_y 1
		.amdhsa_system_sgpr_workgroup_id_z 1
		.amdhsa_system_sgpr_workgroup_info 0
		.amdhsa_system_vgpr_workitem_id 1
		.amdhsa_next_free_vgpr 52
		.amdhsa_next_free_sgpr 61
		.amdhsa_reserve_vcc 1
		.amdhsa_reserve_flat_scratch 0
		.amdhsa_float_round_mode_32 0
		.amdhsa_float_round_mode_16_64 0
		.amdhsa_float_denorm_mode_32 3
		.amdhsa_float_denorm_mode_16_64 3
		.amdhsa_dx10_clamp 1
		.amdhsa_ieee_mode 1
		.amdhsa_fp16_overflow 0
		.amdhsa_exception_fp_ieee_invalid_op 0
		.amdhsa_exception_fp_denorm_src 0
		.amdhsa_exception_fp_ieee_div_zero 0
		.amdhsa_exception_fp_ieee_overflow 0
		.amdhsa_exception_fp_ieee_underflow 0
		.amdhsa_exception_fp_ieee_inexact 0
		.amdhsa_exception_int_div_zero 0
	.end_amdhsa_kernel
	.section	.text._ZL37rocblas_syrkx_herkx_restricted_kernelIi19rocblas_complex_numIdELi16ELi32ELi8ELin1ELi0ELb1ELc67ELc85EKS1_S1_EviT_PT9_S3_lS5_S3_lPT10_S3_li,"axG",@progbits,_ZL37rocblas_syrkx_herkx_restricted_kernelIi19rocblas_complex_numIdELi16ELi32ELi8ELin1ELi0ELb1ELc67ELc85EKS1_S1_EviT_PT9_S3_lS5_S3_lPT10_S3_li,comdat
.Lfunc_end409:
	.size	_ZL37rocblas_syrkx_herkx_restricted_kernelIi19rocblas_complex_numIdELi16ELi32ELi8ELin1ELi0ELb1ELc67ELc85EKS1_S1_EviT_PT9_S3_lS5_S3_lPT10_S3_li, .Lfunc_end409-_ZL37rocblas_syrkx_herkx_restricted_kernelIi19rocblas_complex_numIdELi16ELi32ELi8ELin1ELi0ELb1ELc67ELc85EKS1_S1_EviT_PT9_S3_lS5_S3_lPT10_S3_li
                                        ; -- End function
	.set _ZL37rocblas_syrkx_herkx_restricted_kernelIi19rocblas_complex_numIdELi16ELi32ELi8ELin1ELi0ELb1ELc67ELc85EKS1_S1_EviT_PT9_S3_lS5_S3_lPT10_S3_li.num_vgpr, 52
	.set _ZL37rocblas_syrkx_herkx_restricted_kernelIi19rocblas_complex_numIdELi16ELi32ELi8ELin1ELi0ELb1ELc67ELc85EKS1_S1_EviT_PT9_S3_lS5_S3_lPT10_S3_li.num_agpr, 0
	.set _ZL37rocblas_syrkx_herkx_restricted_kernelIi19rocblas_complex_numIdELi16ELi32ELi8ELin1ELi0ELb1ELc67ELc85EKS1_S1_EviT_PT9_S3_lS5_S3_lPT10_S3_li.numbered_sgpr, 22
	.set _ZL37rocblas_syrkx_herkx_restricted_kernelIi19rocblas_complex_numIdELi16ELi32ELi8ELin1ELi0ELb1ELc67ELc85EKS1_S1_EviT_PT9_S3_lS5_S3_lPT10_S3_li.num_named_barrier, 0
	.set _ZL37rocblas_syrkx_herkx_restricted_kernelIi19rocblas_complex_numIdELi16ELi32ELi8ELin1ELi0ELb1ELc67ELc85EKS1_S1_EviT_PT9_S3_lS5_S3_lPT10_S3_li.private_seg_size, 0
	.set _ZL37rocblas_syrkx_herkx_restricted_kernelIi19rocblas_complex_numIdELi16ELi32ELi8ELin1ELi0ELb1ELc67ELc85EKS1_S1_EviT_PT9_S3_lS5_S3_lPT10_S3_li.uses_vcc, 1
	.set _ZL37rocblas_syrkx_herkx_restricted_kernelIi19rocblas_complex_numIdELi16ELi32ELi8ELin1ELi0ELb1ELc67ELc85EKS1_S1_EviT_PT9_S3_lS5_S3_lPT10_S3_li.uses_flat_scratch, 0
	.set _ZL37rocblas_syrkx_herkx_restricted_kernelIi19rocblas_complex_numIdELi16ELi32ELi8ELin1ELi0ELb1ELc67ELc85EKS1_S1_EviT_PT9_S3_lS5_S3_lPT10_S3_li.has_dyn_sized_stack, 0
	.set _ZL37rocblas_syrkx_herkx_restricted_kernelIi19rocblas_complex_numIdELi16ELi32ELi8ELin1ELi0ELb1ELc67ELc85EKS1_S1_EviT_PT9_S3_lS5_S3_lPT10_S3_li.has_recursion, 0
	.set _ZL37rocblas_syrkx_herkx_restricted_kernelIi19rocblas_complex_numIdELi16ELi32ELi8ELin1ELi0ELb1ELc67ELc85EKS1_S1_EviT_PT9_S3_lS5_S3_lPT10_S3_li.has_indirect_call, 0
	.section	.AMDGPU.csdata,"",@progbits
; Kernel info:
; codeLenInByte = 2892
; TotalNumSgprs: 26
; NumVgprs: 52
; ScratchSize: 0
; MemoryBound: 0
; FloatMode: 240
; IeeeMode: 1
; LDSByteSize: 8192 bytes/workgroup (compile time only)
; SGPRBlocks: 8
; VGPRBlocks: 12
; NumSGPRsForWavesPerEU: 65
; NumVGPRsForWavesPerEU: 52
; Occupancy: 4
; WaveLimiterHint : 0
; COMPUTE_PGM_RSRC2:SCRATCH_EN: 0
; COMPUTE_PGM_RSRC2:USER_SGPR: 6
; COMPUTE_PGM_RSRC2:TRAP_HANDLER: 0
; COMPUTE_PGM_RSRC2:TGID_X_EN: 1
; COMPUTE_PGM_RSRC2:TGID_Y_EN: 1
; COMPUTE_PGM_RSRC2:TGID_Z_EN: 1
; COMPUTE_PGM_RSRC2:TIDIG_COMP_CNT: 1
	.section	.text._ZL37rocblas_syrkx_herkx_restricted_kernelIi19rocblas_complex_numIdELi16ELi32ELi8ELin1ELi0ELb1ELc78ELc85EKS1_S1_EviT_PT9_S3_lS5_S3_lPT10_S3_li,"axG",@progbits,_ZL37rocblas_syrkx_herkx_restricted_kernelIi19rocblas_complex_numIdELi16ELi32ELi8ELin1ELi0ELb1ELc78ELc85EKS1_S1_EviT_PT9_S3_lS5_S3_lPT10_S3_li,comdat
	.globl	_ZL37rocblas_syrkx_herkx_restricted_kernelIi19rocblas_complex_numIdELi16ELi32ELi8ELin1ELi0ELb1ELc78ELc85EKS1_S1_EviT_PT9_S3_lS5_S3_lPT10_S3_li ; -- Begin function _ZL37rocblas_syrkx_herkx_restricted_kernelIi19rocblas_complex_numIdELi16ELi32ELi8ELin1ELi0ELb1ELc78ELc85EKS1_S1_EviT_PT9_S3_lS5_S3_lPT10_S3_li
	.p2align	8
	.type	_ZL37rocblas_syrkx_herkx_restricted_kernelIi19rocblas_complex_numIdELi16ELi32ELi8ELin1ELi0ELb1ELc78ELc85EKS1_S1_EviT_PT9_S3_lS5_S3_lPT10_S3_li,@function
_ZL37rocblas_syrkx_herkx_restricted_kernelIi19rocblas_complex_numIdELi16ELi32ELi8ELin1ELi0ELb1ELc78ELc85EKS1_S1_EviT_PT9_S3_lS5_S3_lPT10_S3_li: ; @_ZL37rocblas_syrkx_herkx_restricted_kernelIi19rocblas_complex_numIdELi16ELi32ELi8ELin1ELi0ELb1ELc78ELc85EKS1_S1_EviT_PT9_S3_lS5_S3_lPT10_S3_li
; %bb.0:
	s_load_dwordx2 s[10:11], s[4:5], 0x0
	s_load_dwordx4 s[0:3], s[4:5], 0x30
	s_lshl_b32 s9, s6, 5
	s_lshl_b32 s16, s7, 5
	s_mov_b32 s17, 0
	s_waitcnt lgkmcnt(0)
	s_cmp_lt_i32 s11, 1
	s_cbranch_scc1 .LBB410_3
; %bb.1:
	v_lshl_add_u32 v5, v1, 4, v0
	s_load_dword s6, s[4:5], 0x10
	s_load_dword s18, s[4:5], 0x28
	s_load_dwordx2 s[20:21], s[4:5], 0x8
	s_load_dwordx4 s[12:15], s[4:5], 0x18
	v_lshrrev_b32_e32 v6, 3, v5
	v_add_u32_e32 v2, s16, v6
	v_and_b32_e32 v4, 7, v0
	v_ashrrev_i32_e32 v3, 31, v2
	s_waitcnt lgkmcnt(0)
	v_mad_i64_i32 v[2:3], s[22:23], s18, v4, v[2:3]
	v_lshlrev_b32_e32 v4, 4, v4
	v_lshl_or_b32 v4, v6, 7, v4
	v_lshrrev_b32_e32 v7, 5, v5
	v_and_b32_e32 v5, 31, v5
	v_add_u32_e32 v23, 0x1000, v4
	v_mov_b32_e32 v4, 0x1000
	v_lshl_add_u32 v25, v1, 7, v4
	v_add_u32_e32 v4, s9, v5
	v_lshlrev_b32_e32 v8, 4, v5
	v_ashrrev_i32_e32 v5, 31, v4
	v_mad_i64_i32 v[4:5], s[22:23], s6, v7, v[4:5]
	s_mul_i32 s13, s13, s8
	s_mul_hi_u32 s24, s12, s8
	s_add_i32 s13, s24, s13
	s_mul_i32 s12, s12, s8
	s_ashr_i32 s7, s6, 31
	s_ashr_i32 s19, s18, 31
	s_lshl_b64 s[12:13], s[12:13], 4
	v_lshlrev_b64 v[4:5], 4, v[4:5]
	s_add_u32 s12, s20, s12
	s_addc_u32 s13, s21, s13
	v_add_co_u32_e32 v4, vcc, s12, v4
	s_mul_i32 s1, s1, s8
	s_mul_hi_u32 s12, s0, s8
	v_mov_b32_e32 v6, s13
	s_add_i32 s1, s12, s1
	s_mul_i32 s0, s0, s8
	v_addc_co_u32_e32 v5, vcc, v6, v5, vcc
	s_lshl_b64 s[6:7], s[6:7], 7
	s_lshl_b64 s[0:1], s[0:1], 4
	v_add_co_u32_e32 v4, vcc, 8, v4
	v_lshlrev_b64 v[2:3], 4, v[2:3]
	s_add_u32 s0, s14, s0
	v_addc_co_u32_e32 v5, vcc, 0, v5, vcc
	s_addc_u32 s1, s15, s1
	v_mov_b32_e32 v6, s1
	v_add_co_u32_e32 v2, vcc, s0, v2
	v_addc_co_u32_e32 v3, vcc, v6, v3, vcc
	v_add_co_u32_e32 v12, vcc, 8, v2
	v_lshl_or_b32 v22, v7, 9, v8
	v_addc_co_u32_e32 v13, vcc, 0, v3, vcc
	s_lshl_b64 s[0:1], s[18:19], 7
	v_mov_b32_e32 v16, 0
	v_mov_b32_e32 v6, 0
	;; [unrolled: 1-line block ×8, first 2 shown]
	v_lshlrev_b32_e32 v24, 4, v0
	v_mov_b32_e32 v17, 0
	v_mov_b32_e32 v26, s7
	;; [unrolled: 1-line block ×10, first 2 shown]
.LBB410_2:                              ; =>This Inner Loop Header: Depth=1
	global_load_dwordx4 v[28:31], v[4:5], off offset:-8
	v_add_co_u32_e32 v4, vcc, s6, v4
	v_addc_co_u32_e32 v5, vcc, v5, v26, vcc
	s_add_i32 s17, s17, 8
	s_cmp_ge_i32 s17, s11
	s_waitcnt vmcnt(0)
	ds_write_b128 v22, v[28:31]
	global_load_dwordx4 v[28:31], v[12:13], off offset:-8
	v_add_co_u32_e32 v12, vcc, s0, v12
	v_addc_co_u32_e32 v13, vcc, v13, v27, vcc
	s_waitcnt vmcnt(0)
	v_xor_b32_e32 v31, 0x80000000, v31
	ds_write_b128 v23, v[28:31]
	s_waitcnt lgkmcnt(0)
	s_barrier
	ds_read_b128 v[28:31], v25
	ds_read_b128 v[32:35], v25 offset:16
	ds_read_b128 v[36:39], v25 offset:32
	;; [unrolled: 1-line block ×3, first 2 shown]
	ds_read_b128 v[44:47], v24
	s_waitcnt lgkmcnt(0)
	v_mul_f64 v[48:49], v[30:31], v[46:47]
	v_mul_f64 v[50:51], v[28:29], v[46:47]
	v_fma_f64 v[48:49], v[28:29], v[44:45], -v[48:49]
	v_fma_f64 v[50:51], v[30:31], v[44:45], v[50:51]
	v_add_f64 v[10:11], v[10:11], v[48:49]
	v_add_f64 v[20:21], v[50:51], v[20:21]
	ds_read_b128 v[48:51], v24 offset:256
	s_waitcnt lgkmcnt(0)
	v_mul_f64 v[52:53], v[30:31], v[50:51]
	v_fma_f64 v[52:53], v[28:29], v[48:49], -v[52:53]
	v_mul_f64 v[28:29], v[28:29], v[50:51]
	v_add_f64 v[2:3], v[2:3], v[52:53]
	v_fma_f64 v[28:29], v[30:31], v[48:49], v[28:29]
	v_add_f64 v[52:53], v[28:29], v[14:15]
	ds_read_b128 v[28:31], v25 offset:2048
	s_waitcnt lgkmcnt(0)
	v_mul_f64 v[14:15], v[30:31], v[46:47]
	v_mul_f64 v[46:47], v[28:29], v[46:47]
	v_fma_f64 v[14:15], v[28:29], v[44:45], -v[14:15]
	v_fma_f64 v[44:45], v[30:31], v[44:45], v[46:47]
	v_add_f64 v[46:47], v[8:9], v[14:15]
	v_mul_f64 v[8:9], v[30:31], v[50:51]
	v_mul_f64 v[14:15], v[28:29], v[50:51]
	v_add_f64 v[44:45], v[44:45], v[18:19]
	v_fma_f64 v[8:9], v[28:29], v[48:49], -v[8:9]
	v_fma_f64 v[14:15], v[30:31], v[48:49], v[14:15]
	v_add_f64 v[28:29], v[6:7], v[8:9]
	ds_read_b128 v[6:9], v24 offset:512
	v_add_f64 v[30:31], v[14:15], v[16:17]
	s_waitcnt lgkmcnt(0)
	v_mul_f64 v[14:15], v[34:35], v[8:9]
	v_mul_f64 v[16:17], v[32:33], v[8:9]
	v_fma_f64 v[14:15], v[32:33], v[6:7], -v[14:15]
	v_fma_f64 v[16:17], v[34:35], v[6:7], v[16:17]
	v_add_f64 v[10:11], v[10:11], v[14:15]
	v_add_f64 v[48:49], v[16:17], v[20:21]
	ds_read_b128 v[14:17], v24 offset:768
	s_waitcnt lgkmcnt(0)
	v_mul_f64 v[18:19], v[34:35], v[16:17]
	v_mul_f64 v[20:21], v[32:33], v[16:17]
	v_fma_f64 v[18:19], v[32:33], v[14:15], -v[18:19]
	v_fma_f64 v[20:21], v[34:35], v[14:15], v[20:21]
	v_add_f64 v[2:3], v[2:3], v[18:19]
	v_add_f64 v[32:33], v[20:21], v[52:53]
	ds_read_b128 v[18:21], v25 offset:2064
	s_waitcnt lgkmcnt(0)
	v_mul_f64 v[34:35], v[20:21], v[8:9]
	v_mul_f64 v[8:9], v[18:19], v[8:9]
	v_fma_f64 v[34:35], v[18:19], v[6:7], -v[34:35]
	v_fma_f64 v[6:7], v[20:21], v[6:7], v[8:9]
	v_mul_f64 v[8:9], v[18:19], v[16:17]
	v_add_f64 v[34:35], v[46:47], v[34:35]
	v_add_f64 v[44:45], v[6:7], v[44:45]
	v_mul_f64 v[6:7], v[20:21], v[16:17]
	v_fma_f64 v[8:9], v[20:21], v[14:15], v[8:9]
	v_fma_f64 v[6:7], v[18:19], v[14:15], -v[6:7]
	v_add_f64 v[30:31], v[8:9], v[30:31]
	v_add_f64 v[28:29], v[28:29], v[6:7]
	ds_read_b128 v[6:9], v24 offset:1024
	s_waitcnt lgkmcnt(0)
	v_mul_f64 v[14:15], v[38:39], v[8:9]
	v_mul_f64 v[16:17], v[36:37], v[8:9]
	v_fma_f64 v[14:15], v[36:37], v[6:7], -v[14:15]
	v_fma_f64 v[16:17], v[38:39], v[6:7], v[16:17]
	v_add_f64 v[10:11], v[10:11], v[14:15]
	v_add_f64 v[46:47], v[16:17], v[48:49]
	ds_read_b128 v[14:17], v24 offset:1280
	s_waitcnt lgkmcnt(0)
	v_mul_f64 v[18:19], v[38:39], v[16:17]
	v_mul_f64 v[20:21], v[36:37], v[16:17]
	v_fma_f64 v[18:19], v[36:37], v[14:15], -v[18:19]
	v_fma_f64 v[20:21], v[38:39], v[14:15], v[20:21]
	v_add_f64 v[2:3], v[2:3], v[18:19]
	v_add_f64 v[32:33], v[20:21], v[32:33]
	ds_read_b128 v[18:21], v25 offset:2080
	s_waitcnt lgkmcnt(0)
	v_mul_f64 v[36:37], v[20:21], v[8:9]
	v_mul_f64 v[8:9], v[18:19], v[8:9]
	v_fma_f64 v[36:37], v[18:19], v[6:7], -v[36:37]
	v_fma_f64 v[6:7], v[20:21], v[6:7], v[8:9]
	v_mul_f64 v[8:9], v[18:19], v[16:17]
	v_add_f64 v[34:35], v[34:35], v[36:37]
	v_add_f64 v[36:37], v[6:7], v[44:45]
	v_mul_f64 v[6:7], v[20:21], v[16:17]
	v_fma_f64 v[8:9], v[20:21], v[14:15], v[8:9]
	v_fma_f64 v[6:7], v[18:19], v[14:15], -v[6:7]
	v_add_f64 v[30:31], v[8:9], v[30:31]
	v_add_f64 v[28:29], v[28:29], v[6:7]
	ds_read_b128 v[6:9], v24 offset:1536
	;; [unrolled: 30-line block ×3, first 2 shown]
	ds_read_b128 v[14:17], v24 offset:2048
	s_waitcnt lgkmcnt(0)
	v_mul_f64 v[18:19], v[8:9], v[16:17]
	v_mul_f64 v[20:21], v[6:7], v[16:17]
	v_fma_f64 v[18:19], v[6:7], v[14:15], -v[18:19]
	v_fma_f64 v[20:21], v[8:9], v[14:15], v[20:21]
	v_add_f64 v[10:11], v[10:11], v[18:19]
	v_add_f64 v[38:39], v[20:21], v[38:39]
	ds_read_b128 v[18:21], v24 offset:2304
	s_waitcnt lgkmcnt(0)
	v_mul_f64 v[40:41], v[8:9], v[20:21]
	v_fma_f64 v[40:41], v[6:7], v[18:19], -v[40:41]
	v_mul_f64 v[6:7], v[6:7], v[20:21]
	v_add_f64 v[2:3], v[2:3], v[40:41]
	v_fma_f64 v[6:7], v[8:9], v[18:19], v[6:7]
	v_add_f64 v[32:33], v[6:7], v[32:33]
	ds_read_b128 v[6:9], v25 offset:2112
	s_waitcnt lgkmcnt(0)
	v_mul_f64 v[40:41], v[8:9], v[16:17]
	v_mul_f64 v[16:17], v[6:7], v[16:17]
	v_fma_f64 v[40:41], v[6:7], v[14:15], -v[40:41]
	v_fma_f64 v[14:15], v[8:9], v[14:15], v[16:17]
	v_add_f64 v[34:35], v[34:35], v[40:41]
	v_add_f64 v[36:37], v[14:15], v[36:37]
	v_mul_f64 v[14:15], v[8:9], v[20:21]
	v_fma_f64 v[14:15], v[6:7], v[18:19], -v[14:15]
	v_mul_f64 v[6:7], v[6:7], v[20:21]
	v_add_f64 v[28:29], v[28:29], v[14:15]
	v_fma_f64 v[6:7], v[8:9], v[18:19], v[6:7]
	v_add_f64 v[30:31], v[6:7], v[30:31]
	ds_read_b128 v[6:9], v25 offset:80
	ds_read_b128 v[14:17], v24 offset:2560
	s_waitcnt lgkmcnt(0)
	v_mul_f64 v[18:19], v[8:9], v[16:17]
	v_mul_f64 v[20:21], v[6:7], v[16:17]
	v_fma_f64 v[18:19], v[6:7], v[14:15], -v[18:19]
	v_fma_f64 v[20:21], v[8:9], v[14:15], v[20:21]
	v_add_f64 v[10:11], v[10:11], v[18:19]
	v_add_f64 v[38:39], v[20:21], v[38:39]
	ds_read_b128 v[18:21], v24 offset:2816
	s_waitcnt lgkmcnt(0)
	v_mul_f64 v[40:41], v[8:9], v[20:21]
	v_fma_f64 v[40:41], v[6:7], v[18:19], -v[40:41]
	v_mul_f64 v[6:7], v[6:7], v[20:21]
	v_add_f64 v[2:3], v[2:3], v[40:41]
	v_fma_f64 v[6:7], v[8:9], v[18:19], v[6:7]
	v_add_f64 v[32:33], v[6:7], v[32:33]
	ds_read_b128 v[6:9], v25 offset:2128
	s_waitcnt lgkmcnt(0)
	v_mul_f64 v[40:41], v[8:9], v[16:17]
	v_mul_f64 v[16:17], v[6:7], v[16:17]
	v_fma_f64 v[40:41], v[6:7], v[14:15], -v[40:41]
	v_fma_f64 v[14:15], v[8:9], v[14:15], v[16:17]
	v_add_f64 v[34:35], v[34:35], v[40:41]
	v_add_f64 v[36:37], v[14:15], v[36:37]
	v_mul_f64 v[14:15], v[8:9], v[20:21]
	v_fma_f64 v[14:15], v[6:7], v[18:19], -v[14:15]
	v_mul_f64 v[6:7], v[6:7], v[20:21]
	v_add_f64 v[28:29], v[28:29], v[14:15]
	v_fma_f64 v[6:7], v[8:9], v[18:19], v[6:7]
	v_add_f64 v[30:31], v[6:7], v[30:31]
	ds_read_b128 v[6:9], v25 offset:96
	ds_read_b128 v[14:17], v24 offset:3072
	s_waitcnt lgkmcnt(0)
	v_mul_f64 v[18:19], v[8:9], v[16:17]
	v_mul_f64 v[20:21], v[6:7], v[16:17]
	v_fma_f64 v[18:19], v[6:7], v[14:15], -v[18:19]
	v_fma_f64 v[20:21], v[8:9], v[14:15], v[20:21]
	v_add_f64 v[10:11], v[10:11], v[18:19]
	v_add_f64 v[38:39], v[20:21], v[38:39]
	ds_read_b128 v[18:21], v24 offset:3328
	s_waitcnt lgkmcnt(0)
	v_mul_f64 v[40:41], v[8:9], v[20:21]
	v_fma_f64 v[40:41], v[6:7], v[18:19], -v[40:41]
	v_mul_f64 v[6:7], v[6:7], v[20:21]
	v_add_f64 v[2:3], v[2:3], v[40:41]
	v_fma_f64 v[6:7], v[8:9], v[18:19], v[6:7]
	v_add_f64 v[32:33], v[6:7], v[32:33]
	ds_read_b128 v[6:9], v25 offset:2144
	s_waitcnt lgkmcnt(0)
	v_mul_f64 v[40:41], v[8:9], v[16:17]
	v_mul_f64 v[16:17], v[6:7], v[16:17]
	v_fma_f64 v[40:41], v[6:7], v[14:15], -v[40:41]
	v_fma_f64 v[14:15], v[8:9], v[14:15], v[16:17]
	v_add_f64 v[40:41], v[34:35], v[40:41]
	v_add_f64 v[36:37], v[14:15], v[36:37]
	v_mul_f64 v[14:15], v[8:9], v[20:21]
	v_fma_f64 v[14:15], v[6:7], v[18:19], -v[14:15]
	v_mul_f64 v[6:7], v[6:7], v[20:21]
	v_add_f64 v[42:43], v[28:29], v[14:15]
	v_fma_f64 v[6:7], v[8:9], v[18:19], v[6:7]
	v_add_f64 v[44:45], v[6:7], v[30:31]
	ds_read_b128 v[6:9], v25 offset:112
	ds_read_b128 v[16:19], v24 offset:3584
	ds_read_b128 v[28:31], v24 offset:3840
	s_waitcnt lgkmcnt(1)
	v_mul_f64 v[14:15], v[8:9], v[18:19]
	v_mul_f64 v[20:21], v[6:7], v[18:19]
	v_fma_f64 v[14:15], v[6:7], v[16:17], -v[14:15]
	v_fma_f64 v[20:21], v[8:9], v[16:17], v[20:21]
	v_add_f64 v[10:11], v[10:11], v[14:15]
	s_waitcnt lgkmcnt(0)
	v_mul_f64 v[14:15], v[8:9], v[30:31]
	v_add_f64 v[20:21], v[20:21], v[38:39]
	v_fma_f64 v[14:15], v[6:7], v[28:29], -v[14:15]
	v_mul_f64 v[6:7], v[6:7], v[30:31]
	v_add_f64 v[2:3], v[2:3], v[14:15]
	v_fma_f64 v[6:7], v[8:9], v[28:29], v[6:7]
	v_add_f64 v[14:15], v[6:7], v[32:33]
	ds_read_b128 v[32:35], v25 offset:2160
	s_waitcnt lgkmcnt(0)
	s_barrier
	v_mul_f64 v[6:7], v[34:35], v[18:19]
	v_mul_f64 v[8:9], v[32:33], v[18:19]
	v_fma_f64 v[6:7], v[32:33], v[16:17], -v[6:7]
	v_fma_f64 v[16:17], v[34:35], v[16:17], v[8:9]
	v_add_f64 v[8:9], v[40:41], v[6:7]
	v_add_f64 v[18:19], v[16:17], v[36:37]
	v_mul_f64 v[6:7], v[34:35], v[30:31]
	v_mul_f64 v[16:17], v[32:33], v[30:31]
	v_fma_f64 v[6:7], v[32:33], v[28:29], -v[6:7]
	v_fma_f64 v[16:17], v[34:35], v[28:29], v[16:17]
	v_add_f64 v[6:7], v[42:43], v[6:7]
	v_add_f64 v[16:17], v[16:17], v[44:45]
	s_cbranch_scc0 .LBB410_2
	s_branch .LBB410_4
.LBB410_3:
	v_mov_b32_e32 v10, 0
	v_mov_b32_e32 v20, 0
	;; [unrolled: 1-line block ×16, first 2 shown]
.LBB410_4:
	s_load_dwordx2 s[0:1], s[4:5], 0x48
	s_load_dword s6, s[4:5], 0x40
	v_add_u32_e32 v22, s16, v1
	v_add_u32_e32 v0, s9, v0
	v_cmp_gt_i32_e32 vcc, s10, v22
	s_waitcnt lgkmcnt(0)
	s_mul_i32 s1, s1, s8
	v_mad_i64_i32 v[4:5], s[12:13], v22, s6, 0
	s_mul_hi_u32 s4, s0, s8
	s_mul_i32 s0, s0, s8
	s_add_i32 s1, s4, s1
	s_lshl_b64 s[0:1], s[0:1], 4
	s_add_u32 s4, s2, s0
	v_lshlrev_b64 v[4:5], 4, v[4:5]
	s_addc_u32 s5, s3, s1
	v_mov_b32_e32 v1, s5
	v_add_co_u32_e64 v4, s[0:1], s4, v4
	v_addc_co_u32_e64 v5, s[0:1], v1, v5, s[0:1]
	v_cmp_le_i32_e64 s[0:1], v0, v22
	s_and_b64 s[0:1], vcc, s[0:1]
	s_and_saveexec_b64 s[2:3], s[0:1]
	s_cbranch_execz .LBB410_6
; %bb.5:
	v_ashrrev_i32_e32 v1, 31, v0
	v_lshlrev_b64 v[12:13], 4, v[0:1]
	v_xor_b32_e32 v11, 0x80000000, v11
	v_add_co_u32_e64 v23, s[0:1], v4, v12
	v_addc_co_u32_e64 v24, s[0:1], v5, v13, s[0:1]
	v_cmp_ne_u32_e64 s[0:1], v22, v0
	v_cndmask_b32_e64 v13, 0, -v21, s[0:1]
	v_cndmask_b32_e64 v12, 0, v20, s[0:1]
	global_store_dwordx4 v[23:24], v[10:13], off
.LBB410_6:
	s_or_b64 exec, exec, s[2:3]
	v_add_u32_e32 v12, 16, v0
	v_cmp_le_i32_e64 s[0:1], v12, v22
	s_and_b64 s[2:3], vcc, s[0:1]
	s_and_saveexec_b64 s[0:1], s[2:3]
	s_cbranch_execz .LBB410_8
; %bb.7:
	v_ashrrev_i32_e32 v13, 31, v12
	v_lshlrev_b64 v[10:11], 4, v[12:13]
	v_xor_b32_e32 v3, 0x80000000, v3
	v_add_co_u32_e32 v10, vcc, v4, v10
	v_addc_co_u32_e32 v11, vcc, v5, v11, vcc
	v_cmp_ne_u32_e32 vcc, v22, v12
	v_cndmask_b32_e64 v5, 0, -v15, vcc
	v_cndmask_b32_e32 v4, 0, v14, vcc
	global_store_dwordx4 v[10:11], v[2:5], off
.LBB410_8:
	s_or_b64 exec, exec, s[0:1]
	v_add_u32_e32 v4, 16, v22
	v_mad_i64_i32 v[1:2], s[0:1], v4, s6, 0
	v_mov_b32_e32 v5, s5
	v_cmp_gt_i32_e32 vcc, s10, v4
	v_lshlrev_b64 v[2:3], 4, v[1:2]
	v_add_co_u32_e64 v2, s[0:1], s4, v2
	v_addc_co_u32_e64 v3, s[0:1], v5, v3, s[0:1]
	v_cmp_le_i32_e64 s[0:1], v0, v4
	s_and_b64 s[0:1], vcc, s[0:1]
	s_and_saveexec_b64 s[2:3], s[0:1]
	s_cbranch_execz .LBB410_10
; %bb.9:
	v_ashrrev_i32_e32 v1, 31, v0
	v_lshlrev_b64 v[10:11], 4, v[0:1]
	v_xor_b32_e32 v9, 0x80000000, v9
	v_add_co_u32_e64 v13, s[0:1], v2, v10
	v_addc_co_u32_e64 v14, s[0:1], v3, v11, s[0:1]
	v_cmp_ne_u32_e64 s[0:1], v4, v0
	v_cndmask_b32_e64 v11, 0, -v19, s[0:1]
	v_cndmask_b32_e64 v10, 0, v18, s[0:1]
	global_store_dwordx4 v[13:14], v[8:11], off
.LBB410_10:
	s_or_b64 exec, exec, s[2:3]
	v_cmp_le_i32_e64 s[0:1], v12, v4
	s_and_b64 s[0:1], vcc, s[0:1]
	s_and_saveexec_b64 s[2:3], s[0:1]
	s_cbranch_execz .LBB410_12
; %bb.11:
	v_ashrrev_i32_e32 v13, 31, v12
	v_lshlrev_b64 v[4:5], 4, v[12:13]
	v_xor_b32_e32 v7, 0x80000000, v7
	v_add_co_u32_e32 v1, vcc, v2, v4
	v_addc_co_u32_e32 v2, vcc, v3, v5, vcc
	v_cmp_ne_u32_e32 vcc, v22, v0
	v_cndmask_b32_e64 v9, 0, -v17, vcc
	v_cndmask_b32_e32 v8, 0, v16, vcc
	global_store_dwordx4 v[1:2], v[6:9], off
.LBB410_12:
	s_endpgm
	.section	.rodata,"a",@progbits
	.p2align	6, 0x0
	.amdhsa_kernel _ZL37rocblas_syrkx_herkx_restricted_kernelIi19rocblas_complex_numIdELi16ELi32ELi8ELin1ELi0ELb1ELc78ELc85EKS1_S1_EviT_PT9_S3_lS5_S3_lPT10_S3_li
		.amdhsa_group_segment_fixed_size 8192
		.amdhsa_private_segment_fixed_size 0
		.amdhsa_kernarg_size 84
		.amdhsa_user_sgpr_count 6
		.amdhsa_user_sgpr_private_segment_buffer 1
		.amdhsa_user_sgpr_dispatch_ptr 0
		.amdhsa_user_sgpr_queue_ptr 0
		.amdhsa_user_sgpr_kernarg_segment_ptr 1
		.amdhsa_user_sgpr_dispatch_id 0
		.amdhsa_user_sgpr_flat_scratch_init 0
		.amdhsa_user_sgpr_private_segment_size 0
		.amdhsa_uses_dynamic_stack 0
		.amdhsa_system_sgpr_private_segment_wavefront_offset 0
		.amdhsa_system_sgpr_workgroup_id_x 1
		.amdhsa_system_sgpr_workgroup_id_y 1
		.amdhsa_system_sgpr_workgroup_id_z 1
		.amdhsa_system_sgpr_workgroup_info 0
		.amdhsa_system_vgpr_workitem_id 1
		.amdhsa_next_free_vgpr 54
		.amdhsa_next_free_sgpr 61
		.amdhsa_reserve_vcc 1
		.amdhsa_reserve_flat_scratch 0
		.amdhsa_float_round_mode_32 0
		.amdhsa_float_round_mode_16_64 0
		.amdhsa_float_denorm_mode_32 3
		.amdhsa_float_denorm_mode_16_64 3
		.amdhsa_dx10_clamp 1
		.amdhsa_ieee_mode 1
		.amdhsa_fp16_overflow 0
		.amdhsa_exception_fp_ieee_invalid_op 0
		.amdhsa_exception_fp_denorm_src 0
		.amdhsa_exception_fp_ieee_div_zero 0
		.amdhsa_exception_fp_ieee_overflow 0
		.amdhsa_exception_fp_ieee_underflow 0
		.amdhsa_exception_fp_ieee_inexact 0
		.amdhsa_exception_int_div_zero 0
	.end_amdhsa_kernel
	.section	.text._ZL37rocblas_syrkx_herkx_restricted_kernelIi19rocblas_complex_numIdELi16ELi32ELi8ELin1ELi0ELb1ELc78ELc85EKS1_S1_EviT_PT9_S3_lS5_S3_lPT10_S3_li,"axG",@progbits,_ZL37rocblas_syrkx_herkx_restricted_kernelIi19rocblas_complex_numIdELi16ELi32ELi8ELin1ELi0ELb1ELc78ELc85EKS1_S1_EviT_PT9_S3_lS5_S3_lPT10_S3_li,comdat
.Lfunc_end410:
	.size	_ZL37rocblas_syrkx_herkx_restricted_kernelIi19rocblas_complex_numIdELi16ELi32ELi8ELin1ELi0ELb1ELc78ELc85EKS1_S1_EviT_PT9_S3_lS5_S3_lPT10_S3_li, .Lfunc_end410-_ZL37rocblas_syrkx_herkx_restricted_kernelIi19rocblas_complex_numIdELi16ELi32ELi8ELin1ELi0ELb1ELc78ELc85EKS1_S1_EviT_PT9_S3_lS5_S3_lPT10_S3_li
                                        ; -- End function
	.set _ZL37rocblas_syrkx_herkx_restricted_kernelIi19rocblas_complex_numIdELi16ELi32ELi8ELin1ELi0ELb1ELc78ELc85EKS1_S1_EviT_PT9_S3_lS5_S3_lPT10_S3_li.num_vgpr, 54
	.set _ZL37rocblas_syrkx_herkx_restricted_kernelIi19rocblas_complex_numIdELi16ELi32ELi8ELin1ELi0ELb1ELc78ELc85EKS1_S1_EviT_PT9_S3_lS5_S3_lPT10_S3_li.num_agpr, 0
	.set _ZL37rocblas_syrkx_herkx_restricted_kernelIi19rocblas_complex_numIdELi16ELi32ELi8ELin1ELi0ELb1ELc78ELc85EKS1_S1_EviT_PT9_S3_lS5_S3_lPT10_S3_li.numbered_sgpr, 25
	.set _ZL37rocblas_syrkx_herkx_restricted_kernelIi19rocblas_complex_numIdELi16ELi32ELi8ELin1ELi0ELb1ELc78ELc85EKS1_S1_EviT_PT9_S3_lS5_S3_lPT10_S3_li.num_named_barrier, 0
	.set _ZL37rocblas_syrkx_herkx_restricted_kernelIi19rocblas_complex_numIdELi16ELi32ELi8ELin1ELi0ELb1ELc78ELc85EKS1_S1_EviT_PT9_S3_lS5_S3_lPT10_S3_li.private_seg_size, 0
	.set _ZL37rocblas_syrkx_herkx_restricted_kernelIi19rocblas_complex_numIdELi16ELi32ELi8ELin1ELi0ELb1ELc78ELc85EKS1_S1_EviT_PT9_S3_lS5_S3_lPT10_S3_li.uses_vcc, 1
	.set _ZL37rocblas_syrkx_herkx_restricted_kernelIi19rocblas_complex_numIdELi16ELi32ELi8ELin1ELi0ELb1ELc78ELc85EKS1_S1_EviT_PT9_S3_lS5_S3_lPT10_S3_li.uses_flat_scratch, 0
	.set _ZL37rocblas_syrkx_herkx_restricted_kernelIi19rocblas_complex_numIdELi16ELi32ELi8ELin1ELi0ELb1ELc78ELc85EKS1_S1_EviT_PT9_S3_lS5_S3_lPT10_S3_li.has_dyn_sized_stack, 0
	.set _ZL37rocblas_syrkx_herkx_restricted_kernelIi19rocblas_complex_numIdELi16ELi32ELi8ELin1ELi0ELb1ELc78ELc85EKS1_S1_EviT_PT9_S3_lS5_S3_lPT10_S3_li.has_recursion, 0
	.set _ZL37rocblas_syrkx_herkx_restricted_kernelIi19rocblas_complex_numIdELi16ELi32ELi8ELin1ELi0ELb1ELc78ELc85EKS1_S1_EviT_PT9_S3_lS5_S3_lPT10_S3_li.has_indirect_call, 0
	.section	.AMDGPU.csdata,"",@progbits
; Kernel info:
; codeLenInByte = 2908
; TotalNumSgprs: 29
; NumVgprs: 54
; ScratchSize: 0
; MemoryBound: 0
; FloatMode: 240
; IeeeMode: 1
; LDSByteSize: 8192 bytes/workgroup (compile time only)
; SGPRBlocks: 8
; VGPRBlocks: 13
; NumSGPRsForWavesPerEU: 65
; NumVGPRsForWavesPerEU: 54
; Occupancy: 4
; WaveLimiterHint : 0
; COMPUTE_PGM_RSRC2:SCRATCH_EN: 0
; COMPUTE_PGM_RSRC2:USER_SGPR: 6
; COMPUTE_PGM_RSRC2:TRAP_HANDLER: 0
; COMPUTE_PGM_RSRC2:TGID_X_EN: 1
; COMPUTE_PGM_RSRC2:TGID_Y_EN: 1
; COMPUTE_PGM_RSRC2:TGID_Z_EN: 1
; COMPUTE_PGM_RSRC2:TIDIG_COMP_CNT: 1
	.section	.text._ZL37rocblas_syrkx_herkx_restricted_kernelIi19rocblas_complex_numIdELi16ELi32ELi8ELb1ELb1ELc84ELc76EKS1_S1_EviT_T0_PT8_S3_lS6_S3_lS4_PT9_S3_li,"axG",@progbits,_ZL37rocblas_syrkx_herkx_restricted_kernelIi19rocblas_complex_numIdELi16ELi32ELi8ELb1ELb1ELc84ELc76EKS1_S1_EviT_T0_PT8_S3_lS6_S3_lS4_PT9_S3_li,comdat
	.globl	_ZL37rocblas_syrkx_herkx_restricted_kernelIi19rocblas_complex_numIdELi16ELi32ELi8ELb1ELb1ELc84ELc76EKS1_S1_EviT_T0_PT8_S3_lS6_S3_lS4_PT9_S3_li ; -- Begin function _ZL37rocblas_syrkx_herkx_restricted_kernelIi19rocblas_complex_numIdELi16ELi32ELi8ELb1ELb1ELc84ELc76EKS1_S1_EviT_T0_PT8_S3_lS6_S3_lS4_PT9_S3_li
	.p2align	8
	.type	_ZL37rocblas_syrkx_herkx_restricted_kernelIi19rocblas_complex_numIdELi16ELi32ELi8ELb1ELb1ELc84ELc76EKS1_S1_EviT_T0_PT8_S3_lS6_S3_lS4_PT9_S3_li,@function
_ZL37rocblas_syrkx_herkx_restricted_kernelIi19rocblas_complex_numIdELi16ELi32ELi8ELb1ELb1ELc84ELc76EKS1_S1_EviT_T0_PT8_S3_lS6_S3_lS4_PT9_S3_li: ; @_ZL37rocblas_syrkx_herkx_restricted_kernelIi19rocblas_complex_numIdELi16ELi32ELi8ELb1ELb1ELc84ELc76EKS1_S1_EviT_T0_PT8_S3_lS6_S3_lS4_PT9_S3_li
; %bb.0:
	s_load_dwordx2 s[10:11], s[4:5], 0x0
	s_load_dwordx4 s[12:15], s[4:5], 0x8
	s_load_dwordx2 s[16:17], s[4:5], 0x18
	s_lshl_b32 s6, s6, 5
	s_lshl_b32 s7, s7, 5
	s_waitcnt lgkmcnt(0)
	s_cmp_lt_i32 s11, 1
	s_mov_b32 s9, 0
	s_cbranch_scc1 .LBB411_3
; %bb.1:
	s_load_dword s22, s[4:5], 0x20
	s_load_dwordx4 s[0:3], s[4:5], 0x28
	s_load_dword s20, s[4:5], 0x38
	s_load_dwordx2 s[18:19], s[4:5], 0x40
	v_lshl_add_u32 v3, v1, 4, v0
	v_lshrrev_b32_e32 v8, 3, v3
	v_lshrrev_b32_e32 v2, 5, v3
	v_and_b32_e32 v4, 7, v0
	v_and_b32_e32 v9, 31, v3
	v_add_u32_e32 v3, s7, v8
	v_mov_b32_e32 v5, 0
	s_waitcnt lgkmcnt(0)
	v_mad_i64_i32 v[6:7], s[20:21], s20, v3, v[4:5]
	v_lshlrev_b32_e32 v4, 4, v4
	v_lshl_or_b32 v4, v8, 7, v4
	v_add_u32_e32 v23, 0x1000, v4
	v_mov_b32_e32 v4, 0x1000
	v_mov_b32_e32 v3, v5
	v_lshlrev_b32_e32 v5, 4, v9
	v_lshl_add_u32 v25, v1, 7, v4
	v_add_u32_e32 v4, s6, v9
	v_lshl_or_b32 v22, v2, 9, v5
	v_mad_i64_i32 v[2:3], s[20:21], s22, v4, v[2:3]
	s_mul_i32 s1, s1, s8
	s_mul_hi_u32 s23, s0, s8
	s_add_i32 s1, s23, s1
	s_mul_i32 s0, s0, s8
	s_lshl_b64 s[0:1], s[0:1], 4
	v_lshlrev_b64 v[2:3], 4, v[2:3]
	s_add_u32 s0, s16, s0
	s_addc_u32 s1, s17, s1
	v_mov_b32_e32 v4, s1
	v_add_co_u32_e32 v2, vcc, s0, v2
	s_mul_i32 s0, s19, s8
	s_mul_hi_u32 s1, s18, s8
	s_add_i32 s1, s1, s0
	s_mul_i32 s0, s18, s8
	v_addc_co_u32_e32 v3, vcc, v4, v3, vcc
	s_lshl_b64 s[0:1], s[0:1], 4
	v_add_co_u32_e32 v2, vcc, 8, v2
	v_lshlrev_b64 v[4:5], 4, v[6:7]
	s_add_u32 s0, s2, s0
	v_addc_co_u32_e32 v3, vcc, 0, v3, vcc
	s_addc_u32 s1, s3, s1
	v_mov_b32_e32 v6, s1
	v_add_co_u32_e32 v4, vcc, s0, v4
	v_addc_co_u32_e32 v5, vcc, v6, v5, vcc
	v_mov_b32_e32 v12, 0
	v_mov_b32_e32 v10, 0
	;; [unrolled: 1-line block ×8, first 2 shown]
	v_add_co_u32_e32 v4, vcc, 8, v4
	v_lshlrev_b32_e32 v24, 4, v0
	v_mov_b32_e32 v13, 0
	v_mov_b32_e32 v11, 0
	;; [unrolled: 1-line block ×8, first 2 shown]
	v_addc_co_u32_e32 v5, vcc, 0, v5, vcc
.LBB411_2:                              ; =>This Inner Loop Header: Depth=1
	global_load_dwordx4 v[26:29], v[2:3], off offset:-8
	v_add_co_u32_e32 v2, vcc, 0x80, v2
	v_addc_co_u32_e32 v3, vcc, 0, v3, vcc
	s_add_i32 s9, s9, 8
	s_cmp_ge_i32 s9, s11
	s_waitcnt vmcnt(0)
	ds_write_b128 v22, v[26:29]
	global_load_dwordx4 v[26:29], v[4:5], off offset:-8
	v_add_co_u32_e32 v4, vcc, 0x80, v4
	v_addc_co_u32_e32 v5, vcc, 0, v5, vcc
	s_waitcnt vmcnt(0)
	ds_write_b128 v23, v[26:29]
	s_waitcnt lgkmcnt(0)
	s_barrier
	ds_read_b128 v[26:29], v25
	ds_read_b128 v[30:33], v25 offset:16
	ds_read_b128 v[34:37], v25 offset:32
	;; [unrolled: 1-line block ×3, first 2 shown]
	ds_read_b128 v[42:45], v24
	s_waitcnt lgkmcnt(0)
	v_mul_f64 v[46:47], v[28:29], v[44:45]
	v_mul_f64 v[48:49], v[26:27], v[44:45]
	v_fma_f64 v[46:47], v[26:27], v[42:43], -v[46:47]
	v_fma_f64 v[48:49], v[28:29], v[42:43], v[48:49]
	v_add_f64 v[14:15], v[14:15], v[46:47]
	v_add_f64 v[18:19], v[48:49], v[18:19]
	ds_read_b128 v[46:49], v24 offset:256
	s_waitcnt lgkmcnt(0)
	v_mul_f64 v[50:51], v[28:29], v[48:49]
	v_fma_f64 v[50:51], v[26:27], v[46:47], -v[50:51]
	v_mul_f64 v[26:27], v[26:27], v[48:49]
	v_fma_f64 v[26:27], v[28:29], v[46:47], v[26:27]
	v_add_f64 v[28:29], v[6:7], v[50:51]
	v_add_f64 v[26:27], v[26:27], v[8:9]
	ds_read_b128 v[6:9], v25 offset:2048
	s_waitcnt lgkmcnt(0)
	v_mul_f64 v[50:51], v[8:9], v[44:45]
	v_mul_f64 v[44:45], v[6:7], v[44:45]
	v_fma_f64 v[50:51], v[6:7], v[42:43], -v[50:51]
	v_fma_f64 v[42:43], v[8:9], v[42:43], v[44:45]
	v_add_f64 v[44:45], v[16:17], v[50:51]
	v_mul_f64 v[16:17], v[8:9], v[48:49]
	v_add_f64 v[20:21], v[42:43], v[20:21]
	v_fma_f64 v[16:17], v[6:7], v[46:47], -v[16:17]
	v_mul_f64 v[6:7], v[6:7], v[48:49]
	v_add_f64 v[42:43], v[10:11], v[16:17]
	v_fma_f64 v[6:7], v[8:9], v[46:47], v[6:7]
	v_add_f64 v[46:47], v[6:7], v[12:13]
	ds_read_b128 v[6:9], v24 offset:512
	s_waitcnt lgkmcnt(0)
	v_mul_f64 v[10:11], v[32:33], v[8:9]
	v_mul_f64 v[12:13], v[30:31], v[8:9]
	v_fma_f64 v[10:11], v[30:31], v[6:7], -v[10:11]
	v_fma_f64 v[12:13], v[32:33], v[6:7], v[12:13]
	v_add_f64 v[48:49], v[14:15], v[10:11]
	v_add_f64 v[18:19], v[12:13], v[18:19]
	ds_read_b128 v[10:13], v24 offset:768
	s_waitcnt lgkmcnt(0)
	v_mul_f64 v[14:15], v[32:33], v[12:13]
	v_mul_f64 v[16:17], v[30:31], v[12:13]
	v_fma_f64 v[14:15], v[30:31], v[10:11], -v[14:15]
	v_fma_f64 v[16:17], v[32:33], v[10:11], v[16:17]
	v_add_f64 v[28:29], v[28:29], v[14:15]
	v_add_f64 v[26:27], v[16:17], v[26:27]
	ds_read_b128 v[14:17], v25 offset:2064
	s_waitcnt lgkmcnt(0)
	v_mul_f64 v[30:31], v[16:17], v[8:9]
	v_mul_f64 v[8:9], v[14:15], v[8:9]
	v_fma_f64 v[30:31], v[14:15], v[6:7], -v[30:31]
	v_fma_f64 v[6:7], v[16:17], v[6:7], v[8:9]
	v_mul_f64 v[8:9], v[14:15], v[12:13]
	v_add_f64 v[30:31], v[44:45], v[30:31]
	v_add_f64 v[20:21], v[6:7], v[20:21]
	v_mul_f64 v[6:7], v[16:17], v[12:13]
	v_fma_f64 v[8:9], v[16:17], v[10:11], v[8:9]
	v_fma_f64 v[6:7], v[14:15], v[10:11], -v[6:7]
	v_add_f64 v[32:33], v[42:43], v[6:7]
	v_add_f64 v[42:43], v[8:9], v[46:47]
	ds_read_b128 v[6:9], v24 offset:1024
	s_waitcnt lgkmcnt(0)
	v_mul_f64 v[10:11], v[36:37], v[8:9]
	v_mul_f64 v[12:13], v[34:35], v[8:9]
	v_fma_f64 v[10:11], v[34:35], v[6:7], -v[10:11]
	v_fma_f64 v[12:13], v[36:37], v[6:7], v[12:13]
	v_add_f64 v[44:45], v[48:49], v[10:11]
	v_add_f64 v[18:19], v[12:13], v[18:19]
	ds_read_b128 v[10:13], v24 offset:1280
	s_waitcnt lgkmcnt(0)
	v_mul_f64 v[14:15], v[36:37], v[12:13]
	v_mul_f64 v[16:17], v[34:35], v[12:13]
	v_fma_f64 v[14:15], v[34:35], v[10:11], -v[14:15]
	v_fma_f64 v[16:17], v[36:37], v[10:11], v[16:17]
	v_add_f64 v[28:29], v[28:29], v[14:15]
	v_add_f64 v[26:27], v[16:17], v[26:27]
	ds_read_b128 v[14:17], v25 offset:2080
	s_waitcnt lgkmcnt(0)
	v_mul_f64 v[34:35], v[16:17], v[8:9]
	v_mul_f64 v[8:9], v[14:15], v[8:9]
	v_fma_f64 v[34:35], v[14:15], v[6:7], -v[34:35]
	v_fma_f64 v[6:7], v[16:17], v[6:7], v[8:9]
	v_mul_f64 v[8:9], v[14:15], v[12:13]
	v_add_f64 v[30:31], v[30:31], v[34:35]
	v_add_f64 v[20:21], v[6:7], v[20:21]
	v_mul_f64 v[6:7], v[16:17], v[12:13]
	v_fma_f64 v[8:9], v[16:17], v[10:11], v[8:9]
	v_fma_f64 v[6:7], v[14:15], v[10:11], -v[6:7]
	v_add_f64 v[34:35], v[8:9], v[42:43]
	;; [unrolled: 30-line block ×3, first 2 shown]
	v_add_f64 v[32:33], v[32:33], v[6:7]
	ds_read_b128 v[6:9], v25 offset:64
	ds_read_b128 v[10:13], v24 offset:2048
	s_waitcnt lgkmcnt(0)
	v_mul_f64 v[14:15], v[8:9], v[12:13]
	v_mul_f64 v[16:17], v[6:7], v[12:13]
	v_fma_f64 v[14:15], v[6:7], v[10:11], -v[14:15]
	v_fma_f64 v[16:17], v[8:9], v[10:11], v[16:17]
	v_add_f64 v[36:37], v[36:37], v[14:15]
	v_add_f64 v[18:19], v[16:17], v[18:19]
	ds_read_b128 v[14:17], v24 offset:2304
	s_waitcnt lgkmcnt(0)
	v_mul_f64 v[38:39], v[8:9], v[16:17]
	v_fma_f64 v[38:39], v[6:7], v[14:15], -v[38:39]
	v_mul_f64 v[6:7], v[6:7], v[16:17]
	v_add_f64 v[28:29], v[28:29], v[38:39]
	v_fma_f64 v[6:7], v[8:9], v[14:15], v[6:7]
	v_add_f64 v[26:27], v[6:7], v[26:27]
	ds_read_b128 v[6:9], v25 offset:2112
	s_waitcnt lgkmcnt(0)
	v_mul_f64 v[38:39], v[8:9], v[12:13]
	v_mul_f64 v[12:13], v[6:7], v[12:13]
	v_fma_f64 v[38:39], v[6:7], v[10:11], -v[38:39]
	v_fma_f64 v[10:11], v[8:9], v[10:11], v[12:13]
	v_add_f64 v[30:31], v[30:31], v[38:39]
	v_add_f64 v[20:21], v[10:11], v[20:21]
	v_mul_f64 v[10:11], v[8:9], v[16:17]
	v_fma_f64 v[10:11], v[6:7], v[14:15], -v[10:11]
	v_mul_f64 v[6:7], v[6:7], v[16:17]
	v_add_f64 v[32:33], v[32:33], v[10:11]
	v_fma_f64 v[6:7], v[8:9], v[14:15], v[6:7]
	v_add_f64 v[34:35], v[6:7], v[34:35]
	ds_read_b128 v[6:9], v25 offset:80
	ds_read_b128 v[10:13], v24 offset:2560
	s_waitcnt lgkmcnt(0)
	v_mul_f64 v[14:15], v[8:9], v[12:13]
	v_mul_f64 v[16:17], v[6:7], v[12:13]
	v_fma_f64 v[14:15], v[6:7], v[10:11], -v[14:15]
	v_fma_f64 v[16:17], v[8:9], v[10:11], v[16:17]
	v_add_f64 v[36:37], v[36:37], v[14:15]
	v_add_f64 v[18:19], v[16:17], v[18:19]
	ds_read_b128 v[14:17], v24 offset:2816
	s_waitcnt lgkmcnt(0)
	v_mul_f64 v[38:39], v[8:9], v[16:17]
	v_fma_f64 v[38:39], v[6:7], v[14:15], -v[38:39]
	v_mul_f64 v[6:7], v[6:7], v[16:17]
	v_add_f64 v[28:29], v[28:29], v[38:39]
	v_fma_f64 v[6:7], v[8:9], v[14:15], v[6:7]
	v_add_f64 v[26:27], v[6:7], v[26:27]
	ds_read_b128 v[6:9], v25 offset:2128
	s_waitcnt lgkmcnt(0)
	v_mul_f64 v[38:39], v[8:9], v[12:13]
	v_mul_f64 v[12:13], v[6:7], v[12:13]
	v_fma_f64 v[38:39], v[6:7], v[10:11], -v[38:39]
	v_fma_f64 v[10:11], v[8:9], v[10:11], v[12:13]
	v_add_f64 v[30:31], v[30:31], v[38:39]
	v_add_f64 v[20:21], v[10:11], v[20:21]
	v_mul_f64 v[10:11], v[8:9], v[16:17]
	v_fma_f64 v[10:11], v[6:7], v[14:15], -v[10:11]
	v_mul_f64 v[6:7], v[6:7], v[16:17]
	v_add_f64 v[32:33], v[32:33], v[10:11]
	v_fma_f64 v[6:7], v[8:9], v[14:15], v[6:7]
	;; [unrolled: 31-line block ×3, first 2 shown]
	v_add_f64 v[34:35], v[6:7], v[34:35]
	ds_read_b128 v[6:9], v25 offset:112
	ds_read_b128 v[10:13], v24 offset:3584
	;; [unrolled: 1-line block ×4, first 2 shown]
	s_waitcnt lgkmcnt(0)
	s_barrier
	v_mul_f64 v[16:17], v[6:7], v[12:13]
	v_mul_f64 v[14:15], v[8:9], v[12:13]
	v_fma_f64 v[16:17], v[8:9], v[10:11], v[16:17]
	v_fma_f64 v[14:15], v[6:7], v[10:11], -v[14:15]
	v_add_f64 v[18:19], v[16:17], v[18:19]
	v_mul_f64 v[16:17], v[8:9], v[28:29]
	v_add_f64 v[14:15], v[36:37], v[14:15]
	v_fma_f64 v[16:17], v[6:7], v[26:27], -v[16:17]
	v_mul_f64 v[6:7], v[6:7], v[28:29]
	v_fma_f64 v[8:9], v[8:9], v[26:27], v[6:7]
	v_add_f64 v[6:7], v[38:39], v[16:17]
	v_mul_f64 v[16:17], v[32:33], v[12:13]
	v_mul_f64 v[12:13], v[30:31], v[12:13]
	v_add_f64 v[8:9], v[8:9], v[40:41]
	v_fma_f64 v[16:17], v[30:31], v[10:11], -v[16:17]
	v_fma_f64 v[10:11], v[32:33], v[10:11], v[12:13]
	v_mul_f64 v[12:13], v[30:31], v[28:29]
	v_add_f64 v[16:17], v[42:43], v[16:17]
	v_add_f64 v[20:21], v[10:11], v[20:21]
	v_mul_f64 v[10:11], v[32:33], v[28:29]
	v_fma_f64 v[12:13], v[32:33], v[26:27], v[12:13]
	v_fma_f64 v[10:11], v[30:31], v[26:27], -v[10:11]
	v_add_f64 v[12:13], v[12:13], v[34:35]
	v_add_f64 v[10:11], v[44:45], v[10:11]
	s_cbranch_scc0 .LBB411_2
	s_branch .LBB411_4
.LBB411_3:
	v_mov_b32_e32 v14, 0
	v_mov_b32_e32 v18, 0
	;; [unrolled: 1-line block ×16, first 2 shown]
.LBB411_4:
	s_load_dwordx2 s[0:1], s[4:5], 0x68
	s_load_dwordx2 s[2:3], s[4:5], 0x58
	s_load_dword s9, s[4:5], 0x60
	v_add_u32_e32 v4, s7, v1
	v_add_u32_e32 v0, s6, v0
	s_waitcnt lgkmcnt(0)
	s_mul_i32 s1, s1, s8
	s_mul_hi_u32 s4, s0, s8
	s_add_i32 s1, s4, s1
	v_mad_i64_i32 v[1:2], s[4:5], v4, s9, 0
	s_mul_i32 s0, s0, s8
	s_lshl_b64 s[0:1], s[0:1], 4
	s_add_u32 s7, s2, s0
	v_lshlrev_b64 v[1:2], 4, v[1:2]
	s_addc_u32 s8, s3, s1
	v_mov_b32_e32 v3, s8
	v_add_co_u32_e32 v5, vcc, s7, v1
	v_addc_co_u32_e32 v22, vcc, v3, v2, vcc
	v_cmp_le_i32_e64 s[0:1], v4, v0
	v_cmp_gt_i32_e32 vcc, s10, v0
	s_and_b64 s[0:1], s[0:1], vcc
	s_and_saveexec_b64 s[2:3], s[0:1]
	s_cbranch_execz .LBB411_6
; %bb.5:
	v_mul_f64 v[2:3], s[12:13], v[18:19]
	v_mul_f64 v[18:19], s[14:15], v[18:19]
	v_ashrrev_i32_e32 v1, 31, v0
	v_lshlrev_b64 v[25:26], 4, v[0:1]
	v_fma_f64 v[2:3], s[14:15], v[14:15], v[2:3]
	v_fma_f64 v[23:24], s[12:13], v[14:15], -v[18:19]
	v_add_co_u32_e64 v14, s[0:1], v5, v25
	v_addc_co_u32_e64 v15, s[0:1], v22, v26, s[0:1]
	v_cmp_ne_u32_e64 s[0:1], v4, v0
	v_cndmask_b32_e64 v26, 0, v3, s[0:1]
	v_cndmask_b32_e64 v25, 0, v2, s[0:1]
	global_store_dwordx4 v[14:15], v[23:26], off
.LBB411_6:
	s_or_b64 exec, exec, s[2:3]
	v_add_u32_e32 v2, 16, v0
	v_cmp_le_i32_e64 s[2:3], v4, v2
	v_cmp_gt_i32_e64 s[0:1], s10, v2
	s_and_b64 s[2:3], s[2:3], s[0:1]
	s_and_saveexec_b64 s[4:5], s[2:3]
	s_cbranch_execz .LBB411_8
; %bb.7:
	v_mul_f64 v[14:15], s[12:13], v[8:9]
	v_mul_f64 v[8:9], s[14:15], v[8:9]
	v_ashrrev_i32_e32 v3, 31, v2
	v_lshlrev_b64 v[18:19], 4, v[2:3]
	v_add_co_u32_e64 v18, s[2:3], v5, v18
	v_addc_co_u32_e64 v19, s[2:3], v22, v19, s[2:3]
	v_fma_f64 v[14:15], s[14:15], v[6:7], v[14:15]
	v_fma_f64 v[6:7], s[12:13], v[6:7], -v[8:9]
	v_cmp_ne_u32_e64 s[2:3], v4, v2
	v_cndmask_b32_e64 v9, 0, v15, s[2:3]
	v_cndmask_b32_e64 v8, 0, v14, s[2:3]
	global_store_dwordx4 v[18:19], v[6:9], off
.LBB411_8:
	s_or_b64 exec, exec, s[4:5]
	v_add_u32_e32 v3, 16, v4
	v_mad_i64_i32 v[5:6], s[2:3], v3, s9, 0
	v_mov_b32_e32 v1, s8
	v_lshlrev_b64 v[5:6], 4, v[5:6]
	v_add_co_u32_e64 v5, s[2:3], s7, v5
	v_addc_co_u32_e64 v6, s[2:3], v1, v6, s[2:3]
	v_cmp_le_i32_e64 s[2:3], v3, v0
	s_and_b64 s[4:5], s[2:3], vcc
	s_and_saveexec_b64 s[2:3], s[4:5]
	s_cbranch_execz .LBB411_10
; %bb.9:
	v_mul_f64 v[7:8], s[12:13], v[20:21]
	v_mul_f64 v[14:15], s[14:15], v[20:21]
	v_ashrrev_i32_e32 v1, 31, v0
	v_lshlrev_b64 v[18:19], 4, v[0:1]
	v_add_co_u32_e32 v18, vcc, v5, v18
	v_addc_co_u32_e32 v19, vcc, v6, v19, vcc
	v_fma_f64 v[7:8], s[14:15], v[16:17], v[7:8]
	v_fma_f64 v[14:15], s[12:13], v[16:17], -v[14:15]
	v_cmp_ne_u32_e32 vcc, v3, v0
	v_cndmask_b32_e32 v17, 0, v8, vcc
	v_cndmask_b32_e32 v16, 0, v7, vcc
	global_store_dwordx4 v[18:19], v[14:17], off
.LBB411_10:
	s_or_b64 exec, exec, s[2:3]
	v_cmp_le_i32_e32 vcc, v3, v2
	s_and_b64 s[0:1], vcc, s[0:1]
	s_and_saveexec_b64 s[2:3], s[0:1]
	s_cbranch_execz .LBB411_12
; %bb.11:
	v_mul_f64 v[7:8], s[12:13], v[12:13]
	v_mul_f64 v[12:13], s[14:15], v[12:13]
	v_ashrrev_i32_e32 v3, 31, v2
	v_lshlrev_b64 v[14:15], 4, v[2:3]
	v_add_co_u32_e32 v5, vcc, v5, v14
	v_addc_co_u32_e32 v6, vcc, v6, v15, vcc
	v_fma_f64 v[7:8], s[14:15], v[10:11], v[7:8]
	v_fma_f64 v[1:2], s[12:13], v[10:11], -v[12:13]
	v_cmp_ne_u32_e32 vcc, v4, v0
	v_cndmask_b32_e32 v4, 0, v8, vcc
	v_cndmask_b32_e32 v3, 0, v7, vcc
	global_store_dwordx4 v[5:6], v[1:4], off
.LBB411_12:
	s_endpgm
	.section	.rodata,"a",@progbits
	.p2align	6, 0x0
	.amdhsa_kernel _ZL37rocblas_syrkx_herkx_restricted_kernelIi19rocblas_complex_numIdELi16ELi32ELi8ELb1ELb1ELc84ELc76EKS1_S1_EviT_T0_PT8_S3_lS6_S3_lS4_PT9_S3_li
		.amdhsa_group_segment_fixed_size 8192
		.amdhsa_private_segment_fixed_size 0
		.amdhsa_kernarg_size 116
		.amdhsa_user_sgpr_count 6
		.amdhsa_user_sgpr_private_segment_buffer 1
		.amdhsa_user_sgpr_dispatch_ptr 0
		.amdhsa_user_sgpr_queue_ptr 0
		.amdhsa_user_sgpr_kernarg_segment_ptr 1
		.amdhsa_user_sgpr_dispatch_id 0
		.amdhsa_user_sgpr_flat_scratch_init 0
		.amdhsa_user_sgpr_private_segment_size 0
		.amdhsa_uses_dynamic_stack 0
		.amdhsa_system_sgpr_private_segment_wavefront_offset 0
		.amdhsa_system_sgpr_workgroup_id_x 1
		.amdhsa_system_sgpr_workgroup_id_y 1
		.amdhsa_system_sgpr_workgroup_id_z 1
		.amdhsa_system_sgpr_workgroup_info 0
		.amdhsa_system_vgpr_workitem_id 1
		.amdhsa_next_free_vgpr 52
		.amdhsa_next_free_sgpr 61
		.amdhsa_reserve_vcc 1
		.amdhsa_reserve_flat_scratch 0
		.amdhsa_float_round_mode_32 0
		.amdhsa_float_round_mode_16_64 0
		.amdhsa_float_denorm_mode_32 3
		.amdhsa_float_denorm_mode_16_64 3
		.amdhsa_dx10_clamp 1
		.amdhsa_ieee_mode 1
		.amdhsa_fp16_overflow 0
		.amdhsa_exception_fp_ieee_invalid_op 0
		.amdhsa_exception_fp_denorm_src 0
		.amdhsa_exception_fp_ieee_div_zero 0
		.amdhsa_exception_fp_ieee_overflow 0
		.amdhsa_exception_fp_ieee_underflow 0
		.amdhsa_exception_fp_ieee_inexact 0
		.amdhsa_exception_int_div_zero 0
	.end_amdhsa_kernel
	.section	.text._ZL37rocblas_syrkx_herkx_restricted_kernelIi19rocblas_complex_numIdELi16ELi32ELi8ELb1ELb1ELc84ELc76EKS1_S1_EviT_T0_PT8_S3_lS6_S3_lS4_PT9_S3_li,"axG",@progbits,_ZL37rocblas_syrkx_herkx_restricted_kernelIi19rocblas_complex_numIdELi16ELi32ELi8ELb1ELb1ELc84ELc76EKS1_S1_EviT_T0_PT8_S3_lS6_S3_lS4_PT9_S3_li,comdat
.Lfunc_end411:
	.size	_ZL37rocblas_syrkx_herkx_restricted_kernelIi19rocblas_complex_numIdELi16ELi32ELi8ELb1ELb1ELc84ELc76EKS1_S1_EviT_T0_PT8_S3_lS6_S3_lS4_PT9_S3_li, .Lfunc_end411-_ZL37rocblas_syrkx_herkx_restricted_kernelIi19rocblas_complex_numIdELi16ELi32ELi8ELb1ELb1ELc84ELc76EKS1_S1_EviT_T0_PT8_S3_lS6_S3_lS4_PT9_S3_li
                                        ; -- End function
	.set _ZL37rocblas_syrkx_herkx_restricted_kernelIi19rocblas_complex_numIdELi16ELi32ELi8ELb1ELb1ELc84ELc76EKS1_S1_EviT_T0_PT8_S3_lS6_S3_lS4_PT9_S3_li.num_vgpr, 52
	.set _ZL37rocblas_syrkx_herkx_restricted_kernelIi19rocblas_complex_numIdELi16ELi32ELi8ELb1ELb1ELc84ELc76EKS1_S1_EviT_T0_PT8_S3_lS6_S3_lS4_PT9_S3_li.num_agpr, 0
	.set _ZL37rocblas_syrkx_herkx_restricted_kernelIi19rocblas_complex_numIdELi16ELi32ELi8ELb1ELb1ELc84ELc76EKS1_S1_EviT_T0_PT8_S3_lS6_S3_lS4_PT9_S3_li.numbered_sgpr, 24
	.set _ZL37rocblas_syrkx_herkx_restricted_kernelIi19rocblas_complex_numIdELi16ELi32ELi8ELb1ELb1ELc84ELc76EKS1_S1_EviT_T0_PT8_S3_lS6_S3_lS4_PT9_S3_li.num_named_barrier, 0
	.set _ZL37rocblas_syrkx_herkx_restricted_kernelIi19rocblas_complex_numIdELi16ELi32ELi8ELb1ELb1ELc84ELc76EKS1_S1_EviT_T0_PT8_S3_lS6_S3_lS4_PT9_S3_li.private_seg_size, 0
	.set _ZL37rocblas_syrkx_herkx_restricted_kernelIi19rocblas_complex_numIdELi16ELi32ELi8ELb1ELb1ELc84ELc76EKS1_S1_EviT_T0_PT8_S3_lS6_S3_lS4_PT9_S3_li.uses_vcc, 1
	.set _ZL37rocblas_syrkx_herkx_restricted_kernelIi19rocblas_complex_numIdELi16ELi32ELi8ELb1ELb1ELc84ELc76EKS1_S1_EviT_T0_PT8_S3_lS6_S3_lS4_PT9_S3_li.uses_flat_scratch, 0
	.set _ZL37rocblas_syrkx_herkx_restricted_kernelIi19rocblas_complex_numIdELi16ELi32ELi8ELb1ELb1ELc84ELc76EKS1_S1_EviT_T0_PT8_S3_lS6_S3_lS4_PT9_S3_li.has_dyn_sized_stack, 0
	.set _ZL37rocblas_syrkx_herkx_restricted_kernelIi19rocblas_complex_numIdELi16ELi32ELi8ELb1ELb1ELc84ELc76EKS1_S1_EviT_T0_PT8_S3_lS6_S3_lS4_PT9_S3_li.has_recursion, 0
	.set _ZL37rocblas_syrkx_herkx_restricted_kernelIi19rocblas_complex_numIdELi16ELi32ELi8ELb1ELb1ELc84ELc76EKS1_S1_EviT_T0_PT8_S3_lS6_S3_lS4_PT9_S3_li.has_indirect_call, 0
	.section	.AMDGPU.csdata,"",@progbits
; Kernel info:
; codeLenInByte = 2972
; TotalNumSgprs: 28
; NumVgprs: 52
; ScratchSize: 0
; MemoryBound: 0
; FloatMode: 240
; IeeeMode: 1
; LDSByteSize: 8192 bytes/workgroup (compile time only)
; SGPRBlocks: 8
; VGPRBlocks: 12
; NumSGPRsForWavesPerEU: 65
; NumVGPRsForWavesPerEU: 52
; Occupancy: 4
; WaveLimiterHint : 0
; COMPUTE_PGM_RSRC2:SCRATCH_EN: 0
; COMPUTE_PGM_RSRC2:USER_SGPR: 6
; COMPUTE_PGM_RSRC2:TRAP_HANDLER: 0
; COMPUTE_PGM_RSRC2:TGID_X_EN: 1
; COMPUTE_PGM_RSRC2:TGID_Y_EN: 1
; COMPUTE_PGM_RSRC2:TGID_Z_EN: 1
; COMPUTE_PGM_RSRC2:TIDIG_COMP_CNT: 1
	.section	.text._ZL37rocblas_syrkx_herkx_restricted_kernelIi19rocblas_complex_numIdELi16ELi32ELi8ELb1ELb1ELc67ELc76EKS1_S1_EviT_T0_PT8_S3_lS6_S3_lS4_PT9_S3_li,"axG",@progbits,_ZL37rocblas_syrkx_herkx_restricted_kernelIi19rocblas_complex_numIdELi16ELi32ELi8ELb1ELb1ELc67ELc76EKS1_S1_EviT_T0_PT8_S3_lS6_S3_lS4_PT9_S3_li,comdat
	.globl	_ZL37rocblas_syrkx_herkx_restricted_kernelIi19rocblas_complex_numIdELi16ELi32ELi8ELb1ELb1ELc67ELc76EKS1_S1_EviT_T0_PT8_S3_lS6_S3_lS4_PT9_S3_li ; -- Begin function _ZL37rocblas_syrkx_herkx_restricted_kernelIi19rocblas_complex_numIdELi16ELi32ELi8ELb1ELb1ELc67ELc76EKS1_S1_EviT_T0_PT8_S3_lS6_S3_lS4_PT9_S3_li
	.p2align	8
	.type	_ZL37rocblas_syrkx_herkx_restricted_kernelIi19rocblas_complex_numIdELi16ELi32ELi8ELb1ELb1ELc67ELc76EKS1_S1_EviT_T0_PT8_S3_lS6_S3_lS4_PT9_S3_li,@function
_ZL37rocblas_syrkx_herkx_restricted_kernelIi19rocblas_complex_numIdELi16ELi32ELi8ELb1ELb1ELc67ELc76EKS1_S1_EviT_T0_PT8_S3_lS6_S3_lS4_PT9_S3_li: ; @_ZL37rocblas_syrkx_herkx_restricted_kernelIi19rocblas_complex_numIdELi16ELi32ELi8ELb1ELb1ELc67ELc76EKS1_S1_EviT_T0_PT8_S3_lS6_S3_lS4_PT9_S3_li
; %bb.0:
	s_load_dwordx2 s[10:11], s[4:5], 0x0
	s_load_dwordx4 s[12:15], s[4:5], 0x8
	s_load_dwordx2 s[16:17], s[4:5], 0x18
	s_lshl_b32 s6, s6, 5
	s_lshl_b32 s7, s7, 5
	s_waitcnt lgkmcnt(0)
	s_cmp_lt_i32 s11, 1
	s_mov_b32 s9, 0
	s_cbranch_scc1 .LBB412_3
; %bb.1:
	s_load_dword s22, s[4:5], 0x20
	s_load_dwordx4 s[0:3], s[4:5], 0x28
	s_load_dword s20, s[4:5], 0x38
	s_load_dwordx2 s[18:19], s[4:5], 0x40
	v_lshl_add_u32 v3, v1, 4, v0
	v_lshrrev_b32_e32 v8, 3, v3
	v_lshrrev_b32_e32 v2, 5, v3
	v_and_b32_e32 v4, 7, v0
	v_and_b32_e32 v9, 31, v3
	v_add_u32_e32 v3, s7, v8
	v_mov_b32_e32 v5, 0
	s_waitcnt lgkmcnt(0)
	v_mad_i64_i32 v[6:7], s[20:21], s20, v3, v[4:5]
	v_lshlrev_b32_e32 v4, 4, v4
	v_lshl_or_b32 v4, v8, 7, v4
	v_add_u32_e32 v23, 0x1000, v4
	v_mov_b32_e32 v4, 0x1000
	v_mov_b32_e32 v3, v5
	v_lshlrev_b32_e32 v5, 4, v9
	v_lshl_add_u32 v25, v1, 7, v4
	v_add_u32_e32 v4, s6, v9
	v_lshl_or_b32 v22, v2, 9, v5
	v_mad_i64_i32 v[2:3], s[20:21], s22, v4, v[2:3]
	s_mul_i32 s1, s1, s8
	s_mul_hi_u32 s23, s0, s8
	s_add_i32 s1, s23, s1
	s_mul_i32 s0, s0, s8
	s_lshl_b64 s[0:1], s[0:1], 4
	v_lshlrev_b64 v[2:3], 4, v[2:3]
	s_add_u32 s0, s16, s0
	s_addc_u32 s1, s17, s1
	v_mov_b32_e32 v4, s1
	v_add_co_u32_e32 v2, vcc, s0, v2
	s_mul_i32 s0, s19, s8
	s_mul_hi_u32 s1, s18, s8
	s_add_i32 s1, s1, s0
	s_mul_i32 s0, s18, s8
	v_addc_co_u32_e32 v3, vcc, v4, v3, vcc
	s_lshl_b64 s[0:1], s[0:1], 4
	v_add_co_u32_e32 v2, vcc, 8, v2
	v_lshlrev_b64 v[4:5], 4, v[6:7]
	s_add_u32 s0, s2, s0
	v_addc_co_u32_e32 v3, vcc, 0, v3, vcc
	s_addc_u32 s1, s3, s1
	v_mov_b32_e32 v6, s1
	v_add_co_u32_e32 v4, vcc, s0, v4
	v_addc_co_u32_e32 v5, vcc, v6, v5, vcc
	v_mov_b32_e32 v12, 0
	v_mov_b32_e32 v10, 0
	;; [unrolled: 1-line block ×8, first 2 shown]
	v_add_co_u32_e32 v4, vcc, 8, v4
	v_lshlrev_b32_e32 v24, 4, v0
	v_mov_b32_e32 v13, 0
	v_mov_b32_e32 v11, 0
	;; [unrolled: 1-line block ×8, first 2 shown]
	v_addc_co_u32_e32 v5, vcc, 0, v5, vcc
.LBB412_2:                              ; =>This Inner Loop Header: Depth=1
	global_load_dwordx4 v[26:29], v[2:3], off offset:-8
	v_add_co_u32_e32 v2, vcc, 0x80, v2
	v_addc_co_u32_e32 v3, vcc, 0, v3, vcc
	s_add_i32 s9, s9, 8
	s_cmp_ge_i32 s9, s11
	s_waitcnt vmcnt(0)
	v_xor_b32_e32 v29, 0x80000000, v29
	ds_write_b128 v22, v[26:29]
	global_load_dwordx4 v[26:29], v[4:5], off offset:-8
	v_add_co_u32_e32 v4, vcc, 0x80, v4
	v_addc_co_u32_e32 v5, vcc, 0, v5, vcc
	s_waitcnt vmcnt(0)
	ds_write_b128 v23, v[26:29]
	s_waitcnt lgkmcnt(0)
	s_barrier
	ds_read_b128 v[26:29], v25
	ds_read_b128 v[30:33], v25 offset:16
	ds_read_b128 v[34:37], v25 offset:32
	;; [unrolled: 1-line block ×3, first 2 shown]
	ds_read_b128 v[42:45], v24
	s_waitcnt lgkmcnt(0)
	v_mul_f64 v[46:47], v[28:29], v[44:45]
	v_mul_f64 v[48:49], v[26:27], v[44:45]
	v_fma_f64 v[46:47], v[26:27], v[42:43], -v[46:47]
	v_fma_f64 v[48:49], v[28:29], v[42:43], v[48:49]
	v_add_f64 v[14:15], v[14:15], v[46:47]
	v_add_f64 v[18:19], v[48:49], v[18:19]
	ds_read_b128 v[46:49], v24 offset:256
	s_waitcnt lgkmcnt(0)
	v_mul_f64 v[50:51], v[28:29], v[48:49]
	v_fma_f64 v[50:51], v[26:27], v[46:47], -v[50:51]
	v_mul_f64 v[26:27], v[26:27], v[48:49]
	v_fma_f64 v[26:27], v[28:29], v[46:47], v[26:27]
	v_add_f64 v[28:29], v[6:7], v[50:51]
	v_add_f64 v[26:27], v[26:27], v[8:9]
	ds_read_b128 v[6:9], v25 offset:2048
	s_waitcnt lgkmcnt(0)
	v_mul_f64 v[50:51], v[8:9], v[44:45]
	v_mul_f64 v[44:45], v[6:7], v[44:45]
	v_fma_f64 v[50:51], v[6:7], v[42:43], -v[50:51]
	v_fma_f64 v[42:43], v[8:9], v[42:43], v[44:45]
	v_add_f64 v[44:45], v[16:17], v[50:51]
	v_mul_f64 v[16:17], v[8:9], v[48:49]
	v_add_f64 v[20:21], v[42:43], v[20:21]
	v_fma_f64 v[16:17], v[6:7], v[46:47], -v[16:17]
	v_mul_f64 v[6:7], v[6:7], v[48:49]
	v_add_f64 v[42:43], v[10:11], v[16:17]
	v_fma_f64 v[6:7], v[8:9], v[46:47], v[6:7]
	v_add_f64 v[46:47], v[6:7], v[12:13]
	ds_read_b128 v[6:9], v24 offset:512
	s_waitcnt lgkmcnt(0)
	v_mul_f64 v[10:11], v[32:33], v[8:9]
	v_mul_f64 v[12:13], v[30:31], v[8:9]
	v_fma_f64 v[10:11], v[30:31], v[6:7], -v[10:11]
	v_fma_f64 v[12:13], v[32:33], v[6:7], v[12:13]
	v_add_f64 v[48:49], v[14:15], v[10:11]
	v_add_f64 v[18:19], v[12:13], v[18:19]
	ds_read_b128 v[10:13], v24 offset:768
	s_waitcnt lgkmcnt(0)
	v_mul_f64 v[14:15], v[32:33], v[12:13]
	v_mul_f64 v[16:17], v[30:31], v[12:13]
	v_fma_f64 v[14:15], v[30:31], v[10:11], -v[14:15]
	v_fma_f64 v[16:17], v[32:33], v[10:11], v[16:17]
	v_add_f64 v[28:29], v[28:29], v[14:15]
	v_add_f64 v[26:27], v[16:17], v[26:27]
	ds_read_b128 v[14:17], v25 offset:2064
	s_waitcnt lgkmcnt(0)
	v_mul_f64 v[30:31], v[16:17], v[8:9]
	v_mul_f64 v[8:9], v[14:15], v[8:9]
	v_fma_f64 v[30:31], v[14:15], v[6:7], -v[30:31]
	v_fma_f64 v[6:7], v[16:17], v[6:7], v[8:9]
	v_mul_f64 v[8:9], v[14:15], v[12:13]
	v_add_f64 v[30:31], v[44:45], v[30:31]
	v_add_f64 v[20:21], v[6:7], v[20:21]
	v_mul_f64 v[6:7], v[16:17], v[12:13]
	v_fma_f64 v[8:9], v[16:17], v[10:11], v[8:9]
	v_fma_f64 v[6:7], v[14:15], v[10:11], -v[6:7]
	v_add_f64 v[32:33], v[42:43], v[6:7]
	v_add_f64 v[42:43], v[8:9], v[46:47]
	ds_read_b128 v[6:9], v24 offset:1024
	s_waitcnt lgkmcnt(0)
	v_mul_f64 v[10:11], v[36:37], v[8:9]
	v_mul_f64 v[12:13], v[34:35], v[8:9]
	v_fma_f64 v[10:11], v[34:35], v[6:7], -v[10:11]
	v_fma_f64 v[12:13], v[36:37], v[6:7], v[12:13]
	v_add_f64 v[44:45], v[48:49], v[10:11]
	v_add_f64 v[18:19], v[12:13], v[18:19]
	ds_read_b128 v[10:13], v24 offset:1280
	s_waitcnt lgkmcnt(0)
	v_mul_f64 v[14:15], v[36:37], v[12:13]
	v_mul_f64 v[16:17], v[34:35], v[12:13]
	v_fma_f64 v[14:15], v[34:35], v[10:11], -v[14:15]
	v_fma_f64 v[16:17], v[36:37], v[10:11], v[16:17]
	v_add_f64 v[28:29], v[28:29], v[14:15]
	v_add_f64 v[26:27], v[16:17], v[26:27]
	ds_read_b128 v[14:17], v25 offset:2080
	s_waitcnt lgkmcnt(0)
	v_mul_f64 v[34:35], v[16:17], v[8:9]
	v_mul_f64 v[8:9], v[14:15], v[8:9]
	v_fma_f64 v[34:35], v[14:15], v[6:7], -v[34:35]
	v_fma_f64 v[6:7], v[16:17], v[6:7], v[8:9]
	v_mul_f64 v[8:9], v[14:15], v[12:13]
	v_add_f64 v[30:31], v[30:31], v[34:35]
	v_add_f64 v[20:21], v[6:7], v[20:21]
	v_mul_f64 v[6:7], v[16:17], v[12:13]
	v_fma_f64 v[8:9], v[16:17], v[10:11], v[8:9]
	v_fma_f64 v[6:7], v[14:15], v[10:11], -v[6:7]
	v_add_f64 v[34:35], v[8:9], v[42:43]
	;; [unrolled: 30-line block ×3, first 2 shown]
	v_add_f64 v[32:33], v[32:33], v[6:7]
	ds_read_b128 v[6:9], v25 offset:64
	ds_read_b128 v[10:13], v24 offset:2048
	s_waitcnt lgkmcnt(0)
	v_mul_f64 v[14:15], v[8:9], v[12:13]
	v_mul_f64 v[16:17], v[6:7], v[12:13]
	v_fma_f64 v[14:15], v[6:7], v[10:11], -v[14:15]
	v_fma_f64 v[16:17], v[8:9], v[10:11], v[16:17]
	v_add_f64 v[36:37], v[36:37], v[14:15]
	v_add_f64 v[18:19], v[16:17], v[18:19]
	ds_read_b128 v[14:17], v24 offset:2304
	s_waitcnt lgkmcnt(0)
	v_mul_f64 v[38:39], v[8:9], v[16:17]
	v_fma_f64 v[38:39], v[6:7], v[14:15], -v[38:39]
	v_mul_f64 v[6:7], v[6:7], v[16:17]
	v_add_f64 v[28:29], v[28:29], v[38:39]
	v_fma_f64 v[6:7], v[8:9], v[14:15], v[6:7]
	v_add_f64 v[26:27], v[6:7], v[26:27]
	ds_read_b128 v[6:9], v25 offset:2112
	s_waitcnt lgkmcnt(0)
	v_mul_f64 v[38:39], v[8:9], v[12:13]
	v_mul_f64 v[12:13], v[6:7], v[12:13]
	v_fma_f64 v[38:39], v[6:7], v[10:11], -v[38:39]
	v_fma_f64 v[10:11], v[8:9], v[10:11], v[12:13]
	v_add_f64 v[30:31], v[30:31], v[38:39]
	v_add_f64 v[20:21], v[10:11], v[20:21]
	v_mul_f64 v[10:11], v[8:9], v[16:17]
	v_fma_f64 v[10:11], v[6:7], v[14:15], -v[10:11]
	v_mul_f64 v[6:7], v[6:7], v[16:17]
	v_add_f64 v[32:33], v[32:33], v[10:11]
	v_fma_f64 v[6:7], v[8:9], v[14:15], v[6:7]
	v_add_f64 v[34:35], v[6:7], v[34:35]
	ds_read_b128 v[6:9], v25 offset:80
	ds_read_b128 v[10:13], v24 offset:2560
	s_waitcnt lgkmcnt(0)
	v_mul_f64 v[14:15], v[8:9], v[12:13]
	v_mul_f64 v[16:17], v[6:7], v[12:13]
	v_fma_f64 v[14:15], v[6:7], v[10:11], -v[14:15]
	v_fma_f64 v[16:17], v[8:9], v[10:11], v[16:17]
	v_add_f64 v[36:37], v[36:37], v[14:15]
	v_add_f64 v[18:19], v[16:17], v[18:19]
	ds_read_b128 v[14:17], v24 offset:2816
	s_waitcnt lgkmcnt(0)
	v_mul_f64 v[38:39], v[8:9], v[16:17]
	v_fma_f64 v[38:39], v[6:7], v[14:15], -v[38:39]
	v_mul_f64 v[6:7], v[6:7], v[16:17]
	v_add_f64 v[28:29], v[28:29], v[38:39]
	v_fma_f64 v[6:7], v[8:9], v[14:15], v[6:7]
	v_add_f64 v[26:27], v[6:7], v[26:27]
	ds_read_b128 v[6:9], v25 offset:2128
	s_waitcnt lgkmcnt(0)
	v_mul_f64 v[38:39], v[8:9], v[12:13]
	v_mul_f64 v[12:13], v[6:7], v[12:13]
	v_fma_f64 v[38:39], v[6:7], v[10:11], -v[38:39]
	v_fma_f64 v[10:11], v[8:9], v[10:11], v[12:13]
	v_add_f64 v[30:31], v[30:31], v[38:39]
	v_add_f64 v[20:21], v[10:11], v[20:21]
	v_mul_f64 v[10:11], v[8:9], v[16:17]
	v_fma_f64 v[10:11], v[6:7], v[14:15], -v[10:11]
	v_mul_f64 v[6:7], v[6:7], v[16:17]
	v_add_f64 v[32:33], v[32:33], v[10:11]
	v_fma_f64 v[6:7], v[8:9], v[14:15], v[6:7]
	;; [unrolled: 31-line block ×3, first 2 shown]
	v_add_f64 v[34:35], v[6:7], v[34:35]
	ds_read_b128 v[6:9], v25 offset:112
	ds_read_b128 v[10:13], v24 offset:3584
	;; [unrolled: 1-line block ×4, first 2 shown]
	s_waitcnt lgkmcnt(0)
	s_barrier
	v_mul_f64 v[16:17], v[6:7], v[12:13]
	v_mul_f64 v[14:15], v[8:9], v[12:13]
	v_fma_f64 v[16:17], v[8:9], v[10:11], v[16:17]
	v_fma_f64 v[14:15], v[6:7], v[10:11], -v[14:15]
	v_add_f64 v[18:19], v[16:17], v[18:19]
	v_mul_f64 v[16:17], v[8:9], v[28:29]
	v_add_f64 v[14:15], v[36:37], v[14:15]
	v_fma_f64 v[16:17], v[6:7], v[26:27], -v[16:17]
	v_mul_f64 v[6:7], v[6:7], v[28:29]
	v_fma_f64 v[8:9], v[8:9], v[26:27], v[6:7]
	v_add_f64 v[6:7], v[38:39], v[16:17]
	v_mul_f64 v[16:17], v[32:33], v[12:13]
	v_mul_f64 v[12:13], v[30:31], v[12:13]
	v_add_f64 v[8:9], v[8:9], v[40:41]
	v_fma_f64 v[16:17], v[30:31], v[10:11], -v[16:17]
	v_fma_f64 v[10:11], v[32:33], v[10:11], v[12:13]
	v_mul_f64 v[12:13], v[30:31], v[28:29]
	v_add_f64 v[16:17], v[42:43], v[16:17]
	v_add_f64 v[20:21], v[10:11], v[20:21]
	v_mul_f64 v[10:11], v[32:33], v[28:29]
	v_fma_f64 v[12:13], v[32:33], v[26:27], v[12:13]
	v_fma_f64 v[10:11], v[30:31], v[26:27], -v[10:11]
	v_add_f64 v[12:13], v[12:13], v[34:35]
	v_add_f64 v[10:11], v[44:45], v[10:11]
	s_cbranch_scc0 .LBB412_2
	s_branch .LBB412_4
.LBB412_3:
	v_mov_b32_e32 v14, 0
	v_mov_b32_e32 v18, 0
	;; [unrolled: 1-line block ×16, first 2 shown]
.LBB412_4:
	s_load_dwordx2 s[0:1], s[4:5], 0x68
	s_load_dwordx2 s[2:3], s[4:5], 0x58
	s_load_dword s9, s[4:5], 0x60
	v_add_u32_e32 v4, s7, v1
	v_add_u32_e32 v0, s6, v0
	s_waitcnt lgkmcnt(0)
	s_mul_i32 s1, s1, s8
	s_mul_hi_u32 s4, s0, s8
	s_add_i32 s1, s4, s1
	v_mad_i64_i32 v[1:2], s[4:5], v4, s9, 0
	s_mul_i32 s0, s0, s8
	s_lshl_b64 s[0:1], s[0:1], 4
	s_add_u32 s7, s2, s0
	v_lshlrev_b64 v[1:2], 4, v[1:2]
	s_addc_u32 s8, s3, s1
	v_mov_b32_e32 v3, s8
	v_add_co_u32_e32 v5, vcc, s7, v1
	v_addc_co_u32_e32 v22, vcc, v3, v2, vcc
	v_cmp_le_i32_e64 s[0:1], v4, v0
	v_cmp_gt_i32_e32 vcc, s10, v0
	s_and_b64 s[0:1], s[0:1], vcc
	s_and_saveexec_b64 s[2:3], s[0:1]
	s_cbranch_execz .LBB412_6
; %bb.5:
	v_mul_f64 v[2:3], s[12:13], v[18:19]
	v_mul_f64 v[18:19], s[14:15], v[18:19]
	v_ashrrev_i32_e32 v1, 31, v0
	v_lshlrev_b64 v[25:26], 4, v[0:1]
	v_fma_f64 v[2:3], s[14:15], v[14:15], v[2:3]
	v_fma_f64 v[23:24], s[12:13], v[14:15], -v[18:19]
	v_add_co_u32_e64 v14, s[0:1], v5, v25
	v_addc_co_u32_e64 v15, s[0:1], v22, v26, s[0:1]
	v_cmp_ne_u32_e64 s[0:1], v4, v0
	v_cndmask_b32_e64 v26, 0, v3, s[0:1]
	v_cndmask_b32_e64 v25, 0, v2, s[0:1]
	global_store_dwordx4 v[14:15], v[23:26], off
.LBB412_6:
	s_or_b64 exec, exec, s[2:3]
	v_add_u32_e32 v2, 16, v0
	v_cmp_le_i32_e64 s[2:3], v4, v2
	v_cmp_gt_i32_e64 s[0:1], s10, v2
	s_and_b64 s[2:3], s[2:3], s[0:1]
	s_and_saveexec_b64 s[4:5], s[2:3]
	s_cbranch_execz .LBB412_8
; %bb.7:
	v_mul_f64 v[14:15], s[12:13], v[8:9]
	v_mul_f64 v[8:9], s[14:15], v[8:9]
	v_ashrrev_i32_e32 v3, 31, v2
	v_lshlrev_b64 v[18:19], 4, v[2:3]
	v_add_co_u32_e64 v18, s[2:3], v5, v18
	v_addc_co_u32_e64 v19, s[2:3], v22, v19, s[2:3]
	v_fma_f64 v[14:15], s[14:15], v[6:7], v[14:15]
	v_fma_f64 v[6:7], s[12:13], v[6:7], -v[8:9]
	v_cmp_ne_u32_e64 s[2:3], v4, v2
	v_cndmask_b32_e64 v9, 0, v15, s[2:3]
	v_cndmask_b32_e64 v8, 0, v14, s[2:3]
	global_store_dwordx4 v[18:19], v[6:9], off
.LBB412_8:
	s_or_b64 exec, exec, s[4:5]
	v_add_u32_e32 v3, 16, v4
	v_mad_i64_i32 v[5:6], s[2:3], v3, s9, 0
	v_mov_b32_e32 v1, s8
	v_lshlrev_b64 v[5:6], 4, v[5:6]
	v_add_co_u32_e64 v5, s[2:3], s7, v5
	v_addc_co_u32_e64 v6, s[2:3], v1, v6, s[2:3]
	v_cmp_le_i32_e64 s[2:3], v3, v0
	s_and_b64 s[4:5], s[2:3], vcc
	s_and_saveexec_b64 s[2:3], s[4:5]
	s_cbranch_execz .LBB412_10
; %bb.9:
	v_mul_f64 v[7:8], s[12:13], v[20:21]
	v_mul_f64 v[14:15], s[14:15], v[20:21]
	v_ashrrev_i32_e32 v1, 31, v0
	v_lshlrev_b64 v[18:19], 4, v[0:1]
	v_add_co_u32_e32 v18, vcc, v5, v18
	v_addc_co_u32_e32 v19, vcc, v6, v19, vcc
	v_fma_f64 v[7:8], s[14:15], v[16:17], v[7:8]
	v_fma_f64 v[14:15], s[12:13], v[16:17], -v[14:15]
	v_cmp_ne_u32_e32 vcc, v3, v0
	v_cndmask_b32_e32 v17, 0, v8, vcc
	v_cndmask_b32_e32 v16, 0, v7, vcc
	global_store_dwordx4 v[18:19], v[14:17], off
.LBB412_10:
	s_or_b64 exec, exec, s[2:3]
	v_cmp_le_i32_e32 vcc, v3, v2
	s_and_b64 s[0:1], vcc, s[0:1]
	s_and_saveexec_b64 s[2:3], s[0:1]
	s_cbranch_execz .LBB412_12
; %bb.11:
	v_mul_f64 v[7:8], s[12:13], v[12:13]
	v_mul_f64 v[12:13], s[14:15], v[12:13]
	v_ashrrev_i32_e32 v3, 31, v2
	v_lshlrev_b64 v[14:15], 4, v[2:3]
	v_add_co_u32_e32 v5, vcc, v5, v14
	v_addc_co_u32_e32 v6, vcc, v6, v15, vcc
	v_fma_f64 v[7:8], s[14:15], v[10:11], v[7:8]
	v_fma_f64 v[1:2], s[12:13], v[10:11], -v[12:13]
	v_cmp_ne_u32_e32 vcc, v4, v0
	v_cndmask_b32_e32 v4, 0, v8, vcc
	v_cndmask_b32_e32 v3, 0, v7, vcc
	global_store_dwordx4 v[5:6], v[1:4], off
.LBB412_12:
	s_endpgm
	.section	.rodata,"a",@progbits
	.p2align	6, 0x0
	.amdhsa_kernel _ZL37rocblas_syrkx_herkx_restricted_kernelIi19rocblas_complex_numIdELi16ELi32ELi8ELb1ELb1ELc67ELc76EKS1_S1_EviT_T0_PT8_S3_lS6_S3_lS4_PT9_S3_li
		.amdhsa_group_segment_fixed_size 8192
		.amdhsa_private_segment_fixed_size 0
		.amdhsa_kernarg_size 116
		.amdhsa_user_sgpr_count 6
		.amdhsa_user_sgpr_private_segment_buffer 1
		.amdhsa_user_sgpr_dispatch_ptr 0
		.amdhsa_user_sgpr_queue_ptr 0
		.amdhsa_user_sgpr_kernarg_segment_ptr 1
		.amdhsa_user_sgpr_dispatch_id 0
		.amdhsa_user_sgpr_flat_scratch_init 0
		.amdhsa_user_sgpr_private_segment_size 0
		.amdhsa_uses_dynamic_stack 0
		.amdhsa_system_sgpr_private_segment_wavefront_offset 0
		.amdhsa_system_sgpr_workgroup_id_x 1
		.amdhsa_system_sgpr_workgroup_id_y 1
		.amdhsa_system_sgpr_workgroup_id_z 1
		.amdhsa_system_sgpr_workgroup_info 0
		.amdhsa_system_vgpr_workitem_id 1
		.amdhsa_next_free_vgpr 52
		.amdhsa_next_free_sgpr 61
		.amdhsa_reserve_vcc 1
		.amdhsa_reserve_flat_scratch 0
		.amdhsa_float_round_mode_32 0
		.amdhsa_float_round_mode_16_64 0
		.amdhsa_float_denorm_mode_32 3
		.amdhsa_float_denorm_mode_16_64 3
		.amdhsa_dx10_clamp 1
		.amdhsa_ieee_mode 1
		.amdhsa_fp16_overflow 0
		.amdhsa_exception_fp_ieee_invalid_op 0
		.amdhsa_exception_fp_denorm_src 0
		.amdhsa_exception_fp_ieee_div_zero 0
		.amdhsa_exception_fp_ieee_overflow 0
		.amdhsa_exception_fp_ieee_underflow 0
		.amdhsa_exception_fp_ieee_inexact 0
		.amdhsa_exception_int_div_zero 0
	.end_amdhsa_kernel
	.section	.text._ZL37rocblas_syrkx_herkx_restricted_kernelIi19rocblas_complex_numIdELi16ELi32ELi8ELb1ELb1ELc67ELc76EKS1_S1_EviT_T0_PT8_S3_lS6_S3_lS4_PT9_S3_li,"axG",@progbits,_ZL37rocblas_syrkx_herkx_restricted_kernelIi19rocblas_complex_numIdELi16ELi32ELi8ELb1ELb1ELc67ELc76EKS1_S1_EviT_T0_PT8_S3_lS6_S3_lS4_PT9_S3_li,comdat
.Lfunc_end412:
	.size	_ZL37rocblas_syrkx_herkx_restricted_kernelIi19rocblas_complex_numIdELi16ELi32ELi8ELb1ELb1ELc67ELc76EKS1_S1_EviT_T0_PT8_S3_lS6_S3_lS4_PT9_S3_li, .Lfunc_end412-_ZL37rocblas_syrkx_herkx_restricted_kernelIi19rocblas_complex_numIdELi16ELi32ELi8ELb1ELb1ELc67ELc76EKS1_S1_EviT_T0_PT8_S3_lS6_S3_lS4_PT9_S3_li
                                        ; -- End function
	.set _ZL37rocblas_syrkx_herkx_restricted_kernelIi19rocblas_complex_numIdELi16ELi32ELi8ELb1ELb1ELc67ELc76EKS1_S1_EviT_T0_PT8_S3_lS6_S3_lS4_PT9_S3_li.num_vgpr, 52
	.set _ZL37rocblas_syrkx_herkx_restricted_kernelIi19rocblas_complex_numIdELi16ELi32ELi8ELb1ELb1ELc67ELc76EKS1_S1_EviT_T0_PT8_S3_lS6_S3_lS4_PT9_S3_li.num_agpr, 0
	.set _ZL37rocblas_syrkx_herkx_restricted_kernelIi19rocblas_complex_numIdELi16ELi32ELi8ELb1ELb1ELc67ELc76EKS1_S1_EviT_T0_PT8_S3_lS6_S3_lS4_PT9_S3_li.numbered_sgpr, 24
	.set _ZL37rocblas_syrkx_herkx_restricted_kernelIi19rocblas_complex_numIdELi16ELi32ELi8ELb1ELb1ELc67ELc76EKS1_S1_EviT_T0_PT8_S3_lS6_S3_lS4_PT9_S3_li.num_named_barrier, 0
	.set _ZL37rocblas_syrkx_herkx_restricted_kernelIi19rocblas_complex_numIdELi16ELi32ELi8ELb1ELb1ELc67ELc76EKS1_S1_EviT_T0_PT8_S3_lS6_S3_lS4_PT9_S3_li.private_seg_size, 0
	.set _ZL37rocblas_syrkx_herkx_restricted_kernelIi19rocblas_complex_numIdELi16ELi32ELi8ELb1ELb1ELc67ELc76EKS1_S1_EviT_T0_PT8_S3_lS6_S3_lS4_PT9_S3_li.uses_vcc, 1
	.set _ZL37rocblas_syrkx_herkx_restricted_kernelIi19rocblas_complex_numIdELi16ELi32ELi8ELb1ELb1ELc67ELc76EKS1_S1_EviT_T0_PT8_S3_lS6_S3_lS4_PT9_S3_li.uses_flat_scratch, 0
	.set _ZL37rocblas_syrkx_herkx_restricted_kernelIi19rocblas_complex_numIdELi16ELi32ELi8ELb1ELb1ELc67ELc76EKS1_S1_EviT_T0_PT8_S3_lS6_S3_lS4_PT9_S3_li.has_dyn_sized_stack, 0
	.set _ZL37rocblas_syrkx_herkx_restricted_kernelIi19rocblas_complex_numIdELi16ELi32ELi8ELb1ELb1ELc67ELc76EKS1_S1_EviT_T0_PT8_S3_lS6_S3_lS4_PT9_S3_li.has_recursion, 0
	.set _ZL37rocblas_syrkx_herkx_restricted_kernelIi19rocblas_complex_numIdELi16ELi32ELi8ELb1ELb1ELc67ELc76EKS1_S1_EviT_T0_PT8_S3_lS6_S3_lS4_PT9_S3_li.has_indirect_call, 0
	.section	.AMDGPU.csdata,"",@progbits
; Kernel info:
; codeLenInByte = 2980
; TotalNumSgprs: 28
; NumVgprs: 52
; ScratchSize: 0
; MemoryBound: 0
; FloatMode: 240
; IeeeMode: 1
; LDSByteSize: 8192 bytes/workgroup (compile time only)
; SGPRBlocks: 8
; VGPRBlocks: 12
; NumSGPRsForWavesPerEU: 65
; NumVGPRsForWavesPerEU: 52
; Occupancy: 4
; WaveLimiterHint : 0
; COMPUTE_PGM_RSRC2:SCRATCH_EN: 0
; COMPUTE_PGM_RSRC2:USER_SGPR: 6
; COMPUTE_PGM_RSRC2:TRAP_HANDLER: 0
; COMPUTE_PGM_RSRC2:TGID_X_EN: 1
; COMPUTE_PGM_RSRC2:TGID_Y_EN: 1
; COMPUTE_PGM_RSRC2:TGID_Z_EN: 1
; COMPUTE_PGM_RSRC2:TIDIG_COMP_CNT: 1
	.section	.text._ZL37rocblas_syrkx_herkx_restricted_kernelIi19rocblas_complex_numIdELi16ELi32ELi8ELb1ELb1ELc78ELc76EKS1_S1_EviT_T0_PT8_S3_lS6_S3_lS4_PT9_S3_li,"axG",@progbits,_ZL37rocblas_syrkx_herkx_restricted_kernelIi19rocblas_complex_numIdELi16ELi32ELi8ELb1ELb1ELc78ELc76EKS1_S1_EviT_T0_PT8_S3_lS6_S3_lS4_PT9_S3_li,comdat
	.globl	_ZL37rocblas_syrkx_herkx_restricted_kernelIi19rocblas_complex_numIdELi16ELi32ELi8ELb1ELb1ELc78ELc76EKS1_S1_EviT_T0_PT8_S3_lS6_S3_lS4_PT9_S3_li ; -- Begin function _ZL37rocblas_syrkx_herkx_restricted_kernelIi19rocblas_complex_numIdELi16ELi32ELi8ELb1ELb1ELc78ELc76EKS1_S1_EviT_T0_PT8_S3_lS6_S3_lS4_PT9_S3_li
	.p2align	8
	.type	_ZL37rocblas_syrkx_herkx_restricted_kernelIi19rocblas_complex_numIdELi16ELi32ELi8ELb1ELb1ELc78ELc76EKS1_S1_EviT_T0_PT8_S3_lS6_S3_lS4_PT9_S3_li,@function
_ZL37rocblas_syrkx_herkx_restricted_kernelIi19rocblas_complex_numIdELi16ELi32ELi8ELb1ELb1ELc78ELc76EKS1_S1_EviT_T0_PT8_S3_lS6_S3_lS4_PT9_S3_li: ; @_ZL37rocblas_syrkx_herkx_restricted_kernelIi19rocblas_complex_numIdELi16ELi32ELi8ELb1ELb1ELc78ELc76EKS1_S1_EviT_T0_PT8_S3_lS6_S3_lS4_PT9_S3_li
; %bb.0:
	s_load_dwordx2 s[10:11], s[4:5], 0x0
	s_load_dwordx4 s[12:15], s[4:5], 0x8
	s_load_dwordx2 s[16:17], s[4:5], 0x18
	s_lshl_b32 s6, s6, 5
	s_lshl_b32 s7, s7, 5
	s_waitcnt lgkmcnt(0)
	s_cmp_lt_i32 s11, 1
	s_mov_b32 s9, 0
	s_cbranch_scc1 .LBB413_3
; %bb.1:
	v_lshl_add_u32 v2, v1, 4, v0
	s_load_dword s18, s[4:5], 0x20
	s_load_dword s20, s[4:5], 0x38
	s_load_dwordx2 s[22:23], s[4:5], 0x40
	s_load_dwordx4 s[0:3], s[4:5], 0x28
	v_lshrrev_b32_e32 v6, 3, v2
	v_lshrrev_b32_e32 v7, 5, v2
	v_and_b32_e32 v9, 31, v2
	v_add_u32_e32 v2, s7, v6
	v_and_b32_e32 v8, 7, v0
	v_ashrrev_i32_e32 v3, 31, v2
	s_waitcnt lgkmcnt(0)
	v_mad_i64_i32 v[4:5], s[24:25], s20, v8, v[2:3]
	v_lshlrev_b32_e32 v2, 4, v9
	v_lshl_or_b32 v22, v7, 9, v2
	v_lshlrev_b32_e32 v2, 4, v8
	v_lshl_or_b32 v2, v6, 7, v2
	v_add_u32_e32 v23, 0x1000, v2
	v_mov_b32_e32 v2, 0x1000
	v_lshl_add_u32 v25, v1, 7, v2
	v_add_u32_e32 v2, s6, v9
	v_ashrrev_i32_e32 v3, 31, v2
	v_mad_i64_i32 v[2:3], s[24:25], s18, v7, v[2:3]
	s_mul_i32 s1, s1, s8
	s_mul_hi_u32 s26, s0, s8
	s_add_i32 s1, s26, s1
	s_mul_i32 s0, s0, s8
	s_ashr_i32 s19, s18, 31
	s_ashr_i32 s21, s20, 31
	s_lshl_b64 s[0:1], s[0:1], 4
	v_lshlrev_b64 v[2:3], 4, v[2:3]
	s_add_u32 s0, s16, s0
	s_addc_u32 s1, s17, s1
	s_mul_i32 s16, s23, s8
	s_mul_hi_u32 s17, s22, s8
	v_mov_b32_e32 v6, s1
	v_add_co_u32_e32 v2, vcc, s0, v2
	s_add_i32 s17, s17, s16
	s_mul_i32 s16, s22, s8
	v_addc_co_u32_e32 v3, vcc, v6, v3, vcc
	s_lshl_b64 s[0:1], s[18:19], 7
	s_lshl_b64 s[16:17], s[16:17], 4
	v_add_co_u32_e32 v2, vcc, 8, v2
	v_lshlrev_b64 v[4:5], 4, v[4:5]
	s_add_u32 s2, s2, s16
	v_addc_co_u32_e32 v3, vcc, 0, v3, vcc
	s_addc_u32 s3, s3, s17
	v_mov_b32_e32 v6, s3
	v_add_co_u32_e32 v4, vcc, s2, v4
	v_addc_co_u32_e32 v5, vcc, v6, v5, vcc
	v_add_co_u32_e32 v4, vcc, 8, v4
	s_lshl_b64 s[2:3], s[20:21], 7
	v_mov_b32_e32 v12, 0
	v_mov_b32_e32 v10, 0
	;; [unrolled: 1-line block ×8, first 2 shown]
	v_lshlrev_b32_e32 v24, 4, v0
	v_addc_co_u32_e32 v5, vcc, 0, v5, vcc
	v_mov_b32_e32 v13, 0
	v_mov_b32_e32 v26, s1
	;; [unrolled: 1-line block ×10, first 2 shown]
.LBB413_2:                              ; =>This Inner Loop Header: Depth=1
	global_load_dwordx4 v[28:31], v[2:3], off offset:-8
	v_add_co_u32_e32 v2, vcc, s0, v2
	v_addc_co_u32_e32 v3, vcc, v3, v26, vcc
	s_add_i32 s9, s9, 8
	s_cmp_ge_i32 s9, s11
	s_waitcnt vmcnt(0)
	ds_write_b128 v22, v[28:31]
	global_load_dwordx4 v[28:31], v[4:5], off offset:-8
	v_add_co_u32_e32 v4, vcc, s2, v4
	v_addc_co_u32_e32 v5, vcc, v5, v27, vcc
	s_waitcnt vmcnt(0)
	v_xor_b32_e32 v31, 0x80000000, v31
	ds_write_b128 v23, v[28:31]
	s_waitcnt lgkmcnt(0)
	s_barrier
	ds_read_b128 v[28:31], v25
	ds_read_b128 v[32:35], v25 offset:16
	ds_read_b128 v[36:39], v25 offset:32
	;; [unrolled: 1-line block ×3, first 2 shown]
	ds_read_b128 v[44:47], v24
	s_waitcnt lgkmcnt(0)
	v_mul_f64 v[48:49], v[30:31], v[46:47]
	v_mul_f64 v[50:51], v[28:29], v[46:47]
	v_fma_f64 v[48:49], v[28:29], v[44:45], -v[48:49]
	v_fma_f64 v[50:51], v[30:31], v[44:45], v[50:51]
	v_add_f64 v[48:49], v[18:19], v[48:49]
	v_add_f64 v[50:51], v[50:51], v[20:21]
	ds_read_b128 v[18:21], v24 offset:256
	s_waitcnt lgkmcnt(0)
	v_mul_f64 v[52:53], v[30:31], v[20:21]
	v_fma_f64 v[52:53], v[28:29], v[18:19], -v[52:53]
	v_mul_f64 v[28:29], v[28:29], v[20:21]
	v_fma_f64 v[28:29], v[30:31], v[18:19], v[28:29]
	v_add_f64 v[30:31], v[6:7], v[52:53]
	v_add_f64 v[28:29], v[28:29], v[8:9]
	ds_read_b128 v[6:9], v25 offset:2048
	s_waitcnt lgkmcnt(0)
	v_mul_f64 v[52:53], v[8:9], v[46:47]
	v_mul_f64 v[46:47], v[6:7], v[46:47]
	v_fma_f64 v[52:53], v[6:7], v[44:45], -v[52:53]
	v_fma_f64 v[44:45], v[8:9], v[44:45], v[46:47]
	v_add_f64 v[46:47], v[14:15], v[52:53]
	v_mul_f64 v[14:15], v[8:9], v[20:21]
	v_add_f64 v[44:45], v[44:45], v[16:17]
	v_fma_f64 v[14:15], v[6:7], v[18:19], -v[14:15]
	v_mul_f64 v[6:7], v[6:7], v[20:21]
	v_fma_f64 v[6:7], v[8:9], v[18:19], v[6:7]
	v_add_f64 v[18:19], v[10:11], v[14:15]
	v_add_f64 v[20:21], v[6:7], v[12:13]
	ds_read_b128 v[6:9], v24 offset:512
	s_waitcnt lgkmcnt(0)
	v_mul_f64 v[10:11], v[34:35], v[8:9]
	v_mul_f64 v[12:13], v[32:33], v[8:9]
	v_fma_f64 v[10:11], v[32:33], v[6:7], -v[10:11]
	v_fma_f64 v[12:13], v[34:35], v[6:7], v[12:13]
	v_add_f64 v[48:49], v[48:49], v[10:11]
	v_add_f64 v[50:51], v[12:13], v[50:51]
	ds_read_b128 v[10:13], v24 offset:768
	s_waitcnt lgkmcnt(0)
	v_mul_f64 v[14:15], v[34:35], v[12:13]
	v_mul_f64 v[16:17], v[32:33], v[12:13]
	v_fma_f64 v[14:15], v[32:33], v[10:11], -v[14:15]
	;; [unrolled: 8-line block ×3, first 2 shown]
	v_fma_f64 v[6:7], v[16:17], v[6:7], v[8:9]
	v_mul_f64 v[8:9], v[14:15], v[12:13]
	v_add_f64 v[32:33], v[46:47], v[32:33]
	v_add_f64 v[34:35], v[6:7], v[44:45]
	v_mul_f64 v[6:7], v[16:17], v[12:13]
	v_fma_f64 v[8:9], v[16:17], v[10:11], v[8:9]
	v_fma_f64 v[6:7], v[14:15], v[10:11], -v[6:7]
	v_add_f64 v[20:21], v[8:9], v[20:21]
	v_add_f64 v[18:19], v[18:19], v[6:7]
	ds_read_b128 v[6:9], v24 offset:1024
	s_waitcnt lgkmcnt(0)
	v_mul_f64 v[10:11], v[38:39], v[8:9]
	v_mul_f64 v[12:13], v[36:37], v[8:9]
	v_fma_f64 v[10:11], v[36:37], v[6:7], -v[10:11]
	v_fma_f64 v[12:13], v[38:39], v[6:7], v[12:13]
	v_add_f64 v[44:45], v[48:49], v[10:11]
	v_add_f64 v[46:47], v[12:13], v[50:51]
	ds_read_b128 v[10:13], v24 offset:1280
	s_waitcnt lgkmcnt(0)
	v_mul_f64 v[14:15], v[38:39], v[12:13]
	v_mul_f64 v[16:17], v[36:37], v[12:13]
	v_fma_f64 v[14:15], v[36:37], v[10:11], -v[14:15]
	v_fma_f64 v[16:17], v[38:39], v[10:11], v[16:17]
	;; [unrolled: 8-line block ×3, first 2 shown]
	v_mul_f64 v[8:9], v[14:15], v[12:13]
	v_add_f64 v[32:33], v[32:33], v[36:37]
	v_add_f64 v[34:35], v[6:7], v[34:35]
	v_mul_f64 v[6:7], v[16:17], v[12:13]
	v_fma_f64 v[8:9], v[16:17], v[10:11], v[8:9]
	v_fma_f64 v[6:7], v[14:15], v[10:11], -v[6:7]
	v_add_f64 v[20:21], v[8:9], v[20:21]
	v_add_f64 v[18:19], v[18:19], v[6:7]
	ds_read_b128 v[6:9], v24 offset:1536
	s_waitcnt lgkmcnt(0)
	v_mul_f64 v[10:11], v[42:43], v[8:9]
	v_mul_f64 v[12:13], v[40:41], v[8:9]
	v_fma_f64 v[10:11], v[40:41], v[6:7], -v[10:11]
	v_fma_f64 v[12:13], v[42:43], v[6:7], v[12:13]
	v_add_f64 v[36:37], v[44:45], v[10:11]
	v_add_f64 v[38:39], v[12:13], v[46:47]
	ds_read_b128 v[10:13], v24 offset:1792
	s_waitcnt lgkmcnt(0)
	v_mul_f64 v[14:15], v[42:43], v[12:13]
	v_mul_f64 v[16:17], v[40:41], v[12:13]
	v_fma_f64 v[14:15], v[40:41], v[10:11], -v[14:15]
	v_fma_f64 v[16:17], v[42:43], v[10:11], v[16:17]
	;; [unrolled: 8-line block ×3, first 2 shown]
	v_mul_f64 v[8:9], v[14:15], v[12:13]
	v_add_f64 v[32:33], v[32:33], v[40:41]
	v_add_f64 v[34:35], v[6:7], v[34:35]
	v_mul_f64 v[6:7], v[16:17], v[12:13]
	v_fma_f64 v[8:9], v[16:17], v[10:11], v[8:9]
	v_fma_f64 v[6:7], v[14:15], v[10:11], -v[6:7]
	v_add_f64 v[20:21], v[8:9], v[20:21]
	v_add_f64 v[18:19], v[18:19], v[6:7]
	ds_read_b128 v[6:9], v25 offset:64
	ds_read_b128 v[10:13], v24 offset:2048
	s_waitcnt lgkmcnt(0)
	v_mul_f64 v[14:15], v[8:9], v[12:13]
	v_mul_f64 v[16:17], v[6:7], v[12:13]
	v_fma_f64 v[14:15], v[6:7], v[10:11], -v[14:15]
	v_fma_f64 v[16:17], v[8:9], v[10:11], v[16:17]
	v_add_f64 v[36:37], v[36:37], v[14:15]
	v_add_f64 v[38:39], v[16:17], v[38:39]
	ds_read_b128 v[14:17], v24 offset:2304
	s_waitcnt lgkmcnt(0)
	v_mul_f64 v[40:41], v[8:9], v[16:17]
	v_fma_f64 v[40:41], v[6:7], v[14:15], -v[40:41]
	v_mul_f64 v[6:7], v[6:7], v[16:17]
	v_add_f64 v[30:31], v[30:31], v[40:41]
	v_fma_f64 v[6:7], v[8:9], v[14:15], v[6:7]
	v_add_f64 v[28:29], v[6:7], v[28:29]
	ds_read_b128 v[6:9], v25 offset:2112
	s_waitcnt lgkmcnt(0)
	v_mul_f64 v[40:41], v[8:9], v[12:13]
	v_mul_f64 v[12:13], v[6:7], v[12:13]
	v_fma_f64 v[40:41], v[6:7], v[10:11], -v[40:41]
	v_fma_f64 v[10:11], v[8:9], v[10:11], v[12:13]
	v_add_f64 v[32:33], v[32:33], v[40:41]
	v_add_f64 v[34:35], v[10:11], v[34:35]
	v_mul_f64 v[10:11], v[8:9], v[16:17]
	v_fma_f64 v[10:11], v[6:7], v[14:15], -v[10:11]
	v_mul_f64 v[6:7], v[6:7], v[16:17]
	v_add_f64 v[18:19], v[18:19], v[10:11]
	v_fma_f64 v[6:7], v[8:9], v[14:15], v[6:7]
	v_add_f64 v[20:21], v[6:7], v[20:21]
	ds_read_b128 v[6:9], v25 offset:80
	ds_read_b128 v[10:13], v24 offset:2560
	s_waitcnt lgkmcnt(0)
	v_mul_f64 v[14:15], v[8:9], v[12:13]
	v_mul_f64 v[16:17], v[6:7], v[12:13]
	v_fma_f64 v[14:15], v[6:7], v[10:11], -v[14:15]
	v_fma_f64 v[16:17], v[8:9], v[10:11], v[16:17]
	v_add_f64 v[36:37], v[36:37], v[14:15]
	v_add_f64 v[38:39], v[16:17], v[38:39]
	ds_read_b128 v[14:17], v24 offset:2816
	s_waitcnt lgkmcnt(0)
	v_mul_f64 v[40:41], v[8:9], v[16:17]
	v_fma_f64 v[40:41], v[6:7], v[14:15], -v[40:41]
	v_mul_f64 v[6:7], v[6:7], v[16:17]
	v_add_f64 v[30:31], v[30:31], v[40:41]
	v_fma_f64 v[6:7], v[8:9], v[14:15], v[6:7]
	v_add_f64 v[28:29], v[6:7], v[28:29]
	ds_read_b128 v[6:9], v25 offset:2128
	s_waitcnt lgkmcnt(0)
	v_mul_f64 v[40:41], v[8:9], v[12:13]
	v_mul_f64 v[12:13], v[6:7], v[12:13]
	v_fma_f64 v[40:41], v[6:7], v[10:11], -v[40:41]
	v_fma_f64 v[10:11], v[8:9], v[10:11], v[12:13]
	v_add_f64 v[32:33], v[32:33], v[40:41]
	v_add_f64 v[34:35], v[10:11], v[34:35]
	v_mul_f64 v[10:11], v[8:9], v[16:17]
	v_fma_f64 v[10:11], v[6:7], v[14:15], -v[10:11]
	v_mul_f64 v[6:7], v[6:7], v[16:17]
	v_add_f64 v[18:19], v[18:19], v[10:11]
	v_fma_f64 v[6:7], v[8:9], v[14:15], v[6:7]
	;; [unrolled: 31-line block ×3, first 2 shown]
	v_add_f64 v[50:51], v[6:7], v[20:21]
	ds_read_b128 v[6:9], v25 offset:112
	ds_read_b128 v[10:13], v24 offset:3584
	;; [unrolled: 1-line block ×4, first 2 shown]
	s_waitcnt lgkmcnt(0)
	s_barrier
	v_mul_f64 v[14:15], v[8:9], v[12:13]
	v_mul_f64 v[16:17], v[6:7], v[12:13]
	v_fma_f64 v[14:15], v[6:7], v[10:11], -v[14:15]
	v_fma_f64 v[16:17], v[8:9], v[10:11], v[16:17]
	v_add_f64 v[18:19], v[36:37], v[14:15]
	v_mul_f64 v[14:15], v[8:9], v[30:31]
	v_add_f64 v[20:21], v[16:17], v[38:39]
	v_fma_f64 v[14:15], v[6:7], v[28:29], -v[14:15]
	v_mul_f64 v[6:7], v[6:7], v[30:31]
	v_fma_f64 v[8:9], v[8:9], v[28:29], v[6:7]
	v_add_f64 v[6:7], v[40:41], v[14:15]
	v_mul_f64 v[14:15], v[34:35], v[12:13]
	v_mul_f64 v[12:13], v[32:33], v[12:13]
	v_add_f64 v[8:9], v[8:9], v[42:43]
	v_fma_f64 v[14:15], v[32:33], v[10:11], -v[14:15]
	v_fma_f64 v[10:11], v[34:35], v[10:11], v[12:13]
	v_mul_f64 v[12:13], v[32:33], v[30:31]
	v_add_f64 v[14:15], v[44:45], v[14:15]
	v_add_f64 v[16:17], v[10:11], v[46:47]
	v_mul_f64 v[10:11], v[34:35], v[30:31]
	v_fma_f64 v[12:13], v[34:35], v[28:29], v[12:13]
	v_fma_f64 v[10:11], v[32:33], v[28:29], -v[10:11]
	v_add_f64 v[12:13], v[12:13], v[50:51]
	v_add_f64 v[10:11], v[48:49], v[10:11]
	s_cbranch_scc0 .LBB413_2
	s_branch .LBB413_4
.LBB413_3:
	v_mov_b32_e32 v18, 0
	v_mov_b32_e32 v20, 0
	;; [unrolled: 1-line block ×16, first 2 shown]
.LBB413_4:
	s_load_dwordx2 s[0:1], s[4:5], 0x68
	s_load_dwordx2 s[2:3], s[4:5], 0x58
	s_load_dword s9, s[4:5], 0x60
	v_add_u32_e32 v4, s7, v1
	v_add_u32_e32 v0, s6, v0
	s_waitcnt lgkmcnt(0)
	s_mul_i32 s1, s1, s8
	s_mul_hi_u32 s4, s0, s8
	s_add_i32 s1, s4, s1
	v_mad_i64_i32 v[1:2], s[4:5], v4, s9, 0
	s_mul_i32 s0, s0, s8
	s_lshl_b64 s[0:1], s[0:1], 4
	s_add_u32 s7, s2, s0
	v_lshlrev_b64 v[1:2], 4, v[1:2]
	s_addc_u32 s8, s3, s1
	v_mov_b32_e32 v3, s8
	v_add_co_u32_e32 v5, vcc, s7, v1
	v_addc_co_u32_e32 v22, vcc, v3, v2, vcc
	v_cmp_le_i32_e64 s[0:1], v4, v0
	v_cmp_gt_i32_e32 vcc, s10, v0
	s_and_b64 s[0:1], s[0:1], vcc
	s_and_saveexec_b64 s[2:3], s[0:1]
	s_cbranch_execz .LBB413_6
; %bb.5:
	v_mul_f64 v[2:3], s[12:13], v[20:21]
	v_mul_f64 v[20:21], s[14:15], v[20:21]
	v_ashrrev_i32_e32 v1, 31, v0
	v_lshlrev_b64 v[23:24], 4, v[0:1]
	v_add_co_u32_e64 v23, s[0:1], v5, v23
	v_addc_co_u32_e64 v24, s[0:1], v22, v24, s[0:1]
	v_fma_f64 v[2:3], s[14:15], v[18:19], v[2:3]
	v_fma_f64 v[18:19], s[12:13], v[18:19], -v[20:21]
	v_cmp_ne_u32_e64 s[0:1], v4, v0
	v_cndmask_b32_e64 v21, 0, v3, s[0:1]
	v_cndmask_b32_e64 v20, 0, v2, s[0:1]
	global_store_dwordx4 v[23:24], v[18:21], off
.LBB413_6:
	s_or_b64 exec, exec, s[2:3]
	v_add_u32_e32 v2, 16, v0
	v_cmp_le_i32_e64 s[2:3], v4, v2
	v_cmp_gt_i32_e64 s[0:1], s10, v2
	s_and_b64 s[2:3], s[2:3], s[0:1]
	s_and_saveexec_b64 s[4:5], s[2:3]
	s_cbranch_execz .LBB413_8
; %bb.7:
	v_mul_f64 v[18:19], s[12:13], v[8:9]
	v_mul_f64 v[8:9], s[14:15], v[8:9]
	v_ashrrev_i32_e32 v3, 31, v2
	v_lshlrev_b64 v[20:21], 4, v[2:3]
	v_add_co_u32_e64 v20, s[2:3], v5, v20
	v_addc_co_u32_e64 v21, s[2:3], v22, v21, s[2:3]
	v_fma_f64 v[18:19], s[14:15], v[6:7], v[18:19]
	v_fma_f64 v[6:7], s[12:13], v[6:7], -v[8:9]
	v_cmp_ne_u32_e64 s[2:3], v4, v2
	v_cndmask_b32_e64 v9, 0, v19, s[2:3]
	v_cndmask_b32_e64 v8, 0, v18, s[2:3]
	global_store_dwordx4 v[20:21], v[6:9], off
.LBB413_8:
	s_or_b64 exec, exec, s[4:5]
	v_add_u32_e32 v3, 16, v4
	v_mad_i64_i32 v[5:6], s[2:3], v3, s9, 0
	v_mov_b32_e32 v1, s8
	v_lshlrev_b64 v[5:6], 4, v[5:6]
	v_add_co_u32_e64 v5, s[2:3], s7, v5
	v_addc_co_u32_e64 v6, s[2:3], v1, v6, s[2:3]
	v_cmp_le_i32_e64 s[2:3], v3, v0
	s_and_b64 s[4:5], s[2:3], vcc
	s_and_saveexec_b64 s[2:3], s[4:5]
	s_cbranch_execz .LBB413_10
; %bb.9:
	v_mul_f64 v[7:8], s[12:13], v[16:17]
	v_mul_f64 v[16:17], s[14:15], v[16:17]
	v_ashrrev_i32_e32 v1, 31, v0
	v_lshlrev_b64 v[18:19], 4, v[0:1]
	v_add_co_u32_e32 v18, vcc, v5, v18
	v_addc_co_u32_e32 v19, vcc, v6, v19, vcc
	v_fma_f64 v[7:8], s[14:15], v[14:15], v[7:8]
	v_fma_f64 v[14:15], s[12:13], v[14:15], -v[16:17]
	v_cmp_ne_u32_e32 vcc, v3, v0
	v_cndmask_b32_e32 v17, 0, v8, vcc
	v_cndmask_b32_e32 v16, 0, v7, vcc
	global_store_dwordx4 v[18:19], v[14:17], off
.LBB413_10:
	s_or_b64 exec, exec, s[2:3]
	v_cmp_le_i32_e32 vcc, v3, v2
	s_and_b64 s[0:1], vcc, s[0:1]
	s_and_saveexec_b64 s[2:3], s[0:1]
	s_cbranch_execz .LBB413_12
; %bb.11:
	v_mul_f64 v[7:8], s[12:13], v[12:13]
	v_mul_f64 v[12:13], s[14:15], v[12:13]
	v_ashrrev_i32_e32 v3, 31, v2
	v_lshlrev_b64 v[14:15], 4, v[2:3]
	v_add_co_u32_e32 v5, vcc, v5, v14
	v_addc_co_u32_e32 v6, vcc, v6, v15, vcc
	v_fma_f64 v[7:8], s[14:15], v[10:11], v[7:8]
	v_fma_f64 v[1:2], s[12:13], v[10:11], -v[12:13]
	v_cmp_ne_u32_e32 vcc, v4, v0
	v_cndmask_b32_e32 v4, 0, v8, vcc
	v_cndmask_b32_e32 v3, 0, v7, vcc
	global_store_dwordx4 v[5:6], v[1:4], off
.LBB413_12:
	s_endpgm
	.section	.rodata,"a",@progbits
	.p2align	6, 0x0
	.amdhsa_kernel _ZL37rocblas_syrkx_herkx_restricted_kernelIi19rocblas_complex_numIdELi16ELi32ELi8ELb1ELb1ELc78ELc76EKS1_S1_EviT_T0_PT8_S3_lS6_S3_lS4_PT9_S3_li
		.amdhsa_group_segment_fixed_size 8192
		.amdhsa_private_segment_fixed_size 0
		.amdhsa_kernarg_size 116
		.amdhsa_user_sgpr_count 6
		.amdhsa_user_sgpr_private_segment_buffer 1
		.amdhsa_user_sgpr_dispatch_ptr 0
		.amdhsa_user_sgpr_queue_ptr 0
		.amdhsa_user_sgpr_kernarg_segment_ptr 1
		.amdhsa_user_sgpr_dispatch_id 0
		.amdhsa_user_sgpr_flat_scratch_init 0
		.amdhsa_user_sgpr_private_segment_size 0
		.amdhsa_uses_dynamic_stack 0
		.amdhsa_system_sgpr_private_segment_wavefront_offset 0
		.amdhsa_system_sgpr_workgroup_id_x 1
		.amdhsa_system_sgpr_workgroup_id_y 1
		.amdhsa_system_sgpr_workgroup_id_z 1
		.amdhsa_system_sgpr_workgroup_info 0
		.amdhsa_system_vgpr_workitem_id 1
		.amdhsa_next_free_vgpr 54
		.amdhsa_next_free_sgpr 61
		.amdhsa_reserve_vcc 1
		.amdhsa_reserve_flat_scratch 0
		.amdhsa_float_round_mode_32 0
		.amdhsa_float_round_mode_16_64 0
		.amdhsa_float_denorm_mode_32 3
		.amdhsa_float_denorm_mode_16_64 3
		.amdhsa_dx10_clamp 1
		.amdhsa_ieee_mode 1
		.amdhsa_fp16_overflow 0
		.amdhsa_exception_fp_ieee_invalid_op 0
		.amdhsa_exception_fp_denorm_src 0
		.amdhsa_exception_fp_ieee_div_zero 0
		.amdhsa_exception_fp_ieee_overflow 0
		.amdhsa_exception_fp_ieee_underflow 0
		.amdhsa_exception_fp_ieee_inexact 0
		.amdhsa_exception_int_div_zero 0
	.end_amdhsa_kernel
	.section	.text._ZL37rocblas_syrkx_herkx_restricted_kernelIi19rocblas_complex_numIdELi16ELi32ELi8ELb1ELb1ELc78ELc76EKS1_S1_EviT_T0_PT8_S3_lS6_S3_lS4_PT9_S3_li,"axG",@progbits,_ZL37rocblas_syrkx_herkx_restricted_kernelIi19rocblas_complex_numIdELi16ELi32ELi8ELb1ELb1ELc78ELc76EKS1_S1_EviT_T0_PT8_S3_lS6_S3_lS4_PT9_S3_li,comdat
.Lfunc_end413:
	.size	_ZL37rocblas_syrkx_herkx_restricted_kernelIi19rocblas_complex_numIdELi16ELi32ELi8ELb1ELb1ELc78ELc76EKS1_S1_EviT_T0_PT8_S3_lS6_S3_lS4_PT9_S3_li, .Lfunc_end413-_ZL37rocblas_syrkx_herkx_restricted_kernelIi19rocblas_complex_numIdELi16ELi32ELi8ELb1ELb1ELc78ELc76EKS1_S1_EviT_T0_PT8_S3_lS6_S3_lS4_PT9_S3_li
                                        ; -- End function
	.set _ZL37rocblas_syrkx_herkx_restricted_kernelIi19rocblas_complex_numIdELi16ELi32ELi8ELb1ELb1ELc78ELc76EKS1_S1_EviT_T0_PT8_S3_lS6_S3_lS4_PT9_S3_li.num_vgpr, 54
	.set _ZL37rocblas_syrkx_herkx_restricted_kernelIi19rocblas_complex_numIdELi16ELi32ELi8ELb1ELb1ELc78ELc76EKS1_S1_EviT_T0_PT8_S3_lS6_S3_lS4_PT9_S3_li.num_agpr, 0
	.set _ZL37rocblas_syrkx_herkx_restricted_kernelIi19rocblas_complex_numIdELi16ELi32ELi8ELb1ELb1ELc78ELc76EKS1_S1_EviT_T0_PT8_S3_lS6_S3_lS4_PT9_S3_li.numbered_sgpr, 27
	.set _ZL37rocblas_syrkx_herkx_restricted_kernelIi19rocblas_complex_numIdELi16ELi32ELi8ELb1ELb1ELc78ELc76EKS1_S1_EviT_T0_PT8_S3_lS6_S3_lS4_PT9_S3_li.num_named_barrier, 0
	.set _ZL37rocblas_syrkx_herkx_restricted_kernelIi19rocblas_complex_numIdELi16ELi32ELi8ELb1ELb1ELc78ELc76EKS1_S1_EviT_T0_PT8_S3_lS6_S3_lS4_PT9_S3_li.private_seg_size, 0
	.set _ZL37rocblas_syrkx_herkx_restricted_kernelIi19rocblas_complex_numIdELi16ELi32ELi8ELb1ELb1ELc78ELc76EKS1_S1_EviT_T0_PT8_S3_lS6_S3_lS4_PT9_S3_li.uses_vcc, 1
	.set _ZL37rocblas_syrkx_herkx_restricted_kernelIi19rocblas_complex_numIdELi16ELi32ELi8ELb1ELb1ELc78ELc76EKS1_S1_EviT_T0_PT8_S3_lS6_S3_lS4_PT9_S3_li.uses_flat_scratch, 0
	.set _ZL37rocblas_syrkx_herkx_restricted_kernelIi19rocblas_complex_numIdELi16ELi32ELi8ELb1ELb1ELc78ELc76EKS1_S1_EviT_T0_PT8_S3_lS6_S3_lS4_PT9_S3_li.has_dyn_sized_stack, 0
	.set _ZL37rocblas_syrkx_herkx_restricted_kernelIi19rocblas_complex_numIdELi16ELi32ELi8ELb1ELb1ELc78ELc76EKS1_S1_EviT_T0_PT8_S3_lS6_S3_lS4_PT9_S3_li.has_recursion, 0
	.set _ZL37rocblas_syrkx_herkx_restricted_kernelIi19rocblas_complex_numIdELi16ELi32ELi8ELb1ELb1ELc78ELc76EKS1_S1_EviT_T0_PT8_S3_lS6_S3_lS4_PT9_S3_li.has_indirect_call, 0
	.section	.AMDGPU.csdata,"",@progbits
; Kernel info:
; codeLenInByte = 2996
; TotalNumSgprs: 31
; NumVgprs: 54
; ScratchSize: 0
; MemoryBound: 0
; FloatMode: 240
; IeeeMode: 1
; LDSByteSize: 8192 bytes/workgroup (compile time only)
; SGPRBlocks: 8
; VGPRBlocks: 13
; NumSGPRsForWavesPerEU: 65
; NumVGPRsForWavesPerEU: 54
; Occupancy: 4
; WaveLimiterHint : 0
; COMPUTE_PGM_RSRC2:SCRATCH_EN: 0
; COMPUTE_PGM_RSRC2:USER_SGPR: 6
; COMPUTE_PGM_RSRC2:TRAP_HANDLER: 0
; COMPUTE_PGM_RSRC2:TGID_X_EN: 1
; COMPUTE_PGM_RSRC2:TGID_Y_EN: 1
; COMPUTE_PGM_RSRC2:TGID_Z_EN: 1
; COMPUTE_PGM_RSRC2:TIDIG_COMP_CNT: 1
	.section	.text._ZL37rocblas_syrkx_herkx_restricted_kernelIi19rocblas_complex_numIdELi16ELi32ELi8ELb1ELb1ELc84ELc85EKS1_S1_EviT_T0_PT8_S3_lS6_S3_lS4_PT9_S3_li,"axG",@progbits,_ZL37rocblas_syrkx_herkx_restricted_kernelIi19rocblas_complex_numIdELi16ELi32ELi8ELb1ELb1ELc84ELc85EKS1_S1_EviT_T0_PT8_S3_lS6_S3_lS4_PT9_S3_li,comdat
	.globl	_ZL37rocblas_syrkx_herkx_restricted_kernelIi19rocblas_complex_numIdELi16ELi32ELi8ELb1ELb1ELc84ELc85EKS1_S1_EviT_T0_PT8_S3_lS6_S3_lS4_PT9_S3_li ; -- Begin function _ZL37rocblas_syrkx_herkx_restricted_kernelIi19rocblas_complex_numIdELi16ELi32ELi8ELb1ELb1ELc84ELc85EKS1_S1_EviT_T0_PT8_S3_lS6_S3_lS4_PT9_S3_li
	.p2align	8
	.type	_ZL37rocblas_syrkx_herkx_restricted_kernelIi19rocblas_complex_numIdELi16ELi32ELi8ELb1ELb1ELc84ELc85EKS1_S1_EviT_T0_PT8_S3_lS6_S3_lS4_PT9_S3_li,@function
_ZL37rocblas_syrkx_herkx_restricted_kernelIi19rocblas_complex_numIdELi16ELi32ELi8ELb1ELb1ELc84ELc85EKS1_S1_EviT_T0_PT8_S3_lS6_S3_lS4_PT9_S3_li: ; @_ZL37rocblas_syrkx_herkx_restricted_kernelIi19rocblas_complex_numIdELi16ELi32ELi8ELb1ELb1ELc84ELc85EKS1_S1_EviT_T0_PT8_S3_lS6_S3_lS4_PT9_S3_li
; %bb.0:
	s_load_dwordx2 s[10:11], s[4:5], 0x0
	s_load_dwordx4 s[12:15], s[4:5], 0x8
	s_load_dwordx2 s[16:17], s[4:5], 0x18
	s_lshl_b32 s6, s6, 5
	s_lshl_b32 s7, s7, 5
	s_waitcnt lgkmcnt(0)
	s_cmp_lt_i32 s11, 1
	s_mov_b32 s9, 0
	s_cbranch_scc1 .LBB414_3
; %bb.1:
	s_load_dword s22, s[4:5], 0x20
	s_load_dwordx4 s[0:3], s[4:5], 0x28
	s_load_dword s20, s[4:5], 0x38
	s_load_dwordx2 s[18:19], s[4:5], 0x40
	v_lshl_add_u32 v3, v1, 4, v0
	v_lshrrev_b32_e32 v8, 3, v3
	v_lshrrev_b32_e32 v2, 5, v3
	v_and_b32_e32 v4, 7, v0
	v_and_b32_e32 v9, 31, v3
	v_add_u32_e32 v3, s7, v8
	v_mov_b32_e32 v5, 0
	s_waitcnt lgkmcnt(0)
	v_mad_i64_i32 v[6:7], s[20:21], s20, v3, v[4:5]
	v_lshlrev_b32_e32 v4, 4, v4
	v_lshl_or_b32 v4, v8, 7, v4
	v_add_u32_e32 v23, 0x1000, v4
	v_mov_b32_e32 v4, 0x1000
	v_mov_b32_e32 v3, v5
	v_lshlrev_b32_e32 v5, 4, v9
	v_lshl_add_u32 v25, v1, 7, v4
	v_add_u32_e32 v4, s6, v9
	v_lshl_or_b32 v22, v2, 9, v5
	v_mad_i64_i32 v[2:3], s[20:21], s22, v4, v[2:3]
	s_mul_i32 s1, s1, s8
	s_mul_hi_u32 s23, s0, s8
	s_add_i32 s1, s23, s1
	s_mul_i32 s0, s0, s8
	s_lshl_b64 s[0:1], s[0:1], 4
	v_lshlrev_b64 v[2:3], 4, v[2:3]
	s_add_u32 s0, s16, s0
	s_addc_u32 s1, s17, s1
	v_mov_b32_e32 v4, s1
	v_add_co_u32_e32 v2, vcc, s0, v2
	s_mul_i32 s0, s19, s8
	s_mul_hi_u32 s1, s18, s8
	s_add_i32 s1, s1, s0
	s_mul_i32 s0, s18, s8
	v_addc_co_u32_e32 v3, vcc, v4, v3, vcc
	s_lshl_b64 s[0:1], s[0:1], 4
	v_add_co_u32_e32 v2, vcc, 8, v2
	v_lshlrev_b64 v[4:5], 4, v[6:7]
	s_add_u32 s0, s2, s0
	v_addc_co_u32_e32 v3, vcc, 0, v3, vcc
	s_addc_u32 s1, s3, s1
	v_mov_b32_e32 v6, s1
	v_add_co_u32_e32 v4, vcc, s0, v4
	v_addc_co_u32_e32 v5, vcc, v6, v5, vcc
	v_mov_b32_e32 v12, 0
	v_mov_b32_e32 v10, 0
	;; [unrolled: 1-line block ×8, first 2 shown]
	v_add_co_u32_e32 v4, vcc, 8, v4
	v_lshlrev_b32_e32 v24, 4, v0
	v_mov_b32_e32 v13, 0
	v_mov_b32_e32 v11, 0
	;; [unrolled: 1-line block ×8, first 2 shown]
	v_addc_co_u32_e32 v5, vcc, 0, v5, vcc
.LBB414_2:                              ; =>This Inner Loop Header: Depth=1
	global_load_dwordx4 v[26:29], v[2:3], off offset:-8
	v_add_co_u32_e32 v2, vcc, 0x80, v2
	v_addc_co_u32_e32 v3, vcc, 0, v3, vcc
	s_add_i32 s9, s9, 8
	s_cmp_ge_i32 s9, s11
	s_waitcnt vmcnt(0)
	ds_write_b128 v22, v[26:29]
	global_load_dwordx4 v[26:29], v[4:5], off offset:-8
	v_add_co_u32_e32 v4, vcc, 0x80, v4
	v_addc_co_u32_e32 v5, vcc, 0, v5, vcc
	s_waitcnt vmcnt(0)
	ds_write_b128 v23, v[26:29]
	s_waitcnt lgkmcnt(0)
	s_barrier
	ds_read_b128 v[26:29], v25
	ds_read_b128 v[30:33], v25 offset:16
	ds_read_b128 v[34:37], v25 offset:32
	;; [unrolled: 1-line block ×3, first 2 shown]
	ds_read_b128 v[42:45], v24
	s_waitcnt lgkmcnt(0)
	v_mul_f64 v[46:47], v[28:29], v[44:45]
	v_mul_f64 v[48:49], v[26:27], v[44:45]
	v_fma_f64 v[46:47], v[26:27], v[42:43], -v[46:47]
	v_fma_f64 v[48:49], v[28:29], v[42:43], v[48:49]
	v_add_f64 v[14:15], v[14:15], v[46:47]
	v_add_f64 v[18:19], v[48:49], v[18:19]
	ds_read_b128 v[46:49], v24 offset:256
	s_waitcnt lgkmcnt(0)
	v_mul_f64 v[50:51], v[28:29], v[48:49]
	v_fma_f64 v[50:51], v[26:27], v[46:47], -v[50:51]
	v_mul_f64 v[26:27], v[26:27], v[48:49]
	v_fma_f64 v[26:27], v[28:29], v[46:47], v[26:27]
	v_add_f64 v[28:29], v[6:7], v[50:51]
	v_add_f64 v[26:27], v[26:27], v[8:9]
	ds_read_b128 v[6:9], v25 offset:2048
	s_waitcnt lgkmcnt(0)
	v_mul_f64 v[50:51], v[8:9], v[44:45]
	v_mul_f64 v[44:45], v[6:7], v[44:45]
	v_fma_f64 v[50:51], v[6:7], v[42:43], -v[50:51]
	v_fma_f64 v[42:43], v[8:9], v[42:43], v[44:45]
	v_add_f64 v[44:45], v[16:17], v[50:51]
	v_mul_f64 v[16:17], v[8:9], v[48:49]
	v_add_f64 v[20:21], v[42:43], v[20:21]
	v_fma_f64 v[16:17], v[6:7], v[46:47], -v[16:17]
	v_mul_f64 v[6:7], v[6:7], v[48:49]
	v_add_f64 v[42:43], v[10:11], v[16:17]
	v_fma_f64 v[6:7], v[8:9], v[46:47], v[6:7]
	v_add_f64 v[46:47], v[6:7], v[12:13]
	ds_read_b128 v[6:9], v24 offset:512
	s_waitcnt lgkmcnt(0)
	v_mul_f64 v[10:11], v[32:33], v[8:9]
	v_mul_f64 v[12:13], v[30:31], v[8:9]
	v_fma_f64 v[10:11], v[30:31], v[6:7], -v[10:11]
	v_fma_f64 v[12:13], v[32:33], v[6:7], v[12:13]
	v_add_f64 v[48:49], v[14:15], v[10:11]
	v_add_f64 v[18:19], v[12:13], v[18:19]
	ds_read_b128 v[10:13], v24 offset:768
	s_waitcnt lgkmcnt(0)
	v_mul_f64 v[14:15], v[32:33], v[12:13]
	v_mul_f64 v[16:17], v[30:31], v[12:13]
	v_fma_f64 v[14:15], v[30:31], v[10:11], -v[14:15]
	v_fma_f64 v[16:17], v[32:33], v[10:11], v[16:17]
	v_add_f64 v[28:29], v[28:29], v[14:15]
	v_add_f64 v[26:27], v[16:17], v[26:27]
	ds_read_b128 v[14:17], v25 offset:2064
	s_waitcnt lgkmcnt(0)
	v_mul_f64 v[30:31], v[16:17], v[8:9]
	v_mul_f64 v[8:9], v[14:15], v[8:9]
	v_fma_f64 v[30:31], v[14:15], v[6:7], -v[30:31]
	v_fma_f64 v[6:7], v[16:17], v[6:7], v[8:9]
	v_mul_f64 v[8:9], v[14:15], v[12:13]
	v_add_f64 v[30:31], v[44:45], v[30:31]
	v_add_f64 v[20:21], v[6:7], v[20:21]
	v_mul_f64 v[6:7], v[16:17], v[12:13]
	v_fma_f64 v[8:9], v[16:17], v[10:11], v[8:9]
	v_fma_f64 v[6:7], v[14:15], v[10:11], -v[6:7]
	v_add_f64 v[32:33], v[42:43], v[6:7]
	v_add_f64 v[42:43], v[8:9], v[46:47]
	ds_read_b128 v[6:9], v24 offset:1024
	s_waitcnt lgkmcnt(0)
	v_mul_f64 v[10:11], v[36:37], v[8:9]
	v_mul_f64 v[12:13], v[34:35], v[8:9]
	v_fma_f64 v[10:11], v[34:35], v[6:7], -v[10:11]
	v_fma_f64 v[12:13], v[36:37], v[6:7], v[12:13]
	v_add_f64 v[44:45], v[48:49], v[10:11]
	v_add_f64 v[18:19], v[12:13], v[18:19]
	ds_read_b128 v[10:13], v24 offset:1280
	s_waitcnt lgkmcnt(0)
	v_mul_f64 v[14:15], v[36:37], v[12:13]
	v_mul_f64 v[16:17], v[34:35], v[12:13]
	v_fma_f64 v[14:15], v[34:35], v[10:11], -v[14:15]
	v_fma_f64 v[16:17], v[36:37], v[10:11], v[16:17]
	v_add_f64 v[28:29], v[28:29], v[14:15]
	v_add_f64 v[26:27], v[16:17], v[26:27]
	ds_read_b128 v[14:17], v25 offset:2080
	s_waitcnt lgkmcnt(0)
	v_mul_f64 v[34:35], v[16:17], v[8:9]
	v_mul_f64 v[8:9], v[14:15], v[8:9]
	v_fma_f64 v[34:35], v[14:15], v[6:7], -v[34:35]
	v_fma_f64 v[6:7], v[16:17], v[6:7], v[8:9]
	v_mul_f64 v[8:9], v[14:15], v[12:13]
	v_add_f64 v[30:31], v[30:31], v[34:35]
	v_add_f64 v[20:21], v[6:7], v[20:21]
	v_mul_f64 v[6:7], v[16:17], v[12:13]
	v_fma_f64 v[8:9], v[16:17], v[10:11], v[8:9]
	v_fma_f64 v[6:7], v[14:15], v[10:11], -v[6:7]
	v_add_f64 v[34:35], v[8:9], v[42:43]
	;; [unrolled: 30-line block ×3, first 2 shown]
	v_add_f64 v[32:33], v[32:33], v[6:7]
	ds_read_b128 v[6:9], v25 offset:64
	ds_read_b128 v[10:13], v24 offset:2048
	s_waitcnt lgkmcnt(0)
	v_mul_f64 v[14:15], v[8:9], v[12:13]
	v_mul_f64 v[16:17], v[6:7], v[12:13]
	v_fma_f64 v[14:15], v[6:7], v[10:11], -v[14:15]
	v_fma_f64 v[16:17], v[8:9], v[10:11], v[16:17]
	v_add_f64 v[36:37], v[36:37], v[14:15]
	v_add_f64 v[18:19], v[16:17], v[18:19]
	ds_read_b128 v[14:17], v24 offset:2304
	s_waitcnt lgkmcnt(0)
	v_mul_f64 v[38:39], v[8:9], v[16:17]
	v_fma_f64 v[38:39], v[6:7], v[14:15], -v[38:39]
	v_mul_f64 v[6:7], v[6:7], v[16:17]
	v_add_f64 v[28:29], v[28:29], v[38:39]
	v_fma_f64 v[6:7], v[8:9], v[14:15], v[6:7]
	v_add_f64 v[26:27], v[6:7], v[26:27]
	ds_read_b128 v[6:9], v25 offset:2112
	s_waitcnt lgkmcnt(0)
	v_mul_f64 v[38:39], v[8:9], v[12:13]
	v_mul_f64 v[12:13], v[6:7], v[12:13]
	v_fma_f64 v[38:39], v[6:7], v[10:11], -v[38:39]
	v_fma_f64 v[10:11], v[8:9], v[10:11], v[12:13]
	v_add_f64 v[30:31], v[30:31], v[38:39]
	v_add_f64 v[20:21], v[10:11], v[20:21]
	v_mul_f64 v[10:11], v[8:9], v[16:17]
	v_fma_f64 v[10:11], v[6:7], v[14:15], -v[10:11]
	v_mul_f64 v[6:7], v[6:7], v[16:17]
	v_add_f64 v[32:33], v[32:33], v[10:11]
	v_fma_f64 v[6:7], v[8:9], v[14:15], v[6:7]
	v_add_f64 v[34:35], v[6:7], v[34:35]
	ds_read_b128 v[6:9], v25 offset:80
	ds_read_b128 v[10:13], v24 offset:2560
	s_waitcnt lgkmcnt(0)
	v_mul_f64 v[14:15], v[8:9], v[12:13]
	v_mul_f64 v[16:17], v[6:7], v[12:13]
	v_fma_f64 v[14:15], v[6:7], v[10:11], -v[14:15]
	v_fma_f64 v[16:17], v[8:9], v[10:11], v[16:17]
	v_add_f64 v[36:37], v[36:37], v[14:15]
	v_add_f64 v[18:19], v[16:17], v[18:19]
	ds_read_b128 v[14:17], v24 offset:2816
	s_waitcnt lgkmcnt(0)
	v_mul_f64 v[38:39], v[8:9], v[16:17]
	v_fma_f64 v[38:39], v[6:7], v[14:15], -v[38:39]
	v_mul_f64 v[6:7], v[6:7], v[16:17]
	v_add_f64 v[28:29], v[28:29], v[38:39]
	v_fma_f64 v[6:7], v[8:9], v[14:15], v[6:7]
	v_add_f64 v[26:27], v[6:7], v[26:27]
	ds_read_b128 v[6:9], v25 offset:2128
	s_waitcnt lgkmcnt(0)
	v_mul_f64 v[38:39], v[8:9], v[12:13]
	v_mul_f64 v[12:13], v[6:7], v[12:13]
	v_fma_f64 v[38:39], v[6:7], v[10:11], -v[38:39]
	v_fma_f64 v[10:11], v[8:9], v[10:11], v[12:13]
	v_add_f64 v[30:31], v[30:31], v[38:39]
	v_add_f64 v[20:21], v[10:11], v[20:21]
	v_mul_f64 v[10:11], v[8:9], v[16:17]
	v_fma_f64 v[10:11], v[6:7], v[14:15], -v[10:11]
	v_mul_f64 v[6:7], v[6:7], v[16:17]
	v_add_f64 v[32:33], v[32:33], v[10:11]
	v_fma_f64 v[6:7], v[8:9], v[14:15], v[6:7]
	;; [unrolled: 31-line block ×3, first 2 shown]
	v_add_f64 v[34:35], v[6:7], v[34:35]
	ds_read_b128 v[6:9], v25 offset:112
	ds_read_b128 v[10:13], v24 offset:3584
	ds_read_b128 v[26:29], v24 offset:3840
	ds_read_b128 v[30:33], v25 offset:2160
	s_waitcnt lgkmcnt(0)
	s_barrier
	v_mul_f64 v[16:17], v[6:7], v[12:13]
	v_mul_f64 v[14:15], v[8:9], v[12:13]
	v_fma_f64 v[16:17], v[8:9], v[10:11], v[16:17]
	v_fma_f64 v[14:15], v[6:7], v[10:11], -v[14:15]
	v_add_f64 v[18:19], v[16:17], v[18:19]
	v_mul_f64 v[16:17], v[8:9], v[28:29]
	v_add_f64 v[14:15], v[36:37], v[14:15]
	v_fma_f64 v[16:17], v[6:7], v[26:27], -v[16:17]
	v_mul_f64 v[6:7], v[6:7], v[28:29]
	v_fma_f64 v[8:9], v[8:9], v[26:27], v[6:7]
	v_add_f64 v[6:7], v[38:39], v[16:17]
	v_mul_f64 v[16:17], v[32:33], v[12:13]
	v_mul_f64 v[12:13], v[30:31], v[12:13]
	v_add_f64 v[8:9], v[8:9], v[40:41]
	v_fma_f64 v[16:17], v[30:31], v[10:11], -v[16:17]
	v_fma_f64 v[10:11], v[32:33], v[10:11], v[12:13]
	v_mul_f64 v[12:13], v[30:31], v[28:29]
	v_add_f64 v[16:17], v[42:43], v[16:17]
	v_add_f64 v[20:21], v[10:11], v[20:21]
	v_mul_f64 v[10:11], v[32:33], v[28:29]
	v_fma_f64 v[12:13], v[32:33], v[26:27], v[12:13]
	v_fma_f64 v[10:11], v[30:31], v[26:27], -v[10:11]
	v_add_f64 v[12:13], v[12:13], v[34:35]
	v_add_f64 v[10:11], v[44:45], v[10:11]
	s_cbranch_scc0 .LBB414_2
	s_branch .LBB414_4
.LBB414_3:
	v_mov_b32_e32 v14, 0
	v_mov_b32_e32 v18, 0
	;; [unrolled: 1-line block ×16, first 2 shown]
.LBB414_4:
	s_load_dwordx2 s[0:1], s[4:5], 0x68
	s_load_dwordx2 s[2:3], s[4:5], 0x58
	s_load_dword s9, s[4:5], 0x60
	v_add_u32_e32 v4, s7, v1
	v_add_u32_e32 v0, s6, v0
	s_waitcnt lgkmcnt(0)
	s_mul_i32 s1, s1, s8
	s_mul_hi_u32 s4, s0, s8
	v_mad_i64_i32 v[1:2], s[16:17], v4, s9, 0
	s_mul_i32 s0, s0, s8
	s_add_i32 s1, s4, s1
	s_lshl_b64 s[0:1], s[0:1], 4
	s_add_u32 s4, s2, s0
	v_lshlrev_b64 v[1:2], 4, v[1:2]
	s_addc_u32 s5, s3, s1
	v_mov_b32_e32 v3, s5
	v_add_co_u32_e64 v5, s[0:1], s4, v1
	v_addc_co_u32_e64 v22, s[0:1], v3, v2, s[0:1]
	v_cmp_gt_i32_e32 vcc, s10, v4
	v_cmp_le_i32_e64 s[0:1], v0, v4
	s_and_b64 s[0:1], vcc, s[0:1]
	s_and_saveexec_b64 s[2:3], s[0:1]
	s_cbranch_execz .LBB414_6
; %bb.5:
	v_mul_f64 v[2:3], s[12:13], v[18:19]
	v_mul_f64 v[18:19], s[14:15], v[18:19]
	v_ashrrev_i32_e32 v1, 31, v0
	v_lshlrev_b64 v[25:26], 4, v[0:1]
	v_fma_f64 v[2:3], s[14:15], v[14:15], v[2:3]
	v_fma_f64 v[23:24], s[12:13], v[14:15], -v[18:19]
	v_add_co_u32_e64 v14, s[0:1], v5, v25
	v_addc_co_u32_e64 v15, s[0:1], v22, v26, s[0:1]
	v_cmp_ne_u32_e64 s[0:1], v4, v0
	v_cndmask_b32_e64 v26, 0, v3, s[0:1]
	v_cndmask_b32_e64 v25, 0, v2, s[0:1]
	global_store_dwordx4 v[14:15], v[23:26], off
.LBB414_6:
	s_or_b64 exec, exec, s[2:3]
	v_add_u32_e32 v2, 16, v0
	v_cmp_le_i32_e64 s[0:1], v2, v4
	s_and_b64 s[2:3], vcc, s[0:1]
	s_and_saveexec_b64 s[0:1], s[2:3]
	s_cbranch_execz .LBB414_8
; %bb.7:
	v_mul_f64 v[14:15], s[12:13], v[8:9]
	v_mul_f64 v[8:9], s[14:15], v[8:9]
	v_ashrrev_i32_e32 v3, 31, v2
	v_lshlrev_b64 v[18:19], 4, v[2:3]
	v_add_co_u32_e32 v18, vcc, v5, v18
	v_addc_co_u32_e32 v19, vcc, v22, v19, vcc
	v_fma_f64 v[14:15], s[14:15], v[6:7], v[14:15]
	v_fma_f64 v[6:7], s[12:13], v[6:7], -v[8:9]
	v_cmp_ne_u32_e32 vcc, v4, v2
	v_cndmask_b32_e32 v9, 0, v15, vcc
	v_cndmask_b32_e32 v8, 0, v14, vcc
	global_store_dwordx4 v[18:19], v[6:9], off
.LBB414_8:
	s_or_b64 exec, exec, s[0:1]
	v_add_u32_e32 v3, 16, v4
	v_mad_i64_i32 v[5:6], s[0:1], v3, s9, 0
	v_mov_b32_e32 v1, s5
	v_cmp_gt_i32_e32 vcc, s10, v3
	v_lshlrev_b64 v[5:6], 4, v[5:6]
	v_add_co_u32_e64 v5, s[0:1], s4, v5
	v_addc_co_u32_e64 v6, s[0:1], v1, v6, s[0:1]
	v_cmp_le_i32_e64 s[0:1], v0, v3
	s_and_b64 s[0:1], vcc, s[0:1]
	s_and_saveexec_b64 s[2:3], s[0:1]
	s_cbranch_execz .LBB414_10
; %bb.9:
	v_mul_f64 v[7:8], s[12:13], v[20:21]
	v_mul_f64 v[14:15], s[14:15], v[20:21]
	v_ashrrev_i32_e32 v1, 31, v0
	v_lshlrev_b64 v[18:19], 4, v[0:1]
	v_add_co_u32_e64 v18, s[0:1], v5, v18
	v_addc_co_u32_e64 v19, s[0:1], v6, v19, s[0:1]
	v_fma_f64 v[7:8], s[14:15], v[16:17], v[7:8]
	v_fma_f64 v[14:15], s[12:13], v[16:17], -v[14:15]
	v_cmp_ne_u32_e64 s[0:1], v3, v0
	v_cndmask_b32_e64 v17, 0, v8, s[0:1]
	v_cndmask_b32_e64 v16, 0, v7, s[0:1]
	global_store_dwordx4 v[18:19], v[14:17], off
.LBB414_10:
	s_or_b64 exec, exec, s[2:3]
	v_cmp_le_i32_e64 s[0:1], v2, v3
	s_and_b64 s[0:1], vcc, s[0:1]
	s_and_saveexec_b64 s[2:3], s[0:1]
	s_cbranch_execz .LBB414_12
; %bb.11:
	v_mul_f64 v[7:8], s[12:13], v[12:13]
	v_mul_f64 v[12:13], s[14:15], v[12:13]
	v_ashrrev_i32_e32 v3, 31, v2
	v_lshlrev_b64 v[14:15], 4, v[2:3]
	v_add_co_u32_e32 v5, vcc, v5, v14
	v_addc_co_u32_e32 v6, vcc, v6, v15, vcc
	v_fma_f64 v[7:8], s[14:15], v[10:11], v[7:8]
	v_fma_f64 v[1:2], s[12:13], v[10:11], -v[12:13]
	v_cmp_ne_u32_e32 vcc, v4, v0
	v_cndmask_b32_e32 v4, 0, v8, vcc
	v_cndmask_b32_e32 v3, 0, v7, vcc
	global_store_dwordx4 v[5:6], v[1:4], off
.LBB414_12:
	s_endpgm
	.section	.rodata,"a",@progbits
	.p2align	6, 0x0
	.amdhsa_kernel _ZL37rocblas_syrkx_herkx_restricted_kernelIi19rocblas_complex_numIdELi16ELi32ELi8ELb1ELb1ELc84ELc85EKS1_S1_EviT_T0_PT8_S3_lS6_S3_lS4_PT9_S3_li
		.amdhsa_group_segment_fixed_size 8192
		.amdhsa_private_segment_fixed_size 0
		.amdhsa_kernarg_size 116
		.amdhsa_user_sgpr_count 6
		.amdhsa_user_sgpr_private_segment_buffer 1
		.amdhsa_user_sgpr_dispatch_ptr 0
		.amdhsa_user_sgpr_queue_ptr 0
		.amdhsa_user_sgpr_kernarg_segment_ptr 1
		.amdhsa_user_sgpr_dispatch_id 0
		.amdhsa_user_sgpr_flat_scratch_init 0
		.amdhsa_user_sgpr_private_segment_size 0
		.amdhsa_uses_dynamic_stack 0
		.amdhsa_system_sgpr_private_segment_wavefront_offset 0
		.amdhsa_system_sgpr_workgroup_id_x 1
		.amdhsa_system_sgpr_workgroup_id_y 1
		.amdhsa_system_sgpr_workgroup_id_z 1
		.amdhsa_system_sgpr_workgroup_info 0
		.amdhsa_system_vgpr_workitem_id 1
		.amdhsa_next_free_vgpr 52
		.amdhsa_next_free_sgpr 61
		.amdhsa_reserve_vcc 1
		.amdhsa_reserve_flat_scratch 0
		.amdhsa_float_round_mode_32 0
		.amdhsa_float_round_mode_16_64 0
		.amdhsa_float_denorm_mode_32 3
		.amdhsa_float_denorm_mode_16_64 3
		.amdhsa_dx10_clamp 1
		.amdhsa_ieee_mode 1
		.amdhsa_fp16_overflow 0
		.amdhsa_exception_fp_ieee_invalid_op 0
		.amdhsa_exception_fp_denorm_src 0
		.amdhsa_exception_fp_ieee_div_zero 0
		.amdhsa_exception_fp_ieee_overflow 0
		.amdhsa_exception_fp_ieee_underflow 0
		.amdhsa_exception_fp_ieee_inexact 0
		.amdhsa_exception_int_div_zero 0
	.end_amdhsa_kernel
	.section	.text._ZL37rocblas_syrkx_herkx_restricted_kernelIi19rocblas_complex_numIdELi16ELi32ELi8ELb1ELb1ELc84ELc85EKS1_S1_EviT_T0_PT8_S3_lS6_S3_lS4_PT9_S3_li,"axG",@progbits,_ZL37rocblas_syrkx_herkx_restricted_kernelIi19rocblas_complex_numIdELi16ELi32ELi8ELb1ELb1ELc84ELc85EKS1_S1_EviT_T0_PT8_S3_lS6_S3_lS4_PT9_S3_li,comdat
.Lfunc_end414:
	.size	_ZL37rocblas_syrkx_herkx_restricted_kernelIi19rocblas_complex_numIdELi16ELi32ELi8ELb1ELb1ELc84ELc85EKS1_S1_EviT_T0_PT8_S3_lS6_S3_lS4_PT9_S3_li, .Lfunc_end414-_ZL37rocblas_syrkx_herkx_restricted_kernelIi19rocblas_complex_numIdELi16ELi32ELi8ELb1ELb1ELc84ELc85EKS1_S1_EviT_T0_PT8_S3_lS6_S3_lS4_PT9_S3_li
                                        ; -- End function
	.set _ZL37rocblas_syrkx_herkx_restricted_kernelIi19rocblas_complex_numIdELi16ELi32ELi8ELb1ELb1ELc84ELc85EKS1_S1_EviT_T0_PT8_S3_lS6_S3_lS4_PT9_S3_li.num_vgpr, 52
	.set _ZL37rocblas_syrkx_herkx_restricted_kernelIi19rocblas_complex_numIdELi16ELi32ELi8ELb1ELb1ELc84ELc85EKS1_S1_EviT_T0_PT8_S3_lS6_S3_lS4_PT9_S3_li.num_agpr, 0
	.set _ZL37rocblas_syrkx_herkx_restricted_kernelIi19rocblas_complex_numIdELi16ELi32ELi8ELb1ELb1ELc84ELc85EKS1_S1_EviT_T0_PT8_S3_lS6_S3_lS4_PT9_S3_li.numbered_sgpr, 24
	.set _ZL37rocblas_syrkx_herkx_restricted_kernelIi19rocblas_complex_numIdELi16ELi32ELi8ELb1ELb1ELc84ELc85EKS1_S1_EviT_T0_PT8_S3_lS6_S3_lS4_PT9_S3_li.num_named_barrier, 0
	.set _ZL37rocblas_syrkx_herkx_restricted_kernelIi19rocblas_complex_numIdELi16ELi32ELi8ELb1ELb1ELc84ELc85EKS1_S1_EviT_T0_PT8_S3_lS6_S3_lS4_PT9_S3_li.private_seg_size, 0
	.set _ZL37rocblas_syrkx_herkx_restricted_kernelIi19rocblas_complex_numIdELi16ELi32ELi8ELb1ELb1ELc84ELc85EKS1_S1_EviT_T0_PT8_S3_lS6_S3_lS4_PT9_S3_li.uses_vcc, 1
	.set _ZL37rocblas_syrkx_herkx_restricted_kernelIi19rocblas_complex_numIdELi16ELi32ELi8ELb1ELb1ELc84ELc85EKS1_S1_EviT_T0_PT8_S3_lS6_S3_lS4_PT9_S3_li.uses_flat_scratch, 0
	.set _ZL37rocblas_syrkx_herkx_restricted_kernelIi19rocblas_complex_numIdELi16ELi32ELi8ELb1ELb1ELc84ELc85EKS1_S1_EviT_T0_PT8_S3_lS6_S3_lS4_PT9_S3_li.has_dyn_sized_stack, 0
	.set _ZL37rocblas_syrkx_herkx_restricted_kernelIi19rocblas_complex_numIdELi16ELi32ELi8ELb1ELb1ELc84ELc85EKS1_S1_EviT_T0_PT8_S3_lS6_S3_lS4_PT9_S3_li.has_recursion, 0
	.set _ZL37rocblas_syrkx_herkx_restricted_kernelIi19rocblas_complex_numIdELi16ELi32ELi8ELb1ELb1ELc84ELc85EKS1_S1_EviT_T0_PT8_S3_lS6_S3_lS4_PT9_S3_li.has_indirect_call, 0
	.section	.AMDGPU.csdata,"",@progbits
; Kernel info:
; codeLenInByte = 2980
; TotalNumSgprs: 28
; NumVgprs: 52
; ScratchSize: 0
; MemoryBound: 0
; FloatMode: 240
; IeeeMode: 1
; LDSByteSize: 8192 bytes/workgroup (compile time only)
; SGPRBlocks: 8
; VGPRBlocks: 12
; NumSGPRsForWavesPerEU: 65
; NumVGPRsForWavesPerEU: 52
; Occupancy: 4
; WaveLimiterHint : 0
; COMPUTE_PGM_RSRC2:SCRATCH_EN: 0
; COMPUTE_PGM_RSRC2:USER_SGPR: 6
; COMPUTE_PGM_RSRC2:TRAP_HANDLER: 0
; COMPUTE_PGM_RSRC2:TGID_X_EN: 1
; COMPUTE_PGM_RSRC2:TGID_Y_EN: 1
; COMPUTE_PGM_RSRC2:TGID_Z_EN: 1
; COMPUTE_PGM_RSRC2:TIDIG_COMP_CNT: 1
	.section	.text._ZL37rocblas_syrkx_herkx_restricted_kernelIi19rocblas_complex_numIdELi16ELi32ELi8ELb1ELb1ELc67ELc85EKS1_S1_EviT_T0_PT8_S3_lS6_S3_lS4_PT9_S3_li,"axG",@progbits,_ZL37rocblas_syrkx_herkx_restricted_kernelIi19rocblas_complex_numIdELi16ELi32ELi8ELb1ELb1ELc67ELc85EKS1_S1_EviT_T0_PT8_S3_lS6_S3_lS4_PT9_S3_li,comdat
	.globl	_ZL37rocblas_syrkx_herkx_restricted_kernelIi19rocblas_complex_numIdELi16ELi32ELi8ELb1ELb1ELc67ELc85EKS1_S1_EviT_T0_PT8_S3_lS6_S3_lS4_PT9_S3_li ; -- Begin function _ZL37rocblas_syrkx_herkx_restricted_kernelIi19rocblas_complex_numIdELi16ELi32ELi8ELb1ELb1ELc67ELc85EKS1_S1_EviT_T0_PT8_S3_lS6_S3_lS4_PT9_S3_li
	.p2align	8
	.type	_ZL37rocblas_syrkx_herkx_restricted_kernelIi19rocblas_complex_numIdELi16ELi32ELi8ELb1ELb1ELc67ELc85EKS1_S1_EviT_T0_PT8_S3_lS6_S3_lS4_PT9_S3_li,@function
_ZL37rocblas_syrkx_herkx_restricted_kernelIi19rocblas_complex_numIdELi16ELi32ELi8ELb1ELb1ELc67ELc85EKS1_S1_EviT_T0_PT8_S3_lS6_S3_lS4_PT9_S3_li: ; @_ZL37rocblas_syrkx_herkx_restricted_kernelIi19rocblas_complex_numIdELi16ELi32ELi8ELb1ELb1ELc67ELc85EKS1_S1_EviT_T0_PT8_S3_lS6_S3_lS4_PT9_S3_li
; %bb.0:
	s_load_dwordx2 s[10:11], s[4:5], 0x0
	s_load_dwordx4 s[12:15], s[4:5], 0x8
	s_load_dwordx2 s[16:17], s[4:5], 0x18
	s_lshl_b32 s6, s6, 5
	s_lshl_b32 s7, s7, 5
	s_waitcnt lgkmcnt(0)
	s_cmp_lt_i32 s11, 1
	s_mov_b32 s9, 0
	s_cbranch_scc1 .LBB415_3
; %bb.1:
	s_load_dword s22, s[4:5], 0x20
	s_load_dwordx4 s[0:3], s[4:5], 0x28
	s_load_dword s20, s[4:5], 0x38
	s_load_dwordx2 s[18:19], s[4:5], 0x40
	v_lshl_add_u32 v3, v1, 4, v0
	v_lshrrev_b32_e32 v8, 3, v3
	v_lshrrev_b32_e32 v2, 5, v3
	v_and_b32_e32 v4, 7, v0
	v_and_b32_e32 v9, 31, v3
	v_add_u32_e32 v3, s7, v8
	v_mov_b32_e32 v5, 0
	s_waitcnt lgkmcnt(0)
	v_mad_i64_i32 v[6:7], s[20:21], s20, v3, v[4:5]
	v_lshlrev_b32_e32 v4, 4, v4
	v_lshl_or_b32 v4, v8, 7, v4
	v_add_u32_e32 v23, 0x1000, v4
	v_mov_b32_e32 v4, 0x1000
	v_mov_b32_e32 v3, v5
	v_lshlrev_b32_e32 v5, 4, v9
	v_lshl_add_u32 v25, v1, 7, v4
	v_add_u32_e32 v4, s6, v9
	v_lshl_or_b32 v22, v2, 9, v5
	v_mad_i64_i32 v[2:3], s[20:21], s22, v4, v[2:3]
	s_mul_i32 s1, s1, s8
	s_mul_hi_u32 s23, s0, s8
	s_add_i32 s1, s23, s1
	s_mul_i32 s0, s0, s8
	s_lshl_b64 s[0:1], s[0:1], 4
	v_lshlrev_b64 v[2:3], 4, v[2:3]
	s_add_u32 s0, s16, s0
	s_addc_u32 s1, s17, s1
	v_mov_b32_e32 v4, s1
	v_add_co_u32_e32 v2, vcc, s0, v2
	s_mul_i32 s0, s19, s8
	s_mul_hi_u32 s1, s18, s8
	s_add_i32 s1, s1, s0
	s_mul_i32 s0, s18, s8
	v_addc_co_u32_e32 v3, vcc, v4, v3, vcc
	s_lshl_b64 s[0:1], s[0:1], 4
	v_add_co_u32_e32 v2, vcc, 8, v2
	v_lshlrev_b64 v[4:5], 4, v[6:7]
	s_add_u32 s0, s2, s0
	v_addc_co_u32_e32 v3, vcc, 0, v3, vcc
	s_addc_u32 s1, s3, s1
	v_mov_b32_e32 v6, s1
	v_add_co_u32_e32 v4, vcc, s0, v4
	v_addc_co_u32_e32 v5, vcc, v6, v5, vcc
	v_mov_b32_e32 v12, 0
	v_mov_b32_e32 v10, 0
	;; [unrolled: 1-line block ×8, first 2 shown]
	v_add_co_u32_e32 v4, vcc, 8, v4
	v_lshlrev_b32_e32 v24, 4, v0
	v_mov_b32_e32 v13, 0
	v_mov_b32_e32 v11, 0
	;; [unrolled: 1-line block ×8, first 2 shown]
	v_addc_co_u32_e32 v5, vcc, 0, v5, vcc
.LBB415_2:                              ; =>This Inner Loop Header: Depth=1
	global_load_dwordx4 v[26:29], v[2:3], off offset:-8
	v_add_co_u32_e32 v2, vcc, 0x80, v2
	v_addc_co_u32_e32 v3, vcc, 0, v3, vcc
	s_add_i32 s9, s9, 8
	s_cmp_ge_i32 s9, s11
	s_waitcnt vmcnt(0)
	v_xor_b32_e32 v29, 0x80000000, v29
	ds_write_b128 v22, v[26:29]
	global_load_dwordx4 v[26:29], v[4:5], off offset:-8
	v_add_co_u32_e32 v4, vcc, 0x80, v4
	v_addc_co_u32_e32 v5, vcc, 0, v5, vcc
	s_waitcnt vmcnt(0)
	ds_write_b128 v23, v[26:29]
	s_waitcnt lgkmcnt(0)
	s_barrier
	ds_read_b128 v[26:29], v25
	ds_read_b128 v[30:33], v25 offset:16
	ds_read_b128 v[34:37], v25 offset:32
	;; [unrolled: 1-line block ×3, first 2 shown]
	ds_read_b128 v[42:45], v24
	s_waitcnt lgkmcnt(0)
	v_mul_f64 v[46:47], v[28:29], v[44:45]
	v_mul_f64 v[48:49], v[26:27], v[44:45]
	v_fma_f64 v[46:47], v[26:27], v[42:43], -v[46:47]
	v_fma_f64 v[48:49], v[28:29], v[42:43], v[48:49]
	v_add_f64 v[14:15], v[14:15], v[46:47]
	v_add_f64 v[18:19], v[48:49], v[18:19]
	ds_read_b128 v[46:49], v24 offset:256
	s_waitcnt lgkmcnt(0)
	v_mul_f64 v[50:51], v[28:29], v[48:49]
	v_fma_f64 v[50:51], v[26:27], v[46:47], -v[50:51]
	v_mul_f64 v[26:27], v[26:27], v[48:49]
	v_fma_f64 v[26:27], v[28:29], v[46:47], v[26:27]
	v_add_f64 v[28:29], v[6:7], v[50:51]
	v_add_f64 v[26:27], v[26:27], v[8:9]
	ds_read_b128 v[6:9], v25 offset:2048
	s_waitcnt lgkmcnt(0)
	v_mul_f64 v[50:51], v[8:9], v[44:45]
	v_mul_f64 v[44:45], v[6:7], v[44:45]
	v_fma_f64 v[50:51], v[6:7], v[42:43], -v[50:51]
	v_fma_f64 v[42:43], v[8:9], v[42:43], v[44:45]
	v_add_f64 v[44:45], v[16:17], v[50:51]
	v_mul_f64 v[16:17], v[8:9], v[48:49]
	v_add_f64 v[20:21], v[42:43], v[20:21]
	v_fma_f64 v[16:17], v[6:7], v[46:47], -v[16:17]
	v_mul_f64 v[6:7], v[6:7], v[48:49]
	v_add_f64 v[42:43], v[10:11], v[16:17]
	v_fma_f64 v[6:7], v[8:9], v[46:47], v[6:7]
	v_add_f64 v[46:47], v[6:7], v[12:13]
	ds_read_b128 v[6:9], v24 offset:512
	s_waitcnt lgkmcnt(0)
	v_mul_f64 v[10:11], v[32:33], v[8:9]
	v_mul_f64 v[12:13], v[30:31], v[8:9]
	v_fma_f64 v[10:11], v[30:31], v[6:7], -v[10:11]
	v_fma_f64 v[12:13], v[32:33], v[6:7], v[12:13]
	v_add_f64 v[48:49], v[14:15], v[10:11]
	v_add_f64 v[18:19], v[12:13], v[18:19]
	ds_read_b128 v[10:13], v24 offset:768
	s_waitcnt lgkmcnt(0)
	v_mul_f64 v[14:15], v[32:33], v[12:13]
	v_mul_f64 v[16:17], v[30:31], v[12:13]
	v_fma_f64 v[14:15], v[30:31], v[10:11], -v[14:15]
	v_fma_f64 v[16:17], v[32:33], v[10:11], v[16:17]
	v_add_f64 v[28:29], v[28:29], v[14:15]
	v_add_f64 v[26:27], v[16:17], v[26:27]
	ds_read_b128 v[14:17], v25 offset:2064
	s_waitcnt lgkmcnt(0)
	v_mul_f64 v[30:31], v[16:17], v[8:9]
	v_mul_f64 v[8:9], v[14:15], v[8:9]
	v_fma_f64 v[30:31], v[14:15], v[6:7], -v[30:31]
	v_fma_f64 v[6:7], v[16:17], v[6:7], v[8:9]
	v_mul_f64 v[8:9], v[14:15], v[12:13]
	v_add_f64 v[30:31], v[44:45], v[30:31]
	v_add_f64 v[20:21], v[6:7], v[20:21]
	v_mul_f64 v[6:7], v[16:17], v[12:13]
	v_fma_f64 v[8:9], v[16:17], v[10:11], v[8:9]
	v_fma_f64 v[6:7], v[14:15], v[10:11], -v[6:7]
	v_add_f64 v[32:33], v[42:43], v[6:7]
	v_add_f64 v[42:43], v[8:9], v[46:47]
	ds_read_b128 v[6:9], v24 offset:1024
	s_waitcnt lgkmcnt(0)
	v_mul_f64 v[10:11], v[36:37], v[8:9]
	v_mul_f64 v[12:13], v[34:35], v[8:9]
	v_fma_f64 v[10:11], v[34:35], v[6:7], -v[10:11]
	v_fma_f64 v[12:13], v[36:37], v[6:7], v[12:13]
	v_add_f64 v[44:45], v[48:49], v[10:11]
	v_add_f64 v[18:19], v[12:13], v[18:19]
	ds_read_b128 v[10:13], v24 offset:1280
	s_waitcnt lgkmcnt(0)
	v_mul_f64 v[14:15], v[36:37], v[12:13]
	v_mul_f64 v[16:17], v[34:35], v[12:13]
	v_fma_f64 v[14:15], v[34:35], v[10:11], -v[14:15]
	v_fma_f64 v[16:17], v[36:37], v[10:11], v[16:17]
	v_add_f64 v[28:29], v[28:29], v[14:15]
	v_add_f64 v[26:27], v[16:17], v[26:27]
	ds_read_b128 v[14:17], v25 offset:2080
	s_waitcnt lgkmcnt(0)
	v_mul_f64 v[34:35], v[16:17], v[8:9]
	v_mul_f64 v[8:9], v[14:15], v[8:9]
	v_fma_f64 v[34:35], v[14:15], v[6:7], -v[34:35]
	v_fma_f64 v[6:7], v[16:17], v[6:7], v[8:9]
	v_mul_f64 v[8:9], v[14:15], v[12:13]
	v_add_f64 v[30:31], v[30:31], v[34:35]
	v_add_f64 v[20:21], v[6:7], v[20:21]
	v_mul_f64 v[6:7], v[16:17], v[12:13]
	v_fma_f64 v[8:9], v[16:17], v[10:11], v[8:9]
	v_fma_f64 v[6:7], v[14:15], v[10:11], -v[6:7]
	v_add_f64 v[34:35], v[8:9], v[42:43]
	;; [unrolled: 30-line block ×3, first 2 shown]
	v_add_f64 v[32:33], v[32:33], v[6:7]
	ds_read_b128 v[6:9], v25 offset:64
	ds_read_b128 v[10:13], v24 offset:2048
	s_waitcnt lgkmcnt(0)
	v_mul_f64 v[14:15], v[8:9], v[12:13]
	v_mul_f64 v[16:17], v[6:7], v[12:13]
	v_fma_f64 v[14:15], v[6:7], v[10:11], -v[14:15]
	v_fma_f64 v[16:17], v[8:9], v[10:11], v[16:17]
	v_add_f64 v[36:37], v[36:37], v[14:15]
	v_add_f64 v[18:19], v[16:17], v[18:19]
	ds_read_b128 v[14:17], v24 offset:2304
	s_waitcnt lgkmcnt(0)
	v_mul_f64 v[38:39], v[8:9], v[16:17]
	v_fma_f64 v[38:39], v[6:7], v[14:15], -v[38:39]
	v_mul_f64 v[6:7], v[6:7], v[16:17]
	v_add_f64 v[28:29], v[28:29], v[38:39]
	v_fma_f64 v[6:7], v[8:9], v[14:15], v[6:7]
	v_add_f64 v[26:27], v[6:7], v[26:27]
	ds_read_b128 v[6:9], v25 offset:2112
	s_waitcnt lgkmcnt(0)
	v_mul_f64 v[38:39], v[8:9], v[12:13]
	v_mul_f64 v[12:13], v[6:7], v[12:13]
	v_fma_f64 v[38:39], v[6:7], v[10:11], -v[38:39]
	v_fma_f64 v[10:11], v[8:9], v[10:11], v[12:13]
	v_add_f64 v[30:31], v[30:31], v[38:39]
	v_add_f64 v[20:21], v[10:11], v[20:21]
	v_mul_f64 v[10:11], v[8:9], v[16:17]
	v_fma_f64 v[10:11], v[6:7], v[14:15], -v[10:11]
	v_mul_f64 v[6:7], v[6:7], v[16:17]
	v_add_f64 v[32:33], v[32:33], v[10:11]
	v_fma_f64 v[6:7], v[8:9], v[14:15], v[6:7]
	v_add_f64 v[34:35], v[6:7], v[34:35]
	ds_read_b128 v[6:9], v25 offset:80
	ds_read_b128 v[10:13], v24 offset:2560
	s_waitcnt lgkmcnt(0)
	v_mul_f64 v[14:15], v[8:9], v[12:13]
	v_mul_f64 v[16:17], v[6:7], v[12:13]
	v_fma_f64 v[14:15], v[6:7], v[10:11], -v[14:15]
	v_fma_f64 v[16:17], v[8:9], v[10:11], v[16:17]
	v_add_f64 v[36:37], v[36:37], v[14:15]
	v_add_f64 v[18:19], v[16:17], v[18:19]
	ds_read_b128 v[14:17], v24 offset:2816
	s_waitcnt lgkmcnt(0)
	v_mul_f64 v[38:39], v[8:9], v[16:17]
	v_fma_f64 v[38:39], v[6:7], v[14:15], -v[38:39]
	v_mul_f64 v[6:7], v[6:7], v[16:17]
	v_add_f64 v[28:29], v[28:29], v[38:39]
	v_fma_f64 v[6:7], v[8:9], v[14:15], v[6:7]
	v_add_f64 v[26:27], v[6:7], v[26:27]
	ds_read_b128 v[6:9], v25 offset:2128
	s_waitcnt lgkmcnt(0)
	v_mul_f64 v[38:39], v[8:9], v[12:13]
	v_mul_f64 v[12:13], v[6:7], v[12:13]
	v_fma_f64 v[38:39], v[6:7], v[10:11], -v[38:39]
	v_fma_f64 v[10:11], v[8:9], v[10:11], v[12:13]
	v_add_f64 v[30:31], v[30:31], v[38:39]
	v_add_f64 v[20:21], v[10:11], v[20:21]
	v_mul_f64 v[10:11], v[8:9], v[16:17]
	v_fma_f64 v[10:11], v[6:7], v[14:15], -v[10:11]
	v_mul_f64 v[6:7], v[6:7], v[16:17]
	v_add_f64 v[32:33], v[32:33], v[10:11]
	v_fma_f64 v[6:7], v[8:9], v[14:15], v[6:7]
	;; [unrolled: 31-line block ×3, first 2 shown]
	v_add_f64 v[34:35], v[6:7], v[34:35]
	ds_read_b128 v[6:9], v25 offset:112
	ds_read_b128 v[10:13], v24 offset:3584
	;; [unrolled: 1-line block ×4, first 2 shown]
	s_waitcnt lgkmcnt(0)
	s_barrier
	v_mul_f64 v[16:17], v[6:7], v[12:13]
	v_mul_f64 v[14:15], v[8:9], v[12:13]
	v_fma_f64 v[16:17], v[8:9], v[10:11], v[16:17]
	v_fma_f64 v[14:15], v[6:7], v[10:11], -v[14:15]
	v_add_f64 v[18:19], v[16:17], v[18:19]
	v_mul_f64 v[16:17], v[8:9], v[28:29]
	v_add_f64 v[14:15], v[36:37], v[14:15]
	v_fma_f64 v[16:17], v[6:7], v[26:27], -v[16:17]
	v_mul_f64 v[6:7], v[6:7], v[28:29]
	v_fma_f64 v[8:9], v[8:9], v[26:27], v[6:7]
	v_add_f64 v[6:7], v[38:39], v[16:17]
	v_mul_f64 v[16:17], v[32:33], v[12:13]
	v_mul_f64 v[12:13], v[30:31], v[12:13]
	v_add_f64 v[8:9], v[8:9], v[40:41]
	v_fma_f64 v[16:17], v[30:31], v[10:11], -v[16:17]
	v_fma_f64 v[10:11], v[32:33], v[10:11], v[12:13]
	v_mul_f64 v[12:13], v[30:31], v[28:29]
	v_add_f64 v[16:17], v[42:43], v[16:17]
	v_add_f64 v[20:21], v[10:11], v[20:21]
	v_mul_f64 v[10:11], v[32:33], v[28:29]
	v_fma_f64 v[12:13], v[32:33], v[26:27], v[12:13]
	v_fma_f64 v[10:11], v[30:31], v[26:27], -v[10:11]
	v_add_f64 v[12:13], v[12:13], v[34:35]
	v_add_f64 v[10:11], v[44:45], v[10:11]
	s_cbranch_scc0 .LBB415_2
	s_branch .LBB415_4
.LBB415_3:
	v_mov_b32_e32 v14, 0
	v_mov_b32_e32 v18, 0
	;; [unrolled: 1-line block ×16, first 2 shown]
.LBB415_4:
	s_load_dwordx2 s[0:1], s[4:5], 0x68
	s_load_dwordx2 s[2:3], s[4:5], 0x58
	s_load_dword s9, s[4:5], 0x60
	v_add_u32_e32 v4, s7, v1
	v_add_u32_e32 v0, s6, v0
	s_waitcnt lgkmcnt(0)
	s_mul_i32 s1, s1, s8
	s_mul_hi_u32 s4, s0, s8
	v_mad_i64_i32 v[1:2], s[16:17], v4, s9, 0
	s_mul_i32 s0, s0, s8
	s_add_i32 s1, s4, s1
	s_lshl_b64 s[0:1], s[0:1], 4
	s_add_u32 s4, s2, s0
	v_lshlrev_b64 v[1:2], 4, v[1:2]
	s_addc_u32 s5, s3, s1
	v_mov_b32_e32 v3, s5
	v_add_co_u32_e64 v5, s[0:1], s4, v1
	v_addc_co_u32_e64 v22, s[0:1], v3, v2, s[0:1]
	v_cmp_gt_i32_e32 vcc, s10, v4
	v_cmp_le_i32_e64 s[0:1], v0, v4
	s_and_b64 s[0:1], vcc, s[0:1]
	s_and_saveexec_b64 s[2:3], s[0:1]
	s_cbranch_execz .LBB415_6
; %bb.5:
	v_mul_f64 v[2:3], s[12:13], v[18:19]
	v_mul_f64 v[18:19], s[14:15], v[18:19]
	v_ashrrev_i32_e32 v1, 31, v0
	v_lshlrev_b64 v[25:26], 4, v[0:1]
	v_fma_f64 v[2:3], s[14:15], v[14:15], v[2:3]
	v_fma_f64 v[23:24], s[12:13], v[14:15], -v[18:19]
	v_add_co_u32_e64 v14, s[0:1], v5, v25
	v_addc_co_u32_e64 v15, s[0:1], v22, v26, s[0:1]
	v_cmp_ne_u32_e64 s[0:1], v4, v0
	v_cndmask_b32_e64 v26, 0, v3, s[0:1]
	v_cndmask_b32_e64 v25, 0, v2, s[0:1]
	global_store_dwordx4 v[14:15], v[23:26], off
.LBB415_6:
	s_or_b64 exec, exec, s[2:3]
	v_add_u32_e32 v2, 16, v0
	v_cmp_le_i32_e64 s[0:1], v2, v4
	s_and_b64 s[2:3], vcc, s[0:1]
	s_and_saveexec_b64 s[0:1], s[2:3]
	s_cbranch_execz .LBB415_8
; %bb.7:
	v_mul_f64 v[14:15], s[12:13], v[8:9]
	v_mul_f64 v[8:9], s[14:15], v[8:9]
	v_ashrrev_i32_e32 v3, 31, v2
	v_lshlrev_b64 v[18:19], 4, v[2:3]
	v_add_co_u32_e32 v18, vcc, v5, v18
	v_addc_co_u32_e32 v19, vcc, v22, v19, vcc
	v_fma_f64 v[14:15], s[14:15], v[6:7], v[14:15]
	v_fma_f64 v[6:7], s[12:13], v[6:7], -v[8:9]
	v_cmp_ne_u32_e32 vcc, v4, v2
	v_cndmask_b32_e32 v9, 0, v15, vcc
	v_cndmask_b32_e32 v8, 0, v14, vcc
	global_store_dwordx4 v[18:19], v[6:9], off
.LBB415_8:
	s_or_b64 exec, exec, s[0:1]
	v_add_u32_e32 v3, 16, v4
	v_mad_i64_i32 v[5:6], s[0:1], v3, s9, 0
	v_mov_b32_e32 v1, s5
	v_cmp_gt_i32_e32 vcc, s10, v3
	v_lshlrev_b64 v[5:6], 4, v[5:6]
	v_add_co_u32_e64 v5, s[0:1], s4, v5
	v_addc_co_u32_e64 v6, s[0:1], v1, v6, s[0:1]
	v_cmp_le_i32_e64 s[0:1], v0, v3
	s_and_b64 s[0:1], vcc, s[0:1]
	s_and_saveexec_b64 s[2:3], s[0:1]
	s_cbranch_execz .LBB415_10
; %bb.9:
	v_mul_f64 v[7:8], s[12:13], v[20:21]
	v_mul_f64 v[14:15], s[14:15], v[20:21]
	v_ashrrev_i32_e32 v1, 31, v0
	v_lshlrev_b64 v[18:19], 4, v[0:1]
	v_add_co_u32_e64 v18, s[0:1], v5, v18
	v_addc_co_u32_e64 v19, s[0:1], v6, v19, s[0:1]
	v_fma_f64 v[7:8], s[14:15], v[16:17], v[7:8]
	v_fma_f64 v[14:15], s[12:13], v[16:17], -v[14:15]
	v_cmp_ne_u32_e64 s[0:1], v3, v0
	v_cndmask_b32_e64 v17, 0, v8, s[0:1]
	v_cndmask_b32_e64 v16, 0, v7, s[0:1]
	global_store_dwordx4 v[18:19], v[14:17], off
.LBB415_10:
	s_or_b64 exec, exec, s[2:3]
	v_cmp_le_i32_e64 s[0:1], v2, v3
	s_and_b64 s[0:1], vcc, s[0:1]
	s_and_saveexec_b64 s[2:3], s[0:1]
	s_cbranch_execz .LBB415_12
; %bb.11:
	v_mul_f64 v[7:8], s[12:13], v[12:13]
	v_mul_f64 v[12:13], s[14:15], v[12:13]
	v_ashrrev_i32_e32 v3, 31, v2
	v_lshlrev_b64 v[14:15], 4, v[2:3]
	v_add_co_u32_e32 v5, vcc, v5, v14
	v_addc_co_u32_e32 v6, vcc, v6, v15, vcc
	v_fma_f64 v[7:8], s[14:15], v[10:11], v[7:8]
	v_fma_f64 v[1:2], s[12:13], v[10:11], -v[12:13]
	v_cmp_ne_u32_e32 vcc, v4, v0
	v_cndmask_b32_e32 v4, 0, v8, vcc
	v_cndmask_b32_e32 v3, 0, v7, vcc
	global_store_dwordx4 v[5:6], v[1:4], off
.LBB415_12:
	s_endpgm
	.section	.rodata,"a",@progbits
	.p2align	6, 0x0
	.amdhsa_kernel _ZL37rocblas_syrkx_herkx_restricted_kernelIi19rocblas_complex_numIdELi16ELi32ELi8ELb1ELb1ELc67ELc85EKS1_S1_EviT_T0_PT8_S3_lS6_S3_lS4_PT9_S3_li
		.amdhsa_group_segment_fixed_size 8192
		.amdhsa_private_segment_fixed_size 0
		.amdhsa_kernarg_size 116
		.amdhsa_user_sgpr_count 6
		.amdhsa_user_sgpr_private_segment_buffer 1
		.amdhsa_user_sgpr_dispatch_ptr 0
		.amdhsa_user_sgpr_queue_ptr 0
		.amdhsa_user_sgpr_kernarg_segment_ptr 1
		.amdhsa_user_sgpr_dispatch_id 0
		.amdhsa_user_sgpr_flat_scratch_init 0
		.amdhsa_user_sgpr_private_segment_size 0
		.amdhsa_uses_dynamic_stack 0
		.amdhsa_system_sgpr_private_segment_wavefront_offset 0
		.amdhsa_system_sgpr_workgroup_id_x 1
		.amdhsa_system_sgpr_workgroup_id_y 1
		.amdhsa_system_sgpr_workgroup_id_z 1
		.amdhsa_system_sgpr_workgroup_info 0
		.amdhsa_system_vgpr_workitem_id 1
		.amdhsa_next_free_vgpr 52
		.amdhsa_next_free_sgpr 61
		.amdhsa_reserve_vcc 1
		.amdhsa_reserve_flat_scratch 0
		.amdhsa_float_round_mode_32 0
		.amdhsa_float_round_mode_16_64 0
		.amdhsa_float_denorm_mode_32 3
		.amdhsa_float_denorm_mode_16_64 3
		.amdhsa_dx10_clamp 1
		.amdhsa_ieee_mode 1
		.amdhsa_fp16_overflow 0
		.amdhsa_exception_fp_ieee_invalid_op 0
		.amdhsa_exception_fp_denorm_src 0
		.amdhsa_exception_fp_ieee_div_zero 0
		.amdhsa_exception_fp_ieee_overflow 0
		.amdhsa_exception_fp_ieee_underflow 0
		.amdhsa_exception_fp_ieee_inexact 0
		.amdhsa_exception_int_div_zero 0
	.end_amdhsa_kernel
	.section	.text._ZL37rocblas_syrkx_herkx_restricted_kernelIi19rocblas_complex_numIdELi16ELi32ELi8ELb1ELb1ELc67ELc85EKS1_S1_EviT_T0_PT8_S3_lS6_S3_lS4_PT9_S3_li,"axG",@progbits,_ZL37rocblas_syrkx_herkx_restricted_kernelIi19rocblas_complex_numIdELi16ELi32ELi8ELb1ELb1ELc67ELc85EKS1_S1_EviT_T0_PT8_S3_lS6_S3_lS4_PT9_S3_li,comdat
.Lfunc_end415:
	.size	_ZL37rocblas_syrkx_herkx_restricted_kernelIi19rocblas_complex_numIdELi16ELi32ELi8ELb1ELb1ELc67ELc85EKS1_S1_EviT_T0_PT8_S3_lS6_S3_lS4_PT9_S3_li, .Lfunc_end415-_ZL37rocblas_syrkx_herkx_restricted_kernelIi19rocblas_complex_numIdELi16ELi32ELi8ELb1ELb1ELc67ELc85EKS1_S1_EviT_T0_PT8_S3_lS6_S3_lS4_PT9_S3_li
                                        ; -- End function
	.set _ZL37rocblas_syrkx_herkx_restricted_kernelIi19rocblas_complex_numIdELi16ELi32ELi8ELb1ELb1ELc67ELc85EKS1_S1_EviT_T0_PT8_S3_lS6_S3_lS4_PT9_S3_li.num_vgpr, 52
	.set _ZL37rocblas_syrkx_herkx_restricted_kernelIi19rocblas_complex_numIdELi16ELi32ELi8ELb1ELb1ELc67ELc85EKS1_S1_EviT_T0_PT8_S3_lS6_S3_lS4_PT9_S3_li.num_agpr, 0
	.set _ZL37rocblas_syrkx_herkx_restricted_kernelIi19rocblas_complex_numIdELi16ELi32ELi8ELb1ELb1ELc67ELc85EKS1_S1_EviT_T0_PT8_S3_lS6_S3_lS4_PT9_S3_li.numbered_sgpr, 24
	.set _ZL37rocblas_syrkx_herkx_restricted_kernelIi19rocblas_complex_numIdELi16ELi32ELi8ELb1ELb1ELc67ELc85EKS1_S1_EviT_T0_PT8_S3_lS6_S3_lS4_PT9_S3_li.num_named_barrier, 0
	.set _ZL37rocblas_syrkx_herkx_restricted_kernelIi19rocblas_complex_numIdELi16ELi32ELi8ELb1ELb1ELc67ELc85EKS1_S1_EviT_T0_PT8_S3_lS6_S3_lS4_PT9_S3_li.private_seg_size, 0
	.set _ZL37rocblas_syrkx_herkx_restricted_kernelIi19rocblas_complex_numIdELi16ELi32ELi8ELb1ELb1ELc67ELc85EKS1_S1_EviT_T0_PT8_S3_lS6_S3_lS4_PT9_S3_li.uses_vcc, 1
	.set _ZL37rocblas_syrkx_herkx_restricted_kernelIi19rocblas_complex_numIdELi16ELi32ELi8ELb1ELb1ELc67ELc85EKS1_S1_EviT_T0_PT8_S3_lS6_S3_lS4_PT9_S3_li.uses_flat_scratch, 0
	.set _ZL37rocblas_syrkx_herkx_restricted_kernelIi19rocblas_complex_numIdELi16ELi32ELi8ELb1ELb1ELc67ELc85EKS1_S1_EviT_T0_PT8_S3_lS6_S3_lS4_PT9_S3_li.has_dyn_sized_stack, 0
	.set _ZL37rocblas_syrkx_herkx_restricted_kernelIi19rocblas_complex_numIdELi16ELi32ELi8ELb1ELb1ELc67ELc85EKS1_S1_EviT_T0_PT8_S3_lS6_S3_lS4_PT9_S3_li.has_recursion, 0
	.set _ZL37rocblas_syrkx_herkx_restricted_kernelIi19rocblas_complex_numIdELi16ELi32ELi8ELb1ELb1ELc67ELc85EKS1_S1_EviT_T0_PT8_S3_lS6_S3_lS4_PT9_S3_li.has_indirect_call, 0
	.section	.AMDGPU.csdata,"",@progbits
; Kernel info:
; codeLenInByte = 2988
; TotalNumSgprs: 28
; NumVgprs: 52
; ScratchSize: 0
; MemoryBound: 0
; FloatMode: 240
; IeeeMode: 1
; LDSByteSize: 8192 bytes/workgroup (compile time only)
; SGPRBlocks: 8
; VGPRBlocks: 12
; NumSGPRsForWavesPerEU: 65
; NumVGPRsForWavesPerEU: 52
; Occupancy: 4
; WaveLimiterHint : 0
; COMPUTE_PGM_RSRC2:SCRATCH_EN: 0
; COMPUTE_PGM_RSRC2:USER_SGPR: 6
; COMPUTE_PGM_RSRC2:TRAP_HANDLER: 0
; COMPUTE_PGM_RSRC2:TGID_X_EN: 1
; COMPUTE_PGM_RSRC2:TGID_Y_EN: 1
; COMPUTE_PGM_RSRC2:TGID_Z_EN: 1
; COMPUTE_PGM_RSRC2:TIDIG_COMP_CNT: 1
	.section	.text._ZL37rocblas_syrkx_herkx_restricted_kernelIi19rocblas_complex_numIdELi16ELi32ELi8ELb1ELb1ELc78ELc85EKS1_S1_EviT_T0_PT8_S3_lS6_S3_lS4_PT9_S3_li,"axG",@progbits,_ZL37rocblas_syrkx_herkx_restricted_kernelIi19rocblas_complex_numIdELi16ELi32ELi8ELb1ELb1ELc78ELc85EKS1_S1_EviT_T0_PT8_S3_lS6_S3_lS4_PT9_S3_li,comdat
	.globl	_ZL37rocblas_syrkx_herkx_restricted_kernelIi19rocblas_complex_numIdELi16ELi32ELi8ELb1ELb1ELc78ELc85EKS1_S1_EviT_T0_PT8_S3_lS6_S3_lS4_PT9_S3_li ; -- Begin function _ZL37rocblas_syrkx_herkx_restricted_kernelIi19rocblas_complex_numIdELi16ELi32ELi8ELb1ELb1ELc78ELc85EKS1_S1_EviT_T0_PT8_S3_lS6_S3_lS4_PT9_S3_li
	.p2align	8
	.type	_ZL37rocblas_syrkx_herkx_restricted_kernelIi19rocblas_complex_numIdELi16ELi32ELi8ELb1ELb1ELc78ELc85EKS1_S1_EviT_T0_PT8_S3_lS6_S3_lS4_PT9_S3_li,@function
_ZL37rocblas_syrkx_herkx_restricted_kernelIi19rocblas_complex_numIdELi16ELi32ELi8ELb1ELb1ELc78ELc85EKS1_S1_EviT_T0_PT8_S3_lS6_S3_lS4_PT9_S3_li: ; @_ZL37rocblas_syrkx_herkx_restricted_kernelIi19rocblas_complex_numIdELi16ELi32ELi8ELb1ELb1ELc78ELc85EKS1_S1_EviT_T0_PT8_S3_lS6_S3_lS4_PT9_S3_li
; %bb.0:
	s_load_dwordx2 s[10:11], s[4:5], 0x0
	s_load_dwordx4 s[12:15], s[4:5], 0x8
	s_load_dwordx2 s[16:17], s[4:5], 0x18
	s_lshl_b32 s6, s6, 5
	s_lshl_b32 s7, s7, 5
	s_waitcnt lgkmcnt(0)
	s_cmp_lt_i32 s11, 1
	s_mov_b32 s9, 0
	s_cbranch_scc1 .LBB416_3
; %bb.1:
	v_lshl_add_u32 v2, v1, 4, v0
	s_load_dword s18, s[4:5], 0x20
	s_load_dword s20, s[4:5], 0x38
	s_load_dwordx2 s[22:23], s[4:5], 0x40
	s_load_dwordx4 s[0:3], s[4:5], 0x28
	v_lshrrev_b32_e32 v6, 3, v2
	v_lshrrev_b32_e32 v7, 5, v2
	v_and_b32_e32 v9, 31, v2
	v_add_u32_e32 v2, s7, v6
	v_and_b32_e32 v8, 7, v0
	v_ashrrev_i32_e32 v3, 31, v2
	s_waitcnt lgkmcnt(0)
	v_mad_i64_i32 v[4:5], s[24:25], s20, v8, v[2:3]
	v_lshlrev_b32_e32 v2, 4, v9
	v_lshl_or_b32 v22, v7, 9, v2
	v_lshlrev_b32_e32 v2, 4, v8
	v_lshl_or_b32 v2, v6, 7, v2
	v_add_u32_e32 v23, 0x1000, v2
	v_mov_b32_e32 v2, 0x1000
	v_lshl_add_u32 v25, v1, 7, v2
	v_add_u32_e32 v2, s6, v9
	v_ashrrev_i32_e32 v3, 31, v2
	v_mad_i64_i32 v[2:3], s[24:25], s18, v7, v[2:3]
	s_mul_i32 s1, s1, s8
	s_mul_hi_u32 s26, s0, s8
	s_add_i32 s1, s26, s1
	s_mul_i32 s0, s0, s8
	s_ashr_i32 s19, s18, 31
	s_ashr_i32 s21, s20, 31
	s_lshl_b64 s[0:1], s[0:1], 4
	v_lshlrev_b64 v[2:3], 4, v[2:3]
	s_add_u32 s0, s16, s0
	s_addc_u32 s1, s17, s1
	s_mul_i32 s16, s23, s8
	s_mul_hi_u32 s17, s22, s8
	v_mov_b32_e32 v6, s1
	v_add_co_u32_e32 v2, vcc, s0, v2
	s_add_i32 s17, s17, s16
	s_mul_i32 s16, s22, s8
	v_addc_co_u32_e32 v3, vcc, v6, v3, vcc
	s_lshl_b64 s[0:1], s[18:19], 7
	s_lshl_b64 s[16:17], s[16:17], 4
	v_add_co_u32_e32 v2, vcc, 8, v2
	v_lshlrev_b64 v[4:5], 4, v[4:5]
	s_add_u32 s2, s2, s16
	v_addc_co_u32_e32 v3, vcc, 0, v3, vcc
	s_addc_u32 s3, s3, s17
	v_mov_b32_e32 v6, s3
	v_add_co_u32_e32 v4, vcc, s2, v4
	v_addc_co_u32_e32 v5, vcc, v6, v5, vcc
	v_add_co_u32_e32 v4, vcc, 8, v4
	s_lshl_b64 s[2:3], s[20:21], 7
	v_mov_b32_e32 v12, 0
	v_mov_b32_e32 v10, 0
	;; [unrolled: 1-line block ×8, first 2 shown]
	v_lshlrev_b32_e32 v24, 4, v0
	v_addc_co_u32_e32 v5, vcc, 0, v5, vcc
	v_mov_b32_e32 v13, 0
	v_mov_b32_e32 v26, s1
	;; [unrolled: 1-line block ×10, first 2 shown]
.LBB416_2:                              ; =>This Inner Loop Header: Depth=1
	global_load_dwordx4 v[28:31], v[2:3], off offset:-8
	v_add_co_u32_e32 v2, vcc, s0, v2
	v_addc_co_u32_e32 v3, vcc, v3, v26, vcc
	s_add_i32 s9, s9, 8
	s_cmp_ge_i32 s9, s11
	s_waitcnt vmcnt(0)
	ds_write_b128 v22, v[28:31]
	global_load_dwordx4 v[28:31], v[4:5], off offset:-8
	v_add_co_u32_e32 v4, vcc, s2, v4
	v_addc_co_u32_e32 v5, vcc, v5, v27, vcc
	s_waitcnt vmcnt(0)
	v_xor_b32_e32 v31, 0x80000000, v31
	ds_write_b128 v23, v[28:31]
	s_waitcnt lgkmcnt(0)
	s_barrier
	ds_read_b128 v[28:31], v25
	ds_read_b128 v[32:35], v25 offset:16
	ds_read_b128 v[36:39], v25 offset:32
	;; [unrolled: 1-line block ×3, first 2 shown]
	ds_read_b128 v[44:47], v24
	s_waitcnt lgkmcnt(0)
	v_mul_f64 v[48:49], v[30:31], v[46:47]
	v_mul_f64 v[50:51], v[28:29], v[46:47]
	v_fma_f64 v[48:49], v[28:29], v[44:45], -v[48:49]
	v_fma_f64 v[50:51], v[30:31], v[44:45], v[50:51]
	v_add_f64 v[48:49], v[18:19], v[48:49]
	v_add_f64 v[50:51], v[50:51], v[20:21]
	ds_read_b128 v[18:21], v24 offset:256
	s_waitcnt lgkmcnt(0)
	v_mul_f64 v[52:53], v[30:31], v[20:21]
	v_fma_f64 v[52:53], v[28:29], v[18:19], -v[52:53]
	v_mul_f64 v[28:29], v[28:29], v[20:21]
	v_fma_f64 v[28:29], v[30:31], v[18:19], v[28:29]
	v_add_f64 v[30:31], v[6:7], v[52:53]
	v_add_f64 v[28:29], v[28:29], v[8:9]
	ds_read_b128 v[6:9], v25 offset:2048
	s_waitcnt lgkmcnt(0)
	v_mul_f64 v[52:53], v[8:9], v[46:47]
	v_mul_f64 v[46:47], v[6:7], v[46:47]
	v_fma_f64 v[52:53], v[6:7], v[44:45], -v[52:53]
	v_fma_f64 v[44:45], v[8:9], v[44:45], v[46:47]
	v_add_f64 v[46:47], v[14:15], v[52:53]
	v_mul_f64 v[14:15], v[8:9], v[20:21]
	v_add_f64 v[44:45], v[44:45], v[16:17]
	v_fma_f64 v[14:15], v[6:7], v[18:19], -v[14:15]
	v_mul_f64 v[6:7], v[6:7], v[20:21]
	v_fma_f64 v[6:7], v[8:9], v[18:19], v[6:7]
	v_add_f64 v[18:19], v[10:11], v[14:15]
	v_add_f64 v[20:21], v[6:7], v[12:13]
	ds_read_b128 v[6:9], v24 offset:512
	s_waitcnt lgkmcnt(0)
	v_mul_f64 v[10:11], v[34:35], v[8:9]
	v_mul_f64 v[12:13], v[32:33], v[8:9]
	v_fma_f64 v[10:11], v[32:33], v[6:7], -v[10:11]
	v_fma_f64 v[12:13], v[34:35], v[6:7], v[12:13]
	v_add_f64 v[48:49], v[48:49], v[10:11]
	v_add_f64 v[50:51], v[12:13], v[50:51]
	ds_read_b128 v[10:13], v24 offset:768
	s_waitcnt lgkmcnt(0)
	v_mul_f64 v[14:15], v[34:35], v[12:13]
	v_mul_f64 v[16:17], v[32:33], v[12:13]
	v_fma_f64 v[14:15], v[32:33], v[10:11], -v[14:15]
	;; [unrolled: 8-line block ×3, first 2 shown]
	v_fma_f64 v[6:7], v[16:17], v[6:7], v[8:9]
	v_mul_f64 v[8:9], v[14:15], v[12:13]
	v_add_f64 v[32:33], v[46:47], v[32:33]
	v_add_f64 v[34:35], v[6:7], v[44:45]
	v_mul_f64 v[6:7], v[16:17], v[12:13]
	v_fma_f64 v[8:9], v[16:17], v[10:11], v[8:9]
	v_fma_f64 v[6:7], v[14:15], v[10:11], -v[6:7]
	v_add_f64 v[20:21], v[8:9], v[20:21]
	v_add_f64 v[18:19], v[18:19], v[6:7]
	ds_read_b128 v[6:9], v24 offset:1024
	s_waitcnt lgkmcnt(0)
	v_mul_f64 v[10:11], v[38:39], v[8:9]
	v_mul_f64 v[12:13], v[36:37], v[8:9]
	v_fma_f64 v[10:11], v[36:37], v[6:7], -v[10:11]
	v_fma_f64 v[12:13], v[38:39], v[6:7], v[12:13]
	v_add_f64 v[44:45], v[48:49], v[10:11]
	v_add_f64 v[46:47], v[12:13], v[50:51]
	ds_read_b128 v[10:13], v24 offset:1280
	s_waitcnt lgkmcnt(0)
	v_mul_f64 v[14:15], v[38:39], v[12:13]
	v_mul_f64 v[16:17], v[36:37], v[12:13]
	v_fma_f64 v[14:15], v[36:37], v[10:11], -v[14:15]
	v_fma_f64 v[16:17], v[38:39], v[10:11], v[16:17]
	;; [unrolled: 8-line block ×3, first 2 shown]
	v_mul_f64 v[8:9], v[14:15], v[12:13]
	v_add_f64 v[32:33], v[32:33], v[36:37]
	v_add_f64 v[34:35], v[6:7], v[34:35]
	v_mul_f64 v[6:7], v[16:17], v[12:13]
	v_fma_f64 v[8:9], v[16:17], v[10:11], v[8:9]
	v_fma_f64 v[6:7], v[14:15], v[10:11], -v[6:7]
	v_add_f64 v[20:21], v[8:9], v[20:21]
	v_add_f64 v[18:19], v[18:19], v[6:7]
	ds_read_b128 v[6:9], v24 offset:1536
	s_waitcnt lgkmcnt(0)
	v_mul_f64 v[10:11], v[42:43], v[8:9]
	v_mul_f64 v[12:13], v[40:41], v[8:9]
	v_fma_f64 v[10:11], v[40:41], v[6:7], -v[10:11]
	v_fma_f64 v[12:13], v[42:43], v[6:7], v[12:13]
	v_add_f64 v[36:37], v[44:45], v[10:11]
	v_add_f64 v[38:39], v[12:13], v[46:47]
	ds_read_b128 v[10:13], v24 offset:1792
	s_waitcnt lgkmcnt(0)
	v_mul_f64 v[14:15], v[42:43], v[12:13]
	v_mul_f64 v[16:17], v[40:41], v[12:13]
	v_fma_f64 v[14:15], v[40:41], v[10:11], -v[14:15]
	v_fma_f64 v[16:17], v[42:43], v[10:11], v[16:17]
	;; [unrolled: 8-line block ×3, first 2 shown]
	v_mul_f64 v[8:9], v[14:15], v[12:13]
	v_add_f64 v[32:33], v[32:33], v[40:41]
	v_add_f64 v[34:35], v[6:7], v[34:35]
	v_mul_f64 v[6:7], v[16:17], v[12:13]
	v_fma_f64 v[8:9], v[16:17], v[10:11], v[8:9]
	v_fma_f64 v[6:7], v[14:15], v[10:11], -v[6:7]
	v_add_f64 v[20:21], v[8:9], v[20:21]
	v_add_f64 v[18:19], v[18:19], v[6:7]
	ds_read_b128 v[6:9], v25 offset:64
	ds_read_b128 v[10:13], v24 offset:2048
	s_waitcnt lgkmcnt(0)
	v_mul_f64 v[14:15], v[8:9], v[12:13]
	v_mul_f64 v[16:17], v[6:7], v[12:13]
	v_fma_f64 v[14:15], v[6:7], v[10:11], -v[14:15]
	v_fma_f64 v[16:17], v[8:9], v[10:11], v[16:17]
	v_add_f64 v[36:37], v[36:37], v[14:15]
	v_add_f64 v[38:39], v[16:17], v[38:39]
	ds_read_b128 v[14:17], v24 offset:2304
	s_waitcnt lgkmcnt(0)
	v_mul_f64 v[40:41], v[8:9], v[16:17]
	v_fma_f64 v[40:41], v[6:7], v[14:15], -v[40:41]
	v_mul_f64 v[6:7], v[6:7], v[16:17]
	v_add_f64 v[30:31], v[30:31], v[40:41]
	v_fma_f64 v[6:7], v[8:9], v[14:15], v[6:7]
	v_add_f64 v[28:29], v[6:7], v[28:29]
	ds_read_b128 v[6:9], v25 offset:2112
	s_waitcnt lgkmcnt(0)
	v_mul_f64 v[40:41], v[8:9], v[12:13]
	v_mul_f64 v[12:13], v[6:7], v[12:13]
	v_fma_f64 v[40:41], v[6:7], v[10:11], -v[40:41]
	v_fma_f64 v[10:11], v[8:9], v[10:11], v[12:13]
	v_add_f64 v[32:33], v[32:33], v[40:41]
	v_add_f64 v[34:35], v[10:11], v[34:35]
	v_mul_f64 v[10:11], v[8:9], v[16:17]
	v_fma_f64 v[10:11], v[6:7], v[14:15], -v[10:11]
	v_mul_f64 v[6:7], v[6:7], v[16:17]
	v_add_f64 v[18:19], v[18:19], v[10:11]
	v_fma_f64 v[6:7], v[8:9], v[14:15], v[6:7]
	v_add_f64 v[20:21], v[6:7], v[20:21]
	ds_read_b128 v[6:9], v25 offset:80
	ds_read_b128 v[10:13], v24 offset:2560
	s_waitcnt lgkmcnt(0)
	v_mul_f64 v[14:15], v[8:9], v[12:13]
	v_mul_f64 v[16:17], v[6:7], v[12:13]
	v_fma_f64 v[14:15], v[6:7], v[10:11], -v[14:15]
	v_fma_f64 v[16:17], v[8:9], v[10:11], v[16:17]
	v_add_f64 v[36:37], v[36:37], v[14:15]
	v_add_f64 v[38:39], v[16:17], v[38:39]
	ds_read_b128 v[14:17], v24 offset:2816
	s_waitcnt lgkmcnt(0)
	v_mul_f64 v[40:41], v[8:9], v[16:17]
	v_fma_f64 v[40:41], v[6:7], v[14:15], -v[40:41]
	v_mul_f64 v[6:7], v[6:7], v[16:17]
	v_add_f64 v[30:31], v[30:31], v[40:41]
	v_fma_f64 v[6:7], v[8:9], v[14:15], v[6:7]
	v_add_f64 v[28:29], v[6:7], v[28:29]
	ds_read_b128 v[6:9], v25 offset:2128
	s_waitcnt lgkmcnt(0)
	v_mul_f64 v[40:41], v[8:9], v[12:13]
	v_mul_f64 v[12:13], v[6:7], v[12:13]
	v_fma_f64 v[40:41], v[6:7], v[10:11], -v[40:41]
	v_fma_f64 v[10:11], v[8:9], v[10:11], v[12:13]
	v_add_f64 v[32:33], v[32:33], v[40:41]
	v_add_f64 v[34:35], v[10:11], v[34:35]
	v_mul_f64 v[10:11], v[8:9], v[16:17]
	v_fma_f64 v[10:11], v[6:7], v[14:15], -v[10:11]
	v_mul_f64 v[6:7], v[6:7], v[16:17]
	v_add_f64 v[18:19], v[18:19], v[10:11]
	v_fma_f64 v[6:7], v[8:9], v[14:15], v[6:7]
	;; [unrolled: 31-line block ×3, first 2 shown]
	v_add_f64 v[50:51], v[6:7], v[20:21]
	ds_read_b128 v[6:9], v25 offset:112
	ds_read_b128 v[10:13], v24 offset:3584
	;; [unrolled: 1-line block ×4, first 2 shown]
	s_waitcnt lgkmcnt(0)
	s_barrier
	v_mul_f64 v[14:15], v[8:9], v[12:13]
	v_mul_f64 v[16:17], v[6:7], v[12:13]
	v_fma_f64 v[14:15], v[6:7], v[10:11], -v[14:15]
	v_fma_f64 v[16:17], v[8:9], v[10:11], v[16:17]
	v_add_f64 v[18:19], v[36:37], v[14:15]
	v_mul_f64 v[14:15], v[8:9], v[30:31]
	v_add_f64 v[20:21], v[16:17], v[38:39]
	v_fma_f64 v[14:15], v[6:7], v[28:29], -v[14:15]
	v_mul_f64 v[6:7], v[6:7], v[30:31]
	v_fma_f64 v[8:9], v[8:9], v[28:29], v[6:7]
	v_add_f64 v[6:7], v[40:41], v[14:15]
	v_mul_f64 v[14:15], v[34:35], v[12:13]
	v_mul_f64 v[12:13], v[32:33], v[12:13]
	v_add_f64 v[8:9], v[8:9], v[42:43]
	v_fma_f64 v[14:15], v[32:33], v[10:11], -v[14:15]
	v_fma_f64 v[10:11], v[34:35], v[10:11], v[12:13]
	v_mul_f64 v[12:13], v[32:33], v[30:31]
	v_add_f64 v[14:15], v[44:45], v[14:15]
	v_add_f64 v[16:17], v[10:11], v[46:47]
	v_mul_f64 v[10:11], v[34:35], v[30:31]
	v_fma_f64 v[12:13], v[34:35], v[28:29], v[12:13]
	v_fma_f64 v[10:11], v[32:33], v[28:29], -v[10:11]
	v_add_f64 v[12:13], v[12:13], v[50:51]
	v_add_f64 v[10:11], v[48:49], v[10:11]
	s_cbranch_scc0 .LBB416_2
	s_branch .LBB416_4
.LBB416_3:
	v_mov_b32_e32 v18, 0
	v_mov_b32_e32 v20, 0
	;; [unrolled: 1-line block ×16, first 2 shown]
.LBB416_4:
	s_load_dwordx2 s[0:1], s[4:5], 0x68
	s_load_dwordx2 s[2:3], s[4:5], 0x58
	s_load_dword s9, s[4:5], 0x60
	v_add_u32_e32 v4, s7, v1
	v_add_u32_e32 v0, s6, v0
	s_waitcnt lgkmcnt(0)
	s_mul_i32 s1, s1, s8
	s_mul_hi_u32 s4, s0, s8
	v_mad_i64_i32 v[1:2], s[16:17], v4, s9, 0
	s_mul_i32 s0, s0, s8
	s_add_i32 s1, s4, s1
	s_lshl_b64 s[0:1], s[0:1], 4
	s_add_u32 s4, s2, s0
	v_lshlrev_b64 v[1:2], 4, v[1:2]
	s_addc_u32 s5, s3, s1
	v_mov_b32_e32 v3, s5
	v_add_co_u32_e64 v5, s[0:1], s4, v1
	v_addc_co_u32_e64 v22, s[0:1], v3, v2, s[0:1]
	v_cmp_gt_i32_e32 vcc, s10, v4
	v_cmp_le_i32_e64 s[0:1], v0, v4
	s_and_b64 s[0:1], vcc, s[0:1]
	s_and_saveexec_b64 s[2:3], s[0:1]
	s_cbranch_execz .LBB416_6
; %bb.5:
	v_mul_f64 v[2:3], s[12:13], v[20:21]
	v_mul_f64 v[20:21], s[14:15], v[20:21]
	v_ashrrev_i32_e32 v1, 31, v0
	v_lshlrev_b64 v[23:24], 4, v[0:1]
	v_add_co_u32_e64 v23, s[0:1], v5, v23
	v_addc_co_u32_e64 v24, s[0:1], v22, v24, s[0:1]
	v_fma_f64 v[2:3], s[14:15], v[18:19], v[2:3]
	v_fma_f64 v[18:19], s[12:13], v[18:19], -v[20:21]
	v_cmp_ne_u32_e64 s[0:1], v4, v0
	v_cndmask_b32_e64 v21, 0, v3, s[0:1]
	v_cndmask_b32_e64 v20, 0, v2, s[0:1]
	global_store_dwordx4 v[23:24], v[18:21], off
.LBB416_6:
	s_or_b64 exec, exec, s[2:3]
	v_add_u32_e32 v2, 16, v0
	v_cmp_le_i32_e64 s[0:1], v2, v4
	s_and_b64 s[2:3], vcc, s[0:1]
	s_and_saveexec_b64 s[0:1], s[2:3]
	s_cbranch_execz .LBB416_8
; %bb.7:
	v_mul_f64 v[18:19], s[12:13], v[8:9]
	v_mul_f64 v[8:9], s[14:15], v[8:9]
	v_ashrrev_i32_e32 v3, 31, v2
	v_lshlrev_b64 v[20:21], 4, v[2:3]
	v_add_co_u32_e32 v20, vcc, v5, v20
	v_addc_co_u32_e32 v21, vcc, v22, v21, vcc
	v_fma_f64 v[18:19], s[14:15], v[6:7], v[18:19]
	v_fma_f64 v[6:7], s[12:13], v[6:7], -v[8:9]
	v_cmp_ne_u32_e32 vcc, v4, v2
	v_cndmask_b32_e32 v9, 0, v19, vcc
	v_cndmask_b32_e32 v8, 0, v18, vcc
	global_store_dwordx4 v[20:21], v[6:9], off
.LBB416_8:
	s_or_b64 exec, exec, s[0:1]
	v_add_u32_e32 v3, 16, v4
	v_mad_i64_i32 v[5:6], s[0:1], v3, s9, 0
	v_mov_b32_e32 v1, s5
	v_cmp_gt_i32_e32 vcc, s10, v3
	v_lshlrev_b64 v[5:6], 4, v[5:6]
	v_add_co_u32_e64 v5, s[0:1], s4, v5
	v_addc_co_u32_e64 v6, s[0:1], v1, v6, s[0:1]
	v_cmp_le_i32_e64 s[0:1], v0, v3
	s_and_b64 s[0:1], vcc, s[0:1]
	s_and_saveexec_b64 s[2:3], s[0:1]
	s_cbranch_execz .LBB416_10
; %bb.9:
	v_mul_f64 v[7:8], s[12:13], v[16:17]
	v_mul_f64 v[16:17], s[14:15], v[16:17]
	v_ashrrev_i32_e32 v1, 31, v0
	v_lshlrev_b64 v[18:19], 4, v[0:1]
	v_add_co_u32_e64 v18, s[0:1], v5, v18
	v_addc_co_u32_e64 v19, s[0:1], v6, v19, s[0:1]
	v_fma_f64 v[7:8], s[14:15], v[14:15], v[7:8]
	v_fma_f64 v[14:15], s[12:13], v[14:15], -v[16:17]
	v_cmp_ne_u32_e64 s[0:1], v3, v0
	v_cndmask_b32_e64 v17, 0, v8, s[0:1]
	v_cndmask_b32_e64 v16, 0, v7, s[0:1]
	global_store_dwordx4 v[18:19], v[14:17], off
.LBB416_10:
	s_or_b64 exec, exec, s[2:3]
	v_cmp_le_i32_e64 s[0:1], v2, v3
	s_and_b64 s[0:1], vcc, s[0:1]
	s_and_saveexec_b64 s[2:3], s[0:1]
	s_cbranch_execz .LBB416_12
; %bb.11:
	v_mul_f64 v[7:8], s[12:13], v[12:13]
	v_mul_f64 v[12:13], s[14:15], v[12:13]
	v_ashrrev_i32_e32 v3, 31, v2
	v_lshlrev_b64 v[14:15], 4, v[2:3]
	v_add_co_u32_e32 v5, vcc, v5, v14
	v_addc_co_u32_e32 v6, vcc, v6, v15, vcc
	v_fma_f64 v[7:8], s[14:15], v[10:11], v[7:8]
	v_fma_f64 v[1:2], s[12:13], v[10:11], -v[12:13]
	v_cmp_ne_u32_e32 vcc, v4, v0
	v_cndmask_b32_e32 v4, 0, v8, vcc
	v_cndmask_b32_e32 v3, 0, v7, vcc
	global_store_dwordx4 v[5:6], v[1:4], off
.LBB416_12:
	s_endpgm
	.section	.rodata,"a",@progbits
	.p2align	6, 0x0
	.amdhsa_kernel _ZL37rocblas_syrkx_herkx_restricted_kernelIi19rocblas_complex_numIdELi16ELi32ELi8ELb1ELb1ELc78ELc85EKS1_S1_EviT_T0_PT8_S3_lS6_S3_lS4_PT9_S3_li
		.amdhsa_group_segment_fixed_size 8192
		.amdhsa_private_segment_fixed_size 0
		.amdhsa_kernarg_size 116
		.amdhsa_user_sgpr_count 6
		.amdhsa_user_sgpr_private_segment_buffer 1
		.amdhsa_user_sgpr_dispatch_ptr 0
		.amdhsa_user_sgpr_queue_ptr 0
		.amdhsa_user_sgpr_kernarg_segment_ptr 1
		.amdhsa_user_sgpr_dispatch_id 0
		.amdhsa_user_sgpr_flat_scratch_init 0
		.amdhsa_user_sgpr_private_segment_size 0
		.amdhsa_uses_dynamic_stack 0
		.amdhsa_system_sgpr_private_segment_wavefront_offset 0
		.amdhsa_system_sgpr_workgroup_id_x 1
		.amdhsa_system_sgpr_workgroup_id_y 1
		.amdhsa_system_sgpr_workgroup_id_z 1
		.amdhsa_system_sgpr_workgroup_info 0
		.amdhsa_system_vgpr_workitem_id 1
		.amdhsa_next_free_vgpr 54
		.amdhsa_next_free_sgpr 61
		.amdhsa_reserve_vcc 1
		.amdhsa_reserve_flat_scratch 0
		.amdhsa_float_round_mode_32 0
		.amdhsa_float_round_mode_16_64 0
		.amdhsa_float_denorm_mode_32 3
		.amdhsa_float_denorm_mode_16_64 3
		.amdhsa_dx10_clamp 1
		.amdhsa_ieee_mode 1
		.amdhsa_fp16_overflow 0
		.amdhsa_exception_fp_ieee_invalid_op 0
		.amdhsa_exception_fp_denorm_src 0
		.amdhsa_exception_fp_ieee_div_zero 0
		.amdhsa_exception_fp_ieee_overflow 0
		.amdhsa_exception_fp_ieee_underflow 0
		.amdhsa_exception_fp_ieee_inexact 0
		.amdhsa_exception_int_div_zero 0
	.end_amdhsa_kernel
	.section	.text._ZL37rocblas_syrkx_herkx_restricted_kernelIi19rocblas_complex_numIdELi16ELi32ELi8ELb1ELb1ELc78ELc85EKS1_S1_EviT_T0_PT8_S3_lS6_S3_lS4_PT9_S3_li,"axG",@progbits,_ZL37rocblas_syrkx_herkx_restricted_kernelIi19rocblas_complex_numIdELi16ELi32ELi8ELb1ELb1ELc78ELc85EKS1_S1_EviT_T0_PT8_S3_lS6_S3_lS4_PT9_S3_li,comdat
.Lfunc_end416:
	.size	_ZL37rocblas_syrkx_herkx_restricted_kernelIi19rocblas_complex_numIdELi16ELi32ELi8ELb1ELb1ELc78ELc85EKS1_S1_EviT_T0_PT8_S3_lS6_S3_lS4_PT9_S3_li, .Lfunc_end416-_ZL37rocblas_syrkx_herkx_restricted_kernelIi19rocblas_complex_numIdELi16ELi32ELi8ELb1ELb1ELc78ELc85EKS1_S1_EviT_T0_PT8_S3_lS6_S3_lS4_PT9_S3_li
                                        ; -- End function
	.set _ZL37rocblas_syrkx_herkx_restricted_kernelIi19rocblas_complex_numIdELi16ELi32ELi8ELb1ELb1ELc78ELc85EKS1_S1_EviT_T0_PT8_S3_lS6_S3_lS4_PT9_S3_li.num_vgpr, 54
	.set _ZL37rocblas_syrkx_herkx_restricted_kernelIi19rocblas_complex_numIdELi16ELi32ELi8ELb1ELb1ELc78ELc85EKS1_S1_EviT_T0_PT8_S3_lS6_S3_lS4_PT9_S3_li.num_agpr, 0
	.set _ZL37rocblas_syrkx_herkx_restricted_kernelIi19rocblas_complex_numIdELi16ELi32ELi8ELb1ELb1ELc78ELc85EKS1_S1_EviT_T0_PT8_S3_lS6_S3_lS4_PT9_S3_li.numbered_sgpr, 27
	.set _ZL37rocblas_syrkx_herkx_restricted_kernelIi19rocblas_complex_numIdELi16ELi32ELi8ELb1ELb1ELc78ELc85EKS1_S1_EviT_T0_PT8_S3_lS6_S3_lS4_PT9_S3_li.num_named_barrier, 0
	.set _ZL37rocblas_syrkx_herkx_restricted_kernelIi19rocblas_complex_numIdELi16ELi32ELi8ELb1ELb1ELc78ELc85EKS1_S1_EviT_T0_PT8_S3_lS6_S3_lS4_PT9_S3_li.private_seg_size, 0
	.set _ZL37rocblas_syrkx_herkx_restricted_kernelIi19rocblas_complex_numIdELi16ELi32ELi8ELb1ELb1ELc78ELc85EKS1_S1_EviT_T0_PT8_S3_lS6_S3_lS4_PT9_S3_li.uses_vcc, 1
	.set _ZL37rocblas_syrkx_herkx_restricted_kernelIi19rocblas_complex_numIdELi16ELi32ELi8ELb1ELb1ELc78ELc85EKS1_S1_EviT_T0_PT8_S3_lS6_S3_lS4_PT9_S3_li.uses_flat_scratch, 0
	.set _ZL37rocblas_syrkx_herkx_restricted_kernelIi19rocblas_complex_numIdELi16ELi32ELi8ELb1ELb1ELc78ELc85EKS1_S1_EviT_T0_PT8_S3_lS6_S3_lS4_PT9_S3_li.has_dyn_sized_stack, 0
	.set _ZL37rocblas_syrkx_herkx_restricted_kernelIi19rocblas_complex_numIdELi16ELi32ELi8ELb1ELb1ELc78ELc85EKS1_S1_EviT_T0_PT8_S3_lS6_S3_lS4_PT9_S3_li.has_recursion, 0
	.set _ZL37rocblas_syrkx_herkx_restricted_kernelIi19rocblas_complex_numIdELi16ELi32ELi8ELb1ELb1ELc78ELc85EKS1_S1_EviT_T0_PT8_S3_lS6_S3_lS4_PT9_S3_li.has_indirect_call, 0
	.section	.AMDGPU.csdata,"",@progbits
; Kernel info:
; codeLenInByte = 3004
; TotalNumSgprs: 31
; NumVgprs: 54
; ScratchSize: 0
; MemoryBound: 0
; FloatMode: 240
; IeeeMode: 1
; LDSByteSize: 8192 bytes/workgroup (compile time only)
; SGPRBlocks: 8
; VGPRBlocks: 13
; NumSGPRsForWavesPerEU: 65
; NumVGPRsForWavesPerEU: 54
; Occupancy: 4
; WaveLimiterHint : 0
; COMPUTE_PGM_RSRC2:SCRATCH_EN: 0
; COMPUTE_PGM_RSRC2:USER_SGPR: 6
; COMPUTE_PGM_RSRC2:TRAP_HANDLER: 0
; COMPUTE_PGM_RSRC2:TGID_X_EN: 1
; COMPUTE_PGM_RSRC2:TGID_Y_EN: 1
; COMPUTE_PGM_RSRC2:TGID_Z_EN: 1
; COMPUTE_PGM_RSRC2:TIDIG_COMP_CNT: 1
	.section	.text._ZL37rocblas_syrkx_herkx_restricted_kernelIi19rocblas_complex_numIdELi16ELi32ELi8ELb0ELb1ELc84ELc76EKS1_S1_EviT_T0_PT8_S3_lS6_S3_lS4_PT9_S3_li,"axG",@progbits,_ZL37rocblas_syrkx_herkx_restricted_kernelIi19rocblas_complex_numIdELi16ELi32ELi8ELb0ELb1ELc84ELc76EKS1_S1_EviT_T0_PT8_S3_lS6_S3_lS4_PT9_S3_li,comdat
	.globl	_ZL37rocblas_syrkx_herkx_restricted_kernelIi19rocblas_complex_numIdELi16ELi32ELi8ELb0ELb1ELc84ELc76EKS1_S1_EviT_T0_PT8_S3_lS6_S3_lS4_PT9_S3_li ; -- Begin function _ZL37rocblas_syrkx_herkx_restricted_kernelIi19rocblas_complex_numIdELi16ELi32ELi8ELb0ELb1ELc84ELc76EKS1_S1_EviT_T0_PT8_S3_lS6_S3_lS4_PT9_S3_li
	.p2align	8
	.type	_ZL37rocblas_syrkx_herkx_restricted_kernelIi19rocblas_complex_numIdELi16ELi32ELi8ELb0ELb1ELc84ELc76EKS1_S1_EviT_T0_PT8_S3_lS6_S3_lS4_PT9_S3_li,@function
_ZL37rocblas_syrkx_herkx_restricted_kernelIi19rocblas_complex_numIdELi16ELi32ELi8ELb0ELb1ELc84ELc76EKS1_S1_EviT_T0_PT8_S3_lS6_S3_lS4_PT9_S3_li: ; @_ZL37rocblas_syrkx_herkx_restricted_kernelIi19rocblas_complex_numIdELi16ELi32ELi8ELb0ELb1ELc84ELc76EKS1_S1_EviT_T0_PT8_S3_lS6_S3_lS4_PT9_S3_li
; %bb.0:
	s_load_dwordx2 s[10:11], s[4:5], 0x0
	s_load_dwordx4 s[20:23], s[4:5], 0x8
	s_load_dwordx2 s[24:25], s[4:5], 0x18
	s_load_dwordx8 s[12:19], s[4:5], 0x40
	s_lshl_b32 s6, s6, 5
	s_lshl_b32 s7, s7, 5
	s_waitcnt lgkmcnt(0)
	s_cmp_lt_i32 s11, 1
	s_mov_b32 s9, 0
	s_cbranch_scc1 .LBB417_3
; %bb.1:
	s_load_dword s28, s[4:5], 0x20
	s_load_dwordx4 s[0:3], s[4:5], 0x28
	s_load_dword s26, s[4:5], 0x38
	v_lshl_add_u32 v3, v1, 4, v0
	v_lshrrev_b32_e32 v8, 3, v3
	v_lshrrev_b32_e32 v2, 5, v3
	v_and_b32_e32 v4, 7, v0
	v_and_b32_e32 v9, 31, v3
	v_add_u32_e32 v3, s7, v8
	v_mov_b32_e32 v5, 0
	s_waitcnt lgkmcnt(0)
	v_mad_i64_i32 v[6:7], s[26:27], s26, v3, v[4:5]
	v_lshlrev_b32_e32 v4, 4, v4
	v_lshl_or_b32 v4, v8, 7, v4
	v_add_u32_e32 v23, 0x1000, v4
	v_mov_b32_e32 v4, 0x1000
	v_mov_b32_e32 v3, v5
	v_lshlrev_b32_e32 v5, 4, v9
	v_lshl_add_u32 v25, v1, 7, v4
	v_add_u32_e32 v4, s6, v9
	v_lshl_or_b32 v22, v2, 9, v5
	v_mad_i64_i32 v[2:3], s[26:27], s28, v4, v[2:3]
	s_mul_i32 s1, s1, s8
	s_mul_hi_u32 s29, s0, s8
	s_add_i32 s1, s29, s1
	s_mul_i32 s0, s0, s8
	s_lshl_b64 s[0:1], s[0:1], 4
	v_lshlrev_b64 v[2:3], 4, v[2:3]
	s_add_u32 s0, s24, s0
	s_addc_u32 s1, s25, s1
	v_mov_b32_e32 v4, s1
	v_add_co_u32_e32 v2, vcc, s0, v2
	s_mul_i32 s0, s13, s8
	s_mul_hi_u32 s1, s12, s8
	s_add_i32 s1, s1, s0
	s_mul_i32 s0, s12, s8
	v_addc_co_u32_e32 v3, vcc, v4, v3, vcc
	s_lshl_b64 s[0:1], s[0:1], 4
	v_add_co_u32_e32 v2, vcc, 8, v2
	v_lshlrev_b64 v[4:5], 4, v[6:7]
	s_add_u32 s0, s2, s0
	v_addc_co_u32_e32 v3, vcc, 0, v3, vcc
	s_addc_u32 s1, s3, s1
	v_mov_b32_e32 v6, s1
	v_add_co_u32_e32 v4, vcc, s0, v4
	v_addc_co_u32_e32 v5, vcc, v6, v5, vcc
	v_mov_b32_e32 v10, 0
	v_mov_b32_e32 v8, 0
	;; [unrolled: 1-line block ×8, first 2 shown]
	v_add_co_u32_e32 v4, vcc, 8, v4
	v_lshlrev_b32_e32 v24, 4, v0
	v_mov_b32_e32 v11, 0
	v_mov_b32_e32 v9, 0
	;; [unrolled: 1-line block ×8, first 2 shown]
	v_addc_co_u32_e32 v5, vcc, 0, v5, vcc
.LBB417_2:                              ; =>This Inner Loop Header: Depth=1
	global_load_dwordx4 v[26:29], v[2:3], off offset:-8
	v_add_co_u32_e32 v2, vcc, 0x80, v2
	v_addc_co_u32_e32 v3, vcc, 0, v3, vcc
	s_add_i32 s9, s9, 8
	s_cmp_ge_i32 s9, s11
	s_waitcnt vmcnt(0)
	ds_write_b128 v22, v[26:29]
	global_load_dwordx4 v[26:29], v[4:5], off offset:-8
	v_add_co_u32_e32 v4, vcc, 0x80, v4
	v_addc_co_u32_e32 v5, vcc, 0, v5, vcc
	s_waitcnt vmcnt(0)
	ds_write_b128 v23, v[26:29]
	s_waitcnt lgkmcnt(0)
	s_barrier
	ds_read_b128 v[26:29], v25
	ds_read_b128 v[30:33], v25 offset:16
	ds_read_b128 v[34:37], v25 offset:32
	;; [unrolled: 1-line block ×3, first 2 shown]
	ds_read_b128 v[42:45], v24
	s_waitcnt lgkmcnt(0)
	v_mul_f64 v[46:47], v[28:29], v[44:45]
	v_mul_f64 v[48:49], v[26:27], v[44:45]
	v_fma_f64 v[46:47], v[26:27], v[42:43], -v[46:47]
	v_fma_f64 v[48:49], v[28:29], v[42:43], v[48:49]
	v_add_f64 v[46:47], v[18:19], v[46:47]
	v_add_f64 v[48:49], v[48:49], v[20:21]
	ds_read_b128 v[18:21], v24 offset:256
	s_waitcnt lgkmcnt(0)
	v_mul_f64 v[50:51], v[28:29], v[20:21]
	v_fma_f64 v[50:51], v[26:27], v[18:19], -v[50:51]
	v_mul_f64 v[26:27], v[26:27], v[20:21]
	v_add_f64 v[50:51], v[6:7], v[50:51]
	v_fma_f64 v[26:27], v[28:29], v[18:19], v[26:27]
	v_add_f64 v[52:53], v[26:27], v[12:13]
	ds_read_b128 v[26:29], v25 offset:2048
	s_waitcnt lgkmcnt(0)
	v_mul_f64 v[6:7], v[28:29], v[44:45]
	v_mul_f64 v[12:13], v[26:27], v[44:45]
	v_fma_f64 v[6:7], v[26:27], v[42:43], -v[6:7]
	v_fma_f64 v[12:13], v[28:29], v[42:43], v[12:13]
	v_add_f64 v[42:43], v[14:15], v[6:7]
	v_mul_f64 v[6:7], v[28:29], v[20:21]
	v_add_f64 v[44:45], v[12:13], v[16:17]
	v_mul_f64 v[12:13], v[26:27], v[20:21]
	v_fma_f64 v[6:7], v[26:27], v[18:19], -v[6:7]
	v_fma_f64 v[12:13], v[28:29], v[18:19], v[12:13]
	v_add_f64 v[18:19], v[8:9], v[6:7]
	ds_read_b128 v[6:9], v24 offset:512
	v_add_f64 v[20:21], v[12:13], v[10:11]
	s_waitcnt lgkmcnt(0)
	v_mul_f64 v[10:11], v[32:33], v[8:9]
	v_mul_f64 v[12:13], v[30:31], v[8:9]
	v_fma_f64 v[10:11], v[30:31], v[6:7], -v[10:11]
	v_fma_f64 v[12:13], v[32:33], v[6:7], v[12:13]
	v_add_f64 v[26:27], v[46:47], v[10:11]
	v_add_f64 v[28:29], v[12:13], v[48:49]
	ds_read_b128 v[10:13], v24 offset:768
	s_waitcnt lgkmcnt(0)
	v_mul_f64 v[14:15], v[32:33], v[12:13]
	v_mul_f64 v[16:17], v[30:31], v[12:13]
	v_fma_f64 v[14:15], v[30:31], v[10:11], -v[14:15]
	v_fma_f64 v[16:17], v[32:33], v[10:11], v[16:17]
	v_add_f64 v[30:31], v[50:51], v[14:15]
	v_add_f64 v[32:33], v[16:17], v[52:53]
	ds_read_b128 v[14:17], v25 offset:2064
	s_waitcnt lgkmcnt(0)
	v_mul_f64 v[46:47], v[16:17], v[8:9]
	v_mul_f64 v[8:9], v[14:15], v[8:9]
	v_fma_f64 v[46:47], v[14:15], v[6:7], -v[46:47]
	v_fma_f64 v[6:7], v[16:17], v[6:7], v[8:9]
	v_mul_f64 v[8:9], v[14:15], v[12:13]
	v_add_f64 v[42:43], v[42:43], v[46:47]
	v_add_f64 v[44:45], v[6:7], v[44:45]
	v_mul_f64 v[6:7], v[16:17], v[12:13]
	v_fma_f64 v[8:9], v[16:17], v[10:11], v[8:9]
	v_fma_f64 v[6:7], v[14:15], v[10:11], -v[6:7]
	v_add_f64 v[20:21], v[8:9], v[20:21]
	v_add_f64 v[18:19], v[18:19], v[6:7]
	ds_read_b128 v[6:9], v24 offset:1024
	s_waitcnt lgkmcnt(0)
	v_mul_f64 v[10:11], v[36:37], v[8:9]
	v_mul_f64 v[12:13], v[34:35], v[8:9]
	v_fma_f64 v[10:11], v[34:35], v[6:7], -v[10:11]
	v_fma_f64 v[12:13], v[36:37], v[6:7], v[12:13]
	v_add_f64 v[26:27], v[26:27], v[10:11]
	v_add_f64 v[28:29], v[12:13], v[28:29]
	ds_read_b128 v[10:13], v24 offset:1280
	s_waitcnt lgkmcnt(0)
	v_mul_f64 v[14:15], v[36:37], v[12:13]
	v_mul_f64 v[16:17], v[34:35], v[12:13]
	v_fma_f64 v[14:15], v[34:35], v[10:11], -v[14:15]
	v_fma_f64 v[16:17], v[36:37], v[10:11], v[16:17]
	v_add_f64 v[30:31], v[30:31], v[14:15]
	v_add_f64 v[32:33], v[16:17], v[32:33]
	ds_read_b128 v[14:17], v25 offset:2080
	s_waitcnt lgkmcnt(0)
	v_mul_f64 v[34:35], v[16:17], v[8:9]
	v_mul_f64 v[8:9], v[14:15], v[8:9]
	v_fma_f64 v[34:35], v[14:15], v[6:7], -v[34:35]
	v_fma_f64 v[6:7], v[16:17], v[6:7], v[8:9]
	v_mul_f64 v[8:9], v[14:15], v[12:13]
	v_add_f64 v[34:35], v[42:43], v[34:35]
	v_add_f64 v[36:37], v[6:7], v[44:45]
	v_mul_f64 v[6:7], v[16:17], v[12:13]
	v_fma_f64 v[8:9], v[16:17], v[10:11], v[8:9]
	v_fma_f64 v[6:7], v[14:15], v[10:11], -v[6:7]
	v_add_f64 v[20:21], v[8:9], v[20:21]
	v_add_f64 v[18:19], v[18:19], v[6:7]
	ds_read_b128 v[6:9], v24 offset:1536
	;; [unrolled: 30-line block ×3, first 2 shown]
	ds_read_b128 v[10:13], v24 offset:2048
	s_waitcnt lgkmcnt(0)
	v_mul_f64 v[14:15], v[8:9], v[12:13]
	v_mul_f64 v[16:17], v[6:7], v[12:13]
	v_fma_f64 v[14:15], v[6:7], v[10:11], -v[14:15]
	v_fma_f64 v[16:17], v[8:9], v[10:11], v[16:17]
	v_add_f64 v[26:27], v[26:27], v[14:15]
	v_add_f64 v[28:29], v[16:17], v[28:29]
	ds_read_b128 v[14:17], v24 offset:2304
	s_waitcnt lgkmcnt(0)
	v_mul_f64 v[38:39], v[8:9], v[16:17]
	v_fma_f64 v[38:39], v[6:7], v[14:15], -v[38:39]
	v_mul_f64 v[6:7], v[6:7], v[16:17]
	v_add_f64 v[30:31], v[30:31], v[38:39]
	v_fma_f64 v[6:7], v[8:9], v[14:15], v[6:7]
	v_add_f64 v[32:33], v[6:7], v[32:33]
	ds_read_b128 v[6:9], v25 offset:2112
	s_waitcnt lgkmcnt(0)
	v_mul_f64 v[38:39], v[8:9], v[12:13]
	v_mul_f64 v[12:13], v[6:7], v[12:13]
	v_fma_f64 v[38:39], v[6:7], v[10:11], -v[38:39]
	v_fma_f64 v[10:11], v[8:9], v[10:11], v[12:13]
	v_add_f64 v[34:35], v[34:35], v[38:39]
	v_add_f64 v[36:37], v[10:11], v[36:37]
	v_mul_f64 v[10:11], v[8:9], v[16:17]
	v_fma_f64 v[10:11], v[6:7], v[14:15], -v[10:11]
	v_mul_f64 v[6:7], v[6:7], v[16:17]
	v_add_f64 v[18:19], v[18:19], v[10:11]
	v_fma_f64 v[6:7], v[8:9], v[14:15], v[6:7]
	v_add_f64 v[20:21], v[6:7], v[20:21]
	ds_read_b128 v[6:9], v25 offset:80
	ds_read_b128 v[10:13], v24 offset:2560
	s_waitcnt lgkmcnt(0)
	v_mul_f64 v[14:15], v[8:9], v[12:13]
	v_mul_f64 v[16:17], v[6:7], v[12:13]
	v_fma_f64 v[14:15], v[6:7], v[10:11], -v[14:15]
	v_fma_f64 v[16:17], v[8:9], v[10:11], v[16:17]
	v_add_f64 v[26:27], v[26:27], v[14:15]
	v_add_f64 v[28:29], v[16:17], v[28:29]
	ds_read_b128 v[14:17], v24 offset:2816
	s_waitcnt lgkmcnt(0)
	v_mul_f64 v[38:39], v[8:9], v[16:17]
	v_fma_f64 v[38:39], v[6:7], v[14:15], -v[38:39]
	v_mul_f64 v[6:7], v[6:7], v[16:17]
	v_add_f64 v[30:31], v[30:31], v[38:39]
	v_fma_f64 v[6:7], v[8:9], v[14:15], v[6:7]
	v_add_f64 v[32:33], v[6:7], v[32:33]
	ds_read_b128 v[6:9], v25 offset:2128
	s_waitcnt lgkmcnt(0)
	v_mul_f64 v[38:39], v[8:9], v[12:13]
	v_mul_f64 v[12:13], v[6:7], v[12:13]
	v_fma_f64 v[38:39], v[6:7], v[10:11], -v[38:39]
	v_fma_f64 v[10:11], v[8:9], v[10:11], v[12:13]
	v_add_f64 v[34:35], v[34:35], v[38:39]
	v_add_f64 v[36:37], v[10:11], v[36:37]
	v_mul_f64 v[10:11], v[8:9], v[16:17]
	v_fma_f64 v[10:11], v[6:7], v[14:15], -v[10:11]
	v_mul_f64 v[6:7], v[6:7], v[16:17]
	v_add_f64 v[18:19], v[18:19], v[10:11]
	v_fma_f64 v[6:7], v[8:9], v[14:15], v[6:7]
	v_add_f64 v[20:21], v[6:7], v[20:21]
	ds_read_b128 v[6:9], v25 offset:96
	;; [unrolled: 31-line block ×3, first 2 shown]
	ds_read_b128 v[14:17], v24 offset:3584
	s_waitcnt lgkmcnt(0)
	v_mul_f64 v[10:11], v[8:9], v[16:17]
	v_mul_f64 v[12:13], v[6:7], v[16:17]
	v_fma_f64 v[10:11], v[6:7], v[14:15], -v[10:11]
	v_fma_f64 v[12:13], v[8:9], v[14:15], v[12:13]
	v_add_f64 v[18:19], v[26:27], v[10:11]
	v_add_f64 v[20:21], v[12:13], v[28:29]
	ds_read_b128 v[26:29], v24 offset:3840
	s_waitcnt lgkmcnt(0)
	v_mul_f64 v[10:11], v[8:9], v[28:29]
	v_fma_f64 v[10:11], v[6:7], v[26:27], -v[10:11]
	v_mul_f64 v[6:7], v[6:7], v[28:29]
	v_fma_f64 v[8:9], v[8:9], v[26:27], v[6:7]
	v_add_f64 v[6:7], v[30:31], v[10:11]
	v_add_f64 v[12:13], v[8:9], v[32:33]
	ds_read_b128 v[8:11], v25 offset:2160
	s_waitcnt lgkmcnt(0)
	s_barrier
	v_mul_f64 v[30:31], v[10:11], v[16:17]
	v_mul_f64 v[16:17], v[8:9], v[16:17]
	v_fma_f64 v[30:31], v[8:9], v[14:15], -v[30:31]
	v_fma_f64 v[16:17], v[10:11], v[14:15], v[16:17]
	v_add_f64 v[14:15], v[34:35], v[30:31]
	v_mul_f64 v[30:31], v[10:11], v[28:29]
	v_add_f64 v[16:17], v[16:17], v[36:37]
	v_fma_f64 v[30:31], v[8:9], v[26:27], -v[30:31]
	v_mul_f64 v[8:9], v[8:9], v[28:29]
	v_fma_f64 v[10:11], v[10:11], v[26:27], v[8:9]
	v_add_f64 v[8:9], v[38:39], v[30:31]
	v_add_f64 v[10:11], v[10:11], v[40:41]
	s_cbranch_scc0 .LBB417_2
	s_branch .LBB417_4
.LBB417_3:
	v_mov_b32_e32 v18, 0
	v_mov_b32_e32 v20, 0
	;; [unrolled: 1-line block ×16, first 2 shown]
.LBB417_4:
	s_load_dwordx2 s[0:1], s[4:5], 0x68
	s_load_dword s9, s[4:5], 0x60
	v_add_u32_e32 v4, s7, v1
	v_add_u32_e32 v0, s6, v0
	s_waitcnt lgkmcnt(0)
	s_mul_i32 s1, s1, s8
	s_mul_hi_u32 s2, s0, s8
	s_add_i32 s1, s2, s1
	v_mad_i64_i32 v[1:2], s[2:3], v4, s9, 0
	s_mul_i32 s0, s0, s8
	s_lshl_b64 s[0:1], s[0:1], 4
	s_add_u32 s7, s18, s0
	v_lshlrev_b64 v[1:2], 4, v[1:2]
	s_addc_u32 s8, s19, s1
	v_mov_b32_e32 v3, s8
	v_add_co_u32_e32 v5, vcc, s7, v1
	v_addc_co_u32_e32 v22, vcc, v3, v2, vcc
	v_cmp_le_i32_e64 s[0:1], v4, v0
	v_cmp_gt_i32_e32 vcc, s10, v0
	s_and_b64 s[0:1], s[0:1], vcc
	s_and_saveexec_b64 s[2:3], s[0:1]
	s_cbranch_execz .LBB417_6
; %bb.5:
	v_ashrrev_i32_e32 v1, 31, v0
	v_lshlrev_b64 v[1:2], 4, v[0:1]
	v_mul_f64 v[27:28], s[20:21], v[20:21]
	v_add_co_u32_e64 v1, s[0:1], v5, v1
	v_addc_co_u32_e64 v2, s[0:1], v22, v2, s[0:1]
	global_load_dwordx4 v[23:26], v[1:2], off
	v_mul_f64 v[20:21], s[22:23], v[20:21]
	v_cmp_ne_u32_e64 s[0:1], v4, v0
	v_fma_f64 v[27:28], s[22:23], v[18:19], v[27:28]
	v_fma_f64 v[18:19], s[20:21], v[18:19], -v[20:21]
	s_waitcnt vmcnt(0)
	v_mul_f64 v[29:30], s[14:15], v[25:26]
	v_mul_f64 v[25:26], s[16:17], v[25:26]
	v_fma_f64 v[29:30], s[16:17], v[23:24], v[29:30]
	v_fma_f64 v[20:21], s[14:15], v[23:24], -v[25:26]
	v_add_f64 v[23:24], v[27:28], v[29:30]
	v_add_f64 v[18:19], v[18:19], v[20:21]
	v_cndmask_b32_e64 v21, 0, v24, s[0:1]
	v_cndmask_b32_e64 v20, 0, v23, s[0:1]
	global_store_dwordx4 v[1:2], v[18:21], off
.LBB417_6:
	s_or_b64 exec, exec, s[2:3]
	v_add_u32_e32 v2, 16, v0
	v_cmp_le_i32_e64 s[2:3], v4, v2
	v_cmp_gt_i32_e64 s[0:1], s10, v2
	s_and_b64 s[2:3], s[2:3], s[0:1]
	s_and_saveexec_b64 s[4:5], s[2:3]
	s_cbranch_execz .LBB417_8
; %bb.7:
	v_ashrrev_i32_e32 v3, 31, v2
	v_lshlrev_b64 v[18:19], 4, v[2:3]
	v_mul_f64 v[25:26], s[20:21], v[12:13]
	v_add_co_u32_e64 v23, s[2:3], v5, v18
	v_addc_co_u32_e64 v24, s[2:3], v22, v19, s[2:3]
	global_load_dwordx4 v[18:21], v[23:24], off
	v_mul_f64 v[12:13], s[22:23], v[12:13]
	v_cmp_ne_u32_e64 s[2:3], v4, v2
	v_fma_f64 v[25:26], s[22:23], v[6:7], v[25:26]
	v_fma_f64 v[5:6], s[20:21], v[6:7], -v[12:13]
	s_waitcnt vmcnt(0)
	v_mul_f64 v[27:28], s[14:15], v[20:21]
	v_mul_f64 v[20:21], s[16:17], v[20:21]
	v_fma_f64 v[27:28], s[16:17], v[18:19], v[27:28]
	v_fma_f64 v[12:13], s[14:15], v[18:19], -v[20:21]
	v_add_f64 v[20:21], v[25:26], v[27:28]
	v_add_f64 v[18:19], v[5:6], v[12:13]
	v_cndmask_b32_e64 v21, 0, v21, s[2:3]
	v_cndmask_b32_e64 v20, 0, v20, s[2:3]
	global_store_dwordx4 v[23:24], v[18:21], off
.LBB417_8:
	s_or_b64 exec, exec, s[4:5]
	v_add_u32_e32 v3, 16, v4
	v_mad_i64_i32 v[5:6], s[2:3], v3, s9, 0
	v_mov_b32_e32 v1, s8
	v_lshlrev_b64 v[5:6], 4, v[5:6]
	v_add_co_u32_e64 v5, s[2:3], s7, v5
	v_addc_co_u32_e64 v6, s[2:3], v1, v6, s[2:3]
	v_cmp_le_i32_e64 s[2:3], v3, v0
	s_and_b64 s[4:5], s[2:3], vcc
	s_and_saveexec_b64 s[2:3], s[4:5]
	s_cbranch_execz .LBB417_10
; %bb.9:
	v_ashrrev_i32_e32 v1, 31, v0
	v_lshlrev_b64 v[12:13], 4, v[0:1]
	v_add_co_u32_e32 v22, vcc, v5, v12
	v_addc_co_u32_e32 v23, vcc, v6, v13, vcc
	global_load_dwordx4 v[18:21], v[22:23], off
	v_mul_f64 v[12:13], s[20:21], v[16:17]
	v_mul_f64 v[16:17], s[22:23], v[16:17]
	v_cmp_ne_u32_e32 vcc, v3, v0
	v_fma_f64 v[12:13], s[22:23], v[14:15], v[12:13]
	v_fma_f64 v[14:15], s[20:21], v[14:15], -v[16:17]
	s_waitcnt vmcnt(0)
	v_mul_f64 v[24:25], s[14:15], v[20:21]
	v_mul_f64 v[20:21], s[16:17], v[20:21]
	v_fma_f64 v[24:25], s[16:17], v[18:19], v[24:25]
	v_fma_f64 v[16:17], s[14:15], v[18:19], -v[20:21]
	v_add_f64 v[18:19], v[12:13], v[24:25]
	v_add_f64 v[12:13], v[14:15], v[16:17]
	v_cndmask_b32_e32 v15, 0, v19, vcc
	v_cndmask_b32_e32 v14, 0, v18, vcc
	global_store_dwordx4 v[22:23], v[12:15], off
.LBB417_10:
	s_or_b64 exec, exec, s[2:3]
	v_cmp_le_i32_e32 vcc, v3, v2
	s_and_b64 s[0:1], vcc, s[0:1]
	s_and_saveexec_b64 s[2:3], s[0:1]
	s_cbranch_execz .LBB417_12
; %bb.11:
	v_ashrrev_i32_e32 v3, 31, v2
	v_lshlrev_b64 v[1:2], 4, v[2:3]
	v_add_co_u32_e32 v5, vcc, v5, v1
	v_addc_co_u32_e32 v6, vcc, v6, v2, vcc
	global_load_dwordx4 v[12:15], v[5:6], off
	v_mul_f64 v[1:2], s[20:21], v[10:11]
	v_mul_f64 v[10:11], s[22:23], v[10:11]
	v_cmp_ne_u32_e32 vcc, v4, v0
	v_fma_f64 v[1:2], s[22:23], v[8:9], v[1:2]
	v_fma_f64 v[7:8], s[20:21], v[8:9], -v[10:11]
	s_waitcnt vmcnt(0)
	v_mul_f64 v[16:17], s[14:15], v[14:15]
	v_mul_f64 v[14:15], s[16:17], v[14:15]
	v_fma_f64 v[16:17], s[16:17], v[12:13], v[16:17]
	v_fma_f64 v[9:10], s[14:15], v[12:13], -v[14:15]
	v_add_f64 v[11:12], v[1:2], v[16:17]
	v_add_f64 v[1:2], v[7:8], v[9:10]
	v_cndmask_b32_e32 v4, 0, v12, vcc
	v_cndmask_b32_e32 v3, 0, v11, vcc
	global_store_dwordx4 v[5:6], v[1:4], off
.LBB417_12:
	s_endpgm
	.section	.rodata,"a",@progbits
	.p2align	6, 0x0
	.amdhsa_kernel _ZL37rocblas_syrkx_herkx_restricted_kernelIi19rocblas_complex_numIdELi16ELi32ELi8ELb0ELb1ELc84ELc76EKS1_S1_EviT_T0_PT8_S3_lS6_S3_lS4_PT9_S3_li
		.amdhsa_group_segment_fixed_size 8192
		.amdhsa_private_segment_fixed_size 0
		.amdhsa_kernarg_size 116
		.amdhsa_user_sgpr_count 6
		.amdhsa_user_sgpr_private_segment_buffer 1
		.amdhsa_user_sgpr_dispatch_ptr 0
		.amdhsa_user_sgpr_queue_ptr 0
		.amdhsa_user_sgpr_kernarg_segment_ptr 1
		.amdhsa_user_sgpr_dispatch_id 0
		.amdhsa_user_sgpr_flat_scratch_init 0
		.amdhsa_user_sgpr_private_segment_size 0
		.amdhsa_uses_dynamic_stack 0
		.amdhsa_system_sgpr_private_segment_wavefront_offset 0
		.amdhsa_system_sgpr_workgroup_id_x 1
		.amdhsa_system_sgpr_workgroup_id_y 1
		.amdhsa_system_sgpr_workgroup_id_z 1
		.amdhsa_system_sgpr_workgroup_info 0
		.amdhsa_system_vgpr_workitem_id 1
		.amdhsa_next_free_vgpr 54
		.amdhsa_next_free_sgpr 61
		.amdhsa_reserve_vcc 1
		.amdhsa_reserve_flat_scratch 0
		.amdhsa_float_round_mode_32 0
		.amdhsa_float_round_mode_16_64 0
		.amdhsa_float_denorm_mode_32 3
		.amdhsa_float_denorm_mode_16_64 3
		.amdhsa_dx10_clamp 1
		.amdhsa_ieee_mode 1
		.amdhsa_fp16_overflow 0
		.amdhsa_exception_fp_ieee_invalid_op 0
		.amdhsa_exception_fp_denorm_src 0
		.amdhsa_exception_fp_ieee_div_zero 0
		.amdhsa_exception_fp_ieee_overflow 0
		.amdhsa_exception_fp_ieee_underflow 0
		.amdhsa_exception_fp_ieee_inexact 0
		.amdhsa_exception_int_div_zero 0
	.end_amdhsa_kernel
	.section	.text._ZL37rocblas_syrkx_herkx_restricted_kernelIi19rocblas_complex_numIdELi16ELi32ELi8ELb0ELb1ELc84ELc76EKS1_S1_EviT_T0_PT8_S3_lS6_S3_lS4_PT9_S3_li,"axG",@progbits,_ZL37rocblas_syrkx_herkx_restricted_kernelIi19rocblas_complex_numIdELi16ELi32ELi8ELb0ELb1ELc84ELc76EKS1_S1_EviT_T0_PT8_S3_lS6_S3_lS4_PT9_S3_li,comdat
.Lfunc_end417:
	.size	_ZL37rocblas_syrkx_herkx_restricted_kernelIi19rocblas_complex_numIdELi16ELi32ELi8ELb0ELb1ELc84ELc76EKS1_S1_EviT_T0_PT8_S3_lS6_S3_lS4_PT9_S3_li, .Lfunc_end417-_ZL37rocblas_syrkx_herkx_restricted_kernelIi19rocblas_complex_numIdELi16ELi32ELi8ELb0ELb1ELc84ELc76EKS1_S1_EviT_T0_PT8_S3_lS6_S3_lS4_PT9_S3_li
                                        ; -- End function
	.set _ZL37rocblas_syrkx_herkx_restricted_kernelIi19rocblas_complex_numIdELi16ELi32ELi8ELb0ELb1ELc84ELc76EKS1_S1_EviT_T0_PT8_S3_lS6_S3_lS4_PT9_S3_li.num_vgpr, 54
	.set _ZL37rocblas_syrkx_herkx_restricted_kernelIi19rocblas_complex_numIdELi16ELi32ELi8ELb0ELb1ELc84ELc76EKS1_S1_EviT_T0_PT8_S3_lS6_S3_lS4_PT9_S3_li.num_agpr, 0
	.set _ZL37rocblas_syrkx_herkx_restricted_kernelIi19rocblas_complex_numIdELi16ELi32ELi8ELb0ELb1ELc84ELc76EKS1_S1_EviT_T0_PT8_S3_lS6_S3_lS4_PT9_S3_li.numbered_sgpr, 30
	.set _ZL37rocblas_syrkx_herkx_restricted_kernelIi19rocblas_complex_numIdELi16ELi32ELi8ELb0ELb1ELc84ELc76EKS1_S1_EviT_T0_PT8_S3_lS6_S3_lS4_PT9_S3_li.num_named_barrier, 0
	.set _ZL37rocblas_syrkx_herkx_restricted_kernelIi19rocblas_complex_numIdELi16ELi32ELi8ELb0ELb1ELc84ELc76EKS1_S1_EviT_T0_PT8_S3_lS6_S3_lS4_PT9_S3_li.private_seg_size, 0
	.set _ZL37rocblas_syrkx_herkx_restricted_kernelIi19rocblas_complex_numIdELi16ELi32ELi8ELb0ELb1ELc84ELc76EKS1_S1_EviT_T0_PT8_S3_lS6_S3_lS4_PT9_S3_li.uses_vcc, 1
	.set _ZL37rocblas_syrkx_herkx_restricted_kernelIi19rocblas_complex_numIdELi16ELi32ELi8ELb0ELb1ELc84ELc76EKS1_S1_EviT_T0_PT8_S3_lS6_S3_lS4_PT9_S3_li.uses_flat_scratch, 0
	.set _ZL37rocblas_syrkx_herkx_restricted_kernelIi19rocblas_complex_numIdELi16ELi32ELi8ELb0ELb1ELc84ELc76EKS1_S1_EviT_T0_PT8_S3_lS6_S3_lS4_PT9_S3_li.has_dyn_sized_stack, 0
	.set _ZL37rocblas_syrkx_herkx_restricted_kernelIi19rocblas_complex_numIdELi16ELi32ELi8ELb0ELb1ELc84ELc76EKS1_S1_EviT_T0_PT8_S3_lS6_S3_lS4_PT9_S3_li.has_recursion, 0
	.set _ZL37rocblas_syrkx_herkx_restricted_kernelIi19rocblas_complex_numIdELi16ELi32ELi8ELb0ELb1ELc84ELc76EKS1_S1_EviT_T0_PT8_S3_lS6_S3_lS4_PT9_S3_li.has_indirect_call, 0
	.section	.AMDGPU.csdata,"",@progbits
; Kernel info:
; codeLenInByte = 3212
; TotalNumSgprs: 34
; NumVgprs: 54
; ScratchSize: 0
; MemoryBound: 0
; FloatMode: 240
; IeeeMode: 1
; LDSByteSize: 8192 bytes/workgroup (compile time only)
; SGPRBlocks: 8
; VGPRBlocks: 13
; NumSGPRsForWavesPerEU: 65
; NumVGPRsForWavesPerEU: 54
; Occupancy: 4
; WaveLimiterHint : 0
; COMPUTE_PGM_RSRC2:SCRATCH_EN: 0
; COMPUTE_PGM_RSRC2:USER_SGPR: 6
; COMPUTE_PGM_RSRC2:TRAP_HANDLER: 0
; COMPUTE_PGM_RSRC2:TGID_X_EN: 1
; COMPUTE_PGM_RSRC2:TGID_Y_EN: 1
; COMPUTE_PGM_RSRC2:TGID_Z_EN: 1
; COMPUTE_PGM_RSRC2:TIDIG_COMP_CNT: 1
	.section	.text._ZL37rocblas_syrkx_herkx_restricted_kernelIi19rocblas_complex_numIdELi16ELi32ELi8ELb0ELb1ELc67ELc76EKS1_S1_EviT_T0_PT8_S3_lS6_S3_lS4_PT9_S3_li,"axG",@progbits,_ZL37rocblas_syrkx_herkx_restricted_kernelIi19rocblas_complex_numIdELi16ELi32ELi8ELb0ELb1ELc67ELc76EKS1_S1_EviT_T0_PT8_S3_lS6_S3_lS4_PT9_S3_li,comdat
	.globl	_ZL37rocblas_syrkx_herkx_restricted_kernelIi19rocblas_complex_numIdELi16ELi32ELi8ELb0ELb1ELc67ELc76EKS1_S1_EviT_T0_PT8_S3_lS6_S3_lS4_PT9_S3_li ; -- Begin function _ZL37rocblas_syrkx_herkx_restricted_kernelIi19rocblas_complex_numIdELi16ELi32ELi8ELb0ELb1ELc67ELc76EKS1_S1_EviT_T0_PT8_S3_lS6_S3_lS4_PT9_S3_li
	.p2align	8
	.type	_ZL37rocblas_syrkx_herkx_restricted_kernelIi19rocblas_complex_numIdELi16ELi32ELi8ELb0ELb1ELc67ELc76EKS1_S1_EviT_T0_PT8_S3_lS6_S3_lS4_PT9_S3_li,@function
_ZL37rocblas_syrkx_herkx_restricted_kernelIi19rocblas_complex_numIdELi16ELi32ELi8ELb0ELb1ELc67ELc76EKS1_S1_EviT_T0_PT8_S3_lS6_S3_lS4_PT9_S3_li: ; @_ZL37rocblas_syrkx_herkx_restricted_kernelIi19rocblas_complex_numIdELi16ELi32ELi8ELb0ELb1ELc67ELc76EKS1_S1_EviT_T0_PT8_S3_lS6_S3_lS4_PT9_S3_li
; %bb.0:
	s_load_dwordx2 s[10:11], s[4:5], 0x0
	s_load_dwordx4 s[20:23], s[4:5], 0x8
	s_load_dwordx2 s[24:25], s[4:5], 0x18
	s_load_dwordx8 s[12:19], s[4:5], 0x40
	s_lshl_b32 s6, s6, 5
	s_lshl_b32 s7, s7, 5
	s_waitcnt lgkmcnt(0)
	s_cmp_lt_i32 s11, 1
	s_mov_b32 s9, 0
	s_cbranch_scc1 .LBB418_3
; %bb.1:
	s_load_dword s28, s[4:5], 0x20
	s_load_dwordx4 s[0:3], s[4:5], 0x28
	s_load_dword s26, s[4:5], 0x38
	v_lshl_add_u32 v3, v1, 4, v0
	v_lshrrev_b32_e32 v8, 3, v3
	v_lshrrev_b32_e32 v2, 5, v3
	v_and_b32_e32 v4, 7, v0
	v_and_b32_e32 v9, 31, v3
	v_add_u32_e32 v3, s7, v8
	v_mov_b32_e32 v5, 0
	s_waitcnt lgkmcnt(0)
	v_mad_i64_i32 v[6:7], s[26:27], s26, v3, v[4:5]
	v_lshlrev_b32_e32 v4, 4, v4
	v_lshl_or_b32 v4, v8, 7, v4
	v_add_u32_e32 v23, 0x1000, v4
	v_mov_b32_e32 v4, 0x1000
	v_mov_b32_e32 v3, v5
	v_lshlrev_b32_e32 v5, 4, v9
	v_lshl_add_u32 v25, v1, 7, v4
	v_add_u32_e32 v4, s6, v9
	v_lshl_or_b32 v22, v2, 9, v5
	v_mad_i64_i32 v[2:3], s[26:27], s28, v4, v[2:3]
	s_mul_i32 s1, s1, s8
	s_mul_hi_u32 s29, s0, s8
	s_add_i32 s1, s29, s1
	s_mul_i32 s0, s0, s8
	s_lshl_b64 s[0:1], s[0:1], 4
	v_lshlrev_b64 v[2:3], 4, v[2:3]
	s_add_u32 s0, s24, s0
	s_addc_u32 s1, s25, s1
	v_mov_b32_e32 v4, s1
	v_add_co_u32_e32 v2, vcc, s0, v2
	s_mul_i32 s0, s13, s8
	s_mul_hi_u32 s1, s12, s8
	s_add_i32 s1, s1, s0
	s_mul_i32 s0, s12, s8
	v_addc_co_u32_e32 v3, vcc, v4, v3, vcc
	s_lshl_b64 s[0:1], s[0:1], 4
	v_add_co_u32_e32 v2, vcc, 8, v2
	v_lshlrev_b64 v[4:5], 4, v[6:7]
	s_add_u32 s0, s2, s0
	v_addc_co_u32_e32 v3, vcc, 0, v3, vcc
	s_addc_u32 s1, s3, s1
	v_mov_b32_e32 v6, s1
	v_add_co_u32_e32 v4, vcc, s0, v4
	v_addc_co_u32_e32 v5, vcc, v6, v5, vcc
	v_mov_b32_e32 v10, 0
	v_mov_b32_e32 v8, 0
	;; [unrolled: 1-line block ×8, first 2 shown]
	v_add_co_u32_e32 v4, vcc, 8, v4
	v_lshlrev_b32_e32 v24, 4, v0
	v_mov_b32_e32 v11, 0
	v_mov_b32_e32 v9, 0
	;; [unrolled: 1-line block ×8, first 2 shown]
	v_addc_co_u32_e32 v5, vcc, 0, v5, vcc
.LBB418_2:                              ; =>This Inner Loop Header: Depth=1
	global_load_dwordx4 v[26:29], v[2:3], off offset:-8
	v_add_co_u32_e32 v2, vcc, 0x80, v2
	v_addc_co_u32_e32 v3, vcc, 0, v3, vcc
	s_add_i32 s9, s9, 8
	s_cmp_ge_i32 s9, s11
	s_waitcnt vmcnt(0)
	v_xor_b32_e32 v29, 0x80000000, v29
	ds_write_b128 v22, v[26:29]
	global_load_dwordx4 v[26:29], v[4:5], off offset:-8
	v_add_co_u32_e32 v4, vcc, 0x80, v4
	v_addc_co_u32_e32 v5, vcc, 0, v5, vcc
	s_waitcnt vmcnt(0)
	ds_write_b128 v23, v[26:29]
	s_waitcnt lgkmcnt(0)
	s_barrier
	ds_read_b128 v[26:29], v25
	ds_read_b128 v[30:33], v25 offset:16
	ds_read_b128 v[34:37], v25 offset:32
	;; [unrolled: 1-line block ×3, first 2 shown]
	ds_read_b128 v[42:45], v24
	s_waitcnt lgkmcnt(0)
	v_mul_f64 v[46:47], v[28:29], v[44:45]
	v_mul_f64 v[48:49], v[26:27], v[44:45]
	v_fma_f64 v[46:47], v[26:27], v[42:43], -v[46:47]
	v_fma_f64 v[48:49], v[28:29], v[42:43], v[48:49]
	v_add_f64 v[46:47], v[18:19], v[46:47]
	v_add_f64 v[48:49], v[48:49], v[20:21]
	ds_read_b128 v[18:21], v24 offset:256
	s_waitcnt lgkmcnt(0)
	v_mul_f64 v[50:51], v[28:29], v[20:21]
	v_fma_f64 v[50:51], v[26:27], v[18:19], -v[50:51]
	v_mul_f64 v[26:27], v[26:27], v[20:21]
	v_add_f64 v[50:51], v[6:7], v[50:51]
	v_fma_f64 v[26:27], v[28:29], v[18:19], v[26:27]
	v_add_f64 v[52:53], v[26:27], v[12:13]
	ds_read_b128 v[26:29], v25 offset:2048
	s_waitcnt lgkmcnt(0)
	v_mul_f64 v[6:7], v[28:29], v[44:45]
	v_mul_f64 v[12:13], v[26:27], v[44:45]
	v_fma_f64 v[6:7], v[26:27], v[42:43], -v[6:7]
	v_fma_f64 v[12:13], v[28:29], v[42:43], v[12:13]
	v_add_f64 v[42:43], v[14:15], v[6:7]
	v_mul_f64 v[6:7], v[28:29], v[20:21]
	v_add_f64 v[44:45], v[12:13], v[16:17]
	v_mul_f64 v[12:13], v[26:27], v[20:21]
	v_fma_f64 v[6:7], v[26:27], v[18:19], -v[6:7]
	v_fma_f64 v[12:13], v[28:29], v[18:19], v[12:13]
	v_add_f64 v[18:19], v[8:9], v[6:7]
	ds_read_b128 v[6:9], v24 offset:512
	v_add_f64 v[20:21], v[12:13], v[10:11]
	s_waitcnt lgkmcnt(0)
	v_mul_f64 v[10:11], v[32:33], v[8:9]
	v_mul_f64 v[12:13], v[30:31], v[8:9]
	v_fma_f64 v[10:11], v[30:31], v[6:7], -v[10:11]
	v_fma_f64 v[12:13], v[32:33], v[6:7], v[12:13]
	v_add_f64 v[26:27], v[46:47], v[10:11]
	v_add_f64 v[28:29], v[12:13], v[48:49]
	ds_read_b128 v[10:13], v24 offset:768
	s_waitcnt lgkmcnt(0)
	v_mul_f64 v[14:15], v[32:33], v[12:13]
	v_mul_f64 v[16:17], v[30:31], v[12:13]
	v_fma_f64 v[14:15], v[30:31], v[10:11], -v[14:15]
	v_fma_f64 v[16:17], v[32:33], v[10:11], v[16:17]
	v_add_f64 v[30:31], v[50:51], v[14:15]
	v_add_f64 v[32:33], v[16:17], v[52:53]
	ds_read_b128 v[14:17], v25 offset:2064
	s_waitcnt lgkmcnt(0)
	v_mul_f64 v[46:47], v[16:17], v[8:9]
	v_mul_f64 v[8:9], v[14:15], v[8:9]
	v_fma_f64 v[46:47], v[14:15], v[6:7], -v[46:47]
	v_fma_f64 v[6:7], v[16:17], v[6:7], v[8:9]
	v_mul_f64 v[8:9], v[14:15], v[12:13]
	v_add_f64 v[42:43], v[42:43], v[46:47]
	v_add_f64 v[44:45], v[6:7], v[44:45]
	v_mul_f64 v[6:7], v[16:17], v[12:13]
	v_fma_f64 v[8:9], v[16:17], v[10:11], v[8:9]
	v_fma_f64 v[6:7], v[14:15], v[10:11], -v[6:7]
	v_add_f64 v[20:21], v[8:9], v[20:21]
	v_add_f64 v[18:19], v[18:19], v[6:7]
	ds_read_b128 v[6:9], v24 offset:1024
	s_waitcnt lgkmcnt(0)
	v_mul_f64 v[10:11], v[36:37], v[8:9]
	v_mul_f64 v[12:13], v[34:35], v[8:9]
	v_fma_f64 v[10:11], v[34:35], v[6:7], -v[10:11]
	v_fma_f64 v[12:13], v[36:37], v[6:7], v[12:13]
	v_add_f64 v[26:27], v[26:27], v[10:11]
	v_add_f64 v[28:29], v[12:13], v[28:29]
	ds_read_b128 v[10:13], v24 offset:1280
	s_waitcnt lgkmcnt(0)
	v_mul_f64 v[14:15], v[36:37], v[12:13]
	v_mul_f64 v[16:17], v[34:35], v[12:13]
	v_fma_f64 v[14:15], v[34:35], v[10:11], -v[14:15]
	v_fma_f64 v[16:17], v[36:37], v[10:11], v[16:17]
	v_add_f64 v[30:31], v[30:31], v[14:15]
	v_add_f64 v[32:33], v[16:17], v[32:33]
	ds_read_b128 v[14:17], v25 offset:2080
	s_waitcnt lgkmcnt(0)
	v_mul_f64 v[34:35], v[16:17], v[8:9]
	v_mul_f64 v[8:9], v[14:15], v[8:9]
	v_fma_f64 v[34:35], v[14:15], v[6:7], -v[34:35]
	v_fma_f64 v[6:7], v[16:17], v[6:7], v[8:9]
	v_mul_f64 v[8:9], v[14:15], v[12:13]
	v_add_f64 v[34:35], v[42:43], v[34:35]
	v_add_f64 v[36:37], v[6:7], v[44:45]
	v_mul_f64 v[6:7], v[16:17], v[12:13]
	v_fma_f64 v[8:9], v[16:17], v[10:11], v[8:9]
	v_fma_f64 v[6:7], v[14:15], v[10:11], -v[6:7]
	v_add_f64 v[20:21], v[8:9], v[20:21]
	v_add_f64 v[18:19], v[18:19], v[6:7]
	ds_read_b128 v[6:9], v24 offset:1536
	;; [unrolled: 30-line block ×3, first 2 shown]
	ds_read_b128 v[10:13], v24 offset:2048
	s_waitcnt lgkmcnt(0)
	v_mul_f64 v[14:15], v[8:9], v[12:13]
	v_mul_f64 v[16:17], v[6:7], v[12:13]
	v_fma_f64 v[14:15], v[6:7], v[10:11], -v[14:15]
	v_fma_f64 v[16:17], v[8:9], v[10:11], v[16:17]
	v_add_f64 v[26:27], v[26:27], v[14:15]
	v_add_f64 v[28:29], v[16:17], v[28:29]
	ds_read_b128 v[14:17], v24 offset:2304
	s_waitcnt lgkmcnt(0)
	v_mul_f64 v[38:39], v[8:9], v[16:17]
	v_fma_f64 v[38:39], v[6:7], v[14:15], -v[38:39]
	v_mul_f64 v[6:7], v[6:7], v[16:17]
	v_add_f64 v[30:31], v[30:31], v[38:39]
	v_fma_f64 v[6:7], v[8:9], v[14:15], v[6:7]
	v_add_f64 v[32:33], v[6:7], v[32:33]
	ds_read_b128 v[6:9], v25 offset:2112
	s_waitcnt lgkmcnt(0)
	v_mul_f64 v[38:39], v[8:9], v[12:13]
	v_mul_f64 v[12:13], v[6:7], v[12:13]
	v_fma_f64 v[38:39], v[6:7], v[10:11], -v[38:39]
	v_fma_f64 v[10:11], v[8:9], v[10:11], v[12:13]
	v_add_f64 v[34:35], v[34:35], v[38:39]
	v_add_f64 v[36:37], v[10:11], v[36:37]
	v_mul_f64 v[10:11], v[8:9], v[16:17]
	v_fma_f64 v[10:11], v[6:7], v[14:15], -v[10:11]
	v_mul_f64 v[6:7], v[6:7], v[16:17]
	v_add_f64 v[18:19], v[18:19], v[10:11]
	v_fma_f64 v[6:7], v[8:9], v[14:15], v[6:7]
	v_add_f64 v[20:21], v[6:7], v[20:21]
	ds_read_b128 v[6:9], v25 offset:80
	ds_read_b128 v[10:13], v24 offset:2560
	s_waitcnt lgkmcnt(0)
	v_mul_f64 v[14:15], v[8:9], v[12:13]
	v_mul_f64 v[16:17], v[6:7], v[12:13]
	v_fma_f64 v[14:15], v[6:7], v[10:11], -v[14:15]
	v_fma_f64 v[16:17], v[8:9], v[10:11], v[16:17]
	v_add_f64 v[26:27], v[26:27], v[14:15]
	v_add_f64 v[28:29], v[16:17], v[28:29]
	ds_read_b128 v[14:17], v24 offset:2816
	s_waitcnt lgkmcnt(0)
	v_mul_f64 v[38:39], v[8:9], v[16:17]
	v_fma_f64 v[38:39], v[6:7], v[14:15], -v[38:39]
	v_mul_f64 v[6:7], v[6:7], v[16:17]
	v_add_f64 v[30:31], v[30:31], v[38:39]
	v_fma_f64 v[6:7], v[8:9], v[14:15], v[6:7]
	v_add_f64 v[32:33], v[6:7], v[32:33]
	ds_read_b128 v[6:9], v25 offset:2128
	s_waitcnt lgkmcnt(0)
	v_mul_f64 v[38:39], v[8:9], v[12:13]
	v_mul_f64 v[12:13], v[6:7], v[12:13]
	v_fma_f64 v[38:39], v[6:7], v[10:11], -v[38:39]
	v_fma_f64 v[10:11], v[8:9], v[10:11], v[12:13]
	v_add_f64 v[34:35], v[34:35], v[38:39]
	v_add_f64 v[36:37], v[10:11], v[36:37]
	v_mul_f64 v[10:11], v[8:9], v[16:17]
	v_fma_f64 v[10:11], v[6:7], v[14:15], -v[10:11]
	v_mul_f64 v[6:7], v[6:7], v[16:17]
	v_add_f64 v[18:19], v[18:19], v[10:11]
	v_fma_f64 v[6:7], v[8:9], v[14:15], v[6:7]
	v_add_f64 v[20:21], v[6:7], v[20:21]
	ds_read_b128 v[6:9], v25 offset:96
	;; [unrolled: 31-line block ×3, first 2 shown]
	ds_read_b128 v[14:17], v24 offset:3584
	s_waitcnt lgkmcnt(0)
	v_mul_f64 v[10:11], v[8:9], v[16:17]
	v_mul_f64 v[12:13], v[6:7], v[16:17]
	v_fma_f64 v[10:11], v[6:7], v[14:15], -v[10:11]
	v_fma_f64 v[12:13], v[8:9], v[14:15], v[12:13]
	v_add_f64 v[18:19], v[26:27], v[10:11]
	v_add_f64 v[20:21], v[12:13], v[28:29]
	ds_read_b128 v[26:29], v24 offset:3840
	s_waitcnt lgkmcnt(0)
	v_mul_f64 v[10:11], v[8:9], v[28:29]
	v_fma_f64 v[10:11], v[6:7], v[26:27], -v[10:11]
	v_mul_f64 v[6:7], v[6:7], v[28:29]
	v_fma_f64 v[8:9], v[8:9], v[26:27], v[6:7]
	v_add_f64 v[6:7], v[30:31], v[10:11]
	v_add_f64 v[12:13], v[8:9], v[32:33]
	ds_read_b128 v[8:11], v25 offset:2160
	s_waitcnt lgkmcnt(0)
	s_barrier
	v_mul_f64 v[30:31], v[10:11], v[16:17]
	v_mul_f64 v[16:17], v[8:9], v[16:17]
	v_fma_f64 v[30:31], v[8:9], v[14:15], -v[30:31]
	v_fma_f64 v[16:17], v[10:11], v[14:15], v[16:17]
	v_add_f64 v[14:15], v[34:35], v[30:31]
	v_mul_f64 v[30:31], v[10:11], v[28:29]
	v_add_f64 v[16:17], v[16:17], v[36:37]
	v_fma_f64 v[30:31], v[8:9], v[26:27], -v[30:31]
	v_mul_f64 v[8:9], v[8:9], v[28:29]
	v_fma_f64 v[10:11], v[10:11], v[26:27], v[8:9]
	v_add_f64 v[8:9], v[38:39], v[30:31]
	v_add_f64 v[10:11], v[10:11], v[40:41]
	s_cbranch_scc0 .LBB418_2
	s_branch .LBB418_4
.LBB418_3:
	v_mov_b32_e32 v18, 0
	v_mov_b32_e32 v20, 0
	;; [unrolled: 1-line block ×16, first 2 shown]
.LBB418_4:
	s_load_dwordx2 s[0:1], s[4:5], 0x68
	s_load_dword s9, s[4:5], 0x60
	v_add_u32_e32 v4, s7, v1
	v_add_u32_e32 v0, s6, v0
	s_waitcnt lgkmcnt(0)
	s_mul_i32 s1, s1, s8
	s_mul_hi_u32 s2, s0, s8
	s_add_i32 s1, s2, s1
	v_mad_i64_i32 v[1:2], s[2:3], v4, s9, 0
	s_mul_i32 s0, s0, s8
	s_lshl_b64 s[0:1], s[0:1], 4
	s_add_u32 s7, s18, s0
	v_lshlrev_b64 v[1:2], 4, v[1:2]
	s_addc_u32 s8, s19, s1
	v_mov_b32_e32 v3, s8
	v_add_co_u32_e32 v5, vcc, s7, v1
	v_addc_co_u32_e32 v22, vcc, v3, v2, vcc
	v_cmp_le_i32_e64 s[0:1], v4, v0
	v_cmp_gt_i32_e32 vcc, s10, v0
	s_and_b64 s[0:1], s[0:1], vcc
	s_and_saveexec_b64 s[2:3], s[0:1]
	s_cbranch_execz .LBB418_6
; %bb.5:
	v_ashrrev_i32_e32 v1, 31, v0
	v_lshlrev_b64 v[1:2], 4, v[0:1]
	v_mul_f64 v[27:28], s[20:21], v[20:21]
	v_add_co_u32_e64 v1, s[0:1], v5, v1
	v_addc_co_u32_e64 v2, s[0:1], v22, v2, s[0:1]
	global_load_dwordx4 v[23:26], v[1:2], off
	v_mul_f64 v[20:21], s[22:23], v[20:21]
	v_cmp_ne_u32_e64 s[0:1], v4, v0
	v_fma_f64 v[27:28], s[22:23], v[18:19], v[27:28]
	v_fma_f64 v[18:19], s[20:21], v[18:19], -v[20:21]
	s_waitcnt vmcnt(0)
	v_mul_f64 v[29:30], s[14:15], v[25:26]
	v_mul_f64 v[25:26], s[16:17], v[25:26]
	v_fma_f64 v[29:30], s[16:17], v[23:24], v[29:30]
	v_fma_f64 v[20:21], s[14:15], v[23:24], -v[25:26]
	v_add_f64 v[23:24], v[27:28], v[29:30]
	v_add_f64 v[18:19], v[18:19], v[20:21]
	v_cndmask_b32_e64 v21, 0, v24, s[0:1]
	v_cndmask_b32_e64 v20, 0, v23, s[0:1]
	global_store_dwordx4 v[1:2], v[18:21], off
.LBB418_6:
	s_or_b64 exec, exec, s[2:3]
	v_add_u32_e32 v2, 16, v0
	v_cmp_le_i32_e64 s[2:3], v4, v2
	v_cmp_gt_i32_e64 s[0:1], s10, v2
	s_and_b64 s[2:3], s[2:3], s[0:1]
	s_and_saveexec_b64 s[4:5], s[2:3]
	s_cbranch_execz .LBB418_8
; %bb.7:
	v_ashrrev_i32_e32 v3, 31, v2
	v_lshlrev_b64 v[18:19], 4, v[2:3]
	v_mul_f64 v[25:26], s[20:21], v[12:13]
	v_add_co_u32_e64 v23, s[2:3], v5, v18
	v_addc_co_u32_e64 v24, s[2:3], v22, v19, s[2:3]
	global_load_dwordx4 v[18:21], v[23:24], off
	v_mul_f64 v[12:13], s[22:23], v[12:13]
	v_cmp_ne_u32_e64 s[2:3], v4, v2
	v_fma_f64 v[25:26], s[22:23], v[6:7], v[25:26]
	v_fma_f64 v[5:6], s[20:21], v[6:7], -v[12:13]
	s_waitcnt vmcnt(0)
	v_mul_f64 v[27:28], s[14:15], v[20:21]
	v_mul_f64 v[20:21], s[16:17], v[20:21]
	v_fma_f64 v[27:28], s[16:17], v[18:19], v[27:28]
	v_fma_f64 v[12:13], s[14:15], v[18:19], -v[20:21]
	v_add_f64 v[20:21], v[25:26], v[27:28]
	v_add_f64 v[18:19], v[5:6], v[12:13]
	v_cndmask_b32_e64 v21, 0, v21, s[2:3]
	v_cndmask_b32_e64 v20, 0, v20, s[2:3]
	global_store_dwordx4 v[23:24], v[18:21], off
.LBB418_8:
	s_or_b64 exec, exec, s[4:5]
	v_add_u32_e32 v3, 16, v4
	v_mad_i64_i32 v[5:6], s[2:3], v3, s9, 0
	v_mov_b32_e32 v1, s8
	v_lshlrev_b64 v[5:6], 4, v[5:6]
	v_add_co_u32_e64 v5, s[2:3], s7, v5
	v_addc_co_u32_e64 v6, s[2:3], v1, v6, s[2:3]
	v_cmp_le_i32_e64 s[2:3], v3, v0
	s_and_b64 s[4:5], s[2:3], vcc
	s_and_saveexec_b64 s[2:3], s[4:5]
	s_cbranch_execz .LBB418_10
; %bb.9:
	v_ashrrev_i32_e32 v1, 31, v0
	v_lshlrev_b64 v[12:13], 4, v[0:1]
	v_add_co_u32_e32 v22, vcc, v5, v12
	v_addc_co_u32_e32 v23, vcc, v6, v13, vcc
	global_load_dwordx4 v[18:21], v[22:23], off
	v_mul_f64 v[12:13], s[20:21], v[16:17]
	v_mul_f64 v[16:17], s[22:23], v[16:17]
	v_cmp_ne_u32_e32 vcc, v3, v0
	v_fma_f64 v[12:13], s[22:23], v[14:15], v[12:13]
	v_fma_f64 v[14:15], s[20:21], v[14:15], -v[16:17]
	s_waitcnt vmcnt(0)
	v_mul_f64 v[24:25], s[14:15], v[20:21]
	v_mul_f64 v[20:21], s[16:17], v[20:21]
	v_fma_f64 v[24:25], s[16:17], v[18:19], v[24:25]
	v_fma_f64 v[16:17], s[14:15], v[18:19], -v[20:21]
	v_add_f64 v[18:19], v[12:13], v[24:25]
	v_add_f64 v[12:13], v[14:15], v[16:17]
	v_cndmask_b32_e32 v15, 0, v19, vcc
	v_cndmask_b32_e32 v14, 0, v18, vcc
	global_store_dwordx4 v[22:23], v[12:15], off
.LBB418_10:
	s_or_b64 exec, exec, s[2:3]
	v_cmp_le_i32_e32 vcc, v3, v2
	s_and_b64 s[0:1], vcc, s[0:1]
	s_and_saveexec_b64 s[2:3], s[0:1]
	s_cbranch_execz .LBB418_12
; %bb.11:
	v_ashrrev_i32_e32 v3, 31, v2
	v_lshlrev_b64 v[1:2], 4, v[2:3]
	v_add_co_u32_e32 v5, vcc, v5, v1
	v_addc_co_u32_e32 v6, vcc, v6, v2, vcc
	global_load_dwordx4 v[12:15], v[5:6], off
	v_mul_f64 v[1:2], s[20:21], v[10:11]
	v_mul_f64 v[10:11], s[22:23], v[10:11]
	v_cmp_ne_u32_e32 vcc, v4, v0
	v_fma_f64 v[1:2], s[22:23], v[8:9], v[1:2]
	v_fma_f64 v[7:8], s[20:21], v[8:9], -v[10:11]
	s_waitcnt vmcnt(0)
	v_mul_f64 v[16:17], s[14:15], v[14:15]
	v_mul_f64 v[14:15], s[16:17], v[14:15]
	v_fma_f64 v[16:17], s[16:17], v[12:13], v[16:17]
	v_fma_f64 v[9:10], s[14:15], v[12:13], -v[14:15]
	v_add_f64 v[11:12], v[1:2], v[16:17]
	v_add_f64 v[1:2], v[7:8], v[9:10]
	v_cndmask_b32_e32 v4, 0, v12, vcc
	v_cndmask_b32_e32 v3, 0, v11, vcc
	global_store_dwordx4 v[5:6], v[1:4], off
.LBB418_12:
	s_endpgm
	.section	.rodata,"a",@progbits
	.p2align	6, 0x0
	.amdhsa_kernel _ZL37rocblas_syrkx_herkx_restricted_kernelIi19rocblas_complex_numIdELi16ELi32ELi8ELb0ELb1ELc67ELc76EKS1_S1_EviT_T0_PT8_S3_lS6_S3_lS4_PT9_S3_li
		.amdhsa_group_segment_fixed_size 8192
		.amdhsa_private_segment_fixed_size 0
		.amdhsa_kernarg_size 116
		.amdhsa_user_sgpr_count 6
		.amdhsa_user_sgpr_private_segment_buffer 1
		.amdhsa_user_sgpr_dispatch_ptr 0
		.amdhsa_user_sgpr_queue_ptr 0
		.amdhsa_user_sgpr_kernarg_segment_ptr 1
		.amdhsa_user_sgpr_dispatch_id 0
		.amdhsa_user_sgpr_flat_scratch_init 0
		.amdhsa_user_sgpr_private_segment_size 0
		.amdhsa_uses_dynamic_stack 0
		.amdhsa_system_sgpr_private_segment_wavefront_offset 0
		.amdhsa_system_sgpr_workgroup_id_x 1
		.amdhsa_system_sgpr_workgroup_id_y 1
		.amdhsa_system_sgpr_workgroup_id_z 1
		.amdhsa_system_sgpr_workgroup_info 0
		.amdhsa_system_vgpr_workitem_id 1
		.amdhsa_next_free_vgpr 54
		.amdhsa_next_free_sgpr 61
		.amdhsa_reserve_vcc 1
		.amdhsa_reserve_flat_scratch 0
		.amdhsa_float_round_mode_32 0
		.amdhsa_float_round_mode_16_64 0
		.amdhsa_float_denorm_mode_32 3
		.amdhsa_float_denorm_mode_16_64 3
		.amdhsa_dx10_clamp 1
		.amdhsa_ieee_mode 1
		.amdhsa_fp16_overflow 0
		.amdhsa_exception_fp_ieee_invalid_op 0
		.amdhsa_exception_fp_denorm_src 0
		.amdhsa_exception_fp_ieee_div_zero 0
		.amdhsa_exception_fp_ieee_overflow 0
		.amdhsa_exception_fp_ieee_underflow 0
		.amdhsa_exception_fp_ieee_inexact 0
		.amdhsa_exception_int_div_zero 0
	.end_amdhsa_kernel
	.section	.text._ZL37rocblas_syrkx_herkx_restricted_kernelIi19rocblas_complex_numIdELi16ELi32ELi8ELb0ELb1ELc67ELc76EKS1_S1_EviT_T0_PT8_S3_lS6_S3_lS4_PT9_S3_li,"axG",@progbits,_ZL37rocblas_syrkx_herkx_restricted_kernelIi19rocblas_complex_numIdELi16ELi32ELi8ELb0ELb1ELc67ELc76EKS1_S1_EviT_T0_PT8_S3_lS6_S3_lS4_PT9_S3_li,comdat
.Lfunc_end418:
	.size	_ZL37rocblas_syrkx_herkx_restricted_kernelIi19rocblas_complex_numIdELi16ELi32ELi8ELb0ELb1ELc67ELc76EKS1_S1_EviT_T0_PT8_S3_lS6_S3_lS4_PT9_S3_li, .Lfunc_end418-_ZL37rocblas_syrkx_herkx_restricted_kernelIi19rocblas_complex_numIdELi16ELi32ELi8ELb0ELb1ELc67ELc76EKS1_S1_EviT_T0_PT8_S3_lS6_S3_lS4_PT9_S3_li
                                        ; -- End function
	.set _ZL37rocblas_syrkx_herkx_restricted_kernelIi19rocblas_complex_numIdELi16ELi32ELi8ELb0ELb1ELc67ELc76EKS1_S1_EviT_T0_PT8_S3_lS6_S3_lS4_PT9_S3_li.num_vgpr, 54
	.set _ZL37rocblas_syrkx_herkx_restricted_kernelIi19rocblas_complex_numIdELi16ELi32ELi8ELb0ELb1ELc67ELc76EKS1_S1_EviT_T0_PT8_S3_lS6_S3_lS4_PT9_S3_li.num_agpr, 0
	.set _ZL37rocblas_syrkx_herkx_restricted_kernelIi19rocblas_complex_numIdELi16ELi32ELi8ELb0ELb1ELc67ELc76EKS1_S1_EviT_T0_PT8_S3_lS6_S3_lS4_PT9_S3_li.numbered_sgpr, 30
	.set _ZL37rocblas_syrkx_herkx_restricted_kernelIi19rocblas_complex_numIdELi16ELi32ELi8ELb0ELb1ELc67ELc76EKS1_S1_EviT_T0_PT8_S3_lS6_S3_lS4_PT9_S3_li.num_named_barrier, 0
	.set _ZL37rocblas_syrkx_herkx_restricted_kernelIi19rocblas_complex_numIdELi16ELi32ELi8ELb0ELb1ELc67ELc76EKS1_S1_EviT_T0_PT8_S3_lS6_S3_lS4_PT9_S3_li.private_seg_size, 0
	.set _ZL37rocblas_syrkx_herkx_restricted_kernelIi19rocblas_complex_numIdELi16ELi32ELi8ELb0ELb1ELc67ELc76EKS1_S1_EviT_T0_PT8_S3_lS6_S3_lS4_PT9_S3_li.uses_vcc, 1
	.set _ZL37rocblas_syrkx_herkx_restricted_kernelIi19rocblas_complex_numIdELi16ELi32ELi8ELb0ELb1ELc67ELc76EKS1_S1_EviT_T0_PT8_S3_lS6_S3_lS4_PT9_S3_li.uses_flat_scratch, 0
	.set _ZL37rocblas_syrkx_herkx_restricted_kernelIi19rocblas_complex_numIdELi16ELi32ELi8ELb0ELb1ELc67ELc76EKS1_S1_EviT_T0_PT8_S3_lS6_S3_lS4_PT9_S3_li.has_dyn_sized_stack, 0
	.set _ZL37rocblas_syrkx_herkx_restricted_kernelIi19rocblas_complex_numIdELi16ELi32ELi8ELb0ELb1ELc67ELc76EKS1_S1_EviT_T0_PT8_S3_lS6_S3_lS4_PT9_S3_li.has_recursion, 0
	.set _ZL37rocblas_syrkx_herkx_restricted_kernelIi19rocblas_complex_numIdELi16ELi32ELi8ELb0ELb1ELc67ELc76EKS1_S1_EviT_T0_PT8_S3_lS6_S3_lS4_PT9_S3_li.has_indirect_call, 0
	.section	.AMDGPU.csdata,"",@progbits
; Kernel info:
; codeLenInByte = 3220
; TotalNumSgprs: 34
; NumVgprs: 54
; ScratchSize: 0
; MemoryBound: 0
; FloatMode: 240
; IeeeMode: 1
; LDSByteSize: 8192 bytes/workgroup (compile time only)
; SGPRBlocks: 8
; VGPRBlocks: 13
; NumSGPRsForWavesPerEU: 65
; NumVGPRsForWavesPerEU: 54
; Occupancy: 4
; WaveLimiterHint : 0
; COMPUTE_PGM_RSRC2:SCRATCH_EN: 0
; COMPUTE_PGM_RSRC2:USER_SGPR: 6
; COMPUTE_PGM_RSRC2:TRAP_HANDLER: 0
; COMPUTE_PGM_RSRC2:TGID_X_EN: 1
; COMPUTE_PGM_RSRC2:TGID_Y_EN: 1
; COMPUTE_PGM_RSRC2:TGID_Z_EN: 1
; COMPUTE_PGM_RSRC2:TIDIG_COMP_CNT: 1
	.section	.text._ZL37rocblas_syrkx_herkx_restricted_kernelIi19rocblas_complex_numIdELi16ELi32ELi8ELb0ELb1ELc78ELc76EKS1_S1_EviT_T0_PT8_S3_lS6_S3_lS4_PT9_S3_li,"axG",@progbits,_ZL37rocblas_syrkx_herkx_restricted_kernelIi19rocblas_complex_numIdELi16ELi32ELi8ELb0ELb1ELc78ELc76EKS1_S1_EviT_T0_PT8_S3_lS6_S3_lS4_PT9_S3_li,comdat
	.globl	_ZL37rocblas_syrkx_herkx_restricted_kernelIi19rocblas_complex_numIdELi16ELi32ELi8ELb0ELb1ELc78ELc76EKS1_S1_EviT_T0_PT8_S3_lS6_S3_lS4_PT9_S3_li ; -- Begin function _ZL37rocblas_syrkx_herkx_restricted_kernelIi19rocblas_complex_numIdELi16ELi32ELi8ELb0ELb1ELc78ELc76EKS1_S1_EviT_T0_PT8_S3_lS6_S3_lS4_PT9_S3_li
	.p2align	8
	.type	_ZL37rocblas_syrkx_herkx_restricted_kernelIi19rocblas_complex_numIdELi16ELi32ELi8ELb0ELb1ELc78ELc76EKS1_S1_EviT_T0_PT8_S3_lS6_S3_lS4_PT9_S3_li,@function
_ZL37rocblas_syrkx_herkx_restricted_kernelIi19rocblas_complex_numIdELi16ELi32ELi8ELb0ELb1ELc78ELc76EKS1_S1_EviT_T0_PT8_S3_lS6_S3_lS4_PT9_S3_li: ; @_ZL37rocblas_syrkx_herkx_restricted_kernelIi19rocblas_complex_numIdELi16ELi32ELi8ELb0ELb1ELc78ELc76EKS1_S1_EviT_T0_PT8_S3_lS6_S3_lS4_PT9_S3_li
; %bb.0:
	s_load_dwordx2 s[10:11], s[4:5], 0x0
	s_load_dwordx4 s[20:23], s[4:5], 0x8
	s_load_dwordx2 s[24:25], s[4:5], 0x18
	s_load_dwordx8 s[12:19], s[4:5], 0x40
	s_lshl_b32 s6, s6, 5
	s_lshl_b32 s7, s7, 5
	s_waitcnt lgkmcnt(0)
	s_cmp_lt_i32 s11, 1
	s_mov_b32 s9, 0
	s_cbranch_scc1 .LBB419_3
; %bb.1:
	s_load_dword s26, s[4:5], 0x20
	s_load_dword s28, s[4:5], 0x38
	s_load_dwordx4 s[0:3], s[4:5], 0x28
	v_lshl_add_u32 v2, v1, 4, v0
	v_lshrrev_b32_e32 v6, 3, v2
	v_lshrrev_b32_e32 v7, 5, v2
	v_and_b32_e32 v9, 31, v2
	v_add_u32_e32 v2, s7, v6
	v_and_b32_e32 v8, 7, v0
	v_ashrrev_i32_e32 v3, 31, v2
	s_waitcnt lgkmcnt(0)
	v_mad_i64_i32 v[4:5], s[30:31], s28, v8, v[2:3]
	v_lshlrev_b32_e32 v2, 4, v9
	v_lshl_or_b32 v22, v7, 9, v2
	v_lshlrev_b32_e32 v2, 4, v8
	v_lshl_or_b32 v2, v6, 7, v2
	v_add_u32_e32 v23, 0x1000, v2
	v_mov_b32_e32 v2, 0x1000
	v_lshl_add_u32 v25, v1, 7, v2
	v_add_u32_e32 v2, s6, v9
	v_ashrrev_i32_e32 v3, 31, v2
	v_mad_i64_i32 v[2:3], s[30:31], s26, v7, v[2:3]
	s_mul_i32 s1, s1, s8
	s_mul_hi_u32 s33, s0, s8
	s_add_i32 s1, s33, s1
	s_mul_i32 s0, s0, s8
	s_ashr_i32 s27, s26, 31
	s_ashr_i32 s29, s28, 31
	s_lshl_b64 s[0:1], s[0:1], 4
	v_lshlrev_b64 v[2:3], 4, v[2:3]
	s_add_u32 s0, s24, s0
	s_addc_u32 s1, s25, s1
	s_mul_i32 s13, s13, s8
	s_mul_hi_u32 s24, s12, s8
	v_mov_b32_e32 v6, s1
	v_add_co_u32_e32 v2, vcc, s0, v2
	s_add_i32 s13, s24, s13
	s_mul_i32 s12, s12, s8
	v_addc_co_u32_e32 v3, vcc, v6, v3, vcc
	s_lshl_b64 s[0:1], s[26:27], 7
	s_lshl_b64 s[12:13], s[12:13], 4
	v_add_co_u32_e32 v2, vcc, 8, v2
	v_lshlrev_b64 v[4:5], 4, v[4:5]
	s_add_u32 s2, s2, s12
	v_addc_co_u32_e32 v3, vcc, 0, v3, vcc
	s_addc_u32 s3, s3, s13
	v_mov_b32_e32 v6, s3
	v_add_co_u32_e32 v4, vcc, s2, v4
	v_addc_co_u32_e32 v5, vcc, v6, v5, vcc
	v_add_co_u32_e32 v4, vcc, 8, v4
	s_lshl_b64 s[2:3], s[28:29], 7
	v_mov_b32_e32 v6, 0
	v_mov_b32_e32 v8, 0
	;; [unrolled: 1-line block ×8, first 2 shown]
	v_lshlrev_b32_e32 v24, 4, v0
	v_addc_co_u32_e32 v5, vcc, 0, v5, vcc
	v_mov_b32_e32 v7, 0
	v_mov_b32_e32 v26, s1
	;; [unrolled: 1-line block ×10, first 2 shown]
.LBB419_2:                              ; =>This Inner Loop Header: Depth=1
	global_load_dwordx4 v[28:31], v[2:3], off offset:-8
	v_add_co_u32_e32 v2, vcc, s0, v2
	v_addc_co_u32_e32 v3, vcc, v3, v26, vcc
	s_add_i32 s9, s9, 8
	s_cmp_ge_i32 s9, s11
	s_waitcnt vmcnt(0)
	ds_write_b128 v22, v[28:31]
	global_load_dwordx4 v[28:31], v[4:5], off offset:-8
	v_add_co_u32_e32 v4, vcc, s2, v4
	v_addc_co_u32_e32 v5, vcc, v5, v27, vcc
	s_waitcnt vmcnt(0)
	v_xor_b32_e32 v31, 0x80000000, v31
	ds_write_b128 v23, v[28:31]
	s_waitcnt lgkmcnt(0)
	s_barrier
	ds_read_b128 v[28:31], v25
	ds_read_b128 v[32:35], v25 offset:16
	ds_read_b128 v[36:39], v25 offset:32
	;; [unrolled: 1-line block ×3, first 2 shown]
	ds_read_b128 v[44:47], v24
	s_waitcnt lgkmcnt(0)
	v_mul_f64 v[48:49], v[30:31], v[46:47]
	v_mul_f64 v[50:51], v[28:29], v[46:47]
	v_fma_f64 v[48:49], v[28:29], v[44:45], -v[48:49]
	v_fma_f64 v[50:51], v[30:31], v[44:45], v[50:51]
	v_add_f64 v[48:49], v[18:19], v[48:49]
	v_add_f64 v[50:51], v[50:51], v[20:21]
	ds_read_b128 v[18:21], v24 offset:256
	s_waitcnt lgkmcnt(0)
	v_mul_f64 v[52:53], v[30:31], v[20:21]
	v_fma_f64 v[52:53], v[28:29], v[18:19], -v[52:53]
	v_mul_f64 v[28:29], v[28:29], v[20:21]
	v_fma_f64 v[28:29], v[30:31], v[18:19], v[28:29]
	v_add_f64 v[30:31], v[10:11], v[52:53]
	v_add_f64 v[28:29], v[28:29], v[12:13]
	ds_read_b128 v[10:13], v25 offset:2048
	s_waitcnt lgkmcnt(0)
	v_mul_f64 v[52:53], v[12:13], v[46:47]
	v_mul_f64 v[46:47], v[10:11], v[46:47]
	v_fma_f64 v[52:53], v[10:11], v[44:45], -v[52:53]
	v_fma_f64 v[44:45], v[12:13], v[44:45], v[46:47]
	v_add_f64 v[46:47], v[14:15], v[52:53]
	v_mul_f64 v[14:15], v[12:13], v[20:21]
	v_add_f64 v[44:45], v[44:45], v[16:17]
	v_fma_f64 v[14:15], v[10:11], v[18:19], -v[14:15]
	v_mul_f64 v[10:11], v[10:11], v[20:21]
	v_fma_f64 v[10:11], v[12:13], v[18:19], v[10:11]
	v_add_f64 v[18:19], v[8:9], v[14:15]
	v_add_f64 v[20:21], v[10:11], v[6:7]
	ds_read_b128 v[6:9], v24 offset:512
	s_waitcnt lgkmcnt(0)
	v_mul_f64 v[10:11], v[34:35], v[8:9]
	v_mul_f64 v[12:13], v[32:33], v[8:9]
	v_fma_f64 v[10:11], v[32:33], v[6:7], -v[10:11]
	v_fma_f64 v[12:13], v[34:35], v[6:7], v[12:13]
	v_add_f64 v[48:49], v[48:49], v[10:11]
	v_add_f64 v[50:51], v[12:13], v[50:51]
	ds_read_b128 v[10:13], v24 offset:768
	s_waitcnt lgkmcnt(0)
	v_mul_f64 v[14:15], v[34:35], v[12:13]
	v_mul_f64 v[16:17], v[32:33], v[12:13]
	v_fma_f64 v[14:15], v[32:33], v[10:11], -v[14:15]
	;; [unrolled: 8-line block ×3, first 2 shown]
	v_fma_f64 v[6:7], v[16:17], v[6:7], v[8:9]
	v_mul_f64 v[8:9], v[14:15], v[12:13]
	v_add_f64 v[32:33], v[46:47], v[32:33]
	v_add_f64 v[34:35], v[6:7], v[44:45]
	v_mul_f64 v[6:7], v[16:17], v[12:13]
	v_fma_f64 v[8:9], v[16:17], v[10:11], v[8:9]
	v_fma_f64 v[6:7], v[14:15], v[10:11], -v[6:7]
	v_add_f64 v[20:21], v[8:9], v[20:21]
	v_add_f64 v[18:19], v[18:19], v[6:7]
	ds_read_b128 v[6:9], v24 offset:1024
	s_waitcnt lgkmcnt(0)
	v_mul_f64 v[10:11], v[38:39], v[8:9]
	v_mul_f64 v[12:13], v[36:37], v[8:9]
	v_fma_f64 v[10:11], v[36:37], v[6:7], -v[10:11]
	v_fma_f64 v[12:13], v[38:39], v[6:7], v[12:13]
	v_add_f64 v[44:45], v[48:49], v[10:11]
	v_add_f64 v[46:47], v[12:13], v[50:51]
	ds_read_b128 v[10:13], v24 offset:1280
	s_waitcnt lgkmcnt(0)
	v_mul_f64 v[14:15], v[38:39], v[12:13]
	v_mul_f64 v[16:17], v[36:37], v[12:13]
	v_fma_f64 v[14:15], v[36:37], v[10:11], -v[14:15]
	v_fma_f64 v[16:17], v[38:39], v[10:11], v[16:17]
	;; [unrolled: 8-line block ×3, first 2 shown]
	v_mul_f64 v[8:9], v[14:15], v[12:13]
	v_add_f64 v[32:33], v[32:33], v[36:37]
	v_add_f64 v[34:35], v[6:7], v[34:35]
	v_mul_f64 v[6:7], v[16:17], v[12:13]
	v_fma_f64 v[8:9], v[16:17], v[10:11], v[8:9]
	v_fma_f64 v[6:7], v[14:15], v[10:11], -v[6:7]
	v_add_f64 v[20:21], v[8:9], v[20:21]
	v_add_f64 v[18:19], v[18:19], v[6:7]
	ds_read_b128 v[6:9], v24 offset:1536
	s_waitcnt lgkmcnt(0)
	v_mul_f64 v[10:11], v[42:43], v[8:9]
	v_mul_f64 v[12:13], v[40:41], v[8:9]
	v_fma_f64 v[10:11], v[40:41], v[6:7], -v[10:11]
	v_fma_f64 v[12:13], v[42:43], v[6:7], v[12:13]
	v_add_f64 v[36:37], v[44:45], v[10:11]
	v_add_f64 v[38:39], v[12:13], v[46:47]
	ds_read_b128 v[10:13], v24 offset:1792
	s_waitcnt lgkmcnt(0)
	v_mul_f64 v[14:15], v[42:43], v[12:13]
	v_mul_f64 v[16:17], v[40:41], v[12:13]
	v_fma_f64 v[14:15], v[40:41], v[10:11], -v[14:15]
	v_fma_f64 v[16:17], v[42:43], v[10:11], v[16:17]
	;; [unrolled: 8-line block ×3, first 2 shown]
	v_mul_f64 v[8:9], v[14:15], v[12:13]
	v_add_f64 v[32:33], v[32:33], v[40:41]
	v_add_f64 v[34:35], v[6:7], v[34:35]
	v_mul_f64 v[6:7], v[16:17], v[12:13]
	v_fma_f64 v[8:9], v[16:17], v[10:11], v[8:9]
	v_fma_f64 v[6:7], v[14:15], v[10:11], -v[6:7]
	v_add_f64 v[20:21], v[8:9], v[20:21]
	v_add_f64 v[18:19], v[18:19], v[6:7]
	ds_read_b128 v[6:9], v25 offset:64
	ds_read_b128 v[10:13], v24 offset:2048
	s_waitcnt lgkmcnt(0)
	v_mul_f64 v[14:15], v[8:9], v[12:13]
	v_mul_f64 v[16:17], v[6:7], v[12:13]
	v_fma_f64 v[14:15], v[6:7], v[10:11], -v[14:15]
	v_fma_f64 v[16:17], v[8:9], v[10:11], v[16:17]
	v_add_f64 v[36:37], v[36:37], v[14:15]
	v_add_f64 v[38:39], v[16:17], v[38:39]
	ds_read_b128 v[14:17], v24 offset:2304
	s_waitcnt lgkmcnt(0)
	v_mul_f64 v[40:41], v[8:9], v[16:17]
	v_fma_f64 v[40:41], v[6:7], v[14:15], -v[40:41]
	v_mul_f64 v[6:7], v[6:7], v[16:17]
	v_add_f64 v[30:31], v[30:31], v[40:41]
	v_fma_f64 v[6:7], v[8:9], v[14:15], v[6:7]
	v_add_f64 v[28:29], v[6:7], v[28:29]
	ds_read_b128 v[6:9], v25 offset:2112
	s_waitcnt lgkmcnt(0)
	v_mul_f64 v[40:41], v[8:9], v[12:13]
	v_mul_f64 v[12:13], v[6:7], v[12:13]
	v_fma_f64 v[40:41], v[6:7], v[10:11], -v[40:41]
	v_fma_f64 v[10:11], v[8:9], v[10:11], v[12:13]
	v_add_f64 v[32:33], v[32:33], v[40:41]
	v_add_f64 v[34:35], v[10:11], v[34:35]
	v_mul_f64 v[10:11], v[8:9], v[16:17]
	v_fma_f64 v[10:11], v[6:7], v[14:15], -v[10:11]
	v_mul_f64 v[6:7], v[6:7], v[16:17]
	v_add_f64 v[18:19], v[18:19], v[10:11]
	v_fma_f64 v[6:7], v[8:9], v[14:15], v[6:7]
	v_add_f64 v[20:21], v[6:7], v[20:21]
	ds_read_b128 v[6:9], v25 offset:80
	ds_read_b128 v[10:13], v24 offset:2560
	s_waitcnt lgkmcnt(0)
	v_mul_f64 v[14:15], v[8:9], v[12:13]
	v_mul_f64 v[16:17], v[6:7], v[12:13]
	v_fma_f64 v[14:15], v[6:7], v[10:11], -v[14:15]
	v_fma_f64 v[16:17], v[8:9], v[10:11], v[16:17]
	v_add_f64 v[36:37], v[36:37], v[14:15]
	v_add_f64 v[38:39], v[16:17], v[38:39]
	ds_read_b128 v[14:17], v24 offset:2816
	s_waitcnt lgkmcnt(0)
	v_mul_f64 v[40:41], v[8:9], v[16:17]
	v_fma_f64 v[40:41], v[6:7], v[14:15], -v[40:41]
	v_mul_f64 v[6:7], v[6:7], v[16:17]
	v_add_f64 v[30:31], v[30:31], v[40:41]
	v_fma_f64 v[6:7], v[8:9], v[14:15], v[6:7]
	v_add_f64 v[28:29], v[6:7], v[28:29]
	ds_read_b128 v[6:9], v25 offset:2128
	s_waitcnt lgkmcnt(0)
	v_mul_f64 v[40:41], v[8:9], v[12:13]
	v_mul_f64 v[12:13], v[6:7], v[12:13]
	v_fma_f64 v[40:41], v[6:7], v[10:11], -v[40:41]
	v_fma_f64 v[10:11], v[8:9], v[10:11], v[12:13]
	v_add_f64 v[32:33], v[32:33], v[40:41]
	v_add_f64 v[34:35], v[10:11], v[34:35]
	v_mul_f64 v[10:11], v[8:9], v[16:17]
	v_fma_f64 v[10:11], v[6:7], v[14:15], -v[10:11]
	v_mul_f64 v[6:7], v[6:7], v[16:17]
	v_add_f64 v[18:19], v[18:19], v[10:11]
	v_fma_f64 v[6:7], v[8:9], v[14:15], v[6:7]
	;; [unrolled: 31-line block ×3, first 2 shown]
	v_add_f64 v[46:47], v[6:7], v[20:21]
	ds_read_b128 v[6:9], v25 offset:112
	ds_read_b128 v[14:17], v24 offset:3584
	;; [unrolled: 1-line block ×3, first 2 shown]
	s_waitcnt lgkmcnt(1)
	v_mul_f64 v[10:11], v[8:9], v[16:17]
	v_mul_f64 v[12:13], v[6:7], v[16:17]
	v_fma_f64 v[10:11], v[6:7], v[14:15], -v[10:11]
	v_fma_f64 v[12:13], v[8:9], v[14:15], v[12:13]
	v_add_f64 v[18:19], v[36:37], v[10:11]
	s_waitcnt lgkmcnt(0)
	v_mul_f64 v[10:11], v[8:9], v[30:31]
	v_add_f64 v[20:21], v[12:13], v[38:39]
	v_fma_f64 v[10:11], v[6:7], v[28:29], -v[10:11]
	v_mul_f64 v[6:7], v[6:7], v[30:31]
	v_add_f64 v[10:11], v[40:41], v[10:11]
	v_fma_f64 v[6:7], v[8:9], v[28:29], v[6:7]
	v_add_f64 v[12:13], v[6:7], v[42:43]
	ds_read_b128 v[6:9], v25 offset:2160
	s_waitcnt lgkmcnt(0)
	s_barrier
	v_mul_f64 v[36:37], v[8:9], v[16:17]
	v_mul_f64 v[16:17], v[6:7], v[16:17]
	v_fma_f64 v[36:37], v[6:7], v[14:15], -v[36:37]
	v_fma_f64 v[16:17], v[8:9], v[14:15], v[16:17]
	v_add_f64 v[14:15], v[32:33], v[36:37]
	v_mul_f64 v[32:33], v[8:9], v[30:31]
	v_add_f64 v[16:17], v[16:17], v[34:35]
	v_fma_f64 v[32:33], v[6:7], v[28:29], -v[32:33]
	v_mul_f64 v[6:7], v[6:7], v[30:31]
	v_fma_f64 v[6:7], v[8:9], v[28:29], v[6:7]
	v_add_f64 v[8:9], v[44:45], v[32:33]
	v_add_f64 v[6:7], v[6:7], v[46:47]
	s_cbranch_scc0 .LBB419_2
	s_branch .LBB419_4
.LBB419_3:
	v_mov_b32_e32 v18, 0
	v_mov_b32_e32 v20, 0
	;; [unrolled: 1-line block ×16, first 2 shown]
.LBB419_4:
	s_load_dwordx2 s[0:1], s[4:5], 0x68
	s_load_dword s9, s[4:5], 0x60
	v_add_u32_e32 v4, s7, v1
	v_add_u32_e32 v0, s6, v0
	s_waitcnt lgkmcnt(0)
	s_mul_i32 s1, s1, s8
	s_mul_hi_u32 s2, s0, s8
	s_add_i32 s1, s2, s1
	v_mad_i64_i32 v[1:2], s[2:3], v4, s9, 0
	s_mul_i32 s0, s0, s8
	s_lshl_b64 s[0:1], s[0:1], 4
	s_add_u32 s7, s18, s0
	v_lshlrev_b64 v[1:2], 4, v[1:2]
	s_addc_u32 s8, s19, s1
	v_mov_b32_e32 v3, s8
	v_add_co_u32_e32 v5, vcc, s7, v1
	v_addc_co_u32_e32 v22, vcc, v3, v2, vcc
	v_cmp_le_i32_e64 s[0:1], v4, v0
	v_cmp_gt_i32_e32 vcc, s10, v0
	s_and_b64 s[0:1], s[0:1], vcc
	s_and_saveexec_b64 s[2:3], s[0:1]
	s_cbranch_execz .LBB419_6
; %bb.5:
	v_ashrrev_i32_e32 v1, 31, v0
	v_lshlrev_b64 v[1:2], 4, v[0:1]
	v_mul_f64 v[27:28], s[20:21], v[20:21]
	v_add_co_u32_e64 v1, s[0:1], v5, v1
	v_addc_co_u32_e64 v2, s[0:1], v22, v2, s[0:1]
	global_load_dwordx4 v[23:26], v[1:2], off
	v_mul_f64 v[20:21], s[22:23], v[20:21]
	v_cmp_ne_u32_e64 s[0:1], v4, v0
	v_fma_f64 v[27:28], s[22:23], v[18:19], v[27:28]
	v_fma_f64 v[18:19], s[20:21], v[18:19], -v[20:21]
	s_waitcnt vmcnt(0)
	v_mul_f64 v[29:30], s[14:15], v[25:26]
	v_mul_f64 v[25:26], s[16:17], v[25:26]
	v_fma_f64 v[29:30], s[16:17], v[23:24], v[29:30]
	v_fma_f64 v[20:21], s[14:15], v[23:24], -v[25:26]
	v_add_f64 v[23:24], v[27:28], v[29:30]
	v_add_f64 v[18:19], v[18:19], v[20:21]
	v_cndmask_b32_e64 v21, 0, v24, s[0:1]
	v_cndmask_b32_e64 v20, 0, v23, s[0:1]
	global_store_dwordx4 v[1:2], v[18:21], off
.LBB419_6:
	s_or_b64 exec, exec, s[2:3]
	v_add_u32_e32 v2, 16, v0
	v_cmp_le_i32_e64 s[2:3], v4, v2
	v_cmp_gt_i32_e64 s[0:1], s10, v2
	s_and_b64 s[2:3], s[2:3], s[0:1]
	s_and_saveexec_b64 s[4:5], s[2:3]
	s_cbranch_execz .LBB419_8
; %bb.7:
	v_ashrrev_i32_e32 v3, 31, v2
	v_lshlrev_b64 v[18:19], 4, v[2:3]
	v_mul_f64 v[25:26], s[20:21], v[12:13]
	v_add_co_u32_e64 v23, s[2:3], v5, v18
	v_addc_co_u32_e64 v24, s[2:3], v22, v19, s[2:3]
	global_load_dwordx4 v[18:21], v[23:24], off
	v_mul_f64 v[12:13], s[22:23], v[12:13]
	v_cmp_ne_u32_e64 s[2:3], v4, v2
	v_fma_f64 v[25:26], s[22:23], v[10:11], v[25:26]
	v_fma_f64 v[10:11], s[20:21], v[10:11], -v[12:13]
	s_waitcnt vmcnt(0)
	v_mul_f64 v[27:28], s[14:15], v[20:21]
	v_mul_f64 v[20:21], s[16:17], v[20:21]
	v_fma_f64 v[27:28], s[16:17], v[18:19], v[27:28]
	v_fma_f64 v[12:13], s[14:15], v[18:19], -v[20:21]
	v_add_f64 v[18:19], v[25:26], v[27:28]
	v_add_f64 v[10:11], v[10:11], v[12:13]
	v_cndmask_b32_e64 v13, 0, v19, s[2:3]
	v_cndmask_b32_e64 v12, 0, v18, s[2:3]
	global_store_dwordx4 v[23:24], v[10:13], off
.LBB419_8:
	s_or_b64 exec, exec, s[4:5]
	v_add_u32_e32 v3, 16, v4
	v_mad_i64_i32 v[10:11], s[2:3], v3, s9, 0
	v_mov_b32_e32 v1, s8
	v_lshlrev_b64 v[10:11], 4, v[10:11]
	v_add_co_u32_e64 v5, s[2:3], s7, v10
	v_addc_co_u32_e64 v10, s[2:3], v1, v11, s[2:3]
	v_cmp_le_i32_e64 s[2:3], v3, v0
	s_and_b64 s[4:5], s[2:3], vcc
	s_and_saveexec_b64 s[2:3], s[4:5]
	s_cbranch_execz .LBB419_10
; %bb.9:
	v_ashrrev_i32_e32 v1, 31, v0
	v_lshlrev_b64 v[11:12], 4, v[0:1]
	v_add_co_u32_e32 v22, vcc, v5, v11
	v_addc_co_u32_e32 v23, vcc, v10, v12, vcc
	global_load_dwordx4 v[18:21], v[22:23], off
	v_mul_f64 v[11:12], s[20:21], v[16:17]
	v_mul_f64 v[16:17], s[22:23], v[16:17]
	v_cmp_ne_u32_e32 vcc, v3, v0
	v_fma_f64 v[11:12], s[22:23], v[14:15], v[11:12]
	v_fma_f64 v[13:14], s[20:21], v[14:15], -v[16:17]
	s_waitcnt vmcnt(0)
	v_mul_f64 v[24:25], s[14:15], v[20:21]
	v_mul_f64 v[20:21], s[16:17], v[20:21]
	v_fma_f64 v[24:25], s[16:17], v[18:19], v[24:25]
	v_fma_f64 v[15:16], s[14:15], v[18:19], -v[20:21]
	v_add_f64 v[17:18], v[11:12], v[24:25]
	v_add_f64 v[11:12], v[13:14], v[15:16]
	v_cndmask_b32_e32 v14, 0, v18, vcc
	v_cndmask_b32_e32 v13, 0, v17, vcc
	global_store_dwordx4 v[22:23], v[11:14], off
.LBB419_10:
	s_or_b64 exec, exec, s[2:3]
	v_cmp_le_i32_e32 vcc, v3, v2
	s_and_b64 s[0:1], vcc, s[0:1]
	s_and_saveexec_b64 s[2:3], s[0:1]
	s_cbranch_execz .LBB419_12
; %bb.11:
	v_ashrrev_i32_e32 v3, 31, v2
	v_lshlrev_b64 v[1:2], 4, v[2:3]
	v_add_co_u32_e32 v14, vcc, v5, v1
	v_addc_co_u32_e32 v15, vcc, v10, v2, vcc
	global_load_dwordx4 v[10:13], v[14:15], off
	v_mul_f64 v[1:2], s[20:21], v[6:7]
	v_mul_f64 v[5:6], s[22:23], v[6:7]
	v_cmp_ne_u32_e32 vcc, v4, v0
	v_fma_f64 v[1:2], s[22:23], v[8:9], v[1:2]
	v_fma_f64 v[5:6], s[20:21], v[8:9], -v[5:6]
	s_waitcnt vmcnt(0)
	v_mul_f64 v[16:17], s[14:15], v[12:13]
	v_mul_f64 v[12:13], s[16:17], v[12:13]
	v_fma_f64 v[16:17], s[16:17], v[10:11], v[16:17]
	v_fma_f64 v[7:8], s[14:15], v[10:11], -v[12:13]
	v_add_f64 v[9:10], v[1:2], v[16:17]
	v_add_f64 v[1:2], v[5:6], v[7:8]
	v_cndmask_b32_e32 v4, 0, v10, vcc
	v_cndmask_b32_e32 v3, 0, v9, vcc
	global_store_dwordx4 v[14:15], v[1:4], off
.LBB419_12:
	s_endpgm
	.section	.rodata,"a",@progbits
	.p2align	6, 0x0
	.amdhsa_kernel _ZL37rocblas_syrkx_herkx_restricted_kernelIi19rocblas_complex_numIdELi16ELi32ELi8ELb0ELb1ELc78ELc76EKS1_S1_EviT_T0_PT8_S3_lS6_S3_lS4_PT9_S3_li
		.amdhsa_group_segment_fixed_size 8192
		.amdhsa_private_segment_fixed_size 0
		.amdhsa_kernarg_size 116
		.amdhsa_user_sgpr_count 6
		.amdhsa_user_sgpr_private_segment_buffer 1
		.amdhsa_user_sgpr_dispatch_ptr 0
		.amdhsa_user_sgpr_queue_ptr 0
		.amdhsa_user_sgpr_kernarg_segment_ptr 1
		.amdhsa_user_sgpr_dispatch_id 0
		.amdhsa_user_sgpr_flat_scratch_init 0
		.amdhsa_user_sgpr_private_segment_size 0
		.amdhsa_uses_dynamic_stack 0
		.amdhsa_system_sgpr_private_segment_wavefront_offset 0
		.amdhsa_system_sgpr_workgroup_id_x 1
		.amdhsa_system_sgpr_workgroup_id_y 1
		.amdhsa_system_sgpr_workgroup_id_z 1
		.amdhsa_system_sgpr_workgroup_info 0
		.amdhsa_system_vgpr_workitem_id 1
		.amdhsa_next_free_vgpr 54
		.amdhsa_next_free_sgpr 61
		.amdhsa_reserve_vcc 1
		.amdhsa_reserve_flat_scratch 0
		.amdhsa_float_round_mode_32 0
		.amdhsa_float_round_mode_16_64 0
		.amdhsa_float_denorm_mode_32 3
		.amdhsa_float_denorm_mode_16_64 3
		.amdhsa_dx10_clamp 1
		.amdhsa_ieee_mode 1
		.amdhsa_fp16_overflow 0
		.amdhsa_exception_fp_ieee_invalid_op 0
		.amdhsa_exception_fp_denorm_src 0
		.amdhsa_exception_fp_ieee_div_zero 0
		.amdhsa_exception_fp_ieee_overflow 0
		.amdhsa_exception_fp_ieee_underflow 0
		.amdhsa_exception_fp_ieee_inexact 0
		.amdhsa_exception_int_div_zero 0
	.end_amdhsa_kernel
	.section	.text._ZL37rocblas_syrkx_herkx_restricted_kernelIi19rocblas_complex_numIdELi16ELi32ELi8ELb0ELb1ELc78ELc76EKS1_S1_EviT_T0_PT8_S3_lS6_S3_lS4_PT9_S3_li,"axG",@progbits,_ZL37rocblas_syrkx_herkx_restricted_kernelIi19rocblas_complex_numIdELi16ELi32ELi8ELb0ELb1ELc78ELc76EKS1_S1_EviT_T0_PT8_S3_lS6_S3_lS4_PT9_S3_li,comdat
.Lfunc_end419:
	.size	_ZL37rocblas_syrkx_herkx_restricted_kernelIi19rocblas_complex_numIdELi16ELi32ELi8ELb0ELb1ELc78ELc76EKS1_S1_EviT_T0_PT8_S3_lS6_S3_lS4_PT9_S3_li, .Lfunc_end419-_ZL37rocblas_syrkx_herkx_restricted_kernelIi19rocblas_complex_numIdELi16ELi32ELi8ELb0ELb1ELc78ELc76EKS1_S1_EviT_T0_PT8_S3_lS6_S3_lS4_PT9_S3_li
                                        ; -- End function
	.set _ZL37rocblas_syrkx_herkx_restricted_kernelIi19rocblas_complex_numIdELi16ELi32ELi8ELb0ELb1ELc78ELc76EKS1_S1_EviT_T0_PT8_S3_lS6_S3_lS4_PT9_S3_li.num_vgpr, 54
	.set _ZL37rocblas_syrkx_herkx_restricted_kernelIi19rocblas_complex_numIdELi16ELi32ELi8ELb0ELb1ELc78ELc76EKS1_S1_EviT_T0_PT8_S3_lS6_S3_lS4_PT9_S3_li.num_agpr, 0
	.set _ZL37rocblas_syrkx_herkx_restricted_kernelIi19rocblas_complex_numIdELi16ELi32ELi8ELb0ELb1ELc78ELc76EKS1_S1_EviT_T0_PT8_S3_lS6_S3_lS4_PT9_S3_li.numbered_sgpr, 34
	.set _ZL37rocblas_syrkx_herkx_restricted_kernelIi19rocblas_complex_numIdELi16ELi32ELi8ELb0ELb1ELc78ELc76EKS1_S1_EviT_T0_PT8_S3_lS6_S3_lS4_PT9_S3_li.num_named_barrier, 0
	.set _ZL37rocblas_syrkx_herkx_restricted_kernelIi19rocblas_complex_numIdELi16ELi32ELi8ELb0ELb1ELc78ELc76EKS1_S1_EviT_T0_PT8_S3_lS6_S3_lS4_PT9_S3_li.private_seg_size, 0
	.set _ZL37rocblas_syrkx_herkx_restricted_kernelIi19rocblas_complex_numIdELi16ELi32ELi8ELb0ELb1ELc78ELc76EKS1_S1_EviT_T0_PT8_S3_lS6_S3_lS4_PT9_S3_li.uses_vcc, 1
	.set _ZL37rocblas_syrkx_herkx_restricted_kernelIi19rocblas_complex_numIdELi16ELi32ELi8ELb0ELb1ELc78ELc76EKS1_S1_EviT_T0_PT8_S3_lS6_S3_lS4_PT9_S3_li.uses_flat_scratch, 0
	.set _ZL37rocblas_syrkx_herkx_restricted_kernelIi19rocblas_complex_numIdELi16ELi32ELi8ELb0ELb1ELc78ELc76EKS1_S1_EviT_T0_PT8_S3_lS6_S3_lS4_PT9_S3_li.has_dyn_sized_stack, 0
	.set _ZL37rocblas_syrkx_herkx_restricted_kernelIi19rocblas_complex_numIdELi16ELi32ELi8ELb0ELb1ELc78ELc76EKS1_S1_EviT_T0_PT8_S3_lS6_S3_lS4_PT9_S3_li.has_recursion, 0
	.set _ZL37rocblas_syrkx_herkx_restricted_kernelIi19rocblas_complex_numIdELi16ELi32ELi8ELb0ELb1ELc78ELc76EKS1_S1_EviT_T0_PT8_S3_lS6_S3_lS4_PT9_S3_li.has_indirect_call, 0
	.section	.AMDGPU.csdata,"",@progbits
; Kernel info:
; codeLenInByte = 3236
; TotalNumSgprs: 38
; NumVgprs: 54
; ScratchSize: 0
; MemoryBound: 0
; FloatMode: 240
; IeeeMode: 1
; LDSByteSize: 8192 bytes/workgroup (compile time only)
; SGPRBlocks: 8
; VGPRBlocks: 13
; NumSGPRsForWavesPerEU: 65
; NumVGPRsForWavesPerEU: 54
; Occupancy: 4
; WaveLimiterHint : 0
; COMPUTE_PGM_RSRC2:SCRATCH_EN: 0
; COMPUTE_PGM_RSRC2:USER_SGPR: 6
; COMPUTE_PGM_RSRC2:TRAP_HANDLER: 0
; COMPUTE_PGM_RSRC2:TGID_X_EN: 1
; COMPUTE_PGM_RSRC2:TGID_Y_EN: 1
; COMPUTE_PGM_RSRC2:TGID_Z_EN: 1
; COMPUTE_PGM_RSRC2:TIDIG_COMP_CNT: 1
	.section	.text._ZL37rocblas_syrkx_herkx_restricted_kernelIi19rocblas_complex_numIdELi16ELi32ELi8ELb0ELb1ELc84ELc85EKS1_S1_EviT_T0_PT8_S3_lS6_S3_lS4_PT9_S3_li,"axG",@progbits,_ZL37rocblas_syrkx_herkx_restricted_kernelIi19rocblas_complex_numIdELi16ELi32ELi8ELb0ELb1ELc84ELc85EKS1_S1_EviT_T0_PT8_S3_lS6_S3_lS4_PT9_S3_li,comdat
	.globl	_ZL37rocblas_syrkx_herkx_restricted_kernelIi19rocblas_complex_numIdELi16ELi32ELi8ELb0ELb1ELc84ELc85EKS1_S1_EviT_T0_PT8_S3_lS6_S3_lS4_PT9_S3_li ; -- Begin function _ZL37rocblas_syrkx_herkx_restricted_kernelIi19rocblas_complex_numIdELi16ELi32ELi8ELb0ELb1ELc84ELc85EKS1_S1_EviT_T0_PT8_S3_lS6_S3_lS4_PT9_S3_li
	.p2align	8
	.type	_ZL37rocblas_syrkx_herkx_restricted_kernelIi19rocblas_complex_numIdELi16ELi32ELi8ELb0ELb1ELc84ELc85EKS1_S1_EviT_T0_PT8_S3_lS6_S3_lS4_PT9_S3_li,@function
_ZL37rocblas_syrkx_herkx_restricted_kernelIi19rocblas_complex_numIdELi16ELi32ELi8ELb0ELb1ELc84ELc85EKS1_S1_EviT_T0_PT8_S3_lS6_S3_lS4_PT9_S3_li: ; @_ZL37rocblas_syrkx_herkx_restricted_kernelIi19rocblas_complex_numIdELi16ELi32ELi8ELb0ELb1ELc84ELc85EKS1_S1_EviT_T0_PT8_S3_lS6_S3_lS4_PT9_S3_li
; %bb.0:
	s_load_dwordx2 s[10:11], s[4:5], 0x0
	s_load_dwordx4 s[20:23], s[4:5], 0x8
	s_load_dwordx2 s[24:25], s[4:5], 0x18
	s_load_dwordx8 s[12:19], s[4:5], 0x40
	s_lshl_b32 s6, s6, 5
	s_lshl_b32 s7, s7, 5
	s_waitcnt lgkmcnt(0)
	s_cmp_lt_i32 s11, 1
	s_mov_b32 s9, 0
	s_cbranch_scc1 .LBB420_3
; %bb.1:
	s_load_dword s28, s[4:5], 0x20
	s_load_dwordx4 s[0:3], s[4:5], 0x28
	s_load_dword s26, s[4:5], 0x38
	v_lshl_add_u32 v3, v1, 4, v0
	v_lshrrev_b32_e32 v8, 3, v3
	v_lshrrev_b32_e32 v2, 5, v3
	v_and_b32_e32 v4, 7, v0
	v_and_b32_e32 v9, 31, v3
	v_add_u32_e32 v3, s7, v8
	v_mov_b32_e32 v5, 0
	s_waitcnt lgkmcnt(0)
	v_mad_i64_i32 v[6:7], s[26:27], s26, v3, v[4:5]
	v_lshlrev_b32_e32 v4, 4, v4
	v_lshl_or_b32 v4, v8, 7, v4
	v_add_u32_e32 v23, 0x1000, v4
	v_mov_b32_e32 v4, 0x1000
	v_mov_b32_e32 v3, v5
	v_lshlrev_b32_e32 v5, 4, v9
	v_lshl_add_u32 v25, v1, 7, v4
	v_add_u32_e32 v4, s6, v9
	v_lshl_or_b32 v22, v2, 9, v5
	v_mad_i64_i32 v[2:3], s[26:27], s28, v4, v[2:3]
	s_mul_i32 s1, s1, s8
	s_mul_hi_u32 s29, s0, s8
	s_add_i32 s1, s29, s1
	s_mul_i32 s0, s0, s8
	s_lshl_b64 s[0:1], s[0:1], 4
	v_lshlrev_b64 v[2:3], 4, v[2:3]
	s_add_u32 s0, s24, s0
	s_addc_u32 s1, s25, s1
	v_mov_b32_e32 v4, s1
	v_add_co_u32_e32 v2, vcc, s0, v2
	s_mul_i32 s0, s13, s8
	s_mul_hi_u32 s1, s12, s8
	s_add_i32 s1, s1, s0
	s_mul_i32 s0, s12, s8
	v_addc_co_u32_e32 v3, vcc, v4, v3, vcc
	s_lshl_b64 s[0:1], s[0:1], 4
	v_add_co_u32_e32 v2, vcc, 8, v2
	v_lshlrev_b64 v[4:5], 4, v[6:7]
	s_add_u32 s0, s2, s0
	v_addc_co_u32_e32 v3, vcc, 0, v3, vcc
	s_addc_u32 s1, s3, s1
	v_mov_b32_e32 v6, s1
	v_add_co_u32_e32 v4, vcc, s0, v4
	v_addc_co_u32_e32 v5, vcc, v6, v5, vcc
	v_mov_b32_e32 v10, 0
	v_mov_b32_e32 v8, 0
	;; [unrolled: 1-line block ×8, first 2 shown]
	v_add_co_u32_e32 v4, vcc, 8, v4
	v_lshlrev_b32_e32 v24, 4, v0
	v_mov_b32_e32 v11, 0
	v_mov_b32_e32 v9, 0
	;; [unrolled: 1-line block ×8, first 2 shown]
	v_addc_co_u32_e32 v5, vcc, 0, v5, vcc
.LBB420_2:                              ; =>This Inner Loop Header: Depth=1
	global_load_dwordx4 v[26:29], v[2:3], off offset:-8
	v_add_co_u32_e32 v2, vcc, 0x80, v2
	v_addc_co_u32_e32 v3, vcc, 0, v3, vcc
	s_add_i32 s9, s9, 8
	s_cmp_ge_i32 s9, s11
	s_waitcnt vmcnt(0)
	ds_write_b128 v22, v[26:29]
	global_load_dwordx4 v[26:29], v[4:5], off offset:-8
	v_add_co_u32_e32 v4, vcc, 0x80, v4
	v_addc_co_u32_e32 v5, vcc, 0, v5, vcc
	s_waitcnt vmcnt(0)
	ds_write_b128 v23, v[26:29]
	s_waitcnt lgkmcnt(0)
	s_barrier
	ds_read_b128 v[26:29], v25
	ds_read_b128 v[30:33], v25 offset:16
	ds_read_b128 v[34:37], v25 offset:32
	;; [unrolled: 1-line block ×3, first 2 shown]
	ds_read_b128 v[42:45], v24
	s_waitcnt lgkmcnt(0)
	v_mul_f64 v[46:47], v[28:29], v[44:45]
	v_mul_f64 v[48:49], v[26:27], v[44:45]
	v_fma_f64 v[46:47], v[26:27], v[42:43], -v[46:47]
	v_fma_f64 v[48:49], v[28:29], v[42:43], v[48:49]
	v_add_f64 v[46:47], v[18:19], v[46:47]
	v_add_f64 v[48:49], v[48:49], v[20:21]
	ds_read_b128 v[18:21], v24 offset:256
	s_waitcnt lgkmcnt(0)
	v_mul_f64 v[50:51], v[28:29], v[20:21]
	v_fma_f64 v[50:51], v[26:27], v[18:19], -v[50:51]
	v_mul_f64 v[26:27], v[26:27], v[20:21]
	v_add_f64 v[50:51], v[6:7], v[50:51]
	v_fma_f64 v[26:27], v[28:29], v[18:19], v[26:27]
	v_add_f64 v[52:53], v[26:27], v[12:13]
	ds_read_b128 v[26:29], v25 offset:2048
	s_waitcnt lgkmcnt(0)
	v_mul_f64 v[6:7], v[28:29], v[44:45]
	v_mul_f64 v[12:13], v[26:27], v[44:45]
	v_fma_f64 v[6:7], v[26:27], v[42:43], -v[6:7]
	v_fma_f64 v[12:13], v[28:29], v[42:43], v[12:13]
	v_add_f64 v[42:43], v[14:15], v[6:7]
	v_mul_f64 v[6:7], v[28:29], v[20:21]
	v_add_f64 v[44:45], v[12:13], v[16:17]
	v_mul_f64 v[12:13], v[26:27], v[20:21]
	v_fma_f64 v[6:7], v[26:27], v[18:19], -v[6:7]
	v_fma_f64 v[12:13], v[28:29], v[18:19], v[12:13]
	v_add_f64 v[18:19], v[8:9], v[6:7]
	ds_read_b128 v[6:9], v24 offset:512
	v_add_f64 v[20:21], v[12:13], v[10:11]
	s_waitcnt lgkmcnt(0)
	v_mul_f64 v[10:11], v[32:33], v[8:9]
	v_mul_f64 v[12:13], v[30:31], v[8:9]
	v_fma_f64 v[10:11], v[30:31], v[6:7], -v[10:11]
	v_fma_f64 v[12:13], v[32:33], v[6:7], v[12:13]
	v_add_f64 v[26:27], v[46:47], v[10:11]
	v_add_f64 v[28:29], v[12:13], v[48:49]
	ds_read_b128 v[10:13], v24 offset:768
	s_waitcnt lgkmcnt(0)
	v_mul_f64 v[14:15], v[32:33], v[12:13]
	v_mul_f64 v[16:17], v[30:31], v[12:13]
	v_fma_f64 v[14:15], v[30:31], v[10:11], -v[14:15]
	v_fma_f64 v[16:17], v[32:33], v[10:11], v[16:17]
	v_add_f64 v[30:31], v[50:51], v[14:15]
	v_add_f64 v[32:33], v[16:17], v[52:53]
	ds_read_b128 v[14:17], v25 offset:2064
	s_waitcnt lgkmcnt(0)
	v_mul_f64 v[46:47], v[16:17], v[8:9]
	v_mul_f64 v[8:9], v[14:15], v[8:9]
	v_fma_f64 v[46:47], v[14:15], v[6:7], -v[46:47]
	v_fma_f64 v[6:7], v[16:17], v[6:7], v[8:9]
	v_mul_f64 v[8:9], v[14:15], v[12:13]
	v_add_f64 v[42:43], v[42:43], v[46:47]
	v_add_f64 v[44:45], v[6:7], v[44:45]
	v_mul_f64 v[6:7], v[16:17], v[12:13]
	v_fma_f64 v[8:9], v[16:17], v[10:11], v[8:9]
	v_fma_f64 v[6:7], v[14:15], v[10:11], -v[6:7]
	v_add_f64 v[20:21], v[8:9], v[20:21]
	v_add_f64 v[18:19], v[18:19], v[6:7]
	ds_read_b128 v[6:9], v24 offset:1024
	s_waitcnt lgkmcnt(0)
	v_mul_f64 v[10:11], v[36:37], v[8:9]
	v_mul_f64 v[12:13], v[34:35], v[8:9]
	v_fma_f64 v[10:11], v[34:35], v[6:7], -v[10:11]
	v_fma_f64 v[12:13], v[36:37], v[6:7], v[12:13]
	v_add_f64 v[26:27], v[26:27], v[10:11]
	v_add_f64 v[28:29], v[12:13], v[28:29]
	ds_read_b128 v[10:13], v24 offset:1280
	s_waitcnt lgkmcnt(0)
	v_mul_f64 v[14:15], v[36:37], v[12:13]
	v_mul_f64 v[16:17], v[34:35], v[12:13]
	v_fma_f64 v[14:15], v[34:35], v[10:11], -v[14:15]
	v_fma_f64 v[16:17], v[36:37], v[10:11], v[16:17]
	v_add_f64 v[30:31], v[30:31], v[14:15]
	v_add_f64 v[32:33], v[16:17], v[32:33]
	ds_read_b128 v[14:17], v25 offset:2080
	s_waitcnt lgkmcnt(0)
	v_mul_f64 v[34:35], v[16:17], v[8:9]
	v_mul_f64 v[8:9], v[14:15], v[8:9]
	v_fma_f64 v[34:35], v[14:15], v[6:7], -v[34:35]
	v_fma_f64 v[6:7], v[16:17], v[6:7], v[8:9]
	v_mul_f64 v[8:9], v[14:15], v[12:13]
	v_add_f64 v[34:35], v[42:43], v[34:35]
	v_add_f64 v[36:37], v[6:7], v[44:45]
	v_mul_f64 v[6:7], v[16:17], v[12:13]
	v_fma_f64 v[8:9], v[16:17], v[10:11], v[8:9]
	v_fma_f64 v[6:7], v[14:15], v[10:11], -v[6:7]
	v_add_f64 v[20:21], v[8:9], v[20:21]
	v_add_f64 v[18:19], v[18:19], v[6:7]
	ds_read_b128 v[6:9], v24 offset:1536
	;; [unrolled: 30-line block ×3, first 2 shown]
	ds_read_b128 v[10:13], v24 offset:2048
	s_waitcnt lgkmcnt(0)
	v_mul_f64 v[14:15], v[8:9], v[12:13]
	v_mul_f64 v[16:17], v[6:7], v[12:13]
	v_fma_f64 v[14:15], v[6:7], v[10:11], -v[14:15]
	v_fma_f64 v[16:17], v[8:9], v[10:11], v[16:17]
	v_add_f64 v[26:27], v[26:27], v[14:15]
	v_add_f64 v[28:29], v[16:17], v[28:29]
	ds_read_b128 v[14:17], v24 offset:2304
	s_waitcnt lgkmcnt(0)
	v_mul_f64 v[38:39], v[8:9], v[16:17]
	v_fma_f64 v[38:39], v[6:7], v[14:15], -v[38:39]
	v_mul_f64 v[6:7], v[6:7], v[16:17]
	v_add_f64 v[30:31], v[30:31], v[38:39]
	v_fma_f64 v[6:7], v[8:9], v[14:15], v[6:7]
	v_add_f64 v[32:33], v[6:7], v[32:33]
	ds_read_b128 v[6:9], v25 offset:2112
	s_waitcnt lgkmcnt(0)
	v_mul_f64 v[38:39], v[8:9], v[12:13]
	v_mul_f64 v[12:13], v[6:7], v[12:13]
	v_fma_f64 v[38:39], v[6:7], v[10:11], -v[38:39]
	v_fma_f64 v[10:11], v[8:9], v[10:11], v[12:13]
	v_add_f64 v[34:35], v[34:35], v[38:39]
	v_add_f64 v[36:37], v[10:11], v[36:37]
	v_mul_f64 v[10:11], v[8:9], v[16:17]
	v_fma_f64 v[10:11], v[6:7], v[14:15], -v[10:11]
	v_mul_f64 v[6:7], v[6:7], v[16:17]
	v_add_f64 v[18:19], v[18:19], v[10:11]
	v_fma_f64 v[6:7], v[8:9], v[14:15], v[6:7]
	v_add_f64 v[20:21], v[6:7], v[20:21]
	ds_read_b128 v[6:9], v25 offset:80
	ds_read_b128 v[10:13], v24 offset:2560
	s_waitcnt lgkmcnt(0)
	v_mul_f64 v[14:15], v[8:9], v[12:13]
	v_mul_f64 v[16:17], v[6:7], v[12:13]
	v_fma_f64 v[14:15], v[6:7], v[10:11], -v[14:15]
	v_fma_f64 v[16:17], v[8:9], v[10:11], v[16:17]
	v_add_f64 v[26:27], v[26:27], v[14:15]
	v_add_f64 v[28:29], v[16:17], v[28:29]
	ds_read_b128 v[14:17], v24 offset:2816
	s_waitcnt lgkmcnt(0)
	v_mul_f64 v[38:39], v[8:9], v[16:17]
	v_fma_f64 v[38:39], v[6:7], v[14:15], -v[38:39]
	v_mul_f64 v[6:7], v[6:7], v[16:17]
	v_add_f64 v[30:31], v[30:31], v[38:39]
	v_fma_f64 v[6:7], v[8:9], v[14:15], v[6:7]
	v_add_f64 v[32:33], v[6:7], v[32:33]
	ds_read_b128 v[6:9], v25 offset:2128
	s_waitcnt lgkmcnt(0)
	v_mul_f64 v[38:39], v[8:9], v[12:13]
	v_mul_f64 v[12:13], v[6:7], v[12:13]
	v_fma_f64 v[38:39], v[6:7], v[10:11], -v[38:39]
	v_fma_f64 v[10:11], v[8:9], v[10:11], v[12:13]
	v_add_f64 v[34:35], v[34:35], v[38:39]
	v_add_f64 v[36:37], v[10:11], v[36:37]
	v_mul_f64 v[10:11], v[8:9], v[16:17]
	v_fma_f64 v[10:11], v[6:7], v[14:15], -v[10:11]
	v_mul_f64 v[6:7], v[6:7], v[16:17]
	v_add_f64 v[18:19], v[18:19], v[10:11]
	v_fma_f64 v[6:7], v[8:9], v[14:15], v[6:7]
	v_add_f64 v[20:21], v[6:7], v[20:21]
	ds_read_b128 v[6:9], v25 offset:96
	ds_read_b128 v[10:13], v24 offset:3072
	s_waitcnt lgkmcnt(0)
	v_mul_f64 v[14:15], v[8:9], v[12:13]
	v_mul_f64 v[16:17], v[6:7], v[12:13]
	v_fma_f64 v[14:15], v[6:7], v[10:11], -v[14:15]
	v_fma_f64 v[16:17], v[8:9], v[10:11], v[16:17]
	v_add_f64 v[26:27], v[26:27], v[14:15]
	v_add_f64 v[28:29], v[16:17], v[28:29]
	ds_read_b128 v[14:17], v24 offset:3328
	s_waitcnt lgkmcnt(0)
	v_mul_f64 v[38:39], v[8:9], v[16:17]
	v_fma_f64 v[38:39], v[6:7], v[14:15], -v[38:39]
	v_mul_f64 v[6:7], v[6:7], v[16:17]
	v_add_f64 v[30:31], v[30:31], v[38:39]
	v_fma_f64 v[6:7], v[8:9], v[14:15], v[6:7]
	v_add_f64 v[32:33], v[6:7], v[32:33]
	ds_read_b128 v[6:9], v25 offset:2144
	s_waitcnt lgkmcnt(0)
	v_mul_f64 v[38:39], v[8:9], v[12:13]
	v_mul_f64 v[12:13], v[6:7], v[12:13]
	v_fma_f64 v[38:39], v[6:7], v[10:11], -v[38:39]
	v_fma_f64 v[10:11], v[8:9], v[10:11], v[12:13]
	v_add_f64 v[34:35], v[34:35], v[38:39]
	v_add_f64 v[36:37], v[10:11], v[36:37]
	v_mul_f64 v[10:11], v[8:9], v[16:17]
	v_fma_f64 v[10:11], v[6:7], v[14:15], -v[10:11]
	v_mul_f64 v[6:7], v[6:7], v[16:17]
	v_add_f64 v[38:39], v[18:19], v[10:11]
	v_fma_f64 v[6:7], v[8:9], v[14:15], v[6:7]
	v_add_f64 v[40:41], v[6:7], v[20:21]
	ds_read_b128 v[6:9], v25 offset:112
	ds_read_b128 v[14:17], v24 offset:3584
	s_waitcnt lgkmcnt(0)
	v_mul_f64 v[10:11], v[8:9], v[16:17]
	v_mul_f64 v[12:13], v[6:7], v[16:17]
	v_fma_f64 v[10:11], v[6:7], v[14:15], -v[10:11]
	v_fma_f64 v[12:13], v[8:9], v[14:15], v[12:13]
	v_add_f64 v[18:19], v[26:27], v[10:11]
	v_add_f64 v[20:21], v[12:13], v[28:29]
	ds_read_b128 v[26:29], v24 offset:3840
	s_waitcnt lgkmcnt(0)
	v_mul_f64 v[10:11], v[8:9], v[28:29]
	v_fma_f64 v[10:11], v[6:7], v[26:27], -v[10:11]
	v_mul_f64 v[6:7], v[6:7], v[28:29]
	v_fma_f64 v[8:9], v[8:9], v[26:27], v[6:7]
	v_add_f64 v[6:7], v[30:31], v[10:11]
	v_add_f64 v[12:13], v[8:9], v[32:33]
	ds_read_b128 v[8:11], v25 offset:2160
	s_waitcnt lgkmcnt(0)
	s_barrier
	v_mul_f64 v[30:31], v[10:11], v[16:17]
	v_mul_f64 v[16:17], v[8:9], v[16:17]
	v_fma_f64 v[30:31], v[8:9], v[14:15], -v[30:31]
	v_fma_f64 v[16:17], v[10:11], v[14:15], v[16:17]
	v_add_f64 v[14:15], v[34:35], v[30:31]
	v_mul_f64 v[30:31], v[10:11], v[28:29]
	v_add_f64 v[16:17], v[16:17], v[36:37]
	v_fma_f64 v[30:31], v[8:9], v[26:27], -v[30:31]
	v_mul_f64 v[8:9], v[8:9], v[28:29]
	v_fma_f64 v[10:11], v[10:11], v[26:27], v[8:9]
	v_add_f64 v[8:9], v[38:39], v[30:31]
	v_add_f64 v[10:11], v[10:11], v[40:41]
	s_cbranch_scc0 .LBB420_2
	s_branch .LBB420_4
.LBB420_3:
	v_mov_b32_e32 v18, 0
	v_mov_b32_e32 v20, 0
	;; [unrolled: 1-line block ×16, first 2 shown]
.LBB420_4:
	s_load_dwordx2 s[0:1], s[4:5], 0x68
	s_load_dword s9, s[4:5], 0x60
	v_add_u32_e32 v4, s7, v1
	v_add_u32_e32 v0, s6, v0
	v_cmp_gt_i32_e32 vcc, s10, v4
	s_waitcnt lgkmcnt(0)
	s_mul_i32 s1, s1, s8
	s_mul_hi_u32 s2, s0, s8
	s_add_i32 s1, s2, s1
	v_mad_i64_i32 v[1:2], s[2:3], v4, s9, 0
	s_mul_i32 s0, s0, s8
	s_lshl_b64 s[0:1], s[0:1], 4
	s_add_u32 s4, s18, s0
	v_lshlrev_b64 v[1:2], 4, v[1:2]
	s_addc_u32 s5, s19, s1
	v_mov_b32_e32 v3, s5
	v_add_co_u32_e64 v5, s[0:1], s4, v1
	v_addc_co_u32_e64 v22, s[0:1], v3, v2, s[0:1]
	v_cmp_le_i32_e64 s[0:1], v0, v4
	s_and_b64 s[0:1], vcc, s[0:1]
	s_and_saveexec_b64 s[2:3], s[0:1]
	s_cbranch_execz .LBB420_6
; %bb.5:
	v_ashrrev_i32_e32 v1, 31, v0
	v_lshlrev_b64 v[1:2], 4, v[0:1]
	v_mul_f64 v[27:28], s[20:21], v[20:21]
	v_add_co_u32_e64 v1, s[0:1], v5, v1
	v_addc_co_u32_e64 v2, s[0:1], v22, v2, s[0:1]
	global_load_dwordx4 v[23:26], v[1:2], off
	v_mul_f64 v[20:21], s[22:23], v[20:21]
	v_cmp_ne_u32_e64 s[0:1], v4, v0
	v_fma_f64 v[27:28], s[22:23], v[18:19], v[27:28]
	v_fma_f64 v[18:19], s[20:21], v[18:19], -v[20:21]
	s_waitcnt vmcnt(0)
	v_mul_f64 v[29:30], s[14:15], v[25:26]
	v_mul_f64 v[25:26], s[16:17], v[25:26]
	v_fma_f64 v[29:30], s[16:17], v[23:24], v[29:30]
	v_fma_f64 v[20:21], s[14:15], v[23:24], -v[25:26]
	v_add_f64 v[23:24], v[27:28], v[29:30]
	v_add_f64 v[18:19], v[18:19], v[20:21]
	v_cndmask_b32_e64 v21, 0, v24, s[0:1]
	v_cndmask_b32_e64 v20, 0, v23, s[0:1]
	global_store_dwordx4 v[1:2], v[18:21], off
.LBB420_6:
	s_or_b64 exec, exec, s[2:3]
	v_add_u32_e32 v2, 16, v0
	v_cmp_le_i32_e64 s[0:1], v2, v4
	s_and_b64 s[2:3], vcc, s[0:1]
	s_and_saveexec_b64 s[0:1], s[2:3]
	s_cbranch_execz .LBB420_8
; %bb.7:
	v_ashrrev_i32_e32 v3, 31, v2
	v_lshlrev_b64 v[18:19], 4, v[2:3]
	v_mul_f64 v[25:26], s[20:21], v[12:13]
	v_add_co_u32_e32 v23, vcc, v5, v18
	v_addc_co_u32_e32 v24, vcc, v22, v19, vcc
	global_load_dwordx4 v[18:21], v[23:24], off
	v_mul_f64 v[12:13], s[22:23], v[12:13]
	v_cmp_ne_u32_e32 vcc, v4, v2
	v_fma_f64 v[25:26], s[22:23], v[6:7], v[25:26]
	v_fma_f64 v[5:6], s[20:21], v[6:7], -v[12:13]
	s_waitcnt vmcnt(0)
	v_mul_f64 v[27:28], s[14:15], v[20:21]
	v_mul_f64 v[20:21], s[16:17], v[20:21]
	v_fma_f64 v[27:28], s[16:17], v[18:19], v[27:28]
	v_fma_f64 v[12:13], s[14:15], v[18:19], -v[20:21]
	v_add_f64 v[20:21], v[25:26], v[27:28]
	v_add_f64 v[18:19], v[5:6], v[12:13]
	v_cndmask_b32_e32 v21, 0, v21, vcc
	v_cndmask_b32_e32 v20, 0, v20, vcc
	global_store_dwordx4 v[23:24], v[18:21], off
.LBB420_8:
	s_or_b64 exec, exec, s[0:1]
	v_add_u32_e32 v3, 16, v4
	v_mad_i64_i32 v[5:6], s[0:1], v3, s9, 0
	v_mov_b32_e32 v1, s5
	v_cmp_gt_i32_e32 vcc, s10, v3
	v_lshlrev_b64 v[5:6], 4, v[5:6]
	v_add_co_u32_e64 v5, s[0:1], s4, v5
	v_addc_co_u32_e64 v6, s[0:1], v1, v6, s[0:1]
	v_cmp_le_i32_e64 s[0:1], v0, v3
	s_and_b64 s[0:1], vcc, s[0:1]
	s_and_saveexec_b64 s[2:3], s[0:1]
	s_cbranch_execz .LBB420_10
; %bb.9:
	v_ashrrev_i32_e32 v1, 31, v0
	v_lshlrev_b64 v[12:13], 4, v[0:1]
	v_add_co_u32_e64 v22, s[0:1], v5, v12
	v_addc_co_u32_e64 v23, s[0:1], v6, v13, s[0:1]
	global_load_dwordx4 v[18:21], v[22:23], off
	v_mul_f64 v[12:13], s[20:21], v[16:17]
	v_mul_f64 v[16:17], s[22:23], v[16:17]
	v_cmp_ne_u32_e64 s[0:1], v3, v0
	v_fma_f64 v[12:13], s[22:23], v[14:15], v[12:13]
	v_fma_f64 v[14:15], s[20:21], v[14:15], -v[16:17]
	s_waitcnt vmcnt(0)
	v_mul_f64 v[24:25], s[14:15], v[20:21]
	v_mul_f64 v[20:21], s[16:17], v[20:21]
	v_fma_f64 v[24:25], s[16:17], v[18:19], v[24:25]
	v_fma_f64 v[16:17], s[14:15], v[18:19], -v[20:21]
	v_add_f64 v[18:19], v[12:13], v[24:25]
	v_add_f64 v[12:13], v[14:15], v[16:17]
	v_cndmask_b32_e64 v15, 0, v19, s[0:1]
	v_cndmask_b32_e64 v14, 0, v18, s[0:1]
	global_store_dwordx4 v[22:23], v[12:15], off
.LBB420_10:
	s_or_b64 exec, exec, s[2:3]
	v_cmp_le_i32_e64 s[0:1], v2, v3
	s_and_b64 s[0:1], vcc, s[0:1]
	s_and_saveexec_b64 s[2:3], s[0:1]
	s_cbranch_execz .LBB420_12
; %bb.11:
	v_ashrrev_i32_e32 v3, 31, v2
	v_lshlrev_b64 v[1:2], 4, v[2:3]
	v_add_co_u32_e32 v5, vcc, v5, v1
	v_addc_co_u32_e32 v6, vcc, v6, v2, vcc
	global_load_dwordx4 v[12:15], v[5:6], off
	v_mul_f64 v[1:2], s[20:21], v[10:11]
	v_mul_f64 v[10:11], s[22:23], v[10:11]
	v_cmp_ne_u32_e32 vcc, v4, v0
	v_fma_f64 v[1:2], s[22:23], v[8:9], v[1:2]
	v_fma_f64 v[7:8], s[20:21], v[8:9], -v[10:11]
	s_waitcnt vmcnt(0)
	v_mul_f64 v[16:17], s[14:15], v[14:15]
	v_mul_f64 v[14:15], s[16:17], v[14:15]
	v_fma_f64 v[16:17], s[16:17], v[12:13], v[16:17]
	v_fma_f64 v[9:10], s[14:15], v[12:13], -v[14:15]
	v_add_f64 v[11:12], v[1:2], v[16:17]
	v_add_f64 v[1:2], v[7:8], v[9:10]
	v_cndmask_b32_e32 v4, 0, v12, vcc
	v_cndmask_b32_e32 v3, 0, v11, vcc
	global_store_dwordx4 v[5:6], v[1:4], off
.LBB420_12:
	s_endpgm
	.section	.rodata,"a",@progbits
	.p2align	6, 0x0
	.amdhsa_kernel _ZL37rocblas_syrkx_herkx_restricted_kernelIi19rocblas_complex_numIdELi16ELi32ELi8ELb0ELb1ELc84ELc85EKS1_S1_EviT_T0_PT8_S3_lS6_S3_lS4_PT9_S3_li
		.amdhsa_group_segment_fixed_size 8192
		.amdhsa_private_segment_fixed_size 0
		.amdhsa_kernarg_size 116
		.amdhsa_user_sgpr_count 6
		.amdhsa_user_sgpr_private_segment_buffer 1
		.amdhsa_user_sgpr_dispatch_ptr 0
		.amdhsa_user_sgpr_queue_ptr 0
		.amdhsa_user_sgpr_kernarg_segment_ptr 1
		.amdhsa_user_sgpr_dispatch_id 0
		.amdhsa_user_sgpr_flat_scratch_init 0
		.amdhsa_user_sgpr_private_segment_size 0
		.amdhsa_uses_dynamic_stack 0
		.amdhsa_system_sgpr_private_segment_wavefront_offset 0
		.amdhsa_system_sgpr_workgroup_id_x 1
		.amdhsa_system_sgpr_workgroup_id_y 1
		.amdhsa_system_sgpr_workgroup_id_z 1
		.amdhsa_system_sgpr_workgroup_info 0
		.amdhsa_system_vgpr_workitem_id 1
		.amdhsa_next_free_vgpr 54
		.amdhsa_next_free_sgpr 61
		.amdhsa_reserve_vcc 1
		.amdhsa_reserve_flat_scratch 0
		.amdhsa_float_round_mode_32 0
		.amdhsa_float_round_mode_16_64 0
		.amdhsa_float_denorm_mode_32 3
		.amdhsa_float_denorm_mode_16_64 3
		.amdhsa_dx10_clamp 1
		.amdhsa_ieee_mode 1
		.amdhsa_fp16_overflow 0
		.amdhsa_exception_fp_ieee_invalid_op 0
		.amdhsa_exception_fp_denorm_src 0
		.amdhsa_exception_fp_ieee_div_zero 0
		.amdhsa_exception_fp_ieee_overflow 0
		.amdhsa_exception_fp_ieee_underflow 0
		.amdhsa_exception_fp_ieee_inexact 0
		.amdhsa_exception_int_div_zero 0
	.end_amdhsa_kernel
	.section	.text._ZL37rocblas_syrkx_herkx_restricted_kernelIi19rocblas_complex_numIdELi16ELi32ELi8ELb0ELb1ELc84ELc85EKS1_S1_EviT_T0_PT8_S3_lS6_S3_lS4_PT9_S3_li,"axG",@progbits,_ZL37rocblas_syrkx_herkx_restricted_kernelIi19rocblas_complex_numIdELi16ELi32ELi8ELb0ELb1ELc84ELc85EKS1_S1_EviT_T0_PT8_S3_lS6_S3_lS4_PT9_S3_li,comdat
.Lfunc_end420:
	.size	_ZL37rocblas_syrkx_herkx_restricted_kernelIi19rocblas_complex_numIdELi16ELi32ELi8ELb0ELb1ELc84ELc85EKS1_S1_EviT_T0_PT8_S3_lS6_S3_lS4_PT9_S3_li, .Lfunc_end420-_ZL37rocblas_syrkx_herkx_restricted_kernelIi19rocblas_complex_numIdELi16ELi32ELi8ELb0ELb1ELc84ELc85EKS1_S1_EviT_T0_PT8_S3_lS6_S3_lS4_PT9_S3_li
                                        ; -- End function
	.set _ZL37rocblas_syrkx_herkx_restricted_kernelIi19rocblas_complex_numIdELi16ELi32ELi8ELb0ELb1ELc84ELc85EKS1_S1_EviT_T0_PT8_S3_lS6_S3_lS4_PT9_S3_li.num_vgpr, 54
	.set _ZL37rocblas_syrkx_herkx_restricted_kernelIi19rocblas_complex_numIdELi16ELi32ELi8ELb0ELb1ELc84ELc85EKS1_S1_EviT_T0_PT8_S3_lS6_S3_lS4_PT9_S3_li.num_agpr, 0
	.set _ZL37rocblas_syrkx_herkx_restricted_kernelIi19rocblas_complex_numIdELi16ELi32ELi8ELb0ELb1ELc84ELc85EKS1_S1_EviT_T0_PT8_S3_lS6_S3_lS4_PT9_S3_li.numbered_sgpr, 30
	.set _ZL37rocblas_syrkx_herkx_restricted_kernelIi19rocblas_complex_numIdELi16ELi32ELi8ELb0ELb1ELc84ELc85EKS1_S1_EviT_T0_PT8_S3_lS6_S3_lS4_PT9_S3_li.num_named_barrier, 0
	.set _ZL37rocblas_syrkx_herkx_restricted_kernelIi19rocblas_complex_numIdELi16ELi32ELi8ELb0ELb1ELc84ELc85EKS1_S1_EviT_T0_PT8_S3_lS6_S3_lS4_PT9_S3_li.private_seg_size, 0
	.set _ZL37rocblas_syrkx_herkx_restricted_kernelIi19rocblas_complex_numIdELi16ELi32ELi8ELb0ELb1ELc84ELc85EKS1_S1_EviT_T0_PT8_S3_lS6_S3_lS4_PT9_S3_li.uses_vcc, 1
	.set _ZL37rocblas_syrkx_herkx_restricted_kernelIi19rocblas_complex_numIdELi16ELi32ELi8ELb0ELb1ELc84ELc85EKS1_S1_EviT_T0_PT8_S3_lS6_S3_lS4_PT9_S3_li.uses_flat_scratch, 0
	.set _ZL37rocblas_syrkx_herkx_restricted_kernelIi19rocblas_complex_numIdELi16ELi32ELi8ELb0ELb1ELc84ELc85EKS1_S1_EviT_T0_PT8_S3_lS6_S3_lS4_PT9_S3_li.has_dyn_sized_stack, 0
	.set _ZL37rocblas_syrkx_herkx_restricted_kernelIi19rocblas_complex_numIdELi16ELi32ELi8ELb0ELb1ELc84ELc85EKS1_S1_EviT_T0_PT8_S3_lS6_S3_lS4_PT9_S3_li.has_recursion, 0
	.set _ZL37rocblas_syrkx_herkx_restricted_kernelIi19rocblas_complex_numIdELi16ELi32ELi8ELb0ELb1ELc84ELc85EKS1_S1_EviT_T0_PT8_S3_lS6_S3_lS4_PT9_S3_li.has_indirect_call, 0
	.section	.AMDGPU.csdata,"",@progbits
; Kernel info:
; codeLenInByte = 3220
; TotalNumSgprs: 34
; NumVgprs: 54
; ScratchSize: 0
; MemoryBound: 0
; FloatMode: 240
; IeeeMode: 1
; LDSByteSize: 8192 bytes/workgroup (compile time only)
; SGPRBlocks: 8
; VGPRBlocks: 13
; NumSGPRsForWavesPerEU: 65
; NumVGPRsForWavesPerEU: 54
; Occupancy: 4
; WaveLimiterHint : 0
; COMPUTE_PGM_RSRC2:SCRATCH_EN: 0
; COMPUTE_PGM_RSRC2:USER_SGPR: 6
; COMPUTE_PGM_RSRC2:TRAP_HANDLER: 0
; COMPUTE_PGM_RSRC2:TGID_X_EN: 1
; COMPUTE_PGM_RSRC2:TGID_Y_EN: 1
; COMPUTE_PGM_RSRC2:TGID_Z_EN: 1
; COMPUTE_PGM_RSRC2:TIDIG_COMP_CNT: 1
	.section	.text._ZL37rocblas_syrkx_herkx_restricted_kernelIi19rocblas_complex_numIdELi16ELi32ELi8ELb0ELb1ELc67ELc85EKS1_S1_EviT_T0_PT8_S3_lS6_S3_lS4_PT9_S3_li,"axG",@progbits,_ZL37rocblas_syrkx_herkx_restricted_kernelIi19rocblas_complex_numIdELi16ELi32ELi8ELb0ELb1ELc67ELc85EKS1_S1_EviT_T0_PT8_S3_lS6_S3_lS4_PT9_S3_li,comdat
	.globl	_ZL37rocblas_syrkx_herkx_restricted_kernelIi19rocblas_complex_numIdELi16ELi32ELi8ELb0ELb1ELc67ELc85EKS1_S1_EviT_T0_PT8_S3_lS6_S3_lS4_PT9_S3_li ; -- Begin function _ZL37rocblas_syrkx_herkx_restricted_kernelIi19rocblas_complex_numIdELi16ELi32ELi8ELb0ELb1ELc67ELc85EKS1_S1_EviT_T0_PT8_S3_lS6_S3_lS4_PT9_S3_li
	.p2align	8
	.type	_ZL37rocblas_syrkx_herkx_restricted_kernelIi19rocblas_complex_numIdELi16ELi32ELi8ELb0ELb1ELc67ELc85EKS1_S1_EviT_T0_PT8_S3_lS6_S3_lS4_PT9_S3_li,@function
_ZL37rocblas_syrkx_herkx_restricted_kernelIi19rocblas_complex_numIdELi16ELi32ELi8ELb0ELb1ELc67ELc85EKS1_S1_EviT_T0_PT8_S3_lS6_S3_lS4_PT9_S3_li: ; @_ZL37rocblas_syrkx_herkx_restricted_kernelIi19rocblas_complex_numIdELi16ELi32ELi8ELb0ELb1ELc67ELc85EKS1_S1_EviT_T0_PT8_S3_lS6_S3_lS4_PT9_S3_li
; %bb.0:
	s_load_dwordx2 s[10:11], s[4:5], 0x0
	s_load_dwordx4 s[20:23], s[4:5], 0x8
	s_load_dwordx2 s[24:25], s[4:5], 0x18
	s_load_dwordx8 s[12:19], s[4:5], 0x40
	s_lshl_b32 s6, s6, 5
	s_lshl_b32 s7, s7, 5
	s_waitcnt lgkmcnt(0)
	s_cmp_lt_i32 s11, 1
	s_mov_b32 s9, 0
	s_cbranch_scc1 .LBB421_3
; %bb.1:
	s_load_dword s28, s[4:5], 0x20
	s_load_dwordx4 s[0:3], s[4:5], 0x28
	s_load_dword s26, s[4:5], 0x38
	v_lshl_add_u32 v3, v1, 4, v0
	v_lshrrev_b32_e32 v8, 3, v3
	v_lshrrev_b32_e32 v2, 5, v3
	v_and_b32_e32 v4, 7, v0
	v_and_b32_e32 v9, 31, v3
	v_add_u32_e32 v3, s7, v8
	v_mov_b32_e32 v5, 0
	s_waitcnt lgkmcnt(0)
	v_mad_i64_i32 v[6:7], s[26:27], s26, v3, v[4:5]
	v_lshlrev_b32_e32 v4, 4, v4
	v_lshl_or_b32 v4, v8, 7, v4
	v_add_u32_e32 v23, 0x1000, v4
	v_mov_b32_e32 v4, 0x1000
	v_mov_b32_e32 v3, v5
	v_lshlrev_b32_e32 v5, 4, v9
	v_lshl_add_u32 v25, v1, 7, v4
	v_add_u32_e32 v4, s6, v9
	v_lshl_or_b32 v22, v2, 9, v5
	v_mad_i64_i32 v[2:3], s[26:27], s28, v4, v[2:3]
	s_mul_i32 s1, s1, s8
	s_mul_hi_u32 s29, s0, s8
	s_add_i32 s1, s29, s1
	s_mul_i32 s0, s0, s8
	s_lshl_b64 s[0:1], s[0:1], 4
	v_lshlrev_b64 v[2:3], 4, v[2:3]
	s_add_u32 s0, s24, s0
	s_addc_u32 s1, s25, s1
	v_mov_b32_e32 v4, s1
	v_add_co_u32_e32 v2, vcc, s0, v2
	s_mul_i32 s0, s13, s8
	s_mul_hi_u32 s1, s12, s8
	s_add_i32 s1, s1, s0
	s_mul_i32 s0, s12, s8
	v_addc_co_u32_e32 v3, vcc, v4, v3, vcc
	s_lshl_b64 s[0:1], s[0:1], 4
	v_add_co_u32_e32 v2, vcc, 8, v2
	v_lshlrev_b64 v[4:5], 4, v[6:7]
	s_add_u32 s0, s2, s0
	v_addc_co_u32_e32 v3, vcc, 0, v3, vcc
	s_addc_u32 s1, s3, s1
	v_mov_b32_e32 v6, s1
	v_add_co_u32_e32 v4, vcc, s0, v4
	v_addc_co_u32_e32 v5, vcc, v6, v5, vcc
	v_mov_b32_e32 v10, 0
	v_mov_b32_e32 v8, 0
	;; [unrolled: 1-line block ×8, first 2 shown]
	v_add_co_u32_e32 v4, vcc, 8, v4
	v_lshlrev_b32_e32 v24, 4, v0
	v_mov_b32_e32 v11, 0
	v_mov_b32_e32 v9, 0
	v_mov_b32_e32 v17, 0
	v_mov_b32_e32 v15, 0
	v_mov_b32_e32 v13, 0
	v_mov_b32_e32 v7, 0
	v_mov_b32_e32 v21, 0
	v_mov_b32_e32 v19, 0
	v_addc_co_u32_e32 v5, vcc, 0, v5, vcc
.LBB421_2:                              ; =>This Inner Loop Header: Depth=1
	global_load_dwordx4 v[26:29], v[2:3], off offset:-8
	v_add_co_u32_e32 v2, vcc, 0x80, v2
	v_addc_co_u32_e32 v3, vcc, 0, v3, vcc
	s_add_i32 s9, s9, 8
	s_cmp_ge_i32 s9, s11
	s_waitcnt vmcnt(0)
	v_xor_b32_e32 v29, 0x80000000, v29
	ds_write_b128 v22, v[26:29]
	global_load_dwordx4 v[26:29], v[4:5], off offset:-8
	v_add_co_u32_e32 v4, vcc, 0x80, v4
	v_addc_co_u32_e32 v5, vcc, 0, v5, vcc
	s_waitcnt vmcnt(0)
	ds_write_b128 v23, v[26:29]
	s_waitcnt lgkmcnt(0)
	s_barrier
	ds_read_b128 v[26:29], v25
	ds_read_b128 v[30:33], v25 offset:16
	ds_read_b128 v[34:37], v25 offset:32
	;; [unrolled: 1-line block ×3, first 2 shown]
	ds_read_b128 v[42:45], v24
	s_waitcnt lgkmcnt(0)
	v_mul_f64 v[46:47], v[28:29], v[44:45]
	v_mul_f64 v[48:49], v[26:27], v[44:45]
	v_fma_f64 v[46:47], v[26:27], v[42:43], -v[46:47]
	v_fma_f64 v[48:49], v[28:29], v[42:43], v[48:49]
	v_add_f64 v[46:47], v[18:19], v[46:47]
	v_add_f64 v[48:49], v[48:49], v[20:21]
	ds_read_b128 v[18:21], v24 offset:256
	s_waitcnt lgkmcnt(0)
	v_mul_f64 v[50:51], v[28:29], v[20:21]
	v_fma_f64 v[50:51], v[26:27], v[18:19], -v[50:51]
	v_mul_f64 v[26:27], v[26:27], v[20:21]
	v_add_f64 v[50:51], v[6:7], v[50:51]
	v_fma_f64 v[26:27], v[28:29], v[18:19], v[26:27]
	v_add_f64 v[52:53], v[26:27], v[12:13]
	ds_read_b128 v[26:29], v25 offset:2048
	s_waitcnt lgkmcnt(0)
	v_mul_f64 v[6:7], v[28:29], v[44:45]
	v_mul_f64 v[12:13], v[26:27], v[44:45]
	v_fma_f64 v[6:7], v[26:27], v[42:43], -v[6:7]
	v_fma_f64 v[12:13], v[28:29], v[42:43], v[12:13]
	v_add_f64 v[42:43], v[14:15], v[6:7]
	v_mul_f64 v[6:7], v[28:29], v[20:21]
	v_add_f64 v[44:45], v[12:13], v[16:17]
	v_mul_f64 v[12:13], v[26:27], v[20:21]
	v_fma_f64 v[6:7], v[26:27], v[18:19], -v[6:7]
	v_fma_f64 v[12:13], v[28:29], v[18:19], v[12:13]
	v_add_f64 v[18:19], v[8:9], v[6:7]
	ds_read_b128 v[6:9], v24 offset:512
	v_add_f64 v[20:21], v[12:13], v[10:11]
	s_waitcnt lgkmcnt(0)
	v_mul_f64 v[10:11], v[32:33], v[8:9]
	v_mul_f64 v[12:13], v[30:31], v[8:9]
	v_fma_f64 v[10:11], v[30:31], v[6:7], -v[10:11]
	v_fma_f64 v[12:13], v[32:33], v[6:7], v[12:13]
	v_add_f64 v[26:27], v[46:47], v[10:11]
	v_add_f64 v[28:29], v[12:13], v[48:49]
	ds_read_b128 v[10:13], v24 offset:768
	s_waitcnt lgkmcnt(0)
	v_mul_f64 v[14:15], v[32:33], v[12:13]
	v_mul_f64 v[16:17], v[30:31], v[12:13]
	v_fma_f64 v[14:15], v[30:31], v[10:11], -v[14:15]
	v_fma_f64 v[16:17], v[32:33], v[10:11], v[16:17]
	v_add_f64 v[30:31], v[50:51], v[14:15]
	v_add_f64 v[32:33], v[16:17], v[52:53]
	ds_read_b128 v[14:17], v25 offset:2064
	s_waitcnt lgkmcnt(0)
	v_mul_f64 v[46:47], v[16:17], v[8:9]
	v_mul_f64 v[8:9], v[14:15], v[8:9]
	v_fma_f64 v[46:47], v[14:15], v[6:7], -v[46:47]
	v_fma_f64 v[6:7], v[16:17], v[6:7], v[8:9]
	v_mul_f64 v[8:9], v[14:15], v[12:13]
	v_add_f64 v[42:43], v[42:43], v[46:47]
	v_add_f64 v[44:45], v[6:7], v[44:45]
	v_mul_f64 v[6:7], v[16:17], v[12:13]
	v_fma_f64 v[8:9], v[16:17], v[10:11], v[8:9]
	v_fma_f64 v[6:7], v[14:15], v[10:11], -v[6:7]
	v_add_f64 v[20:21], v[8:9], v[20:21]
	v_add_f64 v[18:19], v[18:19], v[6:7]
	ds_read_b128 v[6:9], v24 offset:1024
	s_waitcnt lgkmcnt(0)
	v_mul_f64 v[10:11], v[36:37], v[8:9]
	v_mul_f64 v[12:13], v[34:35], v[8:9]
	v_fma_f64 v[10:11], v[34:35], v[6:7], -v[10:11]
	v_fma_f64 v[12:13], v[36:37], v[6:7], v[12:13]
	v_add_f64 v[26:27], v[26:27], v[10:11]
	v_add_f64 v[28:29], v[12:13], v[28:29]
	ds_read_b128 v[10:13], v24 offset:1280
	s_waitcnt lgkmcnt(0)
	v_mul_f64 v[14:15], v[36:37], v[12:13]
	v_mul_f64 v[16:17], v[34:35], v[12:13]
	v_fma_f64 v[14:15], v[34:35], v[10:11], -v[14:15]
	v_fma_f64 v[16:17], v[36:37], v[10:11], v[16:17]
	v_add_f64 v[30:31], v[30:31], v[14:15]
	v_add_f64 v[32:33], v[16:17], v[32:33]
	ds_read_b128 v[14:17], v25 offset:2080
	s_waitcnt lgkmcnt(0)
	v_mul_f64 v[34:35], v[16:17], v[8:9]
	v_mul_f64 v[8:9], v[14:15], v[8:9]
	v_fma_f64 v[34:35], v[14:15], v[6:7], -v[34:35]
	v_fma_f64 v[6:7], v[16:17], v[6:7], v[8:9]
	v_mul_f64 v[8:9], v[14:15], v[12:13]
	v_add_f64 v[34:35], v[42:43], v[34:35]
	v_add_f64 v[36:37], v[6:7], v[44:45]
	v_mul_f64 v[6:7], v[16:17], v[12:13]
	v_fma_f64 v[8:9], v[16:17], v[10:11], v[8:9]
	v_fma_f64 v[6:7], v[14:15], v[10:11], -v[6:7]
	v_add_f64 v[20:21], v[8:9], v[20:21]
	v_add_f64 v[18:19], v[18:19], v[6:7]
	ds_read_b128 v[6:9], v24 offset:1536
	;; [unrolled: 30-line block ×3, first 2 shown]
	ds_read_b128 v[10:13], v24 offset:2048
	s_waitcnt lgkmcnt(0)
	v_mul_f64 v[14:15], v[8:9], v[12:13]
	v_mul_f64 v[16:17], v[6:7], v[12:13]
	v_fma_f64 v[14:15], v[6:7], v[10:11], -v[14:15]
	v_fma_f64 v[16:17], v[8:9], v[10:11], v[16:17]
	v_add_f64 v[26:27], v[26:27], v[14:15]
	v_add_f64 v[28:29], v[16:17], v[28:29]
	ds_read_b128 v[14:17], v24 offset:2304
	s_waitcnt lgkmcnt(0)
	v_mul_f64 v[38:39], v[8:9], v[16:17]
	v_fma_f64 v[38:39], v[6:7], v[14:15], -v[38:39]
	v_mul_f64 v[6:7], v[6:7], v[16:17]
	v_add_f64 v[30:31], v[30:31], v[38:39]
	v_fma_f64 v[6:7], v[8:9], v[14:15], v[6:7]
	v_add_f64 v[32:33], v[6:7], v[32:33]
	ds_read_b128 v[6:9], v25 offset:2112
	s_waitcnt lgkmcnt(0)
	v_mul_f64 v[38:39], v[8:9], v[12:13]
	v_mul_f64 v[12:13], v[6:7], v[12:13]
	v_fma_f64 v[38:39], v[6:7], v[10:11], -v[38:39]
	v_fma_f64 v[10:11], v[8:9], v[10:11], v[12:13]
	v_add_f64 v[34:35], v[34:35], v[38:39]
	v_add_f64 v[36:37], v[10:11], v[36:37]
	v_mul_f64 v[10:11], v[8:9], v[16:17]
	v_fma_f64 v[10:11], v[6:7], v[14:15], -v[10:11]
	v_mul_f64 v[6:7], v[6:7], v[16:17]
	v_add_f64 v[18:19], v[18:19], v[10:11]
	v_fma_f64 v[6:7], v[8:9], v[14:15], v[6:7]
	v_add_f64 v[20:21], v[6:7], v[20:21]
	ds_read_b128 v[6:9], v25 offset:80
	ds_read_b128 v[10:13], v24 offset:2560
	s_waitcnt lgkmcnt(0)
	v_mul_f64 v[14:15], v[8:9], v[12:13]
	v_mul_f64 v[16:17], v[6:7], v[12:13]
	v_fma_f64 v[14:15], v[6:7], v[10:11], -v[14:15]
	v_fma_f64 v[16:17], v[8:9], v[10:11], v[16:17]
	v_add_f64 v[26:27], v[26:27], v[14:15]
	v_add_f64 v[28:29], v[16:17], v[28:29]
	ds_read_b128 v[14:17], v24 offset:2816
	s_waitcnt lgkmcnt(0)
	v_mul_f64 v[38:39], v[8:9], v[16:17]
	v_fma_f64 v[38:39], v[6:7], v[14:15], -v[38:39]
	v_mul_f64 v[6:7], v[6:7], v[16:17]
	v_add_f64 v[30:31], v[30:31], v[38:39]
	v_fma_f64 v[6:7], v[8:9], v[14:15], v[6:7]
	v_add_f64 v[32:33], v[6:7], v[32:33]
	ds_read_b128 v[6:9], v25 offset:2128
	s_waitcnt lgkmcnt(0)
	v_mul_f64 v[38:39], v[8:9], v[12:13]
	v_mul_f64 v[12:13], v[6:7], v[12:13]
	v_fma_f64 v[38:39], v[6:7], v[10:11], -v[38:39]
	v_fma_f64 v[10:11], v[8:9], v[10:11], v[12:13]
	v_add_f64 v[34:35], v[34:35], v[38:39]
	v_add_f64 v[36:37], v[10:11], v[36:37]
	v_mul_f64 v[10:11], v[8:9], v[16:17]
	v_fma_f64 v[10:11], v[6:7], v[14:15], -v[10:11]
	v_mul_f64 v[6:7], v[6:7], v[16:17]
	v_add_f64 v[18:19], v[18:19], v[10:11]
	v_fma_f64 v[6:7], v[8:9], v[14:15], v[6:7]
	v_add_f64 v[20:21], v[6:7], v[20:21]
	ds_read_b128 v[6:9], v25 offset:96
	ds_read_b128 v[10:13], v24 offset:3072
	s_waitcnt lgkmcnt(0)
	v_mul_f64 v[14:15], v[8:9], v[12:13]
	v_mul_f64 v[16:17], v[6:7], v[12:13]
	v_fma_f64 v[14:15], v[6:7], v[10:11], -v[14:15]
	v_fma_f64 v[16:17], v[8:9], v[10:11], v[16:17]
	v_add_f64 v[26:27], v[26:27], v[14:15]
	v_add_f64 v[28:29], v[16:17], v[28:29]
	ds_read_b128 v[14:17], v24 offset:3328
	s_waitcnt lgkmcnt(0)
	v_mul_f64 v[38:39], v[8:9], v[16:17]
	v_fma_f64 v[38:39], v[6:7], v[14:15], -v[38:39]
	v_mul_f64 v[6:7], v[6:7], v[16:17]
	v_add_f64 v[30:31], v[30:31], v[38:39]
	v_fma_f64 v[6:7], v[8:9], v[14:15], v[6:7]
	v_add_f64 v[32:33], v[6:7], v[32:33]
	ds_read_b128 v[6:9], v25 offset:2144
	s_waitcnt lgkmcnt(0)
	v_mul_f64 v[38:39], v[8:9], v[12:13]
	v_mul_f64 v[12:13], v[6:7], v[12:13]
	v_fma_f64 v[38:39], v[6:7], v[10:11], -v[38:39]
	v_fma_f64 v[10:11], v[8:9], v[10:11], v[12:13]
	v_add_f64 v[34:35], v[34:35], v[38:39]
	v_add_f64 v[36:37], v[10:11], v[36:37]
	v_mul_f64 v[10:11], v[8:9], v[16:17]
	v_fma_f64 v[10:11], v[6:7], v[14:15], -v[10:11]
	v_mul_f64 v[6:7], v[6:7], v[16:17]
	v_add_f64 v[38:39], v[18:19], v[10:11]
	v_fma_f64 v[6:7], v[8:9], v[14:15], v[6:7]
	v_add_f64 v[40:41], v[6:7], v[20:21]
	ds_read_b128 v[6:9], v25 offset:112
	ds_read_b128 v[14:17], v24 offset:3584
	s_waitcnt lgkmcnt(0)
	v_mul_f64 v[10:11], v[8:9], v[16:17]
	v_mul_f64 v[12:13], v[6:7], v[16:17]
	v_fma_f64 v[10:11], v[6:7], v[14:15], -v[10:11]
	v_fma_f64 v[12:13], v[8:9], v[14:15], v[12:13]
	v_add_f64 v[18:19], v[26:27], v[10:11]
	v_add_f64 v[20:21], v[12:13], v[28:29]
	ds_read_b128 v[26:29], v24 offset:3840
	s_waitcnt lgkmcnt(0)
	v_mul_f64 v[10:11], v[8:9], v[28:29]
	v_fma_f64 v[10:11], v[6:7], v[26:27], -v[10:11]
	v_mul_f64 v[6:7], v[6:7], v[28:29]
	v_fma_f64 v[8:9], v[8:9], v[26:27], v[6:7]
	v_add_f64 v[6:7], v[30:31], v[10:11]
	v_add_f64 v[12:13], v[8:9], v[32:33]
	ds_read_b128 v[8:11], v25 offset:2160
	s_waitcnt lgkmcnt(0)
	s_barrier
	v_mul_f64 v[30:31], v[10:11], v[16:17]
	v_mul_f64 v[16:17], v[8:9], v[16:17]
	v_fma_f64 v[30:31], v[8:9], v[14:15], -v[30:31]
	v_fma_f64 v[16:17], v[10:11], v[14:15], v[16:17]
	v_add_f64 v[14:15], v[34:35], v[30:31]
	v_mul_f64 v[30:31], v[10:11], v[28:29]
	v_add_f64 v[16:17], v[16:17], v[36:37]
	v_fma_f64 v[30:31], v[8:9], v[26:27], -v[30:31]
	v_mul_f64 v[8:9], v[8:9], v[28:29]
	v_fma_f64 v[10:11], v[10:11], v[26:27], v[8:9]
	v_add_f64 v[8:9], v[38:39], v[30:31]
	v_add_f64 v[10:11], v[10:11], v[40:41]
	s_cbranch_scc0 .LBB421_2
	s_branch .LBB421_4
.LBB421_3:
	v_mov_b32_e32 v18, 0
	v_mov_b32_e32 v20, 0
	;; [unrolled: 1-line block ×16, first 2 shown]
.LBB421_4:
	s_load_dwordx2 s[0:1], s[4:5], 0x68
	s_load_dword s9, s[4:5], 0x60
	v_add_u32_e32 v4, s7, v1
	v_add_u32_e32 v0, s6, v0
	v_cmp_gt_i32_e32 vcc, s10, v4
	s_waitcnt lgkmcnt(0)
	s_mul_i32 s1, s1, s8
	s_mul_hi_u32 s2, s0, s8
	s_add_i32 s1, s2, s1
	v_mad_i64_i32 v[1:2], s[2:3], v4, s9, 0
	s_mul_i32 s0, s0, s8
	s_lshl_b64 s[0:1], s[0:1], 4
	s_add_u32 s4, s18, s0
	v_lshlrev_b64 v[1:2], 4, v[1:2]
	s_addc_u32 s5, s19, s1
	v_mov_b32_e32 v3, s5
	v_add_co_u32_e64 v5, s[0:1], s4, v1
	v_addc_co_u32_e64 v22, s[0:1], v3, v2, s[0:1]
	v_cmp_le_i32_e64 s[0:1], v0, v4
	s_and_b64 s[0:1], vcc, s[0:1]
	s_and_saveexec_b64 s[2:3], s[0:1]
	s_cbranch_execz .LBB421_6
; %bb.5:
	v_ashrrev_i32_e32 v1, 31, v0
	v_lshlrev_b64 v[1:2], 4, v[0:1]
	v_mul_f64 v[27:28], s[20:21], v[20:21]
	v_add_co_u32_e64 v1, s[0:1], v5, v1
	v_addc_co_u32_e64 v2, s[0:1], v22, v2, s[0:1]
	global_load_dwordx4 v[23:26], v[1:2], off
	v_mul_f64 v[20:21], s[22:23], v[20:21]
	v_cmp_ne_u32_e64 s[0:1], v4, v0
	v_fma_f64 v[27:28], s[22:23], v[18:19], v[27:28]
	v_fma_f64 v[18:19], s[20:21], v[18:19], -v[20:21]
	s_waitcnt vmcnt(0)
	v_mul_f64 v[29:30], s[14:15], v[25:26]
	v_mul_f64 v[25:26], s[16:17], v[25:26]
	v_fma_f64 v[29:30], s[16:17], v[23:24], v[29:30]
	v_fma_f64 v[20:21], s[14:15], v[23:24], -v[25:26]
	v_add_f64 v[23:24], v[27:28], v[29:30]
	v_add_f64 v[18:19], v[18:19], v[20:21]
	v_cndmask_b32_e64 v21, 0, v24, s[0:1]
	v_cndmask_b32_e64 v20, 0, v23, s[0:1]
	global_store_dwordx4 v[1:2], v[18:21], off
.LBB421_6:
	s_or_b64 exec, exec, s[2:3]
	v_add_u32_e32 v2, 16, v0
	v_cmp_le_i32_e64 s[0:1], v2, v4
	s_and_b64 s[2:3], vcc, s[0:1]
	s_and_saveexec_b64 s[0:1], s[2:3]
	s_cbranch_execz .LBB421_8
; %bb.7:
	v_ashrrev_i32_e32 v3, 31, v2
	v_lshlrev_b64 v[18:19], 4, v[2:3]
	v_mul_f64 v[25:26], s[20:21], v[12:13]
	v_add_co_u32_e32 v23, vcc, v5, v18
	v_addc_co_u32_e32 v24, vcc, v22, v19, vcc
	global_load_dwordx4 v[18:21], v[23:24], off
	v_mul_f64 v[12:13], s[22:23], v[12:13]
	v_cmp_ne_u32_e32 vcc, v4, v2
	v_fma_f64 v[25:26], s[22:23], v[6:7], v[25:26]
	v_fma_f64 v[5:6], s[20:21], v[6:7], -v[12:13]
	s_waitcnt vmcnt(0)
	v_mul_f64 v[27:28], s[14:15], v[20:21]
	v_mul_f64 v[20:21], s[16:17], v[20:21]
	v_fma_f64 v[27:28], s[16:17], v[18:19], v[27:28]
	v_fma_f64 v[12:13], s[14:15], v[18:19], -v[20:21]
	v_add_f64 v[20:21], v[25:26], v[27:28]
	v_add_f64 v[18:19], v[5:6], v[12:13]
	v_cndmask_b32_e32 v21, 0, v21, vcc
	v_cndmask_b32_e32 v20, 0, v20, vcc
	global_store_dwordx4 v[23:24], v[18:21], off
.LBB421_8:
	s_or_b64 exec, exec, s[0:1]
	v_add_u32_e32 v3, 16, v4
	v_mad_i64_i32 v[5:6], s[0:1], v3, s9, 0
	v_mov_b32_e32 v1, s5
	v_cmp_gt_i32_e32 vcc, s10, v3
	v_lshlrev_b64 v[5:6], 4, v[5:6]
	v_add_co_u32_e64 v5, s[0:1], s4, v5
	v_addc_co_u32_e64 v6, s[0:1], v1, v6, s[0:1]
	v_cmp_le_i32_e64 s[0:1], v0, v3
	s_and_b64 s[0:1], vcc, s[0:1]
	s_and_saveexec_b64 s[2:3], s[0:1]
	s_cbranch_execz .LBB421_10
; %bb.9:
	v_ashrrev_i32_e32 v1, 31, v0
	v_lshlrev_b64 v[12:13], 4, v[0:1]
	v_add_co_u32_e64 v22, s[0:1], v5, v12
	v_addc_co_u32_e64 v23, s[0:1], v6, v13, s[0:1]
	global_load_dwordx4 v[18:21], v[22:23], off
	v_mul_f64 v[12:13], s[20:21], v[16:17]
	v_mul_f64 v[16:17], s[22:23], v[16:17]
	v_cmp_ne_u32_e64 s[0:1], v3, v0
	v_fma_f64 v[12:13], s[22:23], v[14:15], v[12:13]
	v_fma_f64 v[14:15], s[20:21], v[14:15], -v[16:17]
	s_waitcnt vmcnt(0)
	v_mul_f64 v[24:25], s[14:15], v[20:21]
	v_mul_f64 v[20:21], s[16:17], v[20:21]
	v_fma_f64 v[24:25], s[16:17], v[18:19], v[24:25]
	v_fma_f64 v[16:17], s[14:15], v[18:19], -v[20:21]
	v_add_f64 v[18:19], v[12:13], v[24:25]
	v_add_f64 v[12:13], v[14:15], v[16:17]
	v_cndmask_b32_e64 v15, 0, v19, s[0:1]
	v_cndmask_b32_e64 v14, 0, v18, s[0:1]
	global_store_dwordx4 v[22:23], v[12:15], off
.LBB421_10:
	s_or_b64 exec, exec, s[2:3]
	v_cmp_le_i32_e64 s[0:1], v2, v3
	s_and_b64 s[0:1], vcc, s[0:1]
	s_and_saveexec_b64 s[2:3], s[0:1]
	s_cbranch_execz .LBB421_12
; %bb.11:
	v_ashrrev_i32_e32 v3, 31, v2
	v_lshlrev_b64 v[1:2], 4, v[2:3]
	v_add_co_u32_e32 v5, vcc, v5, v1
	v_addc_co_u32_e32 v6, vcc, v6, v2, vcc
	global_load_dwordx4 v[12:15], v[5:6], off
	v_mul_f64 v[1:2], s[20:21], v[10:11]
	v_mul_f64 v[10:11], s[22:23], v[10:11]
	v_cmp_ne_u32_e32 vcc, v4, v0
	v_fma_f64 v[1:2], s[22:23], v[8:9], v[1:2]
	v_fma_f64 v[7:8], s[20:21], v[8:9], -v[10:11]
	s_waitcnt vmcnt(0)
	v_mul_f64 v[16:17], s[14:15], v[14:15]
	v_mul_f64 v[14:15], s[16:17], v[14:15]
	v_fma_f64 v[16:17], s[16:17], v[12:13], v[16:17]
	v_fma_f64 v[9:10], s[14:15], v[12:13], -v[14:15]
	v_add_f64 v[11:12], v[1:2], v[16:17]
	v_add_f64 v[1:2], v[7:8], v[9:10]
	v_cndmask_b32_e32 v4, 0, v12, vcc
	v_cndmask_b32_e32 v3, 0, v11, vcc
	global_store_dwordx4 v[5:6], v[1:4], off
.LBB421_12:
	s_endpgm
	.section	.rodata,"a",@progbits
	.p2align	6, 0x0
	.amdhsa_kernel _ZL37rocblas_syrkx_herkx_restricted_kernelIi19rocblas_complex_numIdELi16ELi32ELi8ELb0ELb1ELc67ELc85EKS1_S1_EviT_T0_PT8_S3_lS6_S3_lS4_PT9_S3_li
		.amdhsa_group_segment_fixed_size 8192
		.amdhsa_private_segment_fixed_size 0
		.amdhsa_kernarg_size 116
		.amdhsa_user_sgpr_count 6
		.amdhsa_user_sgpr_private_segment_buffer 1
		.amdhsa_user_sgpr_dispatch_ptr 0
		.amdhsa_user_sgpr_queue_ptr 0
		.amdhsa_user_sgpr_kernarg_segment_ptr 1
		.amdhsa_user_sgpr_dispatch_id 0
		.amdhsa_user_sgpr_flat_scratch_init 0
		.amdhsa_user_sgpr_private_segment_size 0
		.amdhsa_uses_dynamic_stack 0
		.amdhsa_system_sgpr_private_segment_wavefront_offset 0
		.amdhsa_system_sgpr_workgroup_id_x 1
		.amdhsa_system_sgpr_workgroup_id_y 1
		.amdhsa_system_sgpr_workgroup_id_z 1
		.amdhsa_system_sgpr_workgroup_info 0
		.amdhsa_system_vgpr_workitem_id 1
		.amdhsa_next_free_vgpr 54
		.amdhsa_next_free_sgpr 61
		.amdhsa_reserve_vcc 1
		.amdhsa_reserve_flat_scratch 0
		.amdhsa_float_round_mode_32 0
		.amdhsa_float_round_mode_16_64 0
		.amdhsa_float_denorm_mode_32 3
		.amdhsa_float_denorm_mode_16_64 3
		.amdhsa_dx10_clamp 1
		.amdhsa_ieee_mode 1
		.amdhsa_fp16_overflow 0
		.amdhsa_exception_fp_ieee_invalid_op 0
		.amdhsa_exception_fp_denorm_src 0
		.amdhsa_exception_fp_ieee_div_zero 0
		.amdhsa_exception_fp_ieee_overflow 0
		.amdhsa_exception_fp_ieee_underflow 0
		.amdhsa_exception_fp_ieee_inexact 0
		.amdhsa_exception_int_div_zero 0
	.end_amdhsa_kernel
	.section	.text._ZL37rocblas_syrkx_herkx_restricted_kernelIi19rocblas_complex_numIdELi16ELi32ELi8ELb0ELb1ELc67ELc85EKS1_S1_EviT_T0_PT8_S3_lS6_S3_lS4_PT9_S3_li,"axG",@progbits,_ZL37rocblas_syrkx_herkx_restricted_kernelIi19rocblas_complex_numIdELi16ELi32ELi8ELb0ELb1ELc67ELc85EKS1_S1_EviT_T0_PT8_S3_lS6_S3_lS4_PT9_S3_li,comdat
.Lfunc_end421:
	.size	_ZL37rocblas_syrkx_herkx_restricted_kernelIi19rocblas_complex_numIdELi16ELi32ELi8ELb0ELb1ELc67ELc85EKS1_S1_EviT_T0_PT8_S3_lS6_S3_lS4_PT9_S3_li, .Lfunc_end421-_ZL37rocblas_syrkx_herkx_restricted_kernelIi19rocblas_complex_numIdELi16ELi32ELi8ELb0ELb1ELc67ELc85EKS1_S1_EviT_T0_PT8_S3_lS6_S3_lS4_PT9_S3_li
                                        ; -- End function
	.set _ZL37rocblas_syrkx_herkx_restricted_kernelIi19rocblas_complex_numIdELi16ELi32ELi8ELb0ELb1ELc67ELc85EKS1_S1_EviT_T0_PT8_S3_lS6_S3_lS4_PT9_S3_li.num_vgpr, 54
	.set _ZL37rocblas_syrkx_herkx_restricted_kernelIi19rocblas_complex_numIdELi16ELi32ELi8ELb0ELb1ELc67ELc85EKS1_S1_EviT_T0_PT8_S3_lS6_S3_lS4_PT9_S3_li.num_agpr, 0
	.set _ZL37rocblas_syrkx_herkx_restricted_kernelIi19rocblas_complex_numIdELi16ELi32ELi8ELb0ELb1ELc67ELc85EKS1_S1_EviT_T0_PT8_S3_lS6_S3_lS4_PT9_S3_li.numbered_sgpr, 30
	.set _ZL37rocblas_syrkx_herkx_restricted_kernelIi19rocblas_complex_numIdELi16ELi32ELi8ELb0ELb1ELc67ELc85EKS1_S1_EviT_T0_PT8_S3_lS6_S3_lS4_PT9_S3_li.num_named_barrier, 0
	.set _ZL37rocblas_syrkx_herkx_restricted_kernelIi19rocblas_complex_numIdELi16ELi32ELi8ELb0ELb1ELc67ELc85EKS1_S1_EviT_T0_PT8_S3_lS6_S3_lS4_PT9_S3_li.private_seg_size, 0
	.set _ZL37rocblas_syrkx_herkx_restricted_kernelIi19rocblas_complex_numIdELi16ELi32ELi8ELb0ELb1ELc67ELc85EKS1_S1_EviT_T0_PT8_S3_lS6_S3_lS4_PT9_S3_li.uses_vcc, 1
	.set _ZL37rocblas_syrkx_herkx_restricted_kernelIi19rocblas_complex_numIdELi16ELi32ELi8ELb0ELb1ELc67ELc85EKS1_S1_EviT_T0_PT8_S3_lS6_S3_lS4_PT9_S3_li.uses_flat_scratch, 0
	.set _ZL37rocblas_syrkx_herkx_restricted_kernelIi19rocblas_complex_numIdELi16ELi32ELi8ELb0ELb1ELc67ELc85EKS1_S1_EviT_T0_PT8_S3_lS6_S3_lS4_PT9_S3_li.has_dyn_sized_stack, 0
	.set _ZL37rocblas_syrkx_herkx_restricted_kernelIi19rocblas_complex_numIdELi16ELi32ELi8ELb0ELb1ELc67ELc85EKS1_S1_EviT_T0_PT8_S3_lS6_S3_lS4_PT9_S3_li.has_recursion, 0
	.set _ZL37rocblas_syrkx_herkx_restricted_kernelIi19rocblas_complex_numIdELi16ELi32ELi8ELb0ELb1ELc67ELc85EKS1_S1_EviT_T0_PT8_S3_lS6_S3_lS4_PT9_S3_li.has_indirect_call, 0
	.section	.AMDGPU.csdata,"",@progbits
; Kernel info:
; codeLenInByte = 3228
; TotalNumSgprs: 34
; NumVgprs: 54
; ScratchSize: 0
; MemoryBound: 0
; FloatMode: 240
; IeeeMode: 1
; LDSByteSize: 8192 bytes/workgroup (compile time only)
; SGPRBlocks: 8
; VGPRBlocks: 13
; NumSGPRsForWavesPerEU: 65
; NumVGPRsForWavesPerEU: 54
; Occupancy: 4
; WaveLimiterHint : 0
; COMPUTE_PGM_RSRC2:SCRATCH_EN: 0
; COMPUTE_PGM_RSRC2:USER_SGPR: 6
; COMPUTE_PGM_RSRC2:TRAP_HANDLER: 0
; COMPUTE_PGM_RSRC2:TGID_X_EN: 1
; COMPUTE_PGM_RSRC2:TGID_Y_EN: 1
; COMPUTE_PGM_RSRC2:TGID_Z_EN: 1
; COMPUTE_PGM_RSRC2:TIDIG_COMP_CNT: 1
	.section	.text._ZL37rocblas_syrkx_herkx_restricted_kernelIi19rocblas_complex_numIdELi16ELi32ELi8ELb0ELb1ELc78ELc85EKS1_S1_EviT_T0_PT8_S3_lS6_S3_lS4_PT9_S3_li,"axG",@progbits,_ZL37rocblas_syrkx_herkx_restricted_kernelIi19rocblas_complex_numIdELi16ELi32ELi8ELb0ELb1ELc78ELc85EKS1_S1_EviT_T0_PT8_S3_lS6_S3_lS4_PT9_S3_li,comdat
	.globl	_ZL37rocblas_syrkx_herkx_restricted_kernelIi19rocblas_complex_numIdELi16ELi32ELi8ELb0ELb1ELc78ELc85EKS1_S1_EviT_T0_PT8_S3_lS6_S3_lS4_PT9_S3_li ; -- Begin function _ZL37rocblas_syrkx_herkx_restricted_kernelIi19rocblas_complex_numIdELi16ELi32ELi8ELb0ELb1ELc78ELc85EKS1_S1_EviT_T0_PT8_S3_lS6_S3_lS4_PT9_S3_li
	.p2align	8
	.type	_ZL37rocblas_syrkx_herkx_restricted_kernelIi19rocblas_complex_numIdELi16ELi32ELi8ELb0ELb1ELc78ELc85EKS1_S1_EviT_T0_PT8_S3_lS6_S3_lS4_PT9_S3_li,@function
_ZL37rocblas_syrkx_herkx_restricted_kernelIi19rocblas_complex_numIdELi16ELi32ELi8ELb0ELb1ELc78ELc85EKS1_S1_EviT_T0_PT8_S3_lS6_S3_lS4_PT9_S3_li: ; @_ZL37rocblas_syrkx_herkx_restricted_kernelIi19rocblas_complex_numIdELi16ELi32ELi8ELb0ELb1ELc78ELc85EKS1_S1_EviT_T0_PT8_S3_lS6_S3_lS4_PT9_S3_li
; %bb.0:
	s_load_dwordx2 s[10:11], s[4:5], 0x0
	s_load_dwordx4 s[20:23], s[4:5], 0x8
	s_load_dwordx2 s[24:25], s[4:5], 0x18
	s_load_dwordx8 s[12:19], s[4:5], 0x40
	s_lshl_b32 s6, s6, 5
	s_lshl_b32 s7, s7, 5
	s_waitcnt lgkmcnt(0)
	s_cmp_lt_i32 s11, 1
	s_mov_b32 s9, 0
	s_cbranch_scc1 .LBB422_3
; %bb.1:
	s_load_dword s26, s[4:5], 0x20
	s_load_dword s28, s[4:5], 0x38
	s_load_dwordx4 s[0:3], s[4:5], 0x28
	v_lshl_add_u32 v2, v1, 4, v0
	v_lshrrev_b32_e32 v6, 3, v2
	v_lshrrev_b32_e32 v7, 5, v2
	v_and_b32_e32 v9, 31, v2
	v_add_u32_e32 v2, s7, v6
	v_and_b32_e32 v8, 7, v0
	v_ashrrev_i32_e32 v3, 31, v2
	s_waitcnt lgkmcnt(0)
	v_mad_i64_i32 v[4:5], s[30:31], s28, v8, v[2:3]
	v_lshlrev_b32_e32 v2, 4, v9
	v_lshl_or_b32 v22, v7, 9, v2
	v_lshlrev_b32_e32 v2, 4, v8
	v_lshl_or_b32 v2, v6, 7, v2
	v_add_u32_e32 v23, 0x1000, v2
	v_mov_b32_e32 v2, 0x1000
	v_lshl_add_u32 v25, v1, 7, v2
	v_add_u32_e32 v2, s6, v9
	v_ashrrev_i32_e32 v3, 31, v2
	v_mad_i64_i32 v[2:3], s[30:31], s26, v7, v[2:3]
	s_mul_i32 s1, s1, s8
	s_mul_hi_u32 s33, s0, s8
	s_add_i32 s1, s33, s1
	s_mul_i32 s0, s0, s8
	s_ashr_i32 s27, s26, 31
	s_ashr_i32 s29, s28, 31
	s_lshl_b64 s[0:1], s[0:1], 4
	v_lshlrev_b64 v[2:3], 4, v[2:3]
	s_add_u32 s0, s24, s0
	s_addc_u32 s1, s25, s1
	s_mul_i32 s13, s13, s8
	s_mul_hi_u32 s24, s12, s8
	v_mov_b32_e32 v6, s1
	v_add_co_u32_e32 v2, vcc, s0, v2
	s_add_i32 s13, s24, s13
	s_mul_i32 s12, s12, s8
	v_addc_co_u32_e32 v3, vcc, v6, v3, vcc
	s_lshl_b64 s[0:1], s[26:27], 7
	s_lshl_b64 s[12:13], s[12:13], 4
	v_add_co_u32_e32 v2, vcc, 8, v2
	v_lshlrev_b64 v[4:5], 4, v[4:5]
	s_add_u32 s2, s2, s12
	v_addc_co_u32_e32 v3, vcc, 0, v3, vcc
	s_addc_u32 s3, s3, s13
	v_mov_b32_e32 v6, s3
	v_add_co_u32_e32 v4, vcc, s2, v4
	v_addc_co_u32_e32 v5, vcc, v6, v5, vcc
	v_add_co_u32_e32 v4, vcc, 8, v4
	s_lshl_b64 s[2:3], s[28:29], 7
	v_mov_b32_e32 v6, 0
	v_mov_b32_e32 v8, 0
	;; [unrolled: 1-line block ×8, first 2 shown]
	v_lshlrev_b32_e32 v24, 4, v0
	v_addc_co_u32_e32 v5, vcc, 0, v5, vcc
	v_mov_b32_e32 v7, 0
	v_mov_b32_e32 v26, s1
	;; [unrolled: 1-line block ×10, first 2 shown]
.LBB422_2:                              ; =>This Inner Loop Header: Depth=1
	global_load_dwordx4 v[28:31], v[2:3], off offset:-8
	v_add_co_u32_e32 v2, vcc, s0, v2
	v_addc_co_u32_e32 v3, vcc, v3, v26, vcc
	s_add_i32 s9, s9, 8
	s_cmp_ge_i32 s9, s11
	s_waitcnt vmcnt(0)
	ds_write_b128 v22, v[28:31]
	global_load_dwordx4 v[28:31], v[4:5], off offset:-8
	v_add_co_u32_e32 v4, vcc, s2, v4
	v_addc_co_u32_e32 v5, vcc, v5, v27, vcc
	s_waitcnt vmcnt(0)
	v_xor_b32_e32 v31, 0x80000000, v31
	ds_write_b128 v23, v[28:31]
	s_waitcnt lgkmcnt(0)
	s_barrier
	ds_read_b128 v[28:31], v25
	ds_read_b128 v[32:35], v25 offset:16
	ds_read_b128 v[36:39], v25 offset:32
	;; [unrolled: 1-line block ×3, first 2 shown]
	ds_read_b128 v[44:47], v24
	s_waitcnt lgkmcnt(0)
	v_mul_f64 v[48:49], v[30:31], v[46:47]
	v_mul_f64 v[50:51], v[28:29], v[46:47]
	v_fma_f64 v[48:49], v[28:29], v[44:45], -v[48:49]
	v_fma_f64 v[50:51], v[30:31], v[44:45], v[50:51]
	v_add_f64 v[48:49], v[18:19], v[48:49]
	v_add_f64 v[50:51], v[50:51], v[20:21]
	ds_read_b128 v[18:21], v24 offset:256
	s_waitcnt lgkmcnt(0)
	v_mul_f64 v[52:53], v[30:31], v[20:21]
	v_fma_f64 v[52:53], v[28:29], v[18:19], -v[52:53]
	v_mul_f64 v[28:29], v[28:29], v[20:21]
	v_fma_f64 v[28:29], v[30:31], v[18:19], v[28:29]
	v_add_f64 v[30:31], v[10:11], v[52:53]
	v_add_f64 v[28:29], v[28:29], v[12:13]
	ds_read_b128 v[10:13], v25 offset:2048
	s_waitcnt lgkmcnt(0)
	v_mul_f64 v[52:53], v[12:13], v[46:47]
	v_mul_f64 v[46:47], v[10:11], v[46:47]
	v_fma_f64 v[52:53], v[10:11], v[44:45], -v[52:53]
	v_fma_f64 v[44:45], v[12:13], v[44:45], v[46:47]
	v_add_f64 v[46:47], v[14:15], v[52:53]
	v_mul_f64 v[14:15], v[12:13], v[20:21]
	v_add_f64 v[44:45], v[44:45], v[16:17]
	v_fma_f64 v[14:15], v[10:11], v[18:19], -v[14:15]
	v_mul_f64 v[10:11], v[10:11], v[20:21]
	v_fma_f64 v[10:11], v[12:13], v[18:19], v[10:11]
	v_add_f64 v[18:19], v[8:9], v[14:15]
	v_add_f64 v[20:21], v[10:11], v[6:7]
	ds_read_b128 v[6:9], v24 offset:512
	s_waitcnt lgkmcnt(0)
	v_mul_f64 v[10:11], v[34:35], v[8:9]
	v_mul_f64 v[12:13], v[32:33], v[8:9]
	v_fma_f64 v[10:11], v[32:33], v[6:7], -v[10:11]
	v_fma_f64 v[12:13], v[34:35], v[6:7], v[12:13]
	v_add_f64 v[48:49], v[48:49], v[10:11]
	v_add_f64 v[50:51], v[12:13], v[50:51]
	ds_read_b128 v[10:13], v24 offset:768
	s_waitcnt lgkmcnt(0)
	v_mul_f64 v[14:15], v[34:35], v[12:13]
	v_mul_f64 v[16:17], v[32:33], v[12:13]
	v_fma_f64 v[14:15], v[32:33], v[10:11], -v[14:15]
	;; [unrolled: 8-line block ×3, first 2 shown]
	v_fma_f64 v[6:7], v[16:17], v[6:7], v[8:9]
	v_mul_f64 v[8:9], v[14:15], v[12:13]
	v_add_f64 v[32:33], v[46:47], v[32:33]
	v_add_f64 v[34:35], v[6:7], v[44:45]
	v_mul_f64 v[6:7], v[16:17], v[12:13]
	v_fma_f64 v[8:9], v[16:17], v[10:11], v[8:9]
	v_fma_f64 v[6:7], v[14:15], v[10:11], -v[6:7]
	v_add_f64 v[20:21], v[8:9], v[20:21]
	v_add_f64 v[18:19], v[18:19], v[6:7]
	ds_read_b128 v[6:9], v24 offset:1024
	s_waitcnt lgkmcnt(0)
	v_mul_f64 v[10:11], v[38:39], v[8:9]
	v_mul_f64 v[12:13], v[36:37], v[8:9]
	v_fma_f64 v[10:11], v[36:37], v[6:7], -v[10:11]
	v_fma_f64 v[12:13], v[38:39], v[6:7], v[12:13]
	v_add_f64 v[44:45], v[48:49], v[10:11]
	v_add_f64 v[46:47], v[12:13], v[50:51]
	ds_read_b128 v[10:13], v24 offset:1280
	s_waitcnt lgkmcnt(0)
	v_mul_f64 v[14:15], v[38:39], v[12:13]
	v_mul_f64 v[16:17], v[36:37], v[12:13]
	v_fma_f64 v[14:15], v[36:37], v[10:11], -v[14:15]
	v_fma_f64 v[16:17], v[38:39], v[10:11], v[16:17]
	;; [unrolled: 8-line block ×3, first 2 shown]
	v_mul_f64 v[8:9], v[14:15], v[12:13]
	v_add_f64 v[32:33], v[32:33], v[36:37]
	v_add_f64 v[34:35], v[6:7], v[34:35]
	v_mul_f64 v[6:7], v[16:17], v[12:13]
	v_fma_f64 v[8:9], v[16:17], v[10:11], v[8:9]
	v_fma_f64 v[6:7], v[14:15], v[10:11], -v[6:7]
	v_add_f64 v[20:21], v[8:9], v[20:21]
	v_add_f64 v[18:19], v[18:19], v[6:7]
	ds_read_b128 v[6:9], v24 offset:1536
	s_waitcnt lgkmcnt(0)
	v_mul_f64 v[10:11], v[42:43], v[8:9]
	v_mul_f64 v[12:13], v[40:41], v[8:9]
	v_fma_f64 v[10:11], v[40:41], v[6:7], -v[10:11]
	v_fma_f64 v[12:13], v[42:43], v[6:7], v[12:13]
	v_add_f64 v[36:37], v[44:45], v[10:11]
	v_add_f64 v[38:39], v[12:13], v[46:47]
	ds_read_b128 v[10:13], v24 offset:1792
	s_waitcnt lgkmcnt(0)
	v_mul_f64 v[14:15], v[42:43], v[12:13]
	v_mul_f64 v[16:17], v[40:41], v[12:13]
	v_fma_f64 v[14:15], v[40:41], v[10:11], -v[14:15]
	v_fma_f64 v[16:17], v[42:43], v[10:11], v[16:17]
	;; [unrolled: 8-line block ×3, first 2 shown]
	v_mul_f64 v[8:9], v[14:15], v[12:13]
	v_add_f64 v[32:33], v[32:33], v[40:41]
	v_add_f64 v[34:35], v[6:7], v[34:35]
	v_mul_f64 v[6:7], v[16:17], v[12:13]
	v_fma_f64 v[8:9], v[16:17], v[10:11], v[8:9]
	v_fma_f64 v[6:7], v[14:15], v[10:11], -v[6:7]
	v_add_f64 v[20:21], v[8:9], v[20:21]
	v_add_f64 v[18:19], v[18:19], v[6:7]
	ds_read_b128 v[6:9], v25 offset:64
	ds_read_b128 v[10:13], v24 offset:2048
	s_waitcnt lgkmcnt(0)
	v_mul_f64 v[14:15], v[8:9], v[12:13]
	v_mul_f64 v[16:17], v[6:7], v[12:13]
	v_fma_f64 v[14:15], v[6:7], v[10:11], -v[14:15]
	v_fma_f64 v[16:17], v[8:9], v[10:11], v[16:17]
	v_add_f64 v[36:37], v[36:37], v[14:15]
	v_add_f64 v[38:39], v[16:17], v[38:39]
	ds_read_b128 v[14:17], v24 offset:2304
	s_waitcnt lgkmcnt(0)
	v_mul_f64 v[40:41], v[8:9], v[16:17]
	v_fma_f64 v[40:41], v[6:7], v[14:15], -v[40:41]
	v_mul_f64 v[6:7], v[6:7], v[16:17]
	v_add_f64 v[30:31], v[30:31], v[40:41]
	v_fma_f64 v[6:7], v[8:9], v[14:15], v[6:7]
	v_add_f64 v[28:29], v[6:7], v[28:29]
	ds_read_b128 v[6:9], v25 offset:2112
	s_waitcnt lgkmcnt(0)
	v_mul_f64 v[40:41], v[8:9], v[12:13]
	v_mul_f64 v[12:13], v[6:7], v[12:13]
	v_fma_f64 v[40:41], v[6:7], v[10:11], -v[40:41]
	v_fma_f64 v[10:11], v[8:9], v[10:11], v[12:13]
	v_add_f64 v[32:33], v[32:33], v[40:41]
	v_add_f64 v[34:35], v[10:11], v[34:35]
	v_mul_f64 v[10:11], v[8:9], v[16:17]
	v_fma_f64 v[10:11], v[6:7], v[14:15], -v[10:11]
	v_mul_f64 v[6:7], v[6:7], v[16:17]
	v_add_f64 v[18:19], v[18:19], v[10:11]
	v_fma_f64 v[6:7], v[8:9], v[14:15], v[6:7]
	v_add_f64 v[20:21], v[6:7], v[20:21]
	ds_read_b128 v[6:9], v25 offset:80
	ds_read_b128 v[10:13], v24 offset:2560
	s_waitcnt lgkmcnt(0)
	v_mul_f64 v[14:15], v[8:9], v[12:13]
	v_mul_f64 v[16:17], v[6:7], v[12:13]
	v_fma_f64 v[14:15], v[6:7], v[10:11], -v[14:15]
	v_fma_f64 v[16:17], v[8:9], v[10:11], v[16:17]
	v_add_f64 v[36:37], v[36:37], v[14:15]
	v_add_f64 v[38:39], v[16:17], v[38:39]
	ds_read_b128 v[14:17], v24 offset:2816
	s_waitcnt lgkmcnt(0)
	v_mul_f64 v[40:41], v[8:9], v[16:17]
	v_fma_f64 v[40:41], v[6:7], v[14:15], -v[40:41]
	v_mul_f64 v[6:7], v[6:7], v[16:17]
	v_add_f64 v[30:31], v[30:31], v[40:41]
	v_fma_f64 v[6:7], v[8:9], v[14:15], v[6:7]
	v_add_f64 v[28:29], v[6:7], v[28:29]
	ds_read_b128 v[6:9], v25 offset:2128
	s_waitcnt lgkmcnt(0)
	v_mul_f64 v[40:41], v[8:9], v[12:13]
	v_mul_f64 v[12:13], v[6:7], v[12:13]
	v_fma_f64 v[40:41], v[6:7], v[10:11], -v[40:41]
	v_fma_f64 v[10:11], v[8:9], v[10:11], v[12:13]
	v_add_f64 v[32:33], v[32:33], v[40:41]
	v_add_f64 v[34:35], v[10:11], v[34:35]
	v_mul_f64 v[10:11], v[8:9], v[16:17]
	v_fma_f64 v[10:11], v[6:7], v[14:15], -v[10:11]
	v_mul_f64 v[6:7], v[6:7], v[16:17]
	v_add_f64 v[18:19], v[18:19], v[10:11]
	v_fma_f64 v[6:7], v[8:9], v[14:15], v[6:7]
	;; [unrolled: 31-line block ×3, first 2 shown]
	v_add_f64 v[46:47], v[6:7], v[20:21]
	ds_read_b128 v[6:9], v25 offset:112
	ds_read_b128 v[14:17], v24 offset:3584
	;; [unrolled: 1-line block ×3, first 2 shown]
	s_waitcnt lgkmcnt(1)
	v_mul_f64 v[10:11], v[8:9], v[16:17]
	v_mul_f64 v[12:13], v[6:7], v[16:17]
	v_fma_f64 v[10:11], v[6:7], v[14:15], -v[10:11]
	v_fma_f64 v[12:13], v[8:9], v[14:15], v[12:13]
	v_add_f64 v[18:19], v[36:37], v[10:11]
	s_waitcnt lgkmcnt(0)
	v_mul_f64 v[10:11], v[8:9], v[30:31]
	v_add_f64 v[20:21], v[12:13], v[38:39]
	v_fma_f64 v[10:11], v[6:7], v[28:29], -v[10:11]
	v_mul_f64 v[6:7], v[6:7], v[30:31]
	v_add_f64 v[10:11], v[40:41], v[10:11]
	v_fma_f64 v[6:7], v[8:9], v[28:29], v[6:7]
	v_add_f64 v[12:13], v[6:7], v[42:43]
	ds_read_b128 v[6:9], v25 offset:2160
	s_waitcnt lgkmcnt(0)
	s_barrier
	v_mul_f64 v[36:37], v[8:9], v[16:17]
	v_mul_f64 v[16:17], v[6:7], v[16:17]
	v_fma_f64 v[36:37], v[6:7], v[14:15], -v[36:37]
	v_fma_f64 v[16:17], v[8:9], v[14:15], v[16:17]
	v_add_f64 v[14:15], v[32:33], v[36:37]
	v_mul_f64 v[32:33], v[8:9], v[30:31]
	v_add_f64 v[16:17], v[16:17], v[34:35]
	v_fma_f64 v[32:33], v[6:7], v[28:29], -v[32:33]
	v_mul_f64 v[6:7], v[6:7], v[30:31]
	v_fma_f64 v[6:7], v[8:9], v[28:29], v[6:7]
	v_add_f64 v[8:9], v[44:45], v[32:33]
	v_add_f64 v[6:7], v[6:7], v[46:47]
	s_cbranch_scc0 .LBB422_2
	s_branch .LBB422_4
.LBB422_3:
	v_mov_b32_e32 v18, 0
	v_mov_b32_e32 v20, 0
	;; [unrolled: 1-line block ×16, first 2 shown]
.LBB422_4:
	s_load_dwordx2 s[0:1], s[4:5], 0x68
	s_load_dword s9, s[4:5], 0x60
	v_add_u32_e32 v4, s7, v1
	v_add_u32_e32 v0, s6, v0
	v_cmp_gt_i32_e32 vcc, s10, v4
	s_waitcnt lgkmcnt(0)
	s_mul_i32 s1, s1, s8
	s_mul_hi_u32 s2, s0, s8
	s_add_i32 s1, s2, s1
	v_mad_i64_i32 v[1:2], s[2:3], v4, s9, 0
	s_mul_i32 s0, s0, s8
	s_lshl_b64 s[0:1], s[0:1], 4
	s_add_u32 s4, s18, s0
	v_lshlrev_b64 v[1:2], 4, v[1:2]
	s_addc_u32 s5, s19, s1
	v_mov_b32_e32 v3, s5
	v_add_co_u32_e64 v5, s[0:1], s4, v1
	v_addc_co_u32_e64 v22, s[0:1], v3, v2, s[0:1]
	v_cmp_le_i32_e64 s[0:1], v0, v4
	s_and_b64 s[0:1], vcc, s[0:1]
	s_and_saveexec_b64 s[2:3], s[0:1]
	s_cbranch_execz .LBB422_6
; %bb.5:
	v_ashrrev_i32_e32 v1, 31, v0
	v_lshlrev_b64 v[1:2], 4, v[0:1]
	v_mul_f64 v[27:28], s[20:21], v[20:21]
	v_add_co_u32_e64 v1, s[0:1], v5, v1
	v_addc_co_u32_e64 v2, s[0:1], v22, v2, s[0:1]
	global_load_dwordx4 v[23:26], v[1:2], off
	v_mul_f64 v[20:21], s[22:23], v[20:21]
	v_cmp_ne_u32_e64 s[0:1], v4, v0
	v_fma_f64 v[27:28], s[22:23], v[18:19], v[27:28]
	v_fma_f64 v[18:19], s[20:21], v[18:19], -v[20:21]
	s_waitcnt vmcnt(0)
	v_mul_f64 v[29:30], s[14:15], v[25:26]
	v_mul_f64 v[25:26], s[16:17], v[25:26]
	v_fma_f64 v[29:30], s[16:17], v[23:24], v[29:30]
	v_fma_f64 v[20:21], s[14:15], v[23:24], -v[25:26]
	v_add_f64 v[23:24], v[27:28], v[29:30]
	v_add_f64 v[18:19], v[18:19], v[20:21]
	v_cndmask_b32_e64 v21, 0, v24, s[0:1]
	v_cndmask_b32_e64 v20, 0, v23, s[0:1]
	global_store_dwordx4 v[1:2], v[18:21], off
.LBB422_6:
	s_or_b64 exec, exec, s[2:3]
	v_add_u32_e32 v2, 16, v0
	v_cmp_le_i32_e64 s[0:1], v2, v4
	s_and_b64 s[2:3], vcc, s[0:1]
	s_and_saveexec_b64 s[0:1], s[2:3]
	s_cbranch_execz .LBB422_8
; %bb.7:
	v_ashrrev_i32_e32 v3, 31, v2
	v_lshlrev_b64 v[18:19], 4, v[2:3]
	v_mul_f64 v[25:26], s[20:21], v[12:13]
	v_add_co_u32_e32 v23, vcc, v5, v18
	v_addc_co_u32_e32 v24, vcc, v22, v19, vcc
	global_load_dwordx4 v[18:21], v[23:24], off
	v_mul_f64 v[12:13], s[22:23], v[12:13]
	v_cmp_ne_u32_e32 vcc, v4, v2
	v_fma_f64 v[25:26], s[22:23], v[10:11], v[25:26]
	v_fma_f64 v[10:11], s[20:21], v[10:11], -v[12:13]
	s_waitcnt vmcnt(0)
	v_mul_f64 v[27:28], s[14:15], v[20:21]
	v_mul_f64 v[20:21], s[16:17], v[20:21]
	v_fma_f64 v[27:28], s[16:17], v[18:19], v[27:28]
	v_fma_f64 v[12:13], s[14:15], v[18:19], -v[20:21]
	v_add_f64 v[18:19], v[25:26], v[27:28]
	v_add_f64 v[10:11], v[10:11], v[12:13]
	v_cndmask_b32_e32 v13, 0, v19, vcc
	v_cndmask_b32_e32 v12, 0, v18, vcc
	global_store_dwordx4 v[23:24], v[10:13], off
.LBB422_8:
	s_or_b64 exec, exec, s[0:1]
	v_add_u32_e32 v3, 16, v4
	v_mad_i64_i32 v[10:11], s[0:1], v3, s9, 0
	v_mov_b32_e32 v1, s5
	v_cmp_gt_i32_e32 vcc, s10, v3
	v_lshlrev_b64 v[10:11], 4, v[10:11]
	v_add_co_u32_e64 v5, s[0:1], s4, v10
	v_addc_co_u32_e64 v10, s[0:1], v1, v11, s[0:1]
	v_cmp_le_i32_e64 s[0:1], v0, v3
	s_and_b64 s[0:1], vcc, s[0:1]
	s_and_saveexec_b64 s[2:3], s[0:1]
	s_cbranch_execz .LBB422_10
; %bb.9:
	v_ashrrev_i32_e32 v1, 31, v0
	v_lshlrev_b64 v[11:12], 4, v[0:1]
	v_add_co_u32_e64 v22, s[0:1], v5, v11
	v_addc_co_u32_e64 v23, s[0:1], v10, v12, s[0:1]
	global_load_dwordx4 v[18:21], v[22:23], off
	v_mul_f64 v[11:12], s[20:21], v[16:17]
	v_mul_f64 v[16:17], s[22:23], v[16:17]
	v_cmp_ne_u32_e64 s[0:1], v3, v0
	v_fma_f64 v[11:12], s[22:23], v[14:15], v[11:12]
	v_fma_f64 v[13:14], s[20:21], v[14:15], -v[16:17]
	s_waitcnt vmcnt(0)
	v_mul_f64 v[24:25], s[14:15], v[20:21]
	v_mul_f64 v[20:21], s[16:17], v[20:21]
	v_fma_f64 v[24:25], s[16:17], v[18:19], v[24:25]
	v_fma_f64 v[15:16], s[14:15], v[18:19], -v[20:21]
	v_add_f64 v[17:18], v[11:12], v[24:25]
	v_add_f64 v[11:12], v[13:14], v[15:16]
	v_cndmask_b32_e64 v14, 0, v18, s[0:1]
	v_cndmask_b32_e64 v13, 0, v17, s[0:1]
	global_store_dwordx4 v[22:23], v[11:14], off
.LBB422_10:
	s_or_b64 exec, exec, s[2:3]
	v_cmp_le_i32_e64 s[0:1], v2, v3
	s_and_b64 s[0:1], vcc, s[0:1]
	s_and_saveexec_b64 s[2:3], s[0:1]
	s_cbranch_execz .LBB422_12
; %bb.11:
	v_ashrrev_i32_e32 v3, 31, v2
	v_lshlrev_b64 v[1:2], 4, v[2:3]
	v_add_co_u32_e32 v14, vcc, v5, v1
	v_addc_co_u32_e32 v15, vcc, v10, v2, vcc
	global_load_dwordx4 v[10:13], v[14:15], off
	v_mul_f64 v[1:2], s[20:21], v[6:7]
	v_mul_f64 v[5:6], s[22:23], v[6:7]
	v_cmp_ne_u32_e32 vcc, v4, v0
	v_fma_f64 v[1:2], s[22:23], v[8:9], v[1:2]
	v_fma_f64 v[5:6], s[20:21], v[8:9], -v[5:6]
	s_waitcnt vmcnt(0)
	v_mul_f64 v[16:17], s[14:15], v[12:13]
	v_mul_f64 v[12:13], s[16:17], v[12:13]
	v_fma_f64 v[16:17], s[16:17], v[10:11], v[16:17]
	v_fma_f64 v[7:8], s[14:15], v[10:11], -v[12:13]
	v_add_f64 v[9:10], v[1:2], v[16:17]
	v_add_f64 v[1:2], v[5:6], v[7:8]
	v_cndmask_b32_e32 v4, 0, v10, vcc
	v_cndmask_b32_e32 v3, 0, v9, vcc
	global_store_dwordx4 v[14:15], v[1:4], off
.LBB422_12:
	s_endpgm
	.section	.rodata,"a",@progbits
	.p2align	6, 0x0
	.amdhsa_kernel _ZL37rocblas_syrkx_herkx_restricted_kernelIi19rocblas_complex_numIdELi16ELi32ELi8ELb0ELb1ELc78ELc85EKS1_S1_EviT_T0_PT8_S3_lS6_S3_lS4_PT9_S3_li
		.amdhsa_group_segment_fixed_size 8192
		.amdhsa_private_segment_fixed_size 0
		.amdhsa_kernarg_size 116
		.amdhsa_user_sgpr_count 6
		.amdhsa_user_sgpr_private_segment_buffer 1
		.amdhsa_user_sgpr_dispatch_ptr 0
		.amdhsa_user_sgpr_queue_ptr 0
		.amdhsa_user_sgpr_kernarg_segment_ptr 1
		.amdhsa_user_sgpr_dispatch_id 0
		.amdhsa_user_sgpr_flat_scratch_init 0
		.amdhsa_user_sgpr_private_segment_size 0
		.amdhsa_uses_dynamic_stack 0
		.amdhsa_system_sgpr_private_segment_wavefront_offset 0
		.amdhsa_system_sgpr_workgroup_id_x 1
		.amdhsa_system_sgpr_workgroup_id_y 1
		.amdhsa_system_sgpr_workgroup_id_z 1
		.amdhsa_system_sgpr_workgroup_info 0
		.amdhsa_system_vgpr_workitem_id 1
		.amdhsa_next_free_vgpr 54
		.amdhsa_next_free_sgpr 61
		.amdhsa_reserve_vcc 1
		.amdhsa_reserve_flat_scratch 0
		.amdhsa_float_round_mode_32 0
		.amdhsa_float_round_mode_16_64 0
		.amdhsa_float_denorm_mode_32 3
		.amdhsa_float_denorm_mode_16_64 3
		.amdhsa_dx10_clamp 1
		.amdhsa_ieee_mode 1
		.amdhsa_fp16_overflow 0
		.amdhsa_exception_fp_ieee_invalid_op 0
		.amdhsa_exception_fp_denorm_src 0
		.amdhsa_exception_fp_ieee_div_zero 0
		.amdhsa_exception_fp_ieee_overflow 0
		.amdhsa_exception_fp_ieee_underflow 0
		.amdhsa_exception_fp_ieee_inexact 0
		.amdhsa_exception_int_div_zero 0
	.end_amdhsa_kernel
	.section	.text._ZL37rocblas_syrkx_herkx_restricted_kernelIi19rocblas_complex_numIdELi16ELi32ELi8ELb0ELb1ELc78ELc85EKS1_S1_EviT_T0_PT8_S3_lS6_S3_lS4_PT9_S3_li,"axG",@progbits,_ZL37rocblas_syrkx_herkx_restricted_kernelIi19rocblas_complex_numIdELi16ELi32ELi8ELb0ELb1ELc78ELc85EKS1_S1_EviT_T0_PT8_S3_lS6_S3_lS4_PT9_S3_li,comdat
.Lfunc_end422:
	.size	_ZL37rocblas_syrkx_herkx_restricted_kernelIi19rocblas_complex_numIdELi16ELi32ELi8ELb0ELb1ELc78ELc85EKS1_S1_EviT_T0_PT8_S3_lS6_S3_lS4_PT9_S3_li, .Lfunc_end422-_ZL37rocblas_syrkx_herkx_restricted_kernelIi19rocblas_complex_numIdELi16ELi32ELi8ELb0ELb1ELc78ELc85EKS1_S1_EviT_T0_PT8_S3_lS6_S3_lS4_PT9_S3_li
                                        ; -- End function
	.set _ZL37rocblas_syrkx_herkx_restricted_kernelIi19rocblas_complex_numIdELi16ELi32ELi8ELb0ELb1ELc78ELc85EKS1_S1_EviT_T0_PT8_S3_lS6_S3_lS4_PT9_S3_li.num_vgpr, 54
	.set _ZL37rocblas_syrkx_herkx_restricted_kernelIi19rocblas_complex_numIdELi16ELi32ELi8ELb0ELb1ELc78ELc85EKS1_S1_EviT_T0_PT8_S3_lS6_S3_lS4_PT9_S3_li.num_agpr, 0
	.set _ZL37rocblas_syrkx_herkx_restricted_kernelIi19rocblas_complex_numIdELi16ELi32ELi8ELb0ELb1ELc78ELc85EKS1_S1_EviT_T0_PT8_S3_lS6_S3_lS4_PT9_S3_li.numbered_sgpr, 34
	.set _ZL37rocblas_syrkx_herkx_restricted_kernelIi19rocblas_complex_numIdELi16ELi32ELi8ELb0ELb1ELc78ELc85EKS1_S1_EviT_T0_PT8_S3_lS6_S3_lS4_PT9_S3_li.num_named_barrier, 0
	.set _ZL37rocblas_syrkx_herkx_restricted_kernelIi19rocblas_complex_numIdELi16ELi32ELi8ELb0ELb1ELc78ELc85EKS1_S1_EviT_T0_PT8_S3_lS6_S3_lS4_PT9_S3_li.private_seg_size, 0
	.set _ZL37rocblas_syrkx_herkx_restricted_kernelIi19rocblas_complex_numIdELi16ELi32ELi8ELb0ELb1ELc78ELc85EKS1_S1_EviT_T0_PT8_S3_lS6_S3_lS4_PT9_S3_li.uses_vcc, 1
	.set _ZL37rocblas_syrkx_herkx_restricted_kernelIi19rocblas_complex_numIdELi16ELi32ELi8ELb0ELb1ELc78ELc85EKS1_S1_EviT_T0_PT8_S3_lS6_S3_lS4_PT9_S3_li.uses_flat_scratch, 0
	.set _ZL37rocblas_syrkx_herkx_restricted_kernelIi19rocblas_complex_numIdELi16ELi32ELi8ELb0ELb1ELc78ELc85EKS1_S1_EviT_T0_PT8_S3_lS6_S3_lS4_PT9_S3_li.has_dyn_sized_stack, 0
	.set _ZL37rocblas_syrkx_herkx_restricted_kernelIi19rocblas_complex_numIdELi16ELi32ELi8ELb0ELb1ELc78ELc85EKS1_S1_EviT_T0_PT8_S3_lS6_S3_lS4_PT9_S3_li.has_recursion, 0
	.set _ZL37rocblas_syrkx_herkx_restricted_kernelIi19rocblas_complex_numIdELi16ELi32ELi8ELb0ELb1ELc78ELc85EKS1_S1_EviT_T0_PT8_S3_lS6_S3_lS4_PT9_S3_li.has_indirect_call, 0
	.section	.AMDGPU.csdata,"",@progbits
; Kernel info:
; codeLenInByte = 3244
; TotalNumSgprs: 38
; NumVgprs: 54
; ScratchSize: 0
; MemoryBound: 0
; FloatMode: 240
; IeeeMode: 1
; LDSByteSize: 8192 bytes/workgroup (compile time only)
; SGPRBlocks: 8
; VGPRBlocks: 13
; NumSGPRsForWavesPerEU: 65
; NumVGPRsForWavesPerEU: 54
; Occupancy: 4
; WaveLimiterHint : 0
; COMPUTE_PGM_RSRC2:SCRATCH_EN: 0
; COMPUTE_PGM_RSRC2:USER_SGPR: 6
; COMPUTE_PGM_RSRC2:TRAP_HANDLER: 0
; COMPUTE_PGM_RSRC2:TGID_X_EN: 1
; COMPUTE_PGM_RSRC2:TGID_Y_EN: 1
; COMPUTE_PGM_RSRC2:TGID_Z_EN: 1
; COMPUTE_PGM_RSRC2:TIDIG_COMP_CNT: 1
	.section	.text._ZL41rocblas_syrkx_herkx_small_restrict_kernelIi19rocblas_complex_numIdELi16ELb1ELb1ELc84ELc76EKS1_S1_EviT_T0_PT6_S3_lS6_S3_lS4_PT7_S3_li,"axG",@progbits,_ZL41rocblas_syrkx_herkx_small_restrict_kernelIi19rocblas_complex_numIdELi16ELb1ELb1ELc84ELc76EKS1_S1_EviT_T0_PT6_S3_lS6_S3_lS4_PT7_S3_li,comdat
	.globl	_ZL41rocblas_syrkx_herkx_small_restrict_kernelIi19rocblas_complex_numIdELi16ELb1ELb1ELc84ELc76EKS1_S1_EviT_T0_PT6_S3_lS6_S3_lS4_PT7_S3_li ; -- Begin function _ZL41rocblas_syrkx_herkx_small_restrict_kernelIi19rocblas_complex_numIdELi16ELb1ELb1ELc84ELc76EKS1_S1_EviT_T0_PT6_S3_lS6_S3_lS4_PT7_S3_li
	.p2align	8
	.type	_ZL41rocblas_syrkx_herkx_small_restrict_kernelIi19rocblas_complex_numIdELi16ELb1ELb1ELc84ELc76EKS1_S1_EviT_T0_PT6_S3_lS6_S3_lS4_PT7_S3_li,@function
_ZL41rocblas_syrkx_herkx_small_restrict_kernelIi19rocblas_complex_numIdELi16ELb1ELb1ELc84ELc76EKS1_S1_EviT_T0_PT6_S3_lS6_S3_lS4_PT7_S3_li: ; @_ZL41rocblas_syrkx_herkx_small_restrict_kernelIi19rocblas_complex_numIdELi16ELb1ELb1ELc84ELc76EKS1_S1_EviT_T0_PT6_S3_lS6_S3_lS4_PT7_S3_li
; %bb.0:
	s_load_dword s9, s[4:5], 0x4
	s_load_dwordx4 s[0:3], s[4:5], 0x8
	s_load_dwordx2 s[10:11], s[4:5], 0x18
	s_mov_b32 s12, 0
	v_lshl_add_u32 v2, s6, 4, v0
	s_waitcnt lgkmcnt(0)
	s_cmp_lt_i32 s9, 1
	v_lshl_add_u32 v9, s7, 4, v1
	s_cbranch_scc1 .LBB423_6
; %bb.1:
	s_load_dword s13, s[4:5], 0x20
	s_load_dwordx4 s[16:19], s[4:5], 0x28
	s_load_dword s14, s[4:5], 0x38
	s_load_dwordx2 s[6:7], s[4:5], 0x40
	v_lshlrev_b32_e32 v5, 8, v1
	v_lshlrev_b32_e32 v10, 4, v0
	v_add_u32_e32 v11, v10, v5
	s_waitcnt lgkmcnt(0)
	v_mad_i64_i32 v[3:4], s[14:15], s14, v9, 0
	s_mul_i32 s7, s7, s8
	s_mul_hi_u32 s14, s6, s8
	v_lshlrev_b64 v[3:4], 4, v[3:4]
	s_add_i32 s7, s14, s7
	s_mul_i32 s6, s6, s8
	s_lshl_b64 s[6:7], s[6:7], 4
	v_add_u32_e32 v12, 0x1000, v5
	v_mov_b32_e32 v0, s7
	v_add_co_u32_e32 v3, vcc, s6, v3
	v_mad_i64_i32 v[5:6], s[6:7], s13, v2, 0
	v_addc_co_u32_e32 v0, vcc, v4, v0, vcc
	v_add_co_u32_e32 v3, vcc, v3, v10
	v_addc_co_u32_e32 v0, vcc, 0, v0, vcc
	s_mul_i32 s6, s17, s8
	s_mul_hi_u32 s7, s16, s8
	v_mov_b32_e32 v4, s19
	v_add_co_u32_e32 v3, vcc, s18, v3
	v_lshlrev_b64 v[5:6], 4, v[5:6]
	s_add_i32 s7, s7, s6
	s_mul_i32 s6, s16, s8
	v_addc_co_u32_e32 v4, vcc, v4, v0, vcc
	s_lshl_b64 s[6:7], s[6:7], 4
	v_mov_b32_e32 v0, s7
	v_add_co_u32_e32 v5, vcc, s6, v5
	v_addc_co_u32_e32 v0, vcc, v6, v0, vcc
	v_lshlrev_b32_e32 v1, 4, v1
	v_add_co_u32_e32 v1, vcc, v5, v1
	v_addc_co_u32_e32 v14, vcc, 0, v0, vcc
	v_mov_b32_e32 v15, s11
	v_mov_b32_e32 v7, 0
	v_mov_b32_e32 v5, 0
	v_add_co_u32_e32 v0, vcc, s10, v1
	v_add_u32_e32 v13, v12, v10
	v_mov_b32_e32 v8, 0
	v_mov_b32_e32 v6, 0
	v_addc_co_u32_e32 v1, vcc, v15, v14, vcc
.LBB423_2:                              ; =>This Inner Loop Header: Depth=1
	global_load_dwordx4 v[14:17], v[0:1], off
	s_add_i32 s12, s12, 16
	s_cmp_lt_i32 s12, s9
	s_waitcnt vmcnt(0)
	ds_write2_b64 v11, v[14:15], v[16:17] offset1:1
	global_load_dwordx4 v[14:17], v[3:4], off
	v_add_co_u32_e32 v3, vcc, 0x100, v3
	v_addc_co_u32_e32 v4, vcc, 0, v4, vcc
	v_add_co_u32_e32 v0, vcc, 0x100, v0
	v_addc_co_u32_e32 v1, vcc, 0, v1, vcc
	s_waitcnt vmcnt(0)
	ds_write2_b64 v13, v[14:15], v[16:17] offset1:1
	s_waitcnt lgkmcnt(0)
	s_barrier
	ds_read_b128 v[14:17], v12
	ds_read_b128 v[18:21], v12 offset:16
	ds_read_b128 v[22:25], v12 offset:32
	;; [unrolled: 1-line block ×3, first 2 shown]
	ds_read_b128 v[30:33], v10
	s_waitcnt lgkmcnt(0)
	v_mul_f64 v[34:35], v[16:17], v[32:33]
	v_fma_f64 v[34:35], v[14:15], v[30:31], -v[34:35]
	v_mul_f64 v[14:15], v[14:15], v[32:33]
	v_fma_f64 v[14:15], v[16:17], v[30:31], v[14:15]
	v_add_f64 v[16:17], v[5:6], v[34:35]
	v_add_f64 v[14:15], v[7:8], v[14:15]
	ds_read_b128 v[5:8], v10 offset:256
	s_waitcnt lgkmcnt(0)
	v_mul_f64 v[30:31], v[20:21], v[7:8]
	v_mul_f64 v[7:8], v[18:19], v[7:8]
	v_fma_f64 v[30:31], v[18:19], v[5:6], -v[30:31]
	v_fma_f64 v[5:6], v[20:21], v[5:6], v[7:8]
	v_add_f64 v[16:17], v[16:17], v[30:31]
	v_add_f64 v[14:15], v[14:15], v[5:6]
	ds_read_b128 v[5:8], v10 offset:512
	s_waitcnt lgkmcnt(0)
	v_mul_f64 v[18:19], v[24:25], v[7:8]
	v_mul_f64 v[7:8], v[22:23], v[7:8]
	v_fma_f64 v[18:19], v[22:23], v[5:6], -v[18:19]
	;; [unrolled: 8-line block ×3, first 2 shown]
	v_fma_f64 v[5:6], v[28:29], v[5:6], v[7:8]
	v_add_f64 v[18:19], v[16:17], v[18:19]
	v_add_f64 v[20:21], v[14:15], v[5:6]
	ds_read_b128 v[5:8], v12 offset:64
	ds_read_b128 v[14:17], v10 offset:1024
	s_waitcnt lgkmcnt(0)
	v_mul_f64 v[22:23], v[7:8], v[16:17]
	v_fma_f64 v[22:23], v[5:6], v[14:15], -v[22:23]
	v_mul_f64 v[5:6], v[5:6], v[16:17]
	v_add_f64 v[18:19], v[18:19], v[22:23]
	v_fma_f64 v[5:6], v[7:8], v[14:15], v[5:6]
	v_add_f64 v[20:21], v[20:21], v[5:6]
	ds_read_b128 v[5:8], v12 offset:80
	ds_read_b128 v[14:17], v10 offset:1280
	s_waitcnt lgkmcnt(0)
	v_mul_f64 v[22:23], v[7:8], v[16:17]
	v_fma_f64 v[22:23], v[5:6], v[14:15], -v[22:23]
	v_mul_f64 v[5:6], v[5:6], v[16:17]
	v_add_f64 v[18:19], v[18:19], v[22:23]
	v_fma_f64 v[5:6], v[7:8], v[14:15], v[5:6]
	;; [unrolled: 9-line block ×11, first 2 shown]
	v_add_f64 v[20:21], v[20:21], v[5:6]
	ds_read_b128 v[5:8], v12 offset:240
	ds_read_b128 v[14:17], v10 offset:3840
	s_waitcnt lgkmcnt(0)
	s_barrier
	v_mul_f64 v[22:23], v[7:8], v[16:17]
	v_fma_f64 v[22:23], v[5:6], v[14:15], -v[22:23]
	v_mul_f64 v[5:6], v[5:6], v[16:17]
	v_fma_f64 v[7:8], v[7:8], v[14:15], v[5:6]
	v_add_f64 v[5:6], v[18:19], v[22:23]
	v_add_f64 v[7:8], v[20:21], v[7:8]
	s_cbranch_scc1 .LBB423_2
; %bb.3:
	v_cmp_le_i32_e32 vcc, v9, v2
	s_and_saveexec_b64 s[6:7], vcc
	s_cbranch_execz .LBB423_5
.LBB423_4:
	s_load_dwordx2 s[6:7], s[4:5], 0x68
	s_load_dwordx2 s[10:11], s[4:5], 0x58
	s_load_dword s9, s[4:5], 0x60
	v_mul_f64 v[0:1], s[2:3], v[7:8]
	v_mul_f64 v[3:4], s[0:1], v[7:8]
	s_waitcnt lgkmcnt(0)
	s_mul_i32 s4, s7, s8
	s_mul_hi_u32 s5, s6, s8
	s_add_i32 s5, s5, s4
	s_mul_i32 s4, s6, s8
	s_lshl_b64 s[4:5], s[4:5], 4
	s_add_u32 s6, s10, s4
	s_addc_u32 s7, s11, s5
	v_mad_i64_i32 v[7:8], s[4:5], s9, v9, 0
	v_fma_f64 v[0:1], s[0:1], v[5:6], -v[0:1]
	v_fma_f64 v[4:5], s[2:3], v[5:6], v[3:4]
	v_lshlrev_b64 v[6:7], 4, v[7:8]
	v_ashrrev_i32_e32 v3, 31, v2
	v_mov_b32_e32 v8, s7
	v_add_co_u32_e32 v10, vcc, s6, v6
	v_addc_co_u32_e32 v8, vcc, v8, v7, vcc
	v_lshlrev_b64 v[6:7], 4, v[2:3]
	v_add_co_u32_e32 v6, vcc, v10, v6
	v_addc_co_u32_e32 v7, vcc, v8, v7, vcc
	v_cmp_ne_u32_e32 vcc, v2, v9
	v_cndmask_b32_e32 v3, 0, v5, vcc
	v_cndmask_b32_e32 v2, 0, v4, vcc
	global_store_dwordx4 v[6:7], v[0:3], off
.LBB423_5:
	s_endpgm
.LBB423_6:
	v_mov_b32_e32 v7, 0
	v_mov_b32_e32 v5, 0
	;; [unrolled: 1-line block ×4, first 2 shown]
	v_cmp_le_i32_e32 vcc, v9, v2
	s_and_saveexec_b64 s[6:7], vcc
	s_cbranch_execnz .LBB423_4
	s_branch .LBB423_5
	.section	.rodata,"a",@progbits
	.p2align	6, 0x0
	.amdhsa_kernel _ZL41rocblas_syrkx_herkx_small_restrict_kernelIi19rocblas_complex_numIdELi16ELb1ELb1ELc84ELc76EKS1_S1_EviT_T0_PT6_S3_lS6_S3_lS4_PT7_S3_li
		.amdhsa_group_segment_fixed_size 8192
		.amdhsa_private_segment_fixed_size 0
		.amdhsa_kernarg_size 116
		.amdhsa_user_sgpr_count 6
		.amdhsa_user_sgpr_private_segment_buffer 1
		.amdhsa_user_sgpr_dispatch_ptr 0
		.amdhsa_user_sgpr_queue_ptr 0
		.amdhsa_user_sgpr_kernarg_segment_ptr 1
		.amdhsa_user_sgpr_dispatch_id 0
		.amdhsa_user_sgpr_flat_scratch_init 0
		.amdhsa_user_sgpr_private_segment_size 0
		.amdhsa_uses_dynamic_stack 0
		.amdhsa_system_sgpr_private_segment_wavefront_offset 0
		.amdhsa_system_sgpr_workgroup_id_x 1
		.amdhsa_system_sgpr_workgroup_id_y 1
		.amdhsa_system_sgpr_workgroup_id_z 1
		.amdhsa_system_sgpr_workgroup_info 0
		.amdhsa_system_vgpr_workitem_id 1
		.amdhsa_next_free_vgpr 36
		.amdhsa_next_free_sgpr 61
		.amdhsa_reserve_vcc 1
		.amdhsa_reserve_flat_scratch 0
		.amdhsa_float_round_mode_32 0
		.amdhsa_float_round_mode_16_64 0
		.amdhsa_float_denorm_mode_32 3
		.amdhsa_float_denorm_mode_16_64 3
		.amdhsa_dx10_clamp 1
		.amdhsa_ieee_mode 1
		.amdhsa_fp16_overflow 0
		.amdhsa_exception_fp_ieee_invalid_op 0
		.amdhsa_exception_fp_denorm_src 0
		.amdhsa_exception_fp_ieee_div_zero 0
		.amdhsa_exception_fp_ieee_overflow 0
		.amdhsa_exception_fp_ieee_underflow 0
		.amdhsa_exception_fp_ieee_inexact 0
		.amdhsa_exception_int_div_zero 0
	.end_amdhsa_kernel
	.section	.text._ZL41rocblas_syrkx_herkx_small_restrict_kernelIi19rocblas_complex_numIdELi16ELb1ELb1ELc84ELc76EKS1_S1_EviT_T0_PT6_S3_lS6_S3_lS4_PT7_S3_li,"axG",@progbits,_ZL41rocblas_syrkx_herkx_small_restrict_kernelIi19rocblas_complex_numIdELi16ELb1ELb1ELc84ELc76EKS1_S1_EviT_T0_PT6_S3_lS6_S3_lS4_PT7_S3_li,comdat
.Lfunc_end423:
	.size	_ZL41rocblas_syrkx_herkx_small_restrict_kernelIi19rocblas_complex_numIdELi16ELb1ELb1ELc84ELc76EKS1_S1_EviT_T0_PT6_S3_lS6_S3_lS4_PT7_S3_li, .Lfunc_end423-_ZL41rocblas_syrkx_herkx_small_restrict_kernelIi19rocblas_complex_numIdELi16ELb1ELb1ELc84ELc76EKS1_S1_EviT_T0_PT6_S3_lS6_S3_lS4_PT7_S3_li
                                        ; -- End function
	.set _ZL41rocblas_syrkx_herkx_small_restrict_kernelIi19rocblas_complex_numIdELi16ELb1ELb1ELc84ELc76EKS1_S1_EviT_T0_PT6_S3_lS6_S3_lS4_PT7_S3_li.num_vgpr, 36
	.set _ZL41rocblas_syrkx_herkx_small_restrict_kernelIi19rocblas_complex_numIdELi16ELb1ELb1ELc84ELc76EKS1_S1_EviT_T0_PT6_S3_lS6_S3_lS4_PT7_S3_li.num_agpr, 0
	.set _ZL41rocblas_syrkx_herkx_small_restrict_kernelIi19rocblas_complex_numIdELi16ELb1ELb1ELc84ELc76EKS1_S1_EviT_T0_PT6_S3_lS6_S3_lS4_PT7_S3_li.numbered_sgpr, 20
	.set _ZL41rocblas_syrkx_herkx_small_restrict_kernelIi19rocblas_complex_numIdELi16ELb1ELb1ELc84ELc76EKS1_S1_EviT_T0_PT6_S3_lS6_S3_lS4_PT7_S3_li.num_named_barrier, 0
	.set _ZL41rocblas_syrkx_herkx_small_restrict_kernelIi19rocblas_complex_numIdELi16ELb1ELb1ELc84ELc76EKS1_S1_EviT_T0_PT6_S3_lS6_S3_lS4_PT7_S3_li.private_seg_size, 0
	.set _ZL41rocblas_syrkx_herkx_small_restrict_kernelIi19rocblas_complex_numIdELi16ELb1ELb1ELc84ELc76EKS1_S1_EviT_T0_PT6_S3_lS6_S3_lS4_PT7_S3_li.uses_vcc, 1
	.set _ZL41rocblas_syrkx_herkx_small_restrict_kernelIi19rocblas_complex_numIdELi16ELb1ELb1ELc84ELc76EKS1_S1_EviT_T0_PT6_S3_lS6_S3_lS4_PT7_S3_li.uses_flat_scratch, 0
	.set _ZL41rocblas_syrkx_herkx_small_restrict_kernelIi19rocblas_complex_numIdELi16ELb1ELb1ELc84ELc76EKS1_S1_EviT_T0_PT6_S3_lS6_S3_lS4_PT7_S3_li.has_dyn_sized_stack, 0
	.set _ZL41rocblas_syrkx_herkx_small_restrict_kernelIi19rocblas_complex_numIdELi16ELb1ELb1ELc84ELc76EKS1_S1_EviT_T0_PT6_S3_lS6_S3_lS4_PT7_S3_li.has_recursion, 0
	.set _ZL41rocblas_syrkx_herkx_small_restrict_kernelIi19rocblas_complex_numIdELi16ELb1ELb1ELc84ELc76EKS1_S1_EviT_T0_PT6_S3_lS6_S3_lS4_PT7_S3_li.has_indirect_call, 0
	.section	.AMDGPU.csdata,"",@progbits
; Kernel info:
; codeLenInByte = 1652
; TotalNumSgprs: 24
; NumVgprs: 36
; ScratchSize: 0
; MemoryBound: 0
; FloatMode: 240
; IeeeMode: 1
; LDSByteSize: 8192 bytes/workgroup (compile time only)
; SGPRBlocks: 8
; VGPRBlocks: 8
; NumSGPRsForWavesPerEU: 65
; NumVGPRsForWavesPerEU: 36
; Occupancy: 7
; WaveLimiterHint : 0
; COMPUTE_PGM_RSRC2:SCRATCH_EN: 0
; COMPUTE_PGM_RSRC2:USER_SGPR: 6
; COMPUTE_PGM_RSRC2:TRAP_HANDLER: 0
; COMPUTE_PGM_RSRC2:TGID_X_EN: 1
; COMPUTE_PGM_RSRC2:TGID_Y_EN: 1
; COMPUTE_PGM_RSRC2:TGID_Z_EN: 1
; COMPUTE_PGM_RSRC2:TIDIG_COMP_CNT: 1
	.section	.text._ZL41rocblas_syrkx_herkx_small_restrict_kernelIi19rocblas_complex_numIdELi16ELb1ELb1ELc67ELc76EKS1_S1_EviT_T0_PT6_S3_lS6_S3_lS4_PT7_S3_li,"axG",@progbits,_ZL41rocblas_syrkx_herkx_small_restrict_kernelIi19rocblas_complex_numIdELi16ELb1ELb1ELc67ELc76EKS1_S1_EviT_T0_PT6_S3_lS6_S3_lS4_PT7_S3_li,comdat
	.globl	_ZL41rocblas_syrkx_herkx_small_restrict_kernelIi19rocblas_complex_numIdELi16ELb1ELb1ELc67ELc76EKS1_S1_EviT_T0_PT6_S3_lS6_S3_lS4_PT7_S3_li ; -- Begin function _ZL41rocblas_syrkx_herkx_small_restrict_kernelIi19rocblas_complex_numIdELi16ELb1ELb1ELc67ELc76EKS1_S1_EviT_T0_PT6_S3_lS6_S3_lS4_PT7_S3_li
	.p2align	8
	.type	_ZL41rocblas_syrkx_herkx_small_restrict_kernelIi19rocblas_complex_numIdELi16ELb1ELb1ELc67ELc76EKS1_S1_EviT_T0_PT6_S3_lS6_S3_lS4_PT7_S3_li,@function
_ZL41rocblas_syrkx_herkx_small_restrict_kernelIi19rocblas_complex_numIdELi16ELb1ELb1ELc67ELc76EKS1_S1_EviT_T0_PT6_S3_lS6_S3_lS4_PT7_S3_li: ; @_ZL41rocblas_syrkx_herkx_small_restrict_kernelIi19rocblas_complex_numIdELi16ELb1ELb1ELc67ELc76EKS1_S1_EviT_T0_PT6_S3_lS6_S3_lS4_PT7_S3_li
; %bb.0:
	s_load_dword s9, s[4:5], 0x4
	s_load_dwordx4 s[0:3], s[4:5], 0x8
	s_load_dwordx2 s[10:11], s[4:5], 0x18
	s_mov_b32 s12, 0
	v_lshl_add_u32 v2, s6, 4, v0
	s_waitcnt lgkmcnt(0)
	s_cmp_lt_i32 s9, 1
	v_lshl_add_u32 v9, s7, 4, v1
	s_cbranch_scc1 .LBB424_6
; %bb.1:
	s_load_dword s13, s[4:5], 0x20
	s_load_dwordx4 s[16:19], s[4:5], 0x28
	s_load_dword s14, s[4:5], 0x38
	s_load_dwordx2 s[6:7], s[4:5], 0x40
	v_lshlrev_b32_e32 v5, 8, v1
	v_lshlrev_b32_e32 v10, 4, v0
	v_add_u32_e32 v11, v10, v5
	s_waitcnt lgkmcnt(0)
	v_mad_i64_i32 v[3:4], s[14:15], s14, v9, 0
	s_mul_i32 s7, s7, s8
	s_mul_hi_u32 s14, s6, s8
	v_lshlrev_b64 v[3:4], 4, v[3:4]
	s_add_i32 s7, s14, s7
	s_mul_i32 s6, s6, s8
	s_lshl_b64 s[6:7], s[6:7], 4
	v_add_u32_e32 v12, 0x1000, v5
	v_mov_b32_e32 v0, s7
	v_add_co_u32_e32 v3, vcc, s6, v3
	v_mad_i64_i32 v[5:6], s[6:7], s13, v2, 0
	v_addc_co_u32_e32 v0, vcc, v4, v0, vcc
	v_add_co_u32_e32 v3, vcc, v3, v10
	v_addc_co_u32_e32 v0, vcc, 0, v0, vcc
	s_mul_i32 s6, s17, s8
	s_mul_hi_u32 s7, s16, s8
	v_mov_b32_e32 v4, s19
	v_add_co_u32_e32 v3, vcc, s18, v3
	v_lshlrev_b64 v[5:6], 4, v[5:6]
	s_add_i32 s7, s7, s6
	s_mul_i32 s6, s16, s8
	v_addc_co_u32_e32 v4, vcc, v4, v0, vcc
	s_lshl_b64 s[6:7], s[6:7], 4
	v_mov_b32_e32 v0, s7
	v_add_co_u32_e32 v5, vcc, s6, v5
	v_addc_co_u32_e32 v0, vcc, v6, v0, vcc
	v_lshlrev_b32_e32 v1, 4, v1
	v_add_co_u32_e32 v1, vcc, v5, v1
	v_addc_co_u32_e32 v0, vcc, 0, v0, vcc
	v_mov_b32_e32 v5, s11
	v_add_co_u32_e32 v1, vcc, s10, v1
	v_addc_co_u32_e32 v14, vcc, v5, v0, vcc
	v_mov_b32_e32 v7, 0
	v_mov_b32_e32 v5, 0
	v_add_co_u32_e32 v0, vcc, 8, v1
	v_add_u32_e32 v13, v12, v10
	v_mov_b32_e32 v8, 0
	v_mov_b32_e32 v6, 0
	v_addc_co_u32_e32 v1, vcc, 0, v14, vcc
.LBB424_2:                              ; =>This Inner Loop Header: Depth=1
	global_load_dwordx4 v[14:17], v[0:1], off offset:-8
	s_add_i32 s12, s12, 16
	s_cmp_lt_i32 s12, s9
	s_waitcnt vmcnt(0)
	v_xor_b32_e32 v17, 0x80000000, v17
	ds_write_b128 v11, v[14:17]
	global_load_dwordx4 v[14:17], v[3:4], off
	v_add_co_u32_e32 v3, vcc, 0x100, v3
	v_addc_co_u32_e32 v4, vcc, 0, v4, vcc
	v_add_co_u32_e32 v0, vcc, 0x100, v0
	v_addc_co_u32_e32 v1, vcc, 0, v1, vcc
	s_waitcnt vmcnt(0)
	ds_write2_b64 v13, v[14:15], v[16:17] offset1:1
	s_waitcnt lgkmcnt(0)
	s_barrier
	ds_read_b128 v[14:17], v12
	ds_read_b128 v[18:21], v12 offset:16
	ds_read_b128 v[22:25], v12 offset:32
	;; [unrolled: 1-line block ×3, first 2 shown]
	ds_read_b128 v[30:33], v10
	s_waitcnt lgkmcnt(0)
	v_mul_f64 v[34:35], v[16:17], v[32:33]
	v_fma_f64 v[34:35], v[14:15], v[30:31], -v[34:35]
	v_mul_f64 v[14:15], v[14:15], v[32:33]
	v_fma_f64 v[14:15], v[16:17], v[30:31], v[14:15]
	v_add_f64 v[16:17], v[5:6], v[34:35]
	v_add_f64 v[14:15], v[7:8], v[14:15]
	ds_read_b128 v[5:8], v10 offset:256
	s_waitcnt lgkmcnt(0)
	v_mul_f64 v[30:31], v[20:21], v[7:8]
	v_mul_f64 v[7:8], v[18:19], v[7:8]
	v_fma_f64 v[30:31], v[18:19], v[5:6], -v[30:31]
	v_fma_f64 v[5:6], v[20:21], v[5:6], v[7:8]
	v_add_f64 v[16:17], v[16:17], v[30:31]
	v_add_f64 v[14:15], v[14:15], v[5:6]
	ds_read_b128 v[5:8], v10 offset:512
	s_waitcnt lgkmcnt(0)
	v_mul_f64 v[18:19], v[24:25], v[7:8]
	v_mul_f64 v[7:8], v[22:23], v[7:8]
	v_fma_f64 v[18:19], v[22:23], v[5:6], -v[18:19]
	;; [unrolled: 8-line block ×3, first 2 shown]
	v_fma_f64 v[5:6], v[28:29], v[5:6], v[7:8]
	v_add_f64 v[18:19], v[16:17], v[18:19]
	v_add_f64 v[20:21], v[14:15], v[5:6]
	ds_read_b128 v[5:8], v12 offset:64
	ds_read_b128 v[14:17], v10 offset:1024
	s_waitcnt lgkmcnt(0)
	v_mul_f64 v[22:23], v[7:8], v[16:17]
	v_fma_f64 v[22:23], v[5:6], v[14:15], -v[22:23]
	v_mul_f64 v[5:6], v[5:6], v[16:17]
	v_add_f64 v[18:19], v[18:19], v[22:23]
	v_fma_f64 v[5:6], v[7:8], v[14:15], v[5:6]
	v_add_f64 v[20:21], v[20:21], v[5:6]
	ds_read_b128 v[5:8], v12 offset:80
	ds_read_b128 v[14:17], v10 offset:1280
	s_waitcnt lgkmcnt(0)
	v_mul_f64 v[22:23], v[7:8], v[16:17]
	v_fma_f64 v[22:23], v[5:6], v[14:15], -v[22:23]
	v_mul_f64 v[5:6], v[5:6], v[16:17]
	v_add_f64 v[18:19], v[18:19], v[22:23]
	v_fma_f64 v[5:6], v[7:8], v[14:15], v[5:6]
	v_add_f64 v[20:21], v[20:21], v[5:6]
	ds_read_b128 v[5:8], v12 offset:96
	ds_read_b128 v[14:17], v10 offset:1536
	s_waitcnt lgkmcnt(0)
	v_mul_f64 v[22:23], v[7:8], v[16:17]
	v_fma_f64 v[22:23], v[5:6], v[14:15], -v[22:23]
	v_mul_f64 v[5:6], v[5:6], v[16:17]
	v_add_f64 v[18:19], v[18:19], v[22:23]
	v_fma_f64 v[5:6], v[7:8], v[14:15], v[5:6]
	v_add_f64 v[20:21], v[20:21], v[5:6]
	ds_read_b128 v[5:8], v12 offset:112
	ds_read_b128 v[14:17], v10 offset:1792
	s_waitcnt lgkmcnt(0)
	v_mul_f64 v[22:23], v[7:8], v[16:17]
	v_fma_f64 v[22:23], v[5:6], v[14:15], -v[22:23]
	v_mul_f64 v[5:6], v[5:6], v[16:17]
	v_add_f64 v[18:19], v[18:19], v[22:23]
	v_fma_f64 v[5:6], v[7:8], v[14:15], v[5:6]
	v_add_f64 v[20:21], v[20:21], v[5:6]
	ds_read_b128 v[5:8], v12 offset:128
	ds_read_b128 v[14:17], v10 offset:2048
	s_waitcnt lgkmcnt(0)
	v_mul_f64 v[22:23], v[7:8], v[16:17]
	v_fma_f64 v[22:23], v[5:6], v[14:15], -v[22:23]
	v_mul_f64 v[5:6], v[5:6], v[16:17]
	v_add_f64 v[18:19], v[18:19], v[22:23]
	v_fma_f64 v[5:6], v[7:8], v[14:15], v[5:6]
	v_add_f64 v[20:21], v[20:21], v[5:6]
	ds_read_b128 v[5:8], v12 offset:144
	ds_read_b128 v[14:17], v10 offset:2304
	s_waitcnt lgkmcnt(0)
	v_mul_f64 v[22:23], v[7:8], v[16:17]
	v_fma_f64 v[22:23], v[5:6], v[14:15], -v[22:23]
	v_mul_f64 v[5:6], v[5:6], v[16:17]
	v_add_f64 v[18:19], v[18:19], v[22:23]
	v_fma_f64 v[5:6], v[7:8], v[14:15], v[5:6]
	v_add_f64 v[20:21], v[20:21], v[5:6]
	ds_read_b128 v[5:8], v12 offset:160
	ds_read_b128 v[14:17], v10 offset:2560
	s_waitcnt lgkmcnt(0)
	v_mul_f64 v[22:23], v[7:8], v[16:17]
	v_fma_f64 v[22:23], v[5:6], v[14:15], -v[22:23]
	v_mul_f64 v[5:6], v[5:6], v[16:17]
	v_add_f64 v[18:19], v[18:19], v[22:23]
	v_fma_f64 v[5:6], v[7:8], v[14:15], v[5:6]
	v_add_f64 v[20:21], v[20:21], v[5:6]
	ds_read_b128 v[5:8], v12 offset:176
	ds_read_b128 v[14:17], v10 offset:2816
	s_waitcnt lgkmcnt(0)
	v_mul_f64 v[22:23], v[7:8], v[16:17]
	v_fma_f64 v[22:23], v[5:6], v[14:15], -v[22:23]
	v_mul_f64 v[5:6], v[5:6], v[16:17]
	v_add_f64 v[18:19], v[18:19], v[22:23]
	v_fma_f64 v[5:6], v[7:8], v[14:15], v[5:6]
	v_add_f64 v[20:21], v[20:21], v[5:6]
	ds_read_b128 v[5:8], v12 offset:192
	ds_read_b128 v[14:17], v10 offset:3072
	s_waitcnt lgkmcnt(0)
	v_mul_f64 v[22:23], v[7:8], v[16:17]
	v_fma_f64 v[22:23], v[5:6], v[14:15], -v[22:23]
	v_mul_f64 v[5:6], v[5:6], v[16:17]
	v_add_f64 v[18:19], v[18:19], v[22:23]
	v_fma_f64 v[5:6], v[7:8], v[14:15], v[5:6]
	v_add_f64 v[20:21], v[20:21], v[5:6]
	ds_read_b128 v[5:8], v12 offset:208
	ds_read_b128 v[14:17], v10 offset:3328
	s_waitcnt lgkmcnt(0)
	v_mul_f64 v[22:23], v[7:8], v[16:17]
	v_fma_f64 v[22:23], v[5:6], v[14:15], -v[22:23]
	v_mul_f64 v[5:6], v[5:6], v[16:17]
	v_add_f64 v[18:19], v[18:19], v[22:23]
	v_fma_f64 v[5:6], v[7:8], v[14:15], v[5:6]
	v_add_f64 v[20:21], v[20:21], v[5:6]
	ds_read_b128 v[5:8], v12 offset:224
	ds_read_b128 v[14:17], v10 offset:3584
	s_waitcnt lgkmcnt(0)
	v_mul_f64 v[22:23], v[7:8], v[16:17]
	v_fma_f64 v[22:23], v[5:6], v[14:15], -v[22:23]
	v_mul_f64 v[5:6], v[5:6], v[16:17]
	v_add_f64 v[18:19], v[18:19], v[22:23]
	v_fma_f64 v[5:6], v[7:8], v[14:15], v[5:6]
	v_add_f64 v[20:21], v[20:21], v[5:6]
	ds_read_b128 v[5:8], v12 offset:240
	ds_read_b128 v[14:17], v10 offset:3840
	s_waitcnt lgkmcnt(0)
	s_barrier
	v_mul_f64 v[22:23], v[7:8], v[16:17]
	v_fma_f64 v[22:23], v[5:6], v[14:15], -v[22:23]
	v_mul_f64 v[5:6], v[5:6], v[16:17]
	v_fma_f64 v[7:8], v[7:8], v[14:15], v[5:6]
	v_add_f64 v[5:6], v[18:19], v[22:23]
	v_add_f64 v[7:8], v[20:21], v[7:8]
	s_cbranch_scc1 .LBB424_2
; %bb.3:
	v_cmp_le_i32_e32 vcc, v9, v2
	s_and_saveexec_b64 s[6:7], vcc
	s_cbranch_execz .LBB424_5
.LBB424_4:
	s_load_dwordx2 s[6:7], s[4:5], 0x68
	s_load_dwordx2 s[10:11], s[4:5], 0x58
	s_load_dword s9, s[4:5], 0x60
	v_mul_f64 v[0:1], s[2:3], v[7:8]
	v_mul_f64 v[3:4], s[0:1], v[7:8]
	s_waitcnt lgkmcnt(0)
	s_mul_i32 s4, s7, s8
	s_mul_hi_u32 s5, s6, s8
	s_add_i32 s5, s5, s4
	s_mul_i32 s4, s6, s8
	s_lshl_b64 s[4:5], s[4:5], 4
	s_add_u32 s6, s10, s4
	s_addc_u32 s7, s11, s5
	v_mad_i64_i32 v[7:8], s[4:5], s9, v9, 0
	v_fma_f64 v[0:1], s[0:1], v[5:6], -v[0:1]
	v_fma_f64 v[4:5], s[2:3], v[5:6], v[3:4]
	v_lshlrev_b64 v[6:7], 4, v[7:8]
	v_ashrrev_i32_e32 v3, 31, v2
	v_mov_b32_e32 v8, s7
	v_add_co_u32_e32 v10, vcc, s6, v6
	v_addc_co_u32_e32 v8, vcc, v8, v7, vcc
	v_lshlrev_b64 v[6:7], 4, v[2:3]
	v_add_co_u32_e32 v6, vcc, v10, v6
	v_addc_co_u32_e32 v7, vcc, v8, v7, vcc
	v_cmp_ne_u32_e32 vcc, v2, v9
	v_cndmask_b32_e32 v3, 0, v5, vcc
	v_cndmask_b32_e32 v2, 0, v4, vcc
	global_store_dwordx4 v[6:7], v[0:3], off
.LBB424_5:
	s_endpgm
.LBB424_6:
	v_mov_b32_e32 v7, 0
	v_mov_b32_e32 v5, 0
	;; [unrolled: 1-line block ×4, first 2 shown]
	v_cmp_le_i32_e32 vcc, v9, v2
	s_and_saveexec_b64 s[6:7], vcc
	s_cbranch_execnz .LBB424_4
	s_branch .LBB424_5
	.section	.rodata,"a",@progbits
	.p2align	6, 0x0
	.amdhsa_kernel _ZL41rocblas_syrkx_herkx_small_restrict_kernelIi19rocblas_complex_numIdELi16ELb1ELb1ELc67ELc76EKS1_S1_EviT_T0_PT6_S3_lS6_S3_lS4_PT7_S3_li
		.amdhsa_group_segment_fixed_size 8192
		.amdhsa_private_segment_fixed_size 0
		.amdhsa_kernarg_size 116
		.amdhsa_user_sgpr_count 6
		.amdhsa_user_sgpr_private_segment_buffer 1
		.amdhsa_user_sgpr_dispatch_ptr 0
		.amdhsa_user_sgpr_queue_ptr 0
		.amdhsa_user_sgpr_kernarg_segment_ptr 1
		.amdhsa_user_sgpr_dispatch_id 0
		.amdhsa_user_sgpr_flat_scratch_init 0
		.amdhsa_user_sgpr_private_segment_size 0
		.amdhsa_uses_dynamic_stack 0
		.amdhsa_system_sgpr_private_segment_wavefront_offset 0
		.amdhsa_system_sgpr_workgroup_id_x 1
		.amdhsa_system_sgpr_workgroup_id_y 1
		.amdhsa_system_sgpr_workgroup_id_z 1
		.amdhsa_system_sgpr_workgroup_info 0
		.amdhsa_system_vgpr_workitem_id 1
		.amdhsa_next_free_vgpr 36
		.amdhsa_next_free_sgpr 61
		.amdhsa_reserve_vcc 1
		.amdhsa_reserve_flat_scratch 0
		.amdhsa_float_round_mode_32 0
		.amdhsa_float_round_mode_16_64 0
		.amdhsa_float_denorm_mode_32 3
		.amdhsa_float_denorm_mode_16_64 3
		.amdhsa_dx10_clamp 1
		.amdhsa_ieee_mode 1
		.amdhsa_fp16_overflow 0
		.amdhsa_exception_fp_ieee_invalid_op 0
		.amdhsa_exception_fp_denorm_src 0
		.amdhsa_exception_fp_ieee_div_zero 0
		.amdhsa_exception_fp_ieee_overflow 0
		.amdhsa_exception_fp_ieee_underflow 0
		.amdhsa_exception_fp_ieee_inexact 0
		.amdhsa_exception_int_div_zero 0
	.end_amdhsa_kernel
	.section	.text._ZL41rocblas_syrkx_herkx_small_restrict_kernelIi19rocblas_complex_numIdELi16ELb1ELb1ELc67ELc76EKS1_S1_EviT_T0_PT6_S3_lS6_S3_lS4_PT7_S3_li,"axG",@progbits,_ZL41rocblas_syrkx_herkx_small_restrict_kernelIi19rocblas_complex_numIdELi16ELb1ELb1ELc67ELc76EKS1_S1_EviT_T0_PT6_S3_lS6_S3_lS4_PT7_S3_li,comdat
.Lfunc_end424:
	.size	_ZL41rocblas_syrkx_herkx_small_restrict_kernelIi19rocblas_complex_numIdELi16ELb1ELb1ELc67ELc76EKS1_S1_EviT_T0_PT6_S3_lS6_S3_lS4_PT7_S3_li, .Lfunc_end424-_ZL41rocblas_syrkx_herkx_small_restrict_kernelIi19rocblas_complex_numIdELi16ELb1ELb1ELc67ELc76EKS1_S1_EviT_T0_PT6_S3_lS6_S3_lS4_PT7_S3_li
                                        ; -- End function
	.set _ZL41rocblas_syrkx_herkx_small_restrict_kernelIi19rocblas_complex_numIdELi16ELb1ELb1ELc67ELc76EKS1_S1_EviT_T0_PT6_S3_lS6_S3_lS4_PT7_S3_li.num_vgpr, 36
	.set _ZL41rocblas_syrkx_herkx_small_restrict_kernelIi19rocblas_complex_numIdELi16ELb1ELb1ELc67ELc76EKS1_S1_EviT_T0_PT6_S3_lS6_S3_lS4_PT7_S3_li.num_agpr, 0
	.set _ZL41rocblas_syrkx_herkx_small_restrict_kernelIi19rocblas_complex_numIdELi16ELb1ELb1ELc67ELc76EKS1_S1_EviT_T0_PT6_S3_lS6_S3_lS4_PT7_S3_li.numbered_sgpr, 20
	.set _ZL41rocblas_syrkx_herkx_small_restrict_kernelIi19rocblas_complex_numIdELi16ELb1ELb1ELc67ELc76EKS1_S1_EviT_T0_PT6_S3_lS6_S3_lS4_PT7_S3_li.num_named_barrier, 0
	.set _ZL41rocblas_syrkx_herkx_small_restrict_kernelIi19rocblas_complex_numIdELi16ELb1ELb1ELc67ELc76EKS1_S1_EviT_T0_PT6_S3_lS6_S3_lS4_PT7_S3_li.private_seg_size, 0
	.set _ZL41rocblas_syrkx_herkx_small_restrict_kernelIi19rocblas_complex_numIdELi16ELb1ELb1ELc67ELc76EKS1_S1_EviT_T0_PT6_S3_lS6_S3_lS4_PT7_S3_li.uses_vcc, 1
	.set _ZL41rocblas_syrkx_herkx_small_restrict_kernelIi19rocblas_complex_numIdELi16ELb1ELb1ELc67ELc76EKS1_S1_EviT_T0_PT6_S3_lS6_S3_lS4_PT7_S3_li.uses_flat_scratch, 0
	.set _ZL41rocblas_syrkx_herkx_small_restrict_kernelIi19rocblas_complex_numIdELi16ELb1ELb1ELc67ELc76EKS1_S1_EviT_T0_PT6_S3_lS6_S3_lS4_PT7_S3_li.has_dyn_sized_stack, 0
	.set _ZL41rocblas_syrkx_herkx_small_restrict_kernelIi19rocblas_complex_numIdELi16ELb1ELb1ELc67ELc76EKS1_S1_EviT_T0_PT6_S3_lS6_S3_lS4_PT7_S3_li.has_recursion, 0
	.set _ZL41rocblas_syrkx_herkx_small_restrict_kernelIi19rocblas_complex_numIdELi16ELb1ELb1ELc67ELc76EKS1_S1_EviT_T0_PT6_S3_lS6_S3_lS4_PT7_S3_li.has_indirect_call, 0
	.section	.AMDGPU.csdata,"",@progbits
; Kernel info:
; codeLenInByte = 1668
; TotalNumSgprs: 24
; NumVgprs: 36
; ScratchSize: 0
; MemoryBound: 0
; FloatMode: 240
; IeeeMode: 1
; LDSByteSize: 8192 bytes/workgroup (compile time only)
; SGPRBlocks: 8
; VGPRBlocks: 8
; NumSGPRsForWavesPerEU: 65
; NumVGPRsForWavesPerEU: 36
; Occupancy: 7
; WaveLimiterHint : 0
; COMPUTE_PGM_RSRC2:SCRATCH_EN: 0
; COMPUTE_PGM_RSRC2:USER_SGPR: 6
; COMPUTE_PGM_RSRC2:TRAP_HANDLER: 0
; COMPUTE_PGM_RSRC2:TGID_X_EN: 1
; COMPUTE_PGM_RSRC2:TGID_Y_EN: 1
; COMPUTE_PGM_RSRC2:TGID_Z_EN: 1
; COMPUTE_PGM_RSRC2:TIDIG_COMP_CNT: 1
	.section	.text._ZL41rocblas_syrkx_herkx_small_restrict_kernelIi19rocblas_complex_numIdELi16ELb1ELb1ELc78ELc76EKS1_S1_EviT_T0_PT6_S3_lS6_S3_lS4_PT7_S3_li,"axG",@progbits,_ZL41rocblas_syrkx_herkx_small_restrict_kernelIi19rocblas_complex_numIdELi16ELb1ELb1ELc78ELc76EKS1_S1_EviT_T0_PT6_S3_lS6_S3_lS4_PT7_S3_li,comdat
	.globl	_ZL41rocblas_syrkx_herkx_small_restrict_kernelIi19rocblas_complex_numIdELi16ELb1ELb1ELc78ELc76EKS1_S1_EviT_T0_PT6_S3_lS6_S3_lS4_PT7_S3_li ; -- Begin function _ZL41rocblas_syrkx_herkx_small_restrict_kernelIi19rocblas_complex_numIdELi16ELb1ELb1ELc78ELc76EKS1_S1_EviT_T0_PT6_S3_lS6_S3_lS4_PT7_S3_li
	.p2align	8
	.type	_ZL41rocblas_syrkx_herkx_small_restrict_kernelIi19rocblas_complex_numIdELi16ELb1ELb1ELc78ELc76EKS1_S1_EviT_T0_PT6_S3_lS6_S3_lS4_PT7_S3_li,@function
_ZL41rocblas_syrkx_herkx_small_restrict_kernelIi19rocblas_complex_numIdELi16ELb1ELb1ELc78ELc76EKS1_S1_EviT_T0_PT6_S3_lS6_S3_lS4_PT7_S3_li: ; @_ZL41rocblas_syrkx_herkx_small_restrict_kernelIi19rocblas_complex_numIdELi16ELb1ELb1ELc78ELc76EKS1_S1_EviT_T0_PT6_S3_lS6_S3_lS4_PT7_S3_li
; %bb.0:
	s_load_dword s9, s[4:5], 0x4
	s_load_dwordx4 s[0:3], s[4:5], 0x8
	s_load_dwordx2 s[10:11], s[4:5], 0x18
	v_lshl_add_u32 v2, s6, 4, v0
	s_mov_b32 s16, 0
	v_lshl_add_u32 v4, s7, 4, v1
	s_waitcnt lgkmcnt(0)
	s_cmp_lt_i32 s9, 1
	v_ashrrev_i32_e32 v3, 31, v2
	s_cbranch_scc1 .LBB425_6
; %bb.1:
	s_load_dword s18, s[4:5], 0x20
	s_load_dword s6, s[4:5], 0x38
	s_load_dwordx2 s[20:21], s[4:5], 0x40
	s_load_dwordx4 s[12:15], s[4:5], 0x28
	v_lshlrev_b32_e32 v6, 8, v1
	v_lshlrev_b32_e32 v11, 4, v0
	v_add_u32_e32 v12, v11, v6
	v_add_u32_e32 v13, 0x1000, v6
	s_waitcnt lgkmcnt(0)
	v_mad_i64_i32 v[6:7], s[22:23], s6, v0, 0
	s_mul_i32 s17, s21, s8
	s_mul_hi_u32 s21, s20, s8
	s_add_i32 s21, s21, s17
	s_mul_i32 s20, s20, s8
	v_lshlrev_b64 v[6:7], 4, v[6:7]
	v_ashrrev_i32_e32 v5, 31, v4
	s_lshl_b64 s[20:21], s[20:21], 4
	v_mov_b32_e32 v0, s21
	v_add_co_u32_e32 v8, vcc, s20, v6
	v_lshlrev_b64 v[5:6], 4, v[4:5]
	v_addc_co_u32_e32 v0, vcc, v0, v7, vcc
	v_add_co_u32_e32 v5, vcc, v8, v5
	v_addc_co_u32_e32 v0, vcc, v0, v6, vcc
	v_mov_b32_e32 v6, s15
	v_add_co_u32_e32 v5, vcc, s14, v5
	v_addc_co_u32_e32 v0, vcc, v6, v0, vcc
	v_add_co_u32_e32 v5, vcc, 8, v5
	v_addc_co_u32_e32 v6, vcc, 0, v0, vcc
	v_mad_i64_i32 v[0:1], s[14:15], s18, v1, 0
	s_mul_i32 s13, s13, s8
	s_mul_hi_u32 s17, s12, s8
	s_add_i32 s13, s17, s13
	s_mul_i32 s12, s12, s8
	v_lshlrev_b64 v[0:1], 4, v[0:1]
	s_lshl_b64 s[12:13], s[12:13], 4
	v_mov_b32_e32 v7, s13
	v_add_co_u32_e32 v8, vcc, s12, v0
	v_addc_co_u32_e32 v7, vcc, v7, v1, vcc
	v_lshlrev_b64 v[0:1], 4, v[2:3]
	s_ashr_i32 s19, s18, 31
	v_add_co_u32_e32 v0, vcc, v8, v0
	v_addc_co_u32_e32 v1, vcc, v7, v1, vcc
	s_ashr_i32 s7, s6, 31
	v_mov_b32_e32 v7, s11
	v_add_co_u32_e32 v0, vcc, s10, v0
	s_lshl_b64 s[6:7], s[6:7], 8
	v_addc_co_u32_e32 v1, vcc, v7, v1, vcc
	s_lshl_b64 s[10:11], s[18:19], 8
	v_mov_b32_e32 v9, 0
	v_mov_b32_e32 v7, 0
	;; [unrolled: 1-line block ×6, first 2 shown]
.LBB425_2:                              ; =>This Inner Loop Header: Depth=1
	global_load_dwordx4 v[16:19], v[0:1], off
	v_add_u32_e32 v20, v13, v11
	s_add_i32 s16, s16, 16
	s_cmp_lt_i32 s16, s9
	s_waitcnt vmcnt(0)
	ds_write2_b64 v12, v[16:17], v[18:19] offset1:1
	global_load_dwordx4 v[16:19], v[5:6], off offset:-8
	v_add_co_u32_e32 v5, vcc, s6, v5
	v_addc_co_u32_e32 v6, vcc, v6, v14, vcc
	v_add_co_u32_e32 v0, vcc, s10, v0
	v_addc_co_u32_e32 v1, vcc, v1, v15, vcc
	s_waitcnt vmcnt(0)
	v_xor_b32_e32 v19, 0x80000000, v19
	ds_write_b128 v20, v[16:19]
	s_waitcnt lgkmcnt(0)
	s_barrier
	ds_read_b128 v[16:19], v13
	ds_read_b128 v[20:23], v13 offset:16
	ds_read_b128 v[24:27], v13 offset:32
	;; [unrolled: 1-line block ×3, first 2 shown]
	ds_read_b128 v[32:35], v11
	s_waitcnt lgkmcnt(0)
	v_mul_f64 v[36:37], v[18:19], v[34:35]
	v_fma_f64 v[36:37], v[16:17], v[32:33], -v[36:37]
	v_mul_f64 v[16:17], v[16:17], v[34:35]
	v_fma_f64 v[16:17], v[18:19], v[32:33], v[16:17]
	v_add_f64 v[18:19], v[7:8], v[36:37]
	v_add_f64 v[16:17], v[9:10], v[16:17]
	ds_read_b128 v[7:10], v11 offset:256
	s_waitcnt lgkmcnt(0)
	v_mul_f64 v[32:33], v[22:23], v[9:10]
	v_mul_f64 v[9:10], v[20:21], v[9:10]
	v_fma_f64 v[32:33], v[20:21], v[7:8], -v[32:33]
	v_fma_f64 v[7:8], v[22:23], v[7:8], v[9:10]
	v_add_f64 v[18:19], v[18:19], v[32:33]
	v_add_f64 v[16:17], v[16:17], v[7:8]
	ds_read_b128 v[7:10], v11 offset:512
	s_waitcnt lgkmcnt(0)
	v_mul_f64 v[20:21], v[26:27], v[9:10]
	v_mul_f64 v[9:10], v[24:25], v[9:10]
	v_fma_f64 v[20:21], v[24:25], v[7:8], -v[20:21]
	;; [unrolled: 8-line block ×3, first 2 shown]
	v_fma_f64 v[7:8], v[30:31], v[7:8], v[9:10]
	v_add_f64 v[20:21], v[18:19], v[20:21]
	v_add_f64 v[22:23], v[16:17], v[7:8]
	ds_read_b128 v[7:10], v13 offset:64
	ds_read_b128 v[16:19], v11 offset:1024
	s_waitcnt lgkmcnt(0)
	v_mul_f64 v[24:25], v[9:10], v[18:19]
	v_fma_f64 v[24:25], v[7:8], v[16:17], -v[24:25]
	v_mul_f64 v[7:8], v[7:8], v[18:19]
	v_add_f64 v[20:21], v[20:21], v[24:25]
	v_fma_f64 v[7:8], v[9:10], v[16:17], v[7:8]
	v_add_f64 v[22:23], v[22:23], v[7:8]
	ds_read_b128 v[7:10], v13 offset:80
	ds_read_b128 v[16:19], v11 offset:1280
	s_waitcnt lgkmcnt(0)
	v_mul_f64 v[24:25], v[9:10], v[18:19]
	v_fma_f64 v[24:25], v[7:8], v[16:17], -v[24:25]
	v_mul_f64 v[7:8], v[7:8], v[18:19]
	v_add_f64 v[20:21], v[20:21], v[24:25]
	v_fma_f64 v[7:8], v[9:10], v[16:17], v[7:8]
	;; [unrolled: 9-line block ×11, first 2 shown]
	v_add_f64 v[22:23], v[22:23], v[7:8]
	ds_read_b128 v[7:10], v13 offset:240
	ds_read_b128 v[16:19], v11 offset:3840
	s_waitcnt lgkmcnt(0)
	s_barrier
	v_mul_f64 v[24:25], v[9:10], v[18:19]
	v_fma_f64 v[24:25], v[7:8], v[16:17], -v[24:25]
	v_mul_f64 v[7:8], v[7:8], v[18:19]
	v_fma_f64 v[9:10], v[9:10], v[16:17], v[7:8]
	v_add_f64 v[7:8], v[20:21], v[24:25]
	v_add_f64 v[9:10], v[22:23], v[9:10]
	s_cbranch_scc1 .LBB425_2
; %bb.3:
	v_cmp_le_i32_e32 vcc, v4, v2
	s_and_saveexec_b64 s[6:7], vcc
	s_cbranch_execz .LBB425_5
.LBB425_4:
	s_load_dwordx2 s[6:7], s[4:5], 0x68
	s_load_dwordx2 s[10:11], s[4:5], 0x58
	s_load_dword s9, s[4:5], 0x60
	v_mul_f64 v[0:1], s[2:3], v[9:10]
	v_mul_f64 v[5:6], s[0:1], v[9:10]
	s_waitcnt lgkmcnt(0)
	s_mul_i32 s4, s7, s8
	s_mul_hi_u32 s5, s6, s8
	s_add_i32 s5, s5, s4
	s_mul_i32 s4, s6, s8
	v_mad_i64_i32 v[9:10], s[6:7], s9, v4, 0
	s_lshl_b64 s[4:5], s[4:5], 4
	s_add_u32 s4, s10, s4
	v_fma_f64 v[0:1], s[0:1], v[7:8], -v[0:1]
	v_fma_f64 v[5:6], s[2:3], v[7:8], v[5:6]
	v_lshlrev_b64 v[7:8], 4, v[9:10]
	s_addc_u32 s5, s11, s5
	v_mov_b32_e32 v9, s5
	v_add_co_u32_e32 v10, vcc, s4, v7
	v_addc_co_u32_e32 v9, vcc, v9, v8, vcc
	v_lshlrev_b64 v[7:8], 4, v[2:3]
	v_add_co_u32_e32 v7, vcc, v10, v7
	v_addc_co_u32_e32 v8, vcc, v9, v8, vcc
	v_cmp_ne_u32_e32 vcc, v2, v4
	v_cndmask_b32_e32 v3, 0, v6, vcc
	v_cndmask_b32_e32 v2, 0, v5, vcc
	global_store_dwordx4 v[7:8], v[0:3], off
.LBB425_5:
	s_endpgm
.LBB425_6:
	v_mov_b32_e32 v9, 0
	v_mov_b32_e32 v7, 0
	;; [unrolled: 1-line block ×4, first 2 shown]
	v_cmp_le_i32_e32 vcc, v4, v2
	s_and_saveexec_b64 s[6:7], vcc
	s_cbranch_execnz .LBB425_4
	s_branch .LBB425_5
	.section	.rodata,"a",@progbits
	.p2align	6, 0x0
	.amdhsa_kernel _ZL41rocblas_syrkx_herkx_small_restrict_kernelIi19rocblas_complex_numIdELi16ELb1ELb1ELc78ELc76EKS1_S1_EviT_T0_PT6_S3_lS6_S3_lS4_PT7_S3_li
		.amdhsa_group_segment_fixed_size 8192
		.amdhsa_private_segment_fixed_size 0
		.amdhsa_kernarg_size 116
		.amdhsa_user_sgpr_count 6
		.amdhsa_user_sgpr_private_segment_buffer 1
		.amdhsa_user_sgpr_dispatch_ptr 0
		.amdhsa_user_sgpr_queue_ptr 0
		.amdhsa_user_sgpr_kernarg_segment_ptr 1
		.amdhsa_user_sgpr_dispatch_id 0
		.amdhsa_user_sgpr_flat_scratch_init 0
		.amdhsa_user_sgpr_private_segment_size 0
		.amdhsa_uses_dynamic_stack 0
		.amdhsa_system_sgpr_private_segment_wavefront_offset 0
		.amdhsa_system_sgpr_workgroup_id_x 1
		.amdhsa_system_sgpr_workgroup_id_y 1
		.amdhsa_system_sgpr_workgroup_id_z 1
		.amdhsa_system_sgpr_workgroup_info 0
		.amdhsa_system_vgpr_workitem_id 1
		.amdhsa_next_free_vgpr 38
		.amdhsa_next_free_sgpr 61
		.amdhsa_reserve_vcc 1
		.amdhsa_reserve_flat_scratch 0
		.amdhsa_float_round_mode_32 0
		.amdhsa_float_round_mode_16_64 0
		.amdhsa_float_denorm_mode_32 3
		.amdhsa_float_denorm_mode_16_64 3
		.amdhsa_dx10_clamp 1
		.amdhsa_ieee_mode 1
		.amdhsa_fp16_overflow 0
		.amdhsa_exception_fp_ieee_invalid_op 0
		.amdhsa_exception_fp_denorm_src 0
		.amdhsa_exception_fp_ieee_div_zero 0
		.amdhsa_exception_fp_ieee_overflow 0
		.amdhsa_exception_fp_ieee_underflow 0
		.amdhsa_exception_fp_ieee_inexact 0
		.amdhsa_exception_int_div_zero 0
	.end_amdhsa_kernel
	.section	.text._ZL41rocblas_syrkx_herkx_small_restrict_kernelIi19rocblas_complex_numIdELi16ELb1ELb1ELc78ELc76EKS1_S1_EviT_T0_PT6_S3_lS6_S3_lS4_PT7_S3_li,"axG",@progbits,_ZL41rocblas_syrkx_herkx_small_restrict_kernelIi19rocblas_complex_numIdELi16ELb1ELb1ELc78ELc76EKS1_S1_EviT_T0_PT6_S3_lS6_S3_lS4_PT7_S3_li,comdat
.Lfunc_end425:
	.size	_ZL41rocblas_syrkx_herkx_small_restrict_kernelIi19rocblas_complex_numIdELi16ELb1ELb1ELc78ELc76EKS1_S1_EviT_T0_PT6_S3_lS6_S3_lS4_PT7_S3_li, .Lfunc_end425-_ZL41rocblas_syrkx_herkx_small_restrict_kernelIi19rocblas_complex_numIdELi16ELb1ELb1ELc78ELc76EKS1_S1_EviT_T0_PT6_S3_lS6_S3_lS4_PT7_S3_li
                                        ; -- End function
	.set _ZL41rocblas_syrkx_herkx_small_restrict_kernelIi19rocblas_complex_numIdELi16ELb1ELb1ELc78ELc76EKS1_S1_EviT_T0_PT6_S3_lS6_S3_lS4_PT7_S3_li.num_vgpr, 38
	.set _ZL41rocblas_syrkx_herkx_small_restrict_kernelIi19rocblas_complex_numIdELi16ELb1ELb1ELc78ELc76EKS1_S1_EviT_T0_PT6_S3_lS6_S3_lS4_PT7_S3_li.num_agpr, 0
	.set _ZL41rocblas_syrkx_herkx_small_restrict_kernelIi19rocblas_complex_numIdELi16ELb1ELb1ELc78ELc76EKS1_S1_EviT_T0_PT6_S3_lS6_S3_lS4_PT7_S3_li.numbered_sgpr, 24
	.set _ZL41rocblas_syrkx_herkx_small_restrict_kernelIi19rocblas_complex_numIdELi16ELb1ELb1ELc78ELc76EKS1_S1_EviT_T0_PT6_S3_lS6_S3_lS4_PT7_S3_li.num_named_barrier, 0
	.set _ZL41rocblas_syrkx_herkx_small_restrict_kernelIi19rocblas_complex_numIdELi16ELb1ELb1ELc78ELc76EKS1_S1_EviT_T0_PT6_S3_lS6_S3_lS4_PT7_S3_li.private_seg_size, 0
	.set _ZL41rocblas_syrkx_herkx_small_restrict_kernelIi19rocblas_complex_numIdELi16ELb1ELb1ELc78ELc76EKS1_S1_EviT_T0_PT6_S3_lS6_S3_lS4_PT7_S3_li.uses_vcc, 1
	.set _ZL41rocblas_syrkx_herkx_small_restrict_kernelIi19rocblas_complex_numIdELi16ELb1ELb1ELc78ELc76EKS1_S1_EviT_T0_PT6_S3_lS6_S3_lS4_PT7_S3_li.uses_flat_scratch, 0
	.set _ZL41rocblas_syrkx_herkx_small_restrict_kernelIi19rocblas_complex_numIdELi16ELb1ELb1ELc78ELc76EKS1_S1_EviT_T0_PT6_S3_lS6_S3_lS4_PT7_S3_li.has_dyn_sized_stack, 0
	.set _ZL41rocblas_syrkx_herkx_small_restrict_kernelIi19rocblas_complex_numIdELi16ELb1ELb1ELc78ELc76EKS1_S1_EviT_T0_PT6_S3_lS6_S3_lS4_PT7_S3_li.has_recursion, 0
	.set _ZL41rocblas_syrkx_herkx_small_restrict_kernelIi19rocblas_complex_numIdELi16ELb1ELb1ELc78ELc76EKS1_S1_EviT_T0_PT6_S3_lS6_S3_lS4_PT7_S3_li.has_indirect_call, 0
	.section	.AMDGPU.csdata,"",@progbits
; Kernel info:
; codeLenInByte = 1700
; TotalNumSgprs: 28
; NumVgprs: 38
; ScratchSize: 0
; MemoryBound: 0
; FloatMode: 240
; IeeeMode: 1
; LDSByteSize: 8192 bytes/workgroup (compile time only)
; SGPRBlocks: 8
; VGPRBlocks: 9
; NumSGPRsForWavesPerEU: 65
; NumVGPRsForWavesPerEU: 38
; Occupancy: 6
; WaveLimiterHint : 0
; COMPUTE_PGM_RSRC2:SCRATCH_EN: 0
; COMPUTE_PGM_RSRC2:USER_SGPR: 6
; COMPUTE_PGM_RSRC2:TRAP_HANDLER: 0
; COMPUTE_PGM_RSRC2:TGID_X_EN: 1
; COMPUTE_PGM_RSRC2:TGID_Y_EN: 1
; COMPUTE_PGM_RSRC2:TGID_Z_EN: 1
; COMPUTE_PGM_RSRC2:TIDIG_COMP_CNT: 1
	.section	.text._ZL41rocblas_syrkx_herkx_small_restrict_kernelIi19rocblas_complex_numIdELi16ELb1ELb1ELc84ELc85EKS1_S1_EviT_T0_PT6_S3_lS6_S3_lS4_PT7_S3_li,"axG",@progbits,_ZL41rocblas_syrkx_herkx_small_restrict_kernelIi19rocblas_complex_numIdELi16ELb1ELb1ELc84ELc85EKS1_S1_EviT_T0_PT6_S3_lS6_S3_lS4_PT7_S3_li,comdat
	.globl	_ZL41rocblas_syrkx_herkx_small_restrict_kernelIi19rocblas_complex_numIdELi16ELb1ELb1ELc84ELc85EKS1_S1_EviT_T0_PT6_S3_lS6_S3_lS4_PT7_S3_li ; -- Begin function _ZL41rocblas_syrkx_herkx_small_restrict_kernelIi19rocblas_complex_numIdELi16ELb1ELb1ELc84ELc85EKS1_S1_EviT_T0_PT6_S3_lS6_S3_lS4_PT7_S3_li
	.p2align	8
	.type	_ZL41rocblas_syrkx_herkx_small_restrict_kernelIi19rocblas_complex_numIdELi16ELb1ELb1ELc84ELc85EKS1_S1_EviT_T0_PT6_S3_lS6_S3_lS4_PT7_S3_li,@function
_ZL41rocblas_syrkx_herkx_small_restrict_kernelIi19rocblas_complex_numIdELi16ELb1ELb1ELc84ELc85EKS1_S1_EviT_T0_PT6_S3_lS6_S3_lS4_PT7_S3_li: ; @_ZL41rocblas_syrkx_herkx_small_restrict_kernelIi19rocblas_complex_numIdELi16ELb1ELb1ELc84ELc85EKS1_S1_EviT_T0_PT6_S3_lS6_S3_lS4_PT7_S3_li
; %bb.0:
	s_load_dword s9, s[4:5], 0x4
	s_load_dwordx4 s[0:3], s[4:5], 0x8
	s_load_dwordx2 s[10:11], s[4:5], 0x18
	s_mov_b32 s12, 0
	v_lshl_add_u32 v2, s6, 4, v0
	s_waitcnt lgkmcnt(0)
	s_cmp_lt_i32 s9, 1
	v_lshl_add_u32 v9, s7, 4, v1
	s_cbranch_scc1 .LBB426_6
; %bb.1:
	s_load_dword s13, s[4:5], 0x20
	s_load_dwordx4 s[16:19], s[4:5], 0x28
	s_load_dword s14, s[4:5], 0x38
	s_load_dwordx2 s[6:7], s[4:5], 0x40
	v_lshlrev_b32_e32 v5, 8, v1
	v_lshlrev_b32_e32 v10, 4, v0
	v_add_u32_e32 v11, v10, v5
	s_waitcnt lgkmcnt(0)
	v_mad_i64_i32 v[3:4], s[14:15], s14, v9, 0
	s_mul_i32 s7, s7, s8
	s_mul_hi_u32 s14, s6, s8
	v_lshlrev_b64 v[3:4], 4, v[3:4]
	s_add_i32 s7, s14, s7
	s_mul_i32 s6, s6, s8
	s_lshl_b64 s[6:7], s[6:7], 4
	v_add_u32_e32 v12, 0x1000, v5
	v_mov_b32_e32 v0, s7
	v_add_co_u32_e32 v3, vcc, s6, v3
	v_mad_i64_i32 v[5:6], s[6:7], s13, v2, 0
	v_addc_co_u32_e32 v0, vcc, v4, v0, vcc
	v_add_co_u32_e32 v3, vcc, v3, v10
	v_addc_co_u32_e32 v0, vcc, 0, v0, vcc
	s_mul_i32 s6, s17, s8
	s_mul_hi_u32 s7, s16, s8
	v_mov_b32_e32 v4, s19
	v_add_co_u32_e32 v3, vcc, s18, v3
	v_lshlrev_b64 v[5:6], 4, v[5:6]
	s_add_i32 s7, s7, s6
	s_mul_i32 s6, s16, s8
	v_addc_co_u32_e32 v4, vcc, v4, v0, vcc
	s_lshl_b64 s[6:7], s[6:7], 4
	v_mov_b32_e32 v0, s7
	v_add_co_u32_e32 v5, vcc, s6, v5
	v_addc_co_u32_e32 v0, vcc, v6, v0, vcc
	v_lshlrev_b32_e32 v1, 4, v1
	v_add_co_u32_e32 v1, vcc, v5, v1
	v_addc_co_u32_e32 v14, vcc, 0, v0, vcc
	v_mov_b32_e32 v15, s11
	v_mov_b32_e32 v7, 0
	;; [unrolled: 1-line block ×3, first 2 shown]
	v_add_co_u32_e32 v0, vcc, s10, v1
	v_add_u32_e32 v13, v12, v10
	v_mov_b32_e32 v8, 0
	v_mov_b32_e32 v6, 0
	v_addc_co_u32_e32 v1, vcc, v15, v14, vcc
.LBB426_2:                              ; =>This Inner Loop Header: Depth=1
	global_load_dwordx4 v[14:17], v[0:1], off
	s_add_i32 s12, s12, 16
	s_cmp_lt_i32 s12, s9
	s_waitcnt vmcnt(0)
	ds_write2_b64 v11, v[14:15], v[16:17] offset1:1
	global_load_dwordx4 v[14:17], v[3:4], off
	v_add_co_u32_e32 v3, vcc, 0x100, v3
	v_addc_co_u32_e32 v4, vcc, 0, v4, vcc
	v_add_co_u32_e32 v0, vcc, 0x100, v0
	v_addc_co_u32_e32 v1, vcc, 0, v1, vcc
	s_waitcnt vmcnt(0)
	ds_write2_b64 v13, v[14:15], v[16:17] offset1:1
	s_waitcnt lgkmcnt(0)
	s_barrier
	ds_read_b128 v[14:17], v12
	ds_read_b128 v[18:21], v12 offset:16
	ds_read_b128 v[22:25], v12 offset:32
	;; [unrolled: 1-line block ×3, first 2 shown]
	ds_read_b128 v[30:33], v10
	s_waitcnt lgkmcnt(0)
	v_mul_f64 v[34:35], v[16:17], v[32:33]
	v_fma_f64 v[34:35], v[14:15], v[30:31], -v[34:35]
	v_mul_f64 v[14:15], v[14:15], v[32:33]
	v_fma_f64 v[14:15], v[16:17], v[30:31], v[14:15]
	v_add_f64 v[16:17], v[5:6], v[34:35]
	v_add_f64 v[14:15], v[7:8], v[14:15]
	ds_read_b128 v[5:8], v10 offset:256
	s_waitcnt lgkmcnt(0)
	v_mul_f64 v[30:31], v[20:21], v[7:8]
	v_mul_f64 v[7:8], v[18:19], v[7:8]
	v_fma_f64 v[30:31], v[18:19], v[5:6], -v[30:31]
	v_fma_f64 v[5:6], v[20:21], v[5:6], v[7:8]
	v_add_f64 v[16:17], v[16:17], v[30:31]
	v_add_f64 v[14:15], v[14:15], v[5:6]
	ds_read_b128 v[5:8], v10 offset:512
	s_waitcnt lgkmcnt(0)
	v_mul_f64 v[18:19], v[24:25], v[7:8]
	v_mul_f64 v[7:8], v[22:23], v[7:8]
	v_fma_f64 v[18:19], v[22:23], v[5:6], -v[18:19]
	v_fma_f64 v[5:6], v[24:25], v[5:6], v[7:8]
	v_add_f64 v[16:17], v[16:17], v[18:19]
	v_add_f64 v[14:15], v[14:15], v[5:6]
	ds_read_b128 v[5:8], v10 offset:768
	s_waitcnt lgkmcnt(0)
	v_mul_f64 v[18:19], v[28:29], v[7:8]
	v_mul_f64 v[7:8], v[26:27], v[7:8]
	v_fma_f64 v[18:19], v[26:27], v[5:6], -v[18:19]
	v_fma_f64 v[5:6], v[28:29], v[5:6], v[7:8]
	v_add_f64 v[18:19], v[16:17], v[18:19]
	v_add_f64 v[20:21], v[14:15], v[5:6]
	ds_read_b128 v[5:8], v12 offset:64
	ds_read_b128 v[14:17], v10 offset:1024
	s_waitcnt lgkmcnt(0)
	v_mul_f64 v[22:23], v[7:8], v[16:17]
	v_fma_f64 v[22:23], v[5:6], v[14:15], -v[22:23]
	v_mul_f64 v[5:6], v[5:6], v[16:17]
	v_add_f64 v[18:19], v[18:19], v[22:23]
	v_fma_f64 v[5:6], v[7:8], v[14:15], v[5:6]
	v_add_f64 v[20:21], v[20:21], v[5:6]
	ds_read_b128 v[5:8], v12 offset:80
	ds_read_b128 v[14:17], v10 offset:1280
	s_waitcnt lgkmcnt(0)
	v_mul_f64 v[22:23], v[7:8], v[16:17]
	v_fma_f64 v[22:23], v[5:6], v[14:15], -v[22:23]
	v_mul_f64 v[5:6], v[5:6], v[16:17]
	v_add_f64 v[18:19], v[18:19], v[22:23]
	v_fma_f64 v[5:6], v[7:8], v[14:15], v[5:6]
	;; [unrolled: 9-line block ×11, first 2 shown]
	v_add_f64 v[20:21], v[20:21], v[5:6]
	ds_read_b128 v[5:8], v12 offset:240
	ds_read_b128 v[14:17], v10 offset:3840
	s_waitcnt lgkmcnt(0)
	s_barrier
	v_mul_f64 v[22:23], v[7:8], v[16:17]
	v_fma_f64 v[22:23], v[5:6], v[14:15], -v[22:23]
	v_mul_f64 v[5:6], v[5:6], v[16:17]
	v_fma_f64 v[7:8], v[7:8], v[14:15], v[5:6]
	v_add_f64 v[5:6], v[18:19], v[22:23]
	v_add_f64 v[7:8], v[20:21], v[7:8]
	s_cbranch_scc1 .LBB426_2
; %bb.3:
	v_cmp_le_i32_e32 vcc, v2, v9
	s_and_saveexec_b64 s[6:7], vcc
	s_cbranch_execz .LBB426_5
.LBB426_4:
	s_load_dwordx2 s[6:7], s[4:5], 0x68
	s_load_dwordx2 s[10:11], s[4:5], 0x58
	s_load_dword s9, s[4:5], 0x60
	v_mul_f64 v[0:1], s[2:3], v[7:8]
	v_mul_f64 v[3:4], s[0:1], v[7:8]
	s_waitcnt lgkmcnt(0)
	s_mul_i32 s4, s7, s8
	s_mul_hi_u32 s5, s6, s8
	s_add_i32 s5, s5, s4
	s_mul_i32 s4, s6, s8
	s_lshl_b64 s[4:5], s[4:5], 4
	s_add_u32 s6, s10, s4
	s_addc_u32 s7, s11, s5
	v_mad_i64_i32 v[7:8], s[4:5], s9, v9, 0
	v_fma_f64 v[0:1], s[0:1], v[5:6], -v[0:1]
	v_fma_f64 v[4:5], s[2:3], v[5:6], v[3:4]
	v_lshlrev_b64 v[6:7], 4, v[7:8]
	v_ashrrev_i32_e32 v3, 31, v2
	v_mov_b32_e32 v8, s7
	v_add_co_u32_e32 v10, vcc, s6, v6
	v_addc_co_u32_e32 v8, vcc, v8, v7, vcc
	v_lshlrev_b64 v[6:7], 4, v[2:3]
	v_add_co_u32_e32 v6, vcc, v10, v6
	v_addc_co_u32_e32 v7, vcc, v8, v7, vcc
	v_cmp_ne_u32_e32 vcc, v2, v9
	v_cndmask_b32_e32 v3, 0, v5, vcc
	v_cndmask_b32_e32 v2, 0, v4, vcc
	global_store_dwordx4 v[6:7], v[0:3], off
.LBB426_5:
	s_endpgm
.LBB426_6:
	v_mov_b32_e32 v7, 0
	v_mov_b32_e32 v5, 0
	;; [unrolled: 1-line block ×4, first 2 shown]
	v_cmp_le_i32_e32 vcc, v2, v9
	s_and_saveexec_b64 s[6:7], vcc
	s_cbranch_execnz .LBB426_4
	s_branch .LBB426_5
	.section	.rodata,"a",@progbits
	.p2align	6, 0x0
	.amdhsa_kernel _ZL41rocblas_syrkx_herkx_small_restrict_kernelIi19rocblas_complex_numIdELi16ELb1ELb1ELc84ELc85EKS1_S1_EviT_T0_PT6_S3_lS6_S3_lS4_PT7_S3_li
		.amdhsa_group_segment_fixed_size 8192
		.amdhsa_private_segment_fixed_size 0
		.amdhsa_kernarg_size 116
		.amdhsa_user_sgpr_count 6
		.amdhsa_user_sgpr_private_segment_buffer 1
		.amdhsa_user_sgpr_dispatch_ptr 0
		.amdhsa_user_sgpr_queue_ptr 0
		.amdhsa_user_sgpr_kernarg_segment_ptr 1
		.amdhsa_user_sgpr_dispatch_id 0
		.amdhsa_user_sgpr_flat_scratch_init 0
		.amdhsa_user_sgpr_private_segment_size 0
		.amdhsa_uses_dynamic_stack 0
		.amdhsa_system_sgpr_private_segment_wavefront_offset 0
		.amdhsa_system_sgpr_workgroup_id_x 1
		.amdhsa_system_sgpr_workgroup_id_y 1
		.amdhsa_system_sgpr_workgroup_id_z 1
		.amdhsa_system_sgpr_workgroup_info 0
		.amdhsa_system_vgpr_workitem_id 1
		.amdhsa_next_free_vgpr 36
		.amdhsa_next_free_sgpr 61
		.amdhsa_reserve_vcc 1
		.amdhsa_reserve_flat_scratch 0
		.amdhsa_float_round_mode_32 0
		.amdhsa_float_round_mode_16_64 0
		.amdhsa_float_denorm_mode_32 3
		.amdhsa_float_denorm_mode_16_64 3
		.amdhsa_dx10_clamp 1
		.amdhsa_ieee_mode 1
		.amdhsa_fp16_overflow 0
		.amdhsa_exception_fp_ieee_invalid_op 0
		.amdhsa_exception_fp_denorm_src 0
		.amdhsa_exception_fp_ieee_div_zero 0
		.amdhsa_exception_fp_ieee_overflow 0
		.amdhsa_exception_fp_ieee_underflow 0
		.amdhsa_exception_fp_ieee_inexact 0
		.amdhsa_exception_int_div_zero 0
	.end_amdhsa_kernel
	.section	.text._ZL41rocblas_syrkx_herkx_small_restrict_kernelIi19rocblas_complex_numIdELi16ELb1ELb1ELc84ELc85EKS1_S1_EviT_T0_PT6_S3_lS6_S3_lS4_PT7_S3_li,"axG",@progbits,_ZL41rocblas_syrkx_herkx_small_restrict_kernelIi19rocblas_complex_numIdELi16ELb1ELb1ELc84ELc85EKS1_S1_EviT_T0_PT6_S3_lS6_S3_lS4_PT7_S3_li,comdat
.Lfunc_end426:
	.size	_ZL41rocblas_syrkx_herkx_small_restrict_kernelIi19rocblas_complex_numIdELi16ELb1ELb1ELc84ELc85EKS1_S1_EviT_T0_PT6_S3_lS6_S3_lS4_PT7_S3_li, .Lfunc_end426-_ZL41rocblas_syrkx_herkx_small_restrict_kernelIi19rocblas_complex_numIdELi16ELb1ELb1ELc84ELc85EKS1_S1_EviT_T0_PT6_S3_lS6_S3_lS4_PT7_S3_li
                                        ; -- End function
	.set _ZL41rocblas_syrkx_herkx_small_restrict_kernelIi19rocblas_complex_numIdELi16ELb1ELb1ELc84ELc85EKS1_S1_EviT_T0_PT6_S3_lS6_S3_lS4_PT7_S3_li.num_vgpr, 36
	.set _ZL41rocblas_syrkx_herkx_small_restrict_kernelIi19rocblas_complex_numIdELi16ELb1ELb1ELc84ELc85EKS1_S1_EviT_T0_PT6_S3_lS6_S3_lS4_PT7_S3_li.num_agpr, 0
	.set _ZL41rocblas_syrkx_herkx_small_restrict_kernelIi19rocblas_complex_numIdELi16ELb1ELb1ELc84ELc85EKS1_S1_EviT_T0_PT6_S3_lS6_S3_lS4_PT7_S3_li.numbered_sgpr, 20
	.set _ZL41rocblas_syrkx_herkx_small_restrict_kernelIi19rocblas_complex_numIdELi16ELb1ELb1ELc84ELc85EKS1_S1_EviT_T0_PT6_S3_lS6_S3_lS4_PT7_S3_li.num_named_barrier, 0
	.set _ZL41rocblas_syrkx_herkx_small_restrict_kernelIi19rocblas_complex_numIdELi16ELb1ELb1ELc84ELc85EKS1_S1_EviT_T0_PT6_S3_lS6_S3_lS4_PT7_S3_li.private_seg_size, 0
	.set _ZL41rocblas_syrkx_herkx_small_restrict_kernelIi19rocblas_complex_numIdELi16ELb1ELb1ELc84ELc85EKS1_S1_EviT_T0_PT6_S3_lS6_S3_lS4_PT7_S3_li.uses_vcc, 1
	.set _ZL41rocblas_syrkx_herkx_small_restrict_kernelIi19rocblas_complex_numIdELi16ELb1ELb1ELc84ELc85EKS1_S1_EviT_T0_PT6_S3_lS6_S3_lS4_PT7_S3_li.uses_flat_scratch, 0
	.set _ZL41rocblas_syrkx_herkx_small_restrict_kernelIi19rocblas_complex_numIdELi16ELb1ELb1ELc84ELc85EKS1_S1_EviT_T0_PT6_S3_lS6_S3_lS4_PT7_S3_li.has_dyn_sized_stack, 0
	.set _ZL41rocblas_syrkx_herkx_small_restrict_kernelIi19rocblas_complex_numIdELi16ELb1ELb1ELc84ELc85EKS1_S1_EviT_T0_PT6_S3_lS6_S3_lS4_PT7_S3_li.has_recursion, 0
	.set _ZL41rocblas_syrkx_herkx_small_restrict_kernelIi19rocblas_complex_numIdELi16ELb1ELb1ELc84ELc85EKS1_S1_EviT_T0_PT6_S3_lS6_S3_lS4_PT7_S3_li.has_indirect_call, 0
	.section	.AMDGPU.csdata,"",@progbits
; Kernel info:
; codeLenInByte = 1652
; TotalNumSgprs: 24
; NumVgprs: 36
; ScratchSize: 0
; MemoryBound: 0
; FloatMode: 240
; IeeeMode: 1
; LDSByteSize: 8192 bytes/workgroup (compile time only)
; SGPRBlocks: 8
; VGPRBlocks: 8
; NumSGPRsForWavesPerEU: 65
; NumVGPRsForWavesPerEU: 36
; Occupancy: 7
; WaveLimiterHint : 0
; COMPUTE_PGM_RSRC2:SCRATCH_EN: 0
; COMPUTE_PGM_RSRC2:USER_SGPR: 6
; COMPUTE_PGM_RSRC2:TRAP_HANDLER: 0
; COMPUTE_PGM_RSRC2:TGID_X_EN: 1
; COMPUTE_PGM_RSRC2:TGID_Y_EN: 1
; COMPUTE_PGM_RSRC2:TGID_Z_EN: 1
; COMPUTE_PGM_RSRC2:TIDIG_COMP_CNT: 1
	.section	.text._ZL41rocblas_syrkx_herkx_small_restrict_kernelIi19rocblas_complex_numIdELi16ELb1ELb1ELc67ELc85EKS1_S1_EviT_T0_PT6_S3_lS6_S3_lS4_PT7_S3_li,"axG",@progbits,_ZL41rocblas_syrkx_herkx_small_restrict_kernelIi19rocblas_complex_numIdELi16ELb1ELb1ELc67ELc85EKS1_S1_EviT_T0_PT6_S3_lS6_S3_lS4_PT7_S3_li,comdat
	.globl	_ZL41rocblas_syrkx_herkx_small_restrict_kernelIi19rocblas_complex_numIdELi16ELb1ELb1ELc67ELc85EKS1_S1_EviT_T0_PT6_S3_lS6_S3_lS4_PT7_S3_li ; -- Begin function _ZL41rocblas_syrkx_herkx_small_restrict_kernelIi19rocblas_complex_numIdELi16ELb1ELb1ELc67ELc85EKS1_S1_EviT_T0_PT6_S3_lS6_S3_lS4_PT7_S3_li
	.p2align	8
	.type	_ZL41rocblas_syrkx_herkx_small_restrict_kernelIi19rocblas_complex_numIdELi16ELb1ELb1ELc67ELc85EKS1_S1_EviT_T0_PT6_S3_lS6_S3_lS4_PT7_S3_li,@function
_ZL41rocblas_syrkx_herkx_small_restrict_kernelIi19rocblas_complex_numIdELi16ELb1ELb1ELc67ELc85EKS1_S1_EviT_T0_PT6_S3_lS6_S3_lS4_PT7_S3_li: ; @_ZL41rocblas_syrkx_herkx_small_restrict_kernelIi19rocblas_complex_numIdELi16ELb1ELb1ELc67ELc85EKS1_S1_EviT_T0_PT6_S3_lS6_S3_lS4_PT7_S3_li
; %bb.0:
	s_load_dword s9, s[4:5], 0x4
	s_load_dwordx4 s[0:3], s[4:5], 0x8
	s_load_dwordx2 s[10:11], s[4:5], 0x18
	s_mov_b32 s12, 0
	v_lshl_add_u32 v2, s6, 4, v0
	s_waitcnt lgkmcnt(0)
	s_cmp_lt_i32 s9, 1
	v_lshl_add_u32 v9, s7, 4, v1
	s_cbranch_scc1 .LBB427_6
; %bb.1:
	s_load_dword s13, s[4:5], 0x20
	s_load_dwordx4 s[16:19], s[4:5], 0x28
	s_load_dword s14, s[4:5], 0x38
	s_load_dwordx2 s[6:7], s[4:5], 0x40
	v_lshlrev_b32_e32 v5, 8, v1
	v_lshlrev_b32_e32 v10, 4, v0
	v_add_u32_e32 v11, v10, v5
	s_waitcnt lgkmcnt(0)
	v_mad_i64_i32 v[3:4], s[14:15], s14, v9, 0
	s_mul_i32 s7, s7, s8
	s_mul_hi_u32 s14, s6, s8
	v_lshlrev_b64 v[3:4], 4, v[3:4]
	s_add_i32 s7, s14, s7
	s_mul_i32 s6, s6, s8
	s_lshl_b64 s[6:7], s[6:7], 4
	v_add_u32_e32 v12, 0x1000, v5
	v_mov_b32_e32 v0, s7
	v_add_co_u32_e32 v3, vcc, s6, v3
	v_mad_i64_i32 v[5:6], s[6:7], s13, v2, 0
	v_addc_co_u32_e32 v0, vcc, v4, v0, vcc
	v_add_co_u32_e32 v3, vcc, v3, v10
	v_addc_co_u32_e32 v0, vcc, 0, v0, vcc
	s_mul_i32 s6, s17, s8
	s_mul_hi_u32 s7, s16, s8
	v_mov_b32_e32 v4, s19
	v_add_co_u32_e32 v3, vcc, s18, v3
	v_lshlrev_b64 v[5:6], 4, v[5:6]
	s_add_i32 s7, s7, s6
	s_mul_i32 s6, s16, s8
	v_addc_co_u32_e32 v4, vcc, v4, v0, vcc
	s_lshl_b64 s[6:7], s[6:7], 4
	v_mov_b32_e32 v0, s7
	v_add_co_u32_e32 v5, vcc, s6, v5
	v_addc_co_u32_e32 v0, vcc, v6, v0, vcc
	v_lshlrev_b32_e32 v1, 4, v1
	v_add_co_u32_e32 v1, vcc, v5, v1
	v_addc_co_u32_e32 v0, vcc, 0, v0, vcc
	v_mov_b32_e32 v5, s11
	v_add_co_u32_e32 v1, vcc, s10, v1
	v_addc_co_u32_e32 v14, vcc, v5, v0, vcc
	v_mov_b32_e32 v7, 0
	v_mov_b32_e32 v5, 0
	v_add_co_u32_e32 v0, vcc, 8, v1
	v_add_u32_e32 v13, v12, v10
	v_mov_b32_e32 v8, 0
	v_mov_b32_e32 v6, 0
	v_addc_co_u32_e32 v1, vcc, 0, v14, vcc
.LBB427_2:                              ; =>This Inner Loop Header: Depth=1
	global_load_dwordx4 v[14:17], v[0:1], off offset:-8
	s_add_i32 s12, s12, 16
	s_cmp_lt_i32 s12, s9
	s_waitcnt vmcnt(0)
	v_xor_b32_e32 v17, 0x80000000, v17
	ds_write_b128 v11, v[14:17]
	global_load_dwordx4 v[14:17], v[3:4], off
	v_add_co_u32_e32 v3, vcc, 0x100, v3
	v_addc_co_u32_e32 v4, vcc, 0, v4, vcc
	v_add_co_u32_e32 v0, vcc, 0x100, v0
	v_addc_co_u32_e32 v1, vcc, 0, v1, vcc
	s_waitcnt vmcnt(0)
	ds_write2_b64 v13, v[14:15], v[16:17] offset1:1
	s_waitcnt lgkmcnt(0)
	s_barrier
	ds_read_b128 v[14:17], v12
	ds_read_b128 v[18:21], v12 offset:16
	ds_read_b128 v[22:25], v12 offset:32
	ds_read_b128 v[26:29], v12 offset:48
	ds_read_b128 v[30:33], v10
	s_waitcnt lgkmcnt(0)
	v_mul_f64 v[34:35], v[16:17], v[32:33]
	v_fma_f64 v[34:35], v[14:15], v[30:31], -v[34:35]
	v_mul_f64 v[14:15], v[14:15], v[32:33]
	v_fma_f64 v[14:15], v[16:17], v[30:31], v[14:15]
	v_add_f64 v[16:17], v[5:6], v[34:35]
	v_add_f64 v[14:15], v[7:8], v[14:15]
	ds_read_b128 v[5:8], v10 offset:256
	s_waitcnt lgkmcnt(0)
	v_mul_f64 v[30:31], v[20:21], v[7:8]
	v_mul_f64 v[7:8], v[18:19], v[7:8]
	v_fma_f64 v[30:31], v[18:19], v[5:6], -v[30:31]
	v_fma_f64 v[5:6], v[20:21], v[5:6], v[7:8]
	v_add_f64 v[16:17], v[16:17], v[30:31]
	v_add_f64 v[14:15], v[14:15], v[5:6]
	ds_read_b128 v[5:8], v10 offset:512
	s_waitcnt lgkmcnt(0)
	v_mul_f64 v[18:19], v[24:25], v[7:8]
	v_mul_f64 v[7:8], v[22:23], v[7:8]
	v_fma_f64 v[18:19], v[22:23], v[5:6], -v[18:19]
	;; [unrolled: 8-line block ×3, first 2 shown]
	v_fma_f64 v[5:6], v[28:29], v[5:6], v[7:8]
	v_add_f64 v[18:19], v[16:17], v[18:19]
	v_add_f64 v[20:21], v[14:15], v[5:6]
	ds_read_b128 v[5:8], v12 offset:64
	ds_read_b128 v[14:17], v10 offset:1024
	s_waitcnt lgkmcnt(0)
	v_mul_f64 v[22:23], v[7:8], v[16:17]
	v_fma_f64 v[22:23], v[5:6], v[14:15], -v[22:23]
	v_mul_f64 v[5:6], v[5:6], v[16:17]
	v_add_f64 v[18:19], v[18:19], v[22:23]
	v_fma_f64 v[5:6], v[7:8], v[14:15], v[5:6]
	v_add_f64 v[20:21], v[20:21], v[5:6]
	ds_read_b128 v[5:8], v12 offset:80
	ds_read_b128 v[14:17], v10 offset:1280
	s_waitcnt lgkmcnt(0)
	v_mul_f64 v[22:23], v[7:8], v[16:17]
	v_fma_f64 v[22:23], v[5:6], v[14:15], -v[22:23]
	v_mul_f64 v[5:6], v[5:6], v[16:17]
	v_add_f64 v[18:19], v[18:19], v[22:23]
	v_fma_f64 v[5:6], v[7:8], v[14:15], v[5:6]
	;; [unrolled: 9-line block ×11, first 2 shown]
	v_add_f64 v[20:21], v[20:21], v[5:6]
	ds_read_b128 v[5:8], v12 offset:240
	ds_read_b128 v[14:17], v10 offset:3840
	s_waitcnt lgkmcnt(0)
	s_barrier
	v_mul_f64 v[22:23], v[7:8], v[16:17]
	v_fma_f64 v[22:23], v[5:6], v[14:15], -v[22:23]
	v_mul_f64 v[5:6], v[5:6], v[16:17]
	v_fma_f64 v[7:8], v[7:8], v[14:15], v[5:6]
	v_add_f64 v[5:6], v[18:19], v[22:23]
	v_add_f64 v[7:8], v[20:21], v[7:8]
	s_cbranch_scc1 .LBB427_2
; %bb.3:
	v_cmp_le_i32_e32 vcc, v2, v9
	s_and_saveexec_b64 s[6:7], vcc
	s_cbranch_execz .LBB427_5
.LBB427_4:
	s_load_dwordx2 s[6:7], s[4:5], 0x68
	s_load_dwordx2 s[10:11], s[4:5], 0x58
	s_load_dword s9, s[4:5], 0x60
	v_mul_f64 v[0:1], s[2:3], v[7:8]
	v_mul_f64 v[3:4], s[0:1], v[7:8]
	s_waitcnt lgkmcnt(0)
	s_mul_i32 s4, s7, s8
	s_mul_hi_u32 s5, s6, s8
	s_add_i32 s5, s5, s4
	s_mul_i32 s4, s6, s8
	s_lshl_b64 s[4:5], s[4:5], 4
	s_add_u32 s6, s10, s4
	s_addc_u32 s7, s11, s5
	v_mad_i64_i32 v[7:8], s[4:5], s9, v9, 0
	v_fma_f64 v[0:1], s[0:1], v[5:6], -v[0:1]
	v_fma_f64 v[4:5], s[2:3], v[5:6], v[3:4]
	v_lshlrev_b64 v[6:7], 4, v[7:8]
	v_ashrrev_i32_e32 v3, 31, v2
	v_mov_b32_e32 v8, s7
	v_add_co_u32_e32 v10, vcc, s6, v6
	v_addc_co_u32_e32 v8, vcc, v8, v7, vcc
	v_lshlrev_b64 v[6:7], 4, v[2:3]
	v_add_co_u32_e32 v6, vcc, v10, v6
	v_addc_co_u32_e32 v7, vcc, v8, v7, vcc
	v_cmp_ne_u32_e32 vcc, v2, v9
	v_cndmask_b32_e32 v3, 0, v5, vcc
	v_cndmask_b32_e32 v2, 0, v4, vcc
	global_store_dwordx4 v[6:7], v[0:3], off
.LBB427_5:
	s_endpgm
.LBB427_6:
	v_mov_b32_e32 v7, 0
	v_mov_b32_e32 v5, 0
	;; [unrolled: 1-line block ×4, first 2 shown]
	v_cmp_le_i32_e32 vcc, v2, v9
	s_and_saveexec_b64 s[6:7], vcc
	s_cbranch_execnz .LBB427_4
	s_branch .LBB427_5
	.section	.rodata,"a",@progbits
	.p2align	6, 0x0
	.amdhsa_kernel _ZL41rocblas_syrkx_herkx_small_restrict_kernelIi19rocblas_complex_numIdELi16ELb1ELb1ELc67ELc85EKS1_S1_EviT_T0_PT6_S3_lS6_S3_lS4_PT7_S3_li
		.amdhsa_group_segment_fixed_size 8192
		.amdhsa_private_segment_fixed_size 0
		.amdhsa_kernarg_size 116
		.amdhsa_user_sgpr_count 6
		.amdhsa_user_sgpr_private_segment_buffer 1
		.amdhsa_user_sgpr_dispatch_ptr 0
		.amdhsa_user_sgpr_queue_ptr 0
		.amdhsa_user_sgpr_kernarg_segment_ptr 1
		.amdhsa_user_sgpr_dispatch_id 0
		.amdhsa_user_sgpr_flat_scratch_init 0
		.amdhsa_user_sgpr_private_segment_size 0
		.amdhsa_uses_dynamic_stack 0
		.amdhsa_system_sgpr_private_segment_wavefront_offset 0
		.amdhsa_system_sgpr_workgroup_id_x 1
		.amdhsa_system_sgpr_workgroup_id_y 1
		.amdhsa_system_sgpr_workgroup_id_z 1
		.amdhsa_system_sgpr_workgroup_info 0
		.amdhsa_system_vgpr_workitem_id 1
		.amdhsa_next_free_vgpr 36
		.amdhsa_next_free_sgpr 61
		.amdhsa_reserve_vcc 1
		.amdhsa_reserve_flat_scratch 0
		.amdhsa_float_round_mode_32 0
		.amdhsa_float_round_mode_16_64 0
		.amdhsa_float_denorm_mode_32 3
		.amdhsa_float_denorm_mode_16_64 3
		.amdhsa_dx10_clamp 1
		.amdhsa_ieee_mode 1
		.amdhsa_fp16_overflow 0
		.amdhsa_exception_fp_ieee_invalid_op 0
		.amdhsa_exception_fp_denorm_src 0
		.amdhsa_exception_fp_ieee_div_zero 0
		.amdhsa_exception_fp_ieee_overflow 0
		.amdhsa_exception_fp_ieee_underflow 0
		.amdhsa_exception_fp_ieee_inexact 0
		.amdhsa_exception_int_div_zero 0
	.end_amdhsa_kernel
	.section	.text._ZL41rocblas_syrkx_herkx_small_restrict_kernelIi19rocblas_complex_numIdELi16ELb1ELb1ELc67ELc85EKS1_S1_EviT_T0_PT6_S3_lS6_S3_lS4_PT7_S3_li,"axG",@progbits,_ZL41rocblas_syrkx_herkx_small_restrict_kernelIi19rocblas_complex_numIdELi16ELb1ELb1ELc67ELc85EKS1_S1_EviT_T0_PT6_S3_lS6_S3_lS4_PT7_S3_li,comdat
.Lfunc_end427:
	.size	_ZL41rocblas_syrkx_herkx_small_restrict_kernelIi19rocblas_complex_numIdELi16ELb1ELb1ELc67ELc85EKS1_S1_EviT_T0_PT6_S3_lS6_S3_lS4_PT7_S3_li, .Lfunc_end427-_ZL41rocblas_syrkx_herkx_small_restrict_kernelIi19rocblas_complex_numIdELi16ELb1ELb1ELc67ELc85EKS1_S1_EviT_T0_PT6_S3_lS6_S3_lS4_PT7_S3_li
                                        ; -- End function
	.set _ZL41rocblas_syrkx_herkx_small_restrict_kernelIi19rocblas_complex_numIdELi16ELb1ELb1ELc67ELc85EKS1_S1_EviT_T0_PT6_S3_lS6_S3_lS4_PT7_S3_li.num_vgpr, 36
	.set _ZL41rocblas_syrkx_herkx_small_restrict_kernelIi19rocblas_complex_numIdELi16ELb1ELb1ELc67ELc85EKS1_S1_EviT_T0_PT6_S3_lS6_S3_lS4_PT7_S3_li.num_agpr, 0
	.set _ZL41rocblas_syrkx_herkx_small_restrict_kernelIi19rocblas_complex_numIdELi16ELb1ELb1ELc67ELc85EKS1_S1_EviT_T0_PT6_S3_lS6_S3_lS4_PT7_S3_li.numbered_sgpr, 20
	.set _ZL41rocblas_syrkx_herkx_small_restrict_kernelIi19rocblas_complex_numIdELi16ELb1ELb1ELc67ELc85EKS1_S1_EviT_T0_PT6_S3_lS6_S3_lS4_PT7_S3_li.num_named_barrier, 0
	.set _ZL41rocblas_syrkx_herkx_small_restrict_kernelIi19rocblas_complex_numIdELi16ELb1ELb1ELc67ELc85EKS1_S1_EviT_T0_PT6_S3_lS6_S3_lS4_PT7_S3_li.private_seg_size, 0
	.set _ZL41rocblas_syrkx_herkx_small_restrict_kernelIi19rocblas_complex_numIdELi16ELb1ELb1ELc67ELc85EKS1_S1_EviT_T0_PT6_S3_lS6_S3_lS4_PT7_S3_li.uses_vcc, 1
	.set _ZL41rocblas_syrkx_herkx_small_restrict_kernelIi19rocblas_complex_numIdELi16ELb1ELb1ELc67ELc85EKS1_S1_EviT_T0_PT6_S3_lS6_S3_lS4_PT7_S3_li.uses_flat_scratch, 0
	.set _ZL41rocblas_syrkx_herkx_small_restrict_kernelIi19rocblas_complex_numIdELi16ELb1ELb1ELc67ELc85EKS1_S1_EviT_T0_PT6_S3_lS6_S3_lS4_PT7_S3_li.has_dyn_sized_stack, 0
	.set _ZL41rocblas_syrkx_herkx_small_restrict_kernelIi19rocblas_complex_numIdELi16ELb1ELb1ELc67ELc85EKS1_S1_EviT_T0_PT6_S3_lS6_S3_lS4_PT7_S3_li.has_recursion, 0
	.set _ZL41rocblas_syrkx_herkx_small_restrict_kernelIi19rocblas_complex_numIdELi16ELb1ELb1ELc67ELc85EKS1_S1_EviT_T0_PT6_S3_lS6_S3_lS4_PT7_S3_li.has_indirect_call, 0
	.section	.AMDGPU.csdata,"",@progbits
; Kernel info:
; codeLenInByte = 1668
; TotalNumSgprs: 24
; NumVgprs: 36
; ScratchSize: 0
; MemoryBound: 0
; FloatMode: 240
; IeeeMode: 1
; LDSByteSize: 8192 bytes/workgroup (compile time only)
; SGPRBlocks: 8
; VGPRBlocks: 8
; NumSGPRsForWavesPerEU: 65
; NumVGPRsForWavesPerEU: 36
; Occupancy: 7
; WaveLimiterHint : 0
; COMPUTE_PGM_RSRC2:SCRATCH_EN: 0
; COMPUTE_PGM_RSRC2:USER_SGPR: 6
; COMPUTE_PGM_RSRC2:TRAP_HANDLER: 0
; COMPUTE_PGM_RSRC2:TGID_X_EN: 1
; COMPUTE_PGM_RSRC2:TGID_Y_EN: 1
; COMPUTE_PGM_RSRC2:TGID_Z_EN: 1
; COMPUTE_PGM_RSRC2:TIDIG_COMP_CNT: 1
	.section	.text._ZL41rocblas_syrkx_herkx_small_restrict_kernelIi19rocblas_complex_numIdELi16ELb1ELb1ELc78ELc85EKS1_S1_EviT_T0_PT6_S3_lS6_S3_lS4_PT7_S3_li,"axG",@progbits,_ZL41rocblas_syrkx_herkx_small_restrict_kernelIi19rocblas_complex_numIdELi16ELb1ELb1ELc78ELc85EKS1_S1_EviT_T0_PT6_S3_lS6_S3_lS4_PT7_S3_li,comdat
	.globl	_ZL41rocblas_syrkx_herkx_small_restrict_kernelIi19rocblas_complex_numIdELi16ELb1ELb1ELc78ELc85EKS1_S1_EviT_T0_PT6_S3_lS6_S3_lS4_PT7_S3_li ; -- Begin function _ZL41rocblas_syrkx_herkx_small_restrict_kernelIi19rocblas_complex_numIdELi16ELb1ELb1ELc78ELc85EKS1_S1_EviT_T0_PT6_S3_lS6_S3_lS4_PT7_S3_li
	.p2align	8
	.type	_ZL41rocblas_syrkx_herkx_small_restrict_kernelIi19rocblas_complex_numIdELi16ELb1ELb1ELc78ELc85EKS1_S1_EviT_T0_PT6_S3_lS6_S3_lS4_PT7_S3_li,@function
_ZL41rocblas_syrkx_herkx_small_restrict_kernelIi19rocblas_complex_numIdELi16ELb1ELb1ELc78ELc85EKS1_S1_EviT_T0_PT6_S3_lS6_S3_lS4_PT7_S3_li: ; @_ZL41rocblas_syrkx_herkx_small_restrict_kernelIi19rocblas_complex_numIdELi16ELb1ELb1ELc78ELc85EKS1_S1_EviT_T0_PT6_S3_lS6_S3_lS4_PT7_S3_li
; %bb.0:
	s_load_dword s9, s[4:5], 0x4
	s_load_dwordx4 s[0:3], s[4:5], 0x8
	s_load_dwordx2 s[10:11], s[4:5], 0x18
	v_lshl_add_u32 v2, s6, 4, v0
	s_mov_b32 s16, 0
	v_lshl_add_u32 v4, s7, 4, v1
	s_waitcnt lgkmcnt(0)
	s_cmp_lt_i32 s9, 1
	v_ashrrev_i32_e32 v3, 31, v2
	s_cbranch_scc1 .LBB428_6
; %bb.1:
	s_load_dword s18, s[4:5], 0x20
	s_load_dword s6, s[4:5], 0x38
	s_load_dwordx2 s[20:21], s[4:5], 0x40
	s_load_dwordx4 s[12:15], s[4:5], 0x28
	v_lshlrev_b32_e32 v6, 8, v1
	v_lshlrev_b32_e32 v11, 4, v0
	v_add_u32_e32 v12, v11, v6
	v_add_u32_e32 v13, 0x1000, v6
	s_waitcnt lgkmcnt(0)
	v_mad_i64_i32 v[6:7], s[22:23], s6, v0, 0
	s_mul_i32 s17, s21, s8
	s_mul_hi_u32 s21, s20, s8
	s_add_i32 s21, s21, s17
	s_mul_i32 s20, s20, s8
	v_lshlrev_b64 v[6:7], 4, v[6:7]
	v_ashrrev_i32_e32 v5, 31, v4
	s_lshl_b64 s[20:21], s[20:21], 4
	v_mov_b32_e32 v0, s21
	v_add_co_u32_e32 v8, vcc, s20, v6
	v_lshlrev_b64 v[5:6], 4, v[4:5]
	v_addc_co_u32_e32 v0, vcc, v0, v7, vcc
	v_add_co_u32_e32 v5, vcc, v8, v5
	v_addc_co_u32_e32 v0, vcc, v0, v6, vcc
	v_mov_b32_e32 v6, s15
	v_add_co_u32_e32 v5, vcc, s14, v5
	v_addc_co_u32_e32 v0, vcc, v6, v0, vcc
	v_add_co_u32_e32 v5, vcc, 8, v5
	v_addc_co_u32_e32 v6, vcc, 0, v0, vcc
	v_mad_i64_i32 v[0:1], s[14:15], s18, v1, 0
	s_mul_i32 s13, s13, s8
	s_mul_hi_u32 s17, s12, s8
	s_add_i32 s13, s17, s13
	s_mul_i32 s12, s12, s8
	v_lshlrev_b64 v[0:1], 4, v[0:1]
	s_lshl_b64 s[12:13], s[12:13], 4
	v_mov_b32_e32 v7, s13
	v_add_co_u32_e32 v8, vcc, s12, v0
	v_addc_co_u32_e32 v7, vcc, v7, v1, vcc
	v_lshlrev_b64 v[0:1], 4, v[2:3]
	s_ashr_i32 s19, s18, 31
	v_add_co_u32_e32 v0, vcc, v8, v0
	v_addc_co_u32_e32 v1, vcc, v7, v1, vcc
	s_ashr_i32 s7, s6, 31
	v_mov_b32_e32 v7, s11
	v_add_co_u32_e32 v0, vcc, s10, v0
	s_lshl_b64 s[6:7], s[6:7], 8
	v_addc_co_u32_e32 v1, vcc, v7, v1, vcc
	s_lshl_b64 s[10:11], s[18:19], 8
	v_mov_b32_e32 v9, 0
	v_mov_b32_e32 v7, 0
	;; [unrolled: 1-line block ×6, first 2 shown]
.LBB428_2:                              ; =>This Inner Loop Header: Depth=1
	global_load_dwordx4 v[16:19], v[0:1], off
	v_add_u32_e32 v20, v13, v11
	s_add_i32 s16, s16, 16
	s_cmp_lt_i32 s16, s9
	s_waitcnt vmcnt(0)
	ds_write2_b64 v12, v[16:17], v[18:19] offset1:1
	global_load_dwordx4 v[16:19], v[5:6], off offset:-8
	v_add_co_u32_e32 v5, vcc, s6, v5
	v_addc_co_u32_e32 v6, vcc, v6, v14, vcc
	v_add_co_u32_e32 v0, vcc, s10, v0
	v_addc_co_u32_e32 v1, vcc, v1, v15, vcc
	s_waitcnt vmcnt(0)
	v_xor_b32_e32 v19, 0x80000000, v19
	ds_write_b128 v20, v[16:19]
	s_waitcnt lgkmcnt(0)
	s_barrier
	ds_read_b128 v[16:19], v13
	ds_read_b128 v[20:23], v13 offset:16
	ds_read_b128 v[24:27], v13 offset:32
	;; [unrolled: 1-line block ×3, first 2 shown]
	ds_read_b128 v[32:35], v11
	s_waitcnt lgkmcnt(0)
	v_mul_f64 v[36:37], v[18:19], v[34:35]
	v_fma_f64 v[36:37], v[16:17], v[32:33], -v[36:37]
	v_mul_f64 v[16:17], v[16:17], v[34:35]
	v_fma_f64 v[16:17], v[18:19], v[32:33], v[16:17]
	v_add_f64 v[18:19], v[7:8], v[36:37]
	v_add_f64 v[16:17], v[9:10], v[16:17]
	ds_read_b128 v[7:10], v11 offset:256
	s_waitcnt lgkmcnt(0)
	v_mul_f64 v[32:33], v[22:23], v[9:10]
	v_mul_f64 v[9:10], v[20:21], v[9:10]
	v_fma_f64 v[32:33], v[20:21], v[7:8], -v[32:33]
	v_fma_f64 v[7:8], v[22:23], v[7:8], v[9:10]
	v_add_f64 v[18:19], v[18:19], v[32:33]
	v_add_f64 v[16:17], v[16:17], v[7:8]
	ds_read_b128 v[7:10], v11 offset:512
	s_waitcnt lgkmcnt(0)
	v_mul_f64 v[20:21], v[26:27], v[9:10]
	v_mul_f64 v[9:10], v[24:25], v[9:10]
	v_fma_f64 v[20:21], v[24:25], v[7:8], -v[20:21]
	;; [unrolled: 8-line block ×3, first 2 shown]
	v_fma_f64 v[7:8], v[30:31], v[7:8], v[9:10]
	v_add_f64 v[20:21], v[18:19], v[20:21]
	v_add_f64 v[22:23], v[16:17], v[7:8]
	ds_read_b128 v[7:10], v13 offset:64
	ds_read_b128 v[16:19], v11 offset:1024
	s_waitcnt lgkmcnt(0)
	v_mul_f64 v[24:25], v[9:10], v[18:19]
	v_fma_f64 v[24:25], v[7:8], v[16:17], -v[24:25]
	v_mul_f64 v[7:8], v[7:8], v[18:19]
	v_add_f64 v[20:21], v[20:21], v[24:25]
	v_fma_f64 v[7:8], v[9:10], v[16:17], v[7:8]
	v_add_f64 v[22:23], v[22:23], v[7:8]
	ds_read_b128 v[7:10], v13 offset:80
	ds_read_b128 v[16:19], v11 offset:1280
	s_waitcnt lgkmcnt(0)
	v_mul_f64 v[24:25], v[9:10], v[18:19]
	v_fma_f64 v[24:25], v[7:8], v[16:17], -v[24:25]
	v_mul_f64 v[7:8], v[7:8], v[18:19]
	v_add_f64 v[20:21], v[20:21], v[24:25]
	v_fma_f64 v[7:8], v[9:10], v[16:17], v[7:8]
	;; [unrolled: 9-line block ×11, first 2 shown]
	v_add_f64 v[22:23], v[22:23], v[7:8]
	ds_read_b128 v[7:10], v13 offset:240
	ds_read_b128 v[16:19], v11 offset:3840
	s_waitcnt lgkmcnt(0)
	s_barrier
	v_mul_f64 v[24:25], v[9:10], v[18:19]
	v_fma_f64 v[24:25], v[7:8], v[16:17], -v[24:25]
	v_mul_f64 v[7:8], v[7:8], v[18:19]
	v_fma_f64 v[9:10], v[9:10], v[16:17], v[7:8]
	v_add_f64 v[7:8], v[20:21], v[24:25]
	v_add_f64 v[9:10], v[22:23], v[9:10]
	s_cbranch_scc1 .LBB428_2
; %bb.3:
	v_cmp_le_i32_e32 vcc, v2, v4
	s_and_saveexec_b64 s[6:7], vcc
	s_cbranch_execz .LBB428_5
.LBB428_4:
	s_load_dwordx2 s[6:7], s[4:5], 0x68
	s_load_dwordx2 s[10:11], s[4:5], 0x58
	s_load_dword s9, s[4:5], 0x60
	v_mul_f64 v[0:1], s[2:3], v[9:10]
	v_mul_f64 v[5:6], s[0:1], v[9:10]
	s_waitcnt lgkmcnt(0)
	s_mul_i32 s4, s7, s8
	s_mul_hi_u32 s5, s6, s8
	s_add_i32 s5, s5, s4
	s_mul_i32 s4, s6, s8
	v_mad_i64_i32 v[9:10], s[6:7], s9, v4, 0
	s_lshl_b64 s[4:5], s[4:5], 4
	s_add_u32 s4, s10, s4
	v_fma_f64 v[0:1], s[0:1], v[7:8], -v[0:1]
	v_fma_f64 v[5:6], s[2:3], v[7:8], v[5:6]
	v_lshlrev_b64 v[7:8], 4, v[9:10]
	s_addc_u32 s5, s11, s5
	v_mov_b32_e32 v9, s5
	v_add_co_u32_e32 v10, vcc, s4, v7
	v_addc_co_u32_e32 v9, vcc, v9, v8, vcc
	v_lshlrev_b64 v[7:8], 4, v[2:3]
	v_add_co_u32_e32 v7, vcc, v10, v7
	v_addc_co_u32_e32 v8, vcc, v9, v8, vcc
	v_cmp_ne_u32_e32 vcc, v2, v4
	v_cndmask_b32_e32 v3, 0, v6, vcc
	v_cndmask_b32_e32 v2, 0, v5, vcc
	global_store_dwordx4 v[7:8], v[0:3], off
.LBB428_5:
	s_endpgm
.LBB428_6:
	v_mov_b32_e32 v9, 0
	v_mov_b32_e32 v7, 0
	;; [unrolled: 1-line block ×4, first 2 shown]
	v_cmp_le_i32_e32 vcc, v2, v4
	s_and_saveexec_b64 s[6:7], vcc
	s_cbranch_execnz .LBB428_4
	s_branch .LBB428_5
	.section	.rodata,"a",@progbits
	.p2align	6, 0x0
	.amdhsa_kernel _ZL41rocblas_syrkx_herkx_small_restrict_kernelIi19rocblas_complex_numIdELi16ELb1ELb1ELc78ELc85EKS1_S1_EviT_T0_PT6_S3_lS6_S3_lS4_PT7_S3_li
		.amdhsa_group_segment_fixed_size 8192
		.amdhsa_private_segment_fixed_size 0
		.amdhsa_kernarg_size 116
		.amdhsa_user_sgpr_count 6
		.amdhsa_user_sgpr_private_segment_buffer 1
		.amdhsa_user_sgpr_dispatch_ptr 0
		.amdhsa_user_sgpr_queue_ptr 0
		.amdhsa_user_sgpr_kernarg_segment_ptr 1
		.amdhsa_user_sgpr_dispatch_id 0
		.amdhsa_user_sgpr_flat_scratch_init 0
		.amdhsa_user_sgpr_private_segment_size 0
		.amdhsa_uses_dynamic_stack 0
		.amdhsa_system_sgpr_private_segment_wavefront_offset 0
		.amdhsa_system_sgpr_workgroup_id_x 1
		.amdhsa_system_sgpr_workgroup_id_y 1
		.amdhsa_system_sgpr_workgroup_id_z 1
		.amdhsa_system_sgpr_workgroup_info 0
		.amdhsa_system_vgpr_workitem_id 1
		.amdhsa_next_free_vgpr 38
		.amdhsa_next_free_sgpr 61
		.amdhsa_reserve_vcc 1
		.amdhsa_reserve_flat_scratch 0
		.amdhsa_float_round_mode_32 0
		.amdhsa_float_round_mode_16_64 0
		.amdhsa_float_denorm_mode_32 3
		.amdhsa_float_denorm_mode_16_64 3
		.amdhsa_dx10_clamp 1
		.amdhsa_ieee_mode 1
		.amdhsa_fp16_overflow 0
		.amdhsa_exception_fp_ieee_invalid_op 0
		.amdhsa_exception_fp_denorm_src 0
		.amdhsa_exception_fp_ieee_div_zero 0
		.amdhsa_exception_fp_ieee_overflow 0
		.amdhsa_exception_fp_ieee_underflow 0
		.amdhsa_exception_fp_ieee_inexact 0
		.amdhsa_exception_int_div_zero 0
	.end_amdhsa_kernel
	.section	.text._ZL41rocblas_syrkx_herkx_small_restrict_kernelIi19rocblas_complex_numIdELi16ELb1ELb1ELc78ELc85EKS1_S1_EviT_T0_PT6_S3_lS6_S3_lS4_PT7_S3_li,"axG",@progbits,_ZL41rocblas_syrkx_herkx_small_restrict_kernelIi19rocblas_complex_numIdELi16ELb1ELb1ELc78ELc85EKS1_S1_EviT_T0_PT6_S3_lS6_S3_lS4_PT7_S3_li,comdat
.Lfunc_end428:
	.size	_ZL41rocblas_syrkx_herkx_small_restrict_kernelIi19rocblas_complex_numIdELi16ELb1ELb1ELc78ELc85EKS1_S1_EviT_T0_PT6_S3_lS6_S3_lS4_PT7_S3_li, .Lfunc_end428-_ZL41rocblas_syrkx_herkx_small_restrict_kernelIi19rocblas_complex_numIdELi16ELb1ELb1ELc78ELc85EKS1_S1_EviT_T0_PT6_S3_lS6_S3_lS4_PT7_S3_li
                                        ; -- End function
	.set _ZL41rocblas_syrkx_herkx_small_restrict_kernelIi19rocblas_complex_numIdELi16ELb1ELb1ELc78ELc85EKS1_S1_EviT_T0_PT6_S3_lS6_S3_lS4_PT7_S3_li.num_vgpr, 38
	.set _ZL41rocblas_syrkx_herkx_small_restrict_kernelIi19rocblas_complex_numIdELi16ELb1ELb1ELc78ELc85EKS1_S1_EviT_T0_PT6_S3_lS6_S3_lS4_PT7_S3_li.num_agpr, 0
	.set _ZL41rocblas_syrkx_herkx_small_restrict_kernelIi19rocblas_complex_numIdELi16ELb1ELb1ELc78ELc85EKS1_S1_EviT_T0_PT6_S3_lS6_S3_lS4_PT7_S3_li.numbered_sgpr, 24
	.set _ZL41rocblas_syrkx_herkx_small_restrict_kernelIi19rocblas_complex_numIdELi16ELb1ELb1ELc78ELc85EKS1_S1_EviT_T0_PT6_S3_lS6_S3_lS4_PT7_S3_li.num_named_barrier, 0
	.set _ZL41rocblas_syrkx_herkx_small_restrict_kernelIi19rocblas_complex_numIdELi16ELb1ELb1ELc78ELc85EKS1_S1_EviT_T0_PT6_S3_lS6_S3_lS4_PT7_S3_li.private_seg_size, 0
	.set _ZL41rocblas_syrkx_herkx_small_restrict_kernelIi19rocblas_complex_numIdELi16ELb1ELb1ELc78ELc85EKS1_S1_EviT_T0_PT6_S3_lS6_S3_lS4_PT7_S3_li.uses_vcc, 1
	.set _ZL41rocblas_syrkx_herkx_small_restrict_kernelIi19rocblas_complex_numIdELi16ELb1ELb1ELc78ELc85EKS1_S1_EviT_T0_PT6_S3_lS6_S3_lS4_PT7_S3_li.uses_flat_scratch, 0
	.set _ZL41rocblas_syrkx_herkx_small_restrict_kernelIi19rocblas_complex_numIdELi16ELb1ELb1ELc78ELc85EKS1_S1_EviT_T0_PT6_S3_lS6_S3_lS4_PT7_S3_li.has_dyn_sized_stack, 0
	.set _ZL41rocblas_syrkx_herkx_small_restrict_kernelIi19rocblas_complex_numIdELi16ELb1ELb1ELc78ELc85EKS1_S1_EviT_T0_PT6_S3_lS6_S3_lS4_PT7_S3_li.has_recursion, 0
	.set _ZL41rocblas_syrkx_herkx_small_restrict_kernelIi19rocblas_complex_numIdELi16ELb1ELb1ELc78ELc85EKS1_S1_EviT_T0_PT6_S3_lS6_S3_lS4_PT7_S3_li.has_indirect_call, 0
	.section	.AMDGPU.csdata,"",@progbits
; Kernel info:
; codeLenInByte = 1700
; TotalNumSgprs: 28
; NumVgprs: 38
; ScratchSize: 0
; MemoryBound: 0
; FloatMode: 240
; IeeeMode: 1
; LDSByteSize: 8192 bytes/workgroup (compile time only)
; SGPRBlocks: 8
; VGPRBlocks: 9
; NumSGPRsForWavesPerEU: 65
; NumVGPRsForWavesPerEU: 38
; Occupancy: 6
; WaveLimiterHint : 0
; COMPUTE_PGM_RSRC2:SCRATCH_EN: 0
; COMPUTE_PGM_RSRC2:USER_SGPR: 6
; COMPUTE_PGM_RSRC2:TRAP_HANDLER: 0
; COMPUTE_PGM_RSRC2:TGID_X_EN: 1
; COMPUTE_PGM_RSRC2:TGID_Y_EN: 1
; COMPUTE_PGM_RSRC2:TGID_Z_EN: 1
; COMPUTE_PGM_RSRC2:TIDIG_COMP_CNT: 1
	.section	.text._ZL41rocblas_syrkx_herkx_small_restrict_kernelIi19rocblas_complex_numIdELi16ELb0ELb1ELc84ELc76EKS1_S1_EviT_T0_PT6_S3_lS6_S3_lS4_PT7_S3_li,"axG",@progbits,_ZL41rocblas_syrkx_herkx_small_restrict_kernelIi19rocblas_complex_numIdELi16ELb0ELb1ELc84ELc76EKS1_S1_EviT_T0_PT6_S3_lS6_S3_lS4_PT7_S3_li,comdat
	.globl	_ZL41rocblas_syrkx_herkx_small_restrict_kernelIi19rocblas_complex_numIdELi16ELb0ELb1ELc84ELc76EKS1_S1_EviT_T0_PT6_S3_lS6_S3_lS4_PT7_S3_li ; -- Begin function _ZL41rocblas_syrkx_herkx_small_restrict_kernelIi19rocblas_complex_numIdELi16ELb0ELb1ELc84ELc76EKS1_S1_EviT_T0_PT6_S3_lS6_S3_lS4_PT7_S3_li
	.p2align	8
	.type	_ZL41rocblas_syrkx_herkx_small_restrict_kernelIi19rocblas_complex_numIdELi16ELb0ELb1ELc84ELc76EKS1_S1_EviT_T0_PT6_S3_lS6_S3_lS4_PT7_S3_li,@function
_ZL41rocblas_syrkx_herkx_small_restrict_kernelIi19rocblas_complex_numIdELi16ELb0ELb1ELc84ELc76EKS1_S1_EviT_T0_PT6_S3_lS6_S3_lS4_PT7_S3_li: ; @_ZL41rocblas_syrkx_herkx_small_restrict_kernelIi19rocblas_complex_numIdELi16ELb0ELb1ELc84ELc76EKS1_S1_EviT_T0_PT6_S3_lS6_S3_lS4_PT7_S3_li
; %bb.0:
	s_load_dword s9, s[4:5], 0x4
	s_load_dwordx4 s[0:3], s[4:5], 0x8
	s_load_dwordx2 s[10:11], s[4:5], 0x18
	s_load_dwordx8 s[12:19], s[4:5], 0x40
	s_mov_b32 s20, 0
	v_lshl_add_u32 v2, s6, 4, v0
	s_waitcnt lgkmcnt(0)
	s_cmp_lt_i32 s9, 1
	v_lshl_add_u32 v9, s7, 4, v1
	s_cbranch_scc1 .LBB429_6
; %bb.1:
	s_load_dword s21, s[4:5], 0x20
	s_load_dword s6, s[4:5], 0x38
	s_load_dwordx4 s[24:27], s[4:5], 0x28
	v_lshlrev_b32_e32 v5, 8, v1
	v_lshlrev_b32_e32 v10, 4, v0
	v_add_u32_e32 v11, v10, v5
	s_waitcnt lgkmcnt(0)
	v_mad_i64_i32 v[3:4], s[6:7], s6, v9, 0
	s_mul_i32 s6, s13, s8
	s_mul_hi_u32 s7, s12, s8
	v_lshlrev_b64 v[3:4], 4, v[3:4]
	s_add_i32 s7, s7, s6
	s_mul_i32 s6, s12, s8
	s_lshl_b64 s[6:7], s[6:7], 4
	v_add_u32_e32 v12, 0x1000, v5
	v_mov_b32_e32 v0, s7
	v_add_co_u32_e32 v3, vcc, s6, v3
	v_mad_i64_i32 v[5:6], s[6:7], s21, v2, 0
	v_addc_co_u32_e32 v0, vcc, v4, v0, vcc
	v_add_co_u32_e32 v3, vcc, v3, v10
	v_addc_co_u32_e32 v0, vcc, 0, v0, vcc
	s_mul_i32 s6, s25, s8
	s_mul_hi_u32 s7, s24, s8
	v_mov_b32_e32 v4, s27
	v_add_co_u32_e32 v3, vcc, s26, v3
	v_lshlrev_b64 v[5:6], 4, v[5:6]
	s_add_i32 s7, s7, s6
	s_mul_i32 s6, s24, s8
	v_addc_co_u32_e32 v4, vcc, v4, v0, vcc
	s_lshl_b64 s[6:7], s[6:7], 4
	v_mov_b32_e32 v0, s7
	v_add_co_u32_e32 v5, vcc, s6, v5
	v_addc_co_u32_e32 v0, vcc, v6, v0, vcc
	v_lshlrev_b32_e32 v1, 4, v1
	v_add_co_u32_e32 v1, vcc, v5, v1
	v_addc_co_u32_e32 v14, vcc, 0, v0, vcc
	v_mov_b32_e32 v15, s11
	v_mov_b32_e32 v5, 0
	;; [unrolled: 1-line block ×3, first 2 shown]
	v_add_co_u32_e32 v0, vcc, s10, v1
	v_add_u32_e32 v13, v12, v10
	v_mov_b32_e32 v6, 0
	v_mov_b32_e32 v8, 0
	v_addc_co_u32_e32 v1, vcc, v15, v14, vcc
.LBB429_2:                              ; =>This Inner Loop Header: Depth=1
	global_load_dwordx4 v[14:17], v[0:1], off
	s_add_i32 s20, s20, 16
	s_cmp_lt_i32 s20, s9
	s_waitcnt vmcnt(0)
	ds_write2_b64 v11, v[14:15], v[16:17] offset1:1
	global_load_dwordx4 v[14:17], v[3:4], off
	v_add_co_u32_e32 v3, vcc, 0x100, v3
	v_addc_co_u32_e32 v4, vcc, 0, v4, vcc
	v_add_co_u32_e32 v0, vcc, 0x100, v0
	v_addc_co_u32_e32 v1, vcc, 0, v1, vcc
	s_waitcnt vmcnt(0)
	ds_write2_b64 v13, v[14:15], v[16:17] offset1:1
	s_waitcnt lgkmcnt(0)
	s_barrier
	ds_read_b128 v[14:17], v12
	ds_read_b128 v[18:21], v12 offset:16
	ds_read_b128 v[22:25], v12 offset:32
	;; [unrolled: 1-line block ×3, first 2 shown]
	ds_read_b128 v[30:33], v10
	s_waitcnt lgkmcnt(0)
	v_mul_f64 v[34:35], v[16:17], v[32:33]
	v_fma_f64 v[34:35], v[14:15], v[30:31], -v[34:35]
	v_mul_f64 v[14:15], v[14:15], v[32:33]
	v_fma_f64 v[14:15], v[16:17], v[30:31], v[14:15]
	v_add_f64 v[16:17], v[7:8], v[34:35]
	v_add_f64 v[14:15], v[5:6], v[14:15]
	ds_read_b128 v[5:8], v10 offset:256
	s_waitcnt lgkmcnt(0)
	v_mul_f64 v[30:31], v[20:21], v[7:8]
	v_mul_f64 v[7:8], v[18:19], v[7:8]
	v_fma_f64 v[30:31], v[18:19], v[5:6], -v[30:31]
	v_fma_f64 v[5:6], v[20:21], v[5:6], v[7:8]
	v_add_f64 v[16:17], v[16:17], v[30:31]
	v_add_f64 v[14:15], v[14:15], v[5:6]
	ds_read_b128 v[5:8], v10 offset:512
	s_waitcnt lgkmcnt(0)
	v_mul_f64 v[18:19], v[24:25], v[7:8]
	v_mul_f64 v[7:8], v[22:23], v[7:8]
	v_fma_f64 v[18:19], v[22:23], v[5:6], -v[18:19]
	;; [unrolled: 8-line block ×3, first 2 shown]
	v_fma_f64 v[5:6], v[28:29], v[5:6], v[7:8]
	v_add_f64 v[18:19], v[16:17], v[18:19]
	v_add_f64 v[20:21], v[14:15], v[5:6]
	ds_read_b128 v[5:8], v12 offset:64
	ds_read_b128 v[14:17], v10 offset:1024
	s_waitcnt lgkmcnt(0)
	v_mul_f64 v[22:23], v[7:8], v[16:17]
	v_fma_f64 v[22:23], v[5:6], v[14:15], -v[22:23]
	v_mul_f64 v[5:6], v[5:6], v[16:17]
	v_add_f64 v[18:19], v[18:19], v[22:23]
	v_fma_f64 v[5:6], v[7:8], v[14:15], v[5:6]
	v_add_f64 v[20:21], v[20:21], v[5:6]
	ds_read_b128 v[5:8], v12 offset:80
	ds_read_b128 v[14:17], v10 offset:1280
	s_waitcnt lgkmcnt(0)
	v_mul_f64 v[22:23], v[7:8], v[16:17]
	v_fma_f64 v[22:23], v[5:6], v[14:15], -v[22:23]
	v_mul_f64 v[5:6], v[5:6], v[16:17]
	v_add_f64 v[18:19], v[18:19], v[22:23]
	v_fma_f64 v[5:6], v[7:8], v[14:15], v[5:6]
	;; [unrolled: 9-line block ×11, first 2 shown]
	v_add_f64 v[20:21], v[20:21], v[5:6]
	ds_read_b128 v[5:8], v12 offset:240
	ds_read_b128 v[14:17], v10 offset:3840
	s_waitcnt lgkmcnt(0)
	s_barrier
	v_mul_f64 v[22:23], v[7:8], v[16:17]
	v_fma_f64 v[22:23], v[5:6], v[14:15], -v[22:23]
	v_mul_f64 v[5:6], v[5:6], v[16:17]
	v_fma_f64 v[5:6], v[7:8], v[14:15], v[5:6]
	v_add_f64 v[7:8], v[18:19], v[22:23]
	v_add_f64 v[5:6], v[20:21], v[5:6]
	s_cbranch_scc1 .LBB429_2
; %bb.3:
	v_cmp_le_i32_e32 vcc, v9, v2
	s_and_saveexec_b64 s[6:7], vcc
	s_cbranch_execz .LBB429_5
.LBB429_4:
	s_load_dwordx2 s[6:7], s[4:5], 0x68
	s_load_dword s9, s[4:5], 0x60
	v_ashrrev_i32_e32 v3, 31, v2
	s_waitcnt lgkmcnt(0)
	s_mul_i32 s5, s7, s8
	s_mul_hi_u32 s7, s6, s8
	s_mul_i32 s4, s6, s8
	s_add_i32 s5, s7, s5
	v_mad_i64_i32 v[0:1], s[6:7], s9, v9, 0
	s_lshl_b64 s[4:5], s[4:5], 4
	s_add_u32 s4, s18, s4
	v_lshlrev_b64 v[0:1], 4, v[0:1]
	s_addc_u32 s5, s19, s5
	v_mov_b32_e32 v4, s5
	v_add_co_u32_e32 v10, vcc, s4, v0
	v_addc_co_u32_e32 v4, vcc, v4, v1, vcc
	v_lshlrev_b64 v[0:1], 4, v[2:3]
	v_add_co_u32_e32 v14, vcc, v10, v0
	v_addc_co_u32_e32 v15, vcc, v4, v1, vcc
	global_load_dwordx4 v[10:13], v[14:15], off
	v_mul_f64 v[0:1], s[0:1], v[5:6]
	v_mul_f64 v[5:6], s[2:3], v[5:6]
	v_cmp_ne_u32_e32 vcc, v2, v9
	v_fma_f64 v[0:1], s[2:3], v[7:8], v[0:1]
	v_fma_f64 v[5:6], s[0:1], v[7:8], -v[5:6]
	s_waitcnt vmcnt(0)
	v_mul_f64 v[3:4], s[14:15], v[12:13]
	v_mul_f64 v[12:13], s[16:17], v[12:13]
	v_fma_f64 v[3:4], s[16:17], v[10:11], v[3:4]
	v_fma_f64 v[7:8], s[14:15], v[10:11], -v[12:13]
	v_add_f64 v[10:11], v[0:1], v[3:4]
	v_add_f64 v[0:1], v[5:6], v[7:8]
	v_cndmask_b32_e32 v3, 0, v11, vcc
	v_cndmask_b32_e32 v2, 0, v10, vcc
	global_store_dwordx4 v[14:15], v[0:3], off
.LBB429_5:
	s_endpgm
.LBB429_6:
	v_mov_b32_e32 v5, 0
	v_mov_b32_e32 v7, 0
	;; [unrolled: 1-line block ×4, first 2 shown]
	v_cmp_le_i32_e32 vcc, v9, v2
	s_and_saveexec_b64 s[6:7], vcc
	s_cbranch_execnz .LBB429_4
	s_branch .LBB429_5
	.section	.rodata,"a",@progbits
	.p2align	6, 0x0
	.amdhsa_kernel _ZL41rocblas_syrkx_herkx_small_restrict_kernelIi19rocblas_complex_numIdELi16ELb0ELb1ELc84ELc76EKS1_S1_EviT_T0_PT6_S3_lS6_S3_lS4_PT7_S3_li
		.amdhsa_group_segment_fixed_size 8192
		.amdhsa_private_segment_fixed_size 0
		.amdhsa_kernarg_size 116
		.amdhsa_user_sgpr_count 6
		.amdhsa_user_sgpr_private_segment_buffer 1
		.amdhsa_user_sgpr_dispatch_ptr 0
		.amdhsa_user_sgpr_queue_ptr 0
		.amdhsa_user_sgpr_kernarg_segment_ptr 1
		.amdhsa_user_sgpr_dispatch_id 0
		.amdhsa_user_sgpr_flat_scratch_init 0
		.amdhsa_user_sgpr_private_segment_size 0
		.amdhsa_uses_dynamic_stack 0
		.amdhsa_system_sgpr_private_segment_wavefront_offset 0
		.amdhsa_system_sgpr_workgroup_id_x 1
		.amdhsa_system_sgpr_workgroup_id_y 1
		.amdhsa_system_sgpr_workgroup_id_z 1
		.amdhsa_system_sgpr_workgroup_info 0
		.amdhsa_system_vgpr_workitem_id 1
		.amdhsa_next_free_vgpr 36
		.amdhsa_next_free_sgpr 61
		.amdhsa_reserve_vcc 1
		.amdhsa_reserve_flat_scratch 0
		.amdhsa_float_round_mode_32 0
		.amdhsa_float_round_mode_16_64 0
		.amdhsa_float_denorm_mode_32 3
		.amdhsa_float_denorm_mode_16_64 3
		.amdhsa_dx10_clamp 1
		.amdhsa_ieee_mode 1
		.amdhsa_fp16_overflow 0
		.amdhsa_exception_fp_ieee_invalid_op 0
		.amdhsa_exception_fp_denorm_src 0
		.amdhsa_exception_fp_ieee_div_zero 0
		.amdhsa_exception_fp_ieee_overflow 0
		.amdhsa_exception_fp_ieee_underflow 0
		.amdhsa_exception_fp_ieee_inexact 0
		.amdhsa_exception_int_div_zero 0
	.end_amdhsa_kernel
	.section	.text._ZL41rocblas_syrkx_herkx_small_restrict_kernelIi19rocblas_complex_numIdELi16ELb0ELb1ELc84ELc76EKS1_S1_EviT_T0_PT6_S3_lS6_S3_lS4_PT7_S3_li,"axG",@progbits,_ZL41rocblas_syrkx_herkx_small_restrict_kernelIi19rocblas_complex_numIdELi16ELb0ELb1ELc84ELc76EKS1_S1_EviT_T0_PT6_S3_lS6_S3_lS4_PT7_S3_li,comdat
.Lfunc_end429:
	.size	_ZL41rocblas_syrkx_herkx_small_restrict_kernelIi19rocblas_complex_numIdELi16ELb0ELb1ELc84ELc76EKS1_S1_EviT_T0_PT6_S3_lS6_S3_lS4_PT7_S3_li, .Lfunc_end429-_ZL41rocblas_syrkx_herkx_small_restrict_kernelIi19rocblas_complex_numIdELi16ELb0ELb1ELc84ELc76EKS1_S1_EviT_T0_PT6_S3_lS6_S3_lS4_PT7_S3_li
                                        ; -- End function
	.set _ZL41rocblas_syrkx_herkx_small_restrict_kernelIi19rocblas_complex_numIdELi16ELb0ELb1ELc84ELc76EKS1_S1_EviT_T0_PT6_S3_lS6_S3_lS4_PT7_S3_li.num_vgpr, 36
	.set _ZL41rocblas_syrkx_herkx_small_restrict_kernelIi19rocblas_complex_numIdELi16ELb0ELb1ELc84ELc76EKS1_S1_EviT_T0_PT6_S3_lS6_S3_lS4_PT7_S3_li.num_agpr, 0
	.set _ZL41rocblas_syrkx_herkx_small_restrict_kernelIi19rocblas_complex_numIdELi16ELb0ELb1ELc84ELc76EKS1_S1_EviT_T0_PT6_S3_lS6_S3_lS4_PT7_S3_li.numbered_sgpr, 28
	.set _ZL41rocblas_syrkx_herkx_small_restrict_kernelIi19rocblas_complex_numIdELi16ELb0ELb1ELc84ELc76EKS1_S1_EviT_T0_PT6_S3_lS6_S3_lS4_PT7_S3_li.num_named_barrier, 0
	.set _ZL41rocblas_syrkx_herkx_small_restrict_kernelIi19rocblas_complex_numIdELi16ELb0ELb1ELc84ELc76EKS1_S1_EviT_T0_PT6_S3_lS6_S3_lS4_PT7_S3_li.private_seg_size, 0
	.set _ZL41rocblas_syrkx_herkx_small_restrict_kernelIi19rocblas_complex_numIdELi16ELb0ELb1ELc84ELc76EKS1_S1_EviT_T0_PT6_S3_lS6_S3_lS4_PT7_S3_li.uses_vcc, 1
	.set _ZL41rocblas_syrkx_herkx_small_restrict_kernelIi19rocblas_complex_numIdELi16ELb0ELb1ELc84ELc76EKS1_S1_EviT_T0_PT6_S3_lS6_S3_lS4_PT7_S3_li.uses_flat_scratch, 0
	.set _ZL41rocblas_syrkx_herkx_small_restrict_kernelIi19rocblas_complex_numIdELi16ELb0ELb1ELc84ELc76EKS1_S1_EviT_T0_PT6_S3_lS6_S3_lS4_PT7_S3_li.has_dyn_sized_stack, 0
	.set _ZL41rocblas_syrkx_herkx_small_restrict_kernelIi19rocblas_complex_numIdELi16ELb0ELb1ELc84ELc76EKS1_S1_EviT_T0_PT6_S3_lS6_S3_lS4_PT7_S3_li.has_recursion, 0
	.set _ZL41rocblas_syrkx_herkx_small_restrict_kernelIi19rocblas_complex_numIdELi16ELb0ELb1ELc84ELc76EKS1_S1_EviT_T0_PT6_S3_lS6_S3_lS4_PT7_S3_li.has_indirect_call, 0
	.section	.AMDGPU.csdata,"",@progbits
; Kernel info:
; codeLenInByte = 1704
; TotalNumSgprs: 32
; NumVgprs: 36
; ScratchSize: 0
; MemoryBound: 0
; FloatMode: 240
; IeeeMode: 1
; LDSByteSize: 8192 bytes/workgroup (compile time only)
; SGPRBlocks: 8
; VGPRBlocks: 8
; NumSGPRsForWavesPerEU: 65
; NumVGPRsForWavesPerEU: 36
; Occupancy: 7
; WaveLimiterHint : 0
; COMPUTE_PGM_RSRC2:SCRATCH_EN: 0
; COMPUTE_PGM_RSRC2:USER_SGPR: 6
; COMPUTE_PGM_RSRC2:TRAP_HANDLER: 0
; COMPUTE_PGM_RSRC2:TGID_X_EN: 1
; COMPUTE_PGM_RSRC2:TGID_Y_EN: 1
; COMPUTE_PGM_RSRC2:TGID_Z_EN: 1
; COMPUTE_PGM_RSRC2:TIDIG_COMP_CNT: 1
	.section	.text._ZL41rocblas_syrkx_herkx_small_restrict_kernelIi19rocblas_complex_numIdELi16ELb0ELb1ELc67ELc76EKS1_S1_EviT_T0_PT6_S3_lS6_S3_lS4_PT7_S3_li,"axG",@progbits,_ZL41rocblas_syrkx_herkx_small_restrict_kernelIi19rocblas_complex_numIdELi16ELb0ELb1ELc67ELc76EKS1_S1_EviT_T0_PT6_S3_lS6_S3_lS4_PT7_S3_li,comdat
	.globl	_ZL41rocblas_syrkx_herkx_small_restrict_kernelIi19rocblas_complex_numIdELi16ELb0ELb1ELc67ELc76EKS1_S1_EviT_T0_PT6_S3_lS6_S3_lS4_PT7_S3_li ; -- Begin function _ZL41rocblas_syrkx_herkx_small_restrict_kernelIi19rocblas_complex_numIdELi16ELb0ELb1ELc67ELc76EKS1_S1_EviT_T0_PT6_S3_lS6_S3_lS4_PT7_S3_li
	.p2align	8
	.type	_ZL41rocblas_syrkx_herkx_small_restrict_kernelIi19rocblas_complex_numIdELi16ELb0ELb1ELc67ELc76EKS1_S1_EviT_T0_PT6_S3_lS6_S3_lS4_PT7_S3_li,@function
_ZL41rocblas_syrkx_herkx_small_restrict_kernelIi19rocblas_complex_numIdELi16ELb0ELb1ELc67ELc76EKS1_S1_EviT_T0_PT6_S3_lS6_S3_lS4_PT7_S3_li: ; @_ZL41rocblas_syrkx_herkx_small_restrict_kernelIi19rocblas_complex_numIdELi16ELb0ELb1ELc67ELc76EKS1_S1_EviT_T0_PT6_S3_lS6_S3_lS4_PT7_S3_li
; %bb.0:
	s_load_dword s9, s[4:5], 0x4
	s_load_dwordx4 s[0:3], s[4:5], 0x8
	s_load_dwordx2 s[10:11], s[4:5], 0x18
	s_load_dwordx8 s[12:19], s[4:5], 0x40
	s_mov_b32 s20, 0
	v_lshl_add_u32 v2, s6, 4, v0
	s_waitcnt lgkmcnt(0)
	s_cmp_lt_i32 s9, 1
	v_lshl_add_u32 v9, s7, 4, v1
	s_cbranch_scc1 .LBB430_6
; %bb.1:
	s_load_dword s21, s[4:5], 0x20
	s_load_dword s6, s[4:5], 0x38
	s_load_dwordx4 s[24:27], s[4:5], 0x28
	v_lshlrev_b32_e32 v5, 8, v1
	v_lshlrev_b32_e32 v10, 4, v0
	v_add_u32_e32 v11, v10, v5
	s_waitcnt lgkmcnt(0)
	v_mad_i64_i32 v[3:4], s[6:7], s6, v9, 0
	s_mul_i32 s6, s13, s8
	s_mul_hi_u32 s7, s12, s8
	v_lshlrev_b64 v[3:4], 4, v[3:4]
	s_add_i32 s7, s7, s6
	s_mul_i32 s6, s12, s8
	s_lshl_b64 s[6:7], s[6:7], 4
	v_add_u32_e32 v12, 0x1000, v5
	v_mov_b32_e32 v0, s7
	v_add_co_u32_e32 v3, vcc, s6, v3
	v_mad_i64_i32 v[5:6], s[6:7], s21, v2, 0
	v_addc_co_u32_e32 v0, vcc, v4, v0, vcc
	v_add_co_u32_e32 v3, vcc, v3, v10
	v_addc_co_u32_e32 v0, vcc, 0, v0, vcc
	s_mul_i32 s6, s25, s8
	s_mul_hi_u32 s7, s24, s8
	v_mov_b32_e32 v4, s27
	v_add_co_u32_e32 v3, vcc, s26, v3
	v_lshlrev_b64 v[5:6], 4, v[5:6]
	s_add_i32 s7, s7, s6
	s_mul_i32 s6, s24, s8
	v_addc_co_u32_e32 v4, vcc, v4, v0, vcc
	s_lshl_b64 s[6:7], s[6:7], 4
	v_mov_b32_e32 v0, s7
	v_add_co_u32_e32 v5, vcc, s6, v5
	v_addc_co_u32_e32 v0, vcc, v6, v0, vcc
	v_lshlrev_b32_e32 v1, 4, v1
	v_add_co_u32_e32 v1, vcc, v5, v1
	v_addc_co_u32_e32 v0, vcc, 0, v0, vcc
	v_mov_b32_e32 v5, s11
	v_add_co_u32_e32 v1, vcc, s10, v1
	v_addc_co_u32_e32 v14, vcc, v5, v0, vcc
	v_mov_b32_e32 v5, 0
	v_mov_b32_e32 v7, 0
	v_add_co_u32_e32 v0, vcc, 8, v1
	v_add_u32_e32 v13, v12, v10
	v_mov_b32_e32 v6, 0
	v_mov_b32_e32 v8, 0
	v_addc_co_u32_e32 v1, vcc, 0, v14, vcc
.LBB430_2:                              ; =>This Inner Loop Header: Depth=1
	global_load_dwordx4 v[14:17], v[0:1], off offset:-8
	s_add_i32 s20, s20, 16
	s_cmp_lt_i32 s20, s9
	s_waitcnt vmcnt(0)
	v_xor_b32_e32 v17, 0x80000000, v17
	ds_write_b128 v11, v[14:17]
	global_load_dwordx4 v[14:17], v[3:4], off
	v_add_co_u32_e32 v3, vcc, 0x100, v3
	v_addc_co_u32_e32 v4, vcc, 0, v4, vcc
	v_add_co_u32_e32 v0, vcc, 0x100, v0
	v_addc_co_u32_e32 v1, vcc, 0, v1, vcc
	s_waitcnt vmcnt(0)
	ds_write2_b64 v13, v[14:15], v[16:17] offset1:1
	s_waitcnt lgkmcnt(0)
	s_barrier
	ds_read_b128 v[14:17], v12
	ds_read_b128 v[18:21], v12 offset:16
	ds_read_b128 v[22:25], v12 offset:32
	;; [unrolled: 1-line block ×3, first 2 shown]
	ds_read_b128 v[30:33], v10
	s_waitcnt lgkmcnt(0)
	v_mul_f64 v[34:35], v[16:17], v[32:33]
	v_fma_f64 v[34:35], v[14:15], v[30:31], -v[34:35]
	v_mul_f64 v[14:15], v[14:15], v[32:33]
	v_fma_f64 v[14:15], v[16:17], v[30:31], v[14:15]
	v_add_f64 v[16:17], v[7:8], v[34:35]
	v_add_f64 v[14:15], v[5:6], v[14:15]
	ds_read_b128 v[5:8], v10 offset:256
	s_waitcnt lgkmcnt(0)
	v_mul_f64 v[30:31], v[20:21], v[7:8]
	v_mul_f64 v[7:8], v[18:19], v[7:8]
	v_fma_f64 v[30:31], v[18:19], v[5:6], -v[30:31]
	v_fma_f64 v[5:6], v[20:21], v[5:6], v[7:8]
	v_add_f64 v[16:17], v[16:17], v[30:31]
	v_add_f64 v[14:15], v[14:15], v[5:6]
	ds_read_b128 v[5:8], v10 offset:512
	s_waitcnt lgkmcnt(0)
	v_mul_f64 v[18:19], v[24:25], v[7:8]
	v_mul_f64 v[7:8], v[22:23], v[7:8]
	v_fma_f64 v[18:19], v[22:23], v[5:6], -v[18:19]
	;; [unrolled: 8-line block ×3, first 2 shown]
	v_fma_f64 v[5:6], v[28:29], v[5:6], v[7:8]
	v_add_f64 v[18:19], v[16:17], v[18:19]
	v_add_f64 v[20:21], v[14:15], v[5:6]
	ds_read_b128 v[5:8], v12 offset:64
	ds_read_b128 v[14:17], v10 offset:1024
	s_waitcnt lgkmcnt(0)
	v_mul_f64 v[22:23], v[7:8], v[16:17]
	v_fma_f64 v[22:23], v[5:6], v[14:15], -v[22:23]
	v_mul_f64 v[5:6], v[5:6], v[16:17]
	v_add_f64 v[18:19], v[18:19], v[22:23]
	v_fma_f64 v[5:6], v[7:8], v[14:15], v[5:6]
	v_add_f64 v[20:21], v[20:21], v[5:6]
	ds_read_b128 v[5:8], v12 offset:80
	ds_read_b128 v[14:17], v10 offset:1280
	s_waitcnt lgkmcnt(0)
	v_mul_f64 v[22:23], v[7:8], v[16:17]
	v_fma_f64 v[22:23], v[5:6], v[14:15], -v[22:23]
	v_mul_f64 v[5:6], v[5:6], v[16:17]
	v_add_f64 v[18:19], v[18:19], v[22:23]
	v_fma_f64 v[5:6], v[7:8], v[14:15], v[5:6]
	;; [unrolled: 9-line block ×11, first 2 shown]
	v_add_f64 v[20:21], v[20:21], v[5:6]
	ds_read_b128 v[5:8], v12 offset:240
	ds_read_b128 v[14:17], v10 offset:3840
	s_waitcnt lgkmcnt(0)
	s_barrier
	v_mul_f64 v[22:23], v[7:8], v[16:17]
	v_fma_f64 v[22:23], v[5:6], v[14:15], -v[22:23]
	v_mul_f64 v[5:6], v[5:6], v[16:17]
	v_fma_f64 v[5:6], v[7:8], v[14:15], v[5:6]
	v_add_f64 v[7:8], v[18:19], v[22:23]
	v_add_f64 v[5:6], v[20:21], v[5:6]
	s_cbranch_scc1 .LBB430_2
; %bb.3:
	v_cmp_le_i32_e32 vcc, v9, v2
	s_and_saveexec_b64 s[6:7], vcc
	s_cbranch_execz .LBB430_5
.LBB430_4:
	s_load_dwordx2 s[6:7], s[4:5], 0x68
	s_load_dword s9, s[4:5], 0x60
	v_ashrrev_i32_e32 v3, 31, v2
	s_waitcnt lgkmcnt(0)
	s_mul_i32 s5, s7, s8
	s_mul_hi_u32 s7, s6, s8
	s_mul_i32 s4, s6, s8
	s_add_i32 s5, s7, s5
	v_mad_i64_i32 v[0:1], s[6:7], s9, v9, 0
	s_lshl_b64 s[4:5], s[4:5], 4
	s_add_u32 s4, s18, s4
	v_lshlrev_b64 v[0:1], 4, v[0:1]
	s_addc_u32 s5, s19, s5
	v_mov_b32_e32 v4, s5
	v_add_co_u32_e32 v10, vcc, s4, v0
	v_addc_co_u32_e32 v4, vcc, v4, v1, vcc
	v_lshlrev_b64 v[0:1], 4, v[2:3]
	v_add_co_u32_e32 v14, vcc, v10, v0
	v_addc_co_u32_e32 v15, vcc, v4, v1, vcc
	global_load_dwordx4 v[10:13], v[14:15], off
	v_mul_f64 v[0:1], s[0:1], v[5:6]
	v_mul_f64 v[5:6], s[2:3], v[5:6]
	v_cmp_ne_u32_e32 vcc, v2, v9
	v_fma_f64 v[0:1], s[2:3], v[7:8], v[0:1]
	v_fma_f64 v[5:6], s[0:1], v[7:8], -v[5:6]
	s_waitcnt vmcnt(0)
	v_mul_f64 v[3:4], s[14:15], v[12:13]
	v_mul_f64 v[12:13], s[16:17], v[12:13]
	v_fma_f64 v[3:4], s[16:17], v[10:11], v[3:4]
	v_fma_f64 v[7:8], s[14:15], v[10:11], -v[12:13]
	v_add_f64 v[10:11], v[0:1], v[3:4]
	v_add_f64 v[0:1], v[5:6], v[7:8]
	v_cndmask_b32_e32 v3, 0, v11, vcc
	v_cndmask_b32_e32 v2, 0, v10, vcc
	global_store_dwordx4 v[14:15], v[0:3], off
.LBB430_5:
	s_endpgm
.LBB430_6:
	v_mov_b32_e32 v5, 0
	v_mov_b32_e32 v7, 0
	;; [unrolled: 1-line block ×4, first 2 shown]
	v_cmp_le_i32_e32 vcc, v9, v2
	s_and_saveexec_b64 s[6:7], vcc
	s_cbranch_execnz .LBB430_4
	s_branch .LBB430_5
	.section	.rodata,"a",@progbits
	.p2align	6, 0x0
	.amdhsa_kernel _ZL41rocblas_syrkx_herkx_small_restrict_kernelIi19rocblas_complex_numIdELi16ELb0ELb1ELc67ELc76EKS1_S1_EviT_T0_PT6_S3_lS6_S3_lS4_PT7_S3_li
		.amdhsa_group_segment_fixed_size 8192
		.amdhsa_private_segment_fixed_size 0
		.amdhsa_kernarg_size 116
		.amdhsa_user_sgpr_count 6
		.amdhsa_user_sgpr_private_segment_buffer 1
		.amdhsa_user_sgpr_dispatch_ptr 0
		.amdhsa_user_sgpr_queue_ptr 0
		.amdhsa_user_sgpr_kernarg_segment_ptr 1
		.amdhsa_user_sgpr_dispatch_id 0
		.amdhsa_user_sgpr_flat_scratch_init 0
		.amdhsa_user_sgpr_private_segment_size 0
		.amdhsa_uses_dynamic_stack 0
		.amdhsa_system_sgpr_private_segment_wavefront_offset 0
		.amdhsa_system_sgpr_workgroup_id_x 1
		.amdhsa_system_sgpr_workgroup_id_y 1
		.amdhsa_system_sgpr_workgroup_id_z 1
		.amdhsa_system_sgpr_workgroup_info 0
		.amdhsa_system_vgpr_workitem_id 1
		.amdhsa_next_free_vgpr 36
		.amdhsa_next_free_sgpr 61
		.amdhsa_reserve_vcc 1
		.amdhsa_reserve_flat_scratch 0
		.amdhsa_float_round_mode_32 0
		.amdhsa_float_round_mode_16_64 0
		.amdhsa_float_denorm_mode_32 3
		.amdhsa_float_denorm_mode_16_64 3
		.amdhsa_dx10_clamp 1
		.amdhsa_ieee_mode 1
		.amdhsa_fp16_overflow 0
		.amdhsa_exception_fp_ieee_invalid_op 0
		.amdhsa_exception_fp_denorm_src 0
		.amdhsa_exception_fp_ieee_div_zero 0
		.amdhsa_exception_fp_ieee_overflow 0
		.amdhsa_exception_fp_ieee_underflow 0
		.amdhsa_exception_fp_ieee_inexact 0
		.amdhsa_exception_int_div_zero 0
	.end_amdhsa_kernel
	.section	.text._ZL41rocblas_syrkx_herkx_small_restrict_kernelIi19rocblas_complex_numIdELi16ELb0ELb1ELc67ELc76EKS1_S1_EviT_T0_PT6_S3_lS6_S3_lS4_PT7_S3_li,"axG",@progbits,_ZL41rocblas_syrkx_herkx_small_restrict_kernelIi19rocblas_complex_numIdELi16ELb0ELb1ELc67ELc76EKS1_S1_EviT_T0_PT6_S3_lS6_S3_lS4_PT7_S3_li,comdat
.Lfunc_end430:
	.size	_ZL41rocblas_syrkx_herkx_small_restrict_kernelIi19rocblas_complex_numIdELi16ELb0ELb1ELc67ELc76EKS1_S1_EviT_T0_PT6_S3_lS6_S3_lS4_PT7_S3_li, .Lfunc_end430-_ZL41rocblas_syrkx_herkx_small_restrict_kernelIi19rocblas_complex_numIdELi16ELb0ELb1ELc67ELc76EKS1_S1_EviT_T0_PT6_S3_lS6_S3_lS4_PT7_S3_li
                                        ; -- End function
	.set _ZL41rocblas_syrkx_herkx_small_restrict_kernelIi19rocblas_complex_numIdELi16ELb0ELb1ELc67ELc76EKS1_S1_EviT_T0_PT6_S3_lS6_S3_lS4_PT7_S3_li.num_vgpr, 36
	.set _ZL41rocblas_syrkx_herkx_small_restrict_kernelIi19rocblas_complex_numIdELi16ELb0ELb1ELc67ELc76EKS1_S1_EviT_T0_PT6_S3_lS6_S3_lS4_PT7_S3_li.num_agpr, 0
	.set _ZL41rocblas_syrkx_herkx_small_restrict_kernelIi19rocblas_complex_numIdELi16ELb0ELb1ELc67ELc76EKS1_S1_EviT_T0_PT6_S3_lS6_S3_lS4_PT7_S3_li.numbered_sgpr, 28
	.set _ZL41rocblas_syrkx_herkx_small_restrict_kernelIi19rocblas_complex_numIdELi16ELb0ELb1ELc67ELc76EKS1_S1_EviT_T0_PT6_S3_lS6_S3_lS4_PT7_S3_li.num_named_barrier, 0
	.set _ZL41rocblas_syrkx_herkx_small_restrict_kernelIi19rocblas_complex_numIdELi16ELb0ELb1ELc67ELc76EKS1_S1_EviT_T0_PT6_S3_lS6_S3_lS4_PT7_S3_li.private_seg_size, 0
	.set _ZL41rocblas_syrkx_herkx_small_restrict_kernelIi19rocblas_complex_numIdELi16ELb0ELb1ELc67ELc76EKS1_S1_EviT_T0_PT6_S3_lS6_S3_lS4_PT7_S3_li.uses_vcc, 1
	.set _ZL41rocblas_syrkx_herkx_small_restrict_kernelIi19rocblas_complex_numIdELi16ELb0ELb1ELc67ELc76EKS1_S1_EviT_T0_PT6_S3_lS6_S3_lS4_PT7_S3_li.uses_flat_scratch, 0
	.set _ZL41rocblas_syrkx_herkx_small_restrict_kernelIi19rocblas_complex_numIdELi16ELb0ELb1ELc67ELc76EKS1_S1_EviT_T0_PT6_S3_lS6_S3_lS4_PT7_S3_li.has_dyn_sized_stack, 0
	.set _ZL41rocblas_syrkx_herkx_small_restrict_kernelIi19rocblas_complex_numIdELi16ELb0ELb1ELc67ELc76EKS1_S1_EviT_T0_PT6_S3_lS6_S3_lS4_PT7_S3_li.has_recursion, 0
	.set _ZL41rocblas_syrkx_herkx_small_restrict_kernelIi19rocblas_complex_numIdELi16ELb0ELb1ELc67ELc76EKS1_S1_EviT_T0_PT6_S3_lS6_S3_lS4_PT7_S3_li.has_indirect_call, 0
	.section	.AMDGPU.csdata,"",@progbits
; Kernel info:
; codeLenInByte = 1720
; TotalNumSgprs: 32
; NumVgprs: 36
; ScratchSize: 0
; MemoryBound: 0
; FloatMode: 240
; IeeeMode: 1
; LDSByteSize: 8192 bytes/workgroup (compile time only)
; SGPRBlocks: 8
; VGPRBlocks: 8
; NumSGPRsForWavesPerEU: 65
; NumVGPRsForWavesPerEU: 36
; Occupancy: 7
; WaveLimiterHint : 0
; COMPUTE_PGM_RSRC2:SCRATCH_EN: 0
; COMPUTE_PGM_RSRC2:USER_SGPR: 6
; COMPUTE_PGM_RSRC2:TRAP_HANDLER: 0
; COMPUTE_PGM_RSRC2:TGID_X_EN: 1
; COMPUTE_PGM_RSRC2:TGID_Y_EN: 1
; COMPUTE_PGM_RSRC2:TGID_Z_EN: 1
; COMPUTE_PGM_RSRC2:TIDIG_COMP_CNT: 1
	.section	.text._ZL41rocblas_syrkx_herkx_small_restrict_kernelIi19rocblas_complex_numIdELi16ELb0ELb1ELc78ELc76EKS1_S1_EviT_T0_PT6_S3_lS6_S3_lS4_PT7_S3_li,"axG",@progbits,_ZL41rocblas_syrkx_herkx_small_restrict_kernelIi19rocblas_complex_numIdELi16ELb0ELb1ELc78ELc76EKS1_S1_EviT_T0_PT6_S3_lS6_S3_lS4_PT7_S3_li,comdat
	.globl	_ZL41rocblas_syrkx_herkx_small_restrict_kernelIi19rocblas_complex_numIdELi16ELb0ELb1ELc78ELc76EKS1_S1_EviT_T0_PT6_S3_lS6_S3_lS4_PT7_S3_li ; -- Begin function _ZL41rocblas_syrkx_herkx_small_restrict_kernelIi19rocblas_complex_numIdELi16ELb0ELb1ELc78ELc76EKS1_S1_EviT_T0_PT6_S3_lS6_S3_lS4_PT7_S3_li
	.p2align	8
	.type	_ZL41rocblas_syrkx_herkx_small_restrict_kernelIi19rocblas_complex_numIdELi16ELb0ELb1ELc78ELc76EKS1_S1_EviT_T0_PT6_S3_lS6_S3_lS4_PT7_S3_li,@function
_ZL41rocblas_syrkx_herkx_small_restrict_kernelIi19rocblas_complex_numIdELi16ELb0ELb1ELc78ELc76EKS1_S1_EviT_T0_PT6_S3_lS6_S3_lS4_PT7_S3_li: ; @_ZL41rocblas_syrkx_herkx_small_restrict_kernelIi19rocblas_complex_numIdELi16ELb0ELb1ELc78ELc76EKS1_S1_EviT_T0_PT6_S3_lS6_S3_lS4_PT7_S3_li
; %bb.0:
	s_load_dword s9, s[4:5], 0x4
	s_load_dwordx4 s[0:3], s[4:5], 0x8
	s_load_dwordx2 s[10:11], s[4:5], 0x18
	s_load_dwordx8 s[12:19], s[4:5], 0x40
	v_lshl_add_u32 v2, s6, 4, v0
	s_mov_b32 s24, 0
	v_lshl_add_u32 v4, s7, 4, v1
	s_waitcnt lgkmcnt(0)
	s_cmp_lt_i32 s9, 1
	v_ashrrev_i32_e32 v3, 31, v2
	s_cbranch_scc1 .LBB431_6
; %bb.1:
	s_load_dword s26, s[4:5], 0x20
	s_load_dword s6, s[4:5], 0x38
	s_load_dwordx4 s[20:23], s[4:5], 0x28
	v_lshlrev_b32_e32 v6, 8, v1
	v_lshlrev_b32_e32 v11, 4, v0
	v_add_u32_e32 v12, v11, v6
	v_add_u32_e32 v13, 0x1000, v6
	s_waitcnt lgkmcnt(0)
	v_mad_i64_i32 v[6:7], s[28:29], s6, v0, 0
	s_mul_i32 s13, s13, s8
	s_mul_hi_u32 s25, s12, s8
	s_add_i32 s13, s25, s13
	s_mul_i32 s12, s12, s8
	v_lshlrev_b64 v[6:7], 4, v[6:7]
	v_ashrrev_i32_e32 v5, 31, v4
	s_lshl_b64 s[12:13], s[12:13], 4
	v_mov_b32_e32 v0, s13
	v_add_co_u32_e32 v8, vcc, s12, v6
	v_lshlrev_b64 v[5:6], 4, v[4:5]
	v_addc_co_u32_e32 v0, vcc, v0, v7, vcc
	v_add_co_u32_e32 v5, vcc, v8, v5
	v_addc_co_u32_e32 v0, vcc, v0, v6, vcc
	v_mov_b32_e32 v6, s23
	v_add_co_u32_e32 v5, vcc, s22, v5
	v_addc_co_u32_e32 v0, vcc, v6, v0, vcc
	v_add_co_u32_e32 v5, vcc, 8, v5
	v_addc_co_u32_e32 v6, vcc, 0, v0, vcc
	v_mad_i64_i32 v[0:1], s[12:13], s26, v1, 0
	s_mul_i32 s21, s21, s8
	s_mul_hi_u32 s22, s20, s8
	s_add_i32 s13, s22, s21
	s_mul_i32 s12, s20, s8
	v_lshlrev_b64 v[0:1], 4, v[0:1]
	s_lshl_b64 s[12:13], s[12:13], 4
	v_mov_b32_e32 v7, s13
	v_add_co_u32_e32 v8, vcc, s12, v0
	v_addc_co_u32_e32 v7, vcc, v7, v1, vcc
	v_lshlrev_b64 v[0:1], 4, v[2:3]
	s_ashr_i32 s27, s26, 31
	v_add_co_u32_e32 v0, vcc, v8, v0
	v_addc_co_u32_e32 v1, vcc, v7, v1, vcc
	s_ashr_i32 s7, s6, 31
	v_mov_b32_e32 v7, s11
	v_add_co_u32_e32 v0, vcc, s10, v0
	s_lshl_b64 s[6:7], s[6:7], 8
	v_addc_co_u32_e32 v1, vcc, v7, v1, vcc
	s_lshl_b64 s[10:11], s[26:27], 8
	v_mov_b32_e32 v7, 0
	v_mov_b32_e32 v9, 0
	;; [unrolled: 1-line block ×6, first 2 shown]
.LBB431_2:                              ; =>This Inner Loop Header: Depth=1
	global_load_dwordx4 v[16:19], v[0:1], off
	v_add_u32_e32 v20, v13, v11
	s_add_i32 s24, s24, 16
	s_cmp_lt_i32 s24, s9
	s_waitcnt vmcnt(0)
	ds_write2_b64 v12, v[16:17], v[18:19] offset1:1
	global_load_dwordx4 v[16:19], v[5:6], off offset:-8
	v_add_co_u32_e32 v5, vcc, s6, v5
	v_addc_co_u32_e32 v6, vcc, v6, v14, vcc
	v_add_co_u32_e32 v0, vcc, s10, v0
	v_addc_co_u32_e32 v1, vcc, v1, v15, vcc
	s_waitcnt vmcnt(0)
	v_xor_b32_e32 v19, 0x80000000, v19
	ds_write_b128 v20, v[16:19]
	s_waitcnt lgkmcnt(0)
	s_barrier
	ds_read_b128 v[16:19], v13
	ds_read_b128 v[20:23], v13 offset:16
	ds_read_b128 v[24:27], v13 offset:32
	;; [unrolled: 1-line block ×3, first 2 shown]
	ds_read_b128 v[32:35], v11
	s_waitcnt lgkmcnt(0)
	v_mul_f64 v[36:37], v[18:19], v[34:35]
	v_fma_f64 v[36:37], v[16:17], v[32:33], -v[36:37]
	v_mul_f64 v[16:17], v[16:17], v[34:35]
	v_fma_f64 v[16:17], v[18:19], v[32:33], v[16:17]
	v_add_f64 v[18:19], v[9:10], v[36:37]
	v_add_f64 v[16:17], v[7:8], v[16:17]
	ds_read_b128 v[7:10], v11 offset:256
	s_waitcnt lgkmcnt(0)
	v_mul_f64 v[32:33], v[22:23], v[9:10]
	v_mul_f64 v[9:10], v[20:21], v[9:10]
	v_fma_f64 v[32:33], v[20:21], v[7:8], -v[32:33]
	v_fma_f64 v[7:8], v[22:23], v[7:8], v[9:10]
	v_add_f64 v[18:19], v[18:19], v[32:33]
	v_add_f64 v[16:17], v[16:17], v[7:8]
	ds_read_b128 v[7:10], v11 offset:512
	s_waitcnt lgkmcnt(0)
	v_mul_f64 v[20:21], v[26:27], v[9:10]
	v_mul_f64 v[9:10], v[24:25], v[9:10]
	v_fma_f64 v[20:21], v[24:25], v[7:8], -v[20:21]
	;; [unrolled: 8-line block ×3, first 2 shown]
	v_fma_f64 v[7:8], v[30:31], v[7:8], v[9:10]
	v_add_f64 v[20:21], v[18:19], v[20:21]
	v_add_f64 v[22:23], v[16:17], v[7:8]
	ds_read_b128 v[7:10], v13 offset:64
	ds_read_b128 v[16:19], v11 offset:1024
	s_waitcnt lgkmcnt(0)
	v_mul_f64 v[24:25], v[9:10], v[18:19]
	v_fma_f64 v[24:25], v[7:8], v[16:17], -v[24:25]
	v_mul_f64 v[7:8], v[7:8], v[18:19]
	v_add_f64 v[20:21], v[20:21], v[24:25]
	v_fma_f64 v[7:8], v[9:10], v[16:17], v[7:8]
	v_add_f64 v[22:23], v[22:23], v[7:8]
	ds_read_b128 v[7:10], v13 offset:80
	ds_read_b128 v[16:19], v11 offset:1280
	s_waitcnt lgkmcnt(0)
	v_mul_f64 v[24:25], v[9:10], v[18:19]
	v_fma_f64 v[24:25], v[7:8], v[16:17], -v[24:25]
	v_mul_f64 v[7:8], v[7:8], v[18:19]
	v_add_f64 v[20:21], v[20:21], v[24:25]
	v_fma_f64 v[7:8], v[9:10], v[16:17], v[7:8]
	;; [unrolled: 9-line block ×11, first 2 shown]
	v_add_f64 v[22:23], v[22:23], v[7:8]
	ds_read_b128 v[7:10], v13 offset:240
	ds_read_b128 v[16:19], v11 offset:3840
	s_waitcnt lgkmcnt(0)
	s_barrier
	v_mul_f64 v[24:25], v[9:10], v[18:19]
	v_fma_f64 v[24:25], v[7:8], v[16:17], -v[24:25]
	v_mul_f64 v[7:8], v[7:8], v[18:19]
	v_fma_f64 v[7:8], v[9:10], v[16:17], v[7:8]
	v_add_f64 v[9:10], v[20:21], v[24:25]
	v_add_f64 v[7:8], v[22:23], v[7:8]
	s_cbranch_scc1 .LBB431_2
; %bb.3:
	v_cmp_le_i32_e32 vcc, v4, v2
	s_and_saveexec_b64 s[6:7], vcc
	s_cbranch_execz .LBB431_5
.LBB431_4:
	s_load_dwordx2 s[6:7], s[4:5], 0x68
	s_load_dword s9, s[4:5], 0x60
	s_waitcnt lgkmcnt(0)
	s_mul_i32 s5, s7, s8
	s_mul_hi_u32 s7, s6, s8
	s_mul_i32 s4, s6, s8
	s_add_i32 s5, s7, s5
	v_mad_i64_i32 v[0:1], s[6:7], s9, v4, 0
	s_lshl_b64 s[4:5], s[4:5], 4
	s_add_u32 s4, s18, s4
	v_lshlrev_b64 v[0:1], 4, v[0:1]
	s_addc_u32 s5, s19, s5
	v_mov_b32_e32 v5, s5
	v_add_co_u32_e32 v6, vcc, s4, v0
	v_addc_co_u32_e32 v11, vcc, v5, v1, vcc
	v_lshlrev_b64 v[0:1], 4, v[2:3]
	v_add_co_u32_e32 v5, vcc, v6, v0
	v_addc_co_u32_e32 v6, vcc, v11, v1, vcc
	global_load_dwordx4 v[11:14], v[5:6], off
	v_mul_f64 v[0:1], s[0:1], v[7:8]
	v_mul_f64 v[7:8], s[2:3], v[7:8]
	v_cmp_ne_u32_e32 vcc, v2, v4
	v_fma_f64 v[0:1], s[2:3], v[9:10], v[0:1]
	v_fma_f64 v[7:8], s[0:1], v[9:10], -v[7:8]
	s_waitcnt vmcnt(0)
	v_mul_f64 v[15:16], s[14:15], v[13:14]
	v_mul_f64 v[13:14], s[16:17], v[13:14]
	v_fma_f64 v[15:16], s[16:17], v[11:12], v[15:16]
	v_fma_f64 v[9:10], s[14:15], v[11:12], -v[13:14]
	v_add_f64 v[11:12], v[0:1], v[15:16]
	v_add_f64 v[0:1], v[7:8], v[9:10]
	v_cndmask_b32_e32 v3, 0, v12, vcc
	v_cndmask_b32_e32 v2, 0, v11, vcc
	global_store_dwordx4 v[5:6], v[0:3], off
.LBB431_5:
	s_endpgm
.LBB431_6:
	v_mov_b32_e32 v7, 0
	v_mov_b32_e32 v9, 0
	;; [unrolled: 1-line block ×4, first 2 shown]
	v_cmp_le_i32_e32 vcc, v4, v2
	s_and_saveexec_b64 s[6:7], vcc
	s_cbranch_execnz .LBB431_4
	s_branch .LBB431_5
	.section	.rodata,"a",@progbits
	.p2align	6, 0x0
	.amdhsa_kernel _ZL41rocblas_syrkx_herkx_small_restrict_kernelIi19rocblas_complex_numIdELi16ELb0ELb1ELc78ELc76EKS1_S1_EviT_T0_PT6_S3_lS6_S3_lS4_PT7_S3_li
		.amdhsa_group_segment_fixed_size 8192
		.amdhsa_private_segment_fixed_size 0
		.amdhsa_kernarg_size 116
		.amdhsa_user_sgpr_count 6
		.amdhsa_user_sgpr_private_segment_buffer 1
		.amdhsa_user_sgpr_dispatch_ptr 0
		.amdhsa_user_sgpr_queue_ptr 0
		.amdhsa_user_sgpr_kernarg_segment_ptr 1
		.amdhsa_user_sgpr_dispatch_id 0
		.amdhsa_user_sgpr_flat_scratch_init 0
		.amdhsa_user_sgpr_private_segment_size 0
		.amdhsa_uses_dynamic_stack 0
		.amdhsa_system_sgpr_private_segment_wavefront_offset 0
		.amdhsa_system_sgpr_workgroup_id_x 1
		.amdhsa_system_sgpr_workgroup_id_y 1
		.amdhsa_system_sgpr_workgroup_id_z 1
		.amdhsa_system_sgpr_workgroup_info 0
		.amdhsa_system_vgpr_workitem_id 1
		.amdhsa_next_free_vgpr 38
		.amdhsa_next_free_sgpr 61
		.amdhsa_reserve_vcc 1
		.amdhsa_reserve_flat_scratch 0
		.amdhsa_float_round_mode_32 0
		.amdhsa_float_round_mode_16_64 0
		.amdhsa_float_denorm_mode_32 3
		.amdhsa_float_denorm_mode_16_64 3
		.amdhsa_dx10_clamp 1
		.amdhsa_ieee_mode 1
		.amdhsa_fp16_overflow 0
		.amdhsa_exception_fp_ieee_invalid_op 0
		.amdhsa_exception_fp_denorm_src 0
		.amdhsa_exception_fp_ieee_div_zero 0
		.amdhsa_exception_fp_ieee_overflow 0
		.amdhsa_exception_fp_ieee_underflow 0
		.amdhsa_exception_fp_ieee_inexact 0
		.amdhsa_exception_int_div_zero 0
	.end_amdhsa_kernel
	.section	.text._ZL41rocblas_syrkx_herkx_small_restrict_kernelIi19rocblas_complex_numIdELi16ELb0ELb1ELc78ELc76EKS1_S1_EviT_T0_PT6_S3_lS6_S3_lS4_PT7_S3_li,"axG",@progbits,_ZL41rocblas_syrkx_herkx_small_restrict_kernelIi19rocblas_complex_numIdELi16ELb0ELb1ELc78ELc76EKS1_S1_EviT_T0_PT6_S3_lS6_S3_lS4_PT7_S3_li,comdat
.Lfunc_end431:
	.size	_ZL41rocblas_syrkx_herkx_small_restrict_kernelIi19rocblas_complex_numIdELi16ELb0ELb1ELc78ELc76EKS1_S1_EviT_T0_PT6_S3_lS6_S3_lS4_PT7_S3_li, .Lfunc_end431-_ZL41rocblas_syrkx_herkx_small_restrict_kernelIi19rocblas_complex_numIdELi16ELb0ELb1ELc78ELc76EKS1_S1_EviT_T0_PT6_S3_lS6_S3_lS4_PT7_S3_li
                                        ; -- End function
	.set _ZL41rocblas_syrkx_herkx_small_restrict_kernelIi19rocblas_complex_numIdELi16ELb0ELb1ELc78ELc76EKS1_S1_EviT_T0_PT6_S3_lS6_S3_lS4_PT7_S3_li.num_vgpr, 38
	.set _ZL41rocblas_syrkx_herkx_small_restrict_kernelIi19rocblas_complex_numIdELi16ELb0ELb1ELc78ELc76EKS1_S1_EviT_T0_PT6_S3_lS6_S3_lS4_PT7_S3_li.num_agpr, 0
	.set _ZL41rocblas_syrkx_herkx_small_restrict_kernelIi19rocblas_complex_numIdELi16ELb0ELb1ELc78ELc76EKS1_S1_EviT_T0_PT6_S3_lS6_S3_lS4_PT7_S3_li.numbered_sgpr, 30
	.set _ZL41rocblas_syrkx_herkx_small_restrict_kernelIi19rocblas_complex_numIdELi16ELb0ELb1ELc78ELc76EKS1_S1_EviT_T0_PT6_S3_lS6_S3_lS4_PT7_S3_li.num_named_barrier, 0
	.set _ZL41rocblas_syrkx_herkx_small_restrict_kernelIi19rocblas_complex_numIdELi16ELb0ELb1ELc78ELc76EKS1_S1_EviT_T0_PT6_S3_lS6_S3_lS4_PT7_S3_li.private_seg_size, 0
	.set _ZL41rocblas_syrkx_herkx_small_restrict_kernelIi19rocblas_complex_numIdELi16ELb0ELb1ELc78ELc76EKS1_S1_EviT_T0_PT6_S3_lS6_S3_lS4_PT7_S3_li.uses_vcc, 1
	.set _ZL41rocblas_syrkx_herkx_small_restrict_kernelIi19rocblas_complex_numIdELi16ELb0ELb1ELc78ELc76EKS1_S1_EviT_T0_PT6_S3_lS6_S3_lS4_PT7_S3_li.uses_flat_scratch, 0
	.set _ZL41rocblas_syrkx_herkx_small_restrict_kernelIi19rocblas_complex_numIdELi16ELb0ELb1ELc78ELc76EKS1_S1_EviT_T0_PT6_S3_lS6_S3_lS4_PT7_S3_li.has_dyn_sized_stack, 0
	.set _ZL41rocblas_syrkx_herkx_small_restrict_kernelIi19rocblas_complex_numIdELi16ELb0ELb1ELc78ELc76EKS1_S1_EviT_T0_PT6_S3_lS6_S3_lS4_PT7_S3_li.has_recursion, 0
	.set _ZL41rocblas_syrkx_herkx_small_restrict_kernelIi19rocblas_complex_numIdELi16ELb0ELb1ELc78ELc76EKS1_S1_EviT_T0_PT6_S3_lS6_S3_lS4_PT7_S3_li.has_indirect_call, 0
	.section	.AMDGPU.csdata,"",@progbits
; Kernel info:
; codeLenInByte = 1752
; TotalNumSgprs: 34
; NumVgprs: 38
; ScratchSize: 0
; MemoryBound: 0
; FloatMode: 240
; IeeeMode: 1
; LDSByteSize: 8192 bytes/workgroup (compile time only)
; SGPRBlocks: 8
; VGPRBlocks: 9
; NumSGPRsForWavesPerEU: 65
; NumVGPRsForWavesPerEU: 38
; Occupancy: 6
; WaveLimiterHint : 0
; COMPUTE_PGM_RSRC2:SCRATCH_EN: 0
; COMPUTE_PGM_RSRC2:USER_SGPR: 6
; COMPUTE_PGM_RSRC2:TRAP_HANDLER: 0
; COMPUTE_PGM_RSRC2:TGID_X_EN: 1
; COMPUTE_PGM_RSRC2:TGID_Y_EN: 1
; COMPUTE_PGM_RSRC2:TGID_Z_EN: 1
; COMPUTE_PGM_RSRC2:TIDIG_COMP_CNT: 1
	.section	.text._ZL41rocblas_syrkx_herkx_small_restrict_kernelIi19rocblas_complex_numIdELi16ELb0ELb1ELc84ELc85EKS1_S1_EviT_T0_PT6_S3_lS6_S3_lS4_PT7_S3_li,"axG",@progbits,_ZL41rocblas_syrkx_herkx_small_restrict_kernelIi19rocblas_complex_numIdELi16ELb0ELb1ELc84ELc85EKS1_S1_EviT_T0_PT6_S3_lS6_S3_lS4_PT7_S3_li,comdat
	.globl	_ZL41rocblas_syrkx_herkx_small_restrict_kernelIi19rocblas_complex_numIdELi16ELb0ELb1ELc84ELc85EKS1_S1_EviT_T0_PT6_S3_lS6_S3_lS4_PT7_S3_li ; -- Begin function _ZL41rocblas_syrkx_herkx_small_restrict_kernelIi19rocblas_complex_numIdELi16ELb0ELb1ELc84ELc85EKS1_S1_EviT_T0_PT6_S3_lS6_S3_lS4_PT7_S3_li
	.p2align	8
	.type	_ZL41rocblas_syrkx_herkx_small_restrict_kernelIi19rocblas_complex_numIdELi16ELb0ELb1ELc84ELc85EKS1_S1_EviT_T0_PT6_S3_lS6_S3_lS4_PT7_S3_li,@function
_ZL41rocblas_syrkx_herkx_small_restrict_kernelIi19rocblas_complex_numIdELi16ELb0ELb1ELc84ELc85EKS1_S1_EviT_T0_PT6_S3_lS6_S3_lS4_PT7_S3_li: ; @_ZL41rocblas_syrkx_herkx_small_restrict_kernelIi19rocblas_complex_numIdELi16ELb0ELb1ELc84ELc85EKS1_S1_EviT_T0_PT6_S3_lS6_S3_lS4_PT7_S3_li
; %bb.0:
	s_load_dword s9, s[4:5], 0x4
	s_load_dwordx4 s[0:3], s[4:5], 0x8
	s_load_dwordx2 s[10:11], s[4:5], 0x18
	s_load_dwordx8 s[12:19], s[4:5], 0x40
	s_mov_b32 s20, 0
	v_lshl_add_u32 v2, s6, 4, v0
	s_waitcnt lgkmcnt(0)
	s_cmp_lt_i32 s9, 1
	v_lshl_add_u32 v9, s7, 4, v1
	s_cbranch_scc1 .LBB432_6
; %bb.1:
	s_load_dword s21, s[4:5], 0x20
	s_load_dword s6, s[4:5], 0x38
	s_load_dwordx4 s[24:27], s[4:5], 0x28
	v_lshlrev_b32_e32 v5, 8, v1
	v_lshlrev_b32_e32 v10, 4, v0
	v_add_u32_e32 v11, v10, v5
	s_waitcnt lgkmcnt(0)
	v_mad_i64_i32 v[3:4], s[6:7], s6, v9, 0
	s_mul_i32 s6, s13, s8
	s_mul_hi_u32 s7, s12, s8
	v_lshlrev_b64 v[3:4], 4, v[3:4]
	s_add_i32 s7, s7, s6
	s_mul_i32 s6, s12, s8
	s_lshl_b64 s[6:7], s[6:7], 4
	v_add_u32_e32 v12, 0x1000, v5
	v_mov_b32_e32 v0, s7
	v_add_co_u32_e32 v3, vcc, s6, v3
	v_mad_i64_i32 v[5:6], s[6:7], s21, v2, 0
	v_addc_co_u32_e32 v0, vcc, v4, v0, vcc
	v_add_co_u32_e32 v3, vcc, v3, v10
	v_addc_co_u32_e32 v0, vcc, 0, v0, vcc
	s_mul_i32 s6, s25, s8
	s_mul_hi_u32 s7, s24, s8
	v_mov_b32_e32 v4, s27
	v_add_co_u32_e32 v3, vcc, s26, v3
	v_lshlrev_b64 v[5:6], 4, v[5:6]
	s_add_i32 s7, s7, s6
	s_mul_i32 s6, s24, s8
	v_addc_co_u32_e32 v4, vcc, v4, v0, vcc
	s_lshl_b64 s[6:7], s[6:7], 4
	v_mov_b32_e32 v0, s7
	v_add_co_u32_e32 v5, vcc, s6, v5
	v_addc_co_u32_e32 v0, vcc, v6, v0, vcc
	v_lshlrev_b32_e32 v1, 4, v1
	v_add_co_u32_e32 v1, vcc, v5, v1
	v_addc_co_u32_e32 v14, vcc, 0, v0, vcc
	v_mov_b32_e32 v15, s11
	v_mov_b32_e32 v5, 0
	;; [unrolled: 1-line block ×3, first 2 shown]
	v_add_co_u32_e32 v0, vcc, s10, v1
	v_add_u32_e32 v13, v12, v10
	v_mov_b32_e32 v6, 0
	v_mov_b32_e32 v8, 0
	v_addc_co_u32_e32 v1, vcc, v15, v14, vcc
.LBB432_2:                              ; =>This Inner Loop Header: Depth=1
	global_load_dwordx4 v[14:17], v[0:1], off
	s_add_i32 s20, s20, 16
	s_cmp_lt_i32 s20, s9
	s_waitcnt vmcnt(0)
	ds_write2_b64 v11, v[14:15], v[16:17] offset1:1
	global_load_dwordx4 v[14:17], v[3:4], off
	v_add_co_u32_e32 v3, vcc, 0x100, v3
	v_addc_co_u32_e32 v4, vcc, 0, v4, vcc
	v_add_co_u32_e32 v0, vcc, 0x100, v0
	v_addc_co_u32_e32 v1, vcc, 0, v1, vcc
	s_waitcnt vmcnt(0)
	ds_write2_b64 v13, v[14:15], v[16:17] offset1:1
	s_waitcnt lgkmcnt(0)
	s_barrier
	ds_read_b128 v[14:17], v12
	ds_read_b128 v[18:21], v12 offset:16
	ds_read_b128 v[22:25], v12 offset:32
	;; [unrolled: 1-line block ×3, first 2 shown]
	ds_read_b128 v[30:33], v10
	s_waitcnt lgkmcnt(0)
	v_mul_f64 v[34:35], v[16:17], v[32:33]
	v_fma_f64 v[34:35], v[14:15], v[30:31], -v[34:35]
	v_mul_f64 v[14:15], v[14:15], v[32:33]
	v_fma_f64 v[14:15], v[16:17], v[30:31], v[14:15]
	v_add_f64 v[16:17], v[7:8], v[34:35]
	v_add_f64 v[14:15], v[5:6], v[14:15]
	ds_read_b128 v[5:8], v10 offset:256
	s_waitcnt lgkmcnt(0)
	v_mul_f64 v[30:31], v[20:21], v[7:8]
	v_mul_f64 v[7:8], v[18:19], v[7:8]
	v_fma_f64 v[30:31], v[18:19], v[5:6], -v[30:31]
	v_fma_f64 v[5:6], v[20:21], v[5:6], v[7:8]
	v_add_f64 v[16:17], v[16:17], v[30:31]
	v_add_f64 v[14:15], v[14:15], v[5:6]
	ds_read_b128 v[5:8], v10 offset:512
	s_waitcnt lgkmcnt(0)
	v_mul_f64 v[18:19], v[24:25], v[7:8]
	v_mul_f64 v[7:8], v[22:23], v[7:8]
	v_fma_f64 v[18:19], v[22:23], v[5:6], -v[18:19]
	;; [unrolled: 8-line block ×3, first 2 shown]
	v_fma_f64 v[5:6], v[28:29], v[5:6], v[7:8]
	v_add_f64 v[18:19], v[16:17], v[18:19]
	v_add_f64 v[20:21], v[14:15], v[5:6]
	ds_read_b128 v[5:8], v12 offset:64
	ds_read_b128 v[14:17], v10 offset:1024
	s_waitcnt lgkmcnt(0)
	v_mul_f64 v[22:23], v[7:8], v[16:17]
	v_fma_f64 v[22:23], v[5:6], v[14:15], -v[22:23]
	v_mul_f64 v[5:6], v[5:6], v[16:17]
	v_add_f64 v[18:19], v[18:19], v[22:23]
	v_fma_f64 v[5:6], v[7:8], v[14:15], v[5:6]
	v_add_f64 v[20:21], v[20:21], v[5:6]
	ds_read_b128 v[5:8], v12 offset:80
	ds_read_b128 v[14:17], v10 offset:1280
	s_waitcnt lgkmcnt(0)
	v_mul_f64 v[22:23], v[7:8], v[16:17]
	v_fma_f64 v[22:23], v[5:6], v[14:15], -v[22:23]
	v_mul_f64 v[5:6], v[5:6], v[16:17]
	v_add_f64 v[18:19], v[18:19], v[22:23]
	v_fma_f64 v[5:6], v[7:8], v[14:15], v[5:6]
	;; [unrolled: 9-line block ×11, first 2 shown]
	v_add_f64 v[20:21], v[20:21], v[5:6]
	ds_read_b128 v[5:8], v12 offset:240
	ds_read_b128 v[14:17], v10 offset:3840
	s_waitcnt lgkmcnt(0)
	s_barrier
	v_mul_f64 v[22:23], v[7:8], v[16:17]
	v_fma_f64 v[22:23], v[5:6], v[14:15], -v[22:23]
	v_mul_f64 v[5:6], v[5:6], v[16:17]
	v_fma_f64 v[5:6], v[7:8], v[14:15], v[5:6]
	v_add_f64 v[7:8], v[18:19], v[22:23]
	v_add_f64 v[5:6], v[20:21], v[5:6]
	s_cbranch_scc1 .LBB432_2
; %bb.3:
	v_cmp_le_i32_e32 vcc, v2, v9
	s_and_saveexec_b64 s[6:7], vcc
	s_cbranch_execz .LBB432_5
.LBB432_4:
	s_load_dwordx2 s[6:7], s[4:5], 0x68
	s_load_dword s9, s[4:5], 0x60
	v_ashrrev_i32_e32 v3, 31, v2
	s_waitcnt lgkmcnt(0)
	s_mul_i32 s5, s7, s8
	s_mul_hi_u32 s7, s6, s8
	s_mul_i32 s4, s6, s8
	s_add_i32 s5, s7, s5
	v_mad_i64_i32 v[0:1], s[6:7], s9, v9, 0
	s_lshl_b64 s[4:5], s[4:5], 4
	s_add_u32 s4, s18, s4
	v_lshlrev_b64 v[0:1], 4, v[0:1]
	s_addc_u32 s5, s19, s5
	v_mov_b32_e32 v4, s5
	v_add_co_u32_e32 v10, vcc, s4, v0
	v_addc_co_u32_e32 v4, vcc, v4, v1, vcc
	v_lshlrev_b64 v[0:1], 4, v[2:3]
	v_add_co_u32_e32 v14, vcc, v10, v0
	v_addc_co_u32_e32 v15, vcc, v4, v1, vcc
	global_load_dwordx4 v[10:13], v[14:15], off
	v_mul_f64 v[0:1], s[0:1], v[5:6]
	v_mul_f64 v[5:6], s[2:3], v[5:6]
	v_cmp_ne_u32_e32 vcc, v2, v9
	v_fma_f64 v[0:1], s[2:3], v[7:8], v[0:1]
	v_fma_f64 v[5:6], s[0:1], v[7:8], -v[5:6]
	s_waitcnt vmcnt(0)
	v_mul_f64 v[3:4], s[14:15], v[12:13]
	v_mul_f64 v[12:13], s[16:17], v[12:13]
	v_fma_f64 v[3:4], s[16:17], v[10:11], v[3:4]
	v_fma_f64 v[7:8], s[14:15], v[10:11], -v[12:13]
	v_add_f64 v[10:11], v[0:1], v[3:4]
	v_add_f64 v[0:1], v[5:6], v[7:8]
	v_cndmask_b32_e32 v3, 0, v11, vcc
	v_cndmask_b32_e32 v2, 0, v10, vcc
	global_store_dwordx4 v[14:15], v[0:3], off
.LBB432_5:
	s_endpgm
.LBB432_6:
	v_mov_b32_e32 v5, 0
	v_mov_b32_e32 v7, 0
	;; [unrolled: 1-line block ×4, first 2 shown]
	v_cmp_le_i32_e32 vcc, v2, v9
	s_and_saveexec_b64 s[6:7], vcc
	s_cbranch_execnz .LBB432_4
	s_branch .LBB432_5
	.section	.rodata,"a",@progbits
	.p2align	6, 0x0
	.amdhsa_kernel _ZL41rocblas_syrkx_herkx_small_restrict_kernelIi19rocblas_complex_numIdELi16ELb0ELb1ELc84ELc85EKS1_S1_EviT_T0_PT6_S3_lS6_S3_lS4_PT7_S3_li
		.amdhsa_group_segment_fixed_size 8192
		.amdhsa_private_segment_fixed_size 0
		.amdhsa_kernarg_size 116
		.amdhsa_user_sgpr_count 6
		.amdhsa_user_sgpr_private_segment_buffer 1
		.amdhsa_user_sgpr_dispatch_ptr 0
		.amdhsa_user_sgpr_queue_ptr 0
		.amdhsa_user_sgpr_kernarg_segment_ptr 1
		.amdhsa_user_sgpr_dispatch_id 0
		.amdhsa_user_sgpr_flat_scratch_init 0
		.amdhsa_user_sgpr_private_segment_size 0
		.amdhsa_uses_dynamic_stack 0
		.amdhsa_system_sgpr_private_segment_wavefront_offset 0
		.amdhsa_system_sgpr_workgroup_id_x 1
		.amdhsa_system_sgpr_workgroup_id_y 1
		.amdhsa_system_sgpr_workgroup_id_z 1
		.amdhsa_system_sgpr_workgroup_info 0
		.amdhsa_system_vgpr_workitem_id 1
		.amdhsa_next_free_vgpr 36
		.amdhsa_next_free_sgpr 61
		.amdhsa_reserve_vcc 1
		.amdhsa_reserve_flat_scratch 0
		.amdhsa_float_round_mode_32 0
		.amdhsa_float_round_mode_16_64 0
		.amdhsa_float_denorm_mode_32 3
		.amdhsa_float_denorm_mode_16_64 3
		.amdhsa_dx10_clamp 1
		.amdhsa_ieee_mode 1
		.amdhsa_fp16_overflow 0
		.amdhsa_exception_fp_ieee_invalid_op 0
		.amdhsa_exception_fp_denorm_src 0
		.amdhsa_exception_fp_ieee_div_zero 0
		.amdhsa_exception_fp_ieee_overflow 0
		.amdhsa_exception_fp_ieee_underflow 0
		.amdhsa_exception_fp_ieee_inexact 0
		.amdhsa_exception_int_div_zero 0
	.end_amdhsa_kernel
	.section	.text._ZL41rocblas_syrkx_herkx_small_restrict_kernelIi19rocblas_complex_numIdELi16ELb0ELb1ELc84ELc85EKS1_S1_EviT_T0_PT6_S3_lS6_S3_lS4_PT7_S3_li,"axG",@progbits,_ZL41rocblas_syrkx_herkx_small_restrict_kernelIi19rocblas_complex_numIdELi16ELb0ELb1ELc84ELc85EKS1_S1_EviT_T0_PT6_S3_lS6_S3_lS4_PT7_S3_li,comdat
.Lfunc_end432:
	.size	_ZL41rocblas_syrkx_herkx_small_restrict_kernelIi19rocblas_complex_numIdELi16ELb0ELb1ELc84ELc85EKS1_S1_EviT_T0_PT6_S3_lS6_S3_lS4_PT7_S3_li, .Lfunc_end432-_ZL41rocblas_syrkx_herkx_small_restrict_kernelIi19rocblas_complex_numIdELi16ELb0ELb1ELc84ELc85EKS1_S1_EviT_T0_PT6_S3_lS6_S3_lS4_PT7_S3_li
                                        ; -- End function
	.set _ZL41rocblas_syrkx_herkx_small_restrict_kernelIi19rocblas_complex_numIdELi16ELb0ELb1ELc84ELc85EKS1_S1_EviT_T0_PT6_S3_lS6_S3_lS4_PT7_S3_li.num_vgpr, 36
	.set _ZL41rocblas_syrkx_herkx_small_restrict_kernelIi19rocblas_complex_numIdELi16ELb0ELb1ELc84ELc85EKS1_S1_EviT_T0_PT6_S3_lS6_S3_lS4_PT7_S3_li.num_agpr, 0
	.set _ZL41rocblas_syrkx_herkx_small_restrict_kernelIi19rocblas_complex_numIdELi16ELb0ELb1ELc84ELc85EKS1_S1_EviT_T0_PT6_S3_lS6_S3_lS4_PT7_S3_li.numbered_sgpr, 28
	.set _ZL41rocblas_syrkx_herkx_small_restrict_kernelIi19rocblas_complex_numIdELi16ELb0ELb1ELc84ELc85EKS1_S1_EviT_T0_PT6_S3_lS6_S3_lS4_PT7_S3_li.num_named_barrier, 0
	.set _ZL41rocblas_syrkx_herkx_small_restrict_kernelIi19rocblas_complex_numIdELi16ELb0ELb1ELc84ELc85EKS1_S1_EviT_T0_PT6_S3_lS6_S3_lS4_PT7_S3_li.private_seg_size, 0
	.set _ZL41rocblas_syrkx_herkx_small_restrict_kernelIi19rocblas_complex_numIdELi16ELb0ELb1ELc84ELc85EKS1_S1_EviT_T0_PT6_S3_lS6_S3_lS4_PT7_S3_li.uses_vcc, 1
	.set _ZL41rocblas_syrkx_herkx_small_restrict_kernelIi19rocblas_complex_numIdELi16ELb0ELb1ELc84ELc85EKS1_S1_EviT_T0_PT6_S3_lS6_S3_lS4_PT7_S3_li.uses_flat_scratch, 0
	.set _ZL41rocblas_syrkx_herkx_small_restrict_kernelIi19rocblas_complex_numIdELi16ELb0ELb1ELc84ELc85EKS1_S1_EviT_T0_PT6_S3_lS6_S3_lS4_PT7_S3_li.has_dyn_sized_stack, 0
	.set _ZL41rocblas_syrkx_herkx_small_restrict_kernelIi19rocblas_complex_numIdELi16ELb0ELb1ELc84ELc85EKS1_S1_EviT_T0_PT6_S3_lS6_S3_lS4_PT7_S3_li.has_recursion, 0
	.set _ZL41rocblas_syrkx_herkx_small_restrict_kernelIi19rocblas_complex_numIdELi16ELb0ELb1ELc84ELc85EKS1_S1_EviT_T0_PT6_S3_lS6_S3_lS4_PT7_S3_li.has_indirect_call, 0
	.section	.AMDGPU.csdata,"",@progbits
; Kernel info:
; codeLenInByte = 1704
; TotalNumSgprs: 32
; NumVgprs: 36
; ScratchSize: 0
; MemoryBound: 0
; FloatMode: 240
; IeeeMode: 1
; LDSByteSize: 8192 bytes/workgroup (compile time only)
; SGPRBlocks: 8
; VGPRBlocks: 8
; NumSGPRsForWavesPerEU: 65
; NumVGPRsForWavesPerEU: 36
; Occupancy: 7
; WaveLimiterHint : 0
; COMPUTE_PGM_RSRC2:SCRATCH_EN: 0
; COMPUTE_PGM_RSRC2:USER_SGPR: 6
; COMPUTE_PGM_RSRC2:TRAP_HANDLER: 0
; COMPUTE_PGM_RSRC2:TGID_X_EN: 1
; COMPUTE_PGM_RSRC2:TGID_Y_EN: 1
; COMPUTE_PGM_RSRC2:TGID_Z_EN: 1
; COMPUTE_PGM_RSRC2:TIDIG_COMP_CNT: 1
	.section	.text._ZL41rocblas_syrkx_herkx_small_restrict_kernelIi19rocblas_complex_numIdELi16ELb0ELb1ELc67ELc85EKS1_S1_EviT_T0_PT6_S3_lS6_S3_lS4_PT7_S3_li,"axG",@progbits,_ZL41rocblas_syrkx_herkx_small_restrict_kernelIi19rocblas_complex_numIdELi16ELb0ELb1ELc67ELc85EKS1_S1_EviT_T0_PT6_S3_lS6_S3_lS4_PT7_S3_li,comdat
	.globl	_ZL41rocblas_syrkx_herkx_small_restrict_kernelIi19rocblas_complex_numIdELi16ELb0ELb1ELc67ELc85EKS1_S1_EviT_T0_PT6_S3_lS6_S3_lS4_PT7_S3_li ; -- Begin function _ZL41rocblas_syrkx_herkx_small_restrict_kernelIi19rocblas_complex_numIdELi16ELb0ELb1ELc67ELc85EKS1_S1_EviT_T0_PT6_S3_lS6_S3_lS4_PT7_S3_li
	.p2align	8
	.type	_ZL41rocblas_syrkx_herkx_small_restrict_kernelIi19rocblas_complex_numIdELi16ELb0ELb1ELc67ELc85EKS1_S1_EviT_T0_PT6_S3_lS6_S3_lS4_PT7_S3_li,@function
_ZL41rocblas_syrkx_herkx_small_restrict_kernelIi19rocblas_complex_numIdELi16ELb0ELb1ELc67ELc85EKS1_S1_EviT_T0_PT6_S3_lS6_S3_lS4_PT7_S3_li: ; @_ZL41rocblas_syrkx_herkx_small_restrict_kernelIi19rocblas_complex_numIdELi16ELb0ELb1ELc67ELc85EKS1_S1_EviT_T0_PT6_S3_lS6_S3_lS4_PT7_S3_li
; %bb.0:
	s_load_dword s9, s[4:5], 0x4
	s_load_dwordx4 s[0:3], s[4:5], 0x8
	s_load_dwordx2 s[10:11], s[4:5], 0x18
	s_load_dwordx8 s[12:19], s[4:5], 0x40
	s_mov_b32 s20, 0
	v_lshl_add_u32 v2, s6, 4, v0
	s_waitcnt lgkmcnt(0)
	s_cmp_lt_i32 s9, 1
	v_lshl_add_u32 v9, s7, 4, v1
	s_cbranch_scc1 .LBB433_6
; %bb.1:
	s_load_dword s21, s[4:5], 0x20
	s_load_dword s6, s[4:5], 0x38
	s_load_dwordx4 s[24:27], s[4:5], 0x28
	v_lshlrev_b32_e32 v5, 8, v1
	v_lshlrev_b32_e32 v10, 4, v0
	v_add_u32_e32 v11, v10, v5
	s_waitcnt lgkmcnt(0)
	v_mad_i64_i32 v[3:4], s[6:7], s6, v9, 0
	s_mul_i32 s6, s13, s8
	s_mul_hi_u32 s7, s12, s8
	v_lshlrev_b64 v[3:4], 4, v[3:4]
	s_add_i32 s7, s7, s6
	s_mul_i32 s6, s12, s8
	s_lshl_b64 s[6:7], s[6:7], 4
	v_add_u32_e32 v12, 0x1000, v5
	v_mov_b32_e32 v0, s7
	v_add_co_u32_e32 v3, vcc, s6, v3
	v_mad_i64_i32 v[5:6], s[6:7], s21, v2, 0
	v_addc_co_u32_e32 v0, vcc, v4, v0, vcc
	v_add_co_u32_e32 v3, vcc, v3, v10
	v_addc_co_u32_e32 v0, vcc, 0, v0, vcc
	s_mul_i32 s6, s25, s8
	s_mul_hi_u32 s7, s24, s8
	v_mov_b32_e32 v4, s27
	v_add_co_u32_e32 v3, vcc, s26, v3
	v_lshlrev_b64 v[5:6], 4, v[5:6]
	s_add_i32 s7, s7, s6
	s_mul_i32 s6, s24, s8
	v_addc_co_u32_e32 v4, vcc, v4, v0, vcc
	s_lshl_b64 s[6:7], s[6:7], 4
	v_mov_b32_e32 v0, s7
	v_add_co_u32_e32 v5, vcc, s6, v5
	v_addc_co_u32_e32 v0, vcc, v6, v0, vcc
	v_lshlrev_b32_e32 v1, 4, v1
	v_add_co_u32_e32 v1, vcc, v5, v1
	v_addc_co_u32_e32 v0, vcc, 0, v0, vcc
	v_mov_b32_e32 v5, s11
	v_add_co_u32_e32 v1, vcc, s10, v1
	v_addc_co_u32_e32 v14, vcc, v5, v0, vcc
	v_mov_b32_e32 v5, 0
	v_mov_b32_e32 v7, 0
	v_add_co_u32_e32 v0, vcc, 8, v1
	v_add_u32_e32 v13, v12, v10
	v_mov_b32_e32 v6, 0
	v_mov_b32_e32 v8, 0
	v_addc_co_u32_e32 v1, vcc, 0, v14, vcc
.LBB433_2:                              ; =>This Inner Loop Header: Depth=1
	global_load_dwordx4 v[14:17], v[0:1], off offset:-8
	s_add_i32 s20, s20, 16
	s_cmp_lt_i32 s20, s9
	s_waitcnt vmcnt(0)
	v_xor_b32_e32 v17, 0x80000000, v17
	ds_write_b128 v11, v[14:17]
	global_load_dwordx4 v[14:17], v[3:4], off
	v_add_co_u32_e32 v3, vcc, 0x100, v3
	v_addc_co_u32_e32 v4, vcc, 0, v4, vcc
	v_add_co_u32_e32 v0, vcc, 0x100, v0
	v_addc_co_u32_e32 v1, vcc, 0, v1, vcc
	s_waitcnt vmcnt(0)
	ds_write2_b64 v13, v[14:15], v[16:17] offset1:1
	s_waitcnt lgkmcnt(0)
	s_barrier
	ds_read_b128 v[14:17], v12
	ds_read_b128 v[18:21], v12 offset:16
	ds_read_b128 v[22:25], v12 offset:32
	;; [unrolled: 1-line block ×3, first 2 shown]
	ds_read_b128 v[30:33], v10
	s_waitcnt lgkmcnt(0)
	v_mul_f64 v[34:35], v[16:17], v[32:33]
	v_fma_f64 v[34:35], v[14:15], v[30:31], -v[34:35]
	v_mul_f64 v[14:15], v[14:15], v[32:33]
	v_fma_f64 v[14:15], v[16:17], v[30:31], v[14:15]
	v_add_f64 v[16:17], v[7:8], v[34:35]
	v_add_f64 v[14:15], v[5:6], v[14:15]
	ds_read_b128 v[5:8], v10 offset:256
	s_waitcnt lgkmcnt(0)
	v_mul_f64 v[30:31], v[20:21], v[7:8]
	v_mul_f64 v[7:8], v[18:19], v[7:8]
	v_fma_f64 v[30:31], v[18:19], v[5:6], -v[30:31]
	v_fma_f64 v[5:6], v[20:21], v[5:6], v[7:8]
	v_add_f64 v[16:17], v[16:17], v[30:31]
	v_add_f64 v[14:15], v[14:15], v[5:6]
	ds_read_b128 v[5:8], v10 offset:512
	s_waitcnt lgkmcnt(0)
	v_mul_f64 v[18:19], v[24:25], v[7:8]
	v_mul_f64 v[7:8], v[22:23], v[7:8]
	v_fma_f64 v[18:19], v[22:23], v[5:6], -v[18:19]
	;; [unrolled: 8-line block ×3, first 2 shown]
	v_fma_f64 v[5:6], v[28:29], v[5:6], v[7:8]
	v_add_f64 v[18:19], v[16:17], v[18:19]
	v_add_f64 v[20:21], v[14:15], v[5:6]
	ds_read_b128 v[5:8], v12 offset:64
	ds_read_b128 v[14:17], v10 offset:1024
	s_waitcnt lgkmcnt(0)
	v_mul_f64 v[22:23], v[7:8], v[16:17]
	v_fma_f64 v[22:23], v[5:6], v[14:15], -v[22:23]
	v_mul_f64 v[5:6], v[5:6], v[16:17]
	v_add_f64 v[18:19], v[18:19], v[22:23]
	v_fma_f64 v[5:6], v[7:8], v[14:15], v[5:6]
	v_add_f64 v[20:21], v[20:21], v[5:6]
	ds_read_b128 v[5:8], v12 offset:80
	ds_read_b128 v[14:17], v10 offset:1280
	s_waitcnt lgkmcnt(0)
	v_mul_f64 v[22:23], v[7:8], v[16:17]
	v_fma_f64 v[22:23], v[5:6], v[14:15], -v[22:23]
	v_mul_f64 v[5:6], v[5:6], v[16:17]
	v_add_f64 v[18:19], v[18:19], v[22:23]
	v_fma_f64 v[5:6], v[7:8], v[14:15], v[5:6]
	v_add_f64 v[20:21], v[20:21], v[5:6]
	ds_read_b128 v[5:8], v12 offset:96
	ds_read_b128 v[14:17], v10 offset:1536
	s_waitcnt lgkmcnt(0)
	v_mul_f64 v[22:23], v[7:8], v[16:17]
	v_fma_f64 v[22:23], v[5:6], v[14:15], -v[22:23]
	v_mul_f64 v[5:6], v[5:6], v[16:17]
	v_add_f64 v[18:19], v[18:19], v[22:23]
	v_fma_f64 v[5:6], v[7:8], v[14:15], v[5:6]
	v_add_f64 v[20:21], v[20:21], v[5:6]
	ds_read_b128 v[5:8], v12 offset:112
	ds_read_b128 v[14:17], v10 offset:1792
	s_waitcnt lgkmcnt(0)
	v_mul_f64 v[22:23], v[7:8], v[16:17]
	v_fma_f64 v[22:23], v[5:6], v[14:15], -v[22:23]
	v_mul_f64 v[5:6], v[5:6], v[16:17]
	v_add_f64 v[18:19], v[18:19], v[22:23]
	v_fma_f64 v[5:6], v[7:8], v[14:15], v[5:6]
	v_add_f64 v[20:21], v[20:21], v[5:6]
	ds_read_b128 v[5:8], v12 offset:128
	ds_read_b128 v[14:17], v10 offset:2048
	s_waitcnt lgkmcnt(0)
	v_mul_f64 v[22:23], v[7:8], v[16:17]
	v_fma_f64 v[22:23], v[5:6], v[14:15], -v[22:23]
	v_mul_f64 v[5:6], v[5:6], v[16:17]
	v_add_f64 v[18:19], v[18:19], v[22:23]
	v_fma_f64 v[5:6], v[7:8], v[14:15], v[5:6]
	v_add_f64 v[20:21], v[20:21], v[5:6]
	ds_read_b128 v[5:8], v12 offset:144
	ds_read_b128 v[14:17], v10 offset:2304
	s_waitcnt lgkmcnt(0)
	v_mul_f64 v[22:23], v[7:8], v[16:17]
	v_fma_f64 v[22:23], v[5:6], v[14:15], -v[22:23]
	v_mul_f64 v[5:6], v[5:6], v[16:17]
	v_add_f64 v[18:19], v[18:19], v[22:23]
	v_fma_f64 v[5:6], v[7:8], v[14:15], v[5:6]
	v_add_f64 v[20:21], v[20:21], v[5:6]
	ds_read_b128 v[5:8], v12 offset:160
	ds_read_b128 v[14:17], v10 offset:2560
	s_waitcnt lgkmcnt(0)
	v_mul_f64 v[22:23], v[7:8], v[16:17]
	v_fma_f64 v[22:23], v[5:6], v[14:15], -v[22:23]
	v_mul_f64 v[5:6], v[5:6], v[16:17]
	v_add_f64 v[18:19], v[18:19], v[22:23]
	v_fma_f64 v[5:6], v[7:8], v[14:15], v[5:6]
	v_add_f64 v[20:21], v[20:21], v[5:6]
	ds_read_b128 v[5:8], v12 offset:176
	ds_read_b128 v[14:17], v10 offset:2816
	s_waitcnt lgkmcnt(0)
	v_mul_f64 v[22:23], v[7:8], v[16:17]
	v_fma_f64 v[22:23], v[5:6], v[14:15], -v[22:23]
	v_mul_f64 v[5:6], v[5:6], v[16:17]
	v_add_f64 v[18:19], v[18:19], v[22:23]
	v_fma_f64 v[5:6], v[7:8], v[14:15], v[5:6]
	v_add_f64 v[20:21], v[20:21], v[5:6]
	ds_read_b128 v[5:8], v12 offset:192
	ds_read_b128 v[14:17], v10 offset:3072
	s_waitcnt lgkmcnt(0)
	v_mul_f64 v[22:23], v[7:8], v[16:17]
	v_fma_f64 v[22:23], v[5:6], v[14:15], -v[22:23]
	v_mul_f64 v[5:6], v[5:6], v[16:17]
	v_add_f64 v[18:19], v[18:19], v[22:23]
	v_fma_f64 v[5:6], v[7:8], v[14:15], v[5:6]
	v_add_f64 v[20:21], v[20:21], v[5:6]
	ds_read_b128 v[5:8], v12 offset:208
	ds_read_b128 v[14:17], v10 offset:3328
	s_waitcnt lgkmcnt(0)
	v_mul_f64 v[22:23], v[7:8], v[16:17]
	v_fma_f64 v[22:23], v[5:6], v[14:15], -v[22:23]
	v_mul_f64 v[5:6], v[5:6], v[16:17]
	v_add_f64 v[18:19], v[18:19], v[22:23]
	v_fma_f64 v[5:6], v[7:8], v[14:15], v[5:6]
	v_add_f64 v[20:21], v[20:21], v[5:6]
	ds_read_b128 v[5:8], v12 offset:224
	ds_read_b128 v[14:17], v10 offset:3584
	s_waitcnt lgkmcnt(0)
	v_mul_f64 v[22:23], v[7:8], v[16:17]
	v_fma_f64 v[22:23], v[5:6], v[14:15], -v[22:23]
	v_mul_f64 v[5:6], v[5:6], v[16:17]
	v_add_f64 v[18:19], v[18:19], v[22:23]
	v_fma_f64 v[5:6], v[7:8], v[14:15], v[5:6]
	v_add_f64 v[20:21], v[20:21], v[5:6]
	ds_read_b128 v[5:8], v12 offset:240
	ds_read_b128 v[14:17], v10 offset:3840
	s_waitcnt lgkmcnt(0)
	s_barrier
	v_mul_f64 v[22:23], v[7:8], v[16:17]
	v_fma_f64 v[22:23], v[5:6], v[14:15], -v[22:23]
	v_mul_f64 v[5:6], v[5:6], v[16:17]
	v_fma_f64 v[5:6], v[7:8], v[14:15], v[5:6]
	v_add_f64 v[7:8], v[18:19], v[22:23]
	v_add_f64 v[5:6], v[20:21], v[5:6]
	s_cbranch_scc1 .LBB433_2
; %bb.3:
	v_cmp_le_i32_e32 vcc, v2, v9
	s_and_saveexec_b64 s[6:7], vcc
	s_cbranch_execz .LBB433_5
.LBB433_4:
	s_load_dwordx2 s[6:7], s[4:5], 0x68
	s_load_dword s9, s[4:5], 0x60
	v_ashrrev_i32_e32 v3, 31, v2
	s_waitcnt lgkmcnt(0)
	s_mul_i32 s5, s7, s8
	s_mul_hi_u32 s7, s6, s8
	s_mul_i32 s4, s6, s8
	s_add_i32 s5, s7, s5
	v_mad_i64_i32 v[0:1], s[6:7], s9, v9, 0
	s_lshl_b64 s[4:5], s[4:5], 4
	s_add_u32 s4, s18, s4
	v_lshlrev_b64 v[0:1], 4, v[0:1]
	s_addc_u32 s5, s19, s5
	v_mov_b32_e32 v4, s5
	v_add_co_u32_e32 v10, vcc, s4, v0
	v_addc_co_u32_e32 v4, vcc, v4, v1, vcc
	v_lshlrev_b64 v[0:1], 4, v[2:3]
	v_add_co_u32_e32 v14, vcc, v10, v0
	v_addc_co_u32_e32 v15, vcc, v4, v1, vcc
	global_load_dwordx4 v[10:13], v[14:15], off
	v_mul_f64 v[0:1], s[0:1], v[5:6]
	v_mul_f64 v[5:6], s[2:3], v[5:6]
	v_cmp_ne_u32_e32 vcc, v2, v9
	v_fma_f64 v[0:1], s[2:3], v[7:8], v[0:1]
	v_fma_f64 v[5:6], s[0:1], v[7:8], -v[5:6]
	s_waitcnt vmcnt(0)
	v_mul_f64 v[3:4], s[14:15], v[12:13]
	v_mul_f64 v[12:13], s[16:17], v[12:13]
	v_fma_f64 v[3:4], s[16:17], v[10:11], v[3:4]
	v_fma_f64 v[7:8], s[14:15], v[10:11], -v[12:13]
	v_add_f64 v[10:11], v[0:1], v[3:4]
	v_add_f64 v[0:1], v[5:6], v[7:8]
	v_cndmask_b32_e32 v3, 0, v11, vcc
	v_cndmask_b32_e32 v2, 0, v10, vcc
	global_store_dwordx4 v[14:15], v[0:3], off
.LBB433_5:
	s_endpgm
.LBB433_6:
	v_mov_b32_e32 v5, 0
	v_mov_b32_e32 v7, 0
	v_mov_b32_e32 v6, 0
	v_mov_b32_e32 v8, 0
	v_cmp_le_i32_e32 vcc, v2, v9
	s_and_saveexec_b64 s[6:7], vcc
	s_cbranch_execnz .LBB433_4
	s_branch .LBB433_5
	.section	.rodata,"a",@progbits
	.p2align	6, 0x0
	.amdhsa_kernel _ZL41rocblas_syrkx_herkx_small_restrict_kernelIi19rocblas_complex_numIdELi16ELb0ELb1ELc67ELc85EKS1_S1_EviT_T0_PT6_S3_lS6_S3_lS4_PT7_S3_li
		.amdhsa_group_segment_fixed_size 8192
		.amdhsa_private_segment_fixed_size 0
		.amdhsa_kernarg_size 116
		.amdhsa_user_sgpr_count 6
		.amdhsa_user_sgpr_private_segment_buffer 1
		.amdhsa_user_sgpr_dispatch_ptr 0
		.amdhsa_user_sgpr_queue_ptr 0
		.amdhsa_user_sgpr_kernarg_segment_ptr 1
		.amdhsa_user_sgpr_dispatch_id 0
		.amdhsa_user_sgpr_flat_scratch_init 0
		.amdhsa_user_sgpr_private_segment_size 0
		.amdhsa_uses_dynamic_stack 0
		.amdhsa_system_sgpr_private_segment_wavefront_offset 0
		.amdhsa_system_sgpr_workgroup_id_x 1
		.amdhsa_system_sgpr_workgroup_id_y 1
		.amdhsa_system_sgpr_workgroup_id_z 1
		.amdhsa_system_sgpr_workgroup_info 0
		.amdhsa_system_vgpr_workitem_id 1
		.amdhsa_next_free_vgpr 36
		.amdhsa_next_free_sgpr 61
		.amdhsa_reserve_vcc 1
		.amdhsa_reserve_flat_scratch 0
		.amdhsa_float_round_mode_32 0
		.amdhsa_float_round_mode_16_64 0
		.amdhsa_float_denorm_mode_32 3
		.amdhsa_float_denorm_mode_16_64 3
		.amdhsa_dx10_clamp 1
		.amdhsa_ieee_mode 1
		.amdhsa_fp16_overflow 0
		.amdhsa_exception_fp_ieee_invalid_op 0
		.amdhsa_exception_fp_denorm_src 0
		.amdhsa_exception_fp_ieee_div_zero 0
		.amdhsa_exception_fp_ieee_overflow 0
		.amdhsa_exception_fp_ieee_underflow 0
		.amdhsa_exception_fp_ieee_inexact 0
		.amdhsa_exception_int_div_zero 0
	.end_amdhsa_kernel
	.section	.text._ZL41rocblas_syrkx_herkx_small_restrict_kernelIi19rocblas_complex_numIdELi16ELb0ELb1ELc67ELc85EKS1_S1_EviT_T0_PT6_S3_lS6_S3_lS4_PT7_S3_li,"axG",@progbits,_ZL41rocblas_syrkx_herkx_small_restrict_kernelIi19rocblas_complex_numIdELi16ELb0ELb1ELc67ELc85EKS1_S1_EviT_T0_PT6_S3_lS6_S3_lS4_PT7_S3_li,comdat
.Lfunc_end433:
	.size	_ZL41rocblas_syrkx_herkx_small_restrict_kernelIi19rocblas_complex_numIdELi16ELb0ELb1ELc67ELc85EKS1_S1_EviT_T0_PT6_S3_lS6_S3_lS4_PT7_S3_li, .Lfunc_end433-_ZL41rocblas_syrkx_herkx_small_restrict_kernelIi19rocblas_complex_numIdELi16ELb0ELb1ELc67ELc85EKS1_S1_EviT_T0_PT6_S3_lS6_S3_lS4_PT7_S3_li
                                        ; -- End function
	.set _ZL41rocblas_syrkx_herkx_small_restrict_kernelIi19rocblas_complex_numIdELi16ELb0ELb1ELc67ELc85EKS1_S1_EviT_T0_PT6_S3_lS6_S3_lS4_PT7_S3_li.num_vgpr, 36
	.set _ZL41rocblas_syrkx_herkx_small_restrict_kernelIi19rocblas_complex_numIdELi16ELb0ELb1ELc67ELc85EKS1_S1_EviT_T0_PT6_S3_lS6_S3_lS4_PT7_S3_li.num_agpr, 0
	.set _ZL41rocblas_syrkx_herkx_small_restrict_kernelIi19rocblas_complex_numIdELi16ELb0ELb1ELc67ELc85EKS1_S1_EviT_T0_PT6_S3_lS6_S3_lS4_PT7_S3_li.numbered_sgpr, 28
	.set _ZL41rocblas_syrkx_herkx_small_restrict_kernelIi19rocblas_complex_numIdELi16ELb0ELb1ELc67ELc85EKS1_S1_EviT_T0_PT6_S3_lS6_S3_lS4_PT7_S3_li.num_named_barrier, 0
	.set _ZL41rocblas_syrkx_herkx_small_restrict_kernelIi19rocblas_complex_numIdELi16ELb0ELb1ELc67ELc85EKS1_S1_EviT_T0_PT6_S3_lS6_S3_lS4_PT7_S3_li.private_seg_size, 0
	.set _ZL41rocblas_syrkx_herkx_small_restrict_kernelIi19rocblas_complex_numIdELi16ELb0ELb1ELc67ELc85EKS1_S1_EviT_T0_PT6_S3_lS6_S3_lS4_PT7_S3_li.uses_vcc, 1
	.set _ZL41rocblas_syrkx_herkx_small_restrict_kernelIi19rocblas_complex_numIdELi16ELb0ELb1ELc67ELc85EKS1_S1_EviT_T0_PT6_S3_lS6_S3_lS4_PT7_S3_li.uses_flat_scratch, 0
	.set _ZL41rocblas_syrkx_herkx_small_restrict_kernelIi19rocblas_complex_numIdELi16ELb0ELb1ELc67ELc85EKS1_S1_EviT_T0_PT6_S3_lS6_S3_lS4_PT7_S3_li.has_dyn_sized_stack, 0
	.set _ZL41rocblas_syrkx_herkx_small_restrict_kernelIi19rocblas_complex_numIdELi16ELb0ELb1ELc67ELc85EKS1_S1_EviT_T0_PT6_S3_lS6_S3_lS4_PT7_S3_li.has_recursion, 0
	.set _ZL41rocblas_syrkx_herkx_small_restrict_kernelIi19rocblas_complex_numIdELi16ELb0ELb1ELc67ELc85EKS1_S1_EviT_T0_PT6_S3_lS6_S3_lS4_PT7_S3_li.has_indirect_call, 0
	.section	.AMDGPU.csdata,"",@progbits
; Kernel info:
; codeLenInByte = 1720
; TotalNumSgprs: 32
; NumVgprs: 36
; ScratchSize: 0
; MemoryBound: 0
; FloatMode: 240
; IeeeMode: 1
; LDSByteSize: 8192 bytes/workgroup (compile time only)
; SGPRBlocks: 8
; VGPRBlocks: 8
; NumSGPRsForWavesPerEU: 65
; NumVGPRsForWavesPerEU: 36
; Occupancy: 7
; WaveLimiterHint : 0
; COMPUTE_PGM_RSRC2:SCRATCH_EN: 0
; COMPUTE_PGM_RSRC2:USER_SGPR: 6
; COMPUTE_PGM_RSRC2:TRAP_HANDLER: 0
; COMPUTE_PGM_RSRC2:TGID_X_EN: 1
; COMPUTE_PGM_RSRC2:TGID_Y_EN: 1
; COMPUTE_PGM_RSRC2:TGID_Z_EN: 1
; COMPUTE_PGM_RSRC2:TIDIG_COMP_CNT: 1
	.section	.text._ZL41rocblas_syrkx_herkx_small_restrict_kernelIi19rocblas_complex_numIdELi16ELb0ELb1ELc78ELc85EKS1_S1_EviT_T0_PT6_S3_lS6_S3_lS4_PT7_S3_li,"axG",@progbits,_ZL41rocblas_syrkx_herkx_small_restrict_kernelIi19rocblas_complex_numIdELi16ELb0ELb1ELc78ELc85EKS1_S1_EviT_T0_PT6_S3_lS6_S3_lS4_PT7_S3_li,comdat
	.globl	_ZL41rocblas_syrkx_herkx_small_restrict_kernelIi19rocblas_complex_numIdELi16ELb0ELb1ELc78ELc85EKS1_S1_EviT_T0_PT6_S3_lS6_S3_lS4_PT7_S3_li ; -- Begin function _ZL41rocblas_syrkx_herkx_small_restrict_kernelIi19rocblas_complex_numIdELi16ELb0ELb1ELc78ELc85EKS1_S1_EviT_T0_PT6_S3_lS6_S3_lS4_PT7_S3_li
	.p2align	8
	.type	_ZL41rocblas_syrkx_herkx_small_restrict_kernelIi19rocblas_complex_numIdELi16ELb0ELb1ELc78ELc85EKS1_S1_EviT_T0_PT6_S3_lS6_S3_lS4_PT7_S3_li,@function
_ZL41rocblas_syrkx_herkx_small_restrict_kernelIi19rocblas_complex_numIdELi16ELb0ELb1ELc78ELc85EKS1_S1_EviT_T0_PT6_S3_lS6_S3_lS4_PT7_S3_li: ; @_ZL41rocblas_syrkx_herkx_small_restrict_kernelIi19rocblas_complex_numIdELi16ELb0ELb1ELc78ELc85EKS1_S1_EviT_T0_PT6_S3_lS6_S3_lS4_PT7_S3_li
; %bb.0:
	s_load_dword s9, s[4:5], 0x4
	s_load_dwordx4 s[0:3], s[4:5], 0x8
	s_load_dwordx2 s[10:11], s[4:5], 0x18
	s_load_dwordx8 s[12:19], s[4:5], 0x40
	v_lshl_add_u32 v2, s6, 4, v0
	s_mov_b32 s24, 0
	v_lshl_add_u32 v4, s7, 4, v1
	s_waitcnt lgkmcnt(0)
	s_cmp_lt_i32 s9, 1
	v_ashrrev_i32_e32 v3, 31, v2
	s_cbranch_scc1 .LBB434_6
; %bb.1:
	s_load_dword s26, s[4:5], 0x20
	s_load_dword s6, s[4:5], 0x38
	s_load_dwordx4 s[20:23], s[4:5], 0x28
	v_lshlrev_b32_e32 v6, 8, v1
	v_lshlrev_b32_e32 v11, 4, v0
	v_add_u32_e32 v12, v11, v6
	v_add_u32_e32 v13, 0x1000, v6
	s_waitcnt lgkmcnt(0)
	v_mad_i64_i32 v[6:7], s[28:29], s6, v0, 0
	s_mul_i32 s13, s13, s8
	s_mul_hi_u32 s25, s12, s8
	s_add_i32 s13, s25, s13
	s_mul_i32 s12, s12, s8
	v_lshlrev_b64 v[6:7], 4, v[6:7]
	v_ashrrev_i32_e32 v5, 31, v4
	s_lshl_b64 s[12:13], s[12:13], 4
	v_mov_b32_e32 v0, s13
	v_add_co_u32_e32 v8, vcc, s12, v6
	v_lshlrev_b64 v[5:6], 4, v[4:5]
	v_addc_co_u32_e32 v0, vcc, v0, v7, vcc
	v_add_co_u32_e32 v5, vcc, v8, v5
	v_addc_co_u32_e32 v0, vcc, v0, v6, vcc
	v_mov_b32_e32 v6, s23
	v_add_co_u32_e32 v5, vcc, s22, v5
	v_addc_co_u32_e32 v0, vcc, v6, v0, vcc
	v_add_co_u32_e32 v5, vcc, 8, v5
	v_addc_co_u32_e32 v6, vcc, 0, v0, vcc
	v_mad_i64_i32 v[0:1], s[12:13], s26, v1, 0
	s_mul_i32 s21, s21, s8
	s_mul_hi_u32 s22, s20, s8
	s_add_i32 s13, s22, s21
	s_mul_i32 s12, s20, s8
	v_lshlrev_b64 v[0:1], 4, v[0:1]
	s_lshl_b64 s[12:13], s[12:13], 4
	v_mov_b32_e32 v7, s13
	v_add_co_u32_e32 v8, vcc, s12, v0
	v_addc_co_u32_e32 v7, vcc, v7, v1, vcc
	v_lshlrev_b64 v[0:1], 4, v[2:3]
	s_ashr_i32 s27, s26, 31
	v_add_co_u32_e32 v0, vcc, v8, v0
	v_addc_co_u32_e32 v1, vcc, v7, v1, vcc
	s_ashr_i32 s7, s6, 31
	v_mov_b32_e32 v7, s11
	v_add_co_u32_e32 v0, vcc, s10, v0
	s_lshl_b64 s[6:7], s[6:7], 8
	v_addc_co_u32_e32 v1, vcc, v7, v1, vcc
	s_lshl_b64 s[10:11], s[26:27], 8
	v_mov_b32_e32 v7, 0
	v_mov_b32_e32 v9, 0
	;; [unrolled: 1-line block ×6, first 2 shown]
.LBB434_2:                              ; =>This Inner Loop Header: Depth=1
	global_load_dwordx4 v[16:19], v[0:1], off
	v_add_u32_e32 v20, v13, v11
	s_add_i32 s24, s24, 16
	s_cmp_lt_i32 s24, s9
	s_waitcnt vmcnt(0)
	ds_write2_b64 v12, v[16:17], v[18:19] offset1:1
	global_load_dwordx4 v[16:19], v[5:6], off offset:-8
	v_add_co_u32_e32 v5, vcc, s6, v5
	v_addc_co_u32_e32 v6, vcc, v6, v14, vcc
	v_add_co_u32_e32 v0, vcc, s10, v0
	v_addc_co_u32_e32 v1, vcc, v1, v15, vcc
	s_waitcnt vmcnt(0)
	v_xor_b32_e32 v19, 0x80000000, v19
	ds_write_b128 v20, v[16:19]
	s_waitcnt lgkmcnt(0)
	s_barrier
	ds_read_b128 v[16:19], v13
	ds_read_b128 v[20:23], v13 offset:16
	ds_read_b128 v[24:27], v13 offset:32
	;; [unrolled: 1-line block ×3, first 2 shown]
	ds_read_b128 v[32:35], v11
	s_waitcnt lgkmcnt(0)
	v_mul_f64 v[36:37], v[18:19], v[34:35]
	v_fma_f64 v[36:37], v[16:17], v[32:33], -v[36:37]
	v_mul_f64 v[16:17], v[16:17], v[34:35]
	v_fma_f64 v[16:17], v[18:19], v[32:33], v[16:17]
	v_add_f64 v[18:19], v[9:10], v[36:37]
	v_add_f64 v[16:17], v[7:8], v[16:17]
	ds_read_b128 v[7:10], v11 offset:256
	s_waitcnt lgkmcnt(0)
	v_mul_f64 v[32:33], v[22:23], v[9:10]
	v_mul_f64 v[9:10], v[20:21], v[9:10]
	v_fma_f64 v[32:33], v[20:21], v[7:8], -v[32:33]
	v_fma_f64 v[7:8], v[22:23], v[7:8], v[9:10]
	v_add_f64 v[18:19], v[18:19], v[32:33]
	v_add_f64 v[16:17], v[16:17], v[7:8]
	ds_read_b128 v[7:10], v11 offset:512
	s_waitcnt lgkmcnt(0)
	v_mul_f64 v[20:21], v[26:27], v[9:10]
	v_mul_f64 v[9:10], v[24:25], v[9:10]
	v_fma_f64 v[20:21], v[24:25], v[7:8], -v[20:21]
	;; [unrolled: 8-line block ×3, first 2 shown]
	v_fma_f64 v[7:8], v[30:31], v[7:8], v[9:10]
	v_add_f64 v[20:21], v[18:19], v[20:21]
	v_add_f64 v[22:23], v[16:17], v[7:8]
	ds_read_b128 v[7:10], v13 offset:64
	ds_read_b128 v[16:19], v11 offset:1024
	s_waitcnt lgkmcnt(0)
	v_mul_f64 v[24:25], v[9:10], v[18:19]
	v_fma_f64 v[24:25], v[7:8], v[16:17], -v[24:25]
	v_mul_f64 v[7:8], v[7:8], v[18:19]
	v_add_f64 v[20:21], v[20:21], v[24:25]
	v_fma_f64 v[7:8], v[9:10], v[16:17], v[7:8]
	v_add_f64 v[22:23], v[22:23], v[7:8]
	ds_read_b128 v[7:10], v13 offset:80
	ds_read_b128 v[16:19], v11 offset:1280
	s_waitcnt lgkmcnt(0)
	v_mul_f64 v[24:25], v[9:10], v[18:19]
	v_fma_f64 v[24:25], v[7:8], v[16:17], -v[24:25]
	v_mul_f64 v[7:8], v[7:8], v[18:19]
	v_add_f64 v[20:21], v[20:21], v[24:25]
	v_fma_f64 v[7:8], v[9:10], v[16:17], v[7:8]
	;; [unrolled: 9-line block ×11, first 2 shown]
	v_add_f64 v[22:23], v[22:23], v[7:8]
	ds_read_b128 v[7:10], v13 offset:240
	ds_read_b128 v[16:19], v11 offset:3840
	s_waitcnt lgkmcnt(0)
	s_barrier
	v_mul_f64 v[24:25], v[9:10], v[18:19]
	v_fma_f64 v[24:25], v[7:8], v[16:17], -v[24:25]
	v_mul_f64 v[7:8], v[7:8], v[18:19]
	v_fma_f64 v[7:8], v[9:10], v[16:17], v[7:8]
	v_add_f64 v[9:10], v[20:21], v[24:25]
	v_add_f64 v[7:8], v[22:23], v[7:8]
	s_cbranch_scc1 .LBB434_2
; %bb.3:
	v_cmp_le_i32_e32 vcc, v2, v4
	s_and_saveexec_b64 s[6:7], vcc
	s_cbranch_execz .LBB434_5
.LBB434_4:
	s_load_dwordx2 s[6:7], s[4:5], 0x68
	s_load_dword s9, s[4:5], 0x60
	s_waitcnt lgkmcnt(0)
	s_mul_i32 s5, s7, s8
	s_mul_hi_u32 s7, s6, s8
	s_mul_i32 s4, s6, s8
	s_add_i32 s5, s7, s5
	v_mad_i64_i32 v[0:1], s[6:7], s9, v4, 0
	s_lshl_b64 s[4:5], s[4:5], 4
	s_add_u32 s4, s18, s4
	v_lshlrev_b64 v[0:1], 4, v[0:1]
	s_addc_u32 s5, s19, s5
	v_mov_b32_e32 v5, s5
	v_add_co_u32_e32 v6, vcc, s4, v0
	v_addc_co_u32_e32 v11, vcc, v5, v1, vcc
	v_lshlrev_b64 v[0:1], 4, v[2:3]
	v_add_co_u32_e32 v5, vcc, v6, v0
	v_addc_co_u32_e32 v6, vcc, v11, v1, vcc
	global_load_dwordx4 v[11:14], v[5:6], off
	v_mul_f64 v[0:1], s[0:1], v[7:8]
	v_mul_f64 v[7:8], s[2:3], v[7:8]
	v_cmp_ne_u32_e32 vcc, v2, v4
	v_fma_f64 v[0:1], s[2:3], v[9:10], v[0:1]
	v_fma_f64 v[7:8], s[0:1], v[9:10], -v[7:8]
	s_waitcnt vmcnt(0)
	v_mul_f64 v[15:16], s[14:15], v[13:14]
	v_mul_f64 v[13:14], s[16:17], v[13:14]
	v_fma_f64 v[15:16], s[16:17], v[11:12], v[15:16]
	v_fma_f64 v[9:10], s[14:15], v[11:12], -v[13:14]
	v_add_f64 v[11:12], v[0:1], v[15:16]
	v_add_f64 v[0:1], v[7:8], v[9:10]
	v_cndmask_b32_e32 v3, 0, v12, vcc
	v_cndmask_b32_e32 v2, 0, v11, vcc
	global_store_dwordx4 v[5:6], v[0:3], off
.LBB434_5:
	s_endpgm
.LBB434_6:
	v_mov_b32_e32 v7, 0
	v_mov_b32_e32 v9, 0
	;; [unrolled: 1-line block ×4, first 2 shown]
	v_cmp_le_i32_e32 vcc, v2, v4
	s_and_saveexec_b64 s[6:7], vcc
	s_cbranch_execnz .LBB434_4
	s_branch .LBB434_5
	.section	.rodata,"a",@progbits
	.p2align	6, 0x0
	.amdhsa_kernel _ZL41rocblas_syrkx_herkx_small_restrict_kernelIi19rocblas_complex_numIdELi16ELb0ELb1ELc78ELc85EKS1_S1_EviT_T0_PT6_S3_lS6_S3_lS4_PT7_S3_li
		.amdhsa_group_segment_fixed_size 8192
		.amdhsa_private_segment_fixed_size 0
		.amdhsa_kernarg_size 116
		.amdhsa_user_sgpr_count 6
		.amdhsa_user_sgpr_private_segment_buffer 1
		.amdhsa_user_sgpr_dispatch_ptr 0
		.amdhsa_user_sgpr_queue_ptr 0
		.amdhsa_user_sgpr_kernarg_segment_ptr 1
		.amdhsa_user_sgpr_dispatch_id 0
		.amdhsa_user_sgpr_flat_scratch_init 0
		.amdhsa_user_sgpr_private_segment_size 0
		.amdhsa_uses_dynamic_stack 0
		.amdhsa_system_sgpr_private_segment_wavefront_offset 0
		.amdhsa_system_sgpr_workgroup_id_x 1
		.amdhsa_system_sgpr_workgroup_id_y 1
		.amdhsa_system_sgpr_workgroup_id_z 1
		.amdhsa_system_sgpr_workgroup_info 0
		.amdhsa_system_vgpr_workitem_id 1
		.amdhsa_next_free_vgpr 38
		.amdhsa_next_free_sgpr 61
		.amdhsa_reserve_vcc 1
		.amdhsa_reserve_flat_scratch 0
		.amdhsa_float_round_mode_32 0
		.amdhsa_float_round_mode_16_64 0
		.amdhsa_float_denorm_mode_32 3
		.amdhsa_float_denorm_mode_16_64 3
		.amdhsa_dx10_clamp 1
		.amdhsa_ieee_mode 1
		.amdhsa_fp16_overflow 0
		.amdhsa_exception_fp_ieee_invalid_op 0
		.amdhsa_exception_fp_denorm_src 0
		.amdhsa_exception_fp_ieee_div_zero 0
		.amdhsa_exception_fp_ieee_overflow 0
		.amdhsa_exception_fp_ieee_underflow 0
		.amdhsa_exception_fp_ieee_inexact 0
		.amdhsa_exception_int_div_zero 0
	.end_amdhsa_kernel
	.section	.text._ZL41rocblas_syrkx_herkx_small_restrict_kernelIi19rocblas_complex_numIdELi16ELb0ELb1ELc78ELc85EKS1_S1_EviT_T0_PT6_S3_lS6_S3_lS4_PT7_S3_li,"axG",@progbits,_ZL41rocblas_syrkx_herkx_small_restrict_kernelIi19rocblas_complex_numIdELi16ELb0ELb1ELc78ELc85EKS1_S1_EviT_T0_PT6_S3_lS6_S3_lS4_PT7_S3_li,comdat
.Lfunc_end434:
	.size	_ZL41rocblas_syrkx_herkx_small_restrict_kernelIi19rocblas_complex_numIdELi16ELb0ELb1ELc78ELc85EKS1_S1_EviT_T0_PT6_S3_lS6_S3_lS4_PT7_S3_li, .Lfunc_end434-_ZL41rocblas_syrkx_herkx_small_restrict_kernelIi19rocblas_complex_numIdELi16ELb0ELb1ELc78ELc85EKS1_S1_EviT_T0_PT6_S3_lS6_S3_lS4_PT7_S3_li
                                        ; -- End function
	.set _ZL41rocblas_syrkx_herkx_small_restrict_kernelIi19rocblas_complex_numIdELi16ELb0ELb1ELc78ELc85EKS1_S1_EviT_T0_PT6_S3_lS6_S3_lS4_PT7_S3_li.num_vgpr, 38
	.set _ZL41rocblas_syrkx_herkx_small_restrict_kernelIi19rocblas_complex_numIdELi16ELb0ELb1ELc78ELc85EKS1_S1_EviT_T0_PT6_S3_lS6_S3_lS4_PT7_S3_li.num_agpr, 0
	.set _ZL41rocblas_syrkx_herkx_small_restrict_kernelIi19rocblas_complex_numIdELi16ELb0ELb1ELc78ELc85EKS1_S1_EviT_T0_PT6_S3_lS6_S3_lS4_PT7_S3_li.numbered_sgpr, 30
	.set _ZL41rocblas_syrkx_herkx_small_restrict_kernelIi19rocblas_complex_numIdELi16ELb0ELb1ELc78ELc85EKS1_S1_EviT_T0_PT6_S3_lS6_S3_lS4_PT7_S3_li.num_named_barrier, 0
	.set _ZL41rocblas_syrkx_herkx_small_restrict_kernelIi19rocblas_complex_numIdELi16ELb0ELb1ELc78ELc85EKS1_S1_EviT_T0_PT6_S3_lS6_S3_lS4_PT7_S3_li.private_seg_size, 0
	.set _ZL41rocblas_syrkx_herkx_small_restrict_kernelIi19rocblas_complex_numIdELi16ELb0ELb1ELc78ELc85EKS1_S1_EviT_T0_PT6_S3_lS6_S3_lS4_PT7_S3_li.uses_vcc, 1
	.set _ZL41rocblas_syrkx_herkx_small_restrict_kernelIi19rocblas_complex_numIdELi16ELb0ELb1ELc78ELc85EKS1_S1_EviT_T0_PT6_S3_lS6_S3_lS4_PT7_S3_li.uses_flat_scratch, 0
	.set _ZL41rocblas_syrkx_herkx_small_restrict_kernelIi19rocblas_complex_numIdELi16ELb0ELb1ELc78ELc85EKS1_S1_EviT_T0_PT6_S3_lS6_S3_lS4_PT7_S3_li.has_dyn_sized_stack, 0
	.set _ZL41rocblas_syrkx_herkx_small_restrict_kernelIi19rocblas_complex_numIdELi16ELb0ELb1ELc78ELc85EKS1_S1_EviT_T0_PT6_S3_lS6_S3_lS4_PT7_S3_li.has_recursion, 0
	.set _ZL41rocblas_syrkx_herkx_small_restrict_kernelIi19rocblas_complex_numIdELi16ELb0ELb1ELc78ELc85EKS1_S1_EviT_T0_PT6_S3_lS6_S3_lS4_PT7_S3_li.has_indirect_call, 0
	.section	.AMDGPU.csdata,"",@progbits
; Kernel info:
; codeLenInByte = 1752
; TotalNumSgprs: 34
; NumVgprs: 38
; ScratchSize: 0
; MemoryBound: 0
; FloatMode: 240
; IeeeMode: 1
; LDSByteSize: 8192 bytes/workgroup (compile time only)
; SGPRBlocks: 8
; VGPRBlocks: 9
; NumSGPRsForWavesPerEU: 65
; NumVGPRsForWavesPerEU: 38
; Occupancy: 6
; WaveLimiterHint : 0
; COMPUTE_PGM_RSRC2:SCRATCH_EN: 0
; COMPUTE_PGM_RSRC2:USER_SGPR: 6
; COMPUTE_PGM_RSRC2:TRAP_HANDLER: 0
; COMPUTE_PGM_RSRC2:TGID_X_EN: 1
; COMPUTE_PGM_RSRC2:TGID_Y_EN: 1
; COMPUTE_PGM_RSRC2:TGID_Z_EN: 1
; COMPUTE_PGM_RSRC2:TIDIG_COMP_CNT: 1
	.section	.text._ZL32rocblas_syrkx_herkx_small_kernelIi19rocblas_complex_numIdELi16ELb1ELb1ELc84ELc76EKS1_S1_EviT_T0_PT6_S3_lS6_S3_lS4_PT7_S3_li,"axG",@progbits,_ZL32rocblas_syrkx_herkx_small_kernelIi19rocblas_complex_numIdELi16ELb1ELb1ELc84ELc76EKS1_S1_EviT_T0_PT6_S3_lS6_S3_lS4_PT7_S3_li,comdat
	.globl	_ZL32rocblas_syrkx_herkx_small_kernelIi19rocblas_complex_numIdELi16ELb1ELb1ELc84ELc76EKS1_S1_EviT_T0_PT6_S3_lS6_S3_lS4_PT7_S3_li ; -- Begin function _ZL32rocblas_syrkx_herkx_small_kernelIi19rocblas_complex_numIdELi16ELb1ELb1ELc84ELc76EKS1_S1_EviT_T0_PT6_S3_lS6_S3_lS4_PT7_S3_li
	.p2align	8
	.type	_ZL32rocblas_syrkx_herkx_small_kernelIi19rocblas_complex_numIdELi16ELb1ELb1ELc84ELc76EKS1_S1_EviT_T0_PT6_S3_lS6_S3_lS4_PT7_S3_li,@function
_ZL32rocblas_syrkx_herkx_small_kernelIi19rocblas_complex_numIdELi16ELb1ELb1ELc84ELc76EKS1_S1_EviT_T0_PT6_S3_lS6_S3_lS4_PT7_S3_li: ; @_ZL32rocblas_syrkx_herkx_small_kernelIi19rocblas_complex_numIdELi16ELb1ELb1ELc84ELc76EKS1_S1_EviT_T0_PT6_S3_lS6_S3_lS4_PT7_S3_li
; %bb.0:
	s_load_dwordx2 s[10:11], s[4:5], 0x0
	s_load_dwordx4 s[12:15], s[4:5], 0x8
	s_load_dwordx2 s[16:17], s[4:5], 0x18
	v_lshl_add_u32 v6, s6, 4, v0
	s_mov_b32 s9, 0
	v_lshl_add_u32 v15, s7, 4, v1
	s_waitcnt lgkmcnt(0)
	s_cmp_lt_i32 s11, 1
	v_cmp_gt_i32_e32 vcc, s10, v6
	s_cbranch_scc1 .LBB435_11
; %bb.1:
	s_load_dword s6, s[4:5], 0x20
	s_load_dwordx4 s[20:23], s[4:5], 0x28
	s_load_dword s0, s[4:5], 0x38
	s_load_dwordx2 s[2:3], s[4:5], 0x40
	v_lshlrev_b32_e32 v4, 8, v1
	v_lshlrev_b32_e32 v16, 4, v0
	v_add_u32_e32 v17, v16, v4
	s_waitcnt lgkmcnt(0)
	v_mad_i64_i32 v[2:3], s[0:1], s0, v15, 0
	s_mul_i32 s3, s3, s8
	s_mul_hi_u32 s7, s2, s8
	v_lshlrev_b64 v[2:3], 4, v[2:3]
	s_add_i32 s3, s7, s3
	s_mul_i32 s2, s2, s8
	s_lshl_b64 s[2:3], s[2:3], 4
	v_add_u32_e32 v18, 0x1000, v4
	v_mov_b32_e32 v4, s3
	v_add_co_u32_e64 v2, s[2:3], s2, v2
	v_addc_co_u32_e64 v3, s[2:3], v3, v4, s[2:3]
	v_add_co_u32_e64 v4, s[2:3], v2, v16
	v_addc_co_u32_e64 v5, s[2:3], 0, v3, s[2:3]
	v_mad_i64_i32 v[2:3], s[2:3], s6, v6, 0
	v_mov_b32_e32 v8, s23
	v_add_co_u32_e64 v7, s[2:3], s22, v4
	v_addc_co_u32_e64 v8, s[2:3], v8, v5, s[2:3]
	s_mul_i32 s2, s21, s8
	s_mul_hi_u32 s3, s20, s8
	v_lshlrev_b64 v[2:3], 4, v[2:3]
	s_add_i32 s3, s3, s2
	s_mul_i32 s2, s20, s8
	s_lshl_b64 s[2:3], s[2:3], 4
	v_mov_b32_e32 v4, s3
	v_add_co_u32_e64 v2, s[2:3], s2, v2
	v_addc_co_u32_e64 v3, s[2:3], v3, v4, s[2:3]
	v_lshlrev_b32_e32 v4, 4, v1
	v_add_co_u32_e64 v2, s[2:3], v2, v4
	v_addc_co_u32_e64 v3, s[2:3], 0, v3, s[2:3]
	v_mov_b32_e32 v4, s17
	v_add_co_u32_e64 v9, s[2:3], s16, v2
	v_cmp_gt_i32_e64 s[0:1], s10, v15
	v_addc_co_u32_e64 v10, s[2:3], v4, v3, s[2:3]
	v_mov_b32_e32 v13, 0
	v_mov_b32_e32 v11, 0
	v_add_u32_e32 v19, v18, v16
	v_mov_b32_e32 v14, 0
	s_xor_b64 s[2:3], vcc, -1
	s_xor_b64 s[0:1], s[0:1], -1
	v_mov_b32_e32 v12, 0
	v_mov_b32_e32 v2, 0
	s_branch .LBB435_3
.LBB435_2:                              ;   in Loop: Header=BB435_3 Depth=1
	s_or_b64 exec, exec, s[6:7]
	s_waitcnt lgkmcnt(0)
	s_barrier
	ds_read_b128 v[20:23], v18
	ds_read_b128 v[24:27], v18 offset:16
	ds_read_b128 v[28:31], v18 offset:32
	;; [unrolled: 1-line block ×3, first 2 shown]
	ds_read_b128 v[36:39], v16
	v_add_co_u32_e32 v7, vcc, 0x100, v7
	v_addc_co_u32_e32 v8, vcc, 0, v8, vcc
	s_waitcnt lgkmcnt(0)
	v_mul_f64 v[3:4], v[22:23], v[38:39]
	s_add_i32 s9, s9, 16
	v_add_co_u32_e32 v9, vcc, 0x100, v9
	v_addc_co_u32_e32 v10, vcc, 0, v10, vcc
	s_cmp_ge_i32 s9, s11
	v_fma_f64 v[3:4], v[20:21], v[36:37], -v[3:4]
	v_mul_f64 v[20:21], v[20:21], v[38:39]
	v_add_f64 v[3:4], v[11:12], v[3:4]
	v_fma_f64 v[20:21], v[22:23], v[36:37], v[20:21]
	v_add_f64 v[20:21], v[13:14], v[20:21]
	ds_read_b128 v[11:14], v16 offset:256
	s_waitcnt lgkmcnt(0)
	v_mul_f64 v[22:23], v[26:27], v[13:14]
	v_mul_f64 v[13:14], v[24:25], v[13:14]
	v_fma_f64 v[22:23], v[24:25], v[11:12], -v[22:23]
	v_fma_f64 v[11:12], v[26:27], v[11:12], v[13:14]
	v_add_f64 v[3:4], v[3:4], v[22:23]
	v_add_f64 v[20:21], v[20:21], v[11:12]
	ds_read_b128 v[11:14], v16 offset:512
	s_waitcnt lgkmcnt(0)
	v_mul_f64 v[22:23], v[30:31], v[13:14]
	v_mul_f64 v[13:14], v[28:29], v[13:14]
	v_fma_f64 v[22:23], v[28:29], v[11:12], -v[22:23]
	v_fma_f64 v[11:12], v[30:31], v[11:12], v[13:14]
	v_add_f64 v[3:4], v[3:4], v[22:23]
	;; [unrolled: 8-line block ×3, first 2 shown]
	v_add_f64 v[24:25], v[20:21], v[11:12]
	ds_read_b128 v[11:14], v18 offset:64
	ds_read_b128 v[20:23], v16 offset:1024
	s_waitcnt lgkmcnt(0)
	v_mul_f64 v[26:27], v[13:14], v[22:23]
	v_fma_f64 v[26:27], v[11:12], v[20:21], -v[26:27]
	v_mul_f64 v[11:12], v[11:12], v[22:23]
	v_add_f64 v[3:4], v[3:4], v[26:27]
	v_fma_f64 v[11:12], v[13:14], v[20:21], v[11:12]
	v_add_f64 v[24:25], v[24:25], v[11:12]
	ds_read_b128 v[11:14], v18 offset:80
	ds_read_b128 v[20:23], v16 offset:1280
	s_waitcnt lgkmcnt(0)
	v_mul_f64 v[26:27], v[13:14], v[22:23]
	v_fma_f64 v[26:27], v[11:12], v[20:21], -v[26:27]
	v_mul_f64 v[11:12], v[11:12], v[22:23]
	v_add_f64 v[3:4], v[3:4], v[26:27]
	v_fma_f64 v[11:12], v[13:14], v[20:21], v[11:12]
	;; [unrolled: 9-line block ×11, first 2 shown]
	v_add_f64 v[24:25], v[24:25], v[11:12]
	ds_read_b128 v[11:14], v18 offset:240
	ds_read_b128 v[20:23], v16 offset:3840
	s_waitcnt lgkmcnt(0)
	s_barrier
	v_mul_f64 v[26:27], v[13:14], v[22:23]
	v_fma_f64 v[26:27], v[11:12], v[20:21], -v[26:27]
	v_mul_f64 v[11:12], v[11:12], v[22:23]
	v_fma_f64 v[13:14], v[13:14], v[20:21], v[11:12]
	v_add_f64 v[11:12], v[3:4], v[26:27]
	v_add_f64 v[13:14], v[24:25], v[13:14]
	s_cbranch_scc1 .LBB435_12
.LBB435_3:                              ; =>This Inner Loop Header: Depth=1
	v_add_u32_e32 v3, s9, v1
	v_cmp_le_i32_e32 vcc, s11, v3
	s_or_b64 s[6:7], s[2:3], vcc
	s_and_saveexec_b64 s[16:17], s[6:7]
	s_xor_b64 s[6:7], exec, s[16:17]
; %bb.4:                                ;   in Loop: Header=BB435_3 Depth=1
	v_mov_b32_e32 v3, v2
	v_mov_b32_e32 v4, v2
	;; [unrolled: 1-line block ×3, first 2 shown]
	ds_write_b128 v17, v[2:5]
; %bb.5:                                ;   in Loop: Header=BB435_3 Depth=1
	s_andn2_saveexec_b64 s[6:7], s[6:7]
	s_cbranch_execz .LBB435_7
; %bb.6:                                ;   in Loop: Header=BB435_3 Depth=1
	global_load_dwordx4 v[20:23], v[9:10], off
	s_waitcnt vmcnt(0)
	ds_write2_b64 v17, v[20:21], v[22:23] offset1:1
.LBB435_7:                              ;   in Loop: Header=BB435_3 Depth=1
	s_or_b64 exec, exec, s[6:7]
	v_add_u32_e32 v3, s9, v0
	v_cmp_le_i32_e32 vcc, s11, v3
	s_or_b64 s[6:7], s[0:1], vcc
	s_and_saveexec_b64 s[16:17], s[6:7]
	s_xor_b64 s[6:7], exec, s[16:17]
; %bb.8:                                ;   in Loop: Header=BB435_3 Depth=1
	v_mov_b32_e32 v3, v2
	v_mov_b32_e32 v4, v2
	;; [unrolled: 1-line block ×3, first 2 shown]
	ds_write_b128 v19, v[2:5]
; %bb.9:                                ;   in Loop: Header=BB435_3 Depth=1
	s_andn2_saveexec_b64 s[6:7], s[6:7]
	s_cbranch_execz .LBB435_2
; %bb.10:                               ;   in Loop: Header=BB435_3 Depth=1
	global_load_dwordx4 v[20:23], v[7:8], off
	s_waitcnt vmcnt(0)
	ds_write2_b64 v19, v[20:21], v[22:23] offset1:1
	s_branch .LBB435_2
.LBB435_11:
	v_mov_b32_e32 v13, 0
	v_mov_b32_e32 v11, 0
	;; [unrolled: 1-line block ×4, first 2 shown]
.LBB435_12:
	v_cmp_le_i32_e32 vcc, v15, v6
	v_cmp_gt_i32_e64 s[0:1], s10, v6
	s_and_b64 s[0:1], vcc, s[0:1]
	s_and_saveexec_b64 s[2:3], s[0:1]
	s_cbranch_execz .LBB435_14
; %bb.13:
	s_load_dwordx2 s[0:1], s[4:5], 0x68
	s_load_dwordx2 s[2:3], s[4:5], 0x58
	s_load_dword s6, s[4:5], 0x60
	v_mul_f64 v[2:3], s[12:13], v[13:14]
	v_mul_f64 v[0:1], s[14:15], v[13:14]
	s_waitcnt lgkmcnt(0)
	s_mul_i32 s1, s1, s8
	s_mul_hi_u32 s4, s0, s8
	s_add_i32 s1, s4, s1
	s_mul_i32 s0, s0, s8
	s_lshl_b64 s[0:1], s[0:1], 4
	s_add_u32 s2, s2, s0
	s_addc_u32 s3, s3, s1
	v_mad_i64_i32 v[4:5], s[0:1], s6, v15, 0
	v_fma_f64 v[2:3], s[14:15], v[11:12], v[2:3]
	v_fma_f64 v[0:1], s[12:13], v[11:12], -v[0:1]
	v_lshlrev_b64 v[4:5], 4, v[4:5]
	v_ashrrev_i32_e32 v7, 31, v6
	v_mov_b32_e32 v8, s3
	v_add_co_u32_e32 v9, vcc, s2, v4
	v_addc_co_u32_e32 v8, vcc, v8, v5, vcc
	v_lshlrev_b64 v[4:5], 4, v[6:7]
	v_add_co_u32_e32 v4, vcc, v9, v4
	v_addc_co_u32_e32 v5, vcc, v8, v5, vcc
	v_cmp_ne_u32_e32 vcc, v6, v15
	v_cndmask_b32_e32 v3, 0, v3, vcc
	v_cndmask_b32_e32 v2, 0, v2, vcc
	global_store_dwordx4 v[4:5], v[0:3], off
.LBB435_14:
	s_endpgm
	.section	.rodata,"a",@progbits
	.p2align	6, 0x0
	.amdhsa_kernel _ZL32rocblas_syrkx_herkx_small_kernelIi19rocblas_complex_numIdELi16ELb1ELb1ELc84ELc76EKS1_S1_EviT_T0_PT6_S3_lS6_S3_lS4_PT7_S3_li
		.amdhsa_group_segment_fixed_size 8192
		.amdhsa_private_segment_fixed_size 0
		.amdhsa_kernarg_size 116
		.amdhsa_user_sgpr_count 6
		.amdhsa_user_sgpr_private_segment_buffer 1
		.amdhsa_user_sgpr_dispatch_ptr 0
		.amdhsa_user_sgpr_queue_ptr 0
		.amdhsa_user_sgpr_kernarg_segment_ptr 1
		.amdhsa_user_sgpr_dispatch_id 0
		.amdhsa_user_sgpr_flat_scratch_init 0
		.amdhsa_user_sgpr_private_segment_size 0
		.amdhsa_uses_dynamic_stack 0
		.amdhsa_system_sgpr_private_segment_wavefront_offset 0
		.amdhsa_system_sgpr_workgroup_id_x 1
		.amdhsa_system_sgpr_workgroup_id_y 1
		.amdhsa_system_sgpr_workgroup_id_z 1
		.amdhsa_system_sgpr_workgroup_info 0
		.amdhsa_system_vgpr_workitem_id 1
		.amdhsa_next_free_vgpr 40
		.amdhsa_next_free_sgpr 61
		.amdhsa_reserve_vcc 1
		.amdhsa_reserve_flat_scratch 0
		.amdhsa_float_round_mode_32 0
		.amdhsa_float_round_mode_16_64 0
		.amdhsa_float_denorm_mode_32 3
		.amdhsa_float_denorm_mode_16_64 3
		.amdhsa_dx10_clamp 1
		.amdhsa_ieee_mode 1
		.amdhsa_fp16_overflow 0
		.amdhsa_exception_fp_ieee_invalid_op 0
		.amdhsa_exception_fp_denorm_src 0
		.amdhsa_exception_fp_ieee_div_zero 0
		.amdhsa_exception_fp_ieee_overflow 0
		.amdhsa_exception_fp_ieee_underflow 0
		.amdhsa_exception_fp_ieee_inexact 0
		.amdhsa_exception_int_div_zero 0
	.end_amdhsa_kernel
	.section	.text._ZL32rocblas_syrkx_herkx_small_kernelIi19rocblas_complex_numIdELi16ELb1ELb1ELc84ELc76EKS1_S1_EviT_T0_PT6_S3_lS6_S3_lS4_PT7_S3_li,"axG",@progbits,_ZL32rocblas_syrkx_herkx_small_kernelIi19rocblas_complex_numIdELi16ELb1ELb1ELc84ELc76EKS1_S1_EviT_T0_PT6_S3_lS6_S3_lS4_PT7_S3_li,comdat
.Lfunc_end435:
	.size	_ZL32rocblas_syrkx_herkx_small_kernelIi19rocblas_complex_numIdELi16ELb1ELb1ELc84ELc76EKS1_S1_EviT_T0_PT6_S3_lS6_S3_lS4_PT7_S3_li, .Lfunc_end435-_ZL32rocblas_syrkx_herkx_small_kernelIi19rocblas_complex_numIdELi16ELb1ELb1ELc84ELc76EKS1_S1_EviT_T0_PT6_S3_lS6_S3_lS4_PT7_S3_li
                                        ; -- End function
	.set _ZL32rocblas_syrkx_herkx_small_kernelIi19rocblas_complex_numIdELi16ELb1ELb1ELc84ELc76EKS1_S1_EviT_T0_PT6_S3_lS6_S3_lS4_PT7_S3_li.num_vgpr, 40
	.set _ZL32rocblas_syrkx_herkx_small_kernelIi19rocblas_complex_numIdELi16ELb1ELb1ELc84ELc76EKS1_S1_EviT_T0_PT6_S3_lS6_S3_lS4_PT7_S3_li.num_agpr, 0
	.set _ZL32rocblas_syrkx_herkx_small_kernelIi19rocblas_complex_numIdELi16ELb1ELb1ELc84ELc76EKS1_S1_EviT_T0_PT6_S3_lS6_S3_lS4_PT7_S3_li.numbered_sgpr, 24
	.set _ZL32rocblas_syrkx_herkx_small_kernelIi19rocblas_complex_numIdELi16ELb1ELb1ELc84ELc76EKS1_S1_EviT_T0_PT6_S3_lS6_S3_lS4_PT7_S3_li.num_named_barrier, 0
	.set _ZL32rocblas_syrkx_herkx_small_kernelIi19rocblas_complex_numIdELi16ELb1ELb1ELc84ELc76EKS1_S1_EviT_T0_PT6_S3_lS6_S3_lS4_PT7_S3_li.private_seg_size, 0
	.set _ZL32rocblas_syrkx_herkx_small_kernelIi19rocblas_complex_numIdELi16ELb1ELb1ELc84ELc76EKS1_S1_EviT_T0_PT6_S3_lS6_S3_lS4_PT7_S3_li.uses_vcc, 1
	.set _ZL32rocblas_syrkx_herkx_small_kernelIi19rocblas_complex_numIdELi16ELb1ELb1ELc84ELc76EKS1_S1_EviT_T0_PT6_S3_lS6_S3_lS4_PT7_S3_li.uses_flat_scratch, 0
	.set _ZL32rocblas_syrkx_herkx_small_kernelIi19rocblas_complex_numIdELi16ELb1ELb1ELc84ELc76EKS1_S1_EviT_T0_PT6_S3_lS6_S3_lS4_PT7_S3_li.has_dyn_sized_stack, 0
	.set _ZL32rocblas_syrkx_herkx_small_kernelIi19rocblas_complex_numIdELi16ELb1ELb1ELc84ELc76EKS1_S1_EviT_T0_PT6_S3_lS6_S3_lS4_PT7_S3_li.has_recursion, 0
	.set _ZL32rocblas_syrkx_herkx_small_kernelIi19rocblas_complex_numIdELi16ELb1ELb1ELc84ELc76EKS1_S1_EviT_T0_PT6_S3_lS6_S3_lS4_PT7_S3_li.has_indirect_call, 0
	.section	.AMDGPU.csdata,"",@progbits
; Kernel info:
; codeLenInByte = 1832
; TotalNumSgprs: 28
; NumVgprs: 40
; ScratchSize: 0
; MemoryBound: 0
; FloatMode: 240
; IeeeMode: 1
; LDSByteSize: 8192 bytes/workgroup (compile time only)
; SGPRBlocks: 8
; VGPRBlocks: 9
; NumSGPRsForWavesPerEU: 65
; NumVGPRsForWavesPerEU: 40
; Occupancy: 6
; WaveLimiterHint : 0
; COMPUTE_PGM_RSRC2:SCRATCH_EN: 0
; COMPUTE_PGM_RSRC2:USER_SGPR: 6
; COMPUTE_PGM_RSRC2:TRAP_HANDLER: 0
; COMPUTE_PGM_RSRC2:TGID_X_EN: 1
; COMPUTE_PGM_RSRC2:TGID_Y_EN: 1
; COMPUTE_PGM_RSRC2:TGID_Z_EN: 1
; COMPUTE_PGM_RSRC2:TIDIG_COMP_CNT: 1
	.section	.text._ZL32rocblas_syrkx_herkx_small_kernelIi19rocblas_complex_numIdELi16ELb1ELb1ELc67ELc76EKS1_S1_EviT_T0_PT6_S3_lS6_S3_lS4_PT7_S3_li,"axG",@progbits,_ZL32rocblas_syrkx_herkx_small_kernelIi19rocblas_complex_numIdELi16ELb1ELb1ELc67ELc76EKS1_S1_EviT_T0_PT6_S3_lS6_S3_lS4_PT7_S3_li,comdat
	.globl	_ZL32rocblas_syrkx_herkx_small_kernelIi19rocblas_complex_numIdELi16ELb1ELb1ELc67ELc76EKS1_S1_EviT_T0_PT6_S3_lS6_S3_lS4_PT7_S3_li ; -- Begin function _ZL32rocblas_syrkx_herkx_small_kernelIi19rocblas_complex_numIdELi16ELb1ELb1ELc67ELc76EKS1_S1_EviT_T0_PT6_S3_lS6_S3_lS4_PT7_S3_li
	.p2align	8
	.type	_ZL32rocblas_syrkx_herkx_small_kernelIi19rocblas_complex_numIdELi16ELb1ELb1ELc67ELc76EKS1_S1_EviT_T0_PT6_S3_lS6_S3_lS4_PT7_S3_li,@function
_ZL32rocblas_syrkx_herkx_small_kernelIi19rocblas_complex_numIdELi16ELb1ELb1ELc67ELc76EKS1_S1_EviT_T0_PT6_S3_lS6_S3_lS4_PT7_S3_li: ; @_ZL32rocblas_syrkx_herkx_small_kernelIi19rocblas_complex_numIdELi16ELb1ELb1ELc67ELc76EKS1_S1_EviT_T0_PT6_S3_lS6_S3_lS4_PT7_S3_li
; %bb.0:
	s_load_dwordx2 s[10:11], s[4:5], 0x0
	s_load_dwordx4 s[12:15], s[4:5], 0x8
	s_load_dwordx2 s[16:17], s[4:5], 0x18
	v_lshl_add_u32 v7, s6, 4, v0
	s_mov_b32 s9, 0
	v_lshl_add_u32 v16, s7, 4, v1
	s_waitcnt lgkmcnt(0)
	s_cmp_lt_i32 s11, 1
	v_cmp_gt_i32_e64 s[0:1], s10, v7
	s_cbranch_scc1 .LBB436_9
; %bb.1:
	s_load_dword s18, s[4:5], 0x20
	s_load_dwordx4 s[20:23], s[4:5], 0x28
	s_load_dword s6, s[4:5], 0x38
	s_load_dwordx2 s[2:3], s[4:5], 0x40
	v_lshlrev_b32_e32 v4, 8, v1
	v_lshlrev_b32_e32 v17, 4, v0
	v_add_u32_e32 v18, v17, v4
	s_waitcnt lgkmcnt(0)
	v_mad_i64_i32 v[2:3], s[6:7], s6, v16, 0
	s_mul_i32 s3, s3, s8
	s_mul_hi_u32 s6, s2, s8
	v_lshlrev_b64 v[2:3], 4, v[2:3]
	s_add_i32 s3, s6, s3
	s_mul_i32 s2, s2, s8
	s_lshl_b64 s[2:3], s[2:3], 4
	v_add_u32_e32 v19, 0x1000, v4
	v_mov_b32_e32 v4, s3
	v_add_co_u32_e64 v2, s[2:3], s2, v2
	v_addc_co_u32_e64 v3, s[2:3], v3, v4, s[2:3]
	v_add_co_u32_e64 v4, s[2:3], v2, v17
	v_addc_co_u32_e64 v5, s[2:3], 0, v3, s[2:3]
	v_mad_i64_i32 v[2:3], s[2:3], s18, v7, 0
	v_mov_b32_e32 v6, s23
	v_add_co_u32_e64 v8, s[2:3], s22, v4
	v_addc_co_u32_e64 v9, s[2:3], v6, v5, s[2:3]
	s_mul_i32 s2, s21, s8
	s_mul_hi_u32 s3, s20, s8
	v_lshlrev_b64 v[2:3], 4, v[2:3]
	s_add_i32 s3, s3, s2
	s_mul_i32 s2, s20, s8
	s_lshl_b64 s[2:3], s[2:3], 4
	v_mov_b32_e32 v4, s3
	v_add_co_u32_e64 v2, s[2:3], s2, v2
	v_addc_co_u32_e64 v3, s[2:3], v3, v4, s[2:3]
	v_lshlrev_b32_e32 v4, 4, v1
	v_add_co_u32_e64 v2, s[2:3], v2, v4
	v_addc_co_u32_e64 v3, s[2:3], 0, v3, s[2:3]
	v_mov_b32_e32 v4, s17
	v_add_co_u32_e64 v2, s[2:3], s16, v2
	v_addc_co_u32_e64 v3, s[2:3], v4, v3, s[2:3]
	v_add_co_u32_e64 v10, s[2:3], 8, v2
	v_cmp_gt_i32_e32 vcc, s10, v16
	v_addc_co_u32_e64 v11, s[2:3], 0, v3, s[2:3]
	v_mov_b32_e32 v14, 0
	v_mov_b32_e32 v12, 0
	v_add_u32_e32 v20, v19, v17
	v_mov_b32_e32 v15, 0
	s_xor_b64 s[2:3], vcc, -1
	v_mov_b32_e32 v13, 0
	v_mov_b32_e32 v2, 0
	s_branch .LBB436_3
.LBB436_2:                              ;   in Loop: Header=BB436_3 Depth=1
	s_or_b64 exec, exec, s[6:7]
	s_waitcnt lgkmcnt(0)
	s_barrier
	ds_read_b128 v[3:6], v17
	ds_read_b128 v[21:24], v19
	ds_read_b128 v[25:28], v19 offset:16
	ds_read_b128 v[29:32], v17 offset:256
	;; [unrolled: 1-line block ×4, first 2 shown]
	s_waitcnt lgkmcnt(4)
	v_mul_f64 v[41:42], v[23:24], v[5:6]
	v_mul_f64 v[5:6], v[21:22], v[5:6]
	s_waitcnt lgkmcnt(2)
	v_mul_f64 v[43:44], v[27:28], v[31:32]
	v_mul_f64 v[31:32], v[25:26], v[31:32]
	s_waitcnt lgkmcnt(0)
	v_mul_f64 v[47:48], v[35:36], v[39:40]
	v_add_co_u32_e32 v8, vcc, 0x100, v8
	v_addc_co_u32_e32 v9, vcc, 0, v9, vcc
	v_fma_f64 v[41:42], v[21:22], v[3:4], -v[41:42]
	v_fma_f64 v[45:46], v[23:24], v[3:4], v[5:6]
	v_fma_f64 v[25:26], v[25:26], v[29:30], -v[43:44]
	v_fma_f64 v[27:28], v[27:28], v[29:30], v[31:32]
	v_mul_f64 v[29:30], v[33:34], v[39:40]
	ds_read_b128 v[3:6], v19 offset:48
	ds_read_b128 v[21:24], v17 offset:768
	v_fma_f64 v[33:34], v[33:34], v[37:38], -v[47:48]
	s_add_i32 s9, s9, 16
	v_add_f64 v[31:32], v[12:13], v[41:42]
	v_add_f64 v[39:40], v[14:15], v[45:46]
	s_waitcnt lgkmcnt(0)
	v_mul_f64 v[41:42], v[5:6], v[23:24]
	v_mul_f64 v[43:44], v[3:4], v[23:24]
	v_fma_f64 v[35:36], v[35:36], v[37:38], v[29:30]
	ds_read_b128 v[12:15], v19 offset:64
	v_add_co_u32_e32 v10, vcc, 0x100, v10
	v_add_f64 v[31:32], v[31:32], v[25:26]
	v_add_f64 v[37:38], v[39:40], v[27:28]
	ds_read_b128 v[23:26], v17 offset:1024
	v_fma_f64 v[39:40], v[3:4], v[21:22], -v[41:42]
	v_fma_f64 v[21:22], v[5:6], v[21:22], v[43:44]
	ds_read_b128 v[3:6], v19 offset:80
	ds_read_b128 v[27:30], v17 offset:1280
	s_cmp_ge_i32 s9, s11
	s_waitcnt lgkmcnt(2)
	v_mul_f64 v[41:42], v[14:15], v[25:26]
	v_mul_f64 v[25:26], v[12:13], v[25:26]
	v_add_f64 v[43:44], v[31:32], v[33:34]
	v_add_f64 v[35:36], v[37:38], v[35:36]
	s_waitcnt lgkmcnt(0)
	v_mul_f64 v[45:46], v[5:6], v[29:30]
	v_mul_f64 v[29:30], v[3:4], v[29:30]
	ds_read_b128 v[31:34], v19 offset:96
	v_addc_co_u32_e32 v11, vcc, 0, v11, vcc
	v_fma_f64 v[41:42], v[12:13], v[23:24], -v[41:42]
	v_fma_f64 v[25:26], v[14:15], v[23:24], v[25:26]
	v_add_f64 v[39:40], v[43:44], v[39:40]
	v_add_f64 v[43:44], v[35:36], v[21:22]
	ds_read_b128 v[12:15], v17 offset:1536
	v_fma_f64 v[45:46], v[3:4], v[27:28], -v[45:46]
	v_fma_f64 v[27:28], v[5:6], v[27:28], v[29:30]
	ds_read_b128 v[21:24], v19 offset:112
	ds_read_b128 v[35:38], v17 offset:1792
	;; [unrolled: 1-line block ×3, first 2 shown]
	s_waitcnt lgkmcnt(3)
	v_mul_f64 v[47:48], v[33:34], v[14:15]
	v_mul_f64 v[14:15], v[31:32], v[14:15]
	v_add_f64 v[29:30], v[39:40], v[41:42]
	v_add_f64 v[25:26], v[43:44], v[25:26]
	s_waitcnt lgkmcnt(1)
	v_mul_f64 v[39:40], v[23:24], v[37:38]
	v_mul_f64 v[37:38], v[21:22], v[37:38]
	v_fma_f64 v[31:32], v[31:32], v[12:13], -v[47:48]
	v_fma_f64 v[33:34], v[33:34], v[12:13], v[14:15]
	v_add_f64 v[29:30], v[29:30], v[45:46]
	v_add_f64 v[41:42], v[25:26], v[27:28]
	ds_read_b128 v[12:15], v17 offset:2048
	v_fma_f64 v[39:40], v[21:22], v[35:36], -v[39:40]
	v_fma_f64 v[35:36], v[23:24], v[35:36], v[37:38]
	ds_read_b128 v[21:24], v19 offset:144
	ds_read_b128 v[25:28], v17 offset:2304
	s_waitcnt lgkmcnt(2)
	v_mul_f64 v[37:38], v[5:6], v[14:15]
	v_mul_f64 v[14:15], v[3:4], v[14:15]
	v_add_f64 v[43:44], v[29:30], v[31:32]
	v_add_f64 v[33:34], v[41:42], v[33:34]
	s_waitcnt lgkmcnt(0)
	v_mul_f64 v[41:42], v[23:24], v[27:28]
	v_mul_f64 v[27:28], v[21:22], v[27:28]
	ds_read_b128 v[29:32], v19 offset:160
	v_fma_f64 v[37:38], v[3:4], v[12:13], -v[37:38]
	v_fma_f64 v[45:46], v[5:6], v[12:13], v[14:15]
	v_add_f64 v[39:40], v[43:44], v[39:40]
	v_add_f64 v[43:44], v[33:34], v[35:36]
	ds_read_b128 v[3:6], v17 offset:2560
	v_fma_f64 v[41:42], v[21:22], v[25:26], -v[41:42]
	v_fma_f64 v[25:26], v[23:24], v[25:26], v[27:28]
	ds_read_b128 v[12:15], v19 offset:176
	ds_read_b128 v[33:36], v17 offset:2816
	;; [unrolled: 1-line block ×3, first 2 shown]
	s_waitcnt lgkmcnt(3)
	v_mul_f64 v[47:48], v[31:32], v[5:6]
	v_mul_f64 v[5:6], v[29:30], v[5:6]
	v_add_f64 v[27:28], v[39:40], v[37:38]
	v_add_f64 v[37:38], v[43:44], v[45:46]
	s_waitcnt lgkmcnt(1)
	v_mul_f64 v[39:40], v[14:15], v[35:36]
	v_mul_f64 v[35:36], v[12:13], v[35:36]
	v_fma_f64 v[29:30], v[29:30], v[3:4], -v[47:48]
	v_fma_f64 v[31:32], v[31:32], v[3:4], v[5:6]
	v_add_f64 v[41:42], v[27:28], v[41:42]
	v_add_f64 v[37:38], v[37:38], v[25:26]
	ds_read_b128 v[3:6], v17 offset:3072
	v_fma_f64 v[39:40], v[12:13], v[33:34], -v[39:40]
	v_fma_f64 v[33:34], v[14:15], v[33:34], v[35:36]
	ds_read_b128 v[12:15], v19 offset:208
	ds_read_b128 v[25:28], v17 offset:3328
	s_waitcnt lgkmcnt(2)
	v_mul_f64 v[35:36], v[23:24], v[5:6]
	v_mul_f64 v[5:6], v[21:22], v[5:6]
	v_add_f64 v[41:42], v[41:42], v[29:30]
	v_add_f64 v[37:38], v[37:38], v[31:32]
	s_waitcnt lgkmcnt(0)
	v_mul_f64 v[43:44], v[14:15], v[27:28]
	v_mul_f64 v[27:28], v[12:13], v[27:28]
	ds_read_b128 v[29:32], v19 offset:224
	v_fma_f64 v[45:46], v[21:22], v[3:4], -v[35:36]
	v_fma_f64 v[47:48], v[23:24], v[3:4], v[5:6]
	v_add_f64 v[39:40], v[41:42], v[39:40]
	v_add_f64 v[37:38], v[37:38], v[33:34]
	ds_read_b128 v[3:6], v17 offset:3584
	v_fma_f64 v[12:13], v[12:13], v[25:26], -v[43:44]
	v_fma_f64 v[14:15], v[14:15], v[25:26], v[27:28]
	ds_read_b128 v[21:24], v19 offset:240
	ds_read_b128 v[33:36], v17 offset:3840
	s_waitcnt lgkmcnt(0)
	v_mul_f64 v[41:42], v[31:32], v[5:6]
	v_mul_f64 v[5:6], v[29:30], v[5:6]
	v_add_f64 v[25:26], v[39:40], v[45:46]
	v_add_f64 v[27:28], v[37:38], v[47:48]
	v_mul_f64 v[37:38], v[23:24], v[35:36]
	v_mul_f64 v[35:36], v[21:22], v[35:36]
	s_barrier
	v_fma_f64 v[29:30], v[29:30], v[3:4], -v[41:42]
	v_fma_f64 v[3:4], v[31:32], v[3:4], v[5:6]
	v_add_f64 v[5:6], v[25:26], v[12:13]
	v_add_f64 v[12:13], v[27:28], v[14:15]
	v_fma_f64 v[14:15], v[21:22], v[33:34], -v[37:38]
	v_fma_f64 v[21:22], v[23:24], v[33:34], v[35:36]
	v_add_f64 v[5:6], v[5:6], v[29:30]
	v_add_f64 v[3:4], v[12:13], v[3:4]
	v_add_f64 v[12:13], v[5:6], v[14:15]
	v_add_f64 v[14:15], v[3:4], v[21:22]
	s_cbranch_scc1 .LBB436_10
.LBB436_3:                              ; =>This Inner Loop Header: Depth=1
	v_add_u32_e32 v3, s9, v1
	v_cmp_gt_i32_e32 vcc, s11, v3
	v_mov_b32_e32 v3, 0
	v_mov_b32_e32 v5, 0
	;; [unrolled: 1-line block ×4, first 2 shown]
	s_and_b64 s[16:17], s[0:1], vcc
	s_and_saveexec_b64 s[6:7], s[16:17]
	s_cbranch_execz .LBB436_5
; %bb.4:                                ;   in Loop: Header=BB436_3 Depth=1
	global_load_dwordx4 v[3:6], v[10:11], off offset:-8
	s_waitcnt vmcnt(0)
	v_xor_b32_e32 v6, 0x80000000, v6
.LBB436_5:                              ;   in Loop: Header=BB436_3 Depth=1
	s_or_b64 exec, exec, s[6:7]
	ds_write_b128 v18, v[3:6]
	v_add_u32_e32 v3, s9, v0
	v_cmp_le_i32_e32 vcc, s11, v3
	s_or_b64 s[6:7], s[2:3], vcc
	s_and_saveexec_b64 s[16:17], s[6:7]
	s_xor_b64 s[6:7], exec, s[16:17]
; %bb.6:                                ;   in Loop: Header=BB436_3 Depth=1
	v_mov_b32_e32 v3, v2
	v_mov_b32_e32 v4, v2
	v_mov_b32_e32 v5, v2
	ds_write_b128 v20, v[2:5]
; %bb.7:                                ;   in Loop: Header=BB436_3 Depth=1
	s_andn2_saveexec_b64 s[6:7], s[6:7]
	s_cbranch_execz .LBB436_2
; %bb.8:                                ;   in Loop: Header=BB436_3 Depth=1
	global_load_dwordx4 v[3:6], v[8:9], off
	s_waitcnt vmcnt(0)
	ds_write2_b64 v20, v[3:4], v[5:6] offset1:1
	s_branch .LBB436_2
.LBB436_9:
	v_mov_b32_e32 v14, 0
	v_mov_b32_e32 v12, 0
	;; [unrolled: 1-line block ×4, first 2 shown]
.LBB436_10:
	v_cmp_le_i32_e32 vcc, v16, v7
	v_cmp_gt_i32_e64 s[0:1], s10, v7
	s_and_b64 s[0:1], vcc, s[0:1]
	s_and_saveexec_b64 s[2:3], s[0:1]
	s_cbranch_execz .LBB436_12
; %bb.11:
	s_load_dwordx2 s[0:1], s[4:5], 0x68
	s_load_dwordx2 s[2:3], s[4:5], 0x58
	s_load_dword s6, s[4:5], 0x60
	v_mul_f64 v[2:3], s[12:13], v[14:15]
	v_mul_f64 v[0:1], s[14:15], v[14:15]
	s_waitcnt lgkmcnt(0)
	s_mul_i32 s1, s1, s8
	s_mul_hi_u32 s4, s0, s8
	s_add_i32 s1, s4, s1
	s_mul_i32 s0, s0, s8
	s_lshl_b64 s[0:1], s[0:1], 4
	s_add_u32 s2, s2, s0
	s_addc_u32 s3, s3, s1
	v_mad_i64_i32 v[4:5], s[0:1], s6, v16, 0
	v_fma_f64 v[2:3], s[14:15], v[12:13], v[2:3]
	v_fma_f64 v[0:1], s[12:13], v[12:13], -v[0:1]
	v_lshlrev_b64 v[4:5], 4, v[4:5]
	v_ashrrev_i32_e32 v8, 31, v7
	v_mov_b32_e32 v6, s3
	v_add_co_u32_e32 v9, vcc, s2, v4
	v_addc_co_u32_e32 v6, vcc, v6, v5, vcc
	v_lshlrev_b64 v[4:5], 4, v[7:8]
	v_add_co_u32_e32 v4, vcc, v9, v4
	v_addc_co_u32_e32 v5, vcc, v6, v5, vcc
	v_cmp_ne_u32_e32 vcc, v7, v16
	v_cndmask_b32_e32 v3, 0, v3, vcc
	v_cndmask_b32_e32 v2, 0, v2, vcc
	global_store_dwordx4 v[4:5], v[0:3], off
.LBB436_12:
	s_endpgm
	.section	.rodata,"a",@progbits
	.p2align	6, 0x0
	.amdhsa_kernel _ZL32rocblas_syrkx_herkx_small_kernelIi19rocblas_complex_numIdELi16ELb1ELb1ELc67ELc76EKS1_S1_EviT_T0_PT6_S3_lS6_S3_lS4_PT7_S3_li
		.amdhsa_group_segment_fixed_size 8192
		.amdhsa_private_segment_fixed_size 0
		.amdhsa_kernarg_size 116
		.amdhsa_user_sgpr_count 6
		.amdhsa_user_sgpr_private_segment_buffer 1
		.amdhsa_user_sgpr_dispatch_ptr 0
		.amdhsa_user_sgpr_queue_ptr 0
		.amdhsa_user_sgpr_kernarg_segment_ptr 1
		.amdhsa_user_sgpr_dispatch_id 0
		.amdhsa_user_sgpr_flat_scratch_init 0
		.amdhsa_user_sgpr_private_segment_size 0
		.amdhsa_uses_dynamic_stack 0
		.amdhsa_system_sgpr_private_segment_wavefront_offset 0
		.amdhsa_system_sgpr_workgroup_id_x 1
		.amdhsa_system_sgpr_workgroup_id_y 1
		.amdhsa_system_sgpr_workgroup_id_z 1
		.amdhsa_system_sgpr_workgroup_info 0
		.amdhsa_system_vgpr_workitem_id 1
		.amdhsa_next_free_vgpr 49
		.amdhsa_next_free_sgpr 61
		.amdhsa_reserve_vcc 1
		.amdhsa_reserve_flat_scratch 0
		.amdhsa_float_round_mode_32 0
		.amdhsa_float_round_mode_16_64 0
		.amdhsa_float_denorm_mode_32 3
		.amdhsa_float_denorm_mode_16_64 3
		.amdhsa_dx10_clamp 1
		.amdhsa_ieee_mode 1
		.amdhsa_fp16_overflow 0
		.amdhsa_exception_fp_ieee_invalid_op 0
		.amdhsa_exception_fp_denorm_src 0
		.amdhsa_exception_fp_ieee_div_zero 0
		.amdhsa_exception_fp_ieee_overflow 0
		.amdhsa_exception_fp_ieee_underflow 0
		.amdhsa_exception_fp_ieee_inexact 0
		.amdhsa_exception_int_div_zero 0
	.end_amdhsa_kernel
	.section	.text._ZL32rocblas_syrkx_herkx_small_kernelIi19rocblas_complex_numIdELi16ELb1ELb1ELc67ELc76EKS1_S1_EviT_T0_PT6_S3_lS6_S3_lS4_PT7_S3_li,"axG",@progbits,_ZL32rocblas_syrkx_herkx_small_kernelIi19rocblas_complex_numIdELi16ELb1ELb1ELc67ELc76EKS1_S1_EviT_T0_PT6_S3_lS6_S3_lS4_PT7_S3_li,comdat
.Lfunc_end436:
	.size	_ZL32rocblas_syrkx_herkx_small_kernelIi19rocblas_complex_numIdELi16ELb1ELb1ELc67ELc76EKS1_S1_EviT_T0_PT6_S3_lS6_S3_lS4_PT7_S3_li, .Lfunc_end436-_ZL32rocblas_syrkx_herkx_small_kernelIi19rocblas_complex_numIdELi16ELb1ELb1ELc67ELc76EKS1_S1_EviT_T0_PT6_S3_lS6_S3_lS4_PT7_S3_li
                                        ; -- End function
	.set _ZL32rocblas_syrkx_herkx_small_kernelIi19rocblas_complex_numIdELi16ELb1ELb1ELc67ELc76EKS1_S1_EviT_T0_PT6_S3_lS6_S3_lS4_PT7_S3_li.num_vgpr, 49
	.set _ZL32rocblas_syrkx_herkx_small_kernelIi19rocblas_complex_numIdELi16ELb1ELb1ELc67ELc76EKS1_S1_EviT_T0_PT6_S3_lS6_S3_lS4_PT7_S3_li.num_agpr, 0
	.set _ZL32rocblas_syrkx_herkx_small_kernelIi19rocblas_complex_numIdELi16ELb1ELb1ELc67ELc76EKS1_S1_EviT_T0_PT6_S3_lS6_S3_lS4_PT7_S3_li.numbered_sgpr, 24
	.set _ZL32rocblas_syrkx_herkx_small_kernelIi19rocblas_complex_numIdELi16ELb1ELb1ELc67ELc76EKS1_S1_EviT_T0_PT6_S3_lS6_S3_lS4_PT7_S3_li.num_named_barrier, 0
	.set _ZL32rocblas_syrkx_herkx_small_kernelIi19rocblas_complex_numIdELi16ELb1ELb1ELc67ELc76EKS1_S1_EviT_T0_PT6_S3_lS6_S3_lS4_PT7_S3_li.private_seg_size, 0
	.set _ZL32rocblas_syrkx_herkx_small_kernelIi19rocblas_complex_numIdELi16ELb1ELb1ELc67ELc76EKS1_S1_EviT_T0_PT6_S3_lS6_S3_lS4_PT7_S3_li.uses_vcc, 1
	.set _ZL32rocblas_syrkx_herkx_small_kernelIi19rocblas_complex_numIdELi16ELb1ELb1ELc67ELc76EKS1_S1_EviT_T0_PT6_S3_lS6_S3_lS4_PT7_S3_li.uses_flat_scratch, 0
	.set _ZL32rocblas_syrkx_herkx_small_kernelIi19rocblas_complex_numIdELi16ELb1ELb1ELc67ELc76EKS1_S1_EviT_T0_PT6_S3_lS6_S3_lS4_PT7_S3_li.has_dyn_sized_stack, 0
	.set _ZL32rocblas_syrkx_herkx_small_kernelIi19rocblas_complex_numIdELi16ELb1ELb1ELc67ELc76EKS1_S1_EviT_T0_PT6_S3_lS6_S3_lS4_PT7_S3_li.has_recursion, 0
	.set _ZL32rocblas_syrkx_herkx_small_kernelIi19rocblas_complex_numIdELi16ELb1ELb1ELc67ELc76EKS1_S1_EviT_T0_PT6_S3_lS6_S3_lS4_PT7_S3_li.has_indirect_call, 0
	.section	.AMDGPU.csdata,"",@progbits
; Kernel info:
; codeLenInByte = 1836
; TotalNumSgprs: 28
; NumVgprs: 49
; ScratchSize: 0
; MemoryBound: 1
; FloatMode: 240
; IeeeMode: 1
; LDSByteSize: 8192 bytes/workgroup (compile time only)
; SGPRBlocks: 8
; VGPRBlocks: 12
; NumSGPRsForWavesPerEU: 65
; NumVGPRsForWavesPerEU: 49
; Occupancy: 4
; WaveLimiterHint : 0
; COMPUTE_PGM_RSRC2:SCRATCH_EN: 0
; COMPUTE_PGM_RSRC2:USER_SGPR: 6
; COMPUTE_PGM_RSRC2:TRAP_HANDLER: 0
; COMPUTE_PGM_RSRC2:TGID_X_EN: 1
; COMPUTE_PGM_RSRC2:TGID_Y_EN: 1
; COMPUTE_PGM_RSRC2:TGID_Z_EN: 1
; COMPUTE_PGM_RSRC2:TIDIG_COMP_CNT: 1
	.section	.text._ZL32rocblas_syrkx_herkx_small_kernelIi19rocblas_complex_numIdELi16ELb1ELb1ELc78ELc76EKS1_S1_EviT_T0_PT6_S3_lS6_S3_lS4_PT7_S3_li,"axG",@progbits,_ZL32rocblas_syrkx_herkx_small_kernelIi19rocblas_complex_numIdELi16ELb1ELb1ELc78ELc76EKS1_S1_EviT_T0_PT6_S3_lS6_S3_lS4_PT7_S3_li,comdat
	.globl	_ZL32rocblas_syrkx_herkx_small_kernelIi19rocblas_complex_numIdELi16ELb1ELb1ELc78ELc76EKS1_S1_EviT_T0_PT6_S3_lS6_S3_lS4_PT7_S3_li ; -- Begin function _ZL32rocblas_syrkx_herkx_small_kernelIi19rocblas_complex_numIdELi16ELb1ELb1ELc78ELc76EKS1_S1_EviT_T0_PT6_S3_lS6_S3_lS4_PT7_S3_li
	.p2align	8
	.type	_ZL32rocblas_syrkx_herkx_small_kernelIi19rocblas_complex_numIdELi16ELb1ELb1ELc78ELc76EKS1_S1_EviT_T0_PT6_S3_lS6_S3_lS4_PT7_S3_li,@function
_ZL32rocblas_syrkx_herkx_small_kernelIi19rocblas_complex_numIdELi16ELb1ELb1ELc78ELc76EKS1_S1_EviT_T0_PT6_S3_lS6_S3_lS4_PT7_S3_li: ; @_ZL32rocblas_syrkx_herkx_small_kernelIi19rocblas_complex_numIdELi16ELb1ELb1ELc78ELc76EKS1_S1_EviT_T0_PT6_S3_lS6_S3_lS4_PT7_S3_li
; %bb.0:
	s_load_dwordx2 s[10:11], s[4:5], 0x0
	s_load_dwordx4 s[12:15], s[4:5], 0x8
	s_load_dwordx2 s[20:21], s[4:5], 0x18
	v_lshl_add_u32 v7, s6, 4, v0
	s_mov_b32 s9, 0
	v_lshl_add_u32 v9, s7, 4, v1
	s_waitcnt lgkmcnt(0)
	s_cmp_lt_i32 s11, 1
	v_cmp_gt_i32_e64 s[0:1], s10, v7
	v_ashrrev_i32_e32 v8, 31, v7
	s_cbranch_scc1 .LBB437_9
; %bb.1:
	s_load_dword s22, s[4:5], 0x20
	s_load_dword s6, s[4:5], 0x38
	s_load_dwordx4 s[16:19], s[4:5], 0x28
	s_load_dwordx2 s[2:3], s[4:5], 0x40
	v_lshlrev_b32_e32 v2, 8, v1
	v_lshlrev_b32_e32 v18, 4, v0
	v_add_u32_e32 v19, v18, v2
	v_add_u32_e32 v20, 0x1000, v2
	s_waitcnt lgkmcnt(0)
	v_mad_i64_i32 v[2:3], s[24:25], s6, v0, 0
	s_mul_i32 s3, s3, s8
	s_mul_hi_u32 s26, s2, s8
	s_add_i32 s3, s26, s3
	s_mul_i32 s2, s2, s8
	v_lshlrev_b64 v[2:3], 4, v[2:3]
	s_lshl_b64 s[2:3], s[2:3], 4
	v_ashrrev_i32_e32 v10, 31, v9
	v_mov_b32_e32 v4, s3
	v_add_co_u32_e64 v5, s[2:3], s2, v2
	v_addc_co_u32_e64 v4, s[2:3], v4, v3, s[2:3]
	v_lshlrev_b64 v[2:3], 4, v[9:10]
	s_mul_i32 s17, s17, s8
	v_add_co_u32_e64 v2, s[2:3], v5, v2
	v_addc_co_u32_e64 v3, s[2:3], v4, v3, s[2:3]
	v_mov_b32_e32 v4, s19
	v_add_co_u32_e64 v2, s[2:3], s18, v2
	v_addc_co_u32_e64 v3, s[2:3], v4, v3, s[2:3]
	v_add_co_u32_e64 v10, s[2:3], 8, v2
	v_addc_co_u32_e64 v11, s[2:3], 0, v3, s[2:3]
	v_mad_i64_i32 v[2:3], s[2:3], s22, v1, 0
	s_mul_hi_u32 s18, s16, s8
	s_add_i32 s3, s18, s17
	s_mul_i32 s2, s16, s8
	v_lshlrev_b64 v[2:3], 4, v[2:3]
	s_lshl_b64 s[2:3], s[2:3], 4
	v_mov_b32_e32 v4, s3
	v_add_co_u32_e64 v5, s[2:3], s2, v2
	v_addc_co_u32_e64 v4, s[2:3], v4, v3, s[2:3]
	v_lshlrev_b64 v[2:3], 4, v[7:8]
	s_ashr_i32 s23, s22, 31
	v_add_co_u32_e64 v2, s[2:3], v5, v2
	v_addc_co_u32_e64 v3, s[2:3], v4, v3, s[2:3]
	v_mov_b32_e32 v4, s21
	v_add_co_u32_e64 v12, s[2:3], s20, v2
	s_ashr_i32 s7, s6, 31
	v_addc_co_u32_e64 v13, s[2:3], v4, v3, s[2:3]
	s_lshl_b64 s[6:7], s[6:7], 8
	s_lshl_b64 s[2:3], s[22:23], 8
	v_mov_b32_e32 v14, 0
	v_mov_b32_e32 v16, 0
	v_cmp_gt_i32_e32 vcc, s10, v9
	v_add_u32_e32 v21, v20, v18
	v_mov_b32_e32 v15, 0
	s_xor_b64 s[16:17], s[0:1], -1
	v_mov_b32_e32 v22, s7
	v_mov_b32_e32 v23, s3
	;; [unrolled: 1-line block ×4, first 2 shown]
	s_branch .LBB437_3
.LBB437_2:                              ;   in Loop: Header=BB437_3 Depth=1
	s_or_b64 exec, exec, s[0:1]
	ds_write_b128 v21, v[3:6]
	s_waitcnt lgkmcnt(0)
	s_barrier
	ds_read_b128 v[3:6], v18
	ds_read_b128 v[24:27], v20
	ds_read_b128 v[28:31], v20 offset:16
	ds_read_b128 v[32:35], v18 offset:256
	v_add_co_u32_e64 v10, s[0:1], s6, v10
	s_waitcnt lgkmcnt(2)
	v_mul_f64 v[36:37], v[26:27], v[5:6]
	v_mul_f64 v[5:6], v[24:25], v[5:6]
	s_waitcnt lgkmcnt(0)
	v_mul_f64 v[38:39], v[30:31], v[34:35]
	v_mul_f64 v[40:41], v[28:29], v[34:35]
	v_addc_co_u32_e64 v11, s[0:1], v11, v22, s[0:1]
	s_add_i32 s9, s9, 16
	v_add_co_u32_e64 v12, s[0:1], s2, v12
	v_fma_f64 v[42:43], v[24:25], v[3:4], -v[36:37]
	v_fma_f64 v[44:45], v[26:27], v[3:4], v[5:6]
	ds_read_b128 v[3:6], v18 offset:512
	ds_read_b128 v[24:27], v20 offset:32
	;; [unrolled: 1-line block ×3, first 2 shown]
	v_fma_f64 v[38:39], v[28:29], v[32:33], -v[38:39]
	v_fma_f64 v[32:33], v[30:31], v[32:33], v[40:41]
	ds_read_b128 v[28:31], v18 offset:768
	s_waitcnt lgkmcnt(2)
	v_mul_f64 v[40:41], v[26:27], v[5:6]
	v_mul_f64 v[5:6], v[24:25], v[5:6]
	v_add_f64 v[16:17], v[16:17], v[42:43]
	v_add_f64 v[14:15], v[14:15], v[44:45]
	s_waitcnt lgkmcnt(0)
	v_mul_f64 v[42:43], v[36:37], v[30:31]
	v_mul_f64 v[30:31], v[34:35], v[30:31]
	s_cmp_ge_i32 s9, s11
	v_addc_co_u32_e64 v13, s[0:1], v13, v23, s[0:1]
	v_fma_f64 v[40:41], v[24:25], v[3:4], -v[40:41]
	v_fma_f64 v[44:45], v[26:27], v[3:4], v[5:6]
	v_add_f64 v[38:39], v[16:17], v[38:39]
	v_add_f64 v[32:33], v[14:15], v[32:33]
	ds_read_b128 v[3:6], v20 offset:64
	ds_read_b128 v[14:17], v18 offset:1024
	v_fma_f64 v[34:35], v[34:35], v[28:29], -v[42:43]
	v_fma_f64 v[36:37], v[36:37], v[28:29], v[30:31]
	ds_read_b128 v[24:27], v20 offset:80
	ds_read_b128 v[28:31], v18 offset:1280
	s_waitcnt lgkmcnt(2)
	v_mul_f64 v[42:43], v[5:6], v[16:17]
	v_mul_f64 v[16:17], v[3:4], v[16:17]
	v_add_f64 v[38:39], v[38:39], v[40:41]
	v_add_f64 v[32:33], v[32:33], v[44:45]
	s_waitcnt lgkmcnt(0)
	v_mul_f64 v[40:41], v[26:27], v[30:31]
	v_mul_f64 v[30:31], v[24:25], v[30:31]
	v_fma_f64 v[42:43], v[3:4], v[14:15], -v[42:43]
	v_fma_f64 v[44:45], v[5:6], v[14:15], v[16:17]
	v_add_f64 v[34:35], v[38:39], v[34:35]
	v_add_f64 v[32:33], v[32:33], v[36:37]
	ds_read_b128 v[3:6], v20 offset:96
	ds_read_b128 v[14:17], v18 offset:1536
	v_fma_f64 v[36:37], v[24:25], v[28:29], -v[40:41]
	v_fma_f64 v[38:39], v[26:27], v[28:29], v[30:31]
	ds_read_b128 v[24:27], v20 offset:112
	ds_read_b128 v[28:31], v18 offset:1792
	s_waitcnt lgkmcnt(2)
	v_mul_f64 v[40:41], v[5:6], v[16:17]
	v_mul_f64 v[16:17], v[3:4], v[16:17]
	v_add_f64 v[34:35], v[34:35], v[42:43]
	v_add_f64 v[32:33], v[32:33], v[44:45]
	s_waitcnt lgkmcnt(0)
	v_mul_f64 v[42:43], v[26:27], v[30:31]
	v_mul_f64 v[30:31], v[24:25], v[30:31]
	;; [unrolled: 18-line block ×5, first 2 shown]
	v_fma_f64 v[42:43], v[3:4], v[14:15], -v[42:43]
	v_fma_f64 v[44:45], v[5:6], v[14:15], v[16:17]
	v_add_f64 v[34:35], v[34:35], v[36:37]
	v_add_f64 v[32:33], v[32:33], v[38:39]
	ds_read_b128 v[3:6], v20 offset:224
	ds_read_b128 v[14:17], v18 offset:3584
	v_fma_f64 v[36:37], v[24:25], v[28:29], -v[40:41]
	v_fma_f64 v[38:39], v[26:27], v[28:29], v[30:31]
	ds_read_b128 v[24:27], v20 offset:240
	ds_read_b128 v[28:31], v18 offset:3840
	s_waitcnt lgkmcnt(0)
	v_mul_f64 v[40:41], v[5:6], v[16:17]
	v_mul_f64 v[16:17], v[3:4], v[16:17]
	v_add_f64 v[34:35], v[34:35], v[42:43]
	v_add_f64 v[32:33], v[32:33], v[44:45]
	v_mul_f64 v[42:43], v[26:27], v[30:31]
	v_mul_f64 v[30:31], v[24:25], v[30:31]
	s_barrier
	v_fma_f64 v[3:4], v[3:4], v[14:15], -v[40:41]
	v_fma_f64 v[5:6], v[5:6], v[14:15], v[16:17]
	v_add_f64 v[14:15], v[34:35], v[36:37]
	v_add_f64 v[16:17], v[32:33], v[38:39]
	v_fma_f64 v[24:25], v[24:25], v[28:29], -v[42:43]
	v_fma_f64 v[26:27], v[26:27], v[28:29], v[30:31]
	v_add_f64 v[3:4], v[14:15], v[3:4]
	v_add_f64 v[5:6], v[16:17], v[5:6]
	;; [unrolled: 1-line block ×4, first 2 shown]
	s_cbranch_scc1 .LBB437_10
.LBB437_3:                              ; =>This Inner Loop Header: Depth=1
	v_add_u32_e32 v3, s9, v1
	v_cmp_le_i32_e64 s[0:1], s11, v3
	s_or_b64 s[0:1], s[16:17], s[0:1]
	s_and_saveexec_b64 s[18:19], s[0:1]
	s_xor_b64 s[0:1], exec, s[18:19]
; %bb.4:                                ;   in Loop: Header=BB437_3 Depth=1
	v_mov_b32_e32 v3, v2
	v_mov_b32_e32 v4, v2
	;; [unrolled: 1-line block ×3, first 2 shown]
	ds_write_b128 v19, v[2:5]
; %bb.5:                                ;   in Loop: Header=BB437_3 Depth=1
	s_andn2_saveexec_b64 s[0:1], s[0:1]
	s_cbranch_execz .LBB437_7
; %bb.6:                                ;   in Loop: Header=BB437_3 Depth=1
	global_load_dwordx4 v[3:6], v[12:13], off
	s_waitcnt vmcnt(0)
	ds_write2_b64 v19, v[3:4], v[5:6] offset1:1
.LBB437_7:                              ;   in Loop: Header=BB437_3 Depth=1
	s_or_b64 exec, exec, s[0:1]
	v_add_u32_e32 v3, s9, v0
	v_cmp_gt_i32_e64 s[0:1], s11, v3
	v_mov_b32_e32 v3, 0
	v_mov_b32_e32 v5, 0
	;; [unrolled: 1-line block ×4, first 2 shown]
	s_and_b64 s[18:19], vcc, s[0:1]
	s_and_saveexec_b64 s[0:1], s[18:19]
	s_cbranch_execz .LBB437_2
; %bb.8:                                ;   in Loop: Header=BB437_3 Depth=1
	global_load_dwordx4 v[3:6], v[10:11], off offset:-8
	s_waitcnt vmcnt(0)
	v_xor_b32_e32 v6, 0x80000000, v6
	s_branch .LBB437_2
.LBB437_9:
	v_mov_b32_e32 v14, 0
	v_mov_b32_e32 v16, 0
	;; [unrolled: 1-line block ×4, first 2 shown]
.LBB437_10:
	v_cmp_le_i32_e32 vcc, v9, v7
	v_cmp_gt_i32_e64 s[0:1], s10, v7
	s_and_b64 s[0:1], vcc, s[0:1]
	s_and_saveexec_b64 s[2:3], s[0:1]
	s_cbranch_execz .LBB437_12
; %bb.11:
	s_load_dwordx2 s[0:1], s[4:5], 0x68
	s_load_dwordx2 s[2:3], s[4:5], 0x58
	s_load_dword s6, s[4:5], 0x60
	v_mul_f64 v[2:3], s[12:13], v[14:15]
	v_mul_f64 v[0:1], s[14:15], v[14:15]
	s_waitcnt lgkmcnt(0)
	s_mul_i32 s1, s1, s8
	s_mul_hi_u32 s4, s0, s8
	s_add_i32 s1, s4, s1
	v_mad_i64_i32 v[4:5], s[4:5], s6, v9, 0
	s_mul_i32 s0, s0, s8
	s_lshl_b64 s[0:1], s[0:1], 4
	s_add_u32 s0, s2, s0
	v_fma_f64 v[2:3], s[14:15], v[16:17], v[2:3]
	v_lshlrev_b64 v[4:5], 4, v[4:5]
	s_addc_u32 s1, s3, s1
	v_fma_f64 v[0:1], s[12:13], v[16:17], -v[0:1]
	v_mov_b32_e32 v6, s1
	v_add_co_u32_e32 v10, vcc, s0, v4
	v_addc_co_u32_e32 v6, vcc, v6, v5, vcc
	v_lshlrev_b64 v[4:5], 4, v[7:8]
	v_add_co_u32_e32 v4, vcc, v10, v4
	v_addc_co_u32_e32 v5, vcc, v6, v5, vcc
	v_cmp_ne_u32_e32 vcc, v7, v9
	v_cndmask_b32_e32 v3, 0, v3, vcc
	v_cndmask_b32_e32 v2, 0, v2, vcc
	global_store_dwordx4 v[4:5], v[0:3], off
.LBB437_12:
	s_endpgm
	.section	.rodata,"a",@progbits
	.p2align	6, 0x0
	.amdhsa_kernel _ZL32rocblas_syrkx_herkx_small_kernelIi19rocblas_complex_numIdELi16ELb1ELb1ELc78ELc76EKS1_S1_EviT_T0_PT6_S3_lS6_S3_lS4_PT7_S3_li
		.amdhsa_group_segment_fixed_size 8192
		.amdhsa_private_segment_fixed_size 0
		.amdhsa_kernarg_size 116
		.amdhsa_user_sgpr_count 6
		.amdhsa_user_sgpr_private_segment_buffer 1
		.amdhsa_user_sgpr_dispatch_ptr 0
		.amdhsa_user_sgpr_queue_ptr 0
		.amdhsa_user_sgpr_kernarg_segment_ptr 1
		.amdhsa_user_sgpr_dispatch_id 0
		.amdhsa_user_sgpr_flat_scratch_init 0
		.amdhsa_user_sgpr_private_segment_size 0
		.amdhsa_uses_dynamic_stack 0
		.amdhsa_system_sgpr_private_segment_wavefront_offset 0
		.amdhsa_system_sgpr_workgroup_id_x 1
		.amdhsa_system_sgpr_workgroup_id_y 1
		.amdhsa_system_sgpr_workgroup_id_z 1
		.amdhsa_system_sgpr_workgroup_info 0
		.amdhsa_system_vgpr_workitem_id 1
		.amdhsa_next_free_vgpr 46
		.amdhsa_next_free_sgpr 61
		.amdhsa_reserve_vcc 1
		.amdhsa_reserve_flat_scratch 0
		.amdhsa_float_round_mode_32 0
		.amdhsa_float_round_mode_16_64 0
		.amdhsa_float_denorm_mode_32 3
		.amdhsa_float_denorm_mode_16_64 3
		.amdhsa_dx10_clamp 1
		.amdhsa_ieee_mode 1
		.amdhsa_fp16_overflow 0
		.amdhsa_exception_fp_ieee_invalid_op 0
		.amdhsa_exception_fp_denorm_src 0
		.amdhsa_exception_fp_ieee_div_zero 0
		.amdhsa_exception_fp_ieee_overflow 0
		.amdhsa_exception_fp_ieee_underflow 0
		.amdhsa_exception_fp_ieee_inexact 0
		.amdhsa_exception_int_div_zero 0
	.end_amdhsa_kernel
	.section	.text._ZL32rocblas_syrkx_herkx_small_kernelIi19rocblas_complex_numIdELi16ELb1ELb1ELc78ELc76EKS1_S1_EviT_T0_PT6_S3_lS6_S3_lS4_PT7_S3_li,"axG",@progbits,_ZL32rocblas_syrkx_herkx_small_kernelIi19rocblas_complex_numIdELi16ELb1ELb1ELc78ELc76EKS1_S1_EviT_T0_PT6_S3_lS6_S3_lS4_PT7_S3_li,comdat
.Lfunc_end437:
	.size	_ZL32rocblas_syrkx_herkx_small_kernelIi19rocblas_complex_numIdELi16ELb1ELb1ELc78ELc76EKS1_S1_EviT_T0_PT6_S3_lS6_S3_lS4_PT7_S3_li, .Lfunc_end437-_ZL32rocblas_syrkx_herkx_small_kernelIi19rocblas_complex_numIdELi16ELb1ELb1ELc78ELc76EKS1_S1_EviT_T0_PT6_S3_lS6_S3_lS4_PT7_S3_li
                                        ; -- End function
	.set _ZL32rocblas_syrkx_herkx_small_kernelIi19rocblas_complex_numIdELi16ELb1ELb1ELc78ELc76EKS1_S1_EviT_T0_PT6_S3_lS6_S3_lS4_PT7_S3_li.num_vgpr, 46
	.set _ZL32rocblas_syrkx_herkx_small_kernelIi19rocblas_complex_numIdELi16ELb1ELb1ELc78ELc76EKS1_S1_EviT_T0_PT6_S3_lS6_S3_lS4_PT7_S3_li.num_agpr, 0
	.set _ZL32rocblas_syrkx_herkx_small_kernelIi19rocblas_complex_numIdELi16ELb1ELb1ELc78ELc76EKS1_S1_EviT_T0_PT6_S3_lS6_S3_lS4_PT7_S3_li.numbered_sgpr, 27
	.set _ZL32rocblas_syrkx_herkx_small_kernelIi19rocblas_complex_numIdELi16ELb1ELb1ELc78ELc76EKS1_S1_EviT_T0_PT6_S3_lS6_S3_lS4_PT7_S3_li.num_named_barrier, 0
	.set _ZL32rocblas_syrkx_herkx_small_kernelIi19rocblas_complex_numIdELi16ELb1ELb1ELc78ELc76EKS1_S1_EviT_T0_PT6_S3_lS6_S3_lS4_PT7_S3_li.private_seg_size, 0
	.set _ZL32rocblas_syrkx_herkx_small_kernelIi19rocblas_complex_numIdELi16ELb1ELb1ELc78ELc76EKS1_S1_EviT_T0_PT6_S3_lS6_S3_lS4_PT7_S3_li.uses_vcc, 1
	.set _ZL32rocblas_syrkx_herkx_small_kernelIi19rocblas_complex_numIdELi16ELb1ELb1ELc78ELc76EKS1_S1_EviT_T0_PT6_S3_lS6_S3_lS4_PT7_S3_li.uses_flat_scratch, 0
	.set _ZL32rocblas_syrkx_herkx_small_kernelIi19rocblas_complex_numIdELi16ELb1ELb1ELc78ELc76EKS1_S1_EviT_T0_PT6_S3_lS6_S3_lS4_PT7_S3_li.has_dyn_sized_stack, 0
	.set _ZL32rocblas_syrkx_herkx_small_kernelIi19rocblas_complex_numIdELi16ELb1ELb1ELc78ELc76EKS1_S1_EviT_T0_PT6_S3_lS6_S3_lS4_PT7_S3_li.has_recursion, 0
	.set _ZL32rocblas_syrkx_herkx_small_kernelIi19rocblas_complex_numIdELi16ELb1ELb1ELc78ELc76EKS1_S1_EviT_T0_PT6_S3_lS6_S3_lS4_PT7_S3_li.has_indirect_call, 0
	.section	.AMDGPU.csdata,"",@progbits
; Kernel info:
; codeLenInByte = 1892
; TotalNumSgprs: 31
; NumVgprs: 46
; ScratchSize: 0
; MemoryBound: 1
; FloatMode: 240
; IeeeMode: 1
; LDSByteSize: 8192 bytes/workgroup (compile time only)
; SGPRBlocks: 8
; VGPRBlocks: 11
; NumSGPRsForWavesPerEU: 65
; NumVGPRsForWavesPerEU: 46
; Occupancy: 5
; WaveLimiterHint : 0
; COMPUTE_PGM_RSRC2:SCRATCH_EN: 0
; COMPUTE_PGM_RSRC2:USER_SGPR: 6
; COMPUTE_PGM_RSRC2:TRAP_HANDLER: 0
; COMPUTE_PGM_RSRC2:TGID_X_EN: 1
; COMPUTE_PGM_RSRC2:TGID_Y_EN: 1
; COMPUTE_PGM_RSRC2:TGID_Z_EN: 1
; COMPUTE_PGM_RSRC2:TIDIG_COMP_CNT: 1
	.section	.text._ZL32rocblas_syrkx_herkx_small_kernelIi19rocblas_complex_numIdELi16ELb1ELb1ELc84ELc85EKS1_S1_EviT_T0_PT6_S3_lS6_S3_lS4_PT7_S3_li,"axG",@progbits,_ZL32rocblas_syrkx_herkx_small_kernelIi19rocblas_complex_numIdELi16ELb1ELb1ELc84ELc85EKS1_S1_EviT_T0_PT6_S3_lS6_S3_lS4_PT7_S3_li,comdat
	.globl	_ZL32rocblas_syrkx_herkx_small_kernelIi19rocblas_complex_numIdELi16ELb1ELb1ELc84ELc85EKS1_S1_EviT_T0_PT6_S3_lS6_S3_lS4_PT7_S3_li ; -- Begin function _ZL32rocblas_syrkx_herkx_small_kernelIi19rocblas_complex_numIdELi16ELb1ELb1ELc84ELc85EKS1_S1_EviT_T0_PT6_S3_lS6_S3_lS4_PT7_S3_li
	.p2align	8
	.type	_ZL32rocblas_syrkx_herkx_small_kernelIi19rocblas_complex_numIdELi16ELb1ELb1ELc84ELc85EKS1_S1_EviT_T0_PT6_S3_lS6_S3_lS4_PT7_S3_li,@function
_ZL32rocblas_syrkx_herkx_small_kernelIi19rocblas_complex_numIdELi16ELb1ELb1ELc84ELc85EKS1_S1_EviT_T0_PT6_S3_lS6_S3_lS4_PT7_S3_li: ; @_ZL32rocblas_syrkx_herkx_small_kernelIi19rocblas_complex_numIdELi16ELb1ELb1ELc84ELc85EKS1_S1_EviT_T0_PT6_S3_lS6_S3_lS4_PT7_S3_li
; %bb.0:
	s_load_dwordx2 s[10:11], s[4:5], 0x0
	s_load_dwordx4 s[12:15], s[4:5], 0x8
	s_load_dwordx2 s[16:17], s[4:5], 0x18
	v_lshl_add_u32 v15, s7, 4, v1
	s_mov_b32 s9, 0
	v_lshl_add_u32 v6, s6, 4, v0
	s_waitcnt lgkmcnt(0)
	s_cmp_lt_i32 s11, 1
	v_cmp_gt_i32_e32 vcc, s10, v15
	s_cbranch_scc1 .LBB438_11
; %bb.1:
	s_load_dword s18, s[4:5], 0x20
	s_load_dwordx4 s[20:23], s[4:5], 0x28
	s_load_dword s6, s[4:5], 0x38
	s_load_dwordx2 s[2:3], s[4:5], 0x40
	v_lshlrev_b32_e32 v4, 8, v1
	v_lshlrev_b32_e32 v16, 4, v0
	v_add_u32_e32 v17, v16, v4
	s_waitcnt lgkmcnt(0)
	v_mad_i64_i32 v[2:3], s[6:7], s6, v15, 0
	s_mul_i32 s3, s3, s8
	s_mul_hi_u32 s6, s2, s8
	v_lshlrev_b64 v[2:3], 4, v[2:3]
	s_add_i32 s3, s6, s3
	s_mul_i32 s2, s2, s8
	s_lshl_b64 s[2:3], s[2:3], 4
	v_add_u32_e32 v18, 0x1000, v4
	v_mov_b32_e32 v4, s3
	v_add_co_u32_e64 v2, s[2:3], s2, v2
	v_addc_co_u32_e64 v3, s[2:3], v3, v4, s[2:3]
	v_add_co_u32_e64 v4, s[2:3], v2, v16
	v_addc_co_u32_e64 v5, s[2:3], 0, v3, s[2:3]
	v_mad_i64_i32 v[2:3], s[2:3], s18, v6, 0
	v_mov_b32_e32 v8, s23
	v_add_co_u32_e64 v7, s[2:3], s22, v4
	v_addc_co_u32_e64 v8, s[2:3], v8, v5, s[2:3]
	s_mul_i32 s2, s21, s8
	s_mul_hi_u32 s3, s20, s8
	v_lshlrev_b64 v[2:3], 4, v[2:3]
	s_add_i32 s3, s3, s2
	s_mul_i32 s2, s20, s8
	s_lshl_b64 s[2:3], s[2:3], 4
	v_mov_b32_e32 v4, s3
	v_add_co_u32_e64 v2, s[2:3], s2, v2
	v_addc_co_u32_e64 v3, s[2:3], v3, v4, s[2:3]
	v_lshlrev_b32_e32 v4, 4, v1
	v_add_co_u32_e64 v2, s[2:3], v2, v4
	v_addc_co_u32_e64 v3, s[2:3], 0, v3, s[2:3]
	v_mov_b32_e32 v4, s17
	v_add_co_u32_e64 v9, s[2:3], s16, v2
	v_cmp_gt_i32_e64 s[0:1], s10, v6
	v_addc_co_u32_e64 v10, s[2:3], v4, v3, s[2:3]
	v_mov_b32_e32 v13, 0
	v_mov_b32_e32 v11, 0
	v_add_u32_e32 v19, v18, v16
	v_mov_b32_e32 v14, 0
	s_xor_b64 s[0:1], s[0:1], -1
	s_xor_b64 s[2:3], vcc, -1
	v_mov_b32_e32 v12, 0
	v_mov_b32_e32 v2, 0
	s_branch .LBB438_3
.LBB438_2:                              ;   in Loop: Header=BB438_3 Depth=1
	s_or_b64 exec, exec, s[6:7]
	s_waitcnt lgkmcnt(0)
	s_barrier
	ds_read_b128 v[20:23], v18
	ds_read_b128 v[24:27], v18 offset:16
	ds_read_b128 v[28:31], v18 offset:32
	;; [unrolled: 1-line block ×3, first 2 shown]
	ds_read_b128 v[36:39], v16
	v_add_co_u32_e32 v7, vcc, 0x100, v7
	v_addc_co_u32_e32 v8, vcc, 0, v8, vcc
	s_waitcnt lgkmcnt(0)
	v_mul_f64 v[3:4], v[22:23], v[38:39]
	s_add_i32 s9, s9, 16
	v_add_co_u32_e32 v9, vcc, 0x100, v9
	v_addc_co_u32_e32 v10, vcc, 0, v10, vcc
	s_cmp_ge_i32 s9, s11
	v_fma_f64 v[3:4], v[20:21], v[36:37], -v[3:4]
	v_mul_f64 v[20:21], v[20:21], v[38:39]
	v_add_f64 v[3:4], v[11:12], v[3:4]
	v_fma_f64 v[20:21], v[22:23], v[36:37], v[20:21]
	v_add_f64 v[20:21], v[13:14], v[20:21]
	ds_read_b128 v[11:14], v16 offset:256
	s_waitcnt lgkmcnt(0)
	v_mul_f64 v[22:23], v[26:27], v[13:14]
	v_mul_f64 v[13:14], v[24:25], v[13:14]
	v_fma_f64 v[22:23], v[24:25], v[11:12], -v[22:23]
	v_fma_f64 v[11:12], v[26:27], v[11:12], v[13:14]
	v_add_f64 v[3:4], v[3:4], v[22:23]
	v_add_f64 v[20:21], v[20:21], v[11:12]
	ds_read_b128 v[11:14], v16 offset:512
	s_waitcnt lgkmcnt(0)
	v_mul_f64 v[22:23], v[30:31], v[13:14]
	v_mul_f64 v[13:14], v[28:29], v[13:14]
	v_fma_f64 v[22:23], v[28:29], v[11:12], -v[22:23]
	v_fma_f64 v[11:12], v[30:31], v[11:12], v[13:14]
	v_add_f64 v[3:4], v[3:4], v[22:23]
	;; [unrolled: 8-line block ×3, first 2 shown]
	v_add_f64 v[24:25], v[20:21], v[11:12]
	ds_read_b128 v[11:14], v18 offset:64
	ds_read_b128 v[20:23], v16 offset:1024
	s_waitcnt lgkmcnt(0)
	v_mul_f64 v[26:27], v[13:14], v[22:23]
	v_fma_f64 v[26:27], v[11:12], v[20:21], -v[26:27]
	v_mul_f64 v[11:12], v[11:12], v[22:23]
	v_add_f64 v[3:4], v[3:4], v[26:27]
	v_fma_f64 v[11:12], v[13:14], v[20:21], v[11:12]
	v_add_f64 v[24:25], v[24:25], v[11:12]
	ds_read_b128 v[11:14], v18 offset:80
	ds_read_b128 v[20:23], v16 offset:1280
	s_waitcnt lgkmcnt(0)
	v_mul_f64 v[26:27], v[13:14], v[22:23]
	v_fma_f64 v[26:27], v[11:12], v[20:21], -v[26:27]
	v_mul_f64 v[11:12], v[11:12], v[22:23]
	v_add_f64 v[3:4], v[3:4], v[26:27]
	v_fma_f64 v[11:12], v[13:14], v[20:21], v[11:12]
	;; [unrolled: 9-line block ×11, first 2 shown]
	v_add_f64 v[24:25], v[24:25], v[11:12]
	ds_read_b128 v[11:14], v18 offset:240
	ds_read_b128 v[20:23], v16 offset:3840
	s_waitcnt lgkmcnt(0)
	s_barrier
	v_mul_f64 v[26:27], v[13:14], v[22:23]
	v_fma_f64 v[26:27], v[11:12], v[20:21], -v[26:27]
	v_mul_f64 v[11:12], v[11:12], v[22:23]
	v_fma_f64 v[13:14], v[13:14], v[20:21], v[11:12]
	v_add_f64 v[11:12], v[3:4], v[26:27]
	v_add_f64 v[13:14], v[24:25], v[13:14]
	s_cbranch_scc1 .LBB438_12
.LBB438_3:                              ; =>This Inner Loop Header: Depth=1
	v_add_u32_e32 v3, s9, v1
	v_cmp_le_i32_e32 vcc, s11, v3
	s_or_b64 s[6:7], s[0:1], vcc
	s_and_saveexec_b64 s[16:17], s[6:7]
	s_xor_b64 s[6:7], exec, s[16:17]
; %bb.4:                                ;   in Loop: Header=BB438_3 Depth=1
	v_mov_b32_e32 v3, v2
	v_mov_b32_e32 v4, v2
	;; [unrolled: 1-line block ×3, first 2 shown]
	ds_write_b128 v17, v[2:5]
; %bb.5:                                ;   in Loop: Header=BB438_3 Depth=1
	s_andn2_saveexec_b64 s[6:7], s[6:7]
	s_cbranch_execz .LBB438_7
; %bb.6:                                ;   in Loop: Header=BB438_3 Depth=1
	global_load_dwordx4 v[20:23], v[9:10], off
	s_waitcnt vmcnt(0)
	ds_write2_b64 v17, v[20:21], v[22:23] offset1:1
.LBB438_7:                              ;   in Loop: Header=BB438_3 Depth=1
	s_or_b64 exec, exec, s[6:7]
	v_add_u32_e32 v3, s9, v0
	v_cmp_le_i32_e32 vcc, s11, v3
	s_or_b64 s[6:7], s[2:3], vcc
	s_and_saveexec_b64 s[16:17], s[6:7]
	s_xor_b64 s[6:7], exec, s[16:17]
; %bb.8:                                ;   in Loop: Header=BB438_3 Depth=1
	v_mov_b32_e32 v3, v2
	v_mov_b32_e32 v4, v2
	;; [unrolled: 1-line block ×3, first 2 shown]
	ds_write_b128 v19, v[2:5]
; %bb.9:                                ;   in Loop: Header=BB438_3 Depth=1
	s_andn2_saveexec_b64 s[6:7], s[6:7]
	s_cbranch_execz .LBB438_2
; %bb.10:                               ;   in Loop: Header=BB438_3 Depth=1
	global_load_dwordx4 v[20:23], v[7:8], off
	s_waitcnt vmcnt(0)
	ds_write2_b64 v19, v[20:21], v[22:23] offset1:1
	s_branch .LBB438_2
.LBB438_11:
	v_mov_b32_e32 v13, 0
	v_mov_b32_e32 v11, 0
	;; [unrolled: 1-line block ×4, first 2 shown]
.LBB438_12:
	v_cmp_le_i32_e32 vcc, v6, v15
	v_cmp_gt_i32_e64 s[0:1], s10, v15
	s_and_b64 s[0:1], vcc, s[0:1]
	s_and_saveexec_b64 s[2:3], s[0:1]
	s_cbranch_execz .LBB438_14
; %bb.13:
	s_load_dwordx2 s[0:1], s[4:5], 0x68
	s_load_dwordx2 s[2:3], s[4:5], 0x58
	s_load_dword s6, s[4:5], 0x60
	v_mul_f64 v[2:3], s[12:13], v[13:14]
	v_mul_f64 v[0:1], s[14:15], v[13:14]
	s_waitcnt lgkmcnt(0)
	s_mul_i32 s1, s1, s8
	s_mul_hi_u32 s4, s0, s8
	s_add_i32 s1, s4, s1
	s_mul_i32 s0, s0, s8
	s_lshl_b64 s[0:1], s[0:1], 4
	s_add_u32 s2, s2, s0
	s_addc_u32 s3, s3, s1
	v_mad_i64_i32 v[4:5], s[0:1], s6, v15, 0
	v_fma_f64 v[2:3], s[14:15], v[11:12], v[2:3]
	v_fma_f64 v[0:1], s[12:13], v[11:12], -v[0:1]
	v_lshlrev_b64 v[4:5], 4, v[4:5]
	v_ashrrev_i32_e32 v7, 31, v6
	v_mov_b32_e32 v8, s3
	v_add_co_u32_e32 v9, vcc, s2, v4
	v_addc_co_u32_e32 v8, vcc, v8, v5, vcc
	v_lshlrev_b64 v[4:5], 4, v[6:7]
	v_add_co_u32_e32 v4, vcc, v9, v4
	v_addc_co_u32_e32 v5, vcc, v8, v5, vcc
	v_cmp_ne_u32_e32 vcc, v6, v15
	v_cndmask_b32_e32 v3, 0, v3, vcc
	v_cndmask_b32_e32 v2, 0, v2, vcc
	global_store_dwordx4 v[4:5], v[0:3], off
.LBB438_14:
	s_endpgm
	.section	.rodata,"a",@progbits
	.p2align	6, 0x0
	.amdhsa_kernel _ZL32rocblas_syrkx_herkx_small_kernelIi19rocblas_complex_numIdELi16ELb1ELb1ELc84ELc85EKS1_S1_EviT_T0_PT6_S3_lS6_S3_lS4_PT7_S3_li
		.amdhsa_group_segment_fixed_size 8192
		.amdhsa_private_segment_fixed_size 0
		.amdhsa_kernarg_size 116
		.amdhsa_user_sgpr_count 6
		.amdhsa_user_sgpr_private_segment_buffer 1
		.amdhsa_user_sgpr_dispatch_ptr 0
		.amdhsa_user_sgpr_queue_ptr 0
		.amdhsa_user_sgpr_kernarg_segment_ptr 1
		.amdhsa_user_sgpr_dispatch_id 0
		.amdhsa_user_sgpr_flat_scratch_init 0
		.amdhsa_user_sgpr_private_segment_size 0
		.amdhsa_uses_dynamic_stack 0
		.amdhsa_system_sgpr_private_segment_wavefront_offset 0
		.amdhsa_system_sgpr_workgroup_id_x 1
		.amdhsa_system_sgpr_workgroup_id_y 1
		.amdhsa_system_sgpr_workgroup_id_z 1
		.amdhsa_system_sgpr_workgroup_info 0
		.amdhsa_system_vgpr_workitem_id 1
		.amdhsa_next_free_vgpr 40
		.amdhsa_next_free_sgpr 61
		.amdhsa_reserve_vcc 1
		.amdhsa_reserve_flat_scratch 0
		.amdhsa_float_round_mode_32 0
		.amdhsa_float_round_mode_16_64 0
		.amdhsa_float_denorm_mode_32 3
		.amdhsa_float_denorm_mode_16_64 3
		.amdhsa_dx10_clamp 1
		.amdhsa_ieee_mode 1
		.amdhsa_fp16_overflow 0
		.amdhsa_exception_fp_ieee_invalid_op 0
		.amdhsa_exception_fp_denorm_src 0
		.amdhsa_exception_fp_ieee_div_zero 0
		.amdhsa_exception_fp_ieee_overflow 0
		.amdhsa_exception_fp_ieee_underflow 0
		.amdhsa_exception_fp_ieee_inexact 0
		.amdhsa_exception_int_div_zero 0
	.end_amdhsa_kernel
	.section	.text._ZL32rocblas_syrkx_herkx_small_kernelIi19rocblas_complex_numIdELi16ELb1ELb1ELc84ELc85EKS1_S1_EviT_T0_PT6_S3_lS6_S3_lS4_PT7_S3_li,"axG",@progbits,_ZL32rocblas_syrkx_herkx_small_kernelIi19rocblas_complex_numIdELi16ELb1ELb1ELc84ELc85EKS1_S1_EviT_T0_PT6_S3_lS6_S3_lS4_PT7_S3_li,comdat
.Lfunc_end438:
	.size	_ZL32rocblas_syrkx_herkx_small_kernelIi19rocblas_complex_numIdELi16ELb1ELb1ELc84ELc85EKS1_S1_EviT_T0_PT6_S3_lS6_S3_lS4_PT7_S3_li, .Lfunc_end438-_ZL32rocblas_syrkx_herkx_small_kernelIi19rocblas_complex_numIdELi16ELb1ELb1ELc84ELc85EKS1_S1_EviT_T0_PT6_S3_lS6_S3_lS4_PT7_S3_li
                                        ; -- End function
	.set _ZL32rocblas_syrkx_herkx_small_kernelIi19rocblas_complex_numIdELi16ELb1ELb1ELc84ELc85EKS1_S1_EviT_T0_PT6_S3_lS6_S3_lS4_PT7_S3_li.num_vgpr, 40
	.set _ZL32rocblas_syrkx_herkx_small_kernelIi19rocblas_complex_numIdELi16ELb1ELb1ELc84ELc85EKS1_S1_EviT_T0_PT6_S3_lS6_S3_lS4_PT7_S3_li.num_agpr, 0
	.set _ZL32rocblas_syrkx_herkx_small_kernelIi19rocblas_complex_numIdELi16ELb1ELb1ELc84ELc85EKS1_S1_EviT_T0_PT6_S3_lS6_S3_lS4_PT7_S3_li.numbered_sgpr, 24
	.set _ZL32rocblas_syrkx_herkx_small_kernelIi19rocblas_complex_numIdELi16ELb1ELb1ELc84ELc85EKS1_S1_EviT_T0_PT6_S3_lS6_S3_lS4_PT7_S3_li.num_named_barrier, 0
	.set _ZL32rocblas_syrkx_herkx_small_kernelIi19rocblas_complex_numIdELi16ELb1ELb1ELc84ELc85EKS1_S1_EviT_T0_PT6_S3_lS6_S3_lS4_PT7_S3_li.private_seg_size, 0
	.set _ZL32rocblas_syrkx_herkx_small_kernelIi19rocblas_complex_numIdELi16ELb1ELb1ELc84ELc85EKS1_S1_EviT_T0_PT6_S3_lS6_S3_lS4_PT7_S3_li.uses_vcc, 1
	.set _ZL32rocblas_syrkx_herkx_small_kernelIi19rocblas_complex_numIdELi16ELb1ELb1ELc84ELc85EKS1_S1_EviT_T0_PT6_S3_lS6_S3_lS4_PT7_S3_li.uses_flat_scratch, 0
	.set _ZL32rocblas_syrkx_herkx_small_kernelIi19rocblas_complex_numIdELi16ELb1ELb1ELc84ELc85EKS1_S1_EviT_T0_PT6_S3_lS6_S3_lS4_PT7_S3_li.has_dyn_sized_stack, 0
	.set _ZL32rocblas_syrkx_herkx_small_kernelIi19rocblas_complex_numIdELi16ELb1ELb1ELc84ELc85EKS1_S1_EviT_T0_PT6_S3_lS6_S3_lS4_PT7_S3_li.has_recursion, 0
	.set _ZL32rocblas_syrkx_herkx_small_kernelIi19rocblas_complex_numIdELi16ELb1ELb1ELc84ELc85EKS1_S1_EviT_T0_PT6_S3_lS6_S3_lS4_PT7_S3_li.has_indirect_call, 0
	.section	.AMDGPU.csdata,"",@progbits
; Kernel info:
; codeLenInByte = 1832
; TotalNumSgprs: 28
; NumVgprs: 40
; ScratchSize: 0
; MemoryBound: 0
; FloatMode: 240
; IeeeMode: 1
; LDSByteSize: 8192 bytes/workgroup (compile time only)
; SGPRBlocks: 8
; VGPRBlocks: 9
; NumSGPRsForWavesPerEU: 65
; NumVGPRsForWavesPerEU: 40
; Occupancy: 6
; WaveLimiterHint : 0
; COMPUTE_PGM_RSRC2:SCRATCH_EN: 0
; COMPUTE_PGM_RSRC2:USER_SGPR: 6
; COMPUTE_PGM_RSRC2:TRAP_HANDLER: 0
; COMPUTE_PGM_RSRC2:TGID_X_EN: 1
; COMPUTE_PGM_RSRC2:TGID_Y_EN: 1
; COMPUTE_PGM_RSRC2:TGID_Z_EN: 1
; COMPUTE_PGM_RSRC2:TIDIG_COMP_CNT: 1
	.section	.text._ZL32rocblas_syrkx_herkx_small_kernelIi19rocblas_complex_numIdELi16ELb1ELb1ELc67ELc85EKS1_S1_EviT_T0_PT6_S3_lS6_S3_lS4_PT7_S3_li,"axG",@progbits,_ZL32rocblas_syrkx_herkx_small_kernelIi19rocblas_complex_numIdELi16ELb1ELb1ELc67ELc85EKS1_S1_EviT_T0_PT6_S3_lS6_S3_lS4_PT7_S3_li,comdat
	.globl	_ZL32rocblas_syrkx_herkx_small_kernelIi19rocblas_complex_numIdELi16ELb1ELb1ELc67ELc85EKS1_S1_EviT_T0_PT6_S3_lS6_S3_lS4_PT7_S3_li ; -- Begin function _ZL32rocblas_syrkx_herkx_small_kernelIi19rocblas_complex_numIdELi16ELb1ELb1ELc67ELc85EKS1_S1_EviT_T0_PT6_S3_lS6_S3_lS4_PT7_S3_li
	.p2align	8
	.type	_ZL32rocblas_syrkx_herkx_small_kernelIi19rocblas_complex_numIdELi16ELb1ELb1ELc67ELc85EKS1_S1_EviT_T0_PT6_S3_lS6_S3_lS4_PT7_S3_li,@function
_ZL32rocblas_syrkx_herkx_small_kernelIi19rocblas_complex_numIdELi16ELb1ELb1ELc67ELc85EKS1_S1_EviT_T0_PT6_S3_lS6_S3_lS4_PT7_S3_li: ; @_ZL32rocblas_syrkx_herkx_small_kernelIi19rocblas_complex_numIdELi16ELb1ELb1ELc67ELc85EKS1_S1_EviT_T0_PT6_S3_lS6_S3_lS4_PT7_S3_li
; %bb.0:
	s_load_dwordx2 s[10:11], s[4:5], 0x0
	s_load_dwordx4 s[12:15], s[4:5], 0x8
	s_load_dwordx2 s[16:17], s[4:5], 0x18
	v_lshl_add_u32 v16, s7, 4, v1
	s_mov_b32 s9, 0
	v_lshl_add_u32 v7, s6, 4, v0
	s_waitcnt lgkmcnt(0)
	s_cmp_lt_i32 s11, 1
	v_cmp_gt_i32_e32 vcc, s10, v16
	s_cbranch_scc1 .LBB439_9
; %bb.1:
	s_load_dword s18, s[4:5], 0x20
	s_load_dwordx4 s[20:23], s[4:5], 0x28
	s_load_dword s6, s[4:5], 0x38
	s_load_dwordx2 s[2:3], s[4:5], 0x40
	v_lshlrev_b32_e32 v4, 8, v1
	v_lshlrev_b32_e32 v17, 4, v0
	v_add_u32_e32 v18, v17, v4
	s_waitcnt lgkmcnt(0)
	v_mad_i64_i32 v[2:3], s[6:7], s6, v16, 0
	s_mul_i32 s3, s3, s8
	s_mul_hi_u32 s6, s2, s8
	v_lshlrev_b64 v[2:3], 4, v[2:3]
	s_add_i32 s3, s6, s3
	s_mul_i32 s2, s2, s8
	s_lshl_b64 s[2:3], s[2:3], 4
	v_add_u32_e32 v19, 0x1000, v4
	v_mov_b32_e32 v4, s3
	v_add_co_u32_e64 v2, s[2:3], s2, v2
	v_addc_co_u32_e64 v3, s[2:3], v3, v4, s[2:3]
	v_add_co_u32_e64 v4, s[2:3], v2, v17
	v_addc_co_u32_e64 v5, s[2:3], 0, v3, s[2:3]
	v_mad_i64_i32 v[2:3], s[2:3], s18, v7, 0
	v_mov_b32_e32 v6, s23
	v_add_co_u32_e64 v8, s[2:3], s22, v4
	v_addc_co_u32_e64 v9, s[2:3], v6, v5, s[2:3]
	s_mul_i32 s2, s21, s8
	s_mul_hi_u32 s3, s20, s8
	v_lshlrev_b64 v[2:3], 4, v[2:3]
	s_add_i32 s3, s3, s2
	s_mul_i32 s2, s20, s8
	s_lshl_b64 s[2:3], s[2:3], 4
	v_mov_b32_e32 v4, s3
	v_add_co_u32_e64 v2, s[2:3], s2, v2
	v_addc_co_u32_e64 v3, s[2:3], v3, v4, s[2:3]
	v_lshlrev_b32_e32 v4, 4, v1
	v_add_co_u32_e64 v2, s[2:3], v2, v4
	v_addc_co_u32_e64 v3, s[2:3], 0, v3, s[2:3]
	v_mov_b32_e32 v4, s17
	v_add_co_u32_e64 v2, s[2:3], s16, v2
	v_addc_co_u32_e64 v3, s[2:3], v4, v3, s[2:3]
	v_add_co_u32_e64 v10, s[2:3], 8, v2
	v_addc_co_u32_e64 v11, s[2:3], 0, v3, s[2:3]
	v_mov_b32_e32 v14, 0
	v_mov_b32_e32 v12, 0
	v_cmp_gt_i32_e64 s[0:1], s10, v7
	v_add_u32_e32 v20, v19, v17
	v_mov_b32_e32 v15, 0
	s_xor_b64 s[2:3], vcc, -1
	v_mov_b32_e32 v13, 0
	v_mov_b32_e32 v2, 0
	s_branch .LBB439_3
.LBB439_2:                              ;   in Loop: Header=BB439_3 Depth=1
	s_or_b64 exec, exec, s[6:7]
	s_waitcnt lgkmcnt(0)
	s_barrier
	ds_read_b128 v[3:6], v17
	ds_read_b128 v[21:24], v19
	ds_read_b128 v[25:28], v19 offset:16
	ds_read_b128 v[29:32], v17 offset:256
	;; [unrolled: 1-line block ×4, first 2 shown]
	s_waitcnt lgkmcnt(4)
	v_mul_f64 v[41:42], v[23:24], v[5:6]
	v_mul_f64 v[5:6], v[21:22], v[5:6]
	s_waitcnt lgkmcnt(2)
	v_mul_f64 v[43:44], v[27:28], v[31:32]
	v_mul_f64 v[31:32], v[25:26], v[31:32]
	s_waitcnt lgkmcnt(0)
	v_mul_f64 v[47:48], v[35:36], v[39:40]
	v_add_co_u32_e32 v8, vcc, 0x100, v8
	v_addc_co_u32_e32 v9, vcc, 0, v9, vcc
	v_fma_f64 v[41:42], v[21:22], v[3:4], -v[41:42]
	v_fma_f64 v[45:46], v[23:24], v[3:4], v[5:6]
	v_fma_f64 v[25:26], v[25:26], v[29:30], -v[43:44]
	v_fma_f64 v[27:28], v[27:28], v[29:30], v[31:32]
	v_mul_f64 v[29:30], v[33:34], v[39:40]
	ds_read_b128 v[3:6], v19 offset:48
	ds_read_b128 v[21:24], v17 offset:768
	v_fma_f64 v[33:34], v[33:34], v[37:38], -v[47:48]
	s_add_i32 s9, s9, 16
	v_add_f64 v[31:32], v[12:13], v[41:42]
	v_add_f64 v[39:40], v[14:15], v[45:46]
	s_waitcnt lgkmcnt(0)
	v_mul_f64 v[41:42], v[5:6], v[23:24]
	v_mul_f64 v[43:44], v[3:4], v[23:24]
	v_fma_f64 v[35:36], v[35:36], v[37:38], v[29:30]
	ds_read_b128 v[12:15], v19 offset:64
	v_add_co_u32_e32 v10, vcc, 0x100, v10
	v_add_f64 v[31:32], v[31:32], v[25:26]
	v_add_f64 v[37:38], v[39:40], v[27:28]
	ds_read_b128 v[23:26], v17 offset:1024
	v_fma_f64 v[39:40], v[3:4], v[21:22], -v[41:42]
	v_fma_f64 v[21:22], v[5:6], v[21:22], v[43:44]
	ds_read_b128 v[3:6], v19 offset:80
	ds_read_b128 v[27:30], v17 offset:1280
	s_cmp_ge_i32 s9, s11
	s_waitcnt lgkmcnt(2)
	v_mul_f64 v[41:42], v[14:15], v[25:26]
	v_mul_f64 v[25:26], v[12:13], v[25:26]
	v_add_f64 v[43:44], v[31:32], v[33:34]
	v_add_f64 v[35:36], v[37:38], v[35:36]
	s_waitcnt lgkmcnt(0)
	v_mul_f64 v[45:46], v[5:6], v[29:30]
	v_mul_f64 v[29:30], v[3:4], v[29:30]
	ds_read_b128 v[31:34], v19 offset:96
	v_addc_co_u32_e32 v11, vcc, 0, v11, vcc
	v_fma_f64 v[41:42], v[12:13], v[23:24], -v[41:42]
	v_fma_f64 v[25:26], v[14:15], v[23:24], v[25:26]
	v_add_f64 v[39:40], v[43:44], v[39:40]
	v_add_f64 v[43:44], v[35:36], v[21:22]
	ds_read_b128 v[12:15], v17 offset:1536
	v_fma_f64 v[45:46], v[3:4], v[27:28], -v[45:46]
	v_fma_f64 v[27:28], v[5:6], v[27:28], v[29:30]
	ds_read_b128 v[21:24], v19 offset:112
	ds_read_b128 v[35:38], v17 offset:1792
	ds_read_b128 v[3:6], v19 offset:128
	s_waitcnt lgkmcnt(3)
	v_mul_f64 v[47:48], v[33:34], v[14:15]
	v_mul_f64 v[14:15], v[31:32], v[14:15]
	v_add_f64 v[29:30], v[39:40], v[41:42]
	v_add_f64 v[25:26], v[43:44], v[25:26]
	s_waitcnt lgkmcnt(1)
	v_mul_f64 v[39:40], v[23:24], v[37:38]
	v_mul_f64 v[37:38], v[21:22], v[37:38]
	v_fma_f64 v[31:32], v[31:32], v[12:13], -v[47:48]
	v_fma_f64 v[33:34], v[33:34], v[12:13], v[14:15]
	v_add_f64 v[29:30], v[29:30], v[45:46]
	v_add_f64 v[41:42], v[25:26], v[27:28]
	ds_read_b128 v[12:15], v17 offset:2048
	v_fma_f64 v[39:40], v[21:22], v[35:36], -v[39:40]
	v_fma_f64 v[35:36], v[23:24], v[35:36], v[37:38]
	ds_read_b128 v[21:24], v19 offset:144
	ds_read_b128 v[25:28], v17 offset:2304
	s_waitcnt lgkmcnt(2)
	v_mul_f64 v[37:38], v[5:6], v[14:15]
	v_mul_f64 v[14:15], v[3:4], v[14:15]
	v_add_f64 v[43:44], v[29:30], v[31:32]
	v_add_f64 v[33:34], v[41:42], v[33:34]
	s_waitcnt lgkmcnt(0)
	v_mul_f64 v[41:42], v[23:24], v[27:28]
	v_mul_f64 v[27:28], v[21:22], v[27:28]
	ds_read_b128 v[29:32], v19 offset:160
	v_fma_f64 v[37:38], v[3:4], v[12:13], -v[37:38]
	v_fma_f64 v[45:46], v[5:6], v[12:13], v[14:15]
	v_add_f64 v[39:40], v[43:44], v[39:40]
	v_add_f64 v[43:44], v[33:34], v[35:36]
	ds_read_b128 v[3:6], v17 offset:2560
	v_fma_f64 v[41:42], v[21:22], v[25:26], -v[41:42]
	v_fma_f64 v[25:26], v[23:24], v[25:26], v[27:28]
	ds_read_b128 v[12:15], v19 offset:176
	ds_read_b128 v[33:36], v17 offset:2816
	;; [unrolled: 1-line block ×3, first 2 shown]
	s_waitcnt lgkmcnt(3)
	v_mul_f64 v[47:48], v[31:32], v[5:6]
	v_mul_f64 v[5:6], v[29:30], v[5:6]
	v_add_f64 v[27:28], v[39:40], v[37:38]
	v_add_f64 v[37:38], v[43:44], v[45:46]
	s_waitcnt lgkmcnt(1)
	v_mul_f64 v[39:40], v[14:15], v[35:36]
	v_mul_f64 v[35:36], v[12:13], v[35:36]
	v_fma_f64 v[29:30], v[29:30], v[3:4], -v[47:48]
	v_fma_f64 v[31:32], v[31:32], v[3:4], v[5:6]
	v_add_f64 v[41:42], v[27:28], v[41:42]
	v_add_f64 v[37:38], v[37:38], v[25:26]
	ds_read_b128 v[3:6], v17 offset:3072
	v_fma_f64 v[39:40], v[12:13], v[33:34], -v[39:40]
	v_fma_f64 v[33:34], v[14:15], v[33:34], v[35:36]
	ds_read_b128 v[12:15], v19 offset:208
	ds_read_b128 v[25:28], v17 offset:3328
	s_waitcnt lgkmcnt(2)
	v_mul_f64 v[35:36], v[23:24], v[5:6]
	v_mul_f64 v[5:6], v[21:22], v[5:6]
	v_add_f64 v[41:42], v[41:42], v[29:30]
	v_add_f64 v[37:38], v[37:38], v[31:32]
	s_waitcnt lgkmcnt(0)
	v_mul_f64 v[43:44], v[14:15], v[27:28]
	v_mul_f64 v[27:28], v[12:13], v[27:28]
	ds_read_b128 v[29:32], v19 offset:224
	v_fma_f64 v[45:46], v[21:22], v[3:4], -v[35:36]
	v_fma_f64 v[47:48], v[23:24], v[3:4], v[5:6]
	v_add_f64 v[39:40], v[41:42], v[39:40]
	v_add_f64 v[37:38], v[37:38], v[33:34]
	ds_read_b128 v[3:6], v17 offset:3584
	v_fma_f64 v[12:13], v[12:13], v[25:26], -v[43:44]
	v_fma_f64 v[14:15], v[14:15], v[25:26], v[27:28]
	ds_read_b128 v[21:24], v19 offset:240
	ds_read_b128 v[33:36], v17 offset:3840
	s_waitcnt lgkmcnt(0)
	v_mul_f64 v[41:42], v[31:32], v[5:6]
	v_mul_f64 v[5:6], v[29:30], v[5:6]
	v_add_f64 v[25:26], v[39:40], v[45:46]
	v_add_f64 v[27:28], v[37:38], v[47:48]
	v_mul_f64 v[37:38], v[23:24], v[35:36]
	v_mul_f64 v[35:36], v[21:22], v[35:36]
	s_barrier
	v_fma_f64 v[29:30], v[29:30], v[3:4], -v[41:42]
	v_fma_f64 v[3:4], v[31:32], v[3:4], v[5:6]
	v_add_f64 v[5:6], v[25:26], v[12:13]
	v_add_f64 v[12:13], v[27:28], v[14:15]
	v_fma_f64 v[14:15], v[21:22], v[33:34], -v[37:38]
	v_fma_f64 v[21:22], v[23:24], v[33:34], v[35:36]
	v_add_f64 v[5:6], v[5:6], v[29:30]
	v_add_f64 v[3:4], v[12:13], v[3:4]
	;; [unrolled: 1-line block ×4, first 2 shown]
	s_cbranch_scc1 .LBB439_10
.LBB439_3:                              ; =>This Inner Loop Header: Depth=1
	v_add_u32_e32 v3, s9, v1
	v_cmp_gt_i32_e32 vcc, s11, v3
	v_mov_b32_e32 v3, 0
	v_mov_b32_e32 v5, 0
	;; [unrolled: 1-line block ×4, first 2 shown]
	s_and_b64 s[16:17], s[0:1], vcc
	s_and_saveexec_b64 s[6:7], s[16:17]
	s_cbranch_execz .LBB439_5
; %bb.4:                                ;   in Loop: Header=BB439_3 Depth=1
	global_load_dwordx4 v[3:6], v[10:11], off offset:-8
	s_waitcnt vmcnt(0)
	v_xor_b32_e32 v6, 0x80000000, v6
.LBB439_5:                              ;   in Loop: Header=BB439_3 Depth=1
	s_or_b64 exec, exec, s[6:7]
	ds_write_b128 v18, v[3:6]
	v_add_u32_e32 v3, s9, v0
	v_cmp_le_i32_e32 vcc, s11, v3
	s_or_b64 s[6:7], s[2:3], vcc
	s_and_saveexec_b64 s[16:17], s[6:7]
	s_xor_b64 s[6:7], exec, s[16:17]
; %bb.6:                                ;   in Loop: Header=BB439_3 Depth=1
	v_mov_b32_e32 v3, v2
	v_mov_b32_e32 v4, v2
	;; [unrolled: 1-line block ×3, first 2 shown]
	ds_write_b128 v20, v[2:5]
; %bb.7:                                ;   in Loop: Header=BB439_3 Depth=1
	s_andn2_saveexec_b64 s[6:7], s[6:7]
	s_cbranch_execz .LBB439_2
; %bb.8:                                ;   in Loop: Header=BB439_3 Depth=1
	global_load_dwordx4 v[3:6], v[8:9], off
	s_waitcnt vmcnt(0)
	ds_write2_b64 v20, v[3:4], v[5:6] offset1:1
	s_branch .LBB439_2
.LBB439_9:
	v_mov_b32_e32 v14, 0
	v_mov_b32_e32 v12, 0
	;; [unrolled: 1-line block ×4, first 2 shown]
.LBB439_10:
	v_cmp_le_i32_e32 vcc, v7, v16
	v_cmp_gt_i32_e64 s[0:1], s10, v16
	s_and_b64 s[0:1], vcc, s[0:1]
	s_and_saveexec_b64 s[2:3], s[0:1]
	s_cbranch_execz .LBB439_12
; %bb.11:
	s_load_dwordx2 s[0:1], s[4:5], 0x68
	s_load_dwordx2 s[2:3], s[4:5], 0x58
	s_load_dword s6, s[4:5], 0x60
	v_mul_f64 v[2:3], s[12:13], v[14:15]
	v_mul_f64 v[0:1], s[14:15], v[14:15]
	s_waitcnt lgkmcnt(0)
	s_mul_i32 s1, s1, s8
	s_mul_hi_u32 s4, s0, s8
	s_add_i32 s1, s4, s1
	s_mul_i32 s0, s0, s8
	s_lshl_b64 s[0:1], s[0:1], 4
	s_add_u32 s2, s2, s0
	s_addc_u32 s3, s3, s1
	v_mad_i64_i32 v[4:5], s[0:1], s6, v16, 0
	v_fma_f64 v[2:3], s[14:15], v[12:13], v[2:3]
	v_fma_f64 v[0:1], s[12:13], v[12:13], -v[0:1]
	v_lshlrev_b64 v[4:5], 4, v[4:5]
	v_ashrrev_i32_e32 v8, 31, v7
	v_mov_b32_e32 v6, s3
	v_add_co_u32_e32 v9, vcc, s2, v4
	v_addc_co_u32_e32 v6, vcc, v6, v5, vcc
	v_lshlrev_b64 v[4:5], 4, v[7:8]
	v_add_co_u32_e32 v4, vcc, v9, v4
	v_addc_co_u32_e32 v5, vcc, v6, v5, vcc
	v_cmp_ne_u32_e32 vcc, v7, v16
	v_cndmask_b32_e32 v3, 0, v3, vcc
	v_cndmask_b32_e32 v2, 0, v2, vcc
	global_store_dwordx4 v[4:5], v[0:3], off
.LBB439_12:
	s_endpgm
	.section	.rodata,"a",@progbits
	.p2align	6, 0x0
	.amdhsa_kernel _ZL32rocblas_syrkx_herkx_small_kernelIi19rocblas_complex_numIdELi16ELb1ELb1ELc67ELc85EKS1_S1_EviT_T0_PT6_S3_lS6_S3_lS4_PT7_S3_li
		.amdhsa_group_segment_fixed_size 8192
		.amdhsa_private_segment_fixed_size 0
		.amdhsa_kernarg_size 116
		.amdhsa_user_sgpr_count 6
		.amdhsa_user_sgpr_private_segment_buffer 1
		.amdhsa_user_sgpr_dispatch_ptr 0
		.amdhsa_user_sgpr_queue_ptr 0
		.amdhsa_user_sgpr_kernarg_segment_ptr 1
		.amdhsa_user_sgpr_dispatch_id 0
		.amdhsa_user_sgpr_flat_scratch_init 0
		.amdhsa_user_sgpr_private_segment_size 0
		.amdhsa_uses_dynamic_stack 0
		.amdhsa_system_sgpr_private_segment_wavefront_offset 0
		.amdhsa_system_sgpr_workgroup_id_x 1
		.amdhsa_system_sgpr_workgroup_id_y 1
		.amdhsa_system_sgpr_workgroup_id_z 1
		.amdhsa_system_sgpr_workgroup_info 0
		.amdhsa_system_vgpr_workitem_id 1
		.amdhsa_next_free_vgpr 49
		.amdhsa_next_free_sgpr 61
		.amdhsa_reserve_vcc 1
		.amdhsa_reserve_flat_scratch 0
		.amdhsa_float_round_mode_32 0
		.amdhsa_float_round_mode_16_64 0
		.amdhsa_float_denorm_mode_32 3
		.amdhsa_float_denorm_mode_16_64 3
		.amdhsa_dx10_clamp 1
		.amdhsa_ieee_mode 1
		.amdhsa_fp16_overflow 0
		.amdhsa_exception_fp_ieee_invalid_op 0
		.amdhsa_exception_fp_denorm_src 0
		.amdhsa_exception_fp_ieee_div_zero 0
		.amdhsa_exception_fp_ieee_overflow 0
		.amdhsa_exception_fp_ieee_underflow 0
		.amdhsa_exception_fp_ieee_inexact 0
		.amdhsa_exception_int_div_zero 0
	.end_amdhsa_kernel
	.section	.text._ZL32rocblas_syrkx_herkx_small_kernelIi19rocblas_complex_numIdELi16ELb1ELb1ELc67ELc85EKS1_S1_EviT_T0_PT6_S3_lS6_S3_lS4_PT7_S3_li,"axG",@progbits,_ZL32rocblas_syrkx_herkx_small_kernelIi19rocblas_complex_numIdELi16ELb1ELb1ELc67ELc85EKS1_S1_EviT_T0_PT6_S3_lS6_S3_lS4_PT7_S3_li,comdat
.Lfunc_end439:
	.size	_ZL32rocblas_syrkx_herkx_small_kernelIi19rocblas_complex_numIdELi16ELb1ELb1ELc67ELc85EKS1_S1_EviT_T0_PT6_S3_lS6_S3_lS4_PT7_S3_li, .Lfunc_end439-_ZL32rocblas_syrkx_herkx_small_kernelIi19rocblas_complex_numIdELi16ELb1ELb1ELc67ELc85EKS1_S1_EviT_T0_PT6_S3_lS6_S3_lS4_PT7_S3_li
                                        ; -- End function
	.set _ZL32rocblas_syrkx_herkx_small_kernelIi19rocblas_complex_numIdELi16ELb1ELb1ELc67ELc85EKS1_S1_EviT_T0_PT6_S3_lS6_S3_lS4_PT7_S3_li.num_vgpr, 49
	.set _ZL32rocblas_syrkx_herkx_small_kernelIi19rocblas_complex_numIdELi16ELb1ELb1ELc67ELc85EKS1_S1_EviT_T0_PT6_S3_lS6_S3_lS4_PT7_S3_li.num_agpr, 0
	.set _ZL32rocblas_syrkx_herkx_small_kernelIi19rocblas_complex_numIdELi16ELb1ELb1ELc67ELc85EKS1_S1_EviT_T0_PT6_S3_lS6_S3_lS4_PT7_S3_li.numbered_sgpr, 24
	.set _ZL32rocblas_syrkx_herkx_small_kernelIi19rocblas_complex_numIdELi16ELb1ELb1ELc67ELc85EKS1_S1_EviT_T0_PT6_S3_lS6_S3_lS4_PT7_S3_li.num_named_barrier, 0
	.set _ZL32rocblas_syrkx_herkx_small_kernelIi19rocblas_complex_numIdELi16ELb1ELb1ELc67ELc85EKS1_S1_EviT_T0_PT6_S3_lS6_S3_lS4_PT7_S3_li.private_seg_size, 0
	.set _ZL32rocblas_syrkx_herkx_small_kernelIi19rocblas_complex_numIdELi16ELb1ELb1ELc67ELc85EKS1_S1_EviT_T0_PT6_S3_lS6_S3_lS4_PT7_S3_li.uses_vcc, 1
	.set _ZL32rocblas_syrkx_herkx_small_kernelIi19rocblas_complex_numIdELi16ELb1ELb1ELc67ELc85EKS1_S1_EviT_T0_PT6_S3_lS6_S3_lS4_PT7_S3_li.uses_flat_scratch, 0
	.set _ZL32rocblas_syrkx_herkx_small_kernelIi19rocblas_complex_numIdELi16ELb1ELb1ELc67ELc85EKS1_S1_EviT_T0_PT6_S3_lS6_S3_lS4_PT7_S3_li.has_dyn_sized_stack, 0
	.set _ZL32rocblas_syrkx_herkx_small_kernelIi19rocblas_complex_numIdELi16ELb1ELb1ELc67ELc85EKS1_S1_EviT_T0_PT6_S3_lS6_S3_lS4_PT7_S3_li.has_recursion, 0
	.set _ZL32rocblas_syrkx_herkx_small_kernelIi19rocblas_complex_numIdELi16ELb1ELb1ELc67ELc85EKS1_S1_EviT_T0_PT6_S3_lS6_S3_lS4_PT7_S3_li.has_indirect_call, 0
	.section	.AMDGPU.csdata,"",@progbits
; Kernel info:
; codeLenInByte = 1836
; TotalNumSgprs: 28
; NumVgprs: 49
; ScratchSize: 0
; MemoryBound: 1
; FloatMode: 240
; IeeeMode: 1
; LDSByteSize: 8192 bytes/workgroup (compile time only)
; SGPRBlocks: 8
; VGPRBlocks: 12
; NumSGPRsForWavesPerEU: 65
; NumVGPRsForWavesPerEU: 49
; Occupancy: 4
; WaveLimiterHint : 0
; COMPUTE_PGM_RSRC2:SCRATCH_EN: 0
; COMPUTE_PGM_RSRC2:USER_SGPR: 6
; COMPUTE_PGM_RSRC2:TRAP_HANDLER: 0
; COMPUTE_PGM_RSRC2:TGID_X_EN: 1
; COMPUTE_PGM_RSRC2:TGID_Y_EN: 1
; COMPUTE_PGM_RSRC2:TGID_Z_EN: 1
; COMPUTE_PGM_RSRC2:TIDIG_COMP_CNT: 1
	.section	.text._ZL32rocblas_syrkx_herkx_small_kernelIi19rocblas_complex_numIdELi16ELb1ELb1ELc78ELc85EKS1_S1_EviT_T0_PT6_S3_lS6_S3_lS4_PT7_S3_li,"axG",@progbits,_ZL32rocblas_syrkx_herkx_small_kernelIi19rocblas_complex_numIdELi16ELb1ELb1ELc78ELc85EKS1_S1_EviT_T0_PT6_S3_lS6_S3_lS4_PT7_S3_li,comdat
	.globl	_ZL32rocblas_syrkx_herkx_small_kernelIi19rocblas_complex_numIdELi16ELb1ELb1ELc78ELc85EKS1_S1_EviT_T0_PT6_S3_lS6_S3_lS4_PT7_S3_li ; -- Begin function _ZL32rocblas_syrkx_herkx_small_kernelIi19rocblas_complex_numIdELi16ELb1ELb1ELc78ELc85EKS1_S1_EviT_T0_PT6_S3_lS6_S3_lS4_PT7_S3_li
	.p2align	8
	.type	_ZL32rocblas_syrkx_herkx_small_kernelIi19rocblas_complex_numIdELi16ELb1ELb1ELc78ELc85EKS1_S1_EviT_T0_PT6_S3_lS6_S3_lS4_PT7_S3_li,@function
_ZL32rocblas_syrkx_herkx_small_kernelIi19rocblas_complex_numIdELi16ELb1ELb1ELc78ELc85EKS1_S1_EviT_T0_PT6_S3_lS6_S3_lS4_PT7_S3_li: ; @_ZL32rocblas_syrkx_herkx_small_kernelIi19rocblas_complex_numIdELi16ELb1ELb1ELc78ELc85EKS1_S1_EviT_T0_PT6_S3_lS6_S3_lS4_PT7_S3_li
; %bb.0:
	s_load_dwordx2 s[10:11], s[4:5], 0x0
	s_load_dwordx4 s[12:15], s[4:5], 0x8
	s_load_dwordx2 s[20:21], s[4:5], 0x18
	v_lshl_add_u32 v7, s6, 4, v0
	v_lshl_add_u32 v9, s7, 4, v1
	s_mov_b32 s9, 0
	s_waitcnt lgkmcnt(0)
	s_cmp_lt_i32 s11, 1
	v_ashrrev_i32_e32 v8, 31, v7
	v_cmp_gt_i32_e32 vcc, s10, v9
	s_cbranch_scc1 .LBB440_9
; %bb.1:
	s_load_dword s22, s[4:5], 0x20
	s_load_dword s6, s[4:5], 0x38
	s_load_dwordx4 s[16:19], s[4:5], 0x28
	s_load_dwordx2 s[2:3], s[4:5], 0x40
	v_lshlrev_b32_e32 v2, 8, v1
	v_lshlrev_b32_e32 v18, 4, v0
	v_add_u32_e32 v19, v18, v2
	v_add_u32_e32 v20, 0x1000, v2
	s_waitcnt lgkmcnt(0)
	v_mad_i64_i32 v[2:3], s[24:25], s6, v0, 0
	s_mul_i32 s3, s3, s8
	s_mul_hi_u32 s26, s2, s8
	s_add_i32 s3, s26, s3
	s_mul_i32 s2, s2, s8
	v_lshlrev_b64 v[2:3], 4, v[2:3]
	s_lshl_b64 s[2:3], s[2:3], 4
	v_ashrrev_i32_e32 v10, 31, v9
	v_mov_b32_e32 v4, s3
	v_add_co_u32_e64 v5, s[2:3], s2, v2
	v_addc_co_u32_e64 v4, s[2:3], v4, v3, s[2:3]
	v_lshlrev_b64 v[2:3], 4, v[9:10]
	s_mul_i32 s17, s17, s8
	v_add_co_u32_e64 v2, s[2:3], v5, v2
	v_addc_co_u32_e64 v3, s[2:3], v4, v3, s[2:3]
	v_mov_b32_e32 v4, s19
	v_add_co_u32_e64 v2, s[2:3], s18, v2
	v_addc_co_u32_e64 v3, s[2:3], v4, v3, s[2:3]
	v_add_co_u32_e64 v10, s[2:3], 8, v2
	v_addc_co_u32_e64 v11, s[2:3], 0, v3, s[2:3]
	v_mad_i64_i32 v[2:3], s[2:3], s22, v1, 0
	s_mul_hi_u32 s18, s16, s8
	s_add_i32 s3, s18, s17
	s_mul_i32 s2, s16, s8
	v_lshlrev_b64 v[2:3], 4, v[2:3]
	s_lshl_b64 s[2:3], s[2:3], 4
	v_mov_b32_e32 v4, s3
	v_add_co_u32_e64 v5, s[2:3], s2, v2
	v_addc_co_u32_e64 v4, s[2:3], v4, v3, s[2:3]
	v_lshlrev_b64 v[2:3], 4, v[7:8]
	s_ashr_i32 s23, s22, 31
	v_add_co_u32_e64 v2, s[2:3], v5, v2
	v_addc_co_u32_e64 v3, s[2:3], v4, v3, s[2:3]
	v_mov_b32_e32 v4, s21
	v_add_co_u32_e64 v12, s[2:3], s20, v2
	s_ashr_i32 s7, s6, 31
	v_addc_co_u32_e64 v13, s[2:3], v4, v3, s[2:3]
	v_cmp_gt_i32_e64 s[0:1], s10, v7
	s_lshl_b64 s[6:7], s[6:7], 8
	s_lshl_b64 s[2:3], s[22:23], 8
	v_mov_b32_e32 v14, 0
	v_mov_b32_e32 v16, 0
	v_add_u32_e32 v21, v20, v18
	v_mov_b32_e32 v15, 0
	s_xor_b64 s[16:17], s[0:1], -1
	v_mov_b32_e32 v22, s7
	v_mov_b32_e32 v23, s3
	;; [unrolled: 1-line block ×4, first 2 shown]
	s_branch .LBB440_3
.LBB440_2:                              ;   in Loop: Header=BB440_3 Depth=1
	s_or_b64 exec, exec, s[0:1]
	ds_write_b128 v21, v[3:6]
	s_waitcnt lgkmcnt(0)
	s_barrier
	ds_read_b128 v[3:6], v18
	ds_read_b128 v[24:27], v20
	ds_read_b128 v[28:31], v20 offset:16
	ds_read_b128 v[32:35], v18 offset:256
	v_add_co_u32_e64 v10, s[0:1], s6, v10
	s_waitcnt lgkmcnt(2)
	v_mul_f64 v[36:37], v[26:27], v[5:6]
	v_mul_f64 v[5:6], v[24:25], v[5:6]
	s_waitcnt lgkmcnt(0)
	v_mul_f64 v[38:39], v[30:31], v[34:35]
	v_mul_f64 v[40:41], v[28:29], v[34:35]
	v_addc_co_u32_e64 v11, s[0:1], v11, v22, s[0:1]
	s_add_i32 s9, s9, 16
	v_add_co_u32_e64 v12, s[0:1], s2, v12
	v_fma_f64 v[42:43], v[24:25], v[3:4], -v[36:37]
	v_fma_f64 v[44:45], v[26:27], v[3:4], v[5:6]
	ds_read_b128 v[3:6], v18 offset:512
	ds_read_b128 v[24:27], v20 offset:32
	;; [unrolled: 1-line block ×3, first 2 shown]
	v_fma_f64 v[38:39], v[28:29], v[32:33], -v[38:39]
	v_fma_f64 v[32:33], v[30:31], v[32:33], v[40:41]
	ds_read_b128 v[28:31], v18 offset:768
	s_waitcnt lgkmcnt(2)
	v_mul_f64 v[40:41], v[26:27], v[5:6]
	v_mul_f64 v[5:6], v[24:25], v[5:6]
	v_add_f64 v[16:17], v[16:17], v[42:43]
	v_add_f64 v[14:15], v[14:15], v[44:45]
	s_waitcnt lgkmcnt(0)
	v_mul_f64 v[42:43], v[36:37], v[30:31]
	v_mul_f64 v[30:31], v[34:35], v[30:31]
	s_cmp_ge_i32 s9, s11
	v_addc_co_u32_e64 v13, s[0:1], v13, v23, s[0:1]
	v_fma_f64 v[40:41], v[24:25], v[3:4], -v[40:41]
	v_fma_f64 v[44:45], v[26:27], v[3:4], v[5:6]
	v_add_f64 v[38:39], v[16:17], v[38:39]
	v_add_f64 v[32:33], v[14:15], v[32:33]
	ds_read_b128 v[3:6], v20 offset:64
	ds_read_b128 v[14:17], v18 offset:1024
	v_fma_f64 v[34:35], v[34:35], v[28:29], -v[42:43]
	v_fma_f64 v[36:37], v[36:37], v[28:29], v[30:31]
	ds_read_b128 v[24:27], v20 offset:80
	ds_read_b128 v[28:31], v18 offset:1280
	s_waitcnt lgkmcnt(2)
	v_mul_f64 v[42:43], v[5:6], v[16:17]
	v_mul_f64 v[16:17], v[3:4], v[16:17]
	v_add_f64 v[38:39], v[38:39], v[40:41]
	v_add_f64 v[32:33], v[32:33], v[44:45]
	s_waitcnt lgkmcnt(0)
	v_mul_f64 v[40:41], v[26:27], v[30:31]
	v_mul_f64 v[30:31], v[24:25], v[30:31]
	v_fma_f64 v[42:43], v[3:4], v[14:15], -v[42:43]
	v_fma_f64 v[44:45], v[5:6], v[14:15], v[16:17]
	v_add_f64 v[34:35], v[38:39], v[34:35]
	v_add_f64 v[32:33], v[32:33], v[36:37]
	ds_read_b128 v[3:6], v20 offset:96
	ds_read_b128 v[14:17], v18 offset:1536
	v_fma_f64 v[36:37], v[24:25], v[28:29], -v[40:41]
	v_fma_f64 v[38:39], v[26:27], v[28:29], v[30:31]
	ds_read_b128 v[24:27], v20 offset:112
	ds_read_b128 v[28:31], v18 offset:1792
	s_waitcnt lgkmcnt(2)
	v_mul_f64 v[40:41], v[5:6], v[16:17]
	v_mul_f64 v[16:17], v[3:4], v[16:17]
	v_add_f64 v[34:35], v[34:35], v[42:43]
	v_add_f64 v[32:33], v[32:33], v[44:45]
	s_waitcnt lgkmcnt(0)
	v_mul_f64 v[42:43], v[26:27], v[30:31]
	v_mul_f64 v[30:31], v[24:25], v[30:31]
	;; [unrolled: 18-line block ×5, first 2 shown]
	v_fma_f64 v[42:43], v[3:4], v[14:15], -v[42:43]
	v_fma_f64 v[44:45], v[5:6], v[14:15], v[16:17]
	v_add_f64 v[34:35], v[34:35], v[36:37]
	v_add_f64 v[32:33], v[32:33], v[38:39]
	ds_read_b128 v[3:6], v20 offset:224
	ds_read_b128 v[14:17], v18 offset:3584
	v_fma_f64 v[36:37], v[24:25], v[28:29], -v[40:41]
	v_fma_f64 v[38:39], v[26:27], v[28:29], v[30:31]
	ds_read_b128 v[24:27], v20 offset:240
	ds_read_b128 v[28:31], v18 offset:3840
	s_waitcnt lgkmcnt(0)
	v_mul_f64 v[40:41], v[5:6], v[16:17]
	v_mul_f64 v[16:17], v[3:4], v[16:17]
	v_add_f64 v[34:35], v[34:35], v[42:43]
	v_add_f64 v[32:33], v[32:33], v[44:45]
	v_mul_f64 v[42:43], v[26:27], v[30:31]
	v_mul_f64 v[30:31], v[24:25], v[30:31]
	s_barrier
	v_fma_f64 v[3:4], v[3:4], v[14:15], -v[40:41]
	v_fma_f64 v[5:6], v[5:6], v[14:15], v[16:17]
	v_add_f64 v[14:15], v[34:35], v[36:37]
	v_add_f64 v[16:17], v[32:33], v[38:39]
	v_fma_f64 v[24:25], v[24:25], v[28:29], -v[42:43]
	v_fma_f64 v[26:27], v[26:27], v[28:29], v[30:31]
	v_add_f64 v[3:4], v[14:15], v[3:4]
	v_add_f64 v[5:6], v[16:17], v[5:6]
	;; [unrolled: 1-line block ×4, first 2 shown]
	s_cbranch_scc1 .LBB440_10
.LBB440_3:                              ; =>This Inner Loop Header: Depth=1
	v_add_u32_e32 v3, s9, v1
	v_cmp_le_i32_e64 s[0:1], s11, v3
	s_or_b64 s[0:1], s[16:17], s[0:1]
	s_and_saveexec_b64 s[18:19], s[0:1]
	s_xor_b64 s[0:1], exec, s[18:19]
; %bb.4:                                ;   in Loop: Header=BB440_3 Depth=1
	v_mov_b32_e32 v3, v2
	v_mov_b32_e32 v4, v2
	v_mov_b32_e32 v5, v2
	ds_write_b128 v19, v[2:5]
; %bb.5:                                ;   in Loop: Header=BB440_3 Depth=1
	s_andn2_saveexec_b64 s[0:1], s[0:1]
	s_cbranch_execz .LBB440_7
; %bb.6:                                ;   in Loop: Header=BB440_3 Depth=1
	global_load_dwordx4 v[3:6], v[12:13], off
	s_waitcnt vmcnt(0)
	ds_write2_b64 v19, v[3:4], v[5:6] offset1:1
.LBB440_7:                              ;   in Loop: Header=BB440_3 Depth=1
	s_or_b64 exec, exec, s[0:1]
	v_add_u32_e32 v3, s9, v0
	v_cmp_gt_i32_e64 s[0:1], s11, v3
	v_mov_b32_e32 v3, 0
	v_mov_b32_e32 v5, 0
	;; [unrolled: 1-line block ×4, first 2 shown]
	s_and_b64 s[18:19], vcc, s[0:1]
	s_and_saveexec_b64 s[0:1], s[18:19]
	s_cbranch_execz .LBB440_2
; %bb.8:                                ;   in Loop: Header=BB440_3 Depth=1
	global_load_dwordx4 v[3:6], v[10:11], off offset:-8
	s_waitcnt vmcnt(0)
	v_xor_b32_e32 v6, 0x80000000, v6
	s_branch .LBB440_2
.LBB440_9:
	v_mov_b32_e32 v14, 0
	v_mov_b32_e32 v16, 0
	;; [unrolled: 1-line block ×4, first 2 shown]
.LBB440_10:
	v_cmp_le_i32_e32 vcc, v7, v9
	v_cmp_gt_i32_e64 s[0:1], s10, v9
	s_and_b64 s[0:1], vcc, s[0:1]
	s_and_saveexec_b64 s[2:3], s[0:1]
	s_cbranch_execz .LBB440_12
; %bb.11:
	s_load_dwordx2 s[0:1], s[4:5], 0x68
	s_load_dwordx2 s[2:3], s[4:5], 0x58
	s_load_dword s6, s[4:5], 0x60
	v_mul_f64 v[2:3], s[12:13], v[14:15]
	v_mul_f64 v[0:1], s[14:15], v[14:15]
	s_waitcnt lgkmcnt(0)
	s_mul_i32 s1, s1, s8
	s_mul_hi_u32 s4, s0, s8
	s_add_i32 s1, s4, s1
	v_mad_i64_i32 v[4:5], s[4:5], s6, v9, 0
	s_mul_i32 s0, s0, s8
	s_lshl_b64 s[0:1], s[0:1], 4
	s_add_u32 s0, s2, s0
	v_fma_f64 v[2:3], s[14:15], v[16:17], v[2:3]
	v_lshlrev_b64 v[4:5], 4, v[4:5]
	s_addc_u32 s1, s3, s1
	v_fma_f64 v[0:1], s[12:13], v[16:17], -v[0:1]
	v_mov_b32_e32 v6, s1
	v_add_co_u32_e32 v10, vcc, s0, v4
	v_addc_co_u32_e32 v6, vcc, v6, v5, vcc
	v_lshlrev_b64 v[4:5], 4, v[7:8]
	v_add_co_u32_e32 v4, vcc, v10, v4
	v_addc_co_u32_e32 v5, vcc, v6, v5, vcc
	v_cmp_ne_u32_e32 vcc, v7, v9
	v_cndmask_b32_e32 v3, 0, v3, vcc
	v_cndmask_b32_e32 v2, 0, v2, vcc
	global_store_dwordx4 v[4:5], v[0:3], off
.LBB440_12:
	s_endpgm
	.section	.rodata,"a",@progbits
	.p2align	6, 0x0
	.amdhsa_kernel _ZL32rocblas_syrkx_herkx_small_kernelIi19rocblas_complex_numIdELi16ELb1ELb1ELc78ELc85EKS1_S1_EviT_T0_PT6_S3_lS6_S3_lS4_PT7_S3_li
		.amdhsa_group_segment_fixed_size 8192
		.amdhsa_private_segment_fixed_size 0
		.amdhsa_kernarg_size 116
		.amdhsa_user_sgpr_count 6
		.amdhsa_user_sgpr_private_segment_buffer 1
		.amdhsa_user_sgpr_dispatch_ptr 0
		.amdhsa_user_sgpr_queue_ptr 0
		.amdhsa_user_sgpr_kernarg_segment_ptr 1
		.amdhsa_user_sgpr_dispatch_id 0
		.amdhsa_user_sgpr_flat_scratch_init 0
		.amdhsa_user_sgpr_private_segment_size 0
		.amdhsa_uses_dynamic_stack 0
		.amdhsa_system_sgpr_private_segment_wavefront_offset 0
		.amdhsa_system_sgpr_workgroup_id_x 1
		.amdhsa_system_sgpr_workgroup_id_y 1
		.amdhsa_system_sgpr_workgroup_id_z 1
		.amdhsa_system_sgpr_workgroup_info 0
		.amdhsa_system_vgpr_workitem_id 1
		.amdhsa_next_free_vgpr 46
		.amdhsa_next_free_sgpr 61
		.amdhsa_reserve_vcc 1
		.amdhsa_reserve_flat_scratch 0
		.amdhsa_float_round_mode_32 0
		.amdhsa_float_round_mode_16_64 0
		.amdhsa_float_denorm_mode_32 3
		.amdhsa_float_denorm_mode_16_64 3
		.amdhsa_dx10_clamp 1
		.amdhsa_ieee_mode 1
		.amdhsa_fp16_overflow 0
		.amdhsa_exception_fp_ieee_invalid_op 0
		.amdhsa_exception_fp_denorm_src 0
		.amdhsa_exception_fp_ieee_div_zero 0
		.amdhsa_exception_fp_ieee_overflow 0
		.amdhsa_exception_fp_ieee_underflow 0
		.amdhsa_exception_fp_ieee_inexact 0
		.amdhsa_exception_int_div_zero 0
	.end_amdhsa_kernel
	.section	.text._ZL32rocblas_syrkx_herkx_small_kernelIi19rocblas_complex_numIdELi16ELb1ELb1ELc78ELc85EKS1_S1_EviT_T0_PT6_S3_lS6_S3_lS4_PT7_S3_li,"axG",@progbits,_ZL32rocblas_syrkx_herkx_small_kernelIi19rocblas_complex_numIdELi16ELb1ELb1ELc78ELc85EKS1_S1_EviT_T0_PT6_S3_lS6_S3_lS4_PT7_S3_li,comdat
.Lfunc_end440:
	.size	_ZL32rocblas_syrkx_herkx_small_kernelIi19rocblas_complex_numIdELi16ELb1ELb1ELc78ELc85EKS1_S1_EviT_T0_PT6_S3_lS6_S3_lS4_PT7_S3_li, .Lfunc_end440-_ZL32rocblas_syrkx_herkx_small_kernelIi19rocblas_complex_numIdELi16ELb1ELb1ELc78ELc85EKS1_S1_EviT_T0_PT6_S3_lS6_S3_lS4_PT7_S3_li
                                        ; -- End function
	.set _ZL32rocblas_syrkx_herkx_small_kernelIi19rocblas_complex_numIdELi16ELb1ELb1ELc78ELc85EKS1_S1_EviT_T0_PT6_S3_lS6_S3_lS4_PT7_S3_li.num_vgpr, 46
	.set _ZL32rocblas_syrkx_herkx_small_kernelIi19rocblas_complex_numIdELi16ELb1ELb1ELc78ELc85EKS1_S1_EviT_T0_PT6_S3_lS6_S3_lS4_PT7_S3_li.num_agpr, 0
	.set _ZL32rocblas_syrkx_herkx_small_kernelIi19rocblas_complex_numIdELi16ELb1ELb1ELc78ELc85EKS1_S1_EviT_T0_PT6_S3_lS6_S3_lS4_PT7_S3_li.numbered_sgpr, 27
	.set _ZL32rocblas_syrkx_herkx_small_kernelIi19rocblas_complex_numIdELi16ELb1ELb1ELc78ELc85EKS1_S1_EviT_T0_PT6_S3_lS6_S3_lS4_PT7_S3_li.num_named_barrier, 0
	.set _ZL32rocblas_syrkx_herkx_small_kernelIi19rocblas_complex_numIdELi16ELb1ELb1ELc78ELc85EKS1_S1_EviT_T0_PT6_S3_lS6_S3_lS4_PT7_S3_li.private_seg_size, 0
	.set _ZL32rocblas_syrkx_herkx_small_kernelIi19rocblas_complex_numIdELi16ELb1ELb1ELc78ELc85EKS1_S1_EviT_T0_PT6_S3_lS6_S3_lS4_PT7_S3_li.uses_vcc, 1
	.set _ZL32rocblas_syrkx_herkx_small_kernelIi19rocblas_complex_numIdELi16ELb1ELb1ELc78ELc85EKS1_S1_EviT_T0_PT6_S3_lS6_S3_lS4_PT7_S3_li.uses_flat_scratch, 0
	.set _ZL32rocblas_syrkx_herkx_small_kernelIi19rocblas_complex_numIdELi16ELb1ELb1ELc78ELc85EKS1_S1_EviT_T0_PT6_S3_lS6_S3_lS4_PT7_S3_li.has_dyn_sized_stack, 0
	.set _ZL32rocblas_syrkx_herkx_small_kernelIi19rocblas_complex_numIdELi16ELb1ELb1ELc78ELc85EKS1_S1_EviT_T0_PT6_S3_lS6_S3_lS4_PT7_S3_li.has_recursion, 0
	.set _ZL32rocblas_syrkx_herkx_small_kernelIi19rocblas_complex_numIdELi16ELb1ELb1ELc78ELc85EKS1_S1_EviT_T0_PT6_S3_lS6_S3_lS4_PT7_S3_li.has_indirect_call, 0
	.section	.AMDGPU.csdata,"",@progbits
; Kernel info:
; codeLenInByte = 1892
; TotalNumSgprs: 31
; NumVgprs: 46
; ScratchSize: 0
; MemoryBound: 1
; FloatMode: 240
; IeeeMode: 1
; LDSByteSize: 8192 bytes/workgroup (compile time only)
; SGPRBlocks: 8
; VGPRBlocks: 11
; NumSGPRsForWavesPerEU: 65
; NumVGPRsForWavesPerEU: 46
; Occupancy: 5
; WaveLimiterHint : 0
; COMPUTE_PGM_RSRC2:SCRATCH_EN: 0
; COMPUTE_PGM_RSRC2:USER_SGPR: 6
; COMPUTE_PGM_RSRC2:TRAP_HANDLER: 0
; COMPUTE_PGM_RSRC2:TGID_X_EN: 1
; COMPUTE_PGM_RSRC2:TGID_Y_EN: 1
; COMPUTE_PGM_RSRC2:TGID_Z_EN: 1
; COMPUTE_PGM_RSRC2:TIDIG_COMP_CNT: 1
	.section	.text._ZL32rocblas_syrkx_herkx_small_kernelIi19rocblas_complex_numIdELi16ELb0ELb1ELc84ELc76EKS1_S1_EviT_T0_PT6_S3_lS6_S3_lS4_PT7_S3_li,"axG",@progbits,_ZL32rocblas_syrkx_herkx_small_kernelIi19rocblas_complex_numIdELi16ELb0ELb1ELc84ELc76EKS1_S1_EviT_T0_PT6_S3_lS6_S3_lS4_PT7_S3_li,comdat
	.globl	_ZL32rocblas_syrkx_herkx_small_kernelIi19rocblas_complex_numIdELi16ELb0ELb1ELc84ELc76EKS1_S1_EviT_T0_PT6_S3_lS6_S3_lS4_PT7_S3_li ; -- Begin function _ZL32rocblas_syrkx_herkx_small_kernelIi19rocblas_complex_numIdELi16ELb0ELb1ELc84ELc76EKS1_S1_EviT_T0_PT6_S3_lS6_S3_lS4_PT7_S3_li
	.p2align	8
	.type	_ZL32rocblas_syrkx_herkx_small_kernelIi19rocblas_complex_numIdELi16ELb0ELb1ELc84ELc76EKS1_S1_EviT_T0_PT6_S3_lS6_S3_lS4_PT7_S3_li,@function
_ZL32rocblas_syrkx_herkx_small_kernelIi19rocblas_complex_numIdELi16ELb0ELb1ELc84ELc76EKS1_S1_EviT_T0_PT6_S3_lS6_S3_lS4_PT7_S3_li: ; @_ZL32rocblas_syrkx_herkx_small_kernelIi19rocblas_complex_numIdELi16ELb0ELb1ELc84ELc76EKS1_S1_EviT_T0_PT6_S3_lS6_S3_lS4_PT7_S3_li
; %bb.0:
	s_load_dwordx2 s[10:11], s[4:5], 0x0
	s_load_dwordx4 s[20:23], s[4:5], 0x8
	s_load_dwordx2 s[24:25], s[4:5], 0x18
	s_load_dwordx8 s[12:19], s[4:5], 0x40
	v_lshl_add_u32 v6, s6, 4, v0
	s_mov_b32 s9, 0
	v_lshl_add_u32 v15, s7, 4, v1
	s_waitcnt lgkmcnt(0)
	s_cmp_lt_i32 s11, 1
	v_cmp_gt_i32_e32 vcc, s10, v6
	s_cbranch_scc1 .LBB441_11
; %bb.1:
	s_load_dword s6, s[4:5], 0x20
	s_load_dwordx4 s[28:31], s[4:5], 0x28
	s_load_dword s0, s[4:5], 0x38
	s_mul_i32 s2, s13, s8
	s_mul_hi_u32 s3, s12, s8
	s_add_i32 s3, s3, s2
	s_mul_i32 s2, s12, s8
	s_waitcnt lgkmcnt(0)
	v_mad_i64_i32 v[2:3], s[0:1], s0, v15, 0
	v_lshlrev_b32_e32 v4, 8, v1
	v_lshlrev_b32_e32 v16, 4, v0
	v_lshlrev_b64 v[2:3], 4, v[2:3]
	s_lshl_b64 s[2:3], s[2:3], 4
	v_add_u32_e32 v17, v16, v4
	v_add_u32_e32 v18, 0x1000, v4
	v_mov_b32_e32 v4, s3
	v_add_co_u32_e64 v2, s[2:3], s2, v2
	v_addc_co_u32_e64 v3, s[2:3], v3, v4, s[2:3]
	v_add_co_u32_e64 v4, s[2:3], v2, v16
	v_addc_co_u32_e64 v5, s[2:3], 0, v3, s[2:3]
	v_mad_i64_i32 v[2:3], s[2:3], s6, v6, 0
	v_mov_b32_e32 v8, s31
	v_add_co_u32_e64 v7, s[2:3], s30, v4
	v_addc_co_u32_e64 v8, s[2:3], v8, v5, s[2:3]
	s_mul_i32 s2, s29, s8
	s_mul_hi_u32 s3, s28, s8
	v_lshlrev_b64 v[2:3], 4, v[2:3]
	s_add_i32 s3, s3, s2
	s_mul_i32 s2, s28, s8
	s_lshl_b64 s[2:3], s[2:3], 4
	v_mov_b32_e32 v4, s3
	v_add_co_u32_e64 v2, s[2:3], s2, v2
	v_addc_co_u32_e64 v3, s[2:3], v3, v4, s[2:3]
	v_lshlrev_b32_e32 v4, 4, v1
	v_add_co_u32_e64 v2, s[2:3], v2, v4
	v_addc_co_u32_e64 v3, s[2:3], 0, v3, s[2:3]
	v_mov_b32_e32 v4, s25
	v_add_co_u32_e64 v9, s[2:3], s24, v2
	v_cmp_gt_i32_e64 s[0:1], s10, v15
	v_addc_co_u32_e64 v10, s[2:3], v4, v3, s[2:3]
	v_mov_b32_e32 v11, 0
	v_mov_b32_e32 v13, 0
	v_add_u32_e32 v19, v18, v16
	v_mov_b32_e32 v12, 0
	s_xor_b64 s[2:3], vcc, -1
	s_xor_b64 s[0:1], s[0:1], -1
	v_mov_b32_e32 v14, 0
	v_mov_b32_e32 v2, 0
	s_branch .LBB441_3
.LBB441_2:                              ;   in Loop: Header=BB441_3 Depth=1
	s_or_b64 exec, exec, s[6:7]
	s_waitcnt lgkmcnt(0)
	s_barrier
	ds_read_b128 v[20:23], v18
	ds_read_b128 v[24:27], v18 offset:16
	ds_read_b128 v[28:31], v18 offset:32
	;; [unrolled: 1-line block ×3, first 2 shown]
	ds_read_b128 v[36:39], v16
	v_add_co_u32_e32 v7, vcc, 0x100, v7
	v_addc_co_u32_e32 v8, vcc, 0, v8, vcc
	s_waitcnt lgkmcnt(0)
	v_mul_f64 v[3:4], v[22:23], v[38:39]
	s_add_i32 s9, s9, 16
	v_add_co_u32_e32 v9, vcc, 0x100, v9
	v_addc_co_u32_e32 v10, vcc, 0, v10, vcc
	s_cmp_ge_i32 s9, s11
	v_fma_f64 v[3:4], v[20:21], v[36:37], -v[3:4]
	v_mul_f64 v[20:21], v[20:21], v[38:39]
	v_add_f64 v[3:4], v[13:14], v[3:4]
	v_fma_f64 v[20:21], v[22:23], v[36:37], v[20:21]
	v_add_f64 v[20:21], v[11:12], v[20:21]
	ds_read_b128 v[11:14], v16 offset:256
	s_waitcnt lgkmcnt(0)
	v_mul_f64 v[22:23], v[26:27], v[13:14]
	v_mul_f64 v[13:14], v[24:25], v[13:14]
	v_fma_f64 v[22:23], v[24:25], v[11:12], -v[22:23]
	v_fma_f64 v[11:12], v[26:27], v[11:12], v[13:14]
	v_add_f64 v[3:4], v[3:4], v[22:23]
	v_add_f64 v[20:21], v[20:21], v[11:12]
	ds_read_b128 v[11:14], v16 offset:512
	s_waitcnt lgkmcnt(0)
	v_mul_f64 v[22:23], v[30:31], v[13:14]
	v_mul_f64 v[13:14], v[28:29], v[13:14]
	v_fma_f64 v[22:23], v[28:29], v[11:12], -v[22:23]
	v_fma_f64 v[11:12], v[30:31], v[11:12], v[13:14]
	v_add_f64 v[3:4], v[3:4], v[22:23]
	;; [unrolled: 8-line block ×3, first 2 shown]
	v_add_f64 v[24:25], v[20:21], v[11:12]
	ds_read_b128 v[11:14], v18 offset:64
	ds_read_b128 v[20:23], v16 offset:1024
	s_waitcnt lgkmcnt(0)
	v_mul_f64 v[26:27], v[13:14], v[22:23]
	v_fma_f64 v[26:27], v[11:12], v[20:21], -v[26:27]
	v_mul_f64 v[11:12], v[11:12], v[22:23]
	v_add_f64 v[3:4], v[3:4], v[26:27]
	v_fma_f64 v[11:12], v[13:14], v[20:21], v[11:12]
	v_add_f64 v[24:25], v[24:25], v[11:12]
	ds_read_b128 v[11:14], v18 offset:80
	ds_read_b128 v[20:23], v16 offset:1280
	s_waitcnt lgkmcnt(0)
	v_mul_f64 v[26:27], v[13:14], v[22:23]
	v_fma_f64 v[26:27], v[11:12], v[20:21], -v[26:27]
	v_mul_f64 v[11:12], v[11:12], v[22:23]
	v_add_f64 v[3:4], v[3:4], v[26:27]
	v_fma_f64 v[11:12], v[13:14], v[20:21], v[11:12]
	;; [unrolled: 9-line block ×11, first 2 shown]
	v_add_f64 v[24:25], v[24:25], v[11:12]
	ds_read_b128 v[11:14], v18 offset:240
	ds_read_b128 v[20:23], v16 offset:3840
	s_waitcnt lgkmcnt(0)
	s_barrier
	v_mul_f64 v[26:27], v[13:14], v[22:23]
	v_fma_f64 v[26:27], v[11:12], v[20:21], -v[26:27]
	v_mul_f64 v[11:12], v[11:12], v[22:23]
	v_fma_f64 v[11:12], v[13:14], v[20:21], v[11:12]
	v_add_f64 v[13:14], v[3:4], v[26:27]
	v_add_f64 v[11:12], v[24:25], v[11:12]
	s_cbranch_scc1 .LBB441_12
.LBB441_3:                              ; =>This Inner Loop Header: Depth=1
	v_add_u32_e32 v3, s9, v1
	v_cmp_le_i32_e32 vcc, s11, v3
	s_or_b64 s[6:7], s[2:3], vcc
	s_and_saveexec_b64 s[12:13], s[6:7]
	s_xor_b64 s[6:7], exec, s[12:13]
; %bb.4:                                ;   in Loop: Header=BB441_3 Depth=1
	v_mov_b32_e32 v3, v2
	v_mov_b32_e32 v4, v2
	;; [unrolled: 1-line block ×3, first 2 shown]
	ds_write_b128 v17, v[2:5]
; %bb.5:                                ;   in Loop: Header=BB441_3 Depth=1
	s_andn2_saveexec_b64 s[6:7], s[6:7]
	s_cbranch_execz .LBB441_7
; %bb.6:                                ;   in Loop: Header=BB441_3 Depth=1
	global_load_dwordx4 v[20:23], v[9:10], off
	s_waitcnt vmcnt(0)
	ds_write2_b64 v17, v[20:21], v[22:23] offset1:1
.LBB441_7:                              ;   in Loop: Header=BB441_3 Depth=1
	s_or_b64 exec, exec, s[6:7]
	v_add_u32_e32 v3, s9, v0
	v_cmp_le_i32_e32 vcc, s11, v3
	s_or_b64 s[6:7], s[0:1], vcc
	s_and_saveexec_b64 s[12:13], s[6:7]
	s_xor_b64 s[6:7], exec, s[12:13]
; %bb.8:                                ;   in Loop: Header=BB441_3 Depth=1
	v_mov_b32_e32 v3, v2
	v_mov_b32_e32 v4, v2
	;; [unrolled: 1-line block ×3, first 2 shown]
	ds_write_b128 v19, v[2:5]
; %bb.9:                                ;   in Loop: Header=BB441_3 Depth=1
	s_andn2_saveexec_b64 s[6:7], s[6:7]
	s_cbranch_execz .LBB441_2
; %bb.10:                               ;   in Loop: Header=BB441_3 Depth=1
	global_load_dwordx4 v[20:23], v[7:8], off
	s_waitcnt vmcnt(0)
	ds_write2_b64 v19, v[20:21], v[22:23] offset1:1
	s_branch .LBB441_2
.LBB441_11:
	v_mov_b32_e32 v11, 0
	v_mov_b32_e32 v13, 0
	;; [unrolled: 1-line block ×4, first 2 shown]
.LBB441_12:
	v_cmp_le_i32_e32 vcc, v15, v6
	v_cmp_gt_i32_e64 s[0:1], s10, v6
	s_and_b64 s[0:1], vcc, s[0:1]
	s_and_saveexec_b64 s[2:3], s[0:1]
	s_cbranch_execz .LBB441_14
; %bb.13:
	s_load_dwordx2 s[0:1], s[4:5], 0x68
	s_load_dword s2, s[4:5], 0x60
	v_ashrrev_i32_e32 v7, 31, v6
	s_waitcnt lgkmcnt(0)
	s_mul_i32 s1, s1, s8
	s_mul_hi_u32 s3, s0, s8
	s_add_i32 s1, s3, s1
	v_mad_i64_i32 v[0:1], s[2:3], s2, v15, 0
	s_mul_i32 s0, s0, s8
	s_lshl_b64 s[0:1], s[0:1], 4
	s_add_u32 s0, s18, s0
	v_lshlrev_b64 v[0:1], 4, v[0:1]
	s_addc_u32 s1, s19, s1
	v_mov_b32_e32 v2, s1
	v_add_co_u32_e32 v3, vcc, s0, v0
	v_addc_co_u32_e32 v2, vcc, v2, v1, vcc
	v_lshlrev_b64 v[0:1], 4, v[6:7]
	v_mul_f64 v[7:8], s[20:21], v[11:12]
	v_add_co_u32_e32 v4, vcc, v3, v0
	v_addc_co_u32_e32 v5, vcc, v2, v1, vcc
	global_load_dwordx4 v[0:3], v[4:5], off
	v_mul_f64 v[11:12], s[22:23], v[11:12]
	v_cmp_ne_u32_e32 vcc, v6, v15
	v_fma_f64 v[7:8], s[22:23], v[13:14], v[7:8]
	v_fma_f64 v[11:12], s[20:21], v[13:14], -v[11:12]
	s_waitcnt vmcnt(0)
	v_mul_f64 v[9:10], s[14:15], v[2:3]
	v_mul_f64 v[2:3], s[16:17], v[2:3]
	v_fma_f64 v[9:10], s[16:17], v[0:1], v[9:10]
	v_fma_f64 v[0:1], s[14:15], v[0:1], -v[2:3]
	v_add_f64 v[2:3], v[7:8], v[9:10]
	v_add_f64 v[0:1], v[11:12], v[0:1]
	v_cndmask_b32_e32 v3, 0, v3, vcc
	v_cndmask_b32_e32 v2, 0, v2, vcc
	global_store_dwordx4 v[4:5], v[0:3], off
.LBB441_14:
	s_endpgm
	.section	.rodata,"a",@progbits
	.p2align	6, 0x0
	.amdhsa_kernel _ZL32rocblas_syrkx_herkx_small_kernelIi19rocblas_complex_numIdELi16ELb0ELb1ELc84ELc76EKS1_S1_EviT_T0_PT6_S3_lS6_S3_lS4_PT7_S3_li
		.amdhsa_group_segment_fixed_size 8192
		.amdhsa_private_segment_fixed_size 0
		.amdhsa_kernarg_size 116
		.amdhsa_user_sgpr_count 6
		.amdhsa_user_sgpr_private_segment_buffer 1
		.amdhsa_user_sgpr_dispatch_ptr 0
		.amdhsa_user_sgpr_queue_ptr 0
		.amdhsa_user_sgpr_kernarg_segment_ptr 1
		.amdhsa_user_sgpr_dispatch_id 0
		.amdhsa_user_sgpr_flat_scratch_init 0
		.amdhsa_user_sgpr_private_segment_size 0
		.amdhsa_uses_dynamic_stack 0
		.amdhsa_system_sgpr_private_segment_wavefront_offset 0
		.amdhsa_system_sgpr_workgroup_id_x 1
		.amdhsa_system_sgpr_workgroup_id_y 1
		.amdhsa_system_sgpr_workgroup_id_z 1
		.amdhsa_system_sgpr_workgroup_info 0
		.amdhsa_system_vgpr_workitem_id 1
		.amdhsa_next_free_vgpr 40
		.amdhsa_next_free_sgpr 61
		.amdhsa_reserve_vcc 1
		.amdhsa_reserve_flat_scratch 0
		.amdhsa_float_round_mode_32 0
		.amdhsa_float_round_mode_16_64 0
		.amdhsa_float_denorm_mode_32 3
		.amdhsa_float_denorm_mode_16_64 3
		.amdhsa_dx10_clamp 1
		.amdhsa_ieee_mode 1
		.amdhsa_fp16_overflow 0
		.amdhsa_exception_fp_ieee_invalid_op 0
		.amdhsa_exception_fp_denorm_src 0
		.amdhsa_exception_fp_ieee_div_zero 0
		.amdhsa_exception_fp_ieee_overflow 0
		.amdhsa_exception_fp_ieee_underflow 0
		.amdhsa_exception_fp_ieee_inexact 0
		.amdhsa_exception_int_div_zero 0
	.end_amdhsa_kernel
	.section	.text._ZL32rocblas_syrkx_herkx_small_kernelIi19rocblas_complex_numIdELi16ELb0ELb1ELc84ELc76EKS1_S1_EviT_T0_PT6_S3_lS6_S3_lS4_PT7_S3_li,"axG",@progbits,_ZL32rocblas_syrkx_herkx_small_kernelIi19rocblas_complex_numIdELi16ELb0ELb1ELc84ELc76EKS1_S1_EviT_T0_PT6_S3_lS6_S3_lS4_PT7_S3_li,comdat
.Lfunc_end441:
	.size	_ZL32rocblas_syrkx_herkx_small_kernelIi19rocblas_complex_numIdELi16ELb0ELb1ELc84ELc76EKS1_S1_EviT_T0_PT6_S3_lS6_S3_lS4_PT7_S3_li, .Lfunc_end441-_ZL32rocblas_syrkx_herkx_small_kernelIi19rocblas_complex_numIdELi16ELb0ELb1ELc84ELc76EKS1_S1_EviT_T0_PT6_S3_lS6_S3_lS4_PT7_S3_li
                                        ; -- End function
	.set _ZL32rocblas_syrkx_herkx_small_kernelIi19rocblas_complex_numIdELi16ELb0ELb1ELc84ELc76EKS1_S1_EviT_T0_PT6_S3_lS6_S3_lS4_PT7_S3_li.num_vgpr, 40
	.set _ZL32rocblas_syrkx_herkx_small_kernelIi19rocblas_complex_numIdELi16ELb0ELb1ELc84ELc76EKS1_S1_EviT_T0_PT6_S3_lS6_S3_lS4_PT7_S3_li.num_agpr, 0
	.set _ZL32rocblas_syrkx_herkx_small_kernelIi19rocblas_complex_numIdELi16ELb0ELb1ELc84ELc76EKS1_S1_EviT_T0_PT6_S3_lS6_S3_lS4_PT7_S3_li.numbered_sgpr, 32
	.set _ZL32rocblas_syrkx_herkx_small_kernelIi19rocblas_complex_numIdELi16ELb0ELb1ELc84ELc76EKS1_S1_EviT_T0_PT6_S3_lS6_S3_lS4_PT7_S3_li.num_named_barrier, 0
	.set _ZL32rocblas_syrkx_herkx_small_kernelIi19rocblas_complex_numIdELi16ELb0ELb1ELc84ELc76EKS1_S1_EviT_T0_PT6_S3_lS6_S3_lS4_PT7_S3_li.private_seg_size, 0
	.set _ZL32rocblas_syrkx_herkx_small_kernelIi19rocblas_complex_numIdELi16ELb0ELb1ELc84ELc76EKS1_S1_EviT_T0_PT6_S3_lS6_S3_lS4_PT7_S3_li.uses_vcc, 1
	.set _ZL32rocblas_syrkx_herkx_small_kernelIi19rocblas_complex_numIdELi16ELb0ELb1ELc84ELc76EKS1_S1_EviT_T0_PT6_S3_lS6_S3_lS4_PT7_S3_li.uses_flat_scratch, 0
	.set _ZL32rocblas_syrkx_herkx_small_kernelIi19rocblas_complex_numIdELi16ELb0ELb1ELc84ELc76EKS1_S1_EviT_T0_PT6_S3_lS6_S3_lS4_PT7_S3_li.has_dyn_sized_stack, 0
	.set _ZL32rocblas_syrkx_herkx_small_kernelIi19rocblas_complex_numIdELi16ELb0ELb1ELc84ELc76EKS1_S1_EviT_T0_PT6_S3_lS6_S3_lS4_PT7_S3_li.has_recursion, 0
	.set _ZL32rocblas_syrkx_herkx_small_kernelIi19rocblas_complex_numIdELi16ELb0ELb1ELc84ELc76EKS1_S1_EviT_T0_PT6_S3_lS6_S3_lS4_PT7_S3_li.has_indirect_call, 0
	.section	.AMDGPU.csdata,"",@progbits
; Kernel info:
; codeLenInByte = 1884
; TotalNumSgprs: 36
; NumVgprs: 40
; ScratchSize: 0
; MemoryBound: 0
; FloatMode: 240
; IeeeMode: 1
; LDSByteSize: 8192 bytes/workgroup (compile time only)
; SGPRBlocks: 8
; VGPRBlocks: 9
; NumSGPRsForWavesPerEU: 65
; NumVGPRsForWavesPerEU: 40
; Occupancy: 6
; WaveLimiterHint : 0
; COMPUTE_PGM_RSRC2:SCRATCH_EN: 0
; COMPUTE_PGM_RSRC2:USER_SGPR: 6
; COMPUTE_PGM_RSRC2:TRAP_HANDLER: 0
; COMPUTE_PGM_RSRC2:TGID_X_EN: 1
; COMPUTE_PGM_RSRC2:TGID_Y_EN: 1
; COMPUTE_PGM_RSRC2:TGID_Z_EN: 1
; COMPUTE_PGM_RSRC2:TIDIG_COMP_CNT: 1
	.section	.text._ZL32rocblas_syrkx_herkx_small_kernelIi19rocblas_complex_numIdELi16ELb0ELb1ELc67ELc76EKS1_S1_EviT_T0_PT6_S3_lS6_S3_lS4_PT7_S3_li,"axG",@progbits,_ZL32rocblas_syrkx_herkx_small_kernelIi19rocblas_complex_numIdELi16ELb0ELb1ELc67ELc76EKS1_S1_EviT_T0_PT6_S3_lS6_S3_lS4_PT7_S3_li,comdat
	.globl	_ZL32rocblas_syrkx_herkx_small_kernelIi19rocblas_complex_numIdELi16ELb0ELb1ELc67ELc76EKS1_S1_EviT_T0_PT6_S3_lS6_S3_lS4_PT7_S3_li ; -- Begin function _ZL32rocblas_syrkx_herkx_small_kernelIi19rocblas_complex_numIdELi16ELb0ELb1ELc67ELc76EKS1_S1_EviT_T0_PT6_S3_lS6_S3_lS4_PT7_S3_li
	.p2align	8
	.type	_ZL32rocblas_syrkx_herkx_small_kernelIi19rocblas_complex_numIdELi16ELb0ELb1ELc67ELc76EKS1_S1_EviT_T0_PT6_S3_lS6_S3_lS4_PT7_S3_li,@function
_ZL32rocblas_syrkx_herkx_small_kernelIi19rocblas_complex_numIdELi16ELb0ELb1ELc67ELc76EKS1_S1_EviT_T0_PT6_S3_lS6_S3_lS4_PT7_S3_li: ; @_ZL32rocblas_syrkx_herkx_small_kernelIi19rocblas_complex_numIdELi16ELb0ELb1ELc67ELc76EKS1_S1_EviT_T0_PT6_S3_lS6_S3_lS4_PT7_S3_li
; %bb.0:
	s_load_dwordx2 s[10:11], s[4:5], 0x0
	s_load_dwordx4 s[20:23], s[4:5], 0x8
	s_load_dwordx2 s[24:25], s[4:5], 0x18
	s_load_dwordx8 s[12:19], s[4:5], 0x40
	v_lshl_add_u32 v7, s6, 4, v0
	s_mov_b32 s9, 0
	v_lshl_add_u32 v16, s7, 4, v1
	s_waitcnt lgkmcnt(0)
	s_cmp_lt_i32 s11, 1
	v_cmp_gt_i32_e64 s[0:1], s10, v7
	s_cbranch_scc1 .LBB442_9
; %bb.1:
	s_load_dword s6, s[4:5], 0x20
	s_load_dwordx4 s[28:31], s[4:5], 0x28
	s_load_dword s2, s[4:5], 0x38
	v_lshlrev_b32_e32 v4, 8, v1
	v_lshlrev_b32_e32 v17, 4, v0
	v_add_u32_e32 v18, v17, v4
	v_add_u32_e32 v19, 0x1000, v4
	s_waitcnt lgkmcnt(0)
	v_mad_i64_i32 v[2:3], s[2:3], s2, v16, 0
	s_mul_i32 s2, s13, s8
	s_mul_hi_u32 s3, s12, s8
	v_lshlrev_b64 v[2:3], 4, v[2:3]
	s_add_i32 s3, s3, s2
	s_mul_i32 s2, s12, s8
	s_lshl_b64 s[2:3], s[2:3], 4
	v_mov_b32_e32 v4, s3
	v_add_co_u32_e64 v2, s[2:3], s2, v2
	v_addc_co_u32_e64 v3, s[2:3], v3, v4, s[2:3]
	v_add_co_u32_e64 v4, s[2:3], v2, v17
	v_addc_co_u32_e64 v5, s[2:3], 0, v3, s[2:3]
	v_mad_i64_i32 v[2:3], s[2:3], s6, v7, 0
	v_mov_b32_e32 v6, s31
	v_add_co_u32_e64 v8, s[2:3], s30, v4
	v_addc_co_u32_e64 v9, s[2:3], v6, v5, s[2:3]
	s_mul_i32 s2, s29, s8
	s_mul_hi_u32 s3, s28, s8
	v_lshlrev_b64 v[2:3], 4, v[2:3]
	s_add_i32 s3, s3, s2
	s_mul_i32 s2, s28, s8
	s_lshl_b64 s[2:3], s[2:3], 4
	v_mov_b32_e32 v4, s3
	v_add_co_u32_e64 v2, s[2:3], s2, v2
	v_addc_co_u32_e64 v3, s[2:3], v3, v4, s[2:3]
	v_lshlrev_b32_e32 v4, 4, v1
	v_add_co_u32_e64 v2, s[2:3], v2, v4
	v_addc_co_u32_e64 v3, s[2:3], 0, v3, s[2:3]
	v_mov_b32_e32 v4, s25
	v_add_co_u32_e64 v2, s[2:3], s24, v2
	v_addc_co_u32_e64 v3, s[2:3], v4, v3, s[2:3]
	v_add_co_u32_e64 v10, s[2:3], 8, v2
	v_cmp_gt_i32_e32 vcc, s10, v16
	v_addc_co_u32_e64 v11, s[2:3], 0, v3, s[2:3]
	v_mov_b32_e32 v12, 0
	v_mov_b32_e32 v14, 0
	v_add_u32_e32 v20, v19, v17
	v_mov_b32_e32 v13, 0
	s_xor_b64 s[2:3], vcc, -1
	v_mov_b32_e32 v15, 0
	v_mov_b32_e32 v2, 0
	s_branch .LBB442_3
.LBB442_2:                              ;   in Loop: Header=BB442_3 Depth=1
	s_or_b64 exec, exec, s[6:7]
	s_waitcnt lgkmcnt(0)
	s_barrier
	ds_read_b128 v[3:6], v17
	ds_read_b128 v[21:24], v19
	ds_read_b128 v[25:28], v19 offset:16
	ds_read_b128 v[29:32], v17 offset:256
	;; [unrolled: 1-line block ×4, first 2 shown]
	s_waitcnt lgkmcnt(4)
	v_mul_f64 v[41:42], v[23:24], v[5:6]
	v_mul_f64 v[5:6], v[21:22], v[5:6]
	s_waitcnt lgkmcnt(2)
	v_mul_f64 v[43:44], v[27:28], v[31:32]
	v_mul_f64 v[31:32], v[25:26], v[31:32]
	s_waitcnt lgkmcnt(0)
	v_mul_f64 v[47:48], v[35:36], v[39:40]
	v_add_co_u32_e32 v8, vcc, 0x100, v8
	v_addc_co_u32_e32 v9, vcc, 0, v9, vcc
	v_fma_f64 v[41:42], v[21:22], v[3:4], -v[41:42]
	v_fma_f64 v[45:46], v[23:24], v[3:4], v[5:6]
	v_fma_f64 v[25:26], v[25:26], v[29:30], -v[43:44]
	v_fma_f64 v[27:28], v[27:28], v[29:30], v[31:32]
	v_mul_f64 v[29:30], v[33:34], v[39:40]
	ds_read_b128 v[3:6], v19 offset:48
	ds_read_b128 v[21:24], v17 offset:768
	v_fma_f64 v[33:34], v[33:34], v[37:38], -v[47:48]
	s_add_i32 s9, s9, 16
	v_add_f64 v[31:32], v[14:15], v[41:42]
	v_add_f64 v[39:40], v[12:13], v[45:46]
	s_waitcnt lgkmcnt(0)
	v_mul_f64 v[41:42], v[5:6], v[23:24]
	v_mul_f64 v[43:44], v[3:4], v[23:24]
	v_fma_f64 v[35:36], v[35:36], v[37:38], v[29:30]
	ds_read_b128 v[12:15], v19 offset:64
	v_add_co_u32_e32 v10, vcc, 0x100, v10
	v_add_f64 v[31:32], v[31:32], v[25:26]
	v_add_f64 v[37:38], v[39:40], v[27:28]
	ds_read_b128 v[23:26], v17 offset:1024
	v_fma_f64 v[39:40], v[3:4], v[21:22], -v[41:42]
	v_fma_f64 v[21:22], v[5:6], v[21:22], v[43:44]
	ds_read_b128 v[3:6], v19 offset:80
	ds_read_b128 v[27:30], v17 offset:1280
	s_cmp_ge_i32 s9, s11
	s_waitcnt lgkmcnt(2)
	v_mul_f64 v[41:42], v[14:15], v[25:26]
	v_mul_f64 v[25:26], v[12:13], v[25:26]
	v_add_f64 v[43:44], v[31:32], v[33:34]
	v_add_f64 v[35:36], v[37:38], v[35:36]
	s_waitcnt lgkmcnt(0)
	v_mul_f64 v[45:46], v[5:6], v[29:30]
	v_mul_f64 v[29:30], v[3:4], v[29:30]
	ds_read_b128 v[31:34], v19 offset:96
	v_addc_co_u32_e32 v11, vcc, 0, v11, vcc
	v_fma_f64 v[41:42], v[12:13], v[23:24], -v[41:42]
	v_fma_f64 v[25:26], v[14:15], v[23:24], v[25:26]
	v_add_f64 v[39:40], v[43:44], v[39:40]
	v_add_f64 v[43:44], v[35:36], v[21:22]
	ds_read_b128 v[12:15], v17 offset:1536
	v_fma_f64 v[45:46], v[3:4], v[27:28], -v[45:46]
	v_fma_f64 v[27:28], v[5:6], v[27:28], v[29:30]
	ds_read_b128 v[21:24], v19 offset:112
	ds_read_b128 v[35:38], v17 offset:1792
	;; [unrolled: 1-line block ×3, first 2 shown]
	s_waitcnt lgkmcnt(3)
	v_mul_f64 v[47:48], v[33:34], v[14:15]
	v_mul_f64 v[14:15], v[31:32], v[14:15]
	v_add_f64 v[29:30], v[39:40], v[41:42]
	v_add_f64 v[25:26], v[43:44], v[25:26]
	s_waitcnt lgkmcnt(1)
	v_mul_f64 v[39:40], v[23:24], v[37:38]
	v_mul_f64 v[37:38], v[21:22], v[37:38]
	v_fma_f64 v[31:32], v[31:32], v[12:13], -v[47:48]
	v_fma_f64 v[33:34], v[33:34], v[12:13], v[14:15]
	v_add_f64 v[29:30], v[29:30], v[45:46]
	v_add_f64 v[41:42], v[25:26], v[27:28]
	ds_read_b128 v[12:15], v17 offset:2048
	v_fma_f64 v[39:40], v[21:22], v[35:36], -v[39:40]
	v_fma_f64 v[35:36], v[23:24], v[35:36], v[37:38]
	ds_read_b128 v[21:24], v19 offset:144
	ds_read_b128 v[25:28], v17 offset:2304
	s_waitcnt lgkmcnt(2)
	v_mul_f64 v[37:38], v[5:6], v[14:15]
	v_mul_f64 v[14:15], v[3:4], v[14:15]
	v_add_f64 v[43:44], v[29:30], v[31:32]
	v_add_f64 v[33:34], v[41:42], v[33:34]
	s_waitcnt lgkmcnt(0)
	v_mul_f64 v[41:42], v[23:24], v[27:28]
	v_mul_f64 v[27:28], v[21:22], v[27:28]
	ds_read_b128 v[29:32], v19 offset:160
	v_fma_f64 v[37:38], v[3:4], v[12:13], -v[37:38]
	v_fma_f64 v[45:46], v[5:6], v[12:13], v[14:15]
	v_add_f64 v[39:40], v[43:44], v[39:40]
	v_add_f64 v[43:44], v[33:34], v[35:36]
	ds_read_b128 v[3:6], v17 offset:2560
	v_fma_f64 v[41:42], v[21:22], v[25:26], -v[41:42]
	v_fma_f64 v[25:26], v[23:24], v[25:26], v[27:28]
	ds_read_b128 v[12:15], v19 offset:176
	ds_read_b128 v[33:36], v17 offset:2816
	;; [unrolled: 1-line block ×3, first 2 shown]
	s_waitcnt lgkmcnt(3)
	v_mul_f64 v[47:48], v[31:32], v[5:6]
	v_mul_f64 v[5:6], v[29:30], v[5:6]
	v_add_f64 v[27:28], v[39:40], v[37:38]
	v_add_f64 v[37:38], v[43:44], v[45:46]
	s_waitcnt lgkmcnt(1)
	v_mul_f64 v[39:40], v[14:15], v[35:36]
	v_mul_f64 v[35:36], v[12:13], v[35:36]
	v_fma_f64 v[29:30], v[29:30], v[3:4], -v[47:48]
	v_fma_f64 v[31:32], v[31:32], v[3:4], v[5:6]
	v_add_f64 v[41:42], v[27:28], v[41:42]
	v_add_f64 v[37:38], v[37:38], v[25:26]
	ds_read_b128 v[3:6], v17 offset:3072
	v_fma_f64 v[39:40], v[12:13], v[33:34], -v[39:40]
	v_fma_f64 v[33:34], v[14:15], v[33:34], v[35:36]
	ds_read_b128 v[12:15], v19 offset:208
	ds_read_b128 v[25:28], v17 offset:3328
	s_waitcnt lgkmcnt(2)
	v_mul_f64 v[35:36], v[23:24], v[5:6]
	v_mul_f64 v[5:6], v[21:22], v[5:6]
	v_add_f64 v[41:42], v[41:42], v[29:30]
	v_add_f64 v[37:38], v[37:38], v[31:32]
	s_waitcnt lgkmcnt(0)
	v_mul_f64 v[43:44], v[14:15], v[27:28]
	v_mul_f64 v[27:28], v[12:13], v[27:28]
	ds_read_b128 v[29:32], v19 offset:224
	v_fma_f64 v[45:46], v[21:22], v[3:4], -v[35:36]
	v_fma_f64 v[47:48], v[23:24], v[3:4], v[5:6]
	v_add_f64 v[39:40], v[41:42], v[39:40]
	v_add_f64 v[37:38], v[37:38], v[33:34]
	ds_read_b128 v[3:6], v17 offset:3584
	v_fma_f64 v[12:13], v[12:13], v[25:26], -v[43:44]
	v_fma_f64 v[14:15], v[14:15], v[25:26], v[27:28]
	ds_read_b128 v[21:24], v19 offset:240
	ds_read_b128 v[33:36], v17 offset:3840
	s_waitcnt lgkmcnt(0)
	v_mul_f64 v[41:42], v[31:32], v[5:6]
	v_mul_f64 v[5:6], v[29:30], v[5:6]
	v_add_f64 v[25:26], v[39:40], v[45:46]
	v_add_f64 v[27:28], v[37:38], v[47:48]
	v_mul_f64 v[37:38], v[23:24], v[35:36]
	v_mul_f64 v[35:36], v[21:22], v[35:36]
	s_barrier
	v_fma_f64 v[29:30], v[29:30], v[3:4], -v[41:42]
	v_fma_f64 v[3:4], v[31:32], v[3:4], v[5:6]
	v_add_f64 v[5:6], v[25:26], v[12:13]
	v_add_f64 v[12:13], v[27:28], v[14:15]
	v_fma_f64 v[14:15], v[21:22], v[33:34], -v[37:38]
	v_fma_f64 v[21:22], v[23:24], v[33:34], v[35:36]
	v_add_f64 v[5:6], v[5:6], v[29:30]
	v_add_f64 v[3:4], v[12:13], v[3:4]
	;; [unrolled: 1-line block ×4, first 2 shown]
	s_cbranch_scc1 .LBB442_10
.LBB442_3:                              ; =>This Inner Loop Header: Depth=1
	v_add_u32_e32 v3, s9, v1
	v_cmp_gt_i32_e32 vcc, s11, v3
	v_mov_b32_e32 v3, 0
	v_mov_b32_e32 v5, 0
	;; [unrolled: 1-line block ×4, first 2 shown]
	s_and_b64 s[12:13], s[0:1], vcc
	s_and_saveexec_b64 s[6:7], s[12:13]
	s_cbranch_execz .LBB442_5
; %bb.4:                                ;   in Loop: Header=BB442_3 Depth=1
	global_load_dwordx4 v[3:6], v[10:11], off offset:-8
	s_waitcnt vmcnt(0)
	v_xor_b32_e32 v6, 0x80000000, v6
.LBB442_5:                              ;   in Loop: Header=BB442_3 Depth=1
	s_or_b64 exec, exec, s[6:7]
	ds_write_b128 v18, v[3:6]
	v_add_u32_e32 v3, s9, v0
	v_cmp_le_i32_e32 vcc, s11, v3
	s_or_b64 s[6:7], s[2:3], vcc
	s_and_saveexec_b64 s[12:13], s[6:7]
	s_xor_b64 s[6:7], exec, s[12:13]
; %bb.6:                                ;   in Loop: Header=BB442_3 Depth=1
	v_mov_b32_e32 v3, v2
	v_mov_b32_e32 v4, v2
	;; [unrolled: 1-line block ×3, first 2 shown]
	ds_write_b128 v20, v[2:5]
; %bb.7:                                ;   in Loop: Header=BB442_3 Depth=1
	s_andn2_saveexec_b64 s[6:7], s[6:7]
	s_cbranch_execz .LBB442_2
; %bb.8:                                ;   in Loop: Header=BB442_3 Depth=1
	global_load_dwordx4 v[3:6], v[8:9], off
	s_waitcnt vmcnt(0)
	ds_write2_b64 v20, v[3:4], v[5:6] offset1:1
	s_branch .LBB442_2
.LBB442_9:
	v_mov_b32_e32 v12, 0
	v_mov_b32_e32 v14, 0
	;; [unrolled: 1-line block ×4, first 2 shown]
.LBB442_10:
	v_cmp_le_i32_e32 vcc, v16, v7
	v_cmp_gt_i32_e64 s[0:1], s10, v7
	s_and_b64 s[0:1], vcc, s[0:1]
	s_and_saveexec_b64 s[2:3], s[0:1]
	s_cbranch_execz .LBB442_12
; %bb.11:
	s_load_dwordx2 s[0:1], s[4:5], 0x68
	s_load_dword s2, s[4:5], 0x60
	v_ashrrev_i32_e32 v8, 31, v7
	s_waitcnt lgkmcnt(0)
	s_mul_i32 s1, s1, s8
	s_mul_hi_u32 s3, s0, s8
	s_add_i32 s1, s3, s1
	v_mad_i64_i32 v[0:1], s[2:3], s2, v16, 0
	s_mul_i32 s0, s0, s8
	s_lshl_b64 s[0:1], s[0:1], 4
	s_add_u32 s0, s18, s0
	v_lshlrev_b64 v[0:1], 4, v[0:1]
	s_addc_u32 s1, s19, s1
	v_mov_b32_e32 v2, s1
	v_add_co_u32_e32 v3, vcc, s0, v0
	v_addc_co_u32_e32 v2, vcc, v2, v1, vcc
	v_lshlrev_b64 v[0:1], 4, v[7:8]
	v_mul_f64 v[8:9], s[20:21], v[12:13]
	v_add_co_u32_e32 v4, vcc, v3, v0
	v_addc_co_u32_e32 v5, vcc, v2, v1, vcc
	global_load_dwordx4 v[0:3], v[4:5], off
	v_mul_f64 v[12:13], s[22:23], v[12:13]
	v_cmp_ne_u32_e32 vcc, v7, v16
	v_fma_f64 v[8:9], s[22:23], v[14:15], v[8:9]
	v_fma_f64 v[12:13], s[20:21], v[14:15], -v[12:13]
	s_waitcnt vmcnt(0)
	v_mul_f64 v[10:11], s[14:15], v[2:3]
	v_mul_f64 v[2:3], s[16:17], v[2:3]
	v_fma_f64 v[10:11], s[16:17], v[0:1], v[10:11]
	v_fma_f64 v[0:1], s[14:15], v[0:1], -v[2:3]
	v_add_f64 v[2:3], v[8:9], v[10:11]
	v_add_f64 v[0:1], v[12:13], v[0:1]
	v_cndmask_b32_e32 v3, 0, v3, vcc
	v_cndmask_b32_e32 v2, 0, v2, vcc
	global_store_dwordx4 v[4:5], v[0:3], off
.LBB442_12:
	s_endpgm
	.section	.rodata,"a",@progbits
	.p2align	6, 0x0
	.amdhsa_kernel _ZL32rocblas_syrkx_herkx_small_kernelIi19rocblas_complex_numIdELi16ELb0ELb1ELc67ELc76EKS1_S1_EviT_T0_PT6_S3_lS6_S3_lS4_PT7_S3_li
		.amdhsa_group_segment_fixed_size 8192
		.amdhsa_private_segment_fixed_size 0
		.amdhsa_kernarg_size 116
		.amdhsa_user_sgpr_count 6
		.amdhsa_user_sgpr_private_segment_buffer 1
		.amdhsa_user_sgpr_dispatch_ptr 0
		.amdhsa_user_sgpr_queue_ptr 0
		.amdhsa_user_sgpr_kernarg_segment_ptr 1
		.amdhsa_user_sgpr_dispatch_id 0
		.amdhsa_user_sgpr_flat_scratch_init 0
		.amdhsa_user_sgpr_private_segment_size 0
		.amdhsa_uses_dynamic_stack 0
		.amdhsa_system_sgpr_private_segment_wavefront_offset 0
		.amdhsa_system_sgpr_workgroup_id_x 1
		.amdhsa_system_sgpr_workgroup_id_y 1
		.amdhsa_system_sgpr_workgroup_id_z 1
		.amdhsa_system_sgpr_workgroup_info 0
		.amdhsa_system_vgpr_workitem_id 1
		.amdhsa_next_free_vgpr 49
		.amdhsa_next_free_sgpr 61
		.amdhsa_reserve_vcc 1
		.amdhsa_reserve_flat_scratch 0
		.amdhsa_float_round_mode_32 0
		.amdhsa_float_round_mode_16_64 0
		.amdhsa_float_denorm_mode_32 3
		.amdhsa_float_denorm_mode_16_64 3
		.amdhsa_dx10_clamp 1
		.amdhsa_ieee_mode 1
		.amdhsa_fp16_overflow 0
		.amdhsa_exception_fp_ieee_invalid_op 0
		.amdhsa_exception_fp_denorm_src 0
		.amdhsa_exception_fp_ieee_div_zero 0
		.amdhsa_exception_fp_ieee_overflow 0
		.amdhsa_exception_fp_ieee_underflow 0
		.amdhsa_exception_fp_ieee_inexact 0
		.amdhsa_exception_int_div_zero 0
	.end_amdhsa_kernel
	.section	.text._ZL32rocblas_syrkx_herkx_small_kernelIi19rocblas_complex_numIdELi16ELb0ELb1ELc67ELc76EKS1_S1_EviT_T0_PT6_S3_lS6_S3_lS4_PT7_S3_li,"axG",@progbits,_ZL32rocblas_syrkx_herkx_small_kernelIi19rocblas_complex_numIdELi16ELb0ELb1ELc67ELc76EKS1_S1_EviT_T0_PT6_S3_lS6_S3_lS4_PT7_S3_li,comdat
.Lfunc_end442:
	.size	_ZL32rocblas_syrkx_herkx_small_kernelIi19rocblas_complex_numIdELi16ELb0ELb1ELc67ELc76EKS1_S1_EviT_T0_PT6_S3_lS6_S3_lS4_PT7_S3_li, .Lfunc_end442-_ZL32rocblas_syrkx_herkx_small_kernelIi19rocblas_complex_numIdELi16ELb0ELb1ELc67ELc76EKS1_S1_EviT_T0_PT6_S3_lS6_S3_lS4_PT7_S3_li
                                        ; -- End function
	.set _ZL32rocblas_syrkx_herkx_small_kernelIi19rocblas_complex_numIdELi16ELb0ELb1ELc67ELc76EKS1_S1_EviT_T0_PT6_S3_lS6_S3_lS4_PT7_S3_li.num_vgpr, 49
	.set _ZL32rocblas_syrkx_herkx_small_kernelIi19rocblas_complex_numIdELi16ELb0ELb1ELc67ELc76EKS1_S1_EviT_T0_PT6_S3_lS6_S3_lS4_PT7_S3_li.num_agpr, 0
	.set _ZL32rocblas_syrkx_herkx_small_kernelIi19rocblas_complex_numIdELi16ELb0ELb1ELc67ELc76EKS1_S1_EviT_T0_PT6_S3_lS6_S3_lS4_PT7_S3_li.numbered_sgpr, 32
	.set _ZL32rocblas_syrkx_herkx_small_kernelIi19rocblas_complex_numIdELi16ELb0ELb1ELc67ELc76EKS1_S1_EviT_T0_PT6_S3_lS6_S3_lS4_PT7_S3_li.num_named_barrier, 0
	.set _ZL32rocblas_syrkx_herkx_small_kernelIi19rocblas_complex_numIdELi16ELb0ELb1ELc67ELc76EKS1_S1_EviT_T0_PT6_S3_lS6_S3_lS4_PT7_S3_li.private_seg_size, 0
	.set _ZL32rocblas_syrkx_herkx_small_kernelIi19rocblas_complex_numIdELi16ELb0ELb1ELc67ELc76EKS1_S1_EviT_T0_PT6_S3_lS6_S3_lS4_PT7_S3_li.uses_vcc, 1
	.set _ZL32rocblas_syrkx_herkx_small_kernelIi19rocblas_complex_numIdELi16ELb0ELb1ELc67ELc76EKS1_S1_EviT_T0_PT6_S3_lS6_S3_lS4_PT7_S3_li.uses_flat_scratch, 0
	.set _ZL32rocblas_syrkx_herkx_small_kernelIi19rocblas_complex_numIdELi16ELb0ELb1ELc67ELc76EKS1_S1_EviT_T0_PT6_S3_lS6_S3_lS4_PT7_S3_li.has_dyn_sized_stack, 0
	.set _ZL32rocblas_syrkx_herkx_small_kernelIi19rocblas_complex_numIdELi16ELb0ELb1ELc67ELc76EKS1_S1_EviT_T0_PT6_S3_lS6_S3_lS4_PT7_S3_li.has_recursion, 0
	.set _ZL32rocblas_syrkx_herkx_small_kernelIi19rocblas_complex_numIdELi16ELb0ELb1ELc67ELc76EKS1_S1_EviT_T0_PT6_S3_lS6_S3_lS4_PT7_S3_li.has_indirect_call, 0
	.section	.AMDGPU.csdata,"",@progbits
; Kernel info:
; codeLenInByte = 1888
; TotalNumSgprs: 36
; NumVgprs: 49
; ScratchSize: 0
; MemoryBound: 1
; FloatMode: 240
; IeeeMode: 1
; LDSByteSize: 8192 bytes/workgroup (compile time only)
; SGPRBlocks: 8
; VGPRBlocks: 12
; NumSGPRsForWavesPerEU: 65
; NumVGPRsForWavesPerEU: 49
; Occupancy: 4
; WaveLimiterHint : 0
; COMPUTE_PGM_RSRC2:SCRATCH_EN: 0
; COMPUTE_PGM_RSRC2:USER_SGPR: 6
; COMPUTE_PGM_RSRC2:TRAP_HANDLER: 0
; COMPUTE_PGM_RSRC2:TGID_X_EN: 1
; COMPUTE_PGM_RSRC2:TGID_Y_EN: 1
; COMPUTE_PGM_RSRC2:TGID_Z_EN: 1
; COMPUTE_PGM_RSRC2:TIDIG_COMP_CNT: 1
	.section	.text._ZL32rocblas_syrkx_herkx_small_kernelIi19rocblas_complex_numIdELi16ELb0ELb1ELc78ELc76EKS1_S1_EviT_T0_PT6_S3_lS6_S3_lS4_PT7_S3_li,"axG",@progbits,_ZL32rocblas_syrkx_herkx_small_kernelIi19rocblas_complex_numIdELi16ELb0ELb1ELc78ELc76EKS1_S1_EviT_T0_PT6_S3_lS6_S3_lS4_PT7_S3_li,comdat
	.globl	_ZL32rocblas_syrkx_herkx_small_kernelIi19rocblas_complex_numIdELi16ELb0ELb1ELc78ELc76EKS1_S1_EviT_T0_PT6_S3_lS6_S3_lS4_PT7_S3_li ; -- Begin function _ZL32rocblas_syrkx_herkx_small_kernelIi19rocblas_complex_numIdELi16ELb0ELb1ELc78ELc76EKS1_S1_EviT_T0_PT6_S3_lS6_S3_lS4_PT7_S3_li
	.p2align	8
	.type	_ZL32rocblas_syrkx_herkx_small_kernelIi19rocblas_complex_numIdELi16ELb0ELb1ELc78ELc76EKS1_S1_EviT_T0_PT6_S3_lS6_S3_lS4_PT7_S3_li,@function
_ZL32rocblas_syrkx_herkx_small_kernelIi19rocblas_complex_numIdELi16ELb0ELb1ELc78ELc76EKS1_S1_EviT_T0_PT6_S3_lS6_S3_lS4_PT7_S3_li: ; @_ZL32rocblas_syrkx_herkx_small_kernelIi19rocblas_complex_numIdELi16ELb0ELb1ELc78ELc76EKS1_S1_EviT_T0_PT6_S3_lS6_S3_lS4_PT7_S3_li
; %bb.0:
	s_load_dwordx2 s[10:11], s[4:5], 0x0
	s_load_dwordx4 s[20:23], s[4:5], 0x8
	s_load_dwordx2 s[28:29], s[4:5], 0x18
	s_load_dwordx8 s[12:19], s[4:5], 0x40
	v_lshl_add_u32 v7, s6, 4, v0
	s_mov_b32 s9, 0
	v_lshl_add_u32 v9, s7, 4, v1
	s_waitcnt lgkmcnt(0)
	s_cmp_lt_i32 s11, 1
	v_cmp_gt_i32_e64 s[0:1], s10, v7
	v_ashrrev_i32_e32 v8, 31, v7
	s_cbranch_scc1 .LBB443_9
; %bb.1:
	s_load_dword s30, s[4:5], 0x20
	s_load_dword s6, s[4:5], 0x38
	s_load_dwordx4 s[24:27], s[4:5], 0x28
	v_lshlrev_b32_e32 v2, 8, v1
	v_lshlrev_b32_e32 v18, 4, v0
	v_add_u32_e32 v19, v18, v2
	v_add_u32_e32 v20, 0x1000, v2
	s_waitcnt lgkmcnt(0)
	v_mad_i64_i32 v[2:3], s[2:3], s6, v0, 0
	s_mul_i32 s13, s13, s8
	s_mul_hi_u32 s33, s12, s8
	s_add_i32 s3, s33, s13
	s_mul_i32 s2, s12, s8
	v_lshlrev_b64 v[2:3], 4, v[2:3]
	s_lshl_b64 s[2:3], s[2:3], 4
	v_ashrrev_i32_e32 v10, 31, v9
	v_mov_b32_e32 v4, s3
	v_add_co_u32_e64 v5, s[2:3], s2, v2
	v_addc_co_u32_e64 v4, s[2:3], v4, v3, s[2:3]
	v_lshlrev_b64 v[2:3], 4, v[9:10]
	s_mul_i32 s12, s25, s8
	v_add_co_u32_e64 v2, s[2:3], v5, v2
	v_addc_co_u32_e64 v3, s[2:3], v4, v3, s[2:3]
	v_mov_b32_e32 v4, s27
	v_add_co_u32_e64 v2, s[2:3], s26, v2
	v_addc_co_u32_e64 v3, s[2:3], v4, v3, s[2:3]
	v_add_co_u32_e64 v10, s[2:3], 8, v2
	v_addc_co_u32_e64 v11, s[2:3], 0, v3, s[2:3]
	v_mad_i64_i32 v[2:3], s[2:3], s30, v1, 0
	s_mul_hi_u32 s13, s24, s8
	s_add_i32 s3, s13, s12
	s_mul_i32 s2, s24, s8
	v_lshlrev_b64 v[2:3], 4, v[2:3]
	s_lshl_b64 s[2:3], s[2:3], 4
	v_mov_b32_e32 v4, s3
	v_add_co_u32_e64 v5, s[2:3], s2, v2
	v_addc_co_u32_e64 v4, s[2:3], v4, v3, s[2:3]
	v_lshlrev_b64 v[2:3], 4, v[7:8]
	s_ashr_i32 s31, s30, 31
	v_add_co_u32_e64 v2, s[2:3], v5, v2
	v_addc_co_u32_e64 v3, s[2:3], v4, v3, s[2:3]
	v_mov_b32_e32 v4, s29
	v_add_co_u32_e64 v12, s[2:3], s28, v2
	s_ashr_i32 s7, s6, 31
	v_addc_co_u32_e64 v13, s[2:3], v4, v3, s[2:3]
	s_lshl_b64 s[6:7], s[6:7], 8
	s_lshl_b64 s[2:3], s[30:31], 8
	v_mov_b32_e32 v14, 0
	v_mov_b32_e32 v16, 0
	v_cmp_gt_i32_e32 vcc, s10, v9
	v_add_u32_e32 v21, v20, v18
	v_mov_b32_e32 v15, 0
	s_xor_b64 s[12:13], s[0:1], -1
	v_mov_b32_e32 v22, s7
	v_mov_b32_e32 v23, s3
	;; [unrolled: 1-line block ×4, first 2 shown]
	s_branch .LBB443_3
.LBB443_2:                              ;   in Loop: Header=BB443_3 Depth=1
	s_or_b64 exec, exec, s[0:1]
	ds_write_b128 v21, v[3:6]
	s_waitcnt lgkmcnt(0)
	s_barrier
	ds_read_b128 v[3:6], v18
	ds_read_b128 v[24:27], v20
	ds_read_b128 v[28:31], v20 offset:16
	ds_read_b128 v[32:35], v18 offset:256
	v_add_co_u32_e64 v10, s[0:1], s6, v10
	s_waitcnt lgkmcnt(2)
	v_mul_f64 v[36:37], v[26:27], v[5:6]
	v_mul_f64 v[5:6], v[24:25], v[5:6]
	s_waitcnt lgkmcnt(0)
	v_mul_f64 v[38:39], v[30:31], v[34:35]
	v_mul_f64 v[40:41], v[28:29], v[34:35]
	v_addc_co_u32_e64 v11, s[0:1], v11, v22, s[0:1]
	s_add_i32 s9, s9, 16
	v_add_co_u32_e64 v12, s[0:1], s2, v12
	v_fma_f64 v[42:43], v[24:25], v[3:4], -v[36:37]
	v_fma_f64 v[44:45], v[26:27], v[3:4], v[5:6]
	ds_read_b128 v[3:6], v18 offset:512
	ds_read_b128 v[24:27], v20 offset:32
	;; [unrolled: 1-line block ×3, first 2 shown]
	v_fma_f64 v[38:39], v[28:29], v[32:33], -v[38:39]
	v_fma_f64 v[32:33], v[30:31], v[32:33], v[40:41]
	ds_read_b128 v[28:31], v18 offset:768
	s_waitcnt lgkmcnt(2)
	v_mul_f64 v[40:41], v[26:27], v[5:6]
	v_mul_f64 v[5:6], v[24:25], v[5:6]
	v_add_f64 v[16:17], v[16:17], v[42:43]
	v_add_f64 v[14:15], v[14:15], v[44:45]
	s_waitcnt lgkmcnt(0)
	v_mul_f64 v[42:43], v[36:37], v[30:31]
	v_mul_f64 v[30:31], v[34:35], v[30:31]
	s_cmp_ge_i32 s9, s11
	v_addc_co_u32_e64 v13, s[0:1], v13, v23, s[0:1]
	v_fma_f64 v[40:41], v[24:25], v[3:4], -v[40:41]
	v_fma_f64 v[44:45], v[26:27], v[3:4], v[5:6]
	v_add_f64 v[38:39], v[16:17], v[38:39]
	v_add_f64 v[32:33], v[14:15], v[32:33]
	ds_read_b128 v[3:6], v20 offset:64
	ds_read_b128 v[14:17], v18 offset:1024
	v_fma_f64 v[34:35], v[34:35], v[28:29], -v[42:43]
	v_fma_f64 v[36:37], v[36:37], v[28:29], v[30:31]
	ds_read_b128 v[24:27], v20 offset:80
	ds_read_b128 v[28:31], v18 offset:1280
	s_waitcnt lgkmcnt(2)
	v_mul_f64 v[42:43], v[5:6], v[16:17]
	v_mul_f64 v[16:17], v[3:4], v[16:17]
	v_add_f64 v[38:39], v[38:39], v[40:41]
	v_add_f64 v[32:33], v[32:33], v[44:45]
	s_waitcnt lgkmcnt(0)
	v_mul_f64 v[40:41], v[26:27], v[30:31]
	v_mul_f64 v[30:31], v[24:25], v[30:31]
	v_fma_f64 v[42:43], v[3:4], v[14:15], -v[42:43]
	v_fma_f64 v[44:45], v[5:6], v[14:15], v[16:17]
	v_add_f64 v[34:35], v[38:39], v[34:35]
	v_add_f64 v[32:33], v[32:33], v[36:37]
	ds_read_b128 v[3:6], v20 offset:96
	ds_read_b128 v[14:17], v18 offset:1536
	v_fma_f64 v[36:37], v[24:25], v[28:29], -v[40:41]
	v_fma_f64 v[38:39], v[26:27], v[28:29], v[30:31]
	ds_read_b128 v[24:27], v20 offset:112
	ds_read_b128 v[28:31], v18 offset:1792
	s_waitcnt lgkmcnt(2)
	v_mul_f64 v[40:41], v[5:6], v[16:17]
	v_mul_f64 v[16:17], v[3:4], v[16:17]
	v_add_f64 v[34:35], v[34:35], v[42:43]
	v_add_f64 v[32:33], v[32:33], v[44:45]
	s_waitcnt lgkmcnt(0)
	v_mul_f64 v[42:43], v[26:27], v[30:31]
	v_mul_f64 v[30:31], v[24:25], v[30:31]
	;; [unrolled: 18-line block ×5, first 2 shown]
	v_fma_f64 v[42:43], v[3:4], v[14:15], -v[42:43]
	v_fma_f64 v[44:45], v[5:6], v[14:15], v[16:17]
	v_add_f64 v[34:35], v[34:35], v[36:37]
	v_add_f64 v[32:33], v[32:33], v[38:39]
	ds_read_b128 v[3:6], v20 offset:224
	ds_read_b128 v[14:17], v18 offset:3584
	v_fma_f64 v[36:37], v[24:25], v[28:29], -v[40:41]
	v_fma_f64 v[38:39], v[26:27], v[28:29], v[30:31]
	ds_read_b128 v[24:27], v20 offset:240
	ds_read_b128 v[28:31], v18 offset:3840
	s_waitcnt lgkmcnt(0)
	v_mul_f64 v[40:41], v[5:6], v[16:17]
	v_mul_f64 v[16:17], v[3:4], v[16:17]
	v_add_f64 v[34:35], v[34:35], v[42:43]
	v_add_f64 v[32:33], v[32:33], v[44:45]
	v_mul_f64 v[42:43], v[26:27], v[30:31]
	v_mul_f64 v[30:31], v[24:25], v[30:31]
	s_barrier
	v_fma_f64 v[3:4], v[3:4], v[14:15], -v[40:41]
	v_fma_f64 v[5:6], v[5:6], v[14:15], v[16:17]
	v_add_f64 v[14:15], v[34:35], v[36:37]
	v_add_f64 v[16:17], v[32:33], v[38:39]
	v_fma_f64 v[24:25], v[24:25], v[28:29], -v[42:43]
	v_fma_f64 v[26:27], v[26:27], v[28:29], v[30:31]
	v_add_f64 v[3:4], v[14:15], v[3:4]
	v_add_f64 v[5:6], v[16:17], v[5:6]
	;; [unrolled: 1-line block ×4, first 2 shown]
	s_cbranch_scc1 .LBB443_10
.LBB443_3:                              ; =>This Inner Loop Header: Depth=1
	v_add_u32_e32 v3, s9, v1
	v_cmp_le_i32_e64 s[0:1], s11, v3
	s_or_b64 s[0:1], s[12:13], s[0:1]
	s_and_saveexec_b64 s[24:25], s[0:1]
	s_xor_b64 s[0:1], exec, s[24:25]
; %bb.4:                                ;   in Loop: Header=BB443_3 Depth=1
	v_mov_b32_e32 v3, v2
	v_mov_b32_e32 v4, v2
	;; [unrolled: 1-line block ×3, first 2 shown]
	ds_write_b128 v19, v[2:5]
; %bb.5:                                ;   in Loop: Header=BB443_3 Depth=1
	s_andn2_saveexec_b64 s[0:1], s[0:1]
	s_cbranch_execz .LBB443_7
; %bb.6:                                ;   in Loop: Header=BB443_3 Depth=1
	global_load_dwordx4 v[3:6], v[12:13], off
	s_waitcnt vmcnt(0)
	ds_write2_b64 v19, v[3:4], v[5:6] offset1:1
.LBB443_7:                              ;   in Loop: Header=BB443_3 Depth=1
	s_or_b64 exec, exec, s[0:1]
	v_add_u32_e32 v3, s9, v0
	v_cmp_gt_i32_e64 s[0:1], s11, v3
	v_mov_b32_e32 v3, 0
	v_mov_b32_e32 v5, 0
	;; [unrolled: 1-line block ×4, first 2 shown]
	s_and_b64 s[24:25], vcc, s[0:1]
	s_and_saveexec_b64 s[0:1], s[24:25]
	s_cbranch_execz .LBB443_2
; %bb.8:                                ;   in Loop: Header=BB443_3 Depth=1
	global_load_dwordx4 v[3:6], v[10:11], off offset:-8
	s_waitcnt vmcnt(0)
	v_xor_b32_e32 v6, 0x80000000, v6
	s_branch .LBB443_2
.LBB443_9:
	v_mov_b32_e32 v14, 0
	v_mov_b32_e32 v16, 0
	;; [unrolled: 1-line block ×4, first 2 shown]
.LBB443_10:
	v_cmp_le_i32_e32 vcc, v9, v7
	v_cmp_gt_i32_e64 s[0:1], s10, v7
	s_and_b64 s[0:1], vcc, s[0:1]
	s_and_saveexec_b64 s[2:3], s[0:1]
	s_cbranch_execz .LBB443_12
; %bb.11:
	s_load_dwordx2 s[0:1], s[4:5], 0x68
	s_load_dword s2, s[4:5], 0x60
	v_mul_f64 v[10:11], s[20:21], v[14:15]
	v_mul_f64 v[14:15], s[22:23], v[14:15]
	s_waitcnt lgkmcnt(0)
	s_mul_i32 s1, s1, s8
	s_mul_hi_u32 s3, s0, s8
	s_add_i32 s1, s3, s1
	v_mad_i64_i32 v[0:1], s[2:3], s2, v9, 0
	s_mul_i32 s0, s0, s8
	s_lshl_b64 s[0:1], s[0:1], 4
	s_add_u32 s0, s18, s0
	v_lshlrev_b64 v[0:1], 4, v[0:1]
	s_addc_u32 s1, s19, s1
	v_mov_b32_e32 v2, s1
	v_add_co_u32_e32 v3, vcc, s0, v0
	v_addc_co_u32_e32 v2, vcc, v2, v1, vcc
	v_lshlrev_b64 v[0:1], 4, v[7:8]
	v_fma_f64 v[10:11], s[22:23], v[16:17], v[10:11]
	v_add_co_u32_e32 v4, vcc, v3, v0
	v_addc_co_u32_e32 v5, vcc, v2, v1, vcc
	global_load_dwordx4 v[0:3], v[4:5], off
	v_fma_f64 v[14:15], s[20:21], v[16:17], -v[14:15]
	v_cmp_ne_u32_e32 vcc, v7, v9
	s_waitcnt vmcnt(0)
	v_mul_f64 v[12:13], s[14:15], v[2:3]
	v_mul_f64 v[2:3], s[16:17], v[2:3]
	v_fma_f64 v[12:13], s[16:17], v[0:1], v[12:13]
	v_fma_f64 v[0:1], s[14:15], v[0:1], -v[2:3]
	v_add_f64 v[2:3], v[10:11], v[12:13]
	v_add_f64 v[0:1], v[14:15], v[0:1]
	v_cndmask_b32_e32 v3, 0, v3, vcc
	v_cndmask_b32_e32 v2, 0, v2, vcc
	global_store_dwordx4 v[4:5], v[0:3], off
.LBB443_12:
	s_endpgm
	.section	.rodata,"a",@progbits
	.p2align	6, 0x0
	.amdhsa_kernel _ZL32rocblas_syrkx_herkx_small_kernelIi19rocblas_complex_numIdELi16ELb0ELb1ELc78ELc76EKS1_S1_EviT_T0_PT6_S3_lS6_S3_lS4_PT7_S3_li
		.amdhsa_group_segment_fixed_size 8192
		.amdhsa_private_segment_fixed_size 0
		.amdhsa_kernarg_size 116
		.amdhsa_user_sgpr_count 6
		.amdhsa_user_sgpr_private_segment_buffer 1
		.amdhsa_user_sgpr_dispatch_ptr 0
		.amdhsa_user_sgpr_queue_ptr 0
		.amdhsa_user_sgpr_kernarg_segment_ptr 1
		.amdhsa_user_sgpr_dispatch_id 0
		.amdhsa_user_sgpr_flat_scratch_init 0
		.amdhsa_user_sgpr_private_segment_size 0
		.amdhsa_uses_dynamic_stack 0
		.amdhsa_system_sgpr_private_segment_wavefront_offset 0
		.amdhsa_system_sgpr_workgroup_id_x 1
		.amdhsa_system_sgpr_workgroup_id_y 1
		.amdhsa_system_sgpr_workgroup_id_z 1
		.amdhsa_system_sgpr_workgroup_info 0
		.amdhsa_system_vgpr_workitem_id 1
		.amdhsa_next_free_vgpr 46
		.amdhsa_next_free_sgpr 61
		.amdhsa_reserve_vcc 1
		.amdhsa_reserve_flat_scratch 0
		.amdhsa_float_round_mode_32 0
		.amdhsa_float_round_mode_16_64 0
		.amdhsa_float_denorm_mode_32 3
		.amdhsa_float_denorm_mode_16_64 3
		.amdhsa_dx10_clamp 1
		.amdhsa_ieee_mode 1
		.amdhsa_fp16_overflow 0
		.amdhsa_exception_fp_ieee_invalid_op 0
		.amdhsa_exception_fp_denorm_src 0
		.amdhsa_exception_fp_ieee_div_zero 0
		.amdhsa_exception_fp_ieee_overflow 0
		.amdhsa_exception_fp_ieee_underflow 0
		.amdhsa_exception_fp_ieee_inexact 0
		.amdhsa_exception_int_div_zero 0
	.end_amdhsa_kernel
	.section	.text._ZL32rocblas_syrkx_herkx_small_kernelIi19rocblas_complex_numIdELi16ELb0ELb1ELc78ELc76EKS1_S1_EviT_T0_PT6_S3_lS6_S3_lS4_PT7_S3_li,"axG",@progbits,_ZL32rocblas_syrkx_herkx_small_kernelIi19rocblas_complex_numIdELi16ELb0ELb1ELc78ELc76EKS1_S1_EviT_T0_PT6_S3_lS6_S3_lS4_PT7_S3_li,comdat
.Lfunc_end443:
	.size	_ZL32rocblas_syrkx_herkx_small_kernelIi19rocblas_complex_numIdELi16ELb0ELb1ELc78ELc76EKS1_S1_EviT_T0_PT6_S3_lS6_S3_lS4_PT7_S3_li, .Lfunc_end443-_ZL32rocblas_syrkx_herkx_small_kernelIi19rocblas_complex_numIdELi16ELb0ELb1ELc78ELc76EKS1_S1_EviT_T0_PT6_S3_lS6_S3_lS4_PT7_S3_li
                                        ; -- End function
	.set _ZL32rocblas_syrkx_herkx_small_kernelIi19rocblas_complex_numIdELi16ELb0ELb1ELc78ELc76EKS1_S1_EviT_T0_PT6_S3_lS6_S3_lS4_PT7_S3_li.num_vgpr, 46
	.set _ZL32rocblas_syrkx_herkx_small_kernelIi19rocblas_complex_numIdELi16ELb0ELb1ELc78ELc76EKS1_S1_EviT_T0_PT6_S3_lS6_S3_lS4_PT7_S3_li.num_agpr, 0
	.set _ZL32rocblas_syrkx_herkx_small_kernelIi19rocblas_complex_numIdELi16ELb0ELb1ELc78ELc76EKS1_S1_EviT_T0_PT6_S3_lS6_S3_lS4_PT7_S3_li.numbered_sgpr, 34
	.set _ZL32rocblas_syrkx_herkx_small_kernelIi19rocblas_complex_numIdELi16ELb0ELb1ELc78ELc76EKS1_S1_EviT_T0_PT6_S3_lS6_S3_lS4_PT7_S3_li.num_named_barrier, 0
	.set _ZL32rocblas_syrkx_herkx_small_kernelIi19rocblas_complex_numIdELi16ELb0ELb1ELc78ELc76EKS1_S1_EviT_T0_PT6_S3_lS6_S3_lS4_PT7_S3_li.private_seg_size, 0
	.set _ZL32rocblas_syrkx_herkx_small_kernelIi19rocblas_complex_numIdELi16ELb0ELb1ELc78ELc76EKS1_S1_EviT_T0_PT6_S3_lS6_S3_lS4_PT7_S3_li.uses_vcc, 1
	.set _ZL32rocblas_syrkx_herkx_small_kernelIi19rocblas_complex_numIdELi16ELb0ELb1ELc78ELc76EKS1_S1_EviT_T0_PT6_S3_lS6_S3_lS4_PT7_S3_li.uses_flat_scratch, 0
	.set _ZL32rocblas_syrkx_herkx_small_kernelIi19rocblas_complex_numIdELi16ELb0ELb1ELc78ELc76EKS1_S1_EviT_T0_PT6_S3_lS6_S3_lS4_PT7_S3_li.has_dyn_sized_stack, 0
	.set _ZL32rocblas_syrkx_herkx_small_kernelIi19rocblas_complex_numIdELi16ELb0ELb1ELc78ELc76EKS1_S1_EviT_T0_PT6_S3_lS6_S3_lS4_PT7_S3_li.has_recursion, 0
	.set _ZL32rocblas_syrkx_herkx_small_kernelIi19rocblas_complex_numIdELi16ELb0ELb1ELc78ELc76EKS1_S1_EviT_T0_PT6_S3_lS6_S3_lS4_PT7_S3_li.has_indirect_call, 0
	.section	.AMDGPU.csdata,"",@progbits
; Kernel info:
; codeLenInByte = 1944
; TotalNumSgprs: 38
; NumVgprs: 46
; ScratchSize: 0
; MemoryBound: 1
; FloatMode: 240
; IeeeMode: 1
; LDSByteSize: 8192 bytes/workgroup (compile time only)
; SGPRBlocks: 8
; VGPRBlocks: 11
; NumSGPRsForWavesPerEU: 65
; NumVGPRsForWavesPerEU: 46
; Occupancy: 5
; WaveLimiterHint : 0
; COMPUTE_PGM_RSRC2:SCRATCH_EN: 0
; COMPUTE_PGM_RSRC2:USER_SGPR: 6
; COMPUTE_PGM_RSRC2:TRAP_HANDLER: 0
; COMPUTE_PGM_RSRC2:TGID_X_EN: 1
; COMPUTE_PGM_RSRC2:TGID_Y_EN: 1
; COMPUTE_PGM_RSRC2:TGID_Z_EN: 1
; COMPUTE_PGM_RSRC2:TIDIG_COMP_CNT: 1
	.section	.text._ZL32rocblas_syrkx_herkx_small_kernelIi19rocblas_complex_numIdELi16ELb0ELb1ELc84ELc85EKS1_S1_EviT_T0_PT6_S3_lS6_S3_lS4_PT7_S3_li,"axG",@progbits,_ZL32rocblas_syrkx_herkx_small_kernelIi19rocblas_complex_numIdELi16ELb0ELb1ELc84ELc85EKS1_S1_EviT_T0_PT6_S3_lS6_S3_lS4_PT7_S3_li,comdat
	.globl	_ZL32rocblas_syrkx_herkx_small_kernelIi19rocblas_complex_numIdELi16ELb0ELb1ELc84ELc85EKS1_S1_EviT_T0_PT6_S3_lS6_S3_lS4_PT7_S3_li ; -- Begin function _ZL32rocblas_syrkx_herkx_small_kernelIi19rocblas_complex_numIdELi16ELb0ELb1ELc84ELc85EKS1_S1_EviT_T0_PT6_S3_lS6_S3_lS4_PT7_S3_li
	.p2align	8
	.type	_ZL32rocblas_syrkx_herkx_small_kernelIi19rocblas_complex_numIdELi16ELb0ELb1ELc84ELc85EKS1_S1_EviT_T0_PT6_S3_lS6_S3_lS4_PT7_S3_li,@function
_ZL32rocblas_syrkx_herkx_small_kernelIi19rocblas_complex_numIdELi16ELb0ELb1ELc84ELc85EKS1_S1_EviT_T0_PT6_S3_lS6_S3_lS4_PT7_S3_li: ; @_ZL32rocblas_syrkx_herkx_small_kernelIi19rocblas_complex_numIdELi16ELb0ELb1ELc84ELc85EKS1_S1_EviT_T0_PT6_S3_lS6_S3_lS4_PT7_S3_li
; %bb.0:
	s_load_dwordx2 s[10:11], s[4:5], 0x0
	s_load_dwordx4 s[20:23], s[4:5], 0x8
	s_load_dwordx2 s[24:25], s[4:5], 0x18
	s_load_dwordx8 s[12:19], s[4:5], 0x40
	v_lshl_add_u32 v15, s7, 4, v1
	s_mov_b32 s9, 0
	v_lshl_add_u32 v6, s6, 4, v0
	s_waitcnt lgkmcnt(0)
	s_cmp_lt_i32 s11, 1
	v_cmp_gt_i32_e32 vcc, s10, v15
	s_cbranch_scc1 .LBB444_11
; %bb.1:
	s_load_dword s6, s[4:5], 0x20
	s_load_dwordx4 s[28:31], s[4:5], 0x28
	s_load_dword s2, s[4:5], 0x38
	v_lshlrev_b32_e32 v4, 8, v1
	v_lshlrev_b32_e32 v16, 4, v0
	v_add_u32_e32 v17, v16, v4
	v_add_u32_e32 v18, 0x1000, v4
	s_waitcnt lgkmcnt(0)
	v_mad_i64_i32 v[2:3], s[2:3], s2, v15, 0
	s_mul_i32 s2, s13, s8
	s_mul_hi_u32 s3, s12, s8
	v_lshlrev_b64 v[2:3], 4, v[2:3]
	s_add_i32 s3, s3, s2
	s_mul_i32 s2, s12, s8
	s_lshl_b64 s[2:3], s[2:3], 4
	v_mov_b32_e32 v4, s3
	v_add_co_u32_e64 v2, s[2:3], s2, v2
	v_addc_co_u32_e64 v3, s[2:3], v3, v4, s[2:3]
	v_add_co_u32_e64 v4, s[2:3], v2, v16
	v_addc_co_u32_e64 v5, s[2:3], 0, v3, s[2:3]
	v_mad_i64_i32 v[2:3], s[2:3], s6, v6, 0
	v_mov_b32_e32 v8, s31
	v_add_co_u32_e64 v7, s[2:3], s30, v4
	v_addc_co_u32_e64 v8, s[2:3], v8, v5, s[2:3]
	s_mul_i32 s2, s29, s8
	s_mul_hi_u32 s3, s28, s8
	v_lshlrev_b64 v[2:3], 4, v[2:3]
	s_add_i32 s3, s3, s2
	s_mul_i32 s2, s28, s8
	s_lshl_b64 s[2:3], s[2:3], 4
	v_mov_b32_e32 v4, s3
	v_add_co_u32_e64 v2, s[2:3], s2, v2
	v_addc_co_u32_e64 v3, s[2:3], v3, v4, s[2:3]
	v_lshlrev_b32_e32 v4, 4, v1
	v_add_co_u32_e64 v2, s[2:3], v2, v4
	v_addc_co_u32_e64 v3, s[2:3], 0, v3, s[2:3]
	v_mov_b32_e32 v4, s25
	v_add_co_u32_e64 v9, s[2:3], s24, v2
	v_cmp_gt_i32_e64 s[0:1], s10, v6
	v_addc_co_u32_e64 v10, s[2:3], v4, v3, s[2:3]
	v_mov_b32_e32 v11, 0
	v_mov_b32_e32 v13, 0
	v_add_u32_e32 v19, v18, v16
	v_mov_b32_e32 v12, 0
	s_xor_b64 s[0:1], s[0:1], -1
	s_xor_b64 s[2:3], vcc, -1
	v_mov_b32_e32 v14, 0
	v_mov_b32_e32 v2, 0
	s_branch .LBB444_3
.LBB444_2:                              ;   in Loop: Header=BB444_3 Depth=1
	s_or_b64 exec, exec, s[6:7]
	s_waitcnt lgkmcnt(0)
	s_barrier
	ds_read_b128 v[20:23], v18
	ds_read_b128 v[24:27], v18 offset:16
	ds_read_b128 v[28:31], v18 offset:32
	;; [unrolled: 1-line block ×3, first 2 shown]
	ds_read_b128 v[36:39], v16
	v_add_co_u32_e32 v7, vcc, 0x100, v7
	v_addc_co_u32_e32 v8, vcc, 0, v8, vcc
	s_waitcnt lgkmcnt(0)
	v_mul_f64 v[3:4], v[22:23], v[38:39]
	s_add_i32 s9, s9, 16
	v_add_co_u32_e32 v9, vcc, 0x100, v9
	v_addc_co_u32_e32 v10, vcc, 0, v10, vcc
	s_cmp_ge_i32 s9, s11
	v_fma_f64 v[3:4], v[20:21], v[36:37], -v[3:4]
	v_mul_f64 v[20:21], v[20:21], v[38:39]
	v_add_f64 v[3:4], v[13:14], v[3:4]
	v_fma_f64 v[20:21], v[22:23], v[36:37], v[20:21]
	v_add_f64 v[20:21], v[11:12], v[20:21]
	ds_read_b128 v[11:14], v16 offset:256
	s_waitcnt lgkmcnt(0)
	v_mul_f64 v[22:23], v[26:27], v[13:14]
	v_mul_f64 v[13:14], v[24:25], v[13:14]
	v_fma_f64 v[22:23], v[24:25], v[11:12], -v[22:23]
	v_fma_f64 v[11:12], v[26:27], v[11:12], v[13:14]
	v_add_f64 v[3:4], v[3:4], v[22:23]
	v_add_f64 v[20:21], v[20:21], v[11:12]
	ds_read_b128 v[11:14], v16 offset:512
	s_waitcnt lgkmcnt(0)
	v_mul_f64 v[22:23], v[30:31], v[13:14]
	v_mul_f64 v[13:14], v[28:29], v[13:14]
	v_fma_f64 v[22:23], v[28:29], v[11:12], -v[22:23]
	v_fma_f64 v[11:12], v[30:31], v[11:12], v[13:14]
	v_add_f64 v[3:4], v[3:4], v[22:23]
	;; [unrolled: 8-line block ×3, first 2 shown]
	v_add_f64 v[24:25], v[20:21], v[11:12]
	ds_read_b128 v[11:14], v18 offset:64
	ds_read_b128 v[20:23], v16 offset:1024
	s_waitcnt lgkmcnt(0)
	v_mul_f64 v[26:27], v[13:14], v[22:23]
	v_fma_f64 v[26:27], v[11:12], v[20:21], -v[26:27]
	v_mul_f64 v[11:12], v[11:12], v[22:23]
	v_add_f64 v[3:4], v[3:4], v[26:27]
	v_fma_f64 v[11:12], v[13:14], v[20:21], v[11:12]
	v_add_f64 v[24:25], v[24:25], v[11:12]
	ds_read_b128 v[11:14], v18 offset:80
	ds_read_b128 v[20:23], v16 offset:1280
	s_waitcnt lgkmcnt(0)
	v_mul_f64 v[26:27], v[13:14], v[22:23]
	v_fma_f64 v[26:27], v[11:12], v[20:21], -v[26:27]
	v_mul_f64 v[11:12], v[11:12], v[22:23]
	v_add_f64 v[3:4], v[3:4], v[26:27]
	v_fma_f64 v[11:12], v[13:14], v[20:21], v[11:12]
	;; [unrolled: 9-line block ×11, first 2 shown]
	v_add_f64 v[24:25], v[24:25], v[11:12]
	ds_read_b128 v[11:14], v18 offset:240
	ds_read_b128 v[20:23], v16 offset:3840
	s_waitcnt lgkmcnt(0)
	s_barrier
	v_mul_f64 v[26:27], v[13:14], v[22:23]
	v_fma_f64 v[26:27], v[11:12], v[20:21], -v[26:27]
	v_mul_f64 v[11:12], v[11:12], v[22:23]
	v_fma_f64 v[11:12], v[13:14], v[20:21], v[11:12]
	v_add_f64 v[13:14], v[3:4], v[26:27]
	v_add_f64 v[11:12], v[24:25], v[11:12]
	s_cbranch_scc1 .LBB444_12
.LBB444_3:                              ; =>This Inner Loop Header: Depth=1
	v_add_u32_e32 v3, s9, v1
	v_cmp_le_i32_e32 vcc, s11, v3
	s_or_b64 s[6:7], s[0:1], vcc
	s_and_saveexec_b64 s[12:13], s[6:7]
	s_xor_b64 s[6:7], exec, s[12:13]
; %bb.4:                                ;   in Loop: Header=BB444_3 Depth=1
	v_mov_b32_e32 v3, v2
	v_mov_b32_e32 v4, v2
	;; [unrolled: 1-line block ×3, first 2 shown]
	ds_write_b128 v17, v[2:5]
; %bb.5:                                ;   in Loop: Header=BB444_3 Depth=1
	s_andn2_saveexec_b64 s[6:7], s[6:7]
	s_cbranch_execz .LBB444_7
; %bb.6:                                ;   in Loop: Header=BB444_3 Depth=1
	global_load_dwordx4 v[20:23], v[9:10], off
	s_waitcnt vmcnt(0)
	ds_write2_b64 v17, v[20:21], v[22:23] offset1:1
.LBB444_7:                              ;   in Loop: Header=BB444_3 Depth=1
	s_or_b64 exec, exec, s[6:7]
	v_add_u32_e32 v3, s9, v0
	v_cmp_le_i32_e32 vcc, s11, v3
	s_or_b64 s[6:7], s[2:3], vcc
	s_and_saveexec_b64 s[12:13], s[6:7]
	s_xor_b64 s[6:7], exec, s[12:13]
; %bb.8:                                ;   in Loop: Header=BB444_3 Depth=1
	v_mov_b32_e32 v3, v2
	v_mov_b32_e32 v4, v2
	;; [unrolled: 1-line block ×3, first 2 shown]
	ds_write_b128 v19, v[2:5]
; %bb.9:                                ;   in Loop: Header=BB444_3 Depth=1
	s_andn2_saveexec_b64 s[6:7], s[6:7]
	s_cbranch_execz .LBB444_2
; %bb.10:                               ;   in Loop: Header=BB444_3 Depth=1
	global_load_dwordx4 v[20:23], v[7:8], off
	s_waitcnt vmcnt(0)
	ds_write2_b64 v19, v[20:21], v[22:23] offset1:1
	s_branch .LBB444_2
.LBB444_11:
	v_mov_b32_e32 v11, 0
	v_mov_b32_e32 v13, 0
	;; [unrolled: 1-line block ×4, first 2 shown]
.LBB444_12:
	v_cmp_le_i32_e32 vcc, v6, v15
	v_cmp_gt_i32_e64 s[0:1], s10, v15
	s_and_b64 s[0:1], vcc, s[0:1]
	s_and_saveexec_b64 s[2:3], s[0:1]
	s_cbranch_execz .LBB444_14
; %bb.13:
	s_load_dwordx2 s[0:1], s[4:5], 0x68
	s_load_dword s2, s[4:5], 0x60
	v_ashrrev_i32_e32 v7, 31, v6
	s_waitcnt lgkmcnt(0)
	s_mul_i32 s1, s1, s8
	s_mul_hi_u32 s3, s0, s8
	s_add_i32 s1, s3, s1
	v_mad_i64_i32 v[0:1], s[2:3], s2, v15, 0
	s_mul_i32 s0, s0, s8
	s_lshl_b64 s[0:1], s[0:1], 4
	s_add_u32 s0, s18, s0
	v_lshlrev_b64 v[0:1], 4, v[0:1]
	s_addc_u32 s1, s19, s1
	v_mov_b32_e32 v2, s1
	v_add_co_u32_e32 v3, vcc, s0, v0
	v_addc_co_u32_e32 v2, vcc, v2, v1, vcc
	v_lshlrev_b64 v[0:1], 4, v[6:7]
	v_mul_f64 v[7:8], s[20:21], v[11:12]
	v_add_co_u32_e32 v4, vcc, v3, v0
	v_addc_co_u32_e32 v5, vcc, v2, v1, vcc
	global_load_dwordx4 v[0:3], v[4:5], off
	v_mul_f64 v[11:12], s[22:23], v[11:12]
	v_cmp_ne_u32_e32 vcc, v6, v15
	v_fma_f64 v[7:8], s[22:23], v[13:14], v[7:8]
	v_fma_f64 v[11:12], s[20:21], v[13:14], -v[11:12]
	s_waitcnt vmcnt(0)
	v_mul_f64 v[9:10], s[14:15], v[2:3]
	v_mul_f64 v[2:3], s[16:17], v[2:3]
	v_fma_f64 v[9:10], s[16:17], v[0:1], v[9:10]
	v_fma_f64 v[0:1], s[14:15], v[0:1], -v[2:3]
	v_add_f64 v[2:3], v[7:8], v[9:10]
	v_add_f64 v[0:1], v[11:12], v[0:1]
	v_cndmask_b32_e32 v3, 0, v3, vcc
	v_cndmask_b32_e32 v2, 0, v2, vcc
	global_store_dwordx4 v[4:5], v[0:3], off
.LBB444_14:
	s_endpgm
	.section	.rodata,"a",@progbits
	.p2align	6, 0x0
	.amdhsa_kernel _ZL32rocblas_syrkx_herkx_small_kernelIi19rocblas_complex_numIdELi16ELb0ELb1ELc84ELc85EKS1_S1_EviT_T0_PT6_S3_lS6_S3_lS4_PT7_S3_li
		.amdhsa_group_segment_fixed_size 8192
		.amdhsa_private_segment_fixed_size 0
		.amdhsa_kernarg_size 116
		.amdhsa_user_sgpr_count 6
		.amdhsa_user_sgpr_private_segment_buffer 1
		.amdhsa_user_sgpr_dispatch_ptr 0
		.amdhsa_user_sgpr_queue_ptr 0
		.amdhsa_user_sgpr_kernarg_segment_ptr 1
		.amdhsa_user_sgpr_dispatch_id 0
		.amdhsa_user_sgpr_flat_scratch_init 0
		.amdhsa_user_sgpr_private_segment_size 0
		.amdhsa_uses_dynamic_stack 0
		.amdhsa_system_sgpr_private_segment_wavefront_offset 0
		.amdhsa_system_sgpr_workgroup_id_x 1
		.amdhsa_system_sgpr_workgroup_id_y 1
		.amdhsa_system_sgpr_workgroup_id_z 1
		.amdhsa_system_sgpr_workgroup_info 0
		.amdhsa_system_vgpr_workitem_id 1
		.amdhsa_next_free_vgpr 40
		.amdhsa_next_free_sgpr 61
		.amdhsa_reserve_vcc 1
		.amdhsa_reserve_flat_scratch 0
		.amdhsa_float_round_mode_32 0
		.amdhsa_float_round_mode_16_64 0
		.amdhsa_float_denorm_mode_32 3
		.amdhsa_float_denorm_mode_16_64 3
		.amdhsa_dx10_clamp 1
		.amdhsa_ieee_mode 1
		.amdhsa_fp16_overflow 0
		.amdhsa_exception_fp_ieee_invalid_op 0
		.amdhsa_exception_fp_denorm_src 0
		.amdhsa_exception_fp_ieee_div_zero 0
		.amdhsa_exception_fp_ieee_overflow 0
		.amdhsa_exception_fp_ieee_underflow 0
		.amdhsa_exception_fp_ieee_inexact 0
		.amdhsa_exception_int_div_zero 0
	.end_amdhsa_kernel
	.section	.text._ZL32rocblas_syrkx_herkx_small_kernelIi19rocblas_complex_numIdELi16ELb0ELb1ELc84ELc85EKS1_S1_EviT_T0_PT6_S3_lS6_S3_lS4_PT7_S3_li,"axG",@progbits,_ZL32rocblas_syrkx_herkx_small_kernelIi19rocblas_complex_numIdELi16ELb0ELb1ELc84ELc85EKS1_S1_EviT_T0_PT6_S3_lS6_S3_lS4_PT7_S3_li,comdat
.Lfunc_end444:
	.size	_ZL32rocblas_syrkx_herkx_small_kernelIi19rocblas_complex_numIdELi16ELb0ELb1ELc84ELc85EKS1_S1_EviT_T0_PT6_S3_lS6_S3_lS4_PT7_S3_li, .Lfunc_end444-_ZL32rocblas_syrkx_herkx_small_kernelIi19rocblas_complex_numIdELi16ELb0ELb1ELc84ELc85EKS1_S1_EviT_T0_PT6_S3_lS6_S3_lS4_PT7_S3_li
                                        ; -- End function
	.set _ZL32rocblas_syrkx_herkx_small_kernelIi19rocblas_complex_numIdELi16ELb0ELb1ELc84ELc85EKS1_S1_EviT_T0_PT6_S3_lS6_S3_lS4_PT7_S3_li.num_vgpr, 40
	.set _ZL32rocblas_syrkx_herkx_small_kernelIi19rocblas_complex_numIdELi16ELb0ELb1ELc84ELc85EKS1_S1_EviT_T0_PT6_S3_lS6_S3_lS4_PT7_S3_li.num_agpr, 0
	.set _ZL32rocblas_syrkx_herkx_small_kernelIi19rocblas_complex_numIdELi16ELb0ELb1ELc84ELc85EKS1_S1_EviT_T0_PT6_S3_lS6_S3_lS4_PT7_S3_li.numbered_sgpr, 32
	.set _ZL32rocblas_syrkx_herkx_small_kernelIi19rocblas_complex_numIdELi16ELb0ELb1ELc84ELc85EKS1_S1_EviT_T0_PT6_S3_lS6_S3_lS4_PT7_S3_li.num_named_barrier, 0
	.set _ZL32rocblas_syrkx_herkx_small_kernelIi19rocblas_complex_numIdELi16ELb0ELb1ELc84ELc85EKS1_S1_EviT_T0_PT6_S3_lS6_S3_lS4_PT7_S3_li.private_seg_size, 0
	.set _ZL32rocblas_syrkx_herkx_small_kernelIi19rocblas_complex_numIdELi16ELb0ELb1ELc84ELc85EKS1_S1_EviT_T0_PT6_S3_lS6_S3_lS4_PT7_S3_li.uses_vcc, 1
	.set _ZL32rocblas_syrkx_herkx_small_kernelIi19rocblas_complex_numIdELi16ELb0ELb1ELc84ELc85EKS1_S1_EviT_T0_PT6_S3_lS6_S3_lS4_PT7_S3_li.uses_flat_scratch, 0
	.set _ZL32rocblas_syrkx_herkx_small_kernelIi19rocblas_complex_numIdELi16ELb0ELb1ELc84ELc85EKS1_S1_EviT_T0_PT6_S3_lS6_S3_lS4_PT7_S3_li.has_dyn_sized_stack, 0
	.set _ZL32rocblas_syrkx_herkx_small_kernelIi19rocblas_complex_numIdELi16ELb0ELb1ELc84ELc85EKS1_S1_EviT_T0_PT6_S3_lS6_S3_lS4_PT7_S3_li.has_recursion, 0
	.set _ZL32rocblas_syrkx_herkx_small_kernelIi19rocblas_complex_numIdELi16ELb0ELb1ELc84ELc85EKS1_S1_EviT_T0_PT6_S3_lS6_S3_lS4_PT7_S3_li.has_indirect_call, 0
	.section	.AMDGPU.csdata,"",@progbits
; Kernel info:
; codeLenInByte = 1884
; TotalNumSgprs: 36
; NumVgprs: 40
; ScratchSize: 0
; MemoryBound: 0
; FloatMode: 240
; IeeeMode: 1
; LDSByteSize: 8192 bytes/workgroup (compile time only)
; SGPRBlocks: 8
; VGPRBlocks: 9
; NumSGPRsForWavesPerEU: 65
; NumVGPRsForWavesPerEU: 40
; Occupancy: 6
; WaveLimiterHint : 0
; COMPUTE_PGM_RSRC2:SCRATCH_EN: 0
; COMPUTE_PGM_RSRC2:USER_SGPR: 6
; COMPUTE_PGM_RSRC2:TRAP_HANDLER: 0
; COMPUTE_PGM_RSRC2:TGID_X_EN: 1
; COMPUTE_PGM_RSRC2:TGID_Y_EN: 1
; COMPUTE_PGM_RSRC2:TGID_Z_EN: 1
; COMPUTE_PGM_RSRC2:TIDIG_COMP_CNT: 1
	.section	.text._ZL32rocblas_syrkx_herkx_small_kernelIi19rocblas_complex_numIdELi16ELb0ELb1ELc67ELc85EKS1_S1_EviT_T0_PT6_S3_lS6_S3_lS4_PT7_S3_li,"axG",@progbits,_ZL32rocblas_syrkx_herkx_small_kernelIi19rocblas_complex_numIdELi16ELb0ELb1ELc67ELc85EKS1_S1_EviT_T0_PT6_S3_lS6_S3_lS4_PT7_S3_li,comdat
	.globl	_ZL32rocblas_syrkx_herkx_small_kernelIi19rocblas_complex_numIdELi16ELb0ELb1ELc67ELc85EKS1_S1_EviT_T0_PT6_S3_lS6_S3_lS4_PT7_S3_li ; -- Begin function _ZL32rocblas_syrkx_herkx_small_kernelIi19rocblas_complex_numIdELi16ELb0ELb1ELc67ELc85EKS1_S1_EviT_T0_PT6_S3_lS6_S3_lS4_PT7_S3_li
	.p2align	8
	.type	_ZL32rocblas_syrkx_herkx_small_kernelIi19rocblas_complex_numIdELi16ELb0ELb1ELc67ELc85EKS1_S1_EviT_T0_PT6_S3_lS6_S3_lS4_PT7_S3_li,@function
_ZL32rocblas_syrkx_herkx_small_kernelIi19rocblas_complex_numIdELi16ELb0ELb1ELc67ELc85EKS1_S1_EviT_T0_PT6_S3_lS6_S3_lS4_PT7_S3_li: ; @_ZL32rocblas_syrkx_herkx_small_kernelIi19rocblas_complex_numIdELi16ELb0ELb1ELc67ELc85EKS1_S1_EviT_T0_PT6_S3_lS6_S3_lS4_PT7_S3_li
; %bb.0:
	s_load_dwordx2 s[10:11], s[4:5], 0x0
	s_load_dwordx4 s[20:23], s[4:5], 0x8
	s_load_dwordx2 s[24:25], s[4:5], 0x18
	s_load_dwordx8 s[12:19], s[4:5], 0x40
	v_lshl_add_u32 v16, s7, 4, v1
	s_mov_b32 s9, 0
	v_lshl_add_u32 v7, s6, 4, v0
	s_waitcnt lgkmcnt(0)
	s_cmp_lt_i32 s11, 1
	v_cmp_gt_i32_e32 vcc, s10, v16
	s_cbranch_scc1 .LBB445_9
; %bb.1:
	s_load_dword s6, s[4:5], 0x20
	s_load_dwordx4 s[28:31], s[4:5], 0x28
	s_load_dword s2, s[4:5], 0x38
	v_lshlrev_b32_e32 v4, 8, v1
	v_lshlrev_b32_e32 v17, 4, v0
	v_add_u32_e32 v18, v17, v4
	v_add_u32_e32 v19, 0x1000, v4
	s_waitcnt lgkmcnt(0)
	v_mad_i64_i32 v[2:3], s[2:3], s2, v16, 0
	s_mul_i32 s2, s13, s8
	s_mul_hi_u32 s3, s12, s8
	v_lshlrev_b64 v[2:3], 4, v[2:3]
	s_add_i32 s3, s3, s2
	s_mul_i32 s2, s12, s8
	s_lshl_b64 s[2:3], s[2:3], 4
	v_mov_b32_e32 v4, s3
	v_add_co_u32_e64 v2, s[2:3], s2, v2
	v_addc_co_u32_e64 v3, s[2:3], v3, v4, s[2:3]
	v_add_co_u32_e64 v4, s[2:3], v2, v17
	v_addc_co_u32_e64 v5, s[2:3], 0, v3, s[2:3]
	v_mad_i64_i32 v[2:3], s[2:3], s6, v7, 0
	v_mov_b32_e32 v6, s31
	v_add_co_u32_e64 v8, s[2:3], s30, v4
	v_addc_co_u32_e64 v9, s[2:3], v6, v5, s[2:3]
	s_mul_i32 s2, s29, s8
	s_mul_hi_u32 s3, s28, s8
	v_lshlrev_b64 v[2:3], 4, v[2:3]
	s_add_i32 s3, s3, s2
	s_mul_i32 s2, s28, s8
	s_lshl_b64 s[2:3], s[2:3], 4
	v_mov_b32_e32 v4, s3
	v_add_co_u32_e64 v2, s[2:3], s2, v2
	v_addc_co_u32_e64 v3, s[2:3], v3, v4, s[2:3]
	v_lshlrev_b32_e32 v4, 4, v1
	v_add_co_u32_e64 v2, s[2:3], v2, v4
	v_addc_co_u32_e64 v3, s[2:3], 0, v3, s[2:3]
	v_mov_b32_e32 v4, s25
	v_add_co_u32_e64 v2, s[2:3], s24, v2
	v_addc_co_u32_e64 v3, s[2:3], v4, v3, s[2:3]
	v_add_co_u32_e64 v10, s[2:3], 8, v2
	v_addc_co_u32_e64 v11, s[2:3], 0, v3, s[2:3]
	v_mov_b32_e32 v12, 0
	v_mov_b32_e32 v14, 0
	v_cmp_gt_i32_e64 s[0:1], s10, v7
	v_add_u32_e32 v20, v19, v17
	v_mov_b32_e32 v13, 0
	s_xor_b64 s[2:3], vcc, -1
	v_mov_b32_e32 v15, 0
	v_mov_b32_e32 v2, 0
	s_branch .LBB445_3
.LBB445_2:                              ;   in Loop: Header=BB445_3 Depth=1
	s_or_b64 exec, exec, s[6:7]
	s_waitcnt lgkmcnt(0)
	s_barrier
	ds_read_b128 v[3:6], v17
	ds_read_b128 v[21:24], v19
	ds_read_b128 v[25:28], v19 offset:16
	ds_read_b128 v[29:32], v17 offset:256
	;; [unrolled: 1-line block ×4, first 2 shown]
	s_waitcnt lgkmcnt(4)
	v_mul_f64 v[41:42], v[23:24], v[5:6]
	v_mul_f64 v[5:6], v[21:22], v[5:6]
	s_waitcnt lgkmcnt(2)
	v_mul_f64 v[43:44], v[27:28], v[31:32]
	v_mul_f64 v[31:32], v[25:26], v[31:32]
	s_waitcnt lgkmcnt(0)
	v_mul_f64 v[47:48], v[35:36], v[39:40]
	v_add_co_u32_e32 v8, vcc, 0x100, v8
	v_addc_co_u32_e32 v9, vcc, 0, v9, vcc
	v_fma_f64 v[41:42], v[21:22], v[3:4], -v[41:42]
	v_fma_f64 v[45:46], v[23:24], v[3:4], v[5:6]
	v_fma_f64 v[25:26], v[25:26], v[29:30], -v[43:44]
	v_fma_f64 v[27:28], v[27:28], v[29:30], v[31:32]
	v_mul_f64 v[29:30], v[33:34], v[39:40]
	ds_read_b128 v[3:6], v19 offset:48
	ds_read_b128 v[21:24], v17 offset:768
	v_fma_f64 v[33:34], v[33:34], v[37:38], -v[47:48]
	s_add_i32 s9, s9, 16
	v_add_f64 v[31:32], v[14:15], v[41:42]
	v_add_f64 v[39:40], v[12:13], v[45:46]
	s_waitcnt lgkmcnt(0)
	v_mul_f64 v[41:42], v[5:6], v[23:24]
	v_mul_f64 v[43:44], v[3:4], v[23:24]
	v_fma_f64 v[35:36], v[35:36], v[37:38], v[29:30]
	ds_read_b128 v[12:15], v19 offset:64
	v_add_co_u32_e32 v10, vcc, 0x100, v10
	v_add_f64 v[31:32], v[31:32], v[25:26]
	v_add_f64 v[37:38], v[39:40], v[27:28]
	ds_read_b128 v[23:26], v17 offset:1024
	v_fma_f64 v[39:40], v[3:4], v[21:22], -v[41:42]
	v_fma_f64 v[21:22], v[5:6], v[21:22], v[43:44]
	ds_read_b128 v[3:6], v19 offset:80
	ds_read_b128 v[27:30], v17 offset:1280
	s_cmp_ge_i32 s9, s11
	s_waitcnt lgkmcnt(2)
	v_mul_f64 v[41:42], v[14:15], v[25:26]
	v_mul_f64 v[25:26], v[12:13], v[25:26]
	v_add_f64 v[43:44], v[31:32], v[33:34]
	v_add_f64 v[35:36], v[37:38], v[35:36]
	s_waitcnt lgkmcnt(0)
	v_mul_f64 v[45:46], v[5:6], v[29:30]
	v_mul_f64 v[29:30], v[3:4], v[29:30]
	ds_read_b128 v[31:34], v19 offset:96
	v_addc_co_u32_e32 v11, vcc, 0, v11, vcc
	v_fma_f64 v[41:42], v[12:13], v[23:24], -v[41:42]
	v_fma_f64 v[25:26], v[14:15], v[23:24], v[25:26]
	v_add_f64 v[39:40], v[43:44], v[39:40]
	v_add_f64 v[43:44], v[35:36], v[21:22]
	ds_read_b128 v[12:15], v17 offset:1536
	v_fma_f64 v[45:46], v[3:4], v[27:28], -v[45:46]
	v_fma_f64 v[27:28], v[5:6], v[27:28], v[29:30]
	ds_read_b128 v[21:24], v19 offset:112
	ds_read_b128 v[35:38], v17 offset:1792
	;; [unrolled: 1-line block ×3, first 2 shown]
	s_waitcnt lgkmcnt(3)
	v_mul_f64 v[47:48], v[33:34], v[14:15]
	v_mul_f64 v[14:15], v[31:32], v[14:15]
	v_add_f64 v[29:30], v[39:40], v[41:42]
	v_add_f64 v[25:26], v[43:44], v[25:26]
	s_waitcnt lgkmcnt(1)
	v_mul_f64 v[39:40], v[23:24], v[37:38]
	v_mul_f64 v[37:38], v[21:22], v[37:38]
	v_fma_f64 v[31:32], v[31:32], v[12:13], -v[47:48]
	v_fma_f64 v[33:34], v[33:34], v[12:13], v[14:15]
	v_add_f64 v[29:30], v[29:30], v[45:46]
	v_add_f64 v[41:42], v[25:26], v[27:28]
	ds_read_b128 v[12:15], v17 offset:2048
	v_fma_f64 v[39:40], v[21:22], v[35:36], -v[39:40]
	v_fma_f64 v[35:36], v[23:24], v[35:36], v[37:38]
	ds_read_b128 v[21:24], v19 offset:144
	ds_read_b128 v[25:28], v17 offset:2304
	s_waitcnt lgkmcnt(2)
	v_mul_f64 v[37:38], v[5:6], v[14:15]
	v_mul_f64 v[14:15], v[3:4], v[14:15]
	v_add_f64 v[43:44], v[29:30], v[31:32]
	v_add_f64 v[33:34], v[41:42], v[33:34]
	s_waitcnt lgkmcnt(0)
	v_mul_f64 v[41:42], v[23:24], v[27:28]
	v_mul_f64 v[27:28], v[21:22], v[27:28]
	ds_read_b128 v[29:32], v19 offset:160
	v_fma_f64 v[37:38], v[3:4], v[12:13], -v[37:38]
	v_fma_f64 v[45:46], v[5:6], v[12:13], v[14:15]
	v_add_f64 v[39:40], v[43:44], v[39:40]
	v_add_f64 v[43:44], v[33:34], v[35:36]
	ds_read_b128 v[3:6], v17 offset:2560
	v_fma_f64 v[41:42], v[21:22], v[25:26], -v[41:42]
	v_fma_f64 v[25:26], v[23:24], v[25:26], v[27:28]
	ds_read_b128 v[12:15], v19 offset:176
	ds_read_b128 v[33:36], v17 offset:2816
	;; [unrolled: 1-line block ×3, first 2 shown]
	s_waitcnt lgkmcnt(3)
	v_mul_f64 v[47:48], v[31:32], v[5:6]
	v_mul_f64 v[5:6], v[29:30], v[5:6]
	v_add_f64 v[27:28], v[39:40], v[37:38]
	v_add_f64 v[37:38], v[43:44], v[45:46]
	s_waitcnt lgkmcnt(1)
	v_mul_f64 v[39:40], v[14:15], v[35:36]
	v_mul_f64 v[35:36], v[12:13], v[35:36]
	v_fma_f64 v[29:30], v[29:30], v[3:4], -v[47:48]
	v_fma_f64 v[31:32], v[31:32], v[3:4], v[5:6]
	v_add_f64 v[41:42], v[27:28], v[41:42]
	v_add_f64 v[37:38], v[37:38], v[25:26]
	ds_read_b128 v[3:6], v17 offset:3072
	v_fma_f64 v[39:40], v[12:13], v[33:34], -v[39:40]
	v_fma_f64 v[33:34], v[14:15], v[33:34], v[35:36]
	ds_read_b128 v[12:15], v19 offset:208
	ds_read_b128 v[25:28], v17 offset:3328
	s_waitcnt lgkmcnt(2)
	v_mul_f64 v[35:36], v[23:24], v[5:6]
	v_mul_f64 v[5:6], v[21:22], v[5:6]
	v_add_f64 v[41:42], v[41:42], v[29:30]
	v_add_f64 v[37:38], v[37:38], v[31:32]
	s_waitcnt lgkmcnt(0)
	v_mul_f64 v[43:44], v[14:15], v[27:28]
	v_mul_f64 v[27:28], v[12:13], v[27:28]
	ds_read_b128 v[29:32], v19 offset:224
	v_fma_f64 v[45:46], v[21:22], v[3:4], -v[35:36]
	v_fma_f64 v[47:48], v[23:24], v[3:4], v[5:6]
	v_add_f64 v[39:40], v[41:42], v[39:40]
	v_add_f64 v[37:38], v[37:38], v[33:34]
	ds_read_b128 v[3:6], v17 offset:3584
	v_fma_f64 v[12:13], v[12:13], v[25:26], -v[43:44]
	v_fma_f64 v[14:15], v[14:15], v[25:26], v[27:28]
	ds_read_b128 v[21:24], v19 offset:240
	ds_read_b128 v[33:36], v17 offset:3840
	s_waitcnt lgkmcnt(0)
	v_mul_f64 v[41:42], v[31:32], v[5:6]
	v_mul_f64 v[5:6], v[29:30], v[5:6]
	v_add_f64 v[25:26], v[39:40], v[45:46]
	v_add_f64 v[27:28], v[37:38], v[47:48]
	v_mul_f64 v[37:38], v[23:24], v[35:36]
	v_mul_f64 v[35:36], v[21:22], v[35:36]
	s_barrier
	v_fma_f64 v[29:30], v[29:30], v[3:4], -v[41:42]
	v_fma_f64 v[3:4], v[31:32], v[3:4], v[5:6]
	v_add_f64 v[5:6], v[25:26], v[12:13]
	v_add_f64 v[12:13], v[27:28], v[14:15]
	v_fma_f64 v[14:15], v[21:22], v[33:34], -v[37:38]
	v_fma_f64 v[21:22], v[23:24], v[33:34], v[35:36]
	v_add_f64 v[5:6], v[5:6], v[29:30]
	v_add_f64 v[3:4], v[12:13], v[3:4]
	;; [unrolled: 1-line block ×4, first 2 shown]
	s_cbranch_scc1 .LBB445_10
.LBB445_3:                              ; =>This Inner Loop Header: Depth=1
	v_add_u32_e32 v3, s9, v1
	v_cmp_gt_i32_e32 vcc, s11, v3
	v_mov_b32_e32 v3, 0
	v_mov_b32_e32 v5, 0
	;; [unrolled: 1-line block ×4, first 2 shown]
	s_and_b64 s[12:13], s[0:1], vcc
	s_and_saveexec_b64 s[6:7], s[12:13]
	s_cbranch_execz .LBB445_5
; %bb.4:                                ;   in Loop: Header=BB445_3 Depth=1
	global_load_dwordx4 v[3:6], v[10:11], off offset:-8
	s_waitcnt vmcnt(0)
	v_xor_b32_e32 v6, 0x80000000, v6
.LBB445_5:                              ;   in Loop: Header=BB445_3 Depth=1
	s_or_b64 exec, exec, s[6:7]
	ds_write_b128 v18, v[3:6]
	v_add_u32_e32 v3, s9, v0
	v_cmp_le_i32_e32 vcc, s11, v3
	s_or_b64 s[6:7], s[2:3], vcc
	s_and_saveexec_b64 s[12:13], s[6:7]
	s_xor_b64 s[6:7], exec, s[12:13]
; %bb.6:                                ;   in Loop: Header=BB445_3 Depth=1
	v_mov_b32_e32 v3, v2
	v_mov_b32_e32 v4, v2
	;; [unrolled: 1-line block ×3, first 2 shown]
	ds_write_b128 v20, v[2:5]
; %bb.7:                                ;   in Loop: Header=BB445_3 Depth=1
	s_andn2_saveexec_b64 s[6:7], s[6:7]
	s_cbranch_execz .LBB445_2
; %bb.8:                                ;   in Loop: Header=BB445_3 Depth=1
	global_load_dwordx4 v[3:6], v[8:9], off
	s_waitcnt vmcnt(0)
	ds_write2_b64 v20, v[3:4], v[5:6] offset1:1
	s_branch .LBB445_2
.LBB445_9:
	v_mov_b32_e32 v12, 0
	v_mov_b32_e32 v14, 0
	;; [unrolled: 1-line block ×4, first 2 shown]
.LBB445_10:
	v_cmp_le_i32_e32 vcc, v7, v16
	v_cmp_gt_i32_e64 s[0:1], s10, v16
	s_and_b64 s[0:1], vcc, s[0:1]
	s_and_saveexec_b64 s[2:3], s[0:1]
	s_cbranch_execz .LBB445_12
; %bb.11:
	s_load_dwordx2 s[0:1], s[4:5], 0x68
	s_load_dword s2, s[4:5], 0x60
	v_ashrrev_i32_e32 v8, 31, v7
	s_waitcnt lgkmcnt(0)
	s_mul_i32 s1, s1, s8
	s_mul_hi_u32 s3, s0, s8
	s_add_i32 s1, s3, s1
	v_mad_i64_i32 v[0:1], s[2:3], s2, v16, 0
	s_mul_i32 s0, s0, s8
	s_lshl_b64 s[0:1], s[0:1], 4
	s_add_u32 s0, s18, s0
	v_lshlrev_b64 v[0:1], 4, v[0:1]
	s_addc_u32 s1, s19, s1
	v_mov_b32_e32 v2, s1
	v_add_co_u32_e32 v3, vcc, s0, v0
	v_addc_co_u32_e32 v2, vcc, v2, v1, vcc
	v_lshlrev_b64 v[0:1], 4, v[7:8]
	v_mul_f64 v[8:9], s[20:21], v[12:13]
	v_add_co_u32_e32 v4, vcc, v3, v0
	v_addc_co_u32_e32 v5, vcc, v2, v1, vcc
	global_load_dwordx4 v[0:3], v[4:5], off
	v_mul_f64 v[12:13], s[22:23], v[12:13]
	v_cmp_ne_u32_e32 vcc, v7, v16
	v_fma_f64 v[8:9], s[22:23], v[14:15], v[8:9]
	v_fma_f64 v[12:13], s[20:21], v[14:15], -v[12:13]
	s_waitcnt vmcnt(0)
	v_mul_f64 v[10:11], s[14:15], v[2:3]
	v_mul_f64 v[2:3], s[16:17], v[2:3]
	v_fma_f64 v[10:11], s[16:17], v[0:1], v[10:11]
	v_fma_f64 v[0:1], s[14:15], v[0:1], -v[2:3]
	v_add_f64 v[2:3], v[8:9], v[10:11]
	v_add_f64 v[0:1], v[12:13], v[0:1]
	v_cndmask_b32_e32 v3, 0, v3, vcc
	v_cndmask_b32_e32 v2, 0, v2, vcc
	global_store_dwordx4 v[4:5], v[0:3], off
.LBB445_12:
	s_endpgm
	.section	.rodata,"a",@progbits
	.p2align	6, 0x0
	.amdhsa_kernel _ZL32rocblas_syrkx_herkx_small_kernelIi19rocblas_complex_numIdELi16ELb0ELb1ELc67ELc85EKS1_S1_EviT_T0_PT6_S3_lS6_S3_lS4_PT7_S3_li
		.amdhsa_group_segment_fixed_size 8192
		.amdhsa_private_segment_fixed_size 0
		.amdhsa_kernarg_size 116
		.amdhsa_user_sgpr_count 6
		.amdhsa_user_sgpr_private_segment_buffer 1
		.amdhsa_user_sgpr_dispatch_ptr 0
		.amdhsa_user_sgpr_queue_ptr 0
		.amdhsa_user_sgpr_kernarg_segment_ptr 1
		.amdhsa_user_sgpr_dispatch_id 0
		.amdhsa_user_sgpr_flat_scratch_init 0
		.amdhsa_user_sgpr_private_segment_size 0
		.amdhsa_uses_dynamic_stack 0
		.amdhsa_system_sgpr_private_segment_wavefront_offset 0
		.amdhsa_system_sgpr_workgroup_id_x 1
		.amdhsa_system_sgpr_workgroup_id_y 1
		.amdhsa_system_sgpr_workgroup_id_z 1
		.amdhsa_system_sgpr_workgroup_info 0
		.amdhsa_system_vgpr_workitem_id 1
		.amdhsa_next_free_vgpr 49
		.amdhsa_next_free_sgpr 61
		.amdhsa_reserve_vcc 1
		.amdhsa_reserve_flat_scratch 0
		.amdhsa_float_round_mode_32 0
		.amdhsa_float_round_mode_16_64 0
		.amdhsa_float_denorm_mode_32 3
		.amdhsa_float_denorm_mode_16_64 3
		.amdhsa_dx10_clamp 1
		.amdhsa_ieee_mode 1
		.amdhsa_fp16_overflow 0
		.amdhsa_exception_fp_ieee_invalid_op 0
		.amdhsa_exception_fp_denorm_src 0
		.amdhsa_exception_fp_ieee_div_zero 0
		.amdhsa_exception_fp_ieee_overflow 0
		.amdhsa_exception_fp_ieee_underflow 0
		.amdhsa_exception_fp_ieee_inexact 0
		.amdhsa_exception_int_div_zero 0
	.end_amdhsa_kernel
	.section	.text._ZL32rocblas_syrkx_herkx_small_kernelIi19rocblas_complex_numIdELi16ELb0ELb1ELc67ELc85EKS1_S1_EviT_T0_PT6_S3_lS6_S3_lS4_PT7_S3_li,"axG",@progbits,_ZL32rocblas_syrkx_herkx_small_kernelIi19rocblas_complex_numIdELi16ELb0ELb1ELc67ELc85EKS1_S1_EviT_T0_PT6_S3_lS6_S3_lS4_PT7_S3_li,comdat
.Lfunc_end445:
	.size	_ZL32rocblas_syrkx_herkx_small_kernelIi19rocblas_complex_numIdELi16ELb0ELb1ELc67ELc85EKS1_S1_EviT_T0_PT6_S3_lS6_S3_lS4_PT7_S3_li, .Lfunc_end445-_ZL32rocblas_syrkx_herkx_small_kernelIi19rocblas_complex_numIdELi16ELb0ELb1ELc67ELc85EKS1_S1_EviT_T0_PT6_S3_lS6_S3_lS4_PT7_S3_li
                                        ; -- End function
	.set _ZL32rocblas_syrkx_herkx_small_kernelIi19rocblas_complex_numIdELi16ELb0ELb1ELc67ELc85EKS1_S1_EviT_T0_PT6_S3_lS6_S3_lS4_PT7_S3_li.num_vgpr, 49
	.set _ZL32rocblas_syrkx_herkx_small_kernelIi19rocblas_complex_numIdELi16ELb0ELb1ELc67ELc85EKS1_S1_EviT_T0_PT6_S3_lS6_S3_lS4_PT7_S3_li.num_agpr, 0
	.set _ZL32rocblas_syrkx_herkx_small_kernelIi19rocblas_complex_numIdELi16ELb0ELb1ELc67ELc85EKS1_S1_EviT_T0_PT6_S3_lS6_S3_lS4_PT7_S3_li.numbered_sgpr, 32
	.set _ZL32rocblas_syrkx_herkx_small_kernelIi19rocblas_complex_numIdELi16ELb0ELb1ELc67ELc85EKS1_S1_EviT_T0_PT6_S3_lS6_S3_lS4_PT7_S3_li.num_named_barrier, 0
	.set _ZL32rocblas_syrkx_herkx_small_kernelIi19rocblas_complex_numIdELi16ELb0ELb1ELc67ELc85EKS1_S1_EviT_T0_PT6_S3_lS6_S3_lS4_PT7_S3_li.private_seg_size, 0
	.set _ZL32rocblas_syrkx_herkx_small_kernelIi19rocblas_complex_numIdELi16ELb0ELb1ELc67ELc85EKS1_S1_EviT_T0_PT6_S3_lS6_S3_lS4_PT7_S3_li.uses_vcc, 1
	.set _ZL32rocblas_syrkx_herkx_small_kernelIi19rocblas_complex_numIdELi16ELb0ELb1ELc67ELc85EKS1_S1_EviT_T0_PT6_S3_lS6_S3_lS4_PT7_S3_li.uses_flat_scratch, 0
	.set _ZL32rocblas_syrkx_herkx_small_kernelIi19rocblas_complex_numIdELi16ELb0ELb1ELc67ELc85EKS1_S1_EviT_T0_PT6_S3_lS6_S3_lS4_PT7_S3_li.has_dyn_sized_stack, 0
	.set _ZL32rocblas_syrkx_herkx_small_kernelIi19rocblas_complex_numIdELi16ELb0ELb1ELc67ELc85EKS1_S1_EviT_T0_PT6_S3_lS6_S3_lS4_PT7_S3_li.has_recursion, 0
	.set _ZL32rocblas_syrkx_herkx_small_kernelIi19rocblas_complex_numIdELi16ELb0ELb1ELc67ELc85EKS1_S1_EviT_T0_PT6_S3_lS6_S3_lS4_PT7_S3_li.has_indirect_call, 0
	.section	.AMDGPU.csdata,"",@progbits
; Kernel info:
; codeLenInByte = 1888
; TotalNumSgprs: 36
; NumVgprs: 49
; ScratchSize: 0
; MemoryBound: 1
; FloatMode: 240
; IeeeMode: 1
; LDSByteSize: 8192 bytes/workgroup (compile time only)
; SGPRBlocks: 8
; VGPRBlocks: 12
; NumSGPRsForWavesPerEU: 65
; NumVGPRsForWavesPerEU: 49
; Occupancy: 4
; WaveLimiterHint : 0
; COMPUTE_PGM_RSRC2:SCRATCH_EN: 0
; COMPUTE_PGM_RSRC2:USER_SGPR: 6
; COMPUTE_PGM_RSRC2:TRAP_HANDLER: 0
; COMPUTE_PGM_RSRC2:TGID_X_EN: 1
; COMPUTE_PGM_RSRC2:TGID_Y_EN: 1
; COMPUTE_PGM_RSRC2:TGID_Z_EN: 1
; COMPUTE_PGM_RSRC2:TIDIG_COMP_CNT: 1
	.section	.text._ZL32rocblas_syrkx_herkx_small_kernelIi19rocblas_complex_numIdELi16ELb0ELb1ELc78ELc85EKS1_S1_EviT_T0_PT6_S3_lS6_S3_lS4_PT7_S3_li,"axG",@progbits,_ZL32rocblas_syrkx_herkx_small_kernelIi19rocblas_complex_numIdELi16ELb0ELb1ELc78ELc85EKS1_S1_EviT_T0_PT6_S3_lS6_S3_lS4_PT7_S3_li,comdat
	.globl	_ZL32rocblas_syrkx_herkx_small_kernelIi19rocblas_complex_numIdELi16ELb0ELb1ELc78ELc85EKS1_S1_EviT_T0_PT6_S3_lS6_S3_lS4_PT7_S3_li ; -- Begin function _ZL32rocblas_syrkx_herkx_small_kernelIi19rocblas_complex_numIdELi16ELb0ELb1ELc78ELc85EKS1_S1_EviT_T0_PT6_S3_lS6_S3_lS4_PT7_S3_li
	.p2align	8
	.type	_ZL32rocblas_syrkx_herkx_small_kernelIi19rocblas_complex_numIdELi16ELb0ELb1ELc78ELc85EKS1_S1_EviT_T0_PT6_S3_lS6_S3_lS4_PT7_S3_li,@function
_ZL32rocblas_syrkx_herkx_small_kernelIi19rocblas_complex_numIdELi16ELb0ELb1ELc78ELc85EKS1_S1_EviT_T0_PT6_S3_lS6_S3_lS4_PT7_S3_li: ; @_ZL32rocblas_syrkx_herkx_small_kernelIi19rocblas_complex_numIdELi16ELb0ELb1ELc78ELc85EKS1_S1_EviT_T0_PT6_S3_lS6_S3_lS4_PT7_S3_li
; %bb.0:
	s_load_dwordx2 s[10:11], s[4:5], 0x0
	s_load_dwordx4 s[20:23], s[4:5], 0x8
	s_load_dwordx2 s[28:29], s[4:5], 0x18
	s_load_dwordx8 s[12:19], s[4:5], 0x40
	v_lshl_add_u32 v7, s6, 4, v0
	v_lshl_add_u32 v9, s7, 4, v1
	s_mov_b32 s9, 0
	s_waitcnt lgkmcnt(0)
	s_cmp_lt_i32 s11, 1
	v_ashrrev_i32_e32 v8, 31, v7
	v_cmp_gt_i32_e32 vcc, s10, v9
	s_cbranch_scc1 .LBB446_9
; %bb.1:
	s_load_dword s30, s[4:5], 0x20
	s_load_dword s6, s[4:5], 0x38
	s_load_dwordx4 s[24:27], s[4:5], 0x28
	v_lshlrev_b32_e32 v2, 8, v1
	v_lshlrev_b32_e32 v18, 4, v0
	v_add_u32_e32 v19, v18, v2
	v_add_u32_e32 v20, 0x1000, v2
	s_waitcnt lgkmcnt(0)
	v_mad_i64_i32 v[2:3], s[2:3], s6, v0, 0
	s_mul_i32 s13, s13, s8
	s_mul_hi_u32 s33, s12, s8
	s_add_i32 s3, s33, s13
	s_mul_i32 s2, s12, s8
	v_lshlrev_b64 v[2:3], 4, v[2:3]
	s_lshl_b64 s[2:3], s[2:3], 4
	v_ashrrev_i32_e32 v10, 31, v9
	v_mov_b32_e32 v4, s3
	v_add_co_u32_e64 v5, s[2:3], s2, v2
	v_addc_co_u32_e64 v4, s[2:3], v4, v3, s[2:3]
	v_lshlrev_b64 v[2:3], 4, v[9:10]
	s_mul_i32 s12, s25, s8
	v_add_co_u32_e64 v2, s[2:3], v5, v2
	v_addc_co_u32_e64 v3, s[2:3], v4, v3, s[2:3]
	v_mov_b32_e32 v4, s27
	v_add_co_u32_e64 v2, s[2:3], s26, v2
	v_addc_co_u32_e64 v3, s[2:3], v4, v3, s[2:3]
	v_add_co_u32_e64 v10, s[2:3], 8, v2
	v_addc_co_u32_e64 v11, s[2:3], 0, v3, s[2:3]
	v_mad_i64_i32 v[2:3], s[2:3], s30, v1, 0
	s_mul_hi_u32 s13, s24, s8
	s_add_i32 s3, s13, s12
	s_mul_i32 s2, s24, s8
	v_lshlrev_b64 v[2:3], 4, v[2:3]
	s_lshl_b64 s[2:3], s[2:3], 4
	v_mov_b32_e32 v4, s3
	v_add_co_u32_e64 v5, s[2:3], s2, v2
	v_addc_co_u32_e64 v4, s[2:3], v4, v3, s[2:3]
	v_lshlrev_b64 v[2:3], 4, v[7:8]
	s_ashr_i32 s31, s30, 31
	v_add_co_u32_e64 v2, s[2:3], v5, v2
	v_addc_co_u32_e64 v3, s[2:3], v4, v3, s[2:3]
	v_mov_b32_e32 v4, s29
	v_add_co_u32_e64 v12, s[2:3], s28, v2
	s_ashr_i32 s7, s6, 31
	v_addc_co_u32_e64 v13, s[2:3], v4, v3, s[2:3]
	v_cmp_gt_i32_e64 s[0:1], s10, v7
	s_lshl_b64 s[6:7], s[6:7], 8
	s_lshl_b64 s[2:3], s[30:31], 8
	v_mov_b32_e32 v14, 0
	v_mov_b32_e32 v16, 0
	v_add_u32_e32 v21, v20, v18
	v_mov_b32_e32 v15, 0
	s_xor_b64 s[12:13], s[0:1], -1
	v_mov_b32_e32 v22, s7
	v_mov_b32_e32 v23, s3
	;; [unrolled: 1-line block ×4, first 2 shown]
	s_branch .LBB446_3
.LBB446_2:                              ;   in Loop: Header=BB446_3 Depth=1
	s_or_b64 exec, exec, s[0:1]
	ds_write_b128 v21, v[3:6]
	s_waitcnt lgkmcnt(0)
	s_barrier
	ds_read_b128 v[3:6], v18
	ds_read_b128 v[24:27], v20
	ds_read_b128 v[28:31], v20 offset:16
	ds_read_b128 v[32:35], v18 offset:256
	v_add_co_u32_e64 v10, s[0:1], s6, v10
	s_waitcnt lgkmcnt(2)
	v_mul_f64 v[36:37], v[26:27], v[5:6]
	v_mul_f64 v[5:6], v[24:25], v[5:6]
	s_waitcnt lgkmcnt(0)
	v_mul_f64 v[38:39], v[30:31], v[34:35]
	v_mul_f64 v[40:41], v[28:29], v[34:35]
	v_addc_co_u32_e64 v11, s[0:1], v11, v22, s[0:1]
	s_add_i32 s9, s9, 16
	v_add_co_u32_e64 v12, s[0:1], s2, v12
	v_fma_f64 v[42:43], v[24:25], v[3:4], -v[36:37]
	v_fma_f64 v[44:45], v[26:27], v[3:4], v[5:6]
	ds_read_b128 v[3:6], v18 offset:512
	ds_read_b128 v[24:27], v20 offset:32
	;; [unrolled: 1-line block ×3, first 2 shown]
	v_fma_f64 v[38:39], v[28:29], v[32:33], -v[38:39]
	v_fma_f64 v[32:33], v[30:31], v[32:33], v[40:41]
	ds_read_b128 v[28:31], v18 offset:768
	s_waitcnt lgkmcnt(2)
	v_mul_f64 v[40:41], v[26:27], v[5:6]
	v_mul_f64 v[5:6], v[24:25], v[5:6]
	v_add_f64 v[16:17], v[16:17], v[42:43]
	v_add_f64 v[14:15], v[14:15], v[44:45]
	s_waitcnt lgkmcnt(0)
	v_mul_f64 v[42:43], v[36:37], v[30:31]
	v_mul_f64 v[30:31], v[34:35], v[30:31]
	s_cmp_ge_i32 s9, s11
	v_addc_co_u32_e64 v13, s[0:1], v13, v23, s[0:1]
	v_fma_f64 v[40:41], v[24:25], v[3:4], -v[40:41]
	v_fma_f64 v[44:45], v[26:27], v[3:4], v[5:6]
	v_add_f64 v[38:39], v[16:17], v[38:39]
	v_add_f64 v[32:33], v[14:15], v[32:33]
	ds_read_b128 v[3:6], v20 offset:64
	ds_read_b128 v[14:17], v18 offset:1024
	v_fma_f64 v[34:35], v[34:35], v[28:29], -v[42:43]
	v_fma_f64 v[36:37], v[36:37], v[28:29], v[30:31]
	ds_read_b128 v[24:27], v20 offset:80
	ds_read_b128 v[28:31], v18 offset:1280
	s_waitcnt lgkmcnt(2)
	v_mul_f64 v[42:43], v[5:6], v[16:17]
	v_mul_f64 v[16:17], v[3:4], v[16:17]
	v_add_f64 v[38:39], v[38:39], v[40:41]
	v_add_f64 v[32:33], v[32:33], v[44:45]
	s_waitcnt lgkmcnt(0)
	v_mul_f64 v[40:41], v[26:27], v[30:31]
	v_mul_f64 v[30:31], v[24:25], v[30:31]
	v_fma_f64 v[42:43], v[3:4], v[14:15], -v[42:43]
	v_fma_f64 v[44:45], v[5:6], v[14:15], v[16:17]
	v_add_f64 v[34:35], v[38:39], v[34:35]
	v_add_f64 v[32:33], v[32:33], v[36:37]
	ds_read_b128 v[3:6], v20 offset:96
	ds_read_b128 v[14:17], v18 offset:1536
	v_fma_f64 v[36:37], v[24:25], v[28:29], -v[40:41]
	v_fma_f64 v[38:39], v[26:27], v[28:29], v[30:31]
	ds_read_b128 v[24:27], v20 offset:112
	ds_read_b128 v[28:31], v18 offset:1792
	s_waitcnt lgkmcnt(2)
	v_mul_f64 v[40:41], v[5:6], v[16:17]
	v_mul_f64 v[16:17], v[3:4], v[16:17]
	v_add_f64 v[34:35], v[34:35], v[42:43]
	v_add_f64 v[32:33], v[32:33], v[44:45]
	s_waitcnt lgkmcnt(0)
	v_mul_f64 v[42:43], v[26:27], v[30:31]
	v_mul_f64 v[30:31], v[24:25], v[30:31]
	;; [unrolled: 18-line block ×5, first 2 shown]
	v_fma_f64 v[42:43], v[3:4], v[14:15], -v[42:43]
	v_fma_f64 v[44:45], v[5:6], v[14:15], v[16:17]
	v_add_f64 v[34:35], v[34:35], v[36:37]
	v_add_f64 v[32:33], v[32:33], v[38:39]
	ds_read_b128 v[3:6], v20 offset:224
	ds_read_b128 v[14:17], v18 offset:3584
	v_fma_f64 v[36:37], v[24:25], v[28:29], -v[40:41]
	v_fma_f64 v[38:39], v[26:27], v[28:29], v[30:31]
	ds_read_b128 v[24:27], v20 offset:240
	ds_read_b128 v[28:31], v18 offset:3840
	s_waitcnt lgkmcnt(0)
	v_mul_f64 v[40:41], v[5:6], v[16:17]
	v_mul_f64 v[16:17], v[3:4], v[16:17]
	v_add_f64 v[34:35], v[34:35], v[42:43]
	v_add_f64 v[32:33], v[32:33], v[44:45]
	v_mul_f64 v[42:43], v[26:27], v[30:31]
	v_mul_f64 v[30:31], v[24:25], v[30:31]
	s_barrier
	v_fma_f64 v[3:4], v[3:4], v[14:15], -v[40:41]
	v_fma_f64 v[5:6], v[5:6], v[14:15], v[16:17]
	v_add_f64 v[14:15], v[34:35], v[36:37]
	v_add_f64 v[16:17], v[32:33], v[38:39]
	v_fma_f64 v[24:25], v[24:25], v[28:29], -v[42:43]
	v_fma_f64 v[26:27], v[26:27], v[28:29], v[30:31]
	v_add_f64 v[3:4], v[14:15], v[3:4]
	v_add_f64 v[5:6], v[16:17], v[5:6]
	;; [unrolled: 1-line block ×4, first 2 shown]
	s_cbranch_scc1 .LBB446_10
.LBB446_3:                              ; =>This Inner Loop Header: Depth=1
	v_add_u32_e32 v3, s9, v1
	v_cmp_le_i32_e64 s[0:1], s11, v3
	s_or_b64 s[0:1], s[12:13], s[0:1]
	s_and_saveexec_b64 s[24:25], s[0:1]
	s_xor_b64 s[0:1], exec, s[24:25]
; %bb.4:                                ;   in Loop: Header=BB446_3 Depth=1
	v_mov_b32_e32 v3, v2
	v_mov_b32_e32 v4, v2
	;; [unrolled: 1-line block ×3, first 2 shown]
	ds_write_b128 v19, v[2:5]
; %bb.5:                                ;   in Loop: Header=BB446_3 Depth=1
	s_andn2_saveexec_b64 s[0:1], s[0:1]
	s_cbranch_execz .LBB446_7
; %bb.6:                                ;   in Loop: Header=BB446_3 Depth=1
	global_load_dwordx4 v[3:6], v[12:13], off
	s_waitcnt vmcnt(0)
	ds_write2_b64 v19, v[3:4], v[5:6] offset1:1
.LBB446_7:                              ;   in Loop: Header=BB446_3 Depth=1
	s_or_b64 exec, exec, s[0:1]
	v_add_u32_e32 v3, s9, v0
	v_cmp_gt_i32_e64 s[0:1], s11, v3
	v_mov_b32_e32 v3, 0
	v_mov_b32_e32 v5, 0
	;; [unrolled: 1-line block ×4, first 2 shown]
	s_and_b64 s[24:25], vcc, s[0:1]
	s_and_saveexec_b64 s[0:1], s[24:25]
	s_cbranch_execz .LBB446_2
; %bb.8:                                ;   in Loop: Header=BB446_3 Depth=1
	global_load_dwordx4 v[3:6], v[10:11], off offset:-8
	s_waitcnt vmcnt(0)
	v_xor_b32_e32 v6, 0x80000000, v6
	s_branch .LBB446_2
.LBB446_9:
	v_mov_b32_e32 v14, 0
	v_mov_b32_e32 v16, 0
	;; [unrolled: 1-line block ×4, first 2 shown]
.LBB446_10:
	v_cmp_le_i32_e32 vcc, v7, v9
	v_cmp_gt_i32_e64 s[0:1], s10, v9
	s_and_b64 s[0:1], vcc, s[0:1]
	s_and_saveexec_b64 s[2:3], s[0:1]
	s_cbranch_execz .LBB446_12
; %bb.11:
	s_load_dwordx2 s[0:1], s[4:5], 0x68
	s_load_dword s2, s[4:5], 0x60
	v_mul_f64 v[10:11], s[20:21], v[14:15]
	v_mul_f64 v[14:15], s[22:23], v[14:15]
	s_waitcnt lgkmcnt(0)
	s_mul_i32 s1, s1, s8
	s_mul_hi_u32 s3, s0, s8
	s_add_i32 s1, s3, s1
	v_mad_i64_i32 v[0:1], s[2:3], s2, v9, 0
	s_mul_i32 s0, s0, s8
	s_lshl_b64 s[0:1], s[0:1], 4
	s_add_u32 s0, s18, s0
	v_lshlrev_b64 v[0:1], 4, v[0:1]
	s_addc_u32 s1, s19, s1
	v_mov_b32_e32 v2, s1
	v_add_co_u32_e32 v3, vcc, s0, v0
	v_addc_co_u32_e32 v2, vcc, v2, v1, vcc
	v_lshlrev_b64 v[0:1], 4, v[7:8]
	v_fma_f64 v[10:11], s[22:23], v[16:17], v[10:11]
	v_add_co_u32_e32 v4, vcc, v3, v0
	v_addc_co_u32_e32 v5, vcc, v2, v1, vcc
	global_load_dwordx4 v[0:3], v[4:5], off
	v_fma_f64 v[14:15], s[20:21], v[16:17], -v[14:15]
	v_cmp_ne_u32_e32 vcc, v7, v9
	s_waitcnt vmcnt(0)
	v_mul_f64 v[12:13], s[14:15], v[2:3]
	v_mul_f64 v[2:3], s[16:17], v[2:3]
	v_fma_f64 v[12:13], s[16:17], v[0:1], v[12:13]
	v_fma_f64 v[0:1], s[14:15], v[0:1], -v[2:3]
	v_add_f64 v[2:3], v[10:11], v[12:13]
	v_add_f64 v[0:1], v[14:15], v[0:1]
	v_cndmask_b32_e32 v3, 0, v3, vcc
	v_cndmask_b32_e32 v2, 0, v2, vcc
	global_store_dwordx4 v[4:5], v[0:3], off
.LBB446_12:
	s_endpgm
	.section	.rodata,"a",@progbits
	.p2align	6, 0x0
	.amdhsa_kernel _ZL32rocblas_syrkx_herkx_small_kernelIi19rocblas_complex_numIdELi16ELb0ELb1ELc78ELc85EKS1_S1_EviT_T0_PT6_S3_lS6_S3_lS4_PT7_S3_li
		.amdhsa_group_segment_fixed_size 8192
		.amdhsa_private_segment_fixed_size 0
		.amdhsa_kernarg_size 116
		.amdhsa_user_sgpr_count 6
		.amdhsa_user_sgpr_private_segment_buffer 1
		.amdhsa_user_sgpr_dispatch_ptr 0
		.amdhsa_user_sgpr_queue_ptr 0
		.amdhsa_user_sgpr_kernarg_segment_ptr 1
		.amdhsa_user_sgpr_dispatch_id 0
		.amdhsa_user_sgpr_flat_scratch_init 0
		.amdhsa_user_sgpr_private_segment_size 0
		.amdhsa_uses_dynamic_stack 0
		.amdhsa_system_sgpr_private_segment_wavefront_offset 0
		.amdhsa_system_sgpr_workgroup_id_x 1
		.amdhsa_system_sgpr_workgroup_id_y 1
		.amdhsa_system_sgpr_workgroup_id_z 1
		.amdhsa_system_sgpr_workgroup_info 0
		.amdhsa_system_vgpr_workitem_id 1
		.amdhsa_next_free_vgpr 46
		.amdhsa_next_free_sgpr 61
		.amdhsa_reserve_vcc 1
		.amdhsa_reserve_flat_scratch 0
		.amdhsa_float_round_mode_32 0
		.amdhsa_float_round_mode_16_64 0
		.amdhsa_float_denorm_mode_32 3
		.amdhsa_float_denorm_mode_16_64 3
		.amdhsa_dx10_clamp 1
		.amdhsa_ieee_mode 1
		.amdhsa_fp16_overflow 0
		.amdhsa_exception_fp_ieee_invalid_op 0
		.amdhsa_exception_fp_denorm_src 0
		.amdhsa_exception_fp_ieee_div_zero 0
		.amdhsa_exception_fp_ieee_overflow 0
		.amdhsa_exception_fp_ieee_underflow 0
		.amdhsa_exception_fp_ieee_inexact 0
		.amdhsa_exception_int_div_zero 0
	.end_amdhsa_kernel
	.section	.text._ZL32rocblas_syrkx_herkx_small_kernelIi19rocblas_complex_numIdELi16ELb0ELb1ELc78ELc85EKS1_S1_EviT_T0_PT6_S3_lS6_S3_lS4_PT7_S3_li,"axG",@progbits,_ZL32rocblas_syrkx_herkx_small_kernelIi19rocblas_complex_numIdELi16ELb0ELb1ELc78ELc85EKS1_S1_EviT_T0_PT6_S3_lS6_S3_lS4_PT7_S3_li,comdat
.Lfunc_end446:
	.size	_ZL32rocblas_syrkx_herkx_small_kernelIi19rocblas_complex_numIdELi16ELb0ELb1ELc78ELc85EKS1_S1_EviT_T0_PT6_S3_lS6_S3_lS4_PT7_S3_li, .Lfunc_end446-_ZL32rocblas_syrkx_herkx_small_kernelIi19rocblas_complex_numIdELi16ELb0ELb1ELc78ELc85EKS1_S1_EviT_T0_PT6_S3_lS6_S3_lS4_PT7_S3_li
                                        ; -- End function
	.set _ZL32rocblas_syrkx_herkx_small_kernelIi19rocblas_complex_numIdELi16ELb0ELb1ELc78ELc85EKS1_S1_EviT_T0_PT6_S3_lS6_S3_lS4_PT7_S3_li.num_vgpr, 46
	.set _ZL32rocblas_syrkx_herkx_small_kernelIi19rocblas_complex_numIdELi16ELb0ELb1ELc78ELc85EKS1_S1_EviT_T0_PT6_S3_lS6_S3_lS4_PT7_S3_li.num_agpr, 0
	.set _ZL32rocblas_syrkx_herkx_small_kernelIi19rocblas_complex_numIdELi16ELb0ELb1ELc78ELc85EKS1_S1_EviT_T0_PT6_S3_lS6_S3_lS4_PT7_S3_li.numbered_sgpr, 34
	.set _ZL32rocblas_syrkx_herkx_small_kernelIi19rocblas_complex_numIdELi16ELb0ELb1ELc78ELc85EKS1_S1_EviT_T0_PT6_S3_lS6_S3_lS4_PT7_S3_li.num_named_barrier, 0
	.set _ZL32rocblas_syrkx_herkx_small_kernelIi19rocblas_complex_numIdELi16ELb0ELb1ELc78ELc85EKS1_S1_EviT_T0_PT6_S3_lS6_S3_lS4_PT7_S3_li.private_seg_size, 0
	.set _ZL32rocblas_syrkx_herkx_small_kernelIi19rocblas_complex_numIdELi16ELb0ELb1ELc78ELc85EKS1_S1_EviT_T0_PT6_S3_lS6_S3_lS4_PT7_S3_li.uses_vcc, 1
	.set _ZL32rocblas_syrkx_herkx_small_kernelIi19rocblas_complex_numIdELi16ELb0ELb1ELc78ELc85EKS1_S1_EviT_T0_PT6_S3_lS6_S3_lS4_PT7_S3_li.uses_flat_scratch, 0
	.set _ZL32rocblas_syrkx_herkx_small_kernelIi19rocblas_complex_numIdELi16ELb0ELb1ELc78ELc85EKS1_S1_EviT_T0_PT6_S3_lS6_S3_lS4_PT7_S3_li.has_dyn_sized_stack, 0
	.set _ZL32rocblas_syrkx_herkx_small_kernelIi19rocblas_complex_numIdELi16ELb0ELb1ELc78ELc85EKS1_S1_EviT_T0_PT6_S3_lS6_S3_lS4_PT7_S3_li.has_recursion, 0
	.set _ZL32rocblas_syrkx_herkx_small_kernelIi19rocblas_complex_numIdELi16ELb0ELb1ELc78ELc85EKS1_S1_EviT_T0_PT6_S3_lS6_S3_lS4_PT7_S3_li.has_indirect_call, 0
	.section	.AMDGPU.csdata,"",@progbits
; Kernel info:
; codeLenInByte = 1944
; TotalNumSgprs: 38
; NumVgprs: 46
; ScratchSize: 0
; MemoryBound: 1
; FloatMode: 240
; IeeeMode: 1
; LDSByteSize: 8192 bytes/workgroup (compile time only)
; SGPRBlocks: 8
; VGPRBlocks: 11
; NumSGPRsForWavesPerEU: 65
; NumVGPRsForWavesPerEU: 46
; Occupancy: 5
; WaveLimiterHint : 0
; COMPUTE_PGM_RSRC2:SCRATCH_EN: 0
; COMPUTE_PGM_RSRC2:USER_SGPR: 6
; COMPUTE_PGM_RSRC2:TRAP_HANDLER: 0
; COMPUTE_PGM_RSRC2:TGID_X_EN: 1
; COMPUTE_PGM_RSRC2:TGID_Y_EN: 1
; COMPUTE_PGM_RSRC2:TGID_Z_EN: 1
; COMPUTE_PGM_RSRC2:TIDIG_COMP_CNT: 1
	.section	.text._ZL34rocblas_syrkx_herkx_general_kernelIi19rocblas_complex_numIdELi16ELi32ELi8ELb1ELb1ELc84ELc76EKS1_S1_EviT_T0_PT8_S3_lS6_S3_lS4_PT9_S3_li,"axG",@progbits,_ZL34rocblas_syrkx_herkx_general_kernelIi19rocblas_complex_numIdELi16ELi32ELi8ELb1ELb1ELc84ELc76EKS1_S1_EviT_T0_PT8_S3_lS6_S3_lS4_PT9_S3_li,comdat
	.globl	_ZL34rocblas_syrkx_herkx_general_kernelIi19rocblas_complex_numIdELi16ELi32ELi8ELb1ELb1ELc84ELc76EKS1_S1_EviT_T0_PT8_S3_lS6_S3_lS4_PT9_S3_li ; -- Begin function _ZL34rocblas_syrkx_herkx_general_kernelIi19rocblas_complex_numIdELi16ELi32ELi8ELb1ELb1ELc84ELc76EKS1_S1_EviT_T0_PT8_S3_lS6_S3_lS4_PT9_S3_li
	.p2align	8
	.type	_ZL34rocblas_syrkx_herkx_general_kernelIi19rocblas_complex_numIdELi16ELi32ELi8ELb1ELb1ELc84ELc76EKS1_S1_EviT_T0_PT8_S3_lS6_S3_lS4_PT9_S3_li,@function
_ZL34rocblas_syrkx_herkx_general_kernelIi19rocblas_complex_numIdELi16ELi32ELi8ELb1ELb1ELc84ELc76EKS1_S1_EviT_T0_PT8_S3_lS6_S3_lS4_PT9_S3_li: ; @_ZL34rocblas_syrkx_herkx_general_kernelIi19rocblas_complex_numIdELi16ELi32ELi8ELb1ELb1ELc84ELc76EKS1_S1_EviT_T0_PT8_S3_lS6_S3_lS4_PT9_S3_li
; %bb.0:
	s_load_dwordx2 s[10:11], s[4:5], 0x0
	s_load_dwordx4 s[12:15], s[4:5], 0x8
	s_load_dwordx2 s[20:21], s[4:5], 0x18
	s_lshl_b32 s9, s6, 5
	s_lshl_b32 s22, s7, 5
	s_waitcnt lgkmcnt(0)
	s_cmp_lt_i32 s11, 1
	s_mov_b32 s23, 0
	s_cbranch_scc1 .LBB447_11
; %bb.1:
	v_lshl_add_u32 v2, v1, 4, v0
	v_lshrrev_b32_e32 v27, 5, v2
	v_lshrrev_b32_e32 v3, 3, v2
	v_and_b32_e32 v2, 31, v2
	v_or_b32_e32 v5, s9, v2
	v_and_b32_e32 v26, 7, v0
	v_cmp_gt_i32_e32 vcc, s10, v5
	v_lshlrev_b32_e32 v5, 4, v2
	s_load_dword s2, s[4:5], 0x20
	s_load_dwordx4 s[16:19], s[4:5], 0x28
	s_load_dword s24, s[4:5], 0x38
	s_load_dwordx2 s[6:7], s[4:5], 0x40
	v_lshl_or_b32 v28, v27, 9, v5
	v_lshlrev_b32_e32 v5, 4, v26
	v_add_u32_e32 v4, s22, v3
	v_lshl_or_b32 v3, v3, 7, v5
	v_add_u32_e32 v2, s9, v2
	v_add_u32_e32 v29, 0x1000, v3
	s_waitcnt lgkmcnt(0)
	v_mad_i64_i32 v[2:3], s[2:3], s2, v2, 0
	s_mul_i32 s2, s17, s8
	s_mul_hi_u32 s3, s16, s8
	v_lshlrev_b64 v[2:3], 4, v[2:3]
	s_add_i32 s3, s3, s2
	s_mul_i32 s2, s16, s8
	v_mov_b32_e32 v6, 0x1000
	s_lshl_b64 s[2:3], s[2:3], 4
	v_lshl_add_u32 v31, v1, 7, v6
	v_mov_b32_e32 v6, s3
	v_add_co_u32_e64 v2, s[2:3], s2, v2
	v_addc_co_u32_e64 v3, s[2:3], v3, v6, s[2:3]
	v_lshlrev_b32_e32 v6, 4, v27
	v_add_co_u32_e64 v6, s[2:3], v2, v6
	v_addc_co_u32_e64 v7, s[2:3], 0, v3, s[2:3]
	v_mad_i64_i32 v[2:3], s[2:3], s24, v4, 0
	v_mov_b32_e32 v8, s21
	v_add_co_u32_e64 v6, s[2:3], s20, v6
	v_addc_co_u32_e64 v7, s[2:3], v8, v7, s[2:3]
	s_mul_i32 s2, s7, s8
	s_mul_hi_u32 s3, s6, s8
	v_lshlrev_b64 v[2:3], 4, v[2:3]
	s_add_i32 s3, s3, s2
	s_mul_i32 s2, s6, s8
	s_lshl_b64 s[2:3], s[2:3], 4
	v_cmp_gt_i32_e64 s[0:1], s10, v4
	v_mov_b32_e32 v4, s3
	v_add_co_u32_e64 v2, s[2:3], s2, v2
	v_addc_co_u32_e64 v3, s[2:3], v3, v4, s[2:3]
	v_add_co_u32_e64 v2, s[2:3], v2, v5
	v_addc_co_u32_e64 v3, s[2:3], 0, v3, s[2:3]
	v_mov_b32_e32 v4, s19
	v_add_co_u32_e64 v8, s[2:3], s18, v2
	v_addc_co_u32_e64 v9, s[2:3], v4, v3, s[2:3]
	v_mov_b32_e32 v24, 0
	v_mov_b32_e32 v22, 0
	;; [unrolled: 1-line block ×8, first 2 shown]
	v_lshlrev_b32_e32 v30, 4, v0
	v_mov_b32_e32 v25, 0
	s_xor_b64 s[2:3], vcc, -1
	s_xor_b64 s[0:1], s[0:1], -1
	v_mov_b32_e32 v23, 0
	v_mov_b32_e32 v17, 0
	;; [unrolled: 1-line block ×8, first 2 shown]
	s_branch .LBB447_3
.LBB447_2:                              ;   in Loop: Header=BB447_3 Depth=1
	s_or_b64 exec, exec, s[6:7]
	s_waitcnt lgkmcnt(0)
	s_barrier
	ds_read_b128 v[32:35], v31
	ds_read_b128 v[36:39], v31 offset:16
	ds_read_b128 v[40:43], v31 offset:32
	;; [unrolled: 1-line block ×3, first 2 shown]
	ds_read_b128 v[48:51], v30
	v_add_co_u32_e32 v6, vcc, 0x80, v6
	v_addc_co_u32_e32 v7, vcc, 0, v7, vcc
	s_waitcnt lgkmcnt(0)
	v_mul_f64 v[3:4], v[34:35], v[50:51]
	v_mul_f64 v[52:53], v[32:33], v[50:51]
	s_add_i32 s23, s23, 8
	v_add_co_u32_e32 v8, vcc, 0x80, v8
	v_addc_co_u32_e32 v9, vcc, 0, v9, vcc
	s_cmp_ge_i32 s23, s11
	v_fma_f64 v[3:4], v[32:33], v[48:49], -v[3:4]
	v_fma_f64 v[52:53], v[34:35], v[48:49], v[52:53]
	v_add_f64 v[3:4], v[18:19], v[3:4]
	v_add_f64 v[52:53], v[52:53], v[20:21]
	ds_read_b128 v[18:21], v30 offset:256
	s_waitcnt lgkmcnt(0)
	v_mul_f64 v[54:55], v[34:35], v[20:21]
	v_fma_f64 v[54:55], v[32:33], v[18:19], -v[54:55]
	v_mul_f64 v[32:33], v[32:33], v[20:21]
	v_fma_f64 v[32:33], v[34:35], v[18:19], v[32:33]
	v_add_f64 v[34:35], v[10:11], v[54:55]
	v_add_f64 v[32:33], v[32:33], v[12:13]
	ds_read_b128 v[10:13], v31 offset:2048
	s_waitcnt lgkmcnt(0)
	v_mul_f64 v[54:55], v[12:13], v[50:51]
	v_mul_f64 v[50:51], v[10:11], v[50:51]
	v_fma_f64 v[54:55], v[10:11], v[48:49], -v[54:55]
	v_fma_f64 v[48:49], v[12:13], v[48:49], v[50:51]
	v_add_f64 v[50:51], v[14:15], v[54:55]
	v_mul_f64 v[14:15], v[12:13], v[20:21]
	v_add_f64 v[48:49], v[48:49], v[16:17]
	v_fma_f64 v[14:15], v[10:11], v[18:19], -v[14:15]
	v_mul_f64 v[10:11], v[10:11], v[20:21]
	v_add_f64 v[22:23], v[22:23], v[14:15]
	v_fma_f64 v[10:11], v[12:13], v[18:19], v[10:11]
	v_add_f64 v[24:25], v[10:11], v[24:25]
	ds_read_b128 v[10:13], v30 offset:512
	s_waitcnt lgkmcnt(0)
	v_mul_f64 v[14:15], v[38:39], v[12:13]
	v_mul_f64 v[16:17], v[36:37], v[12:13]
	v_fma_f64 v[14:15], v[36:37], v[10:11], -v[14:15]
	v_fma_f64 v[16:17], v[38:39], v[10:11], v[16:17]
	v_add_f64 v[3:4], v[3:4], v[14:15]
	v_add_f64 v[52:53], v[16:17], v[52:53]
	ds_read_b128 v[14:17], v30 offset:768
	s_waitcnt lgkmcnt(0)
	v_mul_f64 v[18:19], v[38:39], v[16:17]
	v_mul_f64 v[20:21], v[36:37], v[16:17]
	v_fma_f64 v[18:19], v[36:37], v[14:15], -v[18:19]
	v_fma_f64 v[20:21], v[38:39], v[14:15], v[20:21]
	v_add_f64 v[34:35], v[34:35], v[18:19]
	v_add_f64 v[32:33], v[20:21], v[32:33]
	ds_read_b128 v[18:21], v31 offset:2064
	s_waitcnt lgkmcnt(0)
	v_mul_f64 v[36:37], v[20:21], v[12:13]
	v_mul_f64 v[12:13], v[18:19], v[12:13]
	v_fma_f64 v[36:37], v[18:19], v[10:11], -v[36:37]
	v_fma_f64 v[10:11], v[20:21], v[10:11], v[12:13]
	v_mul_f64 v[12:13], v[18:19], v[16:17]
	v_add_f64 v[36:37], v[50:51], v[36:37]
	v_add_f64 v[38:39], v[10:11], v[48:49]
	v_mul_f64 v[10:11], v[20:21], v[16:17]
	v_fma_f64 v[12:13], v[20:21], v[14:15], v[12:13]
	v_fma_f64 v[10:11], v[18:19], v[14:15], -v[10:11]
	v_add_f64 v[24:25], v[12:13], v[24:25]
	v_add_f64 v[22:23], v[22:23], v[10:11]
	ds_read_b128 v[10:13], v30 offset:1024
	s_waitcnt lgkmcnt(0)
	v_mul_f64 v[14:15], v[42:43], v[12:13]
	v_mul_f64 v[16:17], v[40:41], v[12:13]
	v_fma_f64 v[14:15], v[40:41], v[10:11], -v[14:15]
	v_fma_f64 v[16:17], v[42:43], v[10:11], v[16:17]
	v_add_f64 v[3:4], v[3:4], v[14:15]
	v_add_f64 v[48:49], v[16:17], v[52:53]
	ds_read_b128 v[14:17], v30 offset:1280
	s_waitcnt lgkmcnt(0)
	v_mul_f64 v[18:19], v[42:43], v[16:17]
	v_mul_f64 v[20:21], v[40:41], v[16:17]
	v_fma_f64 v[18:19], v[40:41], v[14:15], -v[18:19]
	v_fma_f64 v[20:21], v[42:43], v[14:15], v[20:21]
	v_add_f64 v[34:35], v[34:35], v[18:19]
	v_add_f64 v[32:33], v[20:21], v[32:33]
	ds_read_b128 v[18:21], v31 offset:2080
	s_waitcnt lgkmcnt(0)
	v_mul_f64 v[40:41], v[20:21], v[12:13]
	v_mul_f64 v[12:13], v[18:19], v[12:13]
	v_fma_f64 v[40:41], v[18:19], v[10:11], -v[40:41]
	v_fma_f64 v[10:11], v[20:21], v[10:11], v[12:13]
	v_mul_f64 v[12:13], v[18:19], v[16:17]
	v_add_f64 v[36:37], v[36:37], v[40:41]
	v_add_f64 v[38:39], v[10:11], v[38:39]
	v_mul_f64 v[10:11], v[20:21], v[16:17]
	v_fma_f64 v[12:13], v[20:21], v[14:15], v[12:13]
	v_fma_f64 v[10:11], v[18:19], v[14:15], -v[10:11]
	v_add_f64 v[24:25], v[12:13], v[24:25]
	;; [unrolled: 30-line block ×3, first 2 shown]
	v_add_f64 v[22:23], v[22:23], v[10:11]
	ds_read_b128 v[10:13], v31 offset:64
	ds_read_b128 v[14:17], v30 offset:2048
	s_waitcnt lgkmcnt(0)
	v_mul_f64 v[18:19], v[12:13], v[16:17]
	v_mul_f64 v[20:21], v[10:11], v[16:17]
	v_fma_f64 v[18:19], v[10:11], v[14:15], -v[18:19]
	v_fma_f64 v[20:21], v[12:13], v[14:15], v[20:21]
	v_add_f64 v[3:4], v[3:4], v[18:19]
	v_add_f64 v[40:41], v[20:21], v[40:41]
	ds_read_b128 v[18:21], v30 offset:2304
	s_waitcnt lgkmcnt(0)
	v_mul_f64 v[42:43], v[12:13], v[20:21]
	v_fma_f64 v[42:43], v[10:11], v[18:19], -v[42:43]
	v_mul_f64 v[10:11], v[10:11], v[20:21]
	v_add_f64 v[34:35], v[34:35], v[42:43]
	v_fma_f64 v[10:11], v[12:13], v[18:19], v[10:11]
	v_add_f64 v[32:33], v[10:11], v[32:33]
	ds_read_b128 v[10:13], v31 offset:2112
	s_waitcnt lgkmcnt(0)
	v_mul_f64 v[42:43], v[12:13], v[16:17]
	v_mul_f64 v[16:17], v[10:11], v[16:17]
	v_fma_f64 v[42:43], v[10:11], v[14:15], -v[42:43]
	v_fma_f64 v[14:15], v[12:13], v[14:15], v[16:17]
	v_add_f64 v[36:37], v[36:37], v[42:43]
	v_add_f64 v[38:39], v[14:15], v[38:39]
	v_mul_f64 v[14:15], v[12:13], v[20:21]
	v_fma_f64 v[14:15], v[10:11], v[18:19], -v[14:15]
	v_mul_f64 v[10:11], v[10:11], v[20:21]
	v_add_f64 v[22:23], v[22:23], v[14:15]
	v_fma_f64 v[10:11], v[12:13], v[18:19], v[10:11]
	v_add_f64 v[24:25], v[10:11], v[24:25]
	ds_read_b128 v[10:13], v31 offset:80
	ds_read_b128 v[14:17], v30 offset:2560
	s_waitcnt lgkmcnt(0)
	v_mul_f64 v[18:19], v[12:13], v[16:17]
	v_mul_f64 v[20:21], v[10:11], v[16:17]
	v_fma_f64 v[18:19], v[10:11], v[14:15], -v[18:19]
	v_fma_f64 v[20:21], v[12:13], v[14:15], v[20:21]
	v_add_f64 v[3:4], v[3:4], v[18:19]
	v_add_f64 v[40:41], v[20:21], v[40:41]
	ds_read_b128 v[18:21], v30 offset:2816
	s_waitcnt lgkmcnt(0)
	v_mul_f64 v[42:43], v[12:13], v[20:21]
	v_fma_f64 v[42:43], v[10:11], v[18:19], -v[42:43]
	v_mul_f64 v[10:11], v[10:11], v[20:21]
	v_add_f64 v[34:35], v[34:35], v[42:43]
	v_fma_f64 v[10:11], v[12:13], v[18:19], v[10:11]
	v_add_f64 v[32:33], v[10:11], v[32:33]
	ds_read_b128 v[10:13], v31 offset:2128
	s_waitcnt lgkmcnt(0)
	v_mul_f64 v[42:43], v[12:13], v[16:17]
	v_mul_f64 v[16:17], v[10:11], v[16:17]
	v_fma_f64 v[42:43], v[10:11], v[14:15], -v[42:43]
	v_fma_f64 v[14:15], v[12:13], v[14:15], v[16:17]
	v_add_f64 v[36:37], v[36:37], v[42:43]
	v_add_f64 v[38:39], v[14:15], v[38:39]
	v_mul_f64 v[14:15], v[12:13], v[20:21]
	v_fma_f64 v[14:15], v[10:11], v[18:19], -v[14:15]
	v_mul_f64 v[10:11], v[10:11], v[20:21]
	v_add_f64 v[22:23], v[22:23], v[14:15]
	v_fma_f64 v[10:11], v[12:13], v[18:19], v[10:11]
	;; [unrolled: 31-line block ×3, first 2 shown]
	v_add_f64 v[44:45], v[10:11], v[24:25]
	ds_read_b128 v[10:13], v31 offset:112
	ds_read_b128 v[14:17], v30 offset:3584
	;; [unrolled: 1-line block ×3, first 2 shown]
	s_waitcnt lgkmcnt(1)
	v_mul_f64 v[18:19], v[12:13], v[16:17]
	v_mul_f64 v[20:21], v[10:11], v[16:17]
	v_fma_f64 v[18:19], v[10:11], v[14:15], -v[18:19]
	v_fma_f64 v[20:21], v[12:13], v[14:15], v[20:21]
	v_add_f64 v[18:19], v[3:4], v[18:19]
	s_waitcnt lgkmcnt(0)
	v_mul_f64 v[3:4], v[12:13], v[24:25]
	v_add_f64 v[20:21], v[20:21], v[40:41]
	v_fma_f64 v[3:4], v[10:11], v[22:23], -v[3:4]
	v_mul_f64 v[10:11], v[10:11], v[24:25]
	v_fma_f64 v[12:13], v[12:13], v[22:23], v[10:11]
	v_add_f64 v[10:11], v[34:35], v[3:4]
	v_add_f64 v[12:13], v[12:13], v[32:33]
	ds_read_b128 v[32:35], v31 offset:2160
	s_waitcnt lgkmcnt(0)
	s_barrier
	v_mul_f64 v[3:4], v[34:35], v[16:17]
	v_mul_f64 v[16:17], v[32:33], v[16:17]
	v_fma_f64 v[3:4], v[32:33], v[14:15], -v[3:4]
	v_fma_f64 v[16:17], v[34:35], v[14:15], v[16:17]
	v_add_f64 v[14:15], v[36:37], v[3:4]
	v_mul_f64 v[3:4], v[34:35], v[24:25]
	v_mul_f64 v[24:25], v[32:33], v[24:25]
	v_add_f64 v[16:17], v[16:17], v[38:39]
	v_fma_f64 v[3:4], v[32:33], v[22:23], -v[3:4]
	v_fma_f64 v[24:25], v[34:35], v[22:23], v[24:25]
	v_add_f64 v[22:23], v[42:43], v[3:4]
	v_add_f64 v[24:25], v[24:25], v[44:45]
	s_cbranch_scc1 .LBB447_12
.LBB447_3:                              ; =>This Inner Loop Header: Depth=1
	v_add_u32_e32 v3, s23, v27
	v_cmp_le_i32_e32 vcc, s11, v3
	s_or_b64 s[6:7], s[2:3], vcc
	s_and_saveexec_b64 s[16:17], s[6:7]
	s_xor_b64 s[6:7], exec, s[16:17]
; %bb.4:                                ;   in Loop: Header=BB447_3 Depth=1
	v_mov_b32_e32 v3, v2
	v_mov_b32_e32 v4, v2
	;; [unrolled: 1-line block ×3, first 2 shown]
	ds_write_b128 v28, v[2:5]
; %bb.5:                                ;   in Loop: Header=BB447_3 Depth=1
	s_andn2_saveexec_b64 s[6:7], s[6:7]
	s_cbranch_execz .LBB447_7
; %bb.6:                                ;   in Loop: Header=BB447_3 Depth=1
	global_load_dwordx4 v[32:35], v[6:7], off
	s_waitcnt vmcnt(0)
	ds_write2_b64 v28, v[32:33], v[34:35] offset1:1
.LBB447_7:                              ;   in Loop: Header=BB447_3 Depth=1
	s_or_b64 exec, exec, s[6:7]
	v_add_u32_e32 v3, s23, v26
	v_cmp_le_i32_e32 vcc, s11, v3
	s_or_b64 s[6:7], vcc, s[0:1]
	s_and_saveexec_b64 s[16:17], s[6:7]
	s_xor_b64 s[6:7], exec, s[16:17]
; %bb.8:                                ;   in Loop: Header=BB447_3 Depth=1
	v_mov_b32_e32 v3, v2
	v_mov_b32_e32 v4, v2
	;; [unrolled: 1-line block ×3, first 2 shown]
	ds_write_b128 v29, v[2:5]
; %bb.9:                                ;   in Loop: Header=BB447_3 Depth=1
	s_andn2_saveexec_b64 s[6:7], s[6:7]
	s_cbranch_execz .LBB447_2
; %bb.10:                               ;   in Loop: Header=BB447_3 Depth=1
	global_load_dwordx4 v[32:35], v[8:9], off
	s_waitcnt vmcnt(0)
	ds_write2_b64 v29, v[32:33], v[34:35] offset1:1
	s_branch .LBB447_2
.LBB447_11:
	v_mov_b32_e32 v18, 0
	v_mov_b32_e32 v20, 0
	;; [unrolled: 1-line block ×16, first 2 shown]
.LBB447_12:
	s_load_dwordx2 s[0:1], s[4:5], 0x68
	s_load_dwordx2 s[2:3], s[4:5], 0x58
	s_load_dword s6, s[4:5], 0x60
	v_add_u32_e32 v4, s22, v1
	v_add_u32_e32 v0, s9, v0
	s_waitcnt lgkmcnt(0)
	s_mul_i32 s1, s1, s8
	s_mul_hi_u32 s4, s0, s8
	s_add_i32 s1, s4, s1
	v_mad_i64_i32 v[1:2], s[4:5], v4, s6, 0
	s_mul_i32 s0, s0, s8
	s_lshl_b64 s[0:1], s[0:1], 4
	s_add_u32 s7, s2, s0
	v_lshlrev_b64 v[1:2], 4, v[1:2]
	s_addc_u32 s8, s3, s1
	v_mov_b32_e32 v3, s8
	v_add_co_u32_e32 v5, vcc, s7, v1
	v_addc_co_u32_e32 v6, vcc, v3, v2, vcc
	v_cmp_le_i32_e64 s[0:1], v4, v0
	v_cmp_gt_i32_e32 vcc, s10, v0
	s_and_b64 s[0:1], s[0:1], vcc
	s_and_saveexec_b64 s[2:3], s[0:1]
	s_cbranch_execz .LBB447_14
; %bb.13:
	v_mul_f64 v[2:3], s[12:13], v[20:21]
	v_mul_f64 v[7:8], s[14:15], v[20:21]
	v_ashrrev_i32_e32 v1, 31, v0
	v_lshlrev_b64 v[20:21], 4, v[0:1]
	v_fma_f64 v[2:3], s[14:15], v[18:19], v[2:3]
	v_fma_f64 v[18:19], s[12:13], v[18:19], -v[7:8]
	v_add_co_u32_e64 v7, s[0:1], v5, v20
	v_addc_co_u32_e64 v8, s[0:1], v6, v21, s[0:1]
	v_cmp_ne_u32_e64 s[0:1], v4, v0
	v_cndmask_b32_e64 v21, 0, v3, s[0:1]
	v_cndmask_b32_e64 v20, 0, v2, s[0:1]
	global_store_dwordx4 v[7:8], v[18:21], off
.LBB447_14:
	s_or_b64 exec, exec, s[2:3]
	v_add_u32_e32 v2, 16, v0
	v_cmp_le_i32_e64 s[2:3], v4, v2
	v_cmp_gt_i32_e64 s[0:1], s10, v2
	s_and_b64 s[2:3], s[2:3], s[0:1]
	s_and_saveexec_b64 s[4:5], s[2:3]
	s_cbranch_execz .LBB447_16
; %bb.15:
	v_mul_f64 v[7:8], s[12:13], v[12:13]
	v_mul_f64 v[12:13], s[14:15], v[12:13]
	v_ashrrev_i32_e32 v3, 31, v2
	v_lshlrev_b64 v[20:21], 4, v[2:3]
	v_add_co_u32_e64 v5, s[2:3], v5, v20
	v_addc_co_u32_e64 v6, s[2:3], v6, v21, s[2:3]
	v_fma_f64 v[18:19], s[14:15], v[10:11], v[7:8]
	v_fma_f64 v[7:8], s[12:13], v[10:11], -v[12:13]
	v_cmp_ne_u32_e64 s[2:3], v4, v2
	v_cndmask_b32_e64 v10, 0, v19, s[2:3]
	v_cndmask_b32_e64 v9, 0, v18, s[2:3]
	global_store_dwordx4 v[5:6], v[7:10], off
.LBB447_16:
	s_or_b64 exec, exec, s[4:5]
	v_add_u32_e32 v3, 16, v4
	v_mad_i64_i32 v[5:6], s[2:3], v3, s6, 0
	v_mov_b32_e32 v1, s8
	v_lshlrev_b64 v[5:6], 4, v[5:6]
	v_add_co_u32_e64 v5, s[2:3], s7, v5
	v_addc_co_u32_e64 v6, s[2:3], v1, v6, s[2:3]
	v_cmp_le_i32_e64 s[2:3], v3, v0
	s_and_b64 s[4:5], s[2:3], vcc
	s_and_saveexec_b64 s[2:3], s[4:5]
	s_cbranch_execz .LBB447_18
; %bb.17:
	v_mul_f64 v[7:8], s[12:13], v[16:17]
	v_mul_f64 v[9:10], s[14:15], v[16:17]
	v_ashrrev_i32_e32 v1, 31, v0
	v_lshlrev_b64 v[16:17], 4, v[0:1]
	v_add_co_u32_e32 v13, vcc, v5, v16
	v_fma_f64 v[11:12], s[14:15], v[14:15], v[7:8]
	v_fma_f64 v[7:8], s[12:13], v[14:15], -v[9:10]
	v_addc_co_u32_e32 v14, vcc, v6, v17, vcc
	v_cmp_ne_u32_e32 vcc, v3, v0
	v_cndmask_b32_e32 v10, 0, v12, vcc
	v_cndmask_b32_e32 v9, 0, v11, vcc
	global_store_dwordx4 v[13:14], v[7:10], off
.LBB447_18:
	s_or_b64 exec, exec, s[2:3]
	v_cmp_le_i32_e32 vcc, v3, v2
	s_and_b64 s[0:1], vcc, s[0:1]
	s_and_saveexec_b64 s[2:3], s[0:1]
	s_cbranch_execz .LBB447_20
; %bb.19:
	v_mul_f64 v[7:8], s[12:13], v[24:25]
	v_mul_f64 v[9:10], s[14:15], v[24:25]
	v_ashrrev_i32_e32 v3, 31, v2
	v_lshlrev_b64 v[11:12], 4, v[2:3]
	v_add_co_u32_e32 v5, vcc, v5, v11
	v_addc_co_u32_e32 v6, vcc, v6, v12, vcc
	v_fma_f64 v[7:8], s[14:15], v[22:23], v[7:8]
	v_fma_f64 v[1:2], s[12:13], v[22:23], -v[9:10]
	v_cmp_ne_u32_e32 vcc, v4, v0
	v_cndmask_b32_e32 v4, 0, v8, vcc
	v_cndmask_b32_e32 v3, 0, v7, vcc
	global_store_dwordx4 v[5:6], v[1:4], off
.LBB447_20:
	s_endpgm
	.section	.rodata,"a",@progbits
	.p2align	6, 0x0
	.amdhsa_kernel _ZL34rocblas_syrkx_herkx_general_kernelIi19rocblas_complex_numIdELi16ELi32ELi8ELb1ELb1ELc84ELc76EKS1_S1_EviT_T0_PT8_S3_lS6_S3_lS4_PT9_S3_li
		.amdhsa_group_segment_fixed_size 8192
		.amdhsa_private_segment_fixed_size 0
		.amdhsa_kernarg_size 116
		.amdhsa_user_sgpr_count 6
		.amdhsa_user_sgpr_private_segment_buffer 1
		.amdhsa_user_sgpr_dispatch_ptr 0
		.amdhsa_user_sgpr_queue_ptr 0
		.amdhsa_user_sgpr_kernarg_segment_ptr 1
		.amdhsa_user_sgpr_dispatch_id 0
		.amdhsa_user_sgpr_flat_scratch_init 0
		.amdhsa_user_sgpr_private_segment_size 0
		.amdhsa_uses_dynamic_stack 0
		.amdhsa_system_sgpr_private_segment_wavefront_offset 0
		.amdhsa_system_sgpr_workgroup_id_x 1
		.amdhsa_system_sgpr_workgroup_id_y 1
		.amdhsa_system_sgpr_workgroup_id_z 1
		.amdhsa_system_sgpr_workgroup_info 0
		.amdhsa_system_vgpr_workitem_id 1
		.amdhsa_next_free_vgpr 56
		.amdhsa_next_free_sgpr 61
		.amdhsa_reserve_vcc 1
		.amdhsa_reserve_flat_scratch 0
		.amdhsa_float_round_mode_32 0
		.amdhsa_float_round_mode_16_64 0
		.amdhsa_float_denorm_mode_32 3
		.amdhsa_float_denorm_mode_16_64 3
		.amdhsa_dx10_clamp 1
		.amdhsa_ieee_mode 1
		.amdhsa_fp16_overflow 0
		.amdhsa_exception_fp_ieee_invalid_op 0
		.amdhsa_exception_fp_denorm_src 0
		.amdhsa_exception_fp_ieee_div_zero 0
		.amdhsa_exception_fp_ieee_overflow 0
		.amdhsa_exception_fp_ieee_underflow 0
		.amdhsa_exception_fp_ieee_inexact 0
		.amdhsa_exception_int_div_zero 0
	.end_amdhsa_kernel
	.section	.text._ZL34rocblas_syrkx_herkx_general_kernelIi19rocblas_complex_numIdELi16ELi32ELi8ELb1ELb1ELc84ELc76EKS1_S1_EviT_T0_PT8_S3_lS6_S3_lS4_PT9_S3_li,"axG",@progbits,_ZL34rocblas_syrkx_herkx_general_kernelIi19rocblas_complex_numIdELi16ELi32ELi8ELb1ELb1ELc84ELc76EKS1_S1_EviT_T0_PT8_S3_lS6_S3_lS4_PT9_S3_li,comdat
.Lfunc_end447:
	.size	_ZL34rocblas_syrkx_herkx_general_kernelIi19rocblas_complex_numIdELi16ELi32ELi8ELb1ELb1ELc84ELc76EKS1_S1_EviT_T0_PT8_S3_lS6_S3_lS4_PT9_S3_li, .Lfunc_end447-_ZL34rocblas_syrkx_herkx_general_kernelIi19rocblas_complex_numIdELi16ELi32ELi8ELb1ELb1ELc84ELc76EKS1_S1_EviT_T0_PT8_S3_lS6_S3_lS4_PT9_S3_li
                                        ; -- End function
	.set _ZL34rocblas_syrkx_herkx_general_kernelIi19rocblas_complex_numIdELi16ELi32ELi8ELb1ELb1ELc84ELc76EKS1_S1_EviT_T0_PT8_S3_lS6_S3_lS4_PT9_S3_li.num_vgpr, 56
	.set _ZL34rocblas_syrkx_herkx_general_kernelIi19rocblas_complex_numIdELi16ELi32ELi8ELb1ELb1ELc84ELc76EKS1_S1_EviT_T0_PT8_S3_lS6_S3_lS4_PT9_S3_li.num_agpr, 0
	.set _ZL34rocblas_syrkx_herkx_general_kernelIi19rocblas_complex_numIdELi16ELi32ELi8ELb1ELb1ELc84ELc76EKS1_S1_EviT_T0_PT8_S3_lS6_S3_lS4_PT9_S3_li.numbered_sgpr, 25
	.set _ZL34rocblas_syrkx_herkx_general_kernelIi19rocblas_complex_numIdELi16ELi32ELi8ELb1ELb1ELc84ELc76EKS1_S1_EviT_T0_PT8_S3_lS6_S3_lS4_PT9_S3_li.num_named_barrier, 0
	.set _ZL34rocblas_syrkx_herkx_general_kernelIi19rocblas_complex_numIdELi16ELi32ELi8ELb1ELb1ELc84ELc76EKS1_S1_EviT_T0_PT8_S3_lS6_S3_lS4_PT9_S3_li.private_seg_size, 0
	.set _ZL34rocblas_syrkx_herkx_general_kernelIi19rocblas_complex_numIdELi16ELi32ELi8ELb1ELb1ELc84ELc76EKS1_S1_EviT_T0_PT8_S3_lS6_S3_lS4_PT9_S3_li.uses_vcc, 1
	.set _ZL34rocblas_syrkx_herkx_general_kernelIi19rocblas_complex_numIdELi16ELi32ELi8ELb1ELb1ELc84ELc76EKS1_S1_EviT_T0_PT8_S3_lS6_S3_lS4_PT9_S3_li.uses_flat_scratch, 0
	.set _ZL34rocblas_syrkx_herkx_general_kernelIi19rocblas_complex_numIdELi16ELi32ELi8ELb1ELb1ELc84ELc76EKS1_S1_EviT_T0_PT8_S3_lS6_S3_lS4_PT9_S3_li.has_dyn_sized_stack, 0
	.set _ZL34rocblas_syrkx_herkx_general_kernelIi19rocblas_complex_numIdELi16ELi32ELi8ELb1ELb1ELc84ELc76EKS1_S1_EviT_T0_PT8_S3_lS6_S3_lS4_PT9_S3_li.has_recursion, 0
	.set _ZL34rocblas_syrkx_herkx_general_kernelIi19rocblas_complex_numIdELi16ELi32ELi8ELb1ELb1ELc84ELc76EKS1_S1_EviT_T0_PT8_S3_lS6_S3_lS4_PT9_S3_li.has_indirect_call, 0
	.section	.AMDGPU.csdata,"",@progbits
; Kernel info:
; codeLenInByte = 3168
; TotalNumSgprs: 29
; NumVgprs: 56
; ScratchSize: 0
; MemoryBound: 0
; FloatMode: 240
; IeeeMode: 1
; LDSByteSize: 8192 bytes/workgroup (compile time only)
; SGPRBlocks: 8
; VGPRBlocks: 13
; NumSGPRsForWavesPerEU: 65
; NumVGPRsForWavesPerEU: 56
; Occupancy: 4
; WaveLimiterHint : 0
; COMPUTE_PGM_RSRC2:SCRATCH_EN: 0
; COMPUTE_PGM_RSRC2:USER_SGPR: 6
; COMPUTE_PGM_RSRC2:TRAP_HANDLER: 0
; COMPUTE_PGM_RSRC2:TGID_X_EN: 1
; COMPUTE_PGM_RSRC2:TGID_Y_EN: 1
; COMPUTE_PGM_RSRC2:TGID_Z_EN: 1
; COMPUTE_PGM_RSRC2:TIDIG_COMP_CNT: 1
	.section	.text._ZL34rocblas_syrkx_herkx_general_kernelIi19rocblas_complex_numIdELi16ELi32ELi8ELb1ELb1ELc67ELc76EKS1_S1_EviT_T0_PT8_S3_lS6_S3_lS4_PT9_S3_li,"axG",@progbits,_ZL34rocblas_syrkx_herkx_general_kernelIi19rocblas_complex_numIdELi16ELi32ELi8ELb1ELb1ELc67ELc76EKS1_S1_EviT_T0_PT8_S3_lS6_S3_lS4_PT9_S3_li,comdat
	.globl	_ZL34rocblas_syrkx_herkx_general_kernelIi19rocblas_complex_numIdELi16ELi32ELi8ELb1ELb1ELc67ELc76EKS1_S1_EviT_T0_PT8_S3_lS6_S3_lS4_PT9_S3_li ; -- Begin function _ZL34rocblas_syrkx_herkx_general_kernelIi19rocblas_complex_numIdELi16ELi32ELi8ELb1ELb1ELc67ELc76EKS1_S1_EviT_T0_PT8_S3_lS6_S3_lS4_PT9_S3_li
	.p2align	8
	.type	_ZL34rocblas_syrkx_herkx_general_kernelIi19rocblas_complex_numIdELi16ELi32ELi8ELb1ELb1ELc67ELc76EKS1_S1_EviT_T0_PT8_S3_lS6_S3_lS4_PT9_S3_li,@function
_ZL34rocblas_syrkx_herkx_general_kernelIi19rocblas_complex_numIdELi16ELi32ELi8ELb1ELb1ELc67ELc76EKS1_S1_EviT_T0_PT8_S3_lS6_S3_lS4_PT9_S3_li: ; @_ZL34rocblas_syrkx_herkx_general_kernelIi19rocblas_complex_numIdELi16ELi32ELi8ELb1ELb1ELc67ELc76EKS1_S1_EviT_T0_PT8_S3_lS6_S3_lS4_PT9_S3_li
; %bb.0:
	s_load_dwordx2 s[10:11], s[4:5], 0x0
	s_load_dwordx4 s[12:15], s[4:5], 0x8
	s_load_dwordx2 s[20:21], s[4:5], 0x18
	s_lshl_b32 s9, s6, 5
	s_lshl_b32 s22, s7, 5
	s_waitcnt lgkmcnt(0)
	s_cmp_lt_i32 s11, 1
	s_mov_b32 s23, 0
	s_cbranch_scc1 .LBB448_9
; %bb.1:
	v_lshl_add_u32 v2, v1, 4, v0
	v_lshrrev_b32_e32 v28, 5, v2
	v_lshrrev_b32_e32 v3, 3, v2
	v_and_b32_e32 v2, 31, v2
	v_or_b32_e32 v5, s9, v2
	v_and_b32_e32 v27, 7, v0
	v_cmp_gt_i32_e64 s[0:1], s10, v5
	v_lshlrev_b32_e32 v5, 4, v2
	s_load_dword s2, s[4:5], 0x20
	s_load_dwordx4 s[16:19], s[4:5], 0x28
	s_load_dword s24, s[4:5], 0x38
	s_load_dwordx2 s[6:7], s[4:5], 0x40
	v_lshl_or_b32 v29, v28, 9, v5
	v_lshlrev_b32_e32 v5, 4, v27
	v_add_u32_e32 v4, s22, v3
	v_lshl_or_b32 v3, v3, 7, v5
	v_add_u32_e32 v2, s9, v2
	v_add_u32_e32 v30, 0x1000, v3
	s_waitcnt lgkmcnt(0)
	v_mad_i64_i32 v[2:3], s[2:3], s2, v2, 0
	s_mul_i32 s2, s17, s8
	s_mul_hi_u32 s3, s16, s8
	v_lshlrev_b64 v[2:3], 4, v[2:3]
	s_add_i32 s3, s3, s2
	s_mul_i32 s2, s16, s8
	v_mov_b32_e32 v6, 0x1000
	s_lshl_b64 s[2:3], s[2:3], 4
	v_lshl_add_u32 v32, v1, 7, v6
	v_mov_b32_e32 v6, s3
	v_add_co_u32_e64 v2, s[2:3], s2, v2
	v_addc_co_u32_e64 v3, s[2:3], v3, v6, s[2:3]
	v_lshlrev_b32_e32 v6, 4, v28
	v_add_co_u32_e64 v2, s[2:3], v2, v6
	v_addc_co_u32_e64 v3, s[2:3], 0, v3, s[2:3]
	v_mov_b32_e32 v6, s21
	v_add_co_u32_e64 v7, s[2:3], s20, v2
	v_addc_co_u32_e64 v6, s[2:3], v6, v3, s[2:3]
	v_mad_i64_i32 v[2:3], s[2:3], s24, v4, 0
	v_add_co_u32_e64 v7, s[2:3], 8, v7
	v_addc_co_u32_e64 v8, s[2:3], 0, v6, s[2:3]
	s_mul_i32 s2, s7, s8
	s_mul_hi_u32 s3, s6, s8
	v_lshlrev_b64 v[2:3], 4, v[2:3]
	s_add_i32 s3, s3, s2
	s_mul_i32 s2, s6, s8
	s_lshl_b64 s[2:3], s[2:3], 4
	v_cmp_gt_i32_e32 vcc, s10, v4
	v_mov_b32_e32 v4, s3
	v_add_co_u32_e64 v2, s[2:3], s2, v2
	v_addc_co_u32_e64 v3, s[2:3], v3, v4, s[2:3]
	v_add_co_u32_e64 v2, s[2:3], v2, v5
	v_addc_co_u32_e64 v3, s[2:3], 0, v3, s[2:3]
	v_mov_b32_e32 v4, s19
	v_add_co_u32_e64 v9, s[2:3], s18, v2
	v_addc_co_u32_e64 v10, s[2:3], v4, v3, s[2:3]
	v_mov_b32_e32 v25, 0
	v_mov_b32_e32 v23, 0
	;; [unrolled: 1-line block ×8, first 2 shown]
	v_lshlrev_b32_e32 v31, 4, v0
	v_mov_b32_e32 v26, 0
	s_xor_b64 s[2:3], vcc, -1
	v_mov_b32_e32 v24, 0
	v_mov_b32_e32 v18, 0
	;; [unrolled: 1-line block ×8, first 2 shown]
	s_branch .LBB448_3
.LBB448_2:                              ;   in Loop: Header=BB448_3 Depth=1
	s_or_b64 exec, exec, s[6:7]
	s_waitcnt lgkmcnt(0)
	s_barrier
	ds_read_b128 v[3:6], v32
	ds_read_b128 v[33:36], v32 offset:16
	ds_read_b128 v[37:40], v32 offset:32
	;; [unrolled: 1-line block ×3, first 2 shown]
	ds_read_b128 v[45:48], v31
	v_add_co_u32_e32 v7, vcc, 0x80, v7
	v_addc_co_u32_e32 v8, vcc, 0, v8, vcc
	s_waitcnt lgkmcnt(0)
	v_mul_f64 v[49:50], v[5:6], v[47:48]
	v_mul_f64 v[51:52], v[3:4], v[47:48]
	s_add_i32 s23, s23, 8
	v_add_co_u32_e32 v9, vcc, 0x80, v9
	v_addc_co_u32_e32 v10, vcc, 0, v10, vcc
	s_cmp_ge_i32 s23, s11
	v_fma_f64 v[49:50], v[3:4], v[45:46], -v[49:50]
	v_fma_f64 v[51:52], v[5:6], v[45:46], v[51:52]
	v_add_f64 v[49:50], v[19:20], v[49:50]
	v_add_f64 v[51:52], v[51:52], v[21:22]
	ds_read_b128 v[19:22], v31 offset:256
	s_waitcnt lgkmcnt(0)
	v_mul_f64 v[53:54], v[5:6], v[21:22]
	v_fma_f64 v[53:54], v[3:4], v[19:20], -v[53:54]
	v_mul_f64 v[3:4], v[3:4], v[21:22]
	v_add_f64 v[53:54], v[11:12], v[53:54]
	v_fma_f64 v[3:4], v[5:6], v[19:20], v[3:4]
	v_add_f64 v[55:56], v[3:4], v[13:14]
	ds_read_b128 v[3:6], v32 offset:2048
	s_waitcnt lgkmcnt(0)
	v_mul_f64 v[11:12], v[5:6], v[47:48]
	v_mul_f64 v[13:14], v[3:4], v[47:48]
	v_fma_f64 v[11:12], v[3:4], v[45:46], -v[11:12]
	v_fma_f64 v[13:14], v[5:6], v[45:46], v[13:14]
	v_add_f64 v[45:46], v[15:16], v[11:12]
	v_mul_f64 v[11:12], v[5:6], v[21:22]
	v_add_f64 v[47:48], v[13:14], v[17:18]
	v_fma_f64 v[11:12], v[3:4], v[19:20], -v[11:12]
	v_mul_f64 v[3:4], v[3:4], v[21:22]
	v_fma_f64 v[3:4], v[5:6], v[19:20], v[3:4]
	v_add_f64 v[19:20], v[23:24], v[11:12]
	v_add_f64 v[21:22], v[3:4], v[25:26]
	ds_read_b128 v[3:6], v31 offset:512
	s_waitcnt lgkmcnt(0)
	v_mul_f64 v[11:12], v[35:36], v[5:6]
	v_mul_f64 v[13:14], v[33:34], v[5:6]
	v_fma_f64 v[11:12], v[33:34], v[3:4], -v[11:12]
	v_fma_f64 v[13:14], v[35:36], v[3:4], v[13:14]
	v_add_f64 v[23:24], v[49:50], v[11:12]
	v_add_f64 v[25:26], v[13:14], v[51:52]
	ds_read_b128 v[11:14], v31 offset:768
	s_waitcnt lgkmcnt(0)
	v_mul_f64 v[15:16], v[35:36], v[13:14]
	v_mul_f64 v[17:18], v[33:34], v[13:14]
	v_fma_f64 v[15:16], v[33:34], v[11:12], -v[15:16]
	;; [unrolled: 8-line block ×3, first 2 shown]
	v_fma_f64 v[3:4], v[17:18], v[3:4], v[5:6]
	v_mul_f64 v[5:6], v[15:16], v[13:14]
	v_add_f64 v[45:46], v[45:46], v[49:50]
	v_add_f64 v[47:48], v[3:4], v[47:48]
	v_mul_f64 v[3:4], v[17:18], v[13:14]
	v_fma_f64 v[5:6], v[17:18], v[11:12], v[5:6]
	v_fma_f64 v[3:4], v[15:16], v[11:12], -v[3:4]
	v_add_f64 v[21:22], v[5:6], v[21:22]
	v_add_f64 v[19:20], v[19:20], v[3:4]
	ds_read_b128 v[3:6], v31 offset:1024
	s_waitcnt lgkmcnt(0)
	v_mul_f64 v[11:12], v[39:40], v[5:6]
	v_mul_f64 v[13:14], v[37:38], v[5:6]
	v_fma_f64 v[11:12], v[37:38], v[3:4], -v[11:12]
	v_fma_f64 v[13:14], v[39:40], v[3:4], v[13:14]
	v_add_f64 v[23:24], v[23:24], v[11:12]
	v_add_f64 v[25:26], v[13:14], v[25:26]
	ds_read_b128 v[11:14], v31 offset:1280
	s_waitcnt lgkmcnt(0)
	v_mul_f64 v[15:16], v[39:40], v[13:14]
	v_mul_f64 v[17:18], v[37:38], v[13:14]
	v_fma_f64 v[15:16], v[37:38], v[11:12], -v[15:16]
	v_fma_f64 v[17:18], v[39:40], v[11:12], v[17:18]
	;; [unrolled: 8-line block ×3, first 2 shown]
	v_mul_f64 v[5:6], v[15:16], v[13:14]
	v_add_f64 v[37:38], v[45:46], v[37:38]
	v_add_f64 v[39:40], v[3:4], v[47:48]
	v_mul_f64 v[3:4], v[17:18], v[13:14]
	v_fma_f64 v[5:6], v[17:18], v[11:12], v[5:6]
	v_fma_f64 v[3:4], v[15:16], v[11:12], -v[3:4]
	v_add_f64 v[21:22], v[5:6], v[21:22]
	v_add_f64 v[19:20], v[19:20], v[3:4]
	ds_read_b128 v[3:6], v31 offset:1536
	s_waitcnt lgkmcnt(0)
	v_mul_f64 v[11:12], v[43:44], v[5:6]
	v_mul_f64 v[13:14], v[41:42], v[5:6]
	v_fma_f64 v[11:12], v[41:42], v[3:4], -v[11:12]
	v_fma_f64 v[13:14], v[43:44], v[3:4], v[13:14]
	v_add_f64 v[23:24], v[23:24], v[11:12]
	v_add_f64 v[25:26], v[13:14], v[25:26]
	ds_read_b128 v[11:14], v31 offset:1792
	s_waitcnt lgkmcnt(0)
	v_mul_f64 v[15:16], v[43:44], v[13:14]
	v_mul_f64 v[17:18], v[41:42], v[13:14]
	v_fma_f64 v[15:16], v[41:42], v[11:12], -v[15:16]
	v_fma_f64 v[17:18], v[43:44], v[11:12], v[17:18]
	v_add_f64 v[33:34], v[33:34], v[15:16]
	v_add_f64 v[35:36], v[17:18], v[35:36]
	ds_read_b128 v[15:18], v32 offset:2096
	s_waitcnt lgkmcnt(0)
	v_mul_f64 v[41:42], v[17:18], v[5:6]
	v_mul_f64 v[5:6], v[15:16], v[5:6]
	v_fma_f64 v[41:42], v[15:16], v[3:4], -v[41:42]
	v_fma_f64 v[3:4], v[17:18], v[3:4], v[5:6]
	v_mul_f64 v[5:6], v[15:16], v[13:14]
	v_add_f64 v[37:38], v[37:38], v[41:42]
	v_add_f64 v[39:40], v[3:4], v[39:40]
	v_mul_f64 v[3:4], v[17:18], v[13:14]
	v_fma_f64 v[5:6], v[17:18], v[11:12], v[5:6]
	v_fma_f64 v[3:4], v[15:16], v[11:12], -v[3:4]
	v_add_f64 v[21:22], v[5:6], v[21:22]
	v_add_f64 v[19:20], v[19:20], v[3:4]
	ds_read_b128 v[3:6], v32 offset:64
	ds_read_b128 v[11:14], v31 offset:2048
	s_waitcnt lgkmcnt(0)
	v_mul_f64 v[15:16], v[5:6], v[13:14]
	v_mul_f64 v[17:18], v[3:4], v[13:14]
	v_fma_f64 v[15:16], v[3:4], v[11:12], -v[15:16]
	v_fma_f64 v[17:18], v[5:6], v[11:12], v[17:18]
	v_add_f64 v[23:24], v[23:24], v[15:16]
	v_add_f64 v[25:26], v[17:18], v[25:26]
	ds_read_b128 v[15:18], v31 offset:2304
	s_waitcnt lgkmcnt(0)
	v_mul_f64 v[41:42], v[5:6], v[17:18]
	v_fma_f64 v[41:42], v[3:4], v[15:16], -v[41:42]
	v_mul_f64 v[3:4], v[3:4], v[17:18]
	v_add_f64 v[33:34], v[33:34], v[41:42]
	v_fma_f64 v[3:4], v[5:6], v[15:16], v[3:4]
	v_add_f64 v[35:36], v[3:4], v[35:36]
	ds_read_b128 v[3:6], v32 offset:2112
	s_waitcnt lgkmcnt(0)
	v_mul_f64 v[41:42], v[5:6], v[13:14]
	v_mul_f64 v[13:14], v[3:4], v[13:14]
	v_fma_f64 v[41:42], v[3:4], v[11:12], -v[41:42]
	v_fma_f64 v[11:12], v[5:6], v[11:12], v[13:14]
	v_add_f64 v[37:38], v[37:38], v[41:42]
	v_add_f64 v[39:40], v[11:12], v[39:40]
	v_mul_f64 v[11:12], v[5:6], v[17:18]
	v_fma_f64 v[11:12], v[3:4], v[15:16], -v[11:12]
	v_mul_f64 v[3:4], v[3:4], v[17:18]
	v_add_f64 v[19:20], v[19:20], v[11:12]
	v_fma_f64 v[3:4], v[5:6], v[15:16], v[3:4]
	v_add_f64 v[21:22], v[3:4], v[21:22]
	ds_read_b128 v[3:6], v32 offset:80
	ds_read_b128 v[11:14], v31 offset:2560
	s_waitcnt lgkmcnt(0)
	v_mul_f64 v[15:16], v[5:6], v[13:14]
	v_mul_f64 v[17:18], v[3:4], v[13:14]
	v_fma_f64 v[15:16], v[3:4], v[11:12], -v[15:16]
	v_fma_f64 v[17:18], v[5:6], v[11:12], v[17:18]
	v_add_f64 v[23:24], v[23:24], v[15:16]
	v_add_f64 v[25:26], v[17:18], v[25:26]
	ds_read_b128 v[15:18], v31 offset:2816
	s_waitcnt lgkmcnt(0)
	v_mul_f64 v[41:42], v[5:6], v[17:18]
	v_fma_f64 v[41:42], v[3:4], v[15:16], -v[41:42]
	v_mul_f64 v[3:4], v[3:4], v[17:18]
	v_add_f64 v[33:34], v[33:34], v[41:42]
	v_fma_f64 v[3:4], v[5:6], v[15:16], v[3:4]
	v_add_f64 v[35:36], v[3:4], v[35:36]
	ds_read_b128 v[3:6], v32 offset:2128
	s_waitcnt lgkmcnt(0)
	v_mul_f64 v[41:42], v[5:6], v[13:14]
	v_mul_f64 v[13:14], v[3:4], v[13:14]
	v_fma_f64 v[41:42], v[3:4], v[11:12], -v[41:42]
	v_fma_f64 v[11:12], v[5:6], v[11:12], v[13:14]
	v_add_f64 v[37:38], v[37:38], v[41:42]
	v_add_f64 v[39:40], v[11:12], v[39:40]
	v_mul_f64 v[11:12], v[5:6], v[17:18]
	v_fma_f64 v[11:12], v[3:4], v[15:16], -v[11:12]
	v_mul_f64 v[3:4], v[3:4], v[17:18]
	v_add_f64 v[19:20], v[19:20], v[11:12]
	v_fma_f64 v[3:4], v[5:6], v[15:16], v[3:4]
	;; [unrolled: 31-line block ×3, first 2 shown]
	v_add_f64 v[43:44], v[3:4], v[21:22]
	ds_read_b128 v[3:6], v32 offset:112
	ds_read_b128 v[15:18], v31 offset:3584
	s_waitcnt lgkmcnt(0)
	v_mul_f64 v[11:12], v[5:6], v[17:18]
	v_mul_f64 v[13:14], v[3:4], v[17:18]
	v_fma_f64 v[11:12], v[3:4], v[15:16], -v[11:12]
	v_fma_f64 v[13:14], v[5:6], v[15:16], v[13:14]
	v_add_f64 v[19:20], v[23:24], v[11:12]
	v_add_f64 v[21:22], v[13:14], v[25:26]
	ds_read_b128 v[23:26], v31 offset:3840
	s_waitcnt lgkmcnt(0)
	v_mul_f64 v[11:12], v[5:6], v[25:26]
	v_fma_f64 v[11:12], v[3:4], v[23:24], -v[11:12]
	v_mul_f64 v[3:4], v[3:4], v[25:26]
	v_add_f64 v[11:12], v[33:34], v[11:12]
	v_fma_f64 v[3:4], v[5:6], v[23:24], v[3:4]
	v_add_f64 v[13:14], v[3:4], v[35:36]
	ds_read_b128 v[3:6], v32 offset:2160
	s_waitcnt lgkmcnt(0)
	s_barrier
	v_mul_f64 v[33:34], v[5:6], v[17:18]
	v_mul_f64 v[17:18], v[3:4], v[17:18]
	v_fma_f64 v[33:34], v[3:4], v[15:16], -v[33:34]
	v_fma_f64 v[17:18], v[5:6], v[15:16], v[17:18]
	v_add_f64 v[15:16], v[37:38], v[33:34]
	v_mul_f64 v[33:34], v[5:6], v[25:26]
	v_add_f64 v[17:18], v[17:18], v[39:40]
	v_fma_f64 v[33:34], v[3:4], v[23:24], -v[33:34]
	v_mul_f64 v[3:4], v[3:4], v[25:26]
	v_fma_f64 v[3:4], v[5:6], v[23:24], v[3:4]
	v_add_f64 v[23:24], v[41:42], v[33:34]
	v_add_f64 v[25:26], v[3:4], v[43:44]
	s_cbranch_scc1 .LBB448_10
.LBB448_3:                              ; =>This Inner Loop Header: Depth=1
	v_add_u32_e32 v3, s23, v28
	v_cmp_gt_i32_e32 vcc, s11, v3
	v_mov_b32_e32 v3, 0
	v_mov_b32_e32 v5, 0
	;; [unrolled: 1-line block ×4, first 2 shown]
	s_and_b64 s[16:17], s[0:1], vcc
	s_and_saveexec_b64 s[6:7], s[16:17]
	s_cbranch_execz .LBB448_5
; %bb.4:                                ;   in Loop: Header=BB448_3 Depth=1
	global_load_dwordx4 v[3:6], v[7:8], off offset:-8
	s_waitcnt vmcnt(0)
	v_xor_b32_e32 v6, 0x80000000, v6
.LBB448_5:                              ;   in Loop: Header=BB448_3 Depth=1
	s_or_b64 exec, exec, s[6:7]
	ds_write_b128 v29, v[3:6]
	v_add_u32_e32 v3, s23, v27
	v_cmp_le_i32_e32 vcc, s11, v3
	s_or_b64 s[6:7], vcc, s[2:3]
	s_and_saveexec_b64 s[16:17], s[6:7]
	s_xor_b64 s[6:7], exec, s[16:17]
; %bb.6:                                ;   in Loop: Header=BB448_3 Depth=1
	v_mov_b32_e32 v3, v2
	v_mov_b32_e32 v4, v2
	;; [unrolled: 1-line block ×3, first 2 shown]
	ds_write_b128 v30, v[2:5]
; %bb.7:                                ;   in Loop: Header=BB448_3 Depth=1
	s_andn2_saveexec_b64 s[6:7], s[6:7]
	s_cbranch_execz .LBB448_2
; %bb.8:                                ;   in Loop: Header=BB448_3 Depth=1
	global_load_dwordx4 v[3:6], v[9:10], off
	s_waitcnt vmcnt(0)
	ds_write2_b64 v30, v[3:4], v[5:6] offset1:1
	s_branch .LBB448_2
.LBB448_9:
	v_mov_b32_e32 v19, 0
	v_mov_b32_e32 v21, 0
	;; [unrolled: 1-line block ×16, first 2 shown]
.LBB448_10:
	s_load_dwordx2 s[0:1], s[4:5], 0x68
	s_load_dwordx2 s[2:3], s[4:5], 0x58
	s_load_dword s6, s[4:5], 0x60
	v_add_u32_e32 v4, s22, v1
	v_add_u32_e32 v0, s9, v0
	s_waitcnt lgkmcnt(0)
	s_mul_i32 s1, s1, s8
	s_mul_hi_u32 s4, s0, s8
	s_add_i32 s1, s4, s1
	v_mad_i64_i32 v[1:2], s[4:5], v4, s6, 0
	s_mul_i32 s0, s0, s8
	s_lshl_b64 s[0:1], s[0:1], 4
	s_add_u32 s7, s2, s0
	v_lshlrev_b64 v[1:2], 4, v[1:2]
	s_addc_u32 s8, s3, s1
	v_mov_b32_e32 v3, s8
	v_add_co_u32_e32 v5, vcc, s7, v1
	v_addc_co_u32_e32 v6, vcc, v3, v2, vcc
	v_cmp_le_i32_e64 s[0:1], v4, v0
	v_cmp_gt_i32_e32 vcc, s10, v0
	s_and_b64 s[0:1], s[0:1], vcc
	s_and_saveexec_b64 s[2:3], s[0:1]
	s_cbranch_execz .LBB448_12
; %bb.11:
	v_mul_f64 v[2:3], s[12:13], v[21:22]
	v_mul_f64 v[7:8], s[14:15], v[21:22]
	v_ashrrev_i32_e32 v1, 31, v0
	v_lshlrev_b64 v[9:10], 4, v[0:1]
	v_fma_f64 v[2:3], s[14:15], v[19:20], v[2:3]
	v_fma_f64 v[7:8], s[12:13], v[19:20], -v[7:8]
	v_add_co_u32_e64 v19, s[0:1], v5, v9
	v_addc_co_u32_e64 v20, s[0:1], v6, v10, s[0:1]
	v_cmp_ne_u32_e64 s[0:1], v4, v0
	v_cndmask_b32_e64 v10, 0, v3, s[0:1]
	v_cndmask_b32_e64 v9, 0, v2, s[0:1]
	global_store_dwordx4 v[19:20], v[7:10], off
.LBB448_12:
	s_or_b64 exec, exec, s[2:3]
	v_add_u32_e32 v2, 16, v0
	v_cmp_le_i32_e64 s[2:3], v4, v2
	v_cmp_gt_i32_e64 s[0:1], s10, v2
	s_and_b64 s[2:3], s[2:3], s[0:1]
	s_and_saveexec_b64 s[4:5], s[2:3]
	s_cbranch_execz .LBB448_14
; %bb.13:
	v_mul_f64 v[7:8], s[12:13], v[13:14]
	v_mul_f64 v[9:10], s[14:15], v[13:14]
	v_ashrrev_i32_e32 v3, 31, v2
	v_lshlrev_b64 v[19:20], 4, v[2:3]
	v_add_co_u32_e64 v5, s[2:3], v5, v19
	v_addc_co_u32_e64 v6, s[2:3], v6, v20, s[2:3]
	v_fma_f64 v[13:14], s[14:15], v[11:12], v[7:8]
	v_fma_f64 v[7:8], s[12:13], v[11:12], -v[9:10]
	v_cmp_ne_u32_e64 s[2:3], v4, v2
	v_cndmask_b32_e64 v10, 0, v14, s[2:3]
	v_cndmask_b32_e64 v9, 0, v13, s[2:3]
	global_store_dwordx4 v[5:6], v[7:10], off
.LBB448_14:
	s_or_b64 exec, exec, s[4:5]
	v_add_u32_e32 v3, 16, v4
	v_mad_i64_i32 v[5:6], s[2:3], v3, s6, 0
	v_mov_b32_e32 v1, s8
	v_lshlrev_b64 v[5:6], 4, v[5:6]
	v_add_co_u32_e64 v5, s[2:3], s7, v5
	v_addc_co_u32_e64 v6, s[2:3], v1, v6, s[2:3]
	v_cmp_le_i32_e64 s[2:3], v3, v0
	s_and_b64 s[4:5], s[2:3], vcc
	s_and_saveexec_b64 s[2:3], s[4:5]
	s_cbranch_execz .LBB448_16
; %bb.15:
	v_mul_f64 v[7:8], s[12:13], v[17:18]
	v_mul_f64 v[9:10], s[14:15], v[17:18]
	v_ashrrev_i32_e32 v1, 31, v0
	v_lshlrev_b64 v[13:14], 4, v[0:1]
	v_add_co_u32_e32 v13, vcc, v5, v13
	v_addc_co_u32_e32 v14, vcc, v6, v14, vcc
	v_fma_f64 v[11:12], s[14:15], v[15:16], v[7:8]
	v_fma_f64 v[7:8], s[12:13], v[15:16], -v[9:10]
	v_cmp_ne_u32_e32 vcc, v3, v0
	v_cndmask_b32_e32 v10, 0, v12, vcc
	v_cndmask_b32_e32 v9, 0, v11, vcc
	global_store_dwordx4 v[13:14], v[7:10], off
.LBB448_16:
	s_or_b64 exec, exec, s[2:3]
	v_cmp_le_i32_e32 vcc, v3, v2
	s_and_b64 s[0:1], vcc, s[0:1]
	s_and_saveexec_b64 s[2:3], s[0:1]
	s_cbranch_execz .LBB448_18
; %bb.17:
	v_mul_f64 v[7:8], s[12:13], v[25:26]
	v_mul_f64 v[9:10], s[14:15], v[25:26]
	v_ashrrev_i32_e32 v3, 31, v2
	v_lshlrev_b64 v[11:12], 4, v[2:3]
	v_add_co_u32_e32 v5, vcc, v5, v11
	v_addc_co_u32_e32 v6, vcc, v6, v12, vcc
	v_fma_f64 v[7:8], s[14:15], v[23:24], v[7:8]
	v_fma_f64 v[1:2], s[12:13], v[23:24], -v[9:10]
	v_cmp_ne_u32_e32 vcc, v4, v0
	v_cndmask_b32_e32 v4, 0, v8, vcc
	v_cndmask_b32_e32 v3, 0, v7, vcc
	global_store_dwordx4 v[5:6], v[1:4], off
.LBB448_18:
	s_endpgm
	.section	.rodata,"a",@progbits
	.p2align	6, 0x0
	.amdhsa_kernel _ZL34rocblas_syrkx_herkx_general_kernelIi19rocblas_complex_numIdELi16ELi32ELi8ELb1ELb1ELc67ELc76EKS1_S1_EviT_T0_PT8_S3_lS6_S3_lS4_PT9_S3_li
		.amdhsa_group_segment_fixed_size 8192
		.amdhsa_private_segment_fixed_size 0
		.amdhsa_kernarg_size 116
		.amdhsa_user_sgpr_count 6
		.amdhsa_user_sgpr_private_segment_buffer 1
		.amdhsa_user_sgpr_dispatch_ptr 0
		.amdhsa_user_sgpr_queue_ptr 0
		.amdhsa_user_sgpr_kernarg_segment_ptr 1
		.amdhsa_user_sgpr_dispatch_id 0
		.amdhsa_user_sgpr_flat_scratch_init 0
		.amdhsa_user_sgpr_private_segment_size 0
		.amdhsa_uses_dynamic_stack 0
		.amdhsa_system_sgpr_private_segment_wavefront_offset 0
		.amdhsa_system_sgpr_workgroup_id_x 1
		.amdhsa_system_sgpr_workgroup_id_y 1
		.amdhsa_system_sgpr_workgroup_id_z 1
		.amdhsa_system_sgpr_workgroup_info 0
		.amdhsa_system_vgpr_workitem_id 1
		.amdhsa_next_free_vgpr 57
		.amdhsa_next_free_sgpr 61
		.amdhsa_reserve_vcc 1
		.amdhsa_reserve_flat_scratch 0
		.amdhsa_float_round_mode_32 0
		.amdhsa_float_round_mode_16_64 0
		.amdhsa_float_denorm_mode_32 3
		.amdhsa_float_denorm_mode_16_64 3
		.amdhsa_dx10_clamp 1
		.amdhsa_ieee_mode 1
		.amdhsa_fp16_overflow 0
		.amdhsa_exception_fp_ieee_invalid_op 0
		.amdhsa_exception_fp_denorm_src 0
		.amdhsa_exception_fp_ieee_div_zero 0
		.amdhsa_exception_fp_ieee_overflow 0
		.amdhsa_exception_fp_ieee_underflow 0
		.amdhsa_exception_fp_ieee_inexact 0
		.amdhsa_exception_int_div_zero 0
	.end_amdhsa_kernel
	.section	.text._ZL34rocblas_syrkx_herkx_general_kernelIi19rocblas_complex_numIdELi16ELi32ELi8ELb1ELb1ELc67ELc76EKS1_S1_EviT_T0_PT8_S3_lS6_S3_lS4_PT9_S3_li,"axG",@progbits,_ZL34rocblas_syrkx_herkx_general_kernelIi19rocblas_complex_numIdELi16ELi32ELi8ELb1ELb1ELc67ELc76EKS1_S1_EviT_T0_PT8_S3_lS6_S3_lS4_PT9_S3_li,comdat
.Lfunc_end448:
	.size	_ZL34rocblas_syrkx_herkx_general_kernelIi19rocblas_complex_numIdELi16ELi32ELi8ELb1ELb1ELc67ELc76EKS1_S1_EviT_T0_PT8_S3_lS6_S3_lS4_PT9_S3_li, .Lfunc_end448-_ZL34rocblas_syrkx_herkx_general_kernelIi19rocblas_complex_numIdELi16ELi32ELi8ELb1ELb1ELc67ELc76EKS1_S1_EviT_T0_PT8_S3_lS6_S3_lS4_PT9_S3_li
                                        ; -- End function
	.set _ZL34rocblas_syrkx_herkx_general_kernelIi19rocblas_complex_numIdELi16ELi32ELi8ELb1ELb1ELc67ELc76EKS1_S1_EviT_T0_PT8_S3_lS6_S3_lS4_PT9_S3_li.num_vgpr, 57
	.set _ZL34rocblas_syrkx_herkx_general_kernelIi19rocblas_complex_numIdELi16ELi32ELi8ELb1ELb1ELc67ELc76EKS1_S1_EviT_T0_PT8_S3_lS6_S3_lS4_PT9_S3_li.num_agpr, 0
	.set _ZL34rocblas_syrkx_herkx_general_kernelIi19rocblas_complex_numIdELi16ELi32ELi8ELb1ELb1ELc67ELc76EKS1_S1_EviT_T0_PT8_S3_lS6_S3_lS4_PT9_S3_li.numbered_sgpr, 25
	.set _ZL34rocblas_syrkx_herkx_general_kernelIi19rocblas_complex_numIdELi16ELi32ELi8ELb1ELb1ELc67ELc76EKS1_S1_EviT_T0_PT8_S3_lS6_S3_lS4_PT9_S3_li.num_named_barrier, 0
	.set _ZL34rocblas_syrkx_herkx_general_kernelIi19rocblas_complex_numIdELi16ELi32ELi8ELb1ELb1ELc67ELc76EKS1_S1_EviT_T0_PT8_S3_lS6_S3_lS4_PT9_S3_li.private_seg_size, 0
	.set _ZL34rocblas_syrkx_herkx_general_kernelIi19rocblas_complex_numIdELi16ELi32ELi8ELb1ELb1ELc67ELc76EKS1_S1_EviT_T0_PT8_S3_lS6_S3_lS4_PT9_S3_li.uses_vcc, 1
	.set _ZL34rocblas_syrkx_herkx_general_kernelIi19rocblas_complex_numIdELi16ELi32ELi8ELb1ELb1ELc67ELc76EKS1_S1_EviT_T0_PT8_S3_lS6_S3_lS4_PT9_S3_li.uses_flat_scratch, 0
	.set _ZL34rocblas_syrkx_herkx_general_kernelIi19rocblas_complex_numIdELi16ELi32ELi8ELb1ELb1ELc67ELc76EKS1_S1_EviT_T0_PT8_S3_lS6_S3_lS4_PT9_S3_li.has_dyn_sized_stack, 0
	.set _ZL34rocblas_syrkx_herkx_general_kernelIi19rocblas_complex_numIdELi16ELi32ELi8ELb1ELb1ELc67ELc76EKS1_S1_EviT_T0_PT8_S3_lS6_S3_lS4_PT9_S3_li.has_recursion, 0
	.set _ZL34rocblas_syrkx_herkx_general_kernelIi19rocblas_complex_numIdELi16ELi32ELi8ELb1ELb1ELc67ELc76EKS1_S1_EviT_T0_PT8_S3_lS6_S3_lS4_PT9_S3_li.has_indirect_call, 0
	.section	.AMDGPU.csdata,"",@progbits
; Kernel info:
; codeLenInByte = 3176
; TotalNumSgprs: 29
; NumVgprs: 57
; ScratchSize: 0
; MemoryBound: 1
; FloatMode: 240
; IeeeMode: 1
; LDSByteSize: 8192 bytes/workgroup (compile time only)
; SGPRBlocks: 8
; VGPRBlocks: 14
; NumSGPRsForWavesPerEU: 65
; NumVGPRsForWavesPerEU: 57
; Occupancy: 4
; WaveLimiterHint : 0
; COMPUTE_PGM_RSRC2:SCRATCH_EN: 0
; COMPUTE_PGM_RSRC2:USER_SGPR: 6
; COMPUTE_PGM_RSRC2:TRAP_HANDLER: 0
; COMPUTE_PGM_RSRC2:TGID_X_EN: 1
; COMPUTE_PGM_RSRC2:TGID_Y_EN: 1
; COMPUTE_PGM_RSRC2:TGID_Z_EN: 1
; COMPUTE_PGM_RSRC2:TIDIG_COMP_CNT: 1
	.section	.text._ZL34rocblas_syrkx_herkx_general_kernelIi19rocblas_complex_numIdELi16ELi32ELi8ELb1ELb1ELc78ELc76EKS1_S1_EviT_T0_PT8_S3_lS6_S3_lS4_PT9_S3_li,"axG",@progbits,_ZL34rocblas_syrkx_herkx_general_kernelIi19rocblas_complex_numIdELi16ELi32ELi8ELb1ELb1ELc78ELc76EKS1_S1_EviT_T0_PT8_S3_lS6_S3_lS4_PT9_S3_li,comdat
	.globl	_ZL34rocblas_syrkx_herkx_general_kernelIi19rocblas_complex_numIdELi16ELi32ELi8ELb1ELb1ELc78ELc76EKS1_S1_EviT_T0_PT8_S3_lS6_S3_lS4_PT9_S3_li ; -- Begin function _ZL34rocblas_syrkx_herkx_general_kernelIi19rocblas_complex_numIdELi16ELi32ELi8ELb1ELb1ELc78ELc76EKS1_S1_EviT_T0_PT8_S3_lS6_S3_lS4_PT9_S3_li
	.p2align	8
	.type	_ZL34rocblas_syrkx_herkx_general_kernelIi19rocblas_complex_numIdELi16ELi32ELi8ELb1ELb1ELc78ELc76EKS1_S1_EviT_T0_PT8_S3_lS6_S3_lS4_PT9_S3_li,@function
_ZL34rocblas_syrkx_herkx_general_kernelIi19rocblas_complex_numIdELi16ELi32ELi8ELb1ELb1ELc78ELc76EKS1_S1_EviT_T0_PT8_S3_lS6_S3_lS4_PT9_S3_li: ; @_ZL34rocblas_syrkx_herkx_general_kernelIi19rocblas_complex_numIdELi16ELi32ELi8ELb1ELb1ELc78ELc76EKS1_S1_EviT_T0_PT8_S3_lS6_S3_lS4_PT9_S3_li
; %bb.0:
	s_load_dwordx2 s[10:11], s[4:5], 0x0
	s_load_dwordx4 s[12:15], s[4:5], 0x8
	s_load_dwordx2 s[20:21], s[4:5], 0x18
	s_lshl_b32 s9, s6, 5
	s_lshl_b32 s22, s7, 5
	s_waitcnt lgkmcnt(0)
	s_cmp_lt_i32 s11, 1
	s_mov_b32 s23, 0
	s_cbranch_scc1 .LBB449_9
; %bb.1:
	v_lshl_add_u32 v3, v1, 4, v0
	v_and_b32_e32 v6, 31, v3
	v_lshrrev_b32_e32 v28, 5, v3
	v_lshrrev_b32_e32 v4, 3, v3
	v_or_b32_e32 v3, s9, v6
	s_load_dword s6, s[4:5], 0x20
	s_load_dword s24, s[4:5], 0x38
	s_load_dwordx2 s[26:27], s[4:5], 0x40
	s_load_dwordx4 s[16:19], s[4:5], 0x28
	v_and_b32_e32 v27, 7, v0
	v_cmp_gt_i32_e64 s[0:1], s10, v3
	v_lshlrev_b32_e32 v3, 4, v6
	v_lshl_or_b32 v29, v28, 9, v3
	v_lshlrev_b32_e32 v3, 4, v27
	v_add_u32_e32 v2, s22, v4
	v_lshl_or_b32 v3, v4, 7, v3
	s_waitcnt lgkmcnt(0)
	v_mad_i64_i32 v[4:5], s[2:3], v28, s6, 0
	s_mul_i32 s2, s17, s8
	s_mul_hi_u32 s3, s16, s8
	v_lshlrev_b64 v[4:5], 4, v[4:5]
	s_add_i32 s3, s3, s2
	s_mul_i32 s2, s16, s8
	v_mov_b32_e32 v7, 0x1000
	s_lshl_b64 s[2:3], s[2:3], 4
	v_lshl_add_u32 v32, v1, 7, v7
	v_mov_b32_e32 v7, s3
	v_add_co_u32_e64 v8, s[2:3], s2, v4
	v_add_u32_e32 v4, s9, v6
	v_addc_co_u32_e64 v7, s[2:3], v5, v7, s[2:3]
	v_ashrrev_i32_e32 v5, 31, v4
	v_lshlrev_b64 v[4:5], 4, v[4:5]
	v_mov_b32_e32 v6, s21
	v_add_co_u32_e64 v4, s[2:3], v8, v4
	v_addc_co_u32_e64 v5, s[2:3], v7, v5, s[2:3]
	v_add_co_u32_e64 v7, s[2:3], s20, v4
	v_addc_co_u32_e64 v8, s[2:3], v6, v5, s[2:3]
	v_mad_i64_i32 v[4:5], s[2:3], s24, v27, 0
	s_mul_i32 s16, s27, s8
	s_mul_hi_u32 s17, s26, s8
	s_add_i32 s3, s17, s16
	s_mul_i32 s2, s26, s8
	v_lshlrev_b64 v[4:5], 4, v[4:5]
	v_add_u32_e32 v30, 0x1000, v3
	v_ashrrev_i32_e32 v3, 31, v2
	s_lshl_b64 s[2:3], s[2:3], 4
	v_cmp_gt_i32_e32 vcc, s10, v2
	v_mov_b32_e32 v6, s3
	v_add_co_u32_e64 v4, s[2:3], s2, v4
	v_lshlrev_b64 v[2:3], 4, v[2:3]
	v_addc_co_u32_e64 v5, s[2:3], v6, v5, s[2:3]
	v_add_co_u32_e64 v2, s[2:3], v4, v2
	v_addc_co_u32_e64 v3, s[2:3], v5, v3, s[2:3]
	v_mov_b32_e32 v4, s19
	v_add_co_u32_e64 v2, s[2:3], s18, v2
	v_addc_co_u32_e64 v3, s[2:3], v4, v3, s[2:3]
	v_add_co_u32_e64 v9, s[2:3], 8, v2
	s_ashr_i32 s7, s6, 31
	s_ashr_i32 s25, s24, 31
	v_addc_co_u32_e64 v10, s[2:3], 0, v3, s[2:3]
	s_lshl_b64 s[6:7], s[6:7], 7
	s_lshl_b64 s[2:3], s[24:25], 7
	v_mov_b32_e32 v25, 0
	v_mov_b32_e32 v23, 0
	;; [unrolled: 1-line block ×8, first 2 shown]
	v_lshlrev_b32_e32 v31, 4, v0
	v_mov_b32_e32 v26, 0
	s_xor_b64 s[16:17], s[0:1], -1
	v_mov_b32_e32 v33, s7
	v_mov_b32_e32 v34, s3
	;; [unrolled: 1-line block ×10, first 2 shown]
	s_branch .LBB449_3
.LBB449_2:                              ;   in Loop: Header=BB449_3 Depth=1
	s_or_b64 exec, exec, s[0:1]
	ds_write_b128 v30, v[3:6]
	s_waitcnt lgkmcnt(0)
	s_barrier
	ds_read_b128 v[3:6], v32
	ds_read_b128 v[35:38], v32 offset:16
	ds_read_b128 v[39:42], v32 offset:32
	;; [unrolled: 1-line block ×3, first 2 shown]
	ds_read_b128 v[47:50], v31
	v_add_co_u32_e64 v7, s[0:1], s6, v7
	v_addc_co_u32_e64 v8, s[0:1], v8, v33, s[0:1]
	s_waitcnt lgkmcnt(0)
	v_mul_f64 v[51:52], v[5:6], v[49:50]
	v_mul_f64 v[53:54], v[3:4], v[49:50]
	s_add_i32 s23, s23, 8
	v_add_co_u32_e64 v9, s[0:1], s2, v9
	v_addc_co_u32_e64 v10, s[0:1], v10, v34, s[0:1]
	s_cmp_ge_i32 s23, s11
	v_fma_f64 v[51:52], v[3:4], v[47:48], -v[51:52]
	v_fma_f64 v[53:54], v[5:6], v[47:48], v[53:54]
	v_add_f64 v[17:18], v[17:18], v[51:52]
	v_add_f64 v[21:22], v[53:54], v[21:22]
	ds_read_b128 v[51:54], v31 offset:256
	s_waitcnt lgkmcnt(0)
	v_mul_f64 v[55:56], v[5:6], v[53:54]
	v_fma_f64 v[55:56], v[3:4], v[51:52], -v[55:56]
	v_mul_f64 v[3:4], v[3:4], v[53:54]
	v_add_f64 v[55:56], v[11:12], v[55:56]
	v_fma_f64 v[3:4], v[5:6], v[51:52], v[3:4]
	v_add_f64 v[57:58], v[3:4], v[13:14]
	ds_read_b128 v[3:6], v32 offset:2048
	s_waitcnt lgkmcnt(0)
	v_mul_f64 v[11:12], v[5:6], v[49:50]
	v_mul_f64 v[13:14], v[3:4], v[49:50]
	v_fma_f64 v[11:12], v[3:4], v[47:48], -v[11:12]
	v_fma_f64 v[13:14], v[5:6], v[47:48], v[13:14]
	v_add_f64 v[47:48], v[15:16], v[11:12]
	v_mul_f64 v[11:12], v[5:6], v[53:54]
	v_add_f64 v[19:20], v[13:14], v[19:20]
	v_fma_f64 v[11:12], v[3:4], v[51:52], -v[11:12]
	v_mul_f64 v[3:4], v[3:4], v[53:54]
	v_add_f64 v[23:24], v[23:24], v[11:12]
	v_fma_f64 v[3:4], v[5:6], v[51:52], v[3:4]
	v_add_f64 v[25:26], v[3:4], v[25:26]
	ds_read_b128 v[3:6], v31 offset:512
	s_waitcnt lgkmcnt(0)
	v_mul_f64 v[11:12], v[37:38], v[5:6]
	v_mul_f64 v[13:14], v[35:36], v[5:6]
	v_fma_f64 v[11:12], v[35:36], v[3:4], -v[11:12]
	v_fma_f64 v[13:14], v[37:38], v[3:4], v[13:14]
	v_add_f64 v[49:50], v[17:18], v[11:12]
	v_add_f64 v[21:22], v[13:14], v[21:22]
	ds_read_b128 v[11:14], v31 offset:768
	s_waitcnt lgkmcnt(0)
	v_mul_f64 v[15:16], v[37:38], v[13:14]
	v_mul_f64 v[17:18], v[35:36], v[13:14]
	v_fma_f64 v[15:16], v[35:36], v[11:12], -v[15:16]
	v_fma_f64 v[17:18], v[37:38], v[11:12], v[17:18]
	v_add_f64 v[35:36], v[55:56], v[15:16]
	v_add_f64 v[37:38], v[17:18], v[57:58]
	ds_read_b128 v[15:18], v32 offset:2064
	s_waitcnt lgkmcnt(0)
	v_mul_f64 v[51:52], v[17:18], v[5:6]
	v_mul_f64 v[5:6], v[15:16], v[5:6]
	v_fma_f64 v[51:52], v[15:16], v[3:4], -v[51:52]
	v_fma_f64 v[3:4], v[17:18], v[3:4], v[5:6]
	v_mul_f64 v[5:6], v[15:16], v[13:14]
	v_add_f64 v[47:48], v[47:48], v[51:52]
	v_add_f64 v[19:20], v[3:4], v[19:20]
	v_mul_f64 v[3:4], v[17:18], v[13:14]
	v_fma_f64 v[5:6], v[17:18], v[11:12], v[5:6]
	v_fma_f64 v[3:4], v[15:16], v[11:12], -v[3:4]
	v_add_f64 v[25:26], v[5:6], v[25:26]
	v_add_f64 v[23:24], v[23:24], v[3:4]
	ds_read_b128 v[3:6], v31 offset:1024
	s_waitcnt lgkmcnt(0)
	v_mul_f64 v[11:12], v[41:42], v[5:6]
	v_mul_f64 v[13:14], v[39:40], v[5:6]
	v_fma_f64 v[11:12], v[39:40], v[3:4], -v[11:12]
	v_fma_f64 v[13:14], v[41:42], v[3:4], v[13:14]
	v_add_f64 v[49:50], v[49:50], v[11:12]
	v_add_f64 v[21:22], v[13:14], v[21:22]
	ds_read_b128 v[11:14], v31 offset:1280
	s_waitcnt lgkmcnt(0)
	v_mul_f64 v[15:16], v[41:42], v[13:14]
	v_mul_f64 v[17:18], v[39:40], v[13:14]
	v_fma_f64 v[15:16], v[39:40], v[11:12], -v[15:16]
	v_fma_f64 v[17:18], v[41:42], v[11:12], v[17:18]
	v_add_f64 v[35:36], v[35:36], v[15:16]
	v_add_f64 v[37:38], v[17:18], v[37:38]
	ds_read_b128 v[15:18], v32 offset:2080
	s_waitcnt lgkmcnt(0)
	v_mul_f64 v[39:40], v[17:18], v[5:6]
	v_mul_f64 v[5:6], v[15:16], v[5:6]
	v_fma_f64 v[39:40], v[15:16], v[3:4], -v[39:40]
	v_fma_f64 v[3:4], v[17:18], v[3:4], v[5:6]
	v_mul_f64 v[5:6], v[15:16], v[13:14]
	v_add_f64 v[39:40], v[47:48], v[39:40]
	v_add_f64 v[19:20], v[3:4], v[19:20]
	v_mul_f64 v[3:4], v[17:18], v[13:14]
	v_fma_f64 v[5:6], v[17:18], v[11:12], v[5:6]
	v_fma_f64 v[3:4], v[15:16], v[11:12], -v[3:4]
	v_add_f64 v[25:26], v[5:6], v[25:26]
	;; [unrolled: 30-line block ×3, first 2 shown]
	v_add_f64 v[23:24], v[23:24], v[3:4]
	ds_read_b128 v[3:6], v32 offset:64
	ds_read_b128 v[11:14], v31 offset:2048
	s_waitcnt lgkmcnt(0)
	v_mul_f64 v[15:16], v[5:6], v[13:14]
	v_mul_f64 v[17:18], v[3:4], v[13:14]
	v_fma_f64 v[15:16], v[3:4], v[11:12], -v[15:16]
	v_fma_f64 v[17:18], v[5:6], v[11:12], v[17:18]
	v_add_f64 v[41:42], v[41:42], v[15:16]
	v_add_f64 v[21:22], v[17:18], v[21:22]
	ds_read_b128 v[15:18], v31 offset:2304
	s_waitcnt lgkmcnt(0)
	v_mul_f64 v[43:44], v[5:6], v[17:18]
	v_fma_f64 v[43:44], v[3:4], v[15:16], -v[43:44]
	v_mul_f64 v[3:4], v[3:4], v[17:18]
	v_add_f64 v[35:36], v[35:36], v[43:44]
	v_fma_f64 v[3:4], v[5:6], v[15:16], v[3:4]
	v_add_f64 v[37:38], v[3:4], v[37:38]
	ds_read_b128 v[3:6], v32 offset:2112
	s_waitcnt lgkmcnt(0)
	v_mul_f64 v[43:44], v[5:6], v[13:14]
	v_mul_f64 v[13:14], v[3:4], v[13:14]
	v_fma_f64 v[43:44], v[3:4], v[11:12], -v[43:44]
	v_fma_f64 v[11:12], v[5:6], v[11:12], v[13:14]
	v_add_f64 v[39:40], v[39:40], v[43:44]
	v_add_f64 v[19:20], v[11:12], v[19:20]
	v_mul_f64 v[11:12], v[5:6], v[17:18]
	v_fma_f64 v[11:12], v[3:4], v[15:16], -v[11:12]
	v_mul_f64 v[3:4], v[3:4], v[17:18]
	v_add_f64 v[23:24], v[23:24], v[11:12]
	v_fma_f64 v[3:4], v[5:6], v[15:16], v[3:4]
	v_add_f64 v[25:26], v[3:4], v[25:26]
	ds_read_b128 v[3:6], v32 offset:80
	ds_read_b128 v[11:14], v31 offset:2560
	s_waitcnt lgkmcnt(0)
	v_mul_f64 v[15:16], v[5:6], v[13:14]
	v_mul_f64 v[17:18], v[3:4], v[13:14]
	v_fma_f64 v[15:16], v[3:4], v[11:12], -v[15:16]
	v_fma_f64 v[17:18], v[5:6], v[11:12], v[17:18]
	v_add_f64 v[41:42], v[41:42], v[15:16]
	v_add_f64 v[21:22], v[17:18], v[21:22]
	ds_read_b128 v[15:18], v31 offset:2816
	s_waitcnt lgkmcnt(0)
	v_mul_f64 v[43:44], v[5:6], v[17:18]
	v_fma_f64 v[43:44], v[3:4], v[15:16], -v[43:44]
	v_mul_f64 v[3:4], v[3:4], v[17:18]
	v_add_f64 v[35:36], v[35:36], v[43:44]
	v_fma_f64 v[3:4], v[5:6], v[15:16], v[3:4]
	v_add_f64 v[37:38], v[3:4], v[37:38]
	ds_read_b128 v[3:6], v32 offset:2128
	s_waitcnt lgkmcnt(0)
	v_mul_f64 v[43:44], v[5:6], v[13:14]
	v_mul_f64 v[13:14], v[3:4], v[13:14]
	v_fma_f64 v[43:44], v[3:4], v[11:12], -v[43:44]
	v_fma_f64 v[11:12], v[5:6], v[11:12], v[13:14]
	v_add_f64 v[39:40], v[39:40], v[43:44]
	v_add_f64 v[19:20], v[11:12], v[19:20]
	v_mul_f64 v[11:12], v[5:6], v[17:18]
	v_fma_f64 v[11:12], v[3:4], v[15:16], -v[11:12]
	v_mul_f64 v[3:4], v[3:4], v[17:18]
	v_add_f64 v[23:24], v[23:24], v[11:12]
	v_fma_f64 v[3:4], v[5:6], v[15:16], v[3:4]
	;; [unrolled: 31-line block ×3, first 2 shown]
	v_add_f64 v[49:50], v[3:4], v[25:26]
	ds_read_b128 v[3:6], v32 offset:112
	ds_read_b128 v[23:26], v31 offset:3584
	;; [unrolled: 1-line block ×3, first 2 shown]
	s_waitcnt lgkmcnt(1)
	v_mul_f64 v[11:12], v[5:6], v[25:26]
	v_mul_f64 v[13:14], v[3:4], v[25:26]
	v_fma_f64 v[11:12], v[3:4], v[23:24], -v[11:12]
	v_fma_f64 v[13:14], v[5:6], v[23:24], v[13:14]
	v_add_f64 v[17:18], v[41:42], v[11:12]
	s_waitcnt lgkmcnt(0)
	v_mul_f64 v[11:12], v[5:6], v[37:38]
	v_add_f64 v[21:22], v[13:14], v[21:22]
	v_fma_f64 v[11:12], v[3:4], v[35:36], -v[11:12]
	v_mul_f64 v[3:4], v[3:4], v[37:38]
	v_add_f64 v[11:12], v[43:44], v[11:12]
	v_fma_f64 v[3:4], v[5:6], v[35:36], v[3:4]
	v_add_f64 v[13:14], v[3:4], v[45:46]
	ds_read_b128 v[3:6], v32 offset:2160
	s_waitcnt lgkmcnt(0)
	s_barrier
	v_mul_f64 v[15:16], v[5:6], v[25:26]
	v_mul_f64 v[25:26], v[3:4], v[25:26]
	v_fma_f64 v[15:16], v[3:4], v[23:24], -v[15:16]
	v_fma_f64 v[23:24], v[5:6], v[23:24], v[25:26]
	v_add_f64 v[15:16], v[39:40], v[15:16]
	v_add_f64 v[19:20], v[23:24], v[19:20]
	v_mul_f64 v[23:24], v[5:6], v[37:38]
	v_fma_f64 v[23:24], v[3:4], v[35:36], -v[23:24]
	v_mul_f64 v[3:4], v[3:4], v[37:38]
	v_add_f64 v[23:24], v[47:48], v[23:24]
	v_fma_f64 v[3:4], v[5:6], v[35:36], v[3:4]
	v_add_f64 v[25:26], v[3:4], v[49:50]
	s_cbranch_scc1 .LBB449_10
.LBB449_3:                              ; =>This Inner Loop Header: Depth=1
	v_add_u32_e32 v3, s23, v28
	v_cmp_le_i32_e64 s[0:1], s11, v3
	s_or_b64 s[0:1], s[16:17], s[0:1]
	s_and_saveexec_b64 s[18:19], s[0:1]
	s_xor_b64 s[0:1], exec, s[18:19]
; %bb.4:                                ;   in Loop: Header=BB449_3 Depth=1
	v_mov_b32_e32 v3, v2
	v_mov_b32_e32 v4, v2
	;; [unrolled: 1-line block ×3, first 2 shown]
	ds_write_b128 v29, v[2:5]
; %bb.5:                                ;   in Loop: Header=BB449_3 Depth=1
	s_andn2_saveexec_b64 s[0:1], s[0:1]
	s_cbranch_execz .LBB449_7
; %bb.6:                                ;   in Loop: Header=BB449_3 Depth=1
	global_load_dwordx4 v[3:6], v[7:8], off
	s_waitcnt vmcnt(0)
	ds_write2_b64 v29, v[3:4], v[5:6] offset1:1
.LBB449_7:                              ;   in Loop: Header=BB449_3 Depth=1
	s_or_b64 exec, exec, s[0:1]
	v_add_u32_e32 v3, s23, v27
	v_cmp_gt_i32_e64 s[0:1], s11, v3
	v_mov_b32_e32 v3, 0
	v_mov_b32_e32 v5, 0
	;; [unrolled: 1-line block ×4, first 2 shown]
	s_and_b64 s[18:19], s[0:1], vcc
	s_and_saveexec_b64 s[0:1], s[18:19]
	s_cbranch_execz .LBB449_2
; %bb.8:                                ;   in Loop: Header=BB449_3 Depth=1
	global_load_dwordx4 v[3:6], v[9:10], off offset:-8
	s_waitcnt vmcnt(0)
	v_xor_b32_e32 v6, 0x80000000, v6
	s_branch .LBB449_2
.LBB449_9:
	v_mov_b32_e32 v17, 0
	v_mov_b32_e32 v21, 0
	;; [unrolled: 1-line block ×16, first 2 shown]
.LBB449_10:
	s_load_dwordx2 s[0:1], s[4:5], 0x68
	s_load_dwordx2 s[2:3], s[4:5], 0x58
	s_load_dword s6, s[4:5], 0x60
	v_add_u32_e32 v4, s22, v1
	v_add_u32_e32 v0, s9, v0
	s_waitcnt lgkmcnt(0)
	s_mul_i32 s1, s1, s8
	s_mul_hi_u32 s4, s0, s8
	s_add_i32 s1, s4, s1
	v_mad_i64_i32 v[1:2], s[4:5], v4, s6, 0
	s_mul_i32 s0, s0, s8
	s_lshl_b64 s[0:1], s[0:1], 4
	s_add_u32 s7, s2, s0
	v_lshlrev_b64 v[1:2], 4, v[1:2]
	s_addc_u32 s8, s3, s1
	v_mov_b32_e32 v3, s8
	v_add_co_u32_e32 v5, vcc, s7, v1
	v_addc_co_u32_e32 v6, vcc, v3, v2, vcc
	v_cmp_le_i32_e64 s[0:1], v4, v0
	v_cmp_gt_i32_e32 vcc, s10, v0
	s_and_b64 s[0:1], s[0:1], vcc
	s_and_saveexec_b64 s[2:3], s[0:1]
	s_cbranch_execz .LBB449_12
; %bb.11:
	v_mul_f64 v[2:3], s[12:13], v[21:22]
	v_mul_f64 v[7:8], s[14:15], v[21:22]
	v_ashrrev_i32_e32 v1, 31, v0
	v_lshlrev_b64 v[9:10], 4, v[0:1]
	v_fma_f64 v[2:3], s[14:15], v[17:18], v[2:3]
	v_fma_f64 v[7:8], s[12:13], v[17:18], -v[7:8]
	v_add_co_u32_e64 v17, s[0:1], v5, v9
	v_addc_co_u32_e64 v18, s[0:1], v6, v10, s[0:1]
	v_cmp_ne_u32_e64 s[0:1], v4, v0
	v_cndmask_b32_e64 v10, 0, v3, s[0:1]
	v_cndmask_b32_e64 v9, 0, v2, s[0:1]
	global_store_dwordx4 v[17:18], v[7:10], off
.LBB449_12:
	s_or_b64 exec, exec, s[2:3]
	v_add_u32_e32 v2, 16, v0
	v_cmp_le_i32_e64 s[2:3], v4, v2
	v_cmp_gt_i32_e64 s[0:1], s10, v2
	s_and_b64 s[2:3], s[2:3], s[0:1]
	s_and_saveexec_b64 s[4:5], s[2:3]
	s_cbranch_execz .LBB449_14
; %bb.13:
	v_mul_f64 v[7:8], s[12:13], v[13:14]
	v_mul_f64 v[9:10], s[14:15], v[13:14]
	v_ashrrev_i32_e32 v3, 31, v2
	v_lshlrev_b64 v[17:18], 4, v[2:3]
	v_add_co_u32_e64 v5, s[2:3], v5, v17
	v_addc_co_u32_e64 v6, s[2:3], v6, v18, s[2:3]
	v_fma_f64 v[13:14], s[14:15], v[11:12], v[7:8]
	v_fma_f64 v[7:8], s[12:13], v[11:12], -v[9:10]
	v_cmp_ne_u32_e64 s[2:3], v4, v2
	v_cndmask_b32_e64 v10, 0, v14, s[2:3]
	v_cndmask_b32_e64 v9, 0, v13, s[2:3]
	global_store_dwordx4 v[5:6], v[7:10], off
.LBB449_14:
	s_or_b64 exec, exec, s[4:5]
	v_add_u32_e32 v3, 16, v4
	v_mad_i64_i32 v[5:6], s[2:3], v3, s6, 0
	v_mov_b32_e32 v1, s8
	v_lshlrev_b64 v[5:6], 4, v[5:6]
	v_add_co_u32_e64 v5, s[2:3], s7, v5
	v_addc_co_u32_e64 v6, s[2:3], v1, v6, s[2:3]
	v_cmp_le_i32_e64 s[2:3], v3, v0
	s_and_b64 s[4:5], s[2:3], vcc
	s_and_saveexec_b64 s[2:3], s[4:5]
	s_cbranch_execz .LBB449_16
; %bb.15:
	v_mul_f64 v[7:8], s[12:13], v[19:20]
	v_mul_f64 v[9:10], s[14:15], v[19:20]
	v_ashrrev_i32_e32 v1, 31, v0
	v_lshlrev_b64 v[13:14], 4, v[0:1]
	v_add_co_u32_e32 v13, vcc, v5, v13
	v_addc_co_u32_e32 v14, vcc, v6, v14, vcc
	v_fma_f64 v[11:12], s[14:15], v[15:16], v[7:8]
	v_fma_f64 v[7:8], s[12:13], v[15:16], -v[9:10]
	v_cmp_ne_u32_e32 vcc, v3, v0
	v_cndmask_b32_e32 v10, 0, v12, vcc
	v_cndmask_b32_e32 v9, 0, v11, vcc
	global_store_dwordx4 v[13:14], v[7:10], off
.LBB449_16:
	s_or_b64 exec, exec, s[2:3]
	v_cmp_le_i32_e32 vcc, v3, v2
	s_and_b64 s[0:1], vcc, s[0:1]
	s_and_saveexec_b64 s[2:3], s[0:1]
	s_cbranch_execz .LBB449_18
; %bb.17:
	v_mul_f64 v[7:8], s[12:13], v[25:26]
	v_mul_f64 v[9:10], s[14:15], v[25:26]
	v_ashrrev_i32_e32 v3, 31, v2
	v_lshlrev_b64 v[11:12], 4, v[2:3]
	v_add_co_u32_e32 v5, vcc, v5, v11
	v_addc_co_u32_e32 v6, vcc, v6, v12, vcc
	v_fma_f64 v[7:8], s[14:15], v[23:24], v[7:8]
	v_fma_f64 v[1:2], s[12:13], v[23:24], -v[9:10]
	v_cmp_ne_u32_e32 vcc, v4, v0
	v_cndmask_b32_e32 v4, 0, v8, vcc
	v_cndmask_b32_e32 v3, 0, v7, vcc
	global_store_dwordx4 v[5:6], v[1:4], off
.LBB449_18:
	s_endpgm
	.section	.rodata,"a",@progbits
	.p2align	6, 0x0
	.amdhsa_kernel _ZL34rocblas_syrkx_herkx_general_kernelIi19rocblas_complex_numIdELi16ELi32ELi8ELb1ELb1ELc78ELc76EKS1_S1_EviT_T0_PT8_S3_lS6_S3_lS4_PT9_S3_li
		.amdhsa_group_segment_fixed_size 8192
		.amdhsa_private_segment_fixed_size 0
		.amdhsa_kernarg_size 116
		.amdhsa_user_sgpr_count 6
		.amdhsa_user_sgpr_private_segment_buffer 1
		.amdhsa_user_sgpr_dispatch_ptr 0
		.amdhsa_user_sgpr_queue_ptr 0
		.amdhsa_user_sgpr_kernarg_segment_ptr 1
		.amdhsa_user_sgpr_dispatch_id 0
		.amdhsa_user_sgpr_flat_scratch_init 0
		.amdhsa_user_sgpr_private_segment_size 0
		.amdhsa_uses_dynamic_stack 0
		.amdhsa_system_sgpr_private_segment_wavefront_offset 0
		.amdhsa_system_sgpr_workgroup_id_x 1
		.amdhsa_system_sgpr_workgroup_id_y 1
		.amdhsa_system_sgpr_workgroup_id_z 1
		.amdhsa_system_sgpr_workgroup_info 0
		.amdhsa_system_vgpr_workitem_id 1
		.amdhsa_next_free_vgpr 59
		.amdhsa_next_free_sgpr 61
		.amdhsa_reserve_vcc 1
		.amdhsa_reserve_flat_scratch 0
		.amdhsa_float_round_mode_32 0
		.amdhsa_float_round_mode_16_64 0
		.amdhsa_float_denorm_mode_32 3
		.amdhsa_float_denorm_mode_16_64 3
		.amdhsa_dx10_clamp 1
		.amdhsa_ieee_mode 1
		.amdhsa_fp16_overflow 0
		.amdhsa_exception_fp_ieee_invalid_op 0
		.amdhsa_exception_fp_denorm_src 0
		.amdhsa_exception_fp_ieee_div_zero 0
		.amdhsa_exception_fp_ieee_overflow 0
		.amdhsa_exception_fp_ieee_underflow 0
		.amdhsa_exception_fp_ieee_inexact 0
		.amdhsa_exception_int_div_zero 0
	.end_amdhsa_kernel
	.section	.text._ZL34rocblas_syrkx_herkx_general_kernelIi19rocblas_complex_numIdELi16ELi32ELi8ELb1ELb1ELc78ELc76EKS1_S1_EviT_T0_PT8_S3_lS6_S3_lS4_PT9_S3_li,"axG",@progbits,_ZL34rocblas_syrkx_herkx_general_kernelIi19rocblas_complex_numIdELi16ELi32ELi8ELb1ELb1ELc78ELc76EKS1_S1_EviT_T0_PT8_S3_lS6_S3_lS4_PT9_S3_li,comdat
.Lfunc_end449:
	.size	_ZL34rocblas_syrkx_herkx_general_kernelIi19rocblas_complex_numIdELi16ELi32ELi8ELb1ELb1ELc78ELc76EKS1_S1_EviT_T0_PT8_S3_lS6_S3_lS4_PT9_S3_li, .Lfunc_end449-_ZL34rocblas_syrkx_herkx_general_kernelIi19rocblas_complex_numIdELi16ELi32ELi8ELb1ELb1ELc78ELc76EKS1_S1_EviT_T0_PT8_S3_lS6_S3_lS4_PT9_S3_li
                                        ; -- End function
	.set _ZL34rocblas_syrkx_herkx_general_kernelIi19rocblas_complex_numIdELi16ELi32ELi8ELb1ELb1ELc78ELc76EKS1_S1_EviT_T0_PT8_S3_lS6_S3_lS4_PT9_S3_li.num_vgpr, 59
	.set _ZL34rocblas_syrkx_herkx_general_kernelIi19rocblas_complex_numIdELi16ELi32ELi8ELb1ELb1ELc78ELc76EKS1_S1_EviT_T0_PT8_S3_lS6_S3_lS4_PT9_S3_li.num_agpr, 0
	.set _ZL34rocblas_syrkx_herkx_general_kernelIi19rocblas_complex_numIdELi16ELi32ELi8ELb1ELb1ELc78ELc76EKS1_S1_EviT_T0_PT8_S3_lS6_S3_lS4_PT9_S3_li.numbered_sgpr, 28
	.set _ZL34rocblas_syrkx_herkx_general_kernelIi19rocblas_complex_numIdELi16ELi32ELi8ELb1ELb1ELc78ELc76EKS1_S1_EviT_T0_PT8_S3_lS6_S3_lS4_PT9_S3_li.num_named_barrier, 0
	.set _ZL34rocblas_syrkx_herkx_general_kernelIi19rocblas_complex_numIdELi16ELi32ELi8ELb1ELb1ELc78ELc76EKS1_S1_EviT_T0_PT8_S3_lS6_S3_lS4_PT9_S3_li.private_seg_size, 0
	.set _ZL34rocblas_syrkx_herkx_general_kernelIi19rocblas_complex_numIdELi16ELi32ELi8ELb1ELb1ELc78ELc76EKS1_S1_EviT_T0_PT8_S3_lS6_S3_lS4_PT9_S3_li.uses_vcc, 1
	.set _ZL34rocblas_syrkx_herkx_general_kernelIi19rocblas_complex_numIdELi16ELi32ELi8ELb1ELb1ELc78ELc76EKS1_S1_EviT_T0_PT8_S3_lS6_S3_lS4_PT9_S3_li.uses_flat_scratch, 0
	.set _ZL34rocblas_syrkx_herkx_general_kernelIi19rocblas_complex_numIdELi16ELi32ELi8ELb1ELb1ELc78ELc76EKS1_S1_EviT_T0_PT8_S3_lS6_S3_lS4_PT9_S3_li.has_dyn_sized_stack, 0
	.set _ZL34rocblas_syrkx_herkx_general_kernelIi19rocblas_complex_numIdELi16ELi32ELi8ELb1ELb1ELc78ELc76EKS1_S1_EviT_T0_PT8_S3_lS6_S3_lS4_PT9_S3_li.has_recursion, 0
	.set _ZL34rocblas_syrkx_herkx_general_kernelIi19rocblas_complex_numIdELi16ELi32ELi8ELb1ELb1ELc78ELc76EKS1_S1_EviT_T0_PT8_S3_lS6_S3_lS4_PT9_S3_li.has_indirect_call, 0
	.section	.AMDGPU.csdata,"",@progbits
; Kernel info:
; codeLenInByte = 3236
; TotalNumSgprs: 32
; NumVgprs: 59
; ScratchSize: 0
; MemoryBound: 1
; FloatMode: 240
; IeeeMode: 1
; LDSByteSize: 8192 bytes/workgroup (compile time only)
; SGPRBlocks: 8
; VGPRBlocks: 14
; NumSGPRsForWavesPerEU: 65
; NumVGPRsForWavesPerEU: 59
; Occupancy: 4
; WaveLimiterHint : 0
; COMPUTE_PGM_RSRC2:SCRATCH_EN: 0
; COMPUTE_PGM_RSRC2:USER_SGPR: 6
; COMPUTE_PGM_RSRC2:TRAP_HANDLER: 0
; COMPUTE_PGM_RSRC2:TGID_X_EN: 1
; COMPUTE_PGM_RSRC2:TGID_Y_EN: 1
; COMPUTE_PGM_RSRC2:TGID_Z_EN: 1
; COMPUTE_PGM_RSRC2:TIDIG_COMP_CNT: 1
	.section	.text._ZL34rocblas_syrkx_herkx_general_kernelIi19rocblas_complex_numIdELi16ELi32ELi8ELb1ELb1ELc84ELc85EKS1_S1_EviT_T0_PT8_S3_lS6_S3_lS4_PT9_S3_li,"axG",@progbits,_ZL34rocblas_syrkx_herkx_general_kernelIi19rocblas_complex_numIdELi16ELi32ELi8ELb1ELb1ELc84ELc85EKS1_S1_EviT_T0_PT8_S3_lS6_S3_lS4_PT9_S3_li,comdat
	.globl	_ZL34rocblas_syrkx_herkx_general_kernelIi19rocblas_complex_numIdELi16ELi32ELi8ELb1ELb1ELc84ELc85EKS1_S1_EviT_T0_PT8_S3_lS6_S3_lS4_PT9_S3_li ; -- Begin function _ZL34rocblas_syrkx_herkx_general_kernelIi19rocblas_complex_numIdELi16ELi32ELi8ELb1ELb1ELc84ELc85EKS1_S1_EviT_T0_PT8_S3_lS6_S3_lS4_PT9_S3_li
	.p2align	8
	.type	_ZL34rocblas_syrkx_herkx_general_kernelIi19rocblas_complex_numIdELi16ELi32ELi8ELb1ELb1ELc84ELc85EKS1_S1_EviT_T0_PT8_S3_lS6_S3_lS4_PT9_S3_li,@function
_ZL34rocblas_syrkx_herkx_general_kernelIi19rocblas_complex_numIdELi16ELi32ELi8ELb1ELb1ELc84ELc85EKS1_S1_EviT_T0_PT8_S3_lS6_S3_lS4_PT9_S3_li: ; @_ZL34rocblas_syrkx_herkx_general_kernelIi19rocblas_complex_numIdELi16ELi32ELi8ELb1ELb1ELc84ELc85EKS1_S1_EviT_T0_PT8_S3_lS6_S3_lS4_PT9_S3_li
; %bb.0:
	s_load_dwordx2 s[10:11], s[4:5], 0x0
	s_load_dwordx4 s[12:15], s[4:5], 0x8
	s_load_dwordx2 s[20:21], s[4:5], 0x18
	s_lshl_b32 s9, s6, 5
	s_lshl_b32 s22, s7, 5
	s_waitcnt lgkmcnt(0)
	s_cmp_lt_i32 s11, 1
	s_mov_b32 s23, 0
	s_cbranch_scc1 .LBB450_11
; %bb.1:
	v_lshl_add_u32 v2, v1, 4, v0
	v_lshrrev_b32_e32 v27, 5, v2
	v_lshrrev_b32_e32 v3, 3, v2
	v_and_b32_e32 v2, 31, v2
	v_or_b32_e32 v5, s9, v2
	v_and_b32_e32 v26, 7, v0
	v_cmp_gt_i32_e32 vcc, s10, v5
	v_lshlrev_b32_e32 v5, 4, v2
	s_load_dword s2, s[4:5], 0x20
	s_load_dwordx4 s[16:19], s[4:5], 0x28
	s_load_dword s24, s[4:5], 0x38
	s_load_dwordx2 s[6:7], s[4:5], 0x40
	v_lshl_or_b32 v28, v27, 9, v5
	v_lshlrev_b32_e32 v5, 4, v26
	v_add_u32_e32 v4, s22, v3
	v_lshl_or_b32 v3, v3, 7, v5
	v_add_u32_e32 v2, s9, v2
	v_add_u32_e32 v29, 0x1000, v3
	s_waitcnt lgkmcnt(0)
	v_mad_i64_i32 v[2:3], s[2:3], s2, v2, 0
	s_mul_i32 s2, s17, s8
	s_mul_hi_u32 s3, s16, s8
	v_lshlrev_b64 v[2:3], 4, v[2:3]
	s_add_i32 s3, s3, s2
	s_mul_i32 s2, s16, s8
	v_mov_b32_e32 v6, 0x1000
	s_lshl_b64 s[2:3], s[2:3], 4
	v_lshl_add_u32 v31, v1, 7, v6
	v_mov_b32_e32 v6, s3
	v_add_co_u32_e64 v2, s[2:3], s2, v2
	v_addc_co_u32_e64 v3, s[2:3], v3, v6, s[2:3]
	v_lshlrev_b32_e32 v6, 4, v27
	v_add_co_u32_e64 v6, s[2:3], v2, v6
	v_addc_co_u32_e64 v7, s[2:3], 0, v3, s[2:3]
	v_mad_i64_i32 v[2:3], s[2:3], s24, v4, 0
	v_mov_b32_e32 v8, s21
	v_add_co_u32_e64 v6, s[2:3], s20, v6
	v_addc_co_u32_e64 v7, s[2:3], v8, v7, s[2:3]
	s_mul_i32 s2, s7, s8
	s_mul_hi_u32 s3, s6, s8
	v_lshlrev_b64 v[2:3], 4, v[2:3]
	s_add_i32 s3, s3, s2
	s_mul_i32 s2, s6, s8
	s_lshl_b64 s[2:3], s[2:3], 4
	v_cmp_gt_i32_e64 s[0:1], s10, v4
	v_mov_b32_e32 v4, s3
	v_add_co_u32_e64 v2, s[2:3], s2, v2
	v_addc_co_u32_e64 v3, s[2:3], v3, v4, s[2:3]
	v_add_co_u32_e64 v2, s[2:3], v2, v5
	v_addc_co_u32_e64 v3, s[2:3], 0, v3, s[2:3]
	v_mov_b32_e32 v4, s19
	v_add_co_u32_e64 v8, s[2:3], s18, v2
	v_addc_co_u32_e64 v9, s[2:3], v4, v3, s[2:3]
	v_mov_b32_e32 v24, 0
	v_mov_b32_e32 v22, 0
	;; [unrolled: 1-line block ×8, first 2 shown]
	v_lshlrev_b32_e32 v30, 4, v0
	v_mov_b32_e32 v25, 0
	s_xor_b64 s[2:3], vcc, -1
	s_xor_b64 s[0:1], s[0:1], -1
	v_mov_b32_e32 v23, 0
	v_mov_b32_e32 v17, 0
	;; [unrolled: 1-line block ×8, first 2 shown]
	s_branch .LBB450_3
.LBB450_2:                              ;   in Loop: Header=BB450_3 Depth=1
	s_or_b64 exec, exec, s[6:7]
	s_waitcnt lgkmcnt(0)
	s_barrier
	ds_read_b128 v[32:35], v31
	ds_read_b128 v[36:39], v31 offset:16
	ds_read_b128 v[40:43], v31 offset:32
	;; [unrolled: 1-line block ×3, first 2 shown]
	ds_read_b128 v[48:51], v30
	v_add_co_u32_e32 v6, vcc, 0x80, v6
	v_addc_co_u32_e32 v7, vcc, 0, v7, vcc
	s_waitcnt lgkmcnt(0)
	v_mul_f64 v[3:4], v[34:35], v[50:51]
	v_mul_f64 v[52:53], v[32:33], v[50:51]
	s_add_i32 s23, s23, 8
	v_add_co_u32_e32 v8, vcc, 0x80, v8
	v_addc_co_u32_e32 v9, vcc, 0, v9, vcc
	s_cmp_ge_i32 s23, s11
	v_fma_f64 v[3:4], v[32:33], v[48:49], -v[3:4]
	v_fma_f64 v[52:53], v[34:35], v[48:49], v[52:53]
	v_add_f64 v[3:4], v[18:19], v[3:4]
	v_add_f64 v[52:53], v[52:53], v[20:21]
	ds_read_b128 v[18:21], v30 offset:256
	s_waitcnt lgkmcnt(0)
	v_mul_f64 v[54:55], v[34:35], v[20:21]
	v_fma_f64 v[54:55], v[32:33], v[18:19], -v[54:55]
	v_mul_f64 v[32:33], v[32:33], v[20:21]
	v_fma_f64 v[32:33], v[34:35], v[18:19], v[32:33]
	v_add_f64 v[34:35], v[10:11], v[54:55]
	v_add_f64 v[32:33], v[32:33], v[12:13]
	ds_read_b128 v[10:13], v31 offset:2048
	s_waitcnt lgkmcnt(0)
	v_mul_f64 v[54:55], v[12:13], v[50:51]
	v_mul_f64 v[50:51], v[10:11], v[50:51]
	v_fma_f64 v[54:55], v[10:11], v[48:49], -v[54:55]
	v_fma_f64 v[48:49], v[12:13], v[48:49], v[50:51]
	v_add_f64 v[50:51], v[14:15], v[54:55]
	v_mul_f64 v[14:15], v[12:13], v[20:21]
	v_add_f64 v[48:49], v[48:49], v[16:17]
	v_fma_f64 v[14:15], v[10:11], v[18:19], -v[14:15]
	v_mul_f64 v[10:11], v[10:11], v[20:21]
	v_add_f64 v[22:23], v[22:23], v[14:15]
	v_fma_f64 v[10:11], v[12:13], v[18:19], v[10:11]
	v_add_f64 v[24:25], v[10:11], v[24:25]
	ds_read_b128 v[10:13], v30 offset:512
	s_waitcnt lgkmcnt(0)
	v_mul_f64 v[14:15], v[38:39], v[12:13]
	v_mul_f64 v[16:17], v[36:37], v[12:13]
	v_fma_f64 v[14:15], v[36:37], v[10:11], -v[14:15]
	v_fma_f64 v[16:17], v[38:39], v[10:11], v[16:17]
	v_add_f64 v[3:4], v[3:4], v[14:15]
	v_add_f64 v[52:53], v[16:17], v[52:53]
	ds_read_b128 v[14:17], v30 offset:768
	s_waitcnt lgkmcnt(0)
	v_mul_f64 v[18:19], v[38:39], v[16:17]
	v_mul_f64 v[20:21], v[36:37], v[16:17]
	v_fma_f64 v[18:19], v[36:37], v[14:15], -v[18:19]
	v_fma_f64 v[20:21], v[38:39], v[14:15], v[20:21]
	v_add_f64 v[34:35], v[34:35], v[18:19]
	v_add_f64 v[32:33], v[20:21], v[32:33]
	ds_read_b128 v[18:21], v31 offset:2064
	s_waitcnt lgkmcnt(0)
	v_mul_f64 v[36:37], v[20:21], v[12:13]
	v_mul_f64 v[12:13], v[18:19], v[12:13]
	v_fma_f64 v[36:37], v[18:19], v[10:11], -v[36:37]
	v_fma_f64 v[10:11], v[20:21], v[10:11], v[12:13]
	v_mul_f64 v[12:13], v[18:19], v[16:17]
	v_add_f64 v[36:37], v[50:51], v[36:37]
	v_add_f64 v[38:39], v[10:11], v[48:49]
	v_mul_f64 v[10:11], v[20:21], v[16:17]
	v_fma_f64 v[12:13], v[20:21], v[14:15], v[12:13]
	v_fma_f64 v[10:11], v[18:19], v[14:15], -v[10:11]
	v_add_f64 v[24:25], v[12:13], v[24:25]
	v_add_f64 v[22:23], v[22:23], v[10:11]
	ds_read_b128 v[10:13], v30 offset:1024
	s_waitcnt lgkmcnt(0)
	v_mul_f64 v[14:15], v[42:43], v[12:13]
	v_mul_f64 v[16:17], v[40:41], v[12:13]
	v_fma_f64 v[14:15], v[40:41], v[10:11], -v[14:15]
	v_fma_f64 v[16:17], v[42:43], v[10:11], v[16:17]
	v_add_f64 v[3:4], v[3:4], v[14:15]
	v_add_f64 v[48:49], v[16:17], v[52:53]
	ds_read_b128 v[14:17], v30 offset:1280
	s_waitcnt lgkmcnt(0)
	v_mul_f64 v[18:19], v[42:43], v[16:17]
	v_mul_f64 v[20:21], v[40:41], v[16:17]
	v_fma_f64 v[18:19], v[40:41], v[14:15], -v[18:19]
	v_fma_f64 v[20:21], v[42:43], v[14:15], v[20:21]
	v_add_f64 v[34:35], v[34:35], v[18:19]
	v_add_f64 v[32:33], v[20:21], v[32:33]
	ds_read_b128 v[18:21], v31 offset:2080
	s_waitcnt lgkmcnt(0)
	v_mul_f64 v[40:41], v[20:21], v[12:13]
	v_mul_f64 v[12:13], v[18:19], v[12:13]
	v_fma_f64 v[40:41], v[18:19], v[10:11], -v[40:41]
	v_fma_f64 v[10:11], v[20:21], v[10:11], v[12:13]
	v_mul_f64 v[12:13], v[18:19], v[16:17]
	v_add_f64 v[36:37], v[36:37], v[40:41]
	v_add_f64 v[38:39], v[10:11], v[38:39]
	v_mul_f64 v[10:11], v[20:21], v[16:17]
	v_fma_f64 v[12:13], v[20:21], v[14:15], v[12:13]
	v_fma_f64 v[10:11], v[18:19], v[14:15], -v[10:11]
	v_add_f64 v[24:25], v[12:13], v[24:25]
	;; [unrolled: 30-line block ×3, first 2 shown]
	v_add_f64 v[22:23], v[22:23], v[10:11]
	ds_read_b128 v[10:13], v31 offset:64
	ds_read_b128 v[14:17], v30 offset:2048
	s_waitcnt lgkmcnt(0)
	v_mul_f64 v[18:19], v[12:13], v[16:17]
	v_mul_f64 v[20:21], v[10:11], v[16:17]
	v_fma_f64 v[18:19], v[10:11], v[14:15], -v[18:19]
	v_fma_f64 v[20:21], v[12:13], v[14:15], v[20:21]
	v_add_f64 v[3:4], v[3:4], v[18:19]
	v_add_f64 v[40:41], v[20:21], v[40:41]
	ds_read_b128 v[18:21], v30 offset:2304
	s_waitcnt lgkmcnt(0)
	v_mul_f64 v[42:43], v[12:13], v[20:21]
	v_fma_f64 v[42:43], v[10:11], v[18:19], -v[42:43]
	v_mul_f64 v[10:11], v[10:11], v[20:21]
	v_add_f64 v[34:35], v[34:35], v[42:43]
	v_fma_f64 v[10:11], v[12:13], v[18:19], v[10:11]
	v_add_f64 v[32:33], v[10:11], v[32:33]
	ds_read_b128 v[10:13], v31 offset:2112
	s_waitcnt lgkmcnt(0)
	v_mul_f64 v[42:43], v[12:13], v[16:17]
	v_mul_f64 v[16:17], v[10:11], v[16:17]
	v_fma_f64 v[42:43], v[10:11], v[14:15], -v[42:43]
	v_fma_f64 v[14:15], v[12:13], v[14:15], v[16:17]
	v_add_f64 v[36:37], v[36:37], v[42:43]
	v_add_f64 v[38:39], v[14:15], v[38:39]
	v_mul_f64 v[14:15], v[12:13], v[20:21]
	v_fma_f64 v[14:15], v[10:11], v[18:19], -v[14:15]
	v_mul_f64 v[10:11], v[10:11], v[20:21]
	v_add_f64 v[22:23], v[22:23], v[14:15]
	v_fma_f64 v[10:11], v[12:13], v[18:19], v[10:11]
	v_add_f64 v[24:25], v[10:11], v[24:25]
	ds_read_b128 v[10:13], v31 offset:80
	ds_read_b128 v[14:17], v30 offset:2560
	s_waitcnt lgkmcnt(0)
	v_mul_f64 v[18:19], v[12:13], v[16:17]
	v_mul_f64 v[20:21], v[10:11], v[16:17]
	v_fma_f64 v[18:19], v[10:11], v[14:15], -v[18:19]
	v_fma_f64 v[20:21], v[12:13], v[14:15], v[20:21]
	v_add_f64 v[3:4], v[3:4], v[18:19]
	v_add_f64 v[40:41], v[20:21], v[40:41]
	ds_read_b128 v[18:21], v30 offset:2816
	s_waitcnt lgkmcnt(0)
	v_mul_f64 v[42:43], v[12:13], v[20:21]
	v_fma_f64 v[42:43], v[10:11], v[18:19], -v[42:43]
	v_mul_f64 v[10:11], v[10:11], v[20:21]
	v_add_f64 v[34:35], v[34:35], v[42:43]
	v_fma_f64 v[10:11], v[12:13], v[18:19], v[10:11]
	v_add_f64 v[32:33], v[10:11], v[32:33]
	ds_read_b128 v[10:13], v31 offset:2128
	s_waitcnt lgkmcnt(0)
	v_mul_f64 v[42:43], v[12:13], v[16:17]
	v_mul_f64 v[16:17], v[10:11], v[16:17]
	v_fma_f64 v[42:43], v[10:11], v[14:15], -v[42:43]
	v_fma_f64 v[14:15], v[12:13], v[14:15], v[16:17]
	v_add_f64 v[36:37], v[36:37], v[42:43]
	v_add_f64 v[38:39], v[14:15], v[38:39]
	v_mul_f64 v[14:15], v[12:13], v[20:21]
	v_fma_f64 v[14:15], v[10:11], v[18:19], -v[14:15]
	v_mul_f64 v[10:11], v[10:11], v[20:21]
	v_add_f64 v[22:23], v[22:23], v[14:15]
	v_fma_f64 v[10:11], v[12:13], v[18:19], v[10:11]
	;; [unrolled: 31-line block ×3, first 2 shown]
	v_add_f64 v[44:45], v[10:11], v[24:25]
	ds_read_b128 v[10:13], v31 offset:112
	ds_read_b128 v[14:17], v30 offset:3584
	;; [unrolled: 1-line block ×3, first 2 shown]
	s_waitcnt lgkmcnt(1)
	v_mul_f64 v[18:19], v[12:13], v[16:17]
	v_mul_f64 v[20:21], v[10:11], v[16:17]
	v_fma_f64 v[18:19], v[10:11], v[14:15], -v[18:19]
	v_fma_f64 v[20:21], v[12:13], v[14:15], v[20:21]
	v_add_f64 v[18:19], v[3:4], v[18:19]
	s_waitcnt lgkmcnt(0)
	v_mul_f64 v[3:4], v[12:13], v[24:25]
	v_add_f64 v[20:21], v[20:21], v[40:41]
	v_fma_f64 v[3:4], v[10:11], v[22:23], -v[3:4]
	v_mul_f64 v[10:11], v[10:11], v[24:25]
	v_fma_f64 v[12:13], v[12:13], v[22:23], v[10:11]
	v_add_f64 v[10:11], v[34:35], v[3:4]
	v_add_f64 v[12:13], v[12:13], v[32:33]
	ds_read_b128 v[32:35], v31 offset:2160
	s_waitcnt lgkmcnt(0)
	s_barrier
	v_mul_f64 v[3:4], v[34:35], v[16:17]
	v_mul_f64 v[16:17], v[32:33], v[16:17]
	v_fma_f64 v[3:4], v[32:33], v[14:15], -v[3:4]
	v_fma_f64 v[16:17], v[34:35], v[14:15], v[16:17]
	v_add_f64 v[14:15], v[36:37], v[3:4]
	v_mul_f64 v[3:4], v[34:35], v[24:25]
	v_mul_f64 v[24:25], v[32:33], v[24:25]
	v_add_f64 v[16:17], v[16:17], v[38:39]
	v_fma_f64 v[3:4], v[32:33], v[22:23], -v[3:4]
	v_fma_f64 v[24:25], v[34:35], v[22:23], v[24:25]
	v_add_f64 v[22:23], v[42:43], v[3:4]
	v_add_f64 v[24:25], v[24:25], v[44:45]
	s_cbranch_scc1 .LBB450_12
.LBB450_3:                              ; =>This Inner Loop Header: Depth=1
	v_add_u32_e32 v3, s23, v27
	v_cmp_le_i32_e32 vcc, s11, v3
	s_or_b64 s[6:7], s[2:3], vcc
	s_and_saveexec_b64 s[16:17], s[6:7]
	s_xor_b64 s[6:7], exec, s[16:17]
; %bb.4:                                ;   in Loop: Header=BB450_3 Depth=1
	v_mov_b32_e32 v3, v2
	v_mov_b32_e32 v4, v2
	;; [unrolled: 1-line block ×3, first 2 shown]
	ds_write_b128 v28, v[2:5]
; %bb.5:                                ;   in Loop: Header=BB450_3 Depth=1
	s_andn2_saveexec_b64 s[6:7], s[6:7]
	s_cbranch_execz .LBB450_7
; %bb.6:                                ;   in Loop: Header=BB450_3 Depth=1
	global_load_dwordx4 v[32:35], v[6:7], off
	s_waitcnt vmcnt(0)
	ds_write2_b64 v28, v[32:33], v[34:35] offset1:1
.LBB450_7:                              ;   in Loop: Header=BB450_3 Depth=1
	s_or_b64 exec, exec, s[6:7]
	v_add_u32_e32 v3, s23, v26
	v_cmp_le_i32_e32 vcc, s11, v3
	s_or_b64 s[6:7], vcc, s[0:1]
	s_and_saveexec_b64 s[16:17], s[6:7]
	s_xor_b64 s[6:7], exec, s[16:17]
; %bb.8:                                ;   in Loop: Header=BB450_3 Depth=1
	v_mov_b32_e32 v3, v2
	v_mov_b32_e32 v4, v2
	;; [unrolled: 1-line block ×3, first 2 shown]
	ds_write_b128 v29, v[2:5]
; %bb.9:                                ;   in Loop: Header=BB450_3 Depth=1
	s_andn2_saveexec_b64 s[6:7], s[6:7]
	s_cbranch_execz .LBB450_2
; %bb.10:                               ;   in Loop: Header=BB450_3 Depth=1
	global_load_dwordx4 v[32:35], v[8:9], off
	s_waitcnt vmcnt(0)
	ds_write2_b64 v29, v[32:33], v[34:35] offset1:1
	s_branch .LBB450_2
.LBB450_11:
	v_mov_b32_e32 v18, 0
	v_mov_b32_e32 v20, 0
	;; [unrolled: 1-line block ×16, first 2 shown]
.LBB450_12:
	s_load_dwordx2 s[0:1], s[4:5], 0x68
	s_load_dwordx2 s[2:3], s[4:5], 0x58
	s_load_dword s6, s[4:5], 0x60
	v_add_u32_e32 v4, s22, v1
	v_add_u32_e32 v0, s9, v0
	s_waitcnt lgkmcnt(0)
	s_mul_i32 s1, s1, s8
	s_mul_hi_u32 s4, s0, s8
	v_mad_i64_i32 v[1:2], s[16:17], v4, s6, 0
	s_mul_i32 s0, s0, s8
	s_add_i32 s1, s4, s1
	s_lshl_b64 s[0:1], s[0:1], 4
	s_add_u32 s4, s2, s0
	v_lshlrev_b64 v[1:2], 4, v[1:2]
	s_addc_u32 s5, s3, s1
	v_mov_b32_e32 v3, s5
	v_add_co_u32_e64 v5, s[0:1], s4, v1
	v_addc_co_u32_e64 v6, s[0:1], v3, v2, s[0:1]
	v_cmp_gt_i32_e32 vcc, s10, v4
	v_cmp_le_i32_e64 s[0:1], v0, v4
	s_and_b64 s[0:1], vcc, s[0:1]
	s_and_saveexec_b64 s[2:3], s[0:1]
	s_cbranch_execz .LBB450_14
; %bb.13:
	v_mul_f64 v[2:3], s[12:13], v[20:21]
	v_mul_f64 v[7:8], s[14:15], v[20:21]
	v_ashrrev_i32_e32 v1, 31, v0
	v_lshlrev_b64 v[20:21], 4, v[0:1]
	v_fma_f64 v[2:3], s[14:15], v[18:19], v[2:3]
	v_fma_f64 v[18:19], s[12:13], v[18:19], -v[7:8]
	v_add_co_u32_e64 v7, s[0:1], v5, v20
	v_addc_co_u32_e64 v8, s[0:1], v6, v21, s[0:1]
	v_cmp_ne_u32_e64 s[0:1], v4, v0
	v_cndmask_b32_e64 v21, 0, v3, s[0:1]
	v_cndmask_b32_e64 v20, 0, v2, s[0:1]
	global_store_dwordx4 v[7:8], v[18:21], off
.LBB450_14:
	s_or_b64 exec, exec, s[2:3]
	v_add_u32_e32 v2, 16, v0
	v_cmp_le_i32_e64 s[0:1], v2, v4
	s_and_b64 s[2:3], vcc, s[0:1]
	s_and_saveexec_b64 s[0:1], s[2:3]
	s_cbranch_execz .LBB450_16
; %bb.15:
	v_mul_f64 v[7:8], s[12:13], v[12:13]
	v_mul_f64 v[12:13], s[14:15], v[12:13]
	v_ashrrev_i32_e32 v3, 31, v2
	v_lshlrev_b64 v[20:21], 4, v[2:3]
	v_add_co_u32_e32 v5, vcc, v5, v20
	v_addc_co_u32_e32 v6, vcc, v6, v21, vcc
	v_fma_f64 v[18:19], s[14:15], v[10:11], v[7:8]
	v_fma_f64 v[7:8], s[12:13], v[10:11], -v[12:13]
	v_cmp_ne_u32_e32 vcc, v4, v2
	v_cndmask_b32_e32 v10, 0, v19, vcc
	v_cndmask_b32_e32 v9, 0, v18, vcc
	global_store_dwordx4 v[5:6], v[7:10], off
.LBB450_16:
	s_or_b64 exec, exec, s[0:1]
	v_add_u32_e32 v3, 16, v4
	v_mad_i64_i32 v[5:6], s[0:1], v3, s6, 0
	v_mov_b32_e32 v1, s5
	v_cmp_gt_i32_e32 vcc, s10, v3
	v_lshlrev_b64 v[5:6], 4, v[5:6]
	v_add_co_u32_e64 v5, s[0:1], s4, v5
	v_addc_co_u32_e64 v6, s[0:1], v1, v6, s[0:1]
	v_cmp_le_i32_e64 s[0:1], v0, v3
	s_and_b64 s[0:1], vcc, s[0:1]
	s_and_saveexec_b64 s[2:3], s[0:1]
	s_cbranch_execz .LBB450_18
; %bb.17:
	v_mul_f64 v[7:8], s[12:13], v[16:17]
	v_mul_f64 v[9:10], s[14:15], v[16:17]
	v_ashrrev_i32_e32 v1, 31, v0
	v_lshlrev_b64 v[16:17], 4, v[0:1]
	v_add_co_u32_e64 v13, s[0:1], v5, v16
	v_fma_f64 v[11:12], s[14:15], v[14:15], v[7:8]
	v_fma_f64 v[7:8], s[12:13], v[14:15], -v[9:10]
	v_addc_co_u32_e64 v14, s[0:1], v6, v17, s[0:1]
	v_cmp_ne_u32_e64 s[0:1], v3, v0
	v_cndmask_b32_e64 v10, 0, v12, s[0:1]
	v_cndmask_b32_e64 v9, 0, v11, s[0:1]
	global_store_dwordx4 v[13:14], v[7:10], off
.LBB450_18:
	s_or_b64 exec, exec, s[2:3]
	v_cmp_le_i32_e64 s[0:1], v2, v3
	s_and_b64 s[0:1], vcc, s[0:1]
	s_and_saveexec_b64 s[2:3], s[0:1]
	s_cbranch_execz .LBB450_20
; %bb.19:
	v_mul_f64 v[7:8], s[12:13], v[24:25]
	v_mul_f64 v[9:10], s[14:15], v[24:25]
	v_ashrrev_i32_e32 v3, 31, v2
	v_lshlrev_b64 v[11:12], 4, v[2:3]
	v_add_co_u32_e32 v5, vcc, v5, v11
	v_addc_co_u32_e32 v6, vcc, v6, v12, vcc
	v_fma_f64 v[7:8], s[14:15], v[22:23], v[7:8]
	v_fma_f64 v[1:2], s[12:13], v[22:23], -v[9:10]
	v_cmp_ne_u32_e32 vcc, v4, v0
	v_cndmask_b32_e32 v4, 0, v8, vcc
	v_cndmask_b32_e32 v3, 0, v7, vcc
	global_store_dwordx4 v[5:6], v[1:4], off
.LBB450_20:
	s_endpgm
	.section	.rodata,"a",@progbits
	.p2align	6, 0x0
	.amdhsa_kernel _ZL34rocblas_syrkx_herkx_general_kernelIi19rocblas_complex_numIdELi16ELi32ELi8ELb1ELb1ELc84ELc85EKS1_S1_EviT_T0_PT8_S3_lS6_S3_lS4_PT9_S3_li
		.amdhsa_group_segment_fixed_size 8192
		.amdhsa_private_segment_fixed_size 0
		.amdhsa_kernarg_size 116
		.amdhsa_user_sgpr_count 6
		.amdhsa_user_sgpr_private_segment_buffer 1
		.amdhsa_user_sgpr_dispatch_ptr 0
		.amdhsa_user_sgpr_queue_ptr 0
		.amdhsa_user_sgpr_kernarg_segment_ptr 1
		.amdhsa_user_sgpr_dispatch_id 0
		.amdhsa_user_sgpr_flat_scratch_init 0
		.amdhsa_user_sgpr_private_segment_size 0
		.amdhsa_uses_dynamic_stack 0
		.amdhsa_system_sgpr_private_segment_wavefront_offset 0
		.amdhsa_system_sgpr_workgroup_id_x 1
		.amdhsa_system_sgpr_workgroup_id_y 1
		.amdhsa_system_sgpr_workgroup_id_z 1
		.amdhsa_system_sgpr_workgroup_info 0
		.amdhsa_system_vgpr_workitem_id 1
		.amdhsa_next_free_vgpr 56
		.amdhsa_next_free_sgpr 61
		.amdhsa_reserve_vcc 1
		.amdhsa_reserve_flat_scratch 0
		.amdhsa_float_round_mode_32 0
		.amdhsa_float_round_mode_16_64 0
		.amdhsa_float_denorm_mode_32 3
		.amdhsa_float_denorm_mode_16_64 3
		.amdhsa_dx10_clamp 1
		.amdhsa_ieee_mode 1
		.amdhsa_fp16_overflow 0
		.amdhsa_exception_fp_ieee_invalid_op 0
		.amdhsa_exception_fp_denorm_src 0
		.amdhsa_exception_fp_ieee_div_zero 0
		.amdhsa_exception_fp_ieee_overflow 0
		.amdhsa_exception_fp_ieee_underflow 0
		.amdhsa_exception_fp_ieee_inexact 0
		.amdhsa_exception_int_div_zero 0
	.end_amdhsa_kernel
	.section	.text._ZL34rocblas_syrkx_herkx_general_kernelIi19rocblas_complex_numIdELi16ELi32ELi8ELb1ELb1ELc84ELc85EKS1_S1_EviT_T0_PT8_S3_lS6_S3_lS4_PT9_S3_li,"axG",@progbits,_ZL34rocblas_syrkx_herkx_general_kernelIi19rocblas_complex_numIdELi16ELi32ELi8ELb1ELb1ELc84ELc85EKS1_S1_EviT_T0_PT8_S3_lS6_S3_lS4_PT9_S3_li,comdat
.Lfunc_end450:
	.size	_ZL34rocblas_syrkx_herkx_general_kernelIi19rocblas_complex_numIdELi16ELi32ELi8ELb1ELb1ELc84ELc85EKS1_S1_EviT_T0_PT8_S3_lS6_S3_lS4_PT9_S3_li, .Lfunc_end450-_ZL34rocblas_syrkx_herkx_general_kernelIi19rocblas_complex_numIdELi16ELi32ELi8ELb1ELb1ELc84ELc85EKS1_S1_EviT_T0_PT8_S3_lS6_S3_lS4_PT9_S3_li
                                        ; -- End function
	.set _ZL34rocblas_syrkx_herkx_general_kernelIi19rocblas_complex_numIdELi16ELi32ELi8ELb1ELb1ELc84ELc85EKS1_S1_EviT_T0_PT8_S3_lS6_S3_lS4_PT9_S3_li.num_vgpr, 56
	.set _ZL34rocblas_syrkx_herkx_general_kernelIi19rocblas_complex_numIdELi16ELi32ELi8ELb1ELb1ELc84ELc85EKS1_S1_EviT_T0_PT8_S3_lS6_S3_lS4_PT9_S3_li.num_agpr, 0
	.set _ZL34rocblas_syrkx_herkx_general_kernelIi19rocblas_complex_numIdELi16ELi32ELi8ELb1ELb1ELc84ELc85EKS1_S1_EviT_T0_PT8_S3_lS6_S3_lS4_PT9_S3_li.numbered_sgpr, 25
	.set _ZL34rocblas_syrkx_herkx_general_kernelIi19rocblas_complex_numIdELi16ELi32ELi8ELb1ELb1ELc84ELc85EKS1_S1_EviT_T0_PT8_S3_lS6_S3_lS4_PT9_S3_li.num_named_barrier, 0
	.set _ZL34rocblas_syrkx_herkx_general_kernelIi19rocblas_complex_numIdELi16ELi32ELi8ELb1ELb1ELc84ELc85EKS1_S1_EviT_T0_PT8_S3_lS6_S3_lS4_PT9_S3_li.private_seg_size, 0
	.set _ZL34rocblas_syrkx_herkx_general_kernelIi19rocblas_complex_numIdELi16ELi32ELi8ELb1ELb1ELc84ELc85EKS1_S1_EviT_T0_PT8_S3_lS6_S3_lS4_PT9_S3_li.uses_vcc, 1
	.set _ZL34rocblas_syrkx_herkx_general_kernelIi19rocblas_complex_numIdELi16ELi32ELi8ELb1ELb1ELc84ELc85EKS1_S1_EviT_T0_PT8_S3_lS6_S3_lS4_PT9_S3_li.uses_flat_scratch, 0
	.set _ZL34rocblas_syrkx_herkx_general_kernelIi19rocblas_complex_numIdELi16ELi32ELi8ELb1ELb1ELc84ELc85EKS1_S1_EviT_T0_PT8_S3_lS6_S3_lS4_PT9_S3_li.has_dyn_sized_stack, 0
	.set _ZL34rocblas_syrkx_herkx_general_kernelIi19rocblas_complex_numIdELi16ELi32ELi8ELb1ELb1ELc84ELc85EKS1_S1_EviT_T0_PT8_S3_lS6_S3_lS4_PT9_S3_li.has_recursion, 0
	.set _ZL34rocblas_syrkx_herkx_general_kernelIi19rocblas_complex_numIdELi16ELi32ELi8ELb1ELb1ELc84ELc85EKS1_S1_EviT_T0_PT8_S3_lS6_S3_lS4_PT9_S3_li.has_indirect_call, 0
	.section	.AMDGPU.csdata,"",@progbits
; Kernel info:
; codeLenInByte = 3176
; TotalNumSgprs: 29
; NumVgprs: 56
; ScratchSize: 0
; MemoryBound: 0
; FloatMode: 240
; IeeeMode: 1
; LDSByteSize: 8192 bytes/workgroup (compile time only)
; SGPRBlocks: 8
; VGPRBlocks: 13
; NumSGPRsForWavesPerEU: 65
; NumVGPRsForWavesPerEU: 56
; Occupancy: 4
; WaveLimiterHint : 0
; COMPUTE_PGM_RSRC2:SCRATCH_EN: 0
; COMPUTE_PGM_RSRC2:USER_SGPR: 6
; COMPUTE_PGM_RSRC2:TRAP_HANDLER: 0
; COMPUTE_PGM_RSRC2:TGID_X_EN: 1
; COMPUTE_PGM_RSRC2:TGID_Y_EN: 1
; COMPUTE_PGM_RSRC2:TGID_Z_EN: 1
; COMPUTE_PGM_RSRC2:TIDIG_COMP_CNT: 1
	.section	.text._ZL34rocblas_syrkx_herkx_general_kernelIi19rocblas_complex_numIdELi16ELi32ELi8ELb1ELb1ELc67ELc85EKS1_S1_EviT_T0_PT8_S3_lS6_S3_lS4_PT9_S3_li,"axG",@progbits,_ZL34rocblas_syrkx_herkx_general_kernelIi19rocblas_complex_numIdELi16ELi32ELi8ELb1ELb1ELc67ELc85EKS1_S1_EviT_T0_PT8_S3_lS6_S3_lS4_PT9_S3_li,comdat
	.globl	_ZL34rocblas_syrkx_herkx_general_kernelIi19rocblas_complex_numIdELi16ELi32ELi8ELb1ELb1ELc67ELc85EKS1_S1_EviT_T0_PT8_S3_lS6_S3_lS4_PT9_S3_li ; -- Begin function _ZL34rocblas_syrkx_herkx_general_kernelIi19rocblas_complex_numIdELi16ELi32ELi8ELb1ELb1ELc67ELc85EKS1_S1_EviT_T0_PT8_S3_lS6_S3_lS4_PT9_S3_li
	.p2align	8
	.type	_ZL34rocblas_syrkx_herkx_general_kernelIi19rocblas_complex_numIdELi16ELi32ELi8ELb1ELb1ELc67ELc85EKS1_S1_EviT_T0_PT8_S3_lS6_S3_lS4_PT9_S3_li,@function
_ZL34rocblas_syrkx_herkx_general_kernelIi19rocblas_complex_numIdELi16ELi32ELi8ELb1ELb1ELc67ELc85EKS1_S1_EviT_T0_PT8_S3_lS6_S3_lS4_PT9_S3_li: ; @_ZL34rocblas_syrkx_herkx_general_kernelIi19rocblas_complex_numIdELi16ELi32ELi8ELb1ELb1ELc67ELc85EKS1_S1_EviT_T0_PT8_S3_lS6_S3_lS4_PT9_S3_li
; %bb.0:
	s_load_dwordx2 s[10:11], s[4:5], 0x0
	s_load_dwordx4 s[12:15], s[4:5], 0x8
	s_load_dwordx2 s[20:21], s[4:5], 0x18
	s_lshl_b32 s9, s6, 5
	s_lshl_b32 s22, s7, 5
	s_waitcnt lgkmcnt(0)
	s_cmp_lt_i32 s11, 1
	s_mov_b32 s23, 0
	s_cbranch_scc1 .LBB451_9
; %bb.1:
	v_lshl_add_u32 v2, v1, 4, v0
	v_lshrrev_b32_e32 v28, 5, v2
	v_lshrrev_b32_e32 v3, 3, v2
	v_and_b32_e32 v2, 31, v2
	v_or_b32_e32 v5, s9, v2
	v_and_b32_e32 v27, 7, v0
	v_cmp_gt_i32_e64 s[0:1], s10, v5
	v_lshlrev_b32_e32 v5, 4, v2
	s_load_dword s2, s[4:5], 0x20
	s_load_dwordx4 s[16:19], s[4:5], 0x28
	s_load_dword s24, s[4:5], 0x38
	s_load_dwordx2 s[6:7], s[4:5], 0x40
	v_lshl_or_b32 v29, v28, 9, v5
	v_lshlrev_b32_e32 v5, 4, v27
	v_add_u32_e32 v4, s22, v3
	v_lshl_or_b32 v3, v3, 7, v5
	v_add_u32_e32 v2, s9, v2
	v_add_u32_e32 v30, 0x1000, v3
	s_waitcnt lgkmcnt(0)
	v_mad_i64_i32 v[2:3], s[2:3], s2, v2, 0
	s_mul_i32 s2, s17, s8
	s_mul_hi_u32 s3, s16, s8
	v_lshlrev_b64 v[2:3], 4, v[2:3]
	s_add_i32 s3, s3, s2
	s_mul_i32 s2, s16, s8
	v_mov_b32_e32 v6, 0x1000
	s_lshl_b64 s[2:3], s[2:3], 4
	v_lshl_add_u32 v32, v1, 7, v6
	v_mov_b32_e32 v6, s3
	v_add_co_u32_e64 v2, s[2:3], s2, v2
	v_addc_co_u32_e64 v3, s[2:3], v3, v6, s[2:3]
	v_lshlrev_b32_e32 v6, 4, v28
	v_add_co_u32_e64 v2, s[2:3], v2, v6
	v_addc_co_u32_e64 v3, s[2:3], 0, v3, s[2:3]
	v_mov_b32_e32 v6, s21
	v_add_co_u32_e64 v7, s[2:3], s20, v2
	v_addc_co_u32_e64 v6, s[2:3], v6, v3, s[2:3]
	v_mad_i64_i32 v[2:3], s[2:3], s24, v4, 0
	v_add_co_u32_e64 v7, s[2:3], 8, v7
	v_addc_co_u32_e64 v8, s[2:3], 0, v6, s[2:3]
	s_mul_i32 s2, s7, s8
	s_mul_hi_u32 s3, s6, s8
	v_lshlrev_b64 v[2:3], 4, v[2:3]
	s_add_i32 s3, s3, s2
	s_mul_i32 s2, s6, s8
	s_lshl_b64 s[2:3], s[2:3], 4
	v_cmp_gt_i32_e32 vcc, s10, v4
	v_mov_b32_e32 v4, s3
	v_add_co_u32_e64 v2, s[2:3], s2, v2
	v_addc_co_u32_e64 v3, s[2:3], v3, v4, s[2:3]
	v_add_co_u32_e64 v2, s[2:3], v2, v5
	v_addc_co_u32_e64 v3, s[2:3], 0, v3, s[2:3]
	v_mov_b32_e32 v4, s19
	v_add_co_u32_e64 v9, s[2:3], s18, v2
	v_addc_co_u32_e64 v10, s[2:3], v4, v3, s[2:3]
	v_mov_b32_e32 v25, 0
	v_mov_b32_e32 v23, 0
	;; [unrolled: 1-line block ×8, first 2 shown]
	v_lshlrev_b32_e32 v31, 4, v0
	v_mov_b32_e32 v26, 0
	s_xor_b64 s[2:3], vcc, -1
	v_mov_b32_e32 v24, 0
	v_mov_b32_e32 v18, 0
	;; [unrolled: 1-line block ×8, first 2 shown]
	s_branch .LBB451_3
.LBB451_2:                              ;   in Loop: Header=BB451_3 Depth=1
	s_or_b64 exec, exec, s[6:7]
	s_waitcnt lgkmcnt(0)
	s_barrier
	ds_read_b128 v[3:6], v32
	ds_read_b128 v[33:36], v32 offset:16
	ds_read_b128 v[37:40], v32 offset:32
	;; [unrolled: 1-line block ×3, first 2 shown]
	ds_read_b128 v[45:48], v31
	v_add_co_u32_e32 v7, vcc, 0x80, v7
	v_addc_co_u32_e32 v8, vcc, 0, v8, vcc
	s_waitcnt lgkmcnt(0)
	v_mul_f64 v[49:50], v[5:6], v[47:48]
	v_mul_f64 v[51:52], v[3:4], v[47:48]
	s_add_i32 s23, s23, 8
	v_add_co_u32_e32 v9, vcc, 0x80, v9
	v_addc_co_u32_e32 v10, vcc, 0, v10, vcc
	s_cmp_ge_i32 s23, s11
	v_fma_f64 v[49:50], v[3:4], v[45:46], -v[49:50]
	v_fma_f64 v[51:52], v[5:6], v[45:46], v[51:52]
	v_add_f64 v[49:50], v[19:20], v[49:50]
	v_add_f64 v[51:52], v[51:52], v[21:22]
	ds_read_b128 v[19:22], v31 offset:256
	s_waitcnt lgkmcnt(0)
	v_mul_f64 v[53:54], v[5:6], v[21:22]
	v_fma_f64 v[53:54], v[3:4], v[19:20], -v[53:54]
	v_mul_f64 v[3:4], v[3:4], v[21:22]
	v_add_f64 v[53:54], v[11:12], v[53:54]
	v_fma_f64 v[3:4], v[5:6], v[19:20], v[3:4]
	v_add_f64 v[55:56], v[3:4], v[13:14]
	ds_read_b128 v[3:6], v32 offset:2048
	s_waitcnt lgkmcnt(0)
	v_mul_f64 v[11:12], v[5:6], v[47:48]
	v_mul_f64 v[13:14], v[3:4], v[47:48]
	v_fma_f64 v[11:12], v[3:4], v[45:46], -v[11:12]
	v_fma_f64 v[13:14], v[5:6], v[45:46], v[13:14]
	v_add_f64 v[45:46], v[15:16], v[11:12]
	v_mul_f64 v[11:12], v[5:6], v[21:22]
	v_add_f64 v[47:48], v[13:14], v[17:18]
	v_fma_f64 v[11:12], v[3:4], v[19:20], -v[11:12]
	v_mul_f64 v[3:4], v[3:4], v[21:22]
	v_fma_f64 v[3:4], v[5:6], v[19:20], v[3:4]
	v_add_f64 v[19:20], v[23:24], v[11:12]
	v_add_f64 v[21:22], v[3:4], v[25:26]
	ds_read_b128 v[3:6], v31 offset:512
	s_waitcnt lgkmcnt(0)
	v_mul_f64 v[11:12], v[35:36], v[5:6]
	v_mul_f64 v[13:14], v[33:34], v[5:6]
	v_fma_f64 v[11:12], v[33:34], v[3:4], -v[11:12]
	v_fma_f64 v[13:14], v[35:36], v[3:4], v[13:14]
	v_add_f64 v[23:24], v[49:50], v[11:12]
	v_add_f64 v[25:26], v[13:14], v[51:52]
	ds_read_b128 v[11:14], v31 offset:768
	s_waitcnt lgkmcnt(0)
	v_mul_f64 v[15:16], v[35:36], v[13:14]
	v_mul_f64 v[17:18], v[33:34], v[13:14]
	v_fma_f64 v[15:16], v[33:34], v[11:12], -v[15:16]
	;; [unrolled: 8-line block ×3, first 2 shown]
	v_fma_f64 v[3:4], v[17:18], v[3:4], v[5:6]
	v_mul_f64 v[5:6], v[15:16], v[13:14]
	v_add_f64 v[45:46], v[45:46], v[49:50]
	v_add_f64 v[47:48], v[3:4], v[47:48]
	v_mul_f64 v[3:4], v[17:18], v[13:14]
	v_fma_f64 v[5:6], v[17:18], v[11:12], v[5:6]
	v_fma_f64 v[3:4], v[15:16], v[11:12], -v[3:4]
	v_add_f64 v[21:22], v[5:6], v[21:22]
	v_add_f64 v[19:20], v[19:20], v[3:4]
	ds_read_b128 v[3:6], v31 offset:1024
	s_waitcnt lgkmcnt(0)
	v_mul_f64 v[11:12], v[39:40], v[5:6]
	v_mul_f64 v[13:14], v[37:38], v[5:6]
	v_fma_f64 v[11:12], v[37:38], v[3:4], -v[11:12]
	v_fma_f64 v[13:14], v[39:40], v[3:4], v[13:14]
	v_add_f64 v[23:24], v[23:24], v[11:12]
	v_add_f64 v[25:26], v[13:14], v[25:26]
	ds_read_b128 v[11:14], v31 offset:1280
	s_waitcnt lgkmcnt(0)
	v_mul_f64 v[15:16], v[39:40], v[13:14]
	v_mul_f64 v[17:18], v[37:38], v[13:14]
	v_fma_f64 v[15:16], v[37:38], v[11:12], -v[15:16]
	v_fma_f64 v[17:18], v[39:40], v[11:12], v[17:18]
	;; [unrolled: 8-line block ×3, first 2 shown]
	v_mul_f64 v[5:6], v[15:16], v[13:14]
	v_add_f64 v[37:38], v[45:46], v[37:38]
	v_add_f64 v[39:40], v[3:4], v[47:48]
	v_mul_f64 v[3:4], v[17:18], v[13:14]
	v_fma_f64 v[5:6], v[17:18], v[11:12], v[5:6]
	v_fma_f64 v[3:4], v[15:16], v[11:12], -v[3:4]
	v_add_f64 v[21:22], v[5:6], v[21:22]
	v_add_f64 v[19:20], v[19:20], v[3:4]
	ds_read_b128 v[3:6], v31 offset:1536
	s_waitcnt lgkmcnt(0)
	v_mul_f64 v[11:12], v[43:44], v[5:6]
	v_mul_f64 v[13:14], v[41:42], v[5:6]
	v_fma_f64 v[11:12], v[41:42], v[3:4], -v[11:12]
	v_fma_f64 v[13:14], v[43:44], v[3:4], v[13:14]
	v_add_f64 v[23:24], v[23:24], v[11:12]
	v_add_f64 v[25:26], v[13:14], v[25:26]
	ds_read_b128 v[11:14], v31 offset:1792
	s_waitcnt lgkmcnt(0)
	v_mul_f64 v[15:16], v[43:44], v[13:14]
	v_mul_f64 v[17:18], v[41:42], v[13:14]
	v_fma_f64 v[15:16], v[41:42], v[11:12], -v[15:16]
	v_fma_f64 v[17:18], v[43:44], v[11:12], v[17:18]
	;; [unrolled: 8-line block ×3, first 2 shown]
	v_mul_f64 v[5:6], v[15:16], v[13:14]
	v_add_f64 v[37:38], v[37:38], v[41:42]
	v_add_f64 v[39:40], v[3:4], v[39:40]
	v_mul_f64 v[3:4], v[17:18], v[13:14]
	v_fma_f64 v[5:6], v[17:18], v[11:12], v[5:6]
	v_fma_f64 v[3:4], v[15:16], v[11:12], -v[3:4]
	v_add_f64 v[21:22], v[5:6], v[21:22]
	v_add_f64 v[19:20], v[19:20], v[3:4]
	ds_read_b128 v[3:6], v32 offset:64
	ds_read_b128 v[11:14], v31 offset:2048
	s_waitcnt lgkmcnt(0)
	v_mul_f64 v[15:16], v[5:6], v[13:14]
	v_mul_f64 v[17:18], v[3:4], v[13:14]
	v_fma_f64 v[15:16], v[3:4], v[11:12], -v[15:16]
	v_fma_f64 v[17:18], v[5:6], v[11:12], v[17:18]
	v_add_f64 v[23:24], v[23:24], v[15:16]
	v_add_f64 v[25:26], v[17:18], v[25:26]
	ds_read_b128 v[15:18], v31 offset:2304
	s_waitcnt lgkmcnt(0)
	v_mul_f64 v[41:42], v[5:6], v[17:18]
	v_fma_f64 v[41:42], v[3:4], v[15:16], -v[41:42]
	v_mul_f64 v[3:4], v[3:4], v[17:18]
	v_add_f64 v[33:34], v[33:34], v[41:42]
	v_fma_f64 v[3:4], v[5:6], v[15:16], v[3:4]
	v_add_f64 v[35:36], v[3:4], v[35:36]
	ds_read_b128 v[3:6], v32 offset:2112
	s_waitcnt lgkmcnt(0)
	v_mul_f64 v[41:42], v[5:6], v[13:14]
	v_mul_f64 v[13:14], v[3:4], v[13:14]
	v_fma_f64 v[41:42], v[3:4], v[11:12], -v[41:42]
	v_fma_f64 v[11:12], v[5:6], v[11:12], v[13:14]
	v_add_f64 v[37:38], v[37:38], v[41:42]
	v_add_f64 v[39:40], v[11:12], v[39:40]
	v_mul_f64 v[11:12], v[5:6], v[17:18]
	v_fma_f64 v[11:12], v[3:4], v[15:16], -v[11:12]
	v_mul_f64 v[3:4], v[3:4], v[17:18]
	v_add_f64 v[19:20], v[19:20], v[11:12]
	v_fma_f64 v[3:4], v[5:6], v[15:16], v[3:4]
	v_add_f64 v[21:22], v[3:4], v[21:22]
	ds_read_b128 v[3:6], v32 offset:80
	ds_read_b128 v[11:14], v31 offset:2560
	s_waitcnt lgkmcnt(0)
	v_mul_f64 v[15:16], v[5:6], v[13:14]
	v_mul_f64 v[17:18], v[3:4], v[13:14]
	v_fma_f64 v[15:16], v[3:4], v[11:12], -v[15:16]
	v_fma_f64 v[17:18], v[5:6], v[11:12], v[17:18]
	v_add_f64 v[23:24], v[23:24], v[15:16]
	v_add_f64 v[25:26], v[17:18], v[25:26]
	ds_read_b128 v[15:18], v31 offset:2816
	s_waitcnt lgkmcnt(0)
	v_mul_f64 v[41:42], v[5:6], v[17:18]
	v_fma_f64 v[41:42], v[3:4], v[15:16], -v[41:42]
	v_mul_f64 v[3:4], v[3:4], v[17:18]
	v_add_f64 v[33:34], v[33:34], v[41:42]
	v_fma_f64 v[3:4], v[5:6], v[15:16], v[3:4]
	v_add_f64 v[35:36], v[3:4], v[35:36]
	ds_read_b128 v[3:6], v32 offset:2128
	s_waitcnt lgkmcnt(0)
	v_mul_f64 v[41:42], v[5:6], v[13:14]
	v_mul_f64 v[13:14], v[3:4], v[13:14]
	v_fma_f64 v[41:42], v[3:4], v[11:12], -v[41:42]
	v_fma_f64 v[11:12], v[5:6], v[11:12], v[13:14]
	v_add_f64 v[37:38], v[37:38], v[41:42]
	v_add_f64 v[39:40], v[11:12], v[39:40]
	v_mul_f64 v[11:12], v[5:6], v[17:18]
	v_fma_f64 v[11:12], v[3:4], v[15:16], -v[11:12]
	v_mul_f64 v[3:4], v[3:4], v[17:18]
	v_add_f64 v[19:20], v[19:20], v[11:12]
	v_fma_f64 v[3:4], v[5:6], v[15:16], v[3:4]
	;; [unrolled: 31-line block ×3, first 2 shown]
	v_add_f64 v[43:44], v[3:4], v[21:22]
	ds_read_b128 v[3:6], v32 offset:112
	ds_read_b128 v[15:18], v31 offset:3584
	s_waitcnt lgkmcnt(0)
	v_mul_f64 v[11:12], v[5:6], v[17:18]
	v_mul_f64 v[13:14], v[3:4], v[17:18]
	v_fma_f64 v[11:12], v[3:4], v[15:16], -v[11:12]
	v_fma_f64 v[13:14], v[5:6], v[15:16], v[13:14]
	v_add_f64 v[19:20], v[23:24], v[11:12]
	v_add_f64 v[21:22], v[13:14], v[25:26]
	ds_read_b128 v[23:26], v31 offset:3840
	s_waitcnt lgkmcnt(0)
	v_mul_f64 v[11:12], v[5:6], v[25:26]
	v_fma_f64 v[11:12], v[3:4], v[23:24], -v[11:12]
	v_mul_f64 v[3:4], v[3:4], v[25:26]
	v_add_f64 v[11:12], v[33:34], v[11:12]
	v_fma_f64 v[3:4], v[5:6], v[23:24], v[3:4]
	v_add_f64 v[13:14], v[3:4], v[35:36]
	ds_read_b128 v[3:6], v32 offset:2160
	s_waitcnt lgkmcnt(0)
	s_barrier
	v_mul_f64 v[33:34], v[5:6], v[17:18]
	v_mul_f64 v[17:18], v[3:4], v[17:18]
	v_fma_f64 v[33:34], v[3:4], v[15:16], -v[33:34]
	v_fma_f64 v[17:18], v[5:6], v[15:16], v[17:18]
	v_add_f64 v[15:16], v[37:38], v[33:34]
	v_mul_f64 v[33:34], v[5:6], v[25:26]
	v_add_f64 v[17:18], v[17:18], v[39:40]
	v_fma_f64 v[33:34], v[3:4], v[23:24], -v[33:34]
	v_mul_f64 v[3:4], v[3:4], v[25:26]
	v_fma_f64 v[3:4], v[5:6], v[23:24], v[3:4]
	v_add_f64 v[23:24], v[41:42], v[33:34]
	v_add_f64 v[25:26], v[3:4], v[43:44]
	s_cbranch_scc1 .LBB451_10
.LBB451_3:                              ; =>This Inner Loop Header: Depth=1
	v_add_u32_e32 v3, s23, v28
	v_cmp_gt_i32_e32 vcc, s11, v3
	v_mov_b32_e32 v3, 0
	v_mov_b32_e32 v5, 0
	;; [unrolled: 1-line block ×4, first 2 shown]
	s_and_b64 s[16:17], s[0:1], vcc
	s_and_saveexec_b64 s[6:7], s[16:17]
	s_cbranch_execz .LBB451_5
; %bb.4:                                ;   in Loop: Header=BB451_3 Depth=1
	global_load_dwordx4 v[3:6], v[7:8], off offset:-8
	s_waitcnt vmcnt(0)
	v_xor_b32_e32 v6, 0x80000000, v6
.LBB451_5:                              ;   in Loop: Header=BB451_3 Depth=1
	s_or_b64 exec, exec, s[6:7]
	ds_write_b128 v29, v[3:6]
	v_add_u32_e32 v3, s23, v27
	v_cmp_le_i32_e32 vcc, s11, v3
	s_or_b64 s[6:7], vcc, s[2:3]
	s_and_saveexec_b64 s[16:17], s[6:7]
	s_xor_b64 s[6:7], exec, s[16:17]
; %bb.6:                                ;   in Loop: Header=BB451_3 Depth=1
	v_mov_b32_e32 v3, v2
	v_mov_b32_e32 v4, v2
	;; [unrolled: 1-line block ×3, first 2 shown]
	ds_write_b128 v30, v[2:5]
; %bb.7:                                ;   in Loop: Header=BB451_3 Depth=1
	s_andn2_saveexec_b64 s[6:7], s[6:7]
	s_cbranch_execz .LBB451_2
; %bb.8:                                ;   in Loop: Header=BB451_3 Depth=1
	global_load_dwordx4 v[3:6], v[9:10], off
	s_waitcnt vmcnt(0)
	ds_write2_b64 v30, v[3:4], v[5:6] offset1:1
	s_branch .LBB451_2
.LBB451_9:
	v_mov_b32_e32 v19, 0
	v_mov_b32_e32 v21, 0
	;; [unrolled: 1-line block ×16, first 2 shown]
.LBB451_10:
	s_load_dwordx2 s[0:1], s[4:5], 0x68
	s_load_dwordx2 s[2:3], s[4:5], 0x58
	s_load_dword s6, s[4:5], 0x60
	v_add_u32_e32 v4, s22, v1
	v_add_u32_e32 v0, s9, v0
	s_waitcnt lgkmcnt(0)
	s_mul_i32 s1, s1, s8
	s_mul_hi_u32 s4, s0, s8
	v_mad_i64_i32 v[1:2], s[16:17], v4, s6, 0
	s_mul_i32 s0, s0, s8
	s_add_i32 s1, s4, s1
	s_lshl_b64 s[0:1], s[0:1], 4
	s_add_u32 s4, s2, s0
	v_lshlrev_b64 v[1:2], 4, v[1:2]
	s_addc_u32 s5, s3, s1
	v_mov_b32_e32 v3, s5
	v_add_co_u32_e64 v5, s[0:1], s4, v1
	v_addc_co_u32_e64 v6, s[0:1], v3, v2, s[0:1]
	v_cmp_gt_i32_e32 vcc, s10, v4
	v_cmp_le_i32_e64 s[0:1], v0, v4
	s_and_b64 s[0:1], vcc, s[0:1]
	s_and_saveexec_b64 s[2:3], s[0:1]
	s_cbranch_execz .LBB451_12
; %bb.11:
	v_mul_f64 v[2:3], s[12:13], v[21:22]
	v_mul_f64 v[7:8], s[14:15], v[21:22]
	v_ashrrev_i32_e32 v1, 31, v0
	v_lshlrev_b64 v[9:10], 4, v[0:1]
	v_fma_f64 v[2:3], s[14:15], v[19:20], v[2:3]
	v_fma_f64 v[7:8], s[12:13], v[19:20], -v[7:8]
	v_add_co_u32_e64 v19, s[0:1], v5, v9
	v_addc_co_u32_e64 v20, s[0:1], v6, v10, s[0:1]
	v_cmp_ne_u32_e64 s[0:1], v4, v0
	v_cndmask_b32_e64 v10, 0, v3, s[0:1]
	v_cndmask_b32_e64 v9, 0, v2, s[0:1]
	global_store_dwordx4 v[19:20], v[7:10], off
.LBB451_12:
	s_or_b64 exec, exec, s[2:3]
	v_add_u32_e32 v2, 16, v0
	v_cmp_le_i32_e64 s[0:1], v2, v4
	s_and_b64 s[2:3], vcc, s[0:1]
	s_and_saveexec_b64 s[0:1], s[2:3]
	s_cbranch_execz .LBB451_14
; %bb.13:
	v_mul_f64 v[7:8], s[12:13], v[13:14]
	v_mul_f64 v[9:10], s[14:15], v[13:14]
	v_ashrrev_i32_e32 v3, 31, v2
	v_lshlrev_b64 v[19:20], 4, v[2:3]
	v_add_co_u32_e32 v5, vcc, v5, v19
	v_addc_co_u32_e32 v6, vcc, v6, v20, vcc
	v_fma_f64 v[13:14], s[14:15], v[11:12], v[7:8]
	v_fma_f64 v[7:8], s[12:13], v[11:12], -v[9:10]
	v_cmp_ne_u32_e32 vcc, v4, v2
	v_cndmask_b32_e32 v10, 0, v14, vcc
	v_cndmask_b32_e32 v9, 0, v13, vcc
	global_store_dwordx4 v[5:6], v[7:10], off
.LBB451_14:
	s_or_b64 exec, exec, s[0:1]
	v_add_u32_e32 v3, 16, v4
	v_mad_i64_i32 v[5:6], s[0:1], v3, s6, 0
	v_mov_b32_e32 v1, s5
	v_cmp_gt_i32_e32 vcc, s10, v3
	v_lshlrev_b64 v[5:6], 4, v[5:6]
	v_add_co_u32_e64 v5, s[0:1], s4, v5
	v_addc_co_u32_e64 v6, s[0:1], v1, v6, s[0:1]
	v_cmp_le_i32_e64 s[0:1], v0, v3
	s_and_b64 s[0:1], vcc, s[0:1]
	s_and_saveexec_b64 s[2:3], s[0:1]
	s_cbranch_execz .LBB451_16
; %bb.15:
	v_mul_f64 v[7:8], s[12:13], v[17:18]
	v_mul_f64 v[9:10], s[14:15], v[17:18]
	v_ashrrev_i32_e32 v1, 31, v0
	v_lshlrev_b64 v[13:14], 4, v[0:1]
	v_add_co_u32_e64 v13, s[0:1], v5, v13
	v_addc_co_u32_e64 v14, s[0:1], v6, v14, s[0:1]
	v_fma_f64 v[11:12], s[14:15], v[15:16], v[7:8]
	v_fma_f64 v[7:8], s[12:13], v[15:16], -v[9:10]
	v_cmp_ne_u32_e64 s[0:1], v3, v0
	v_cndmask_b32_e64 v10, 0, v12, s[0:1]
	v_cndmask_b32_e64 v9, 0, v11, s[0:1]
	global_store_dwordx4 v[13:14], v[7:10], off
.LBB451_16:
	s_or_b64 exec, exec, s[2:3]
	v_cmp_le_i32_e64 s[0:1], v2, v3
	s_and_b64 s[0:1], vcc, s[0:1]
	s_and_saveexec_b64 s[2:3], s[0:1]
	s_cbranch_execz .LBB451_18
; %bb.17:
	v_mul_f64 v[7:8], s[12:13], v[25:26]
	v_mul_f64 v[9:10], s[14:15], v[25:26]
	v_ashrrev_i32_e32 v3, 31, v2
	v_lshlrev_b64 v[11:12], 4, v[2:3]
	v_add_co_u32_e32 v5, vcc, v5, v11
	v_addc_co_u32_e32 v6, vcc, v6, v12, vcc
	v_fma_f64 v[7:8], s[14:15], v[23:24], v[7:8]
	v_fma_f64 v[1:2], s[12:13], v[23:24], -v[9:10]
	v_cmp_ne_u32_e32 vcc, v4, v0
	v_cndmask_b32_e32 v4, 0, v8, vcc
	v_cndmask_b32_e32 v3, 0, v7, vcc
	global_store_dwordx4 v[5:6], v[1:4], off
.LBB451_18:
	s_endpgm
	.section	.rodata,"a",@progbits
	.p2align	6, 0x0
	.amdhsa_kernel _ZL34rocblas_syrkx_herkx_general_kernelIi19rocblas_complex_numIdELi16ELi32ELi8ELb1ELb1ELc67ELc85EKS1_S1_EviT_T0_PT8_S3_lS6_S3_lS4_PT9_S3_li
		.amdhsa_group_segment_fixed_size 8192
		.amdhsa_private_segment_fixed_size 0
		.amdhsa_kernarg_size 116
		.amdhsa_user_sgpr_count 6
		.amdhsa_user_sgpr_private_segment_buffer 1
		.amdhsa_user_sgpr_dispatch_ptr 0
		.amdhsa_user_sgpr_queue_ptr 0
		.amdhsa_user_sgpr_kernarg_segment_ptr 1
		.amdhsa_user_sgpr_dispatch_id 0
		.amdhsa_user_sgpr_flat_scratch_init 0
		.amdhsa_user_sgpr_private_segment_size 0
		.amdhsa_uses_dynamic_stack 0
		.amdhsa_system_sgpr_private_segment_wavefront_offset 0
		.amdhsa_system_sgpr_workgroup_id_x 1
		.amdhsa_system_sgpr_workgroup_id_y 1
		.amdhsa_system_sgpr_workgroup_id_z 1
		.amdhsa_system_sgpr_workgroup_info 0
		.amdhsa_system_vgpr_workitem_id 1
		.amdhsa_next_free_vgpr 57
		.amdhsa_next_free_sgpr 61
		.amdhsa_reserve_vcc 1
		.amdhsa_reserve_flat_scratch 0
		.amdhsa_float_round_mode_32 0
		.amdhsa_float_round_mode_16_64 0
		.amdhsa_float_denorm_mode_32 3
		.amdhsa_float_denorm_mode_16_64 3
		.amdhsa_dx10_clamp 1
		.amdhsa_ieee_mode 1
		.amdhsa_fp16_overflow 0
		.amdhsa_exception_fp_ieee_invalid_op 0
		.amdhsa_exception_fp_denorm_src 0
		.amdhsa_exception_fp_ieee_div_zero 0
		.amdhsa_exception_fp_ieee_overflow 0
		.amdhsa_exception_fp_ieee_underflow 0
		.amdhsa_exception_fp_ieee_inexact 0
		.amdhsa_exception_int_div_zero 0
	.end_amdhsa_kernel
	.section	.text._ZL34rocblas_syrkx_herkx_general_kernelIi19rocblas_complex_numIdELi16ELi32ELi8ELb1ELb1ELc67ELc85EKS1_S1_EviT_T0_PT8_S3_lS6_S3_lS4_PT9_S3_li,"axG",@progbits,_ZL34rocblas_syrkx_herkx_general_kernelIi19rocblas_complex_numIdELi16ELi32ELi8ELb1ELb1ELc67ELc85EKS1_S1_EviT_T0_PT8_S3_lS6_S3_lS4_PT9_S3_li,comdat
.Lfunc_end451:
	.size	_ZL34rocblas_syrkx_herkx_general_kernelIi19rocblas_complex_numIdELi16ELi32ELi8ELb1ELb1ELc67ELc85EKS1_S1_EviT_T0_PT8_S3_lS6_S3_lS4_PT9_S3_li, .Lfunc_end451-_ZL34rocblas_syrkx_herkx_general_kernelIi19rocblas_complex_numIdELi16ELi32ELi8ELb1ELb1ELc67ELc85EKS1_S1_EviT_T0_PT8_S3_lS6_S3_lS4_PT9_S3_li
                                        ; -- End function
	.set _ZL34rocblas_syrkx_herkx_general_kernelIi19rocblas_complex_numIdELi16ELi32ELi8ELb1ELb1ELc67ELc85EKS1_S1_EviT_T0_PT8_S3_lS6_S3_lS4_PT9_S3_li.num_vgpr, 57
	.set _ZL34rocblas_syrkx_herkx_general_kernelIi19rocblas_complex_numIdELi16ELi32ELi8ELb1ELb1ELc67ELc85EKS1_S1_EviT_T0_PT8_S3_lS6_S3_lS4_PT9_S3_li.num_agpr, 0
	.set _ZL34rocblas_syrkx_herkx_general_kernelIi19rocblas_complex_numIdELi16ELi32ELi8ELb1ELb1ELc67ELc85EKS1_S1_EviT_T0_PT8_S3_lS6_S3_lS4_PT9_S3_li.numbered_sgpr, 25
	.set _ZL34rocblas_syrkx_herkx_general_kernelIi19rocblas_complex_numIdELi16ELi32ELi8ELb1ELb1ELc67ELc85EKS1_S1_EviT_T0_PT8_S3_lS6_S3_lS4_PT9_S3_li.num_named_barrier, 0
	.set _ZL34rocblas_syrkx_herkx_general_kernelIi19rocblas_complex_numIdELi16ELi32ELi8ELb1ELb1ELc67ELc85EKS1_S1_EviT_T0_PT8_S3_lS6_S3_lS4_PT9_S3_li.private_seg_size, 0
	.set _ZL34rocblas_syrkx_herkx_general_kernelIi19rocblas_complex_numIdELi16ELi32ELi8ELb1ELb1ELc67ELc85EKS1_S1_EviT_T0_PT8_S3_lS6_S3_lS4_PT9_S3_li.uses_vcc, 1
	.set _ZL34rocblas_syrkx_herkx_general_kernelIi19rocblas_complex_numIdELi16ELi32ELi8ELb1ELb1ELc67ELc85EKS1_S1_EviT_T0_PT8_S3_lS6_S3_lS4_PT9_S3_li.uses_flat_scratch, 0
	.set _ZL34rocblas_syrkx_herkx_general_kernelIi19rocblas_complex_numIdELi16ELi32ELi8ELb1ELb1ELc67ELc85EKS1_S1_EviT_T0_PT8_S3_lS6_S3_lS4_PT9_S3_li.has_dyn_sized_stack, 0
	.set _ZL34rocblas_syrkx_herkx_general_kernelIi19rocblas_complex_numIdELi16ELi32ELi8ELb1ELb1ELc67ELc85EKS1_S1_EviT_T0_PT8_S3_lS6_S3_lS4_PT9_S3_li.has_recursion, 0
	.set _ZL34rocblas_syrkx_herkx_general_kernelIi19rocblas_complex_numIdELi16ELi32ELi8ELb1ELb1ELc67ELc85EKS1_S1_EviT_T0_PT8_S3_lS6_S3_lS4_PT9_S3_li.has_indirect_call, 0
	.section	.AMDGPU.csdata,"",@progbits
; Kernel info:
; codeLenInByte = 3184
; TotalNumSgprs: 29
; NumVgprs: 57
; ScratchSize: 0
; MemoryBound: 1
; FloatMode: 240
; IeeeMode: 1
; LDSByteSize: 8192 bytes/workgroup (compile time only)
; SGPRBlocks: 8
; VGPRBlocks: 14
; NumSGPRsForWavesPerEU: 65
; NumVGPRsForWavesPerEU: 57
; Occupancy: 4
; WaveLimiterHint : 0
; COMPUTE_PGM_RSRC2:SCRATCH_EN: 0
; COMPUTE_PGM_RSRC2:USER_SGPR: 6
; COMPUTE_PGM_RSRC2:TRAP_HANDLER: 0
; COMPUTE_PGM_RSRC2:TGID_X_EN: 1
; COMPUTE_PGM_RSRC2:TGID_Y_EN: 1
; COMPUTE_PGM_RSRC2:TGID_Z_EN: 1
; COMPUTE_PGM_RSRC2:TIDIG_COMP_CNT: 1
	.section	.text._ZL34rocblas_syrkx_herkx_general_kernelIi19rocblas_complex_numIdELi16ELi32ELi8ELb1ELb1ELc78ELc85EKS1_S1_EviT_T0_PT8_S3_lS6_S3_lS4_PT9_S3_li,"axG",@progbits,_ZL34rocblas_syrkx_herkx_general_kernelIi19rocblas_complex_numIdELi16ELi32ELi8ELb1ELb1ELc78ELc85EKS1_S1_EviT_T0_PT8_S3_lS6_S3_lS4_PT9_S3_li,comdat
	.globl	_ZL34rocblas_syrkx_herkx_general_kernelIi19rocblas_complex_numIdELi16ELi32ELi8ELb1ELb1ELc78ELc85EKS1_S1_EviT_T0_PT8_S3_lS6_S3_lS4_PT9_S3_li ; -- Begin function _ZL34rocblas_syrkx_herkx_general_kernelIi19rocblas_complex_numIdELi16ELi32ELi8ELb1ELb1ELc78ELc85EKS1_S1_EviT_T0_PT8_S3_lS6_S3_lS4_PT9_S3_li
	.p2align	8
	.type	_ZL34rocblas_syrkx_herkx_general_kernelIi19rocblas_complex_numIdELi16ELi32ELi8ELb1ELb1ELc78ELc85EKS1_S1_EviT_T0_PT8_S3_lS6_S3_lS4_PT9_S3_li,@function
_ZL34rocblas_syrkx_herkx_general_kernelIi19rocblas_complex_numIdELi16ELi32ELi8ELb1ELb1ELc78ELc85EKS1_S1_EviT_T0_PT8_S3_lS6_S3_lS4_PT9_S3_li: ; @_ZL34rocblas_syrkx_herkx_general_kernelIi19rocblas_complex_numIdELi16ELi32ELi8ELb1ELb1ELc78ELc85EKS1_S1_EviT_T0_PT8_S3_lS6_S3_lS4_PT9_S3_li
; %bb.0:
	s_load_dwordx2 s[10:11], s[4:5], 0x0
	s_load_dwordx4 s[12:15], s[4:5], 0x8
	s_load_dwordx2 s[20:21], s[4:5], 0x18
	s_lshl_b32 s9, s6, 5
	s_lshl_b32 s22, s7, 5
	s_waitcnt lgkmcnt(0)
	s_cmp_lt_i32 s11, 1
	s_mov_b32 s23, 0
	s_cbranch_scc1 .LBB452_9
; %bb.1:
	v_lshl_add_u32 v3, v1, 4, v0
	v_and_b32_e32 v6, 31, v3
	v_lshrrev_b32_e32 v28, 5, v3
	v_lshrrev_b32_e32 v4, 3, v3
	v_or_b32_e32 v3, s9, v6
	s_load_dword s6, s[4:5], 0x20
	s_load_dword s24, s[4:5], 0x38
	s_load_dwordx2 s[26:27], s[4:5], 0x40
	s_load_dwordx4 s[16:19], s[4:5], 0x28
	v_and_b32_e32 v27, 7, v0
	v_cmp_gt_i32_e64 s[0:1], s10, v3
	v_lshlrev_b32_e32 v3, 4, v6
	v_lshl_or_b32 v29, v28, 9, v3
	v_lshlrev_b32_e32 v3, 4, v27
	v_add_u32_e32 v2, s22, v4
	v_lshl_or_b32 v3, v4, 7, v3
	s_waitcnt lgkmcnt(0)
	v_mad_i64_i32 v[4:5], s[2:3], v28, s6, 0
	s_mul_i32 s2, s17, s8
	s_mul_hi_u32 s3, s16, s8
	v_lshlrev_b64 v[4:5], 4, v[4:5]
	s_add_i32 s3, s3, s2
	s_mul_i32 s2, s16, s8
	v_mov_b32_e32 v7, 0x1000
	s_lshl_b64 s[2:3], s[2:3], 4
	v_lshl_add_u32 v32, v1, 7, v7
	v_mov_b32_e32 v7, s3
	v_add_co_u32_e64 v8, s[2:3], s2, v4
	v_add_u32_e32 v4, s9, v6
	v_addc_co_u32_e64 v7, s[2:3], v5, v7, s[2:3]
	v_ashrrev_i32_e32 v5, 31, v4
	v_lshlrev_b64 v[4:5], 4, v[4:5]
	v_mov_b32_e32 v6, s21
	v_add_co_u32_e64 v4, s[2:3], v8, v4
	v_addc_co_u32_e64 v5, s[2:3], v7, v5, s[2:3]
	v_add_co_u32_e64 v7, s[2:3], s20, v4
	v_addc_co_u32_e64 v8, s[2:3], v6, v5, s[2:3]
	v_mad_i64_i32 v[4:5], s[2:3], s24, v27, 0
	s_mul_i32 s16, s27, s8
	s_mul_hi_u32 s17, s26, s8
	s_add_i32 s3, s17, s16
	s_mul_i32 s2, s26, s8
	v_lshlrev_b64 v[4:5], 4, v[4:5]
	v_add_u32_e32 v30, 0x1000, v3
	v_ashrrev_i32_e32 v3, 31, v2
	s_lshl_b64 s[2:3], s[2:3], 4
	v_cmp_gt_i32_e32 vcc, s10, v2
	v_mov_b32_e32 v6, s3
	v_add_co_u32_e64 v4, s[2:3], s2, v4
	v_lshlrev_b64 v[2:3], 4, v[2:3]
	v_addc_co_u32_e64 v5, s[2:3], v6, v5, s[2:3]
	v_add_co_u32_e64 v2, s[2:3], v4, v2
	v_addc_co_u32_e64 v3, s[2:3], v5, v3, s[2:3]
	v_mov_b32_e32 v4, s19
	v_add_co_u32_e64 v2, s[2:3], s18, v2
	v_addc_co_u32_e64 v3, s[2:3], v4, v3, s[2:3]
	v_add_co_u32_e64 v9, s[2:3], 8, v2
	s_ashr_i32 s7, s6, 31
	s_ashr_i32 s25, s24, 31
	v_addc_co_u32_e64 v10, s[2:3], 0, v3, s[2:3]
	s_lshl_b64 s[6:7], s[6:7], 7
	s_lshl_b64 s[2:3], s[24:25], 7
	v_mov_b32_e32 v25, 0
	v_mov_b32_e32 v23, 0
	;; [unrolled: 1-line block ×8, first 2 shown]
	v_lshlrev_b32_e32 v31, 4, v0
	v_mov_b32_e32 v26, 0
	s_xor_b64 s[16:17], s[0:1], -1
	v_mov_b32_e32 v33, s7
	v_mov_b32_e32 v34, s3
	;; [unrolled: 1-line block ×10, first 2 shown]
	s_branch .LBB452_3
.LBB452_2:                              ;   in Loop: Header=BB452_3 Depth=1
	s_or_b64 exec, exec, s[0:1]
	ds_write_b128 v30, v[3:6]
	s_waitcnt lgkmcnt(0)
	s_barrier
	ds_read_b128 v[3:6], v32
	ds_read_b128 v[35:38], v32 offset:16
	ds_read_b128 v[39:42], v32 offset:32
	;; [unrolled: 1-line block ×3, first 2 shown]
	ds_read_b128 v[47:50], v31
	v_add_co_u32_e64 v7, s[0:1], s6, v7
	v_addc_co_u32_e64 v8, s[0:1], v8, v33, s[0:1]
	s_waitcnt lgkmcnt(0)
	v_mul_f64 v[51:52], v[5:6], v[49:50]
	v_mul_f64 v[53:54], v[3:4], v[49:50]
	s_add_i32 s23, s23, 8
	v_add_co_u32_e64 v9, s[0:1], s2, v9
	v_addc_co_u32_e64 v10, s[0:1], v10, v34, s[0:1]
	s_cmp_ge_i32 s23, s11
	v_fma_f64 v[51:52], v[3:4], v[47:48], -v[51:52]
	v_fma_f64 v[53:54], v[5:6], v[47:48], v[53:54]
	v_add_f64 v[17:18], v[17:18], v[51:52]
	v_add_f64 v[21:22], v[53:54], v[21:22]
	ds_read_b128 v[51:54], v31 offset:256
	s_waitcnt lgkmcnt(0)
	v_mul_f64 v[55:56], v[5:6], v[53:54]
	v_fma_f64 v[55:56], v[3:4], v[51:52], -v[55:56]
	v_mul_f64 v[3:4], v[3:4], v[53:54]
	v_add_f64 v[55:56], v[11:12], v[55:56]
	v_fma_f64 v[3:4], v[5:6], v[51:52], v[3:4]
	v_add_f64 v[57:58], v[3:4], v[13:14]
	ds_read_b128 v[3:6], v32 offset:2048
	s_waitcnt lgkmcnt(0)
	v_mul_f64 v[11:12], v[5:6], v[49:50]
	v_mul_f64 v[13:14], v[3:4], v[49:50]
	v_fma_f64 v[11:12], v[3:4], v[47:48], -v[11:12]
	v_fma_f64 v[13:14], v[5:6], v[47:48], v[13:14]
	v_add_f64 v[47:48], v[15:16], v[11:12]
	v_mul_f64 v[11:12], v[5:6], v[53:54]
	v_add_f64 v[19:20], v[13:14], v[19:20]
	v_fma_f64 v[11:12], v[3:4], v[51:52], -v[11:12]
	v_mul_f64 v[3:4], v[3:4], v[53:54]
	v_add_f64 v[23:24], v[23:24], v[11:12]
	v_fma_f64 v[3:4], v[5:6], v[51:52], v[3:4]
	v_add_f64 v[25:26], v[3:4], v[25:26]
	ds_read_b128 v[3:6], v31 offset:512
	s_waitcnt lgkmcnt(0)
	v_mul_f64 v[11:12], v[37:38], v[5:6]
	v_mul_f64 v[13:14], v[35:36], v[5:6]
	v_fma_f64 v[11:12], v[35:36], v[3:4], -v[11:12]
	v_fma_f64 v[13:14], v[37:38], v[3:4], v[13:14]
	v_add_f64 v[49:50], v[17:18], v[11:12]
	v_add_f64 v[21:22], v[13:14], v[21:22]
	ds_read_b128 v[11:14], v31 offset:768
	s_waitcnt lgkmcnt(0)
	v_mul_f64 v[15:16], v[37:38], v[13:14]
	v_mul_f64 v[17:18], v[35:36], v[13:14]
	v_fma_f64 v[15:16], v[35:36], v[11:12], -v[15:16]
	v_fma_f64 v[17:18], v[37:38], v[11:12], v[17:18]
	v_add_f64 v[35:36], v[55:56], v[15:16]
	v_add_f64 v[37:38], v[17:18], v[57:58]
	ds_read_b128 v[15:18], v32 offset:2064
	s_waitcnt lgkmcnt(0)
	v_mul_f64 v[51:52], v[17:18], v[5:6]
	v_mul_f64 v[5:6], v[15:16], v[5:6]
	v_fma_f64 v[51:52], v[15:16], v[3:4], -v[51:52]
	v_fma_f64 v[3:4], v[17:18], v[3:4], v[5:6]
	v_mul_f64 v[5:6], v[15:16], v[13:14]
	v_add_f64 v[47:48], v[47:48], v[51:52]
	v_add_f64 v[19:20], v[3:4], v[19:20]
	v_mul_f64 v[3:4], v[17:18], v[13:14]
	v_fma_f64 v[5:6], v[17:18], v[11:12], v[5:6]
	v_fma_f64 v[3:4], v[15:16], v[11:12], -v[3:4]
	v_add_f64 v[25:26], v[5:6], v[25:26]
	v_add_f64 v[23:24], v[23:24], v[3:4]
	ds_read_b128 v[3:6], v31 offset:1024
	s_waitcnt lgkmcnt(0)
	v_mul_f64 v[11:12], v[41:42], v[5:6]
	v_mul_f64 v[13:14], v[39:40], v[5:6]
	v_fma_f64 v[11:12], v[39:40], v[3:4], -v[11:12]
	v_fma_f64 v[13:14], v[41:42], v[3:4], v[13:14]
	v_add_f64 v[49:50], v[49:50], v[11:12]
	v_add_f64 v[21:22], v[13:14], v[21:22]
	ds_read_b128 v[11:14], v31 offset:1280
	s_waitcnt lgkmcnt(0)
	v_mul_f64 v[15:16], v[41:42], v[13:14]
	v_mul_f64 v[17:18], v[39:40], v[13:14]
	v_fma_f64 v[15:16], v[39:40], v[11:12], -v[15:16]
	v_fma_f64 v[17:18], v[41:42], v[11:12], v[17:18]
	v_add_f64 v[35:36], v[35:36], v[15:16]
	v_add_f64 v[37:38], v[17:18], v[37:38]
	ds_read_b128 v[15:18], v32 offset:2080
	s_waitcnt lgkmcnt(0)
	v_mul_f64 v[39:40], v[17:18], v[5:6]
	v_mul_f64 v[5:6], v[15:16], v[5:6]
	v_fma_f64 v[39:40], v[15:16], v[3:4], -v[39:40]
	v_fma_f64 v[3:4], v[17:18], v[3:4], v[5:6]
	v_mul_f64 v[5:6], v[15:16], v[13:14]
	v_add_f64 v[39:40], v[47:48], v[39:40]
	v_add_f64 v[19:20], v[3:4], v[19:20]
	v_mul_f64 v[3:4], v[17:18], v[13:14]
	v_fma_f64 v[5:6], v[17:18], v[11:12], v[5:6]
	v_fma_f64 v[3:4], v[15:16], v[11:12], -v[3:4]
	v_add_f64 v[25:26], v[5:6], v[25:26]
	;; [unrolled: 30-line block ×3, first 2 shown]
	v_add_f64 v[23:24], v[23:24], v[3:4]
	ds_read_b128 v[3:6], v32 offset:64
	ds_read_b128 v[11:14], v31 offset:2048
	s_waitcnt lgkmcnt(0)
	v_mul_f64 v[15:16], v[5:6], v[13:14]
	v_mul_f64 v[17:18], v[3:4], v[13:14]
	v_fma_f64 v[15:16], v[3:4], v[11:12], -v[15:16]
	v_fma_f64 v[17:18], v[5:6], v[11:12], v[17:18]
	v_add_f64 v[41:42], v[41:42], v[15:16]
	v_add_f64 v[21:22], v[17:18], v[21:22]
	ds_read_b128 v[15:18], v31 offset:2304
	s_waitcnt lgkmcnt(0)
	v_mul_f64 v[43:44], v[5:6], v[17:18]
	v_fma_f64 v[43:44], v[3:4], v[15:16], -v[43:44]
	v_mul_f64 v[3:4], v[3:4], v[17:18]
	v_add_f64 v[35:36], v[35:36], v[43:44]
	v_fma_f64 v[3:4], v[5:6], v[15:16], v[3:4]
	v_add_f64 v[37:38], v[3:4], v[37:38]
	ds_read_b128 v[3:6], v32 offset:2112
	s_waitcnt lgkmcnt(0)
	v_mul_f64 v[43:44], v[5:6], v[13:14]
	v_mul_f64 v[13:14], v[3:4], v[13:14]
	v_fma_f64 v[43:44], v[3:4], v[11:12], -v[43:44]
	v_fma_f64 v[11:12], v[5:6], v[11:12], v[13:14]
	v_add_f64 v[39:40], v[39:40], v[43:44]
	v_add_f64 v[19:20], v[11:12], v[19:20]
	v_mul_f64 v[11:12], v[5:6], v[17:18]
	v_fma_f64 v[11:12], v[3:4], v[15:16], -v[11:12]
	v_mul_f64 v[3:4], v[3:4], v[17:18]
	v_add_f64 v[23:24], v[23:24], v[11:12]
	v_fma_f64 v[3:4], v[5:6], v[15:16], v[3:4]
	v_add_f64 v[25:26], v[3:4], v[25:26]
	ds_read_b128 v[3:6], v32 offset:80
	ds_read_b128 v[11:14], v31 offset:2560
	s_waitcnt lgkmcnt(0)
	v_mul_f64 v[15:16], v[5:6], v[13:14]
	v_mul_f64 v[17:18], v[3:4], v[13:14]
	v_fma_f64 v[15:16], v[3:4], v[11:12], -v[15:16]
	v_fma_f64 v[17:18], v[5:6], v[11:12], v[17:18]
	v_add_f64 v[41:42], v[41:42], v[15:16]
	v_add_f64 v[21:22], v[17:18], v[21:22]
	ds_read_b128 v[15:18], v31 offset:2816
	s_waitcnt lgkmcnt(0)
	v_mul_f64 v[43:44], v[5:6], v[17:18]
	v_fma_f64 v[43:44], v[3:4], v[15:16], -v[43:44]
	v_mul_f64 v[3:4], v[3:4], v[17:18]
	v_add_f64 v[35:36], v[35:36], v[43:44]
	v_fma_f64 v[3:4], v[5:6], v[15:16], v[3:4]
	v_add_f64 v[37:38], v[3:4], v[37:38]
	ds_read_b128 v[3:6], v32 offset:2128
	s_waitcnt lgkmcnt(0)
	v_mul_f64 v[43:44], v[5:6], v[13:14]
	v_mul_f64 v[13:14], v[3:4], v[13:14]
	v_fma_f64 v[43:44], v[3:4], v[11:12], -v[43:44]
	v_fma_f64 v[11:12], v[5:6], v[11:12], v[13:14]
	v_add_f64 v[39:40], v[39:40], v[43:44]
	v_add_f64 v[19:20], v[11:12], v[19:20]
	v_mul_f64 v[11:12], v[5:6], v[17:18]
	v_fma_f64 v[11:12], v[3:4], v[15:16], -v[11:12]
	v_mul_f64 v[3:4], v[3:4], v[17:18]
	v_add_f64 v[23:24], v[23:24], v[11:12]
	v_fma_f64 v[3:4], v[5:6], v[15:16], v[3:4]
	v_add_f64 v[25:26], v[3:4], v[25:26]
	ds_read_b128 v[3:6], v32 offset:96
	ds_read_b128 v[11:14], v31 offset:3072
	s_waitcnt lgkmcnt(0)
	v_mul_f64 v[15:16], v[5:6], v[13:14]
	v_mul_f64 v[17:18], v[3:4], v[13:14]
	v_fma_f64 v[15:16], v[3:4], v[11:12], -v[15:16]
	v_fma_f64 v[17:18], v[5:6], v[11:12], v[17:18]
	v_add_f64 v[41:42], v[41:42], v[15:16]
	v_add_f64 v[21:22], v[17:18], v[21:22]
	ds_read_b128 v[15:18], v31 offset:3328
	s_waitcnt lgkmcnt(0)
	v_mul_f64 v[43:44], v[5:6], v[17:18]
	v_fma_f64 v[43:44], v[3:4], v[15:16], -v[43:44]
	v_mul_f64 v[3:4], v[3:4], v[17:18]
	v_add_f64 v[43:44], v[35:36], v[43:44]
	v_fma_f64 v[3:4], v[5:6], v[15:16], v[3:4]
	v_add_f64 v[45:46], v[3:4], v[37:38]
	ds_read_b128 v[3:6], v32 offset:2144
	s_waitcnt lgkmcnt(0)
	v_mul_f64 v[35:36], v[5:6], v[13:14]
	v_mul_f64 v[13:14], v[3:4], v[13:14]
	v_fma_f64 v[35:36], v[3:4], v[11:12], -v[35:36]
	v_fma_f64 v[11:12], v[5:6], v[11:12], v[13:14]
	v_add_f64 v[39:40], v[39:40], v[35:36]
	v_add_f64 v[19:20], v[11:12], v[19:20]
	v_mul_f64 v[11:12], v[5:6], v[17:18]
	v_fma_f64 v[11:12], v[3:4], v[15:16], -v[11:12]
	v_mul_f64 v[3:4], v[3:4], v[17:18]
	v_add_f64 v[47:48], v[23:24], v[11:12]
	v_fma_f64 v[3:4], v[5:6], v[15:16], v[3:4]
	v_add_f64 v[49:50], v[3:4], v[25:26]
	ds_read_b128 v[3:6], v32 offset:112
	ds_read_b128 v[23:26], v31 offset:3584
	;; [unrolled: 1-line block ×3, first 2 shown]
	s_waitcnt lgkmcnt(1)
	v_mul_f64 v[11:12], v[5:6], v[25:26]
	v_mul_f64 v[13:14], v[3:4], v[25:26]
	v_fma_f64 v[11:12], v[3:4], v[23:24], -v[11:12]
	v_fma_f64 v[13:14], v[5:6], v[23:24], v[13:14]
	v_add_f64 v[17:18], v[41:42], v[11:12]
	s_waitcnt lgkmcnt(0)
	v_mul_f64 v[11:12], v[5:6], v[37:38]
	v_add_f64 v[21:22], v[13:14], v[21:22]
	v_fma_f64 v[11:12], v[3:4], v[35:36], -v[11:12]
	v_mul_f64 v[3:4], v[3:4], v[37:38]
	v_add_f64 v[11:12], v[43:44], v[11:12]
	v_fma_f64 v[3:4], v[5:6], v[35:36], v[3:4]
	v_add_f64 v[13:14], v[3:4], v[45:46]
	ds_read_b128 v[3:6], v32 offset:2160
	s_waitcnt lgkmcnt(0)
	s_barrier
	v_mul_f64 v[15:16], v[5:6], v[25:26]
	v_mul_f64 v[25:26], v[3:4], v[25:26]
	v_fma_f64 v[15:16], v[3:4], v[23:24], -v[15:16]
	v_fma_f64 v[23:24], v[5:6], v[23:24], v[25:26]
	v_add_f64 v[15:16], v[39:40], v[15:16]
	v_add_f64 v[19:20], v[23:24], v[19:20]
	v_mul_f64 v[23:24], v[5:6], v[37:38]
	v_fma_f64 v[23:24], v[3:4], v[35:36], -v[23:24]
	v_mul_f64 v[3:4], v[3:4], v[37:38]
	v_add_f64 v[23:24], v[47:48], v[23:24]
	v_fma_f64 v[3:4], v[5:6], v[35:36], v[3:4]
	v_add_f64 v[25:26], v[3:4], v[49:50]
	s_cbranch_scc1 .LBB452_10
.LBB452_3:                              ; =>This Inner Loop Header: Depth=1
	v_add_u32_e32 v3, s23, v28
	v_cmp_le_i32_e64 s[0:1], s11, v3
	s_or_b64 s[0:1], s[16:17], s[0:1]
	s_and_saveexec_b64 s[18:19], s[0:1]
	s_xor_b64 s[0:1], exec, s[18:19]
; %bb.4:                                ;   in Loop: Header=BB452_3 Depth=1
	v_mov_b32_e32 v3, v2
	v_mov_b32_e32 v4, v2
	;; [unrolled: 1-line block ×3, first 2 shown]
	ds_write_b128 v29, v[2:5]
; %bb.5:                                ;   in Loop: Header=BB452_3 Depth=1
	s_andn2_saveexec_b64 s[0:1], s[0:1]
	s_cbranch_execz .LBB452_7
; %bb.6:                                ;   in Loop: Header=BB452_3 Depth=1
	global_load_dwordx4 v[3:6], v[7:8], off
	s_waitcnt vmcnt(0)
	ds_write2_b64 v29, v[3:4], v[5:6] offset1:1
.LBB452_7:                              ;   in Loop: Header=BB452_3 Depth=1
	s_or_b64 exec, exec, s[0:1]
	v_add_u32_e32 v3, s23, v27
	v_cmp_gt_i32_e64 s[0:1], s11, v3
	v_mov_b32_e32 v3, 0
	v_mov_b32_e32 v5, 0
	;; [unrolled: 1-line block ×4, first 2 shown]
	s_and_b64 s[18:19], s[0:1], vcc
	s_and_saveexec_b64 s[0:1], s[18:19]
	s_cbranch_execz .LBB452_2
; %bb.8:                                ;   in Loop: Header=BB452_3 Depth=1
	global_load_dwordx4 v[3:6], v[9:10], off offset:-8
	s_waitcnt vmcnt(0)
	v_xor_b32_e32 v6, 0x80000000, v6
	s_branch .LBB452_2
.LBB452_9:
	v_mov_b32_e32 v17, 0
	v_mov_b32_e32 v21, 0
	;; [unrolled: 1-line block ×16, first 2 shown]
.LBB452_10:
	s_load_dwordx2 s[0:1], s[4:5], 0x68
	s_load_dwordx2 s[2:3], s[4:5], 0x58
	s_load_dword s6, s[4:5], 0x60
	v_add_u32_e32 v4, s22, v1
	v_add_u32_e32 v0, s9, v0
	s_waitcnt lgkmcnt(0)
	s_mul_i32 s1, s1, s8
	s_mul_hi_u32 s4, s0, s8
	v_mad_i64_i32 v[1:2], s[16:17], v4, s6, 0
	s_mul_i32 s0, s0, s8
	s_add_i32 s1, s4, s1
	s_lshl_b64 s[0:1], s[0:1], 4
	s_add_u32 s4, s2, s0
	v_lshlrev_b64 v[1:2], 4, v[1:2]
	s_addc_u32 s5, s3, s1
	v_mov_b32_e32 v3, s5
	v_add_co_u32_e64 v5, s[0:1], s4, v1
	v_addc_co_u32_e64 v6, s[0:1], v3, v2, s[0:1]
	v_cmp_gt_i32_e32 vcc, s10, v4
	v_cmp_le_i32_e64 s[0:1], v0, v4
	s_and_b64 s[0:1], vcc, s[0:1]
	s_and_saveexec_b64 s[2:3], s[0:1]
	s_cbranch_execz .LBB452_12
; %bb.11:
	v_mul_f64 v[2:3], s[12:13], v[21:22]
	v_mul_f64 v[7:8], s[14:15], v[21:22]
	v_ashrrev_i32_e32 v1, 31, v0
	v_lshlrev_b64 v[9:10], 4, v[0:1]
	v_fma_f64 v[2:3], s[14:15], v[17:18], v[2:3]
	v_fma_f64 v[7:8], s[12:13], v[17:18], -v[7:8]
	v_add_co_u32_e64 v17, s[0:1], v5, v9
	v_addc_co_u32_e64 v18, s[0:1], v6, v10, s[0:1]
	v_cmp_ne_u32_e64 s[0:1], v4, v0
	v_cndmask_b32_e64 v10, 0, v3, s[0:1]
	v_cndmask_b32_e64 v9, 0, v2, s[0:1]
	global_store_dwordx4 v[17:18], v[7:10], off
.LBB452_12:
	s_or_b64 exec, exec, s[2:3]
	v_add_u32_e32 v2, 16, v0
	v_cmp_le_i32_e64 s[0:1], v2, v4
	s_and_b64 s[2:3], vcc, s[0:1]
	s_and_saveexec_b64 s[0:1], s[2:3]
	s_cbranch_execz .LBB452_14
; %bb.13:
	v_mul_f64 v[7:8], s[12:13], v[13:14]
	v_mul_f64 v[9:10], s[14:15], v[13:14]
	v_ashrrev_i32_e32 v3, 31, v2
	v_lshlrev_b64 v[17:18], 4, v[2:3]
	v_add_co_u32_e32 v5, vcc, v5, v17
	v_addc_co_u32_e32 v6, vcc, v6, v18, vcc
	v_fma_f64 v[13:14], s[14:15], v[11:12], v[7:8]
	v_fma_f64 v[7:8], s[12:13], v[11:12], -v[9:10]
	v_cmp_ne_u32_e32 vcc, v4, v2
	v_cndmask_b32_e32 v10, 0, v14, vcc
	v_cndmask_b32_e32 v9, 0, v13, vcc
	global_store_dwordx4 v[5:6], v[7:10], off
.LBB452_14:
	s_or_b64 exec, exec, s[0:1]
	v_add_u32_e32 v3, 16, v4
	v_mad_i64_i32 v[5:6], s[0:1], v3, s6, 0
	v_mov_b32_e32 v1, s5
	v_cmp_gt_i32_e32 vcc, s10, v3
	v_lshlrev_b64 v[5:6], 4, v[5:6]
	v_add_co_u32_e64 v5, s[0:1], s4, v5
	v_addc_co_u32_e64 v6, s[0:1], v1, v6, s[0:1]
	v_cmp_le_i32_e64 s[0:1], v0, v3
	s_and_b64 s[0:1], vcc, s[0:1]
	s_and_saveexec_b64 s[2:3], s[0:1]
	s_cbranch_execz .LBB452_16
; %bb.15:
	v_mul_f64 v[7:8], s[12:13], v[19:20]
	v_mul_f64 v[9:10], s[14:15], v[19:20]
	v_ashrrev_i32_e32 v1, 31, v0
	v_lshlrev_b64 v[13:14], 4, v[0:1]
	v_add_co_u32_e64 v13, s[0:1], v5, v13
	v_addc_co_u32_e64 v14, s[0:1], v6, v14, s[0:1]
	v_fma_f64 v[11:12], s[14:15], v[15:16], v[7:8]
	v_fma_f64 v[7:8], s[12:13], v[15:16], -v[9:10]
	v_cmp_ne_u32_e64 s[0:1], v3, v0
	v_cndmask_b32_e64 v10, 0, v12, s[0:1]
	v_cndmask_b32_e64 v9, 0, v11, s[0:1]
	global_store_dwordx4 v[13:14], v[7:10], off
.LBB452_16:
	s_or_b64 exec, exec, s[2:3]
	v_cmp_le_i32_e64 s[0:1], v2, v3
	s_and_b64 s[0:1], vcc, s[0:1]
	s_and_saveexec_b64 s[2:3], s[0:1]
	s_cbranch_execz .LBB452_18
; %bb.17:
	v_mul_f64 v[7:8], s[12:13], v[25:26]
	v_mul_f64 v[9:10], s[14:15], v[25:26]
	v_ashrrev_i32_e32 v3, 31, v2
	v_lshlrev_b64 v[11:12], 4, v[2:3]
	v_add_co_u32_e32 v5, vcc, v5, v11
	v_addc_co_u32_e32 v6, vcc, v6, v12, vcc
	v_fma_f64 v[7:8], s[14:15], v[23:24], v[7:8]
	v_fma_f64 v[1:2], s[12:13], v[23:24], -v[9:10]
	v_cmp_ne_u32_e32 vcc, v4, v0
	v_cndmask_b32_e32 v4, 0, v8, vcc
	v_cndmask_b32_e32 v3, 0, v7, vcc
	global_store_dwordx4 v[5:6], v[1:4], off
.LBB452_18:
	s_endpgm
	.section	.rodata,"a",@progbits
	.p2align	6, 0x0
	.amdhsa_kernel _ZL34rocblas_syrkx_herkx_general_kernelIi19rocblas_complex_numIdELi16ELi32ELi8ELb1ELb1ELc78ELc85EKS1_S1_EviT_T0_PT8_S3_lS6_S3_lS4_PT9_S3_li
		.amdhsa_group_segment_fixed_size 8192
		.amdhsa_private_segment_fixed_size 0
		.amdhsa_kernarg_size 116
		.amdhsa_user_sgpr_count 6
		.amdhsa_user_sgpr_private_segment_buffer 1
		.amdhsa_user_sgpr_dispatch_ptr 0
		.amdhsa_user_sgpr_queue_ptr 0
		.amdhsa_user_sgpr_kernarg_segment_ptr 1
		.amdhsa_user_sgpr_dispatch_id 0
		.amdhsa_user_sgpr_flat_scratch_init 0
		.amdhsa_user_sgpr_private_segment_size 0
		.amdhsa_uses_dynamic_stack 0
		.amdhsa_system_sgpr_private_segment_wavefront_offset 0
		.amdhsa_system_sgpr_workgroup_id_x 1
		.amdhsa_system_sgpr_workgroup_id_y 1
		.amdhsa_system_sgpr_workgroup_id_z 1
		.amdhsa_system_sgpr_workgroup_info 0
		.amdhsa_system_vgpr_workitem_id 1
		.amdhsa_next_free_vgpr 59
		.amdhsa_next_free_sgpr 61
		.amdhsa_reserve_vcc 1
		.amdhsa_reserve_flat_scratch 0
		.amdhsa_float_round_mode_32 0
		.amdhsa_float_round_mode_16_64 0
		.amdhsa_float_denorm_mode_32 3
		.amdhsa_float_denorm_mode_16_64 3
		.amdhsa_dx10_clamp 1
		.amdhsa_ieee_mode 1
		.amdhsa_fp16_overflow 0
		.amdhsa_exception_fp_ieee_invalid_op 0
		.amdhsa_exception_fp_denorm_src 0
		.amdhsa_exception_fp_ieee_div_zero 0
		.amdhsa_exception_fp_ieee_overflow 0
		.amdhsa_exception_fp_ieee_underflow 0
		.amdhsa_exception_fp_ieee_inexact 0
		.amdhsa_exception_int_div_zero 0
	.end_amdhsa_kernel
	.section	.text._ZL34rocblas_syrkx_herkx_general_kernelIi19rocblas_complex_numIdELi16ELi32ELi8ELb1ELb1ELc78ELc85EKS1_S1_EviT_T0_PT8_S3_lS6_S3_lS4_PT9_S3_li,"axG",@progbits,_ZL34rocblas_syrkx_herkx_general_kernelIi19rocblas_complex_numIdELi16ELi32ELi8ELb1ELb1ELc78ELc85EKS1_S1_EviT_T0_PT8_S3_lS6_S3_lS4_PT9_S3_li,comdat
.Lfunc_end452:
	.size	_ZL34rocblas_syrkx_herkx_general_kernelIi19rocblas_complex_numIdELi16ELi32ELi8ELb1ELb1ELc78ELc85EKS1_S1_EviT_T0_PT8_S3_lS6_S3_lS4_PT9_S3_li, .Lfunc_end452-_ZL34rocblas_syrkx_herkx_general_kernelIi19rocblas_complex_numIdELi16ELi32ELi8ELb1ELb1ELc78ELc85EKS1_S1_EviT_T0_PT8_S3_lS6_S3_lS4_PT9_S3_li
                                        ; -- End function
	.set _ZL34rocblas_syrkx_herkx_general_kernelIi19rocblas_complex_numIdELi16ELi32ELi8ELb1ELb1ELc78ELc85EKS1_S1_EviT_T0_PT8_S3_lS6_S3_lS4_PT9_S3_li.num_vgpr, 59
	.set _ZL34rocblas_syrkx_herkx_general_kernelIi19rocblas_complex_numIdELi16ELi32ELi8ELb1ELb1ELc78ELc85EKS1_S1_EviT_T0_PT8_S3_lS6_S3_lS4_PT9_S3_li.num_agpr, 0
	.set _ZL34rocblas_syrkx_herkx_general_kernelIi19rocblas_complex_numIdELi16ELi32ELi8ELb1ELb1ELc78ELc85EKS1_S1_EviT_T0_PT8_S3_lS6_S3_lS4_PT9_S3_li.numbered_sgpr, 28
	.set _ZL34rocblas_syrkx_herkx_general_kernelIi19rocblas_complex_numIdELi16ELi32ELi8ELb1ELb1ELc78ELc85EKS1_S1_EviT_T0_PT8_S3_lS6_S3_lS4_PT9_S3_li.num_named_barrier, 0
	.set _ZL34rocblas_syrkx_herkx_general_kernelIi19rocblas_complex_numIdELi16ELi32ELi8ELb1ELb1ELc78ELc85EKS1_S1_EviT_T0_PT8_S3_lS6_S3_lS4_PT9_S3_li.private_seg_size, 0
	.set _ZL34rocblas_syrkx_herkx_general_kernelIi19rocblas_complex_numIdELi16ELi32ELi8ELb1ELb1ELc78ELc85EKS1_S1_EviT_T0_PT8_S3_lS6_S3_lS4_PT9_S3_li.uses_vcc, 1
	.set _ZL34rocblas_syrkx_herkx_general_kernelIi19rocblas_complex_numIdELi16ELi32ELi8ELb1ELb1ELc78ELc85EKS1_S1_EviT_T0_PT8_S3_lS6_S3_lS4_PT9_S3_li.uses_flat_scratch, 0
	.set _ZL34rocblas_syrkx_herkx_general_kernelIi19rocblas_complex_numIdELi16ELi32ELi8ELb1ELb1ELc78ELc85EKS1_S1_EviT_T0_PT8_S3_lS6_S3_lS4_PT9_S3_li.has_dyn_sized_stack, 0
	.set _ZL34rocblas_syrkx_herkx_general_kernelIi19rocblas_complex_numIdELi16ELi32ELi8ELb1ELb1ELc78ELc85EKS1_S1_EviT_T0_PT8_S3_lS6_S3_lS4_PT9_S3_li.has_recursion, 0
	.set _ZL34rocblas_syrkx_herkx_general_kernelIi19rocblas_complex_numIdELi16ELi32ELi8ELb1ELb1ELc78ELc85EKS1_S1_EviT_T0_PT8_S3_lS6_S3_lS4_PT9_S3_li.has_indirect_call, 0
	.section	.AMDGPU.csdata,"",@progbits
; Kernel info:
; codeLenInByte = 3244
; TotalNumSgprs: 32
; NumVgprs: 59
; ScratchSize: 0
; MemoryBound: 1
; FloatMode: 240
; IeeeMode: 1
; LDSByteSize: 8192 bytes/workgroup (compile time only)
; SGPRBlocks: 8
; VGPRBlocks: 14
; NumSGPRsForWavesPerEU: 65
; NumVGPRsForWavesPerEU: 59
; Occupancy: 4
; WaveLimiterHint : 0
; COMPUTE_PGM_RSRC2:SCRATCH_EN: 0
; COMPUTE_PGM_RSRC2:USER_SGPR: 6
; COMPUTE_PGM_RSRC2:TRAP_HANDLER: 0
; COMPUTE_PGM_RSRC2:TGID_X_EN: 1
; COMPUTE_PGM_RSRC2:TGID_Y_EN: 1
; COMPUTE_PGM_RSRC2:TGID_Z_EN: 1
; COMPUTE_PGM_RSRC2:TIDIG_COMP_CNT: 1
	.section	.text._ZL34rocblas_syrkx_herkx_general_kernelIi19rocblas_complex_numIdELi16ELi32ELi8ELb0ELb1ELc84ELc76EKS1_S1_EviT_T0_PT8_S3_lS6_S3_lS4_PT9_S3_li,"axG",@progbits,_ZL34rocblas_syrkx_herkx_general_kernelIi19rocblas_complex_numIdELi16ELi32ELi8ELb0ELb1ELc84ELc76EKS1_S1_EviT_T0_PT8_S3_lS6_S3_lS4_PT9_S3_li,comdat
	.globl	_ZL34rocblas_syrkx_herkx_general_kernelIi19rocblas_complex_numIdELi16ELi32ELi8ELb0ELb1ELc84ELc76EKS1_S1_EviT_T0_PT8_S3_lS6_S3_lS4_PT9_S3_li ; -- Begin function _ZL34rocblas_syrkx_herkx_general_kernelIi19rocblas_complex_numIdELi16ELi32ELi8ELb0ELb1ELc84ELc76EKS1_S1_EviT_T0_PT8_S3_lS6_S3_lS4_PT9_S3_li
	.p2align	8
	.type	_ZL34rocblas_syrkx_herkx_general_kernelIi19rocblas_complex_numIdELi16ELi32ELi8ELb0ELb1ELc84ELc76EKS1_S1_EviT_T0_PT8_S3_lS6_S3_lS4_PT9_S3_li,@function
_ZL34rocblas_syrkx_herkx_general_kernelIi19rocblas_complex_numIdELi16ELi32ELi8ELb0ELb1ELc84ELc76EKS1_S1_EviT_T0_PT8_S3_lS6_S3_lS4_PT9_S3_li: ; @_ZL34rocblas_syrkx_herkx_general_kernelIi19rocblas_complex_numIdELi16ELi32ELi8ELb0ELb1ELc84ELc76EKS1_S1_EviT_T0_PT8_S3_lS6_S3_lS4_PT9_S3_li
; %bb.0:
	s_load_dwordx2 s[10:11], s[4:5], 0x0
	s_load_dwordx4 s[20:23], s[4:5], 0x8
	s_load_dwordx2 s[28:29], s[4:5], 0x18
	s_load_dwordx8 s[12:19], s[4:5], 0x40
	s_lshl_b32 s9, s6, 5
	s_lshl_b32 s30, s7, 5
	s_waitcnt lgkmcnt(0)
	s_cmp_lt_i32 s11, 1
	s_mov_b32 s31, 0
	s_cbranch_scc1 .LBB453_11
; %bb.1:
	v_lshl_add_u32 v2, v1, 4, v0
	v_lshrrev_b32_e32 v27, 5, v2
	v_lshrrev_b32_e32 v3, 3, v2
	v_and_b32_e32 v2, 31, v2
	v_or_b32_e32 v5, s9, v2
	s_load_dword s2, s[4:5], 0x20
	s_load_dwordx4 s[24:27], s[4:5], 0x28
	s_load_dword s6, s[4:5], 0x38
	v_and_b32_e32 v26, 7, v0
	v_cmp_gt_i32_e32 vcc, s10, v5
	v_lshlrev_b32_e32 v5, 4, v2
	v_lshl_or_b32 v28, v27, 9, v5
	v_lshlrev_b32_e32 v5, 4, v26
	v_add_u32_e32 v4, s30, v3
	v_lshl_or_b32 v3, v3, 7, v5
	v_add_u32_e32 v2, s9, v2
	v_add_u32_e32 v29, 0x1000, v3
	s_waitcnt lgkmcnt(0)
	v_mad_i64_i32 v[2:3], s[2:3], s2, v2, 0
	s_mul_i32 s2, s25, s8
	s_mul_hi_u32 s3, s24, s8
	v_lshlrev_b64 v[2:3], 4, v[2:3]
	s_add_i32 s3, s3, s2
	s_mul_i32 s2, s24, s8
	v_mov_b32_e32 v6, 0x1000
	s_lshl_b64 s[2:3], s[2:3], 4
	v_lshl_add_u32 v31, v1, 7, v6
	v_mov_b32_e32 v6, s3
	v_add_co_u32_e64 v2, s[2:3], s2, v2
	v_addc_co_u32_e64 v3, s[2:3], v3, v6, s[2:3]
	v_lshlrev_b32_e32 v6, 4, v27
	v_add_co_u32_e64 v6, s[2:3], v2, v6
	v_addc_co_u32_e64 v7, s[2:3], 0, v3, s[2:3]
	v_mad_i64_i32 v[2:3], s[2:3], s6, v4, 0
	v_mov_b32_e32 v8, s29
	v_add_co_u32_e64 v6, s[2:3], s28, v6
	v_addc_co_u32_e64 v7, s[2:3], v8, v7, s[2:3]
	s_mul_i32 s2, s13, s8
	s_mul_hi_u32 s3, s12, s8
	v_lshlrev_b64 v[2:3], 4, v[2:3]
	s_add_i32 s3, s3, s2
	s_mul_i32 s2, s12, s8
	s_lshl_b64 s[2:3], s[2:3], 4
	v_cmp_gt_i32_e64 s[0:1], s10, v4
	v_mov_b32_e32 v4, s3
	v_add_co_u32_e64 v2, s[2:3], s2, v2
	v_addc_co_u32_e64 v3, s[2:3], v3, v4, s[2:3]
	v_add_co_u32_e64 v2, s[2:3], v2, v5
	v_addc_co_u32_e64 v3, s[2:3], 0, v3, s[2:3]
	v_mov_b32_e32 v4, s27
	v_add_co_u32_e64 v8, s[2:3], s26, v2
	v_addc_co_u32_e64 v9, s[2:3], v4, v3, s[2:3]
	v_mov_b32_e32 v22, 0
	v_mov_b32_e32 v24, 0
	;; [unrolled: 1-line block ×8, first 2 shown]
	v_lshlrev_b32_e32 v30, 4, v0
	v_mov_b32_e32 v23, 0
	s_xor_b64 s[2:3], vcc, -1
	s_xor_b64 s[0:1], s[0:1], -1
	v_mov_b32_e32 v25, 0
	v_mov_b32_e32 v17, 0
	v_mov_b32_e32 v15, 0
	v_mov_b32_e32 v13, 0
	v_mov_b32_e32 v11, 0
	v_mov_b32_e32 v21, 0
	v_mov_b32_e32 v19, 0
	v_mov_b32_e32 v2, 0
	s_branch .LBB453_3
.LBB453_2:                              ;   in Loop: Header=BB453_3 Depth=1
	s_or_b64 exec, exec, s[6:7]
	s_waitcnt lgkmcnt(0)
	s_barrier
	ds_read_b128 v[32:35], v31
	ds_read_b128 v[36:39], v31 offset:16
	ds_read_b128 v[40:43], v31 offset:32
	;; [unrolled: 1-line block ×3, first 2 shown]
	ds_read_b128 v[48:51], v30
	v_add_co_u32_e32 v6, vcc, 0x80, v6
	v_addc_co_u32_e32 v7, vcc, 0, v7, vcc
	s_waitcnt lgkmcnt(0)
	v_mul_f64 v[3:4], v[34:35], v[50:51]
	v_mul_f64 v[52:53], v[32:33], v[50:51]
	s_add_i32 s31, s31, 8
	v_add_co_u32_e32 v8, vcc, 0x80, v8
	v_addc_co_u32_e32 v9, vcc, 0, v9, vcc
	s_cmp_ge_i32 s31, s11
	v_fma_f64 v[3:4], v[32:33], v[48:49], -v[3:4]
	v_fma_f64 v[52:53], v[34:35], v[48:49], v[52:53]
	v_add_f64 v[3:4], v[18:19], v[3:4]
	v_add_f64 v[52:53], v[52:53], v[20:21]
	ds_read_b128 v[18:21], v30 offset:256
	s_waitcnt lgkmcnt(0)
	v_mul_f64 v[54:55], v[34:35], v[20:21]
	v_fma_f64 v[54:55], v[32:33], v[18:19], -v[54:55]
	v_mul_f64 v[32:33], v[32:33], v[20:21]
	v_fma_f64 v[32:33], v[34:35], v[18:19], v[32:33]
	v_add_f64 v[34:35], v[10:11], v[54:55]
	v_add_f64 v[32:33], v[32:33], v[12:13]
	ds_read_b128 v[10:13], v31 offset:2048
	s_waitcnt lgkmcnt(0)
	v_mul_f64 v[54:55], v[12:13], v[50:51]
	v_mul_f64 v[50:51], v[10:11], v[50:51]
	v_fma_f64 v[54:55], v[10:11], v[48:49], -v[54:55]
	v_fma_f64 v[48:49], v[12:13], v[48:49], v[50:51]
	v_add_f64 v[50:51], v[14:15], v[54:55]
	v_mul_f64 v[14:15], v[12:13], v[20:21]
	v_add_f64 v[48:49], v[48:49], v[16:17]
	v_fma_f64 v[14:15], v[10:11], v[18:19], -v[14:15]
	v_mul_f64 v[10:11], v[10:11], v[20:21]
	v_add_f64 v[24:25], v[24:25], v[14:15]
	v_fma_f64 v[10:11], v[12:13], v[18:19], v[10:11]
	v_add_f64 v[22:23], v[10:11], v[22:23]
	ds_read_b128 v[10:13], v30 offset:512
	s_waitcnt lgkmcnt(0)
	v_mul_f64 v[14:15], v[38:39], v[12:13]
	v_mul_f64 v[16:17], v[36:37], v[12:13]
	v_fma_f64 v[14:15], v[36:37], v[10:11], -v[14:15]
	v_fma_f64 v[16:17], v[38:39], v[10:11], v[16:17]
	v_add_f64 v[3:4], v[3:4], v[14:15]
	v_add_f64 v[52:53], v[16:17], v[52:53]
	ds_read_b128 v[14:17], v30 offset:768
	s_waitcnt lgkmcnt(0)
	v_mul_f64 v[18:19], v[38:39], v[16:17]
	v_mul_f64 v[20:21], v[36:37], v[16:17]
	v_fma_f64 v[18:19], v[36:37], v[14:15], -v[18:19]
	v_fma_f64 v[20:21], v[38:39], v[14:15], v[20:21]
	v_add_f64 v[34:35], v[34:35], v[18:19]
	v_add_f64 v[32:33], v[20:21], v[32:33]
	ds_read_b128 v[18:21], v31 offset:2064
	s_waitcnt lgkmcnt(0)
	v_mul_f64 v[36:37], v[20:21], v[12:13]
	v_mul_f64 v[12:13], v[18:19], v[12:13]
	v_fma_f64 v[36:37], v[18:19], v[10:11], -v[36:37]
	v_fma_f64 v[10:11], v[20:21], v[10:11], v[12:13]
	v_mul_f64 v[12:13], v[18:19], v[16:17]
	v_add_f64 v[36:37], v[50:51], v[36:37]
	v_add_f64 v[38:39], v[10:11], v[48:49]
	v_mul_f64 v[10:11], v[20:21], v[16:17]
	v_fma_f64 v[12:13], v[20:21], v[14:15], v[12:13]
	v_fma_f64 v[10:11], v[18:19], v[14:15], -v[10:11]
	v_add_f64 v[22:23], v[12:13], v[22:23]
	v_add_f64 v[24:25], v[24:25], v[10:11]
	ds_read_b128 v[10:13], v30 offset:1024
	s_waitcnt lgkmcnt(0)
	v_mul_f64 v[14:15], v[42:43], v[12:13]
	v_mul_f64 v[16:17], v[40:41], v[12:13]
	v_fma_f64 v[14:15], v[40:41], v[10:11], -v[14:15]
	v_fma_f64 v[16:17], v[42:43], v[10:11], v[16:17]
	v_add_f64 v[3:4], v[3:4], v[14:15]
	v_add_f64 v[48:49], v[16:17], v[52:53]
	ds_read_b128 v[14:17], v30 offset:1280
	s_waitcnt lgkmcnt(0)
	v_mul_f64 v[18:19], v[42:43], v[16:17]
	v_mul_f64 v[20:21], v[40:41], v[16:17]
	v_fma_f64 v[18:19], v[40:41], v[14:15], -v[18:19]
	v_fma_f64 v[20:21], v[42:43], v[14:15], v[20:21]
	v_add_f64 v[34:35], v[34:35], v[18:19]
	v_add_f64 v[32:33], v[20:21], v[32:33]
	ds_read_b128 v[18:21], v31 offset:2080
	s_waitcnt lgkmcnt(0)
	v_mul_f64 v[40:41], v[20:21], v[12:13]
	v_mul_f64 v[12:13], v[18:19], v[12:13]
	v_fma_f64 v[40:41], v[18:19], v[10:11], -v[40:41]
	v_fma_f64 v[10:11], v[20:21], v[10:11], v[12:13]
	v_mul_f64 v[12:13], v[18:19], v[16:17]
	v_add_f64 v[36:37], v[36:37], v[40:41]
	v_add_f64 v[38:39], v[10:11], v[38:39]
	v_mul_f64 v[10:11], v[20:21], v[16:17]
	v_fma_f64 v[12:13], v[20:21], v[14:15], v[12:13]
	v_fma_f64 v[10:11], v[18:19], v[14:15], -v[10:11]
	v_add_f64 v[22:23], v[12:13], v[22:23]
	;; [unrolled: 30-line block ×3, first 2 shown]
	v_add_f64 v[24:25], v[24:25], v[10:11]
	ds_read_b128 v[10:13], v31 offset:64
	ds_read_b128 v[14:17], v30 offset:2048
	s_waitcnt lgkmcnt(0)
	v_mul_f64 v[18:19], v[12:13], v[16:17]
	v_mul_f64 v[20:21], v[10:11], v[16:17]
	v_fma_f64 v[18:19], v[10:11], v[14:15], -v[18:19]
	v_fma_f64 v[20:21], v[12:13], v[14:15], v[20:21]
	v_add_f64 v[3:4], v[3:4], v[18:19]
	v_add_f64 v[40:41], v[20:21], v[40:41]
	ds_read_b128 v[18:21], v30 offset:2304
	s_waitcnt lgkmcnt(0)
	v_mul_f64 v[42:43], v[12:13], v[20:21]
	v_fma_f64 v[42:43], v[10:11], v[18:19], -v[42:43]
	v_mul_f64 v[10:11], v[10:11], v[20:21]
	v_add_f64 v[34:35], v[34:35], v[42:43]
	v_fma_f64 v[10:11], v[12:13], v[18:19], v[10:11]
	v_add_f64 v[32:33], v[10:11], v[32:33]
	ds_read_b128 v[10:13], v31 offset:2112
	s_waitcnt lgkmcnt(0)
	v_mul_f64 v[42:43], v[12:13], v[16:17]
	v_mul_f64 v[16:17], v[10:11], v[16:17]
	v_fma_f64 v[42:43], v[10:11], v[14:15], -v[42:43]
	v_fma_f64 v[14:15], v[12:13], v[14:15], v[16:17]
	v_add_f64 v[36:37], v[36:37], v[42:43]
	v_add_f64 v[38:39], v[14:15], v[38:39]
	v_mul_f64 v[14:15], v[12:13], v[20:21]
	v_fma_f64 v[14:15], v[10:11], v[18:19], -v[14:15]
	v_mul_f64 v[10:11], v[10:11], v[20:21]
	v_add_f64 v[24:25], v[24:25], v[14:15]
	v_fma_f64 v[10:11], v[12:13], v[18:19], v[10:11]
	v_add_f64 v[22:23], v[10:11], v[22:23]
	ds_read_b128 v[10:13], v31 offset:80
	ds_read_b128 v[14:17], v30 offset:2560
	s_waitcnt lgkmcnt(0)
	v_mul_f64 v[18:19], v[12:13], v[16:17]
	v_mul_f64 v[20:21], v[10:11], v[16:17]
	v_fma_f64 v[18:19], v[10:11], v[14:15], -v[18:19]
	v_fma_f64 v[20:21], v[12:13], v[14:15], v[20:21]
	v_add_f64 v[3:4], v[3:4], v[18:19]
	v_add_f64 v[40:41], v[20:21], v[40:41]
	ds_read_b128 v[18:21], v30 offset:2816
	s_waitcnt lgkmcnt(0)
	v_mul_f64 v[42:43], v[12:13], v[20:21]
	v_fma_f64 v[42:43], v[10:11], v[18:19], -v[42:43]
	v_mul_f64 v[10:11], v[10:11], v[20:21]
	v_add_f64 v[34:35], v[34:35], v[42:43]
	v_fma_f64 v[10:11], v[12:13], v[18:19], v[10:11]
	v_add_f64 v[32:33], v[10:11], v[32:33]
	ds_read_b128 v[10:13], v31 offset:2128
	s_waitcnt lgkmcnt(0)
	v_mul_f64 v[42:43], v[12:13], v[16:17]
	v_mul_f64 v[16:17], v[10:11], v[16:17]
	v_fma_f64 v[42:43], v[10:11], v[14:15], -v[42:43]
	v_fma_f64 v[14:15], v[12:13], v[14:15], v[16:17]
	v_add_f64 v[36:37], v[36:37], v[42:43]
	v_add_f64 v[38:39], v[14:15], v[38:39]
	v_mul_f64 v[14:15], v[12:13], v[20:21]
	v_fma_f64 v[14:15], v[10:11], v[18:19], -v[14:15]
	v_mul_f64 v[10:11], v[10:11], v[20:21]
	v_add_f64 v[24:25], v[24:25], v[14:15]
	v_fma_f64 v[10:11], v[12:13], v[18:19], v[10:11]
	;; [unrolled: 31-line block ×3, first 2 shown]
	v_add_f64 v[44:45], v[10:11], v[22:23]
	ds_read_b128 v[10:13], v31 offset:112
	ds_read_b128 v[14:17], v30 offset:3584
	ds_read_b128 v[22:25], v30 offset:3840
	s_waitcnt lgkmcnt(1)
	v_mul_f64 v[18:19], v[12:13], v[16:17]
	v_mul_f64 v[20:21], v[10:11], v[16:17]
	v_fma_f64 v[18:19], v[10:11], v[14:15], -v[18:19]
	v_fma_f64 v[20:21], v[12:13], v[14:15], v[20:21]
	v_add_f64 v[18:19], v[3:4], v[18:19]
	s_waitcnt lgkmcnt(0)
	v_mul_f64 v[3:4], v[12:13], v[24:25]
	v_add_f64 v[20:21], v[20:21], v[40:41]
	v_fma_f64 v[3:4], v[10:11], v[22:23], -v[3:4]
	v_mul_f64 v[10:11], v[10:11], v[24:25]
	v_fma_f64 v[12:13], v[12:13], v[22:23], v[10:11]
	v_add_f64 v[10:11], v[34:35], v[3:4]
	v_add_f64 v[12:13], v[12:13], v[32:33]
	ds_read_b128 v[32:35], v31 offset:2160
	s_waitcnt lgkmcnt(0)
	s_barrier
	v_mul_f64 v[3:4], v[34:35], v[16:17]
	v_mul_f64 v[16:17], v[32:33], v[16:17]
	v_fma_f64 v[3:4], v[32:33], v[14:15], -v[3:4]
	v_fma_f64 v[16:17], v[34:35], v[14:15], v[16:17]
	v_add_f64 v[14:15], v[36:37], v[3:4]
	v_mul_f64 v[3:4], v[34:35], v[24:25]
	v_mul_f64 v[24:25], v[32:33], v[24:25]
	v_add_f64 v[16:17], v[16:17], v[38:39]
	v_fma_f64 v[3:4], v[32:33], v[22:23], -v[3:4]
	v_fma_f64 v[22:23], v[34:35], v[22:23], v[24:25]
	v_add_f64 v[24:25], v[42:43], v[3:4]
	v_add_f64 v[22:23], v[22:23], v[44:45]
	s_cbranch_scc1 .LBB453_12
.LBB453_3:                              ; =>This Inner Loop Header: Depth=1
	v_add_u32_e32 v3, s31, v27
	v_cmp_le_i32_e32 vcc, s11, v3
	s_or_b64 s[6:7], s[2:3], vcc
	s_and_saveexec_b64 s[12:13], s[6:7]
	s_xor_b64 s[6:7], exec, s[12:13]
; %bb.4:                                ;   in Loop: Header=BB453_3 Depth=1
	v_mov_b32_e32 v3, v2
	v_mov_b32_e32 v4, v2
	;; [unrolled: 1-line block ×3, first 2 shown]
	ds_write_b128 v28, v[2:5]
; %bb.5:                                ;   in Loop: Header=BB453_3 Depth=1
	s_andn2_saveexec_b64 s[6:7], s[6:7]
	s_cbranch_execz .LBB453_7
; %bb.6:                                ;   in Loop: Header=BB453_3 Depth=1
	global_load_dwordx4 v[32:35], v[6:7], off
	s_waitcnt vmcnt(0)
	ds_write2_b64 v28, v[32:33], v[34:35] offset1:1
.LBB453_7:                              ;   in Loop: Header=BB453_3 Depth=1
	s_or_b64 exec, exec, s[6:7]
	v_add_u32_e32 v3, s31, v26
	v_cmp_le_i32_e32 vcc, s11, v3
	s_or_b64 s[6:7], vcc, s[0:1]
	s_and_saveexec_b64 s[12:13], s[6:7]
	s_xor_b64 s[6:7], exec, s[12:13]
; %bb.8:                                ;   in Loop: Header=BB453_3 Depth=1
	v_mov_b32_e32 v3, v2
	v_mov_b32_e32 v4, v2
	v_mov_b32_e32 v5, v2
	ds_write_b128 v29, v[2:5]
; %bb.9:                                ;   in Loop: Header=BB453_3 Depth=1
	s_andn2_saveexec_b64 s[6:7], s[6:7]
	s_cbranch_execz .LBB453_2
; %bb.10:                               ;   in Loop: Header=BB453_3 Depth=1
	global_load_dwordx4 v[32:35], v[8:9], off
	s_waitcnt vmcnt(0)
	ds_write2_b64 v29, v[32:33], v[34:35] offset1:1
	s_branch .LBB453_2
.LBB453_11:
	v_mov_b32_e32 v18, 0
	v_mov_b32_e32 v20, 0
	v_mov_b32_e32 v10, 0
	v_mov_b32_e32 v12, 0
	v_mov_b32_e32 v14, 0
	v_mov_b32_e32 v16, 0
	v_mov_b32_e32 v24, 0
	v_mov_b32_e32 v22, 0
	v_mov_b32_e32 v19, 0
	v_mov_b32_e32 v21, 0
	v_mov_b32_e32 v11, 0
	v_mov_b32_e32 v13, 0
	v_mov_b32_e32 v15, 0
	v_mov_b32_e32 v17, 0
	v_mov_b32_e32 v25, 0
	v_mov_b32_e32 v23, 0
.LBB453_12:
	s_load_dwordx2 s[0:1], s[4:5], 0x68
	s_load_dword s6, s[4:5], 0x60
	v_add_u32_e32 v4, s30, v1
	v_add_u32_e32 v0, s9, v0
	s_waitcnt lgkmcnt(0)
	s_mul_i32 s1, s1, s8
	s_mul_hi_u32 s2, s0, s8
	s_add_i32 s1, s2, s1
	v_mad_i64_i32 v[1:2], s[2:3], v4, s6, 0
	s_mul_i32 s0, s0, s8
	s_lshl_b64 s[0:1], s[0:1], 4
	s_add_u32 s7, s18, s0
	v_lshlrev_b64 v[1:2], 4, v[1:2]
	s_addc_u32 s8, s19, s1
	v_mov_b32_e32 v3, s8
	v_add_co_u32_e32 v5, vcc, s7, v1
	v_addc_co_u32_e32 v6, vcc, v3, v2, vcc
	v_cmp_le_i32_e64 s[0:1], v4, v0
	v_cmp_gt_i32_e32 vcc, s10, v0
	s_and_b64 s[0:1], s[0:1], vcc
	s_and_saveexec_b64 s[2:3], s[0:1]
	s_cbranch_execz .LBB453_14
; %bb.13:
	v_ashrrev_i32_e32 v1, 31, v0
	v_lshlrev_b64 v[1:2], 4, v[0:1]
	v_mul_f64 v[7:8], s[20:21], v[20:21]
	v_add_co_u32_e64 v1, s[0:1], v5, v1
	v_addc_co_u32_e64 v2, s[0:1], v6, v2, s[0:1]
	global_load_dwordx4 v[26:29], v[1:2], off
	v_mul_f64 v[20:21], s[22:23], v[20:21]
	v_cmp_ne_u32_e64 s[0:1], v4, v0
	v_fma_f64 v[7:8], s[22:23], v[18:19], v[7:8]
	v_fma_f64 v[18:19], s[20:21], v[18:19], -v[20:21]
	s_waitcnt vmcnt(0)
	v_mul_f64 v[30:31], s[14:15], v[28:29]
	v_mul_f64 v[28:29], s[16:17], v[28:29]
	v_fma_f64 v[30:31], s[16:17], v[26:27], v[30:31]
	v_fma_f64 v[20:21], s[14:15], v[26:27], -v[28:29]
	v_add_f64 v[7:8], v[7:8], v[30:31]
	v_add_f64 v[18:19], v[18:19], v[20:21]
	v_cndmask_b32_e64 v21, 0, v8, s[0:1]
	v_cndmask_b32_e64 v20, 0, v7, s[0:1]
	global_store_dwordx4 v[1:2], v[18:21], off
.LBB453_14:
	s_or_b64 exec, exec, s[2:3]
	v_add_u32_e32 v2, 16, v0
	v_cmp_le_i32_e64 s[2:3], v4, v2
	v_cmp_gt_i32_e64 s[0:1], s10, v2
	s_and_b64 s[2:3], s[2:3], s[0:1]
	s_and_saveexec_b64 s[4:5], s[2:3]
	s_cbranch_execz .LBB453_16
; %bb.15:
	v_ashrrev_i32_e32 v3, 31, v2
	v_lshlrev_b64 v[7:8], 4, v[2:3]
	v_mul_f64 v[20:21], s[20:21], v[12:13]
	v_add_co_u32_e64 v18, s[2:3], v5, v7
	v_addc_co_u32_e64 v19, s[2:3], v6, v8, s[2:3]
	global_load_dwordx4 v[5:8], v[18:19], off
	v_mul_f64 v[12:13], s[22:23], v[12:13]
	v_cmp_ne_u32_e64 s[2:3], v4, v2
	v_fma_f64 v[20:21], s[22:23], v[10:11], v[20:21]
	v_fma_f64 v[9:10], s[20:21], v[10:11], -v[12:13]
	s_waitcnt vmcnt(0)
	v_mul_f64 v[26:27], s[14:15], v[7:8]
	v_mul_f64 v[7:8], s[16:17], v[7:8]
	v_fma_f64 v[26:27], s[16:17], v[5:6], v[26:27]
	v_fma_f64 v[5:6], s[14:15], v[5:6], -v[7:8]
	v_add_f64 v[7:8], v[20:21], v[26:27]
	v_add_f64 v[5:6], v[9:10], v[5:6]
	v_cndmask_b32_e64 v8, 0, v8, s[2:3]
	v_cndmask_b32_e64 v7, 0, v7, s[2:3]
	global_store_dwordx4 v[18:19], v[5:8], off
.LBB453_16:
	s_or_b64 exec, exec, s[4:5]
	v_add_u32_e32 v3, 16, v4
	v_mad_i64_i32 v[5:6], s[2:3], v3, s6, 0
	v_mov_b32_e32 v1, s8
	v_lshlrev_b64 v[5:6], 4, v[5:6]
	v_add_co_u32_e64 v5, s[2:3], s7, v5
	v_addc_co_u32_e64 v6, s[2:3], v1, v6, s[2:3]
	v_cmp_le_i32_e64 s[2:3], v3, v0
	s_and_b64 s[4:5], s[2:3], vcc
	s_and_saveexec_b64 s[2:3], s[4:5]
	s_cbranch_execz .LBB453_18
; %bb.17:
	v_ashrrev_i32_e32 v1, 31, v0
	v_lshlrev_b64 v[7:8], 4, v[0:1]
	v_mul_f64 v[18:19], s[20:21], v[16:17]
	v_add_co_u32_e32 v11, vcc, v5, v7
	v_addc_co_u32_e32 v12, vcc, v6, v8, vcc
	global_load_dwordx4 v[7:10], v[11:12], off
	v_mul_f64 v[16:17], s[22:23], v[16:17]
	v_cmp_ne_u32_e32 vcc, v3, v0
	v_fma_f64 v[18:19], s[22:23], v[14:15], v[18:19]
	v_fma_f64 v[13:14], s[20:21], v[14:15], -v[16:17]
	s_waitcnt vmcnt(0)
	v_mul_f64 v[20:21], s[14:15], v[9:10]
	v_mul_f64 v[9:10], s[16:17], v[9:10]
	v_fma_f64 v[20:21], s[16:17], v[7:8], v[20:21]
	v_fma_f64 v[7:8], s[14:15], v[7:8], -v[9:10]
	v_add_f64 v[9:10], v[18:19], v[20:21]
	v_add_f64 v[7:8], v[13:14], v[7:8]
	v_cndmask_b32_e32 v10, 0, v10, vcc
	v_cndmask_b32_e32 v9, 0, v9, vcc
	global_store_dwordx4 v[11:12], v[7:10], off
.LBB453_18:
	s_or_b64 exec, exec, s[2:3]
	v_cmp_le_i32_e32 vcc, v3, v2
	s_and_b64 s[0:1], vcc, s[0:1]
	s_and_saveexec_b64 s[2:3], s[0:1]
	s_cbranch_execz .LBB453_20
; %bb.19:
	v_ashrrev_i32_e32 v3, 31, v2
	v_lshlrev_b64 v[1:2], 4, v[2:3]
	v_mul_f64 v[13:14], s[22:23], v[22:23]
	v_add_co_u32_e32 v9, vcc, v5, v1
	v_addc_co_u32_e32 v10, vcc, v6, v2, vcc
	global_load_dwordx4 v[5:8], v[9:10], off
	v_mul_f64 v[1:2], s[20:21], v[22:23]
	v_cmp_ne_u32_e32 vcc, v4, v0
	v_fma_f64 v[13:14], s[20:21], v[24:25], -v[13:14]
	v_fma_f64 v[1:2], s[22:23], v[24:25], v[1:2]
	s_waitcnt vmcnt(0)
	v_mul_f64 v[11:12], s[14:15], v[7:8]
	v_mul_f64 v[7:8], s[16:17], v[7:8]
	v_fma_f64 v[11:12], s[16:17], v[5:6], v[11:12]
	v_fma_f64 v[5:6], s[14:15], v[5:6], -v[7:8]
	v_add_f64 v[7:8], v[1:2], v[11:12]
	v_add_f64 v[1:2], v[13:14], v[5:6]
	v_cndmask_b32_e32 v4, 0, v8, vcc
	v_cndmask_b32_e32 v3, 0, v7, vcc
	global_store_dwordx4 v[9:10], v[1:4], off
.LBB453_20:
	s_endpgm
	.section	.rodata,"a",@progbits
	.p2align	6, 0x0
	.amdhsa_kernel _ZL34rocblas_syrkx_herkx_general_kernelIi19rocblas_complex_numIdELi16ELi32ELi8ELb0ELb1ELc84ELc76EKS1_S1_EviT_T0_PT8_S3_lS6_S3_lS4_PT9_S3_li
		.amdhsa_group_segment_fixed_size 8192
		.amdhsa_private_segment_fixed_size 0
		.amdhsa_kernarg_size 116
		.amdhsa_user_sgpr_count 6
		.amdhsa_user_sgpr_private_segment_buffer 1
		.amdhsa_user_sgpr_dispatch_ptr 0
		.amdhsa_user_sgpr_queue_ptr 0
		.amdhsa_user_sgpr_kernarg_segment_ptr 1
		.amdhsa_user_sgpr_dispatch_id 0
		.amdhsa_user_sgpr_flat_scratch_init 0
		.amdhsa_user_sgpr_private_segment_size 0
		.amdhsa_uses_dynamic_stack 0
		.amdhsa_system_sgpr_private_segment_wavefront_offset 0
		.amdhsa_system_sgpr_workgroup_id_x 1
		.amdhsa_system_sgpr_workgroup_id_y 1
		.amdhsa_system_sgpr_workgroup_id_z 1
		.amdhsa_system_sgpr_workgroup_info 0
		.amdhsa_system_vgpr_workitem_id 1
		.amdhsa_next_free_vgpr 56
		.amdhsa_next_free_sgpr 61
		.amdhsa_reserve_vcc 1
		.amdhsa_reserve_flat_scratch 0
		.amdhsa_float_round_mode_32 0
		.amdhsa_float_round_mode_16_64 0
		.amdhsa_float_denorm_mode_32 3
		.amdhsa_float_denorm_mode_16_64 3
		.amdhsa_dx10_clamp 1
		.amdhsa_ieee_mode 1
		.amdhsa_fp16_overflow 0
		.amdhsa_exception_fp_ieee_invalid_op 0
		.amdhsa_exception_fp_denorm_src 0
		.amdhsa_exception_fp_ieee_div_zero 0
		.amdhsa_exception_fp_ieee_overflow 0
		.amdhsa_exception_fp_ieee_underflow 0
		.amdhsa_exception_fp_ieee_inexact 0
		.amdhsa_exception_int_div_zero 0
	.end_amdhsa_kernel
	.section	.text._ZL34rocblas_syrkx_herkx_general_kernelIi19rocblas_complex_numIdELi16ELi32ELi8ELb0ELb1ELc84ELc76EKS1_S1_EviT_T0_PT8_S3_lS6_S3_lS4_PT9_S3_li,"axG",@progbits,_ZL34rocblas_syrkx_herkx_general_kernelIi19rocblas_complex_numIdELi16ELi32ELi8ELb0ELb1ELc84ELc76EKS1_S1_EviT_T0_PT8_S3_lS6_S3_lS4_PT9_S3_li,comdat
.Lfunc_end453:
	.size	_ZL34rocblas_syrkx_herkx_general_kernelIi19rocblas_complex_numIdELi16ELi32ELi8ELb0ELb1ELc84ELc76EKS1_S1_EviT_T0_PT8_S3_lS6_S3_lS4_PT9_S3_li, .Lfunc_end453-_ZL34rocblas_syrkx_herkx_general_kernelIi19rocblas_complex_numIdELi16ELi32ELi8ELb0ELb1ELc84ELc76EKS1_S1_EviT_T0_PT8_S3_lS6_S3_lS4_PT9_S3_li
                                        ; -- End function
	.set _ZL34rocblas_syrkx_herkx_general_kernelIi19rocblas_complex_numIdELi16ELi32ELi8ELb0ELb1ELc84ELc76EKS1_S1_EviT_T0_PT8_S3_lS6_S3_lS4_PT9_S3_li.num_vgpr, 56
	.set _ZL34rocblas_syrkx_herkx_general_kernelIi19rocblas_complex_numIdELi16ELi32ELi8ELb0ELb1ELc84ELc76EKS1_S1_EviT_T0_PT8_S3_lS6_S3_lS4_PT9_S3_li.num_agpr, 0
	.set _ZL34rocblas_syrkx_herkx_general_kernelIi19rocblas_complex_numIdELi16ELi32ELi8ELb0ELb1ELc84ELc76EKS1_S1_EviT_T0_PT8_S3_lS6_S3_lS4_PT9_S3_li.numbered_sgpr, 32
	.set _ZL34rocblas_syrkx_herkx_general_kernelIi19rocblas_complex_numIdELi16ELi32ELi8ELb0ELb1ELc84ELc76EKS1_S1_EviT_T0_PT8_S3_lS6_S3_lS4_PT9_S3_li.num_named_barrier, 0
	.set _ZL34rocblas_syrkx_herkx_general_kernelIi19rocblas_complex_numIdELi16ELi32ELi8ELb0ELb1ELc84ELc76EKS1_S1_EviT_T0_PT8_S3_lS6_S3_lS4_PT9_S3_li.private_seg_size, 0
	.set _ZL34rocblas_syrkx_herkx_general_kernelIi19rocblas_complex_numIdELi16ELi32ELi8ELb0ELb1ELc84ELc76EKS1_S1_EviT_T0_PT8_S3_lS6_S3_lS4_PT9_S3_li.uses_vcc, 1
	.set _ZL34rocblas_syrkx_herkx_general_kernelIi19rocblas_complex_numIdELi16ELi32ELi8ELb0ELb1ELc84ELc76EKS1_S1_EviT_T0_PT8_S3_lS6_S3_lS4_PT9_S3_li.uses_flat_scratch, 0
	.set _ZL34rocblas_syrkx_herkx_general_kernelIi19rocblas_complex_numIdELi16ELi32ELi8ELb0ELb1ELc84ELc76EKS1_S1_EviT_T0_PT8_S3_lS6_S3_lS4_PT9_S3_li.has_dyn_sized_stack, 0
	.set _ZL34rocblas_syrkx_herkx_general_kernelIi19rocblas_complex_numIdELi16ELi32ELi8ELb0ELb1ELc84ELc76EKS1_S1_EviT_T0_PT8_S3_lS6_S3_lS4_PT9_S3_li.has_recursion, 0
	.set _ZL34rocblas_syrkx_herkx_general_kernelIi19rocblas_complex_numIdELi16ELi32ELi8ELb0ELb1ELc84ELc76EKS1_S1_EviT_T0_PT8_S3_lS6_S3_lS4_PT9_S3_li.has_indirect_call, 0
	.section	.AMDGPU.csdata,"",@progbits
; Kernel info:
; codeLenInByte = 3400
; TotalNumSgprs: 36
; NumVgprs: 56
; ScratchSize: 0
; MemoryBound: 0
; FloatMode: 240
; IeeeMode: 1
; LDSByteSize: 8192 bytes/workgroup (compile time only)
; SGPRBlocks: 8
; VGPRBlocks: 13
; NumSGPRsForWavesPerEU: 65
; NumVGPRsForWavesPerEU: 56
; Occupancy: 4
; WaveLimiterHint : 0
; COMPUTE_PGM_RSRC2:SCRATCH_EN: 0
; COMPUTE_PGM_RSRC2:USER_SGPR: 6
; COMPUTE_PGM_RSRC2:TRAP_HANDLER: 0
; COMPUTE_PGM_RSRC2:TGID_X_EN: 1
; COMPUTE_PGM_RSRC2:TGID_Y_EN: 1
; COMPUTE_PGM_RSRC2:TGID_Z_EN: 1
; COMPUTE_PGM_RSRC2:TIDIG_COMP_CNT: 1
	.section	.text._ZL34rocblas_syrkx_herkx_general_kernelIi19rocblas_complex_numIdELi16ELi32ELi8ELb0ELb1ELc67ELc76EKS1_S1_EviT_T0_PT8_S3_lS6_S3_lS4_PT9_S3_li,"axG",@progbits,_ZL34rocblas_syrkx_herkx_general_kernelIi19rocblas_complex_numIdELi16ELi32ELi8ELb0ELb1ELc67ELc76EKS1_S1_EviT_T0_PT8_S3_lS6_S3_lS4_PT9_S3_li,comdat
	.globl	_ZL34rocblas_syrkx_herkx_general_kernelIi19rocblas_complex_numIdELi16ELi32ELi8ELb0ELb1ELc67ELc76EKS1_S1_EviT_T0_PT8_S3_lS6_S3_lS4_PT9_S3_li ; -- Begin function _ZL34rocblas_syrkx_herkx_general_kernelIi19rocblas_complex_numIdELi16ELi32ELi8ELb0ELb1ELc67ELc76EKS1_S1_EviT_T0_PT8_S3_lS6_S3_lS4_PT9_S3_li
	.p2align	8
	.type	_ZL34rocblas_syrkx_herkx_general_kernelIi19rocblas_complex_numIdELi16ELi32ELi8ELb0ELb1ELc67ELc76EKS1_S1_EviT_T0_PT8_S3_lS6_S3_lS4_PT9_S3_li,@function
_ZL34rocblas_syrkx_herkx_general_kernelIi19rocblas_complex_numIdELi16ELi32ELi8ELb0ELb1ELc67ELc76EKS1_S1_EviT_T0_PT8_S3_lS6_S3_lS4_PT9_S3_li: ; @_ZL34rocblas_syrkx_herkx_general_kernelIi19rocblas_complex_numIdELi16ELi32ELi8ELb0ELb1ELc67ELc76EKS1_S1_EviT_T0_PT8_S3_lS6_S3_lS4_PT9_S3_li
; %bb.0:
	s_load_dwordx2 s[10:11], s[4:5], 0x0
	s_load_dwordx4 s[20:23], s[4:5], 0x8
	s_load_dwordx2 s[28:29], s[4:5], 0x18
	s_load_dwordx8 s[12:19], s[4:5], 0x40
	s_lshl_b32 s9, s6, 5
	s_lshl_b32 s30, s7, 5
	s_waitcnt lgkmcnt(0)
	s_cmp_lt_i32 s11, 1
	s_mov_b32 s31, 0
	s_cbranch_scc1 .LBB454_9
; %bb.1:
	v_lshl_add_u32 v2, v1, 4, v0
	v_lshrrev_b32_e32 v28, 5, v2
	v_lshrrev_b32_e32 v3, 3, v2
	v_and_b32_e32 v2, 31, v2
	v_or_b32_e32 v5, s9, v2
	s_load_dword s2, s[4:5], 0x20
	s_load_dwordx4 s[24:27], s[4:5], 0x28
	s_load_dword s6, s[4:5], 0x38
	v_and_b32_e32 v27, 7, v0
	v_cmp_gt_i32_e64 s[0:1], s10, v5
	v_lshlrev_b32_e32 v5, 4, v2
	v_lshl_or_b32 v29, v28, 9, v5
	v_lshlrev_b32_e32 v5, 4, v27
	v_add_u32_e32 v4, s30, v3
	v_lshl_or_b32 v3, v3, 7, v5
	v_add_u32_e32 v2, s9, v2
	v_add_u32_e32 v30, 0x1000, v3
	s_waitcnt lgkmcnt(0)
	v_mad_i64_i32 v[2:3], s[2:3], s2, v2, 0
	s_mul_i32 s2, s25, s8
	s_mul_hi_u32 s3, s24, s8
	v_lshlrev_b64 v[2:3], 4, v[2:3]
	s_add_i32 s3, s3, s2
	s_mul_i32 s2, s24, s8
	v_mov_b32_e32 v6, 0x1000
	s_lshl_b64 s[2:3], s[2:3], 4
	v_lshl_add_u32 v32, v1, 7, v6
	v_mov_b32_e32 v6, s3
	v_add_co_u32_e64 v2, s[2:3], s2, v2
	v_addc_co_u32_e64 v3, s[2:3], v3, v6, s[2:3]
	v_lshlrev_b32_e32 v6, 4, v28
	v_add_co_u32_e64 v2, s[2:3], v2, v6
	v_addc_co_u32_e64 v3, s[2:3], 0, v3, s[2:3]
	v_mov_b32_e32 v6, s29
	v_add_co_u32_e64 v7, s[2:3], s28, v2
	v_addc_co_u32_e64 v6, s[2:3], v6, v3, s[2:3]
	v_mad_i64_i32 v[2:3], s[2:3], s6, v4, 0
	v_add_co_u32_e64 v7, s[2:3], 8, v7
	v_addc_co_u32_e64 v8, s[2:3], 0, v6, s[2:3]
	s_mul_i32 s2, s13, s8
	s_mul_hi_u32 s3, s12, s8
	v_lshlrev_b64 v[2:3], 4, v[2:3]
	s_add_i32 s3, s3, s2
	s_mul_i32 s2, s12, s8
	s_lshl_b64 s[2:3], s[2:3], 4
	v_cmp_gt_i32_e32 vcc, s10, v4
	v_mov_b32_e32 v4, s3
	v_add_co_u32_e64 v2, s[2:3], s2, v2
	v_addc_co_u32_e64 v3, s[2:3], v3, v4, s[2:3]
	v_add_co_u32_e64 v2, s[2:3], v2, v5
	v_addc_co_u32_e64 v3, s[2:3], 0, v3, s[2:3]
	v_mov_b32_e32 v4, s27
	v_add_co_u32_e64 v9, s[2:3], s26, v2
	v_addc_co_u32_e64 v10, s[2:3], v4, v3, s[2:3]
	v_mov_b32_e32 v23, 0
	v_mov_b32_e32 v25, 0
	;; [unrolled: 1-line block ×8, first 2 shown]
	v_lshlrev_b32_e32 v31, 4, v0
	v_mov_b32_e32 v24, 0
	s_xor_b64 s[2:3], vcc, -1
	v_mov_b32_e32 v26, 0
	v_mov_b32_e32 v18, 0
	;; [unrolled: 1-line block ×8, first 2 shown]
	s_branch .LBB454_3
.LBB454_2:                              ;   in Loop: Header=BB454_3 Depth=1
	s_or_b64 exec, exec, s[6:7]
	s_waitcnt lgkmcnt(0)
	s_barrier
	ds_read_b128 v[3:6], v32
	ds_read_b128 v[33:36], v32 offset:16
	ds_read_b128 v[37:40], v32 offset:32
	ds_read_b128 v[41:44], v32 offset:48
	ds_read_b128 v[45:48], v31
	v_add_co_u32_e32 v7, vcc, 0x80, v7
	v_addc_co_u32_e32 v8, vcc, 0, v8, vcc
	s_waitcnt lgkmcnt(0)
	v_mul_f64 v[49:50], v[5:6], v[47:48]
	v_mul_f64 v[51:52], v[3:4], v[47:48]
	s_add_i32 s31, s31, 8
	v_add_co_u32_e32 v9, vcc, 0x80, v9
	v_addc_co_u32_e32 v10, vcc, 0, v10, vcc
	s_cmp_ge_i32 s31, s11
	v_fma_f64 v[49:50], v[3:4], v[45:46], -v[49:50]
	v_fma_f64 v[51:52], v[5:6], v[45:46], v[51:52]
	v_add_f64 v[49:50], v[19:20], v[49:50]
	v_add_f64 v[51:52], v[51:52], v[21:22]
	ds_read_b128 v[19:22], v31 offset:256
	s_waitcnt lgkmcnt(0)
	v_mul_f64 v[53:54], v[5:6], v[21:22]
	v_fma_f64 v[53:54], v[3:4], v[19:20], -v[53:54]
	v_mul_f64 v[3:4], v[3:4], v[21:22]
	v_add_f64 v[53:54], v[11:12], v[53:54]
	v_fma_f64 v[3:4], v[5:6], v[19:20], v[3:4]
	v_add_f64 v[55:56], v[3:4], v[13:14]
	ds_read_b128 v[3:6], v32 offset:2048
	s_waitcnt lgkmcnt(0)
	v_mul_f64 v[11:12], v[5:6], v[47:48]
	v_mul_f64 v[13:14], v[3:4], v[47:48]
	v_fma_f64 v[11:12], v[3:4], v[45:46], -v[11:12]
	v_fma_f64 v[13:14], v[5:6], v[45:46], v[13:14]
	v_add_f64 v[45:46], v[15:16], v[11:12]
	v_mul_f64 v[11:12], v[5:6], v[21:22]
	v_add_f64 v[47:48], v[13:14], v[17:18]
	v_fma_f64 v[11:12], v[3:4], v[19:20], -v[11:12]
	v_mul_f64 v[3:4], v[3:4], v[21:22]
	v_fma_f64 v[3:4], v[5:6], v[19:20], v[3:4]
	v_add_f64 v[19:20], v[25:26], v[11:12]
	v_add_f64 v[21:22], v[3:4], v[23:24]
	ds_read_b128 v[3:6], v31 offset:512
	s_waitcnt lgkmcnt(0)
	v_mul_f64 v[11:12], v[35:36], v[5:6]
	v_mul_f64 v[13:14], v[33:34], v[5:6]
	v_fma_f64 v[11:12], v[33:34], v[3:4], -v[11:12]
	v_fma_f64 v[13:14], v[35:36], v[3:4], v[13:14]
	v_add_f64 v[23:24], v[49:50], v[11:12]
	v_add_f64 v[25:26], v[13:14], v[51:52]
	ds_read_b128 v[11:14], v31 offset:768
	s_waitcnt lgkmcnt(0)
	v_mul_f64 v[15:16], v[35:36], v[13:14]
	v_mul_f64 v[17:18], v[33:34], v[13:14]
	v_fma_f64 v[15:16], v[33:34], v[11:12], -v[15:16]
	;; [unrolled: 8-line block ×3, first 2 shown]
	v_fma_f64 v[3:4], v[17:18], v[3:4], v[5:6]
	v_mul_f64 v[5:6], v[15:16], v[13:14]
	v_add_f64 v[45:46], v[45:46], v[49:50]
	v_add_f64 v[47:48], v[3:4], v[47:48]
	v_mul_f64 v[3:4], v[17:18], v[13:14]
	v_fma_f64 v[5:6], v[17:18], v[11:12], v[5:6]
	v_fma_f64 v[3:4], v[15:16], v[11:12], -v[3:4]
	v_add_f64 v[21:22], v[5:6], v[21:22]
	v_add_f64 v[19:20], v[19:20], v[3:4]
	ds_read_b128 v[3:6], v31 offset:1024
	s_waitcnt lgkmcnt(0)
	v_mul_f64 v[11:12], v[39:40], v[5:6]
	v_mul_f64 v[13:14], v[37:38], v[5:6]
	v_fma_f64 v[11:12], v[37:38], v[3:4], -v[11:12]
	v_fma_f64 v[13:14], v[39:40], v[3:4], v[13:14]
	v_add_f64 v[23:24], v[23:24], v[11:12]
	v_add_f64 v[25:26], v[13:14], v[25:26]
	ds_read_b128 v[11:14], v31 offset:1280
	s_waitcnt lgkmcnt(0)
	v_mul_f64 v[15:16], v[39:40], v[13:14]
	v_mul_f64 v[17:18], v[37:38], v[13:14]
	v_fma_f64 v[15:16], v[37:38], v[11:12], -v[15:16]
	v_fma_f64 v[17:18], v[39:40], v[11:12], v[17:18]
	;; [unrolled: 8-line block ×3, first 2 shown]
	v_mul_f64 v[5:6], v[15:16], v[13:14]
	v_add_f64 v[37:38], v[45:46], v[37:38]
	v_add_f64 v[39:40], v[3:4], v[47:48]
	v_mul_f64 v[3:4], v[17:18], v[13:14]
	v_fma_f64 v[5:6], v[17:18], v[11:12], v[5:6]
	v_fma_f64 v[3:4], v[15:16], v[11:12], -v[3:4]
	v_add_f64 v[21:22], v[5:6], v[21:22]
	v_add_f64 v[19:20], v[19:20], v[3:4]
	ds_read_b128 v[3:6], v31 offset:1536
	s_waitcnt lgkmcnt(0)
	v_mul_f64 v[11:12], v[43:44], v[5:6]
	v_mul_f64 v[13:14], v[41:42], v[5:6]
	v_fma_f64 v[11:12], v[41:42], v[3:4], -v[11:12]
	v_fma_f64 v[13:14], v[43:44], v[3:4], v[13:14]
	v_add_f64 v[23:24], v[23:24], v[11:12]
	v_add_f64 v[25:26], v[13:14], v[25:26]
	ds_read_b128 v[11:14], v31 offset:1792
	s_waitcnt lgkmcnt(0)
	v_mul_f64 v[15:16], v[43:44], v[13:14]
	v_mul_f64 v[17:18], v[41:42], v[13:14]
	v_fma_f64 v[15:16], v[41:42], v[11:12], -v[15:16]
	v_fma_f64 v[17:18], v[43:44], v[11:12], v[17:18]
	;; [unrolled: 8-line block ×3, first 2 shown]
	v_mul_f64 v[5:6], v[15:16], v[13:14]
	v_add_f64 v[37:38], v[37:38], v[41:42]
	v_add_f64 v[39:40], v[3:4], v[39:40]
	v_mul_f64 v[3:4], v[17:18], v[13:14]
	v_fma_f64 v[5:6], v[17:18], v[11:12], v[5:6]
	v_fma_f64 v[3:4], v[15:16], v[11:12], -v[3:4]
	v_add_f64 v[21:22], v[5:6], v[21:22]
	v_add_f64 v[19:20], v[19:20], v[3:4]
	ds_read_b128 v[3:6], v32 offset:64
	ds_read_b128 v[11:14], v31 offset:2048
	s_waitcnt lgkmcnt(0)
	v_mul_f64 v[15:16], v[5:6], v[13:14]
	v_mul_f64 v[17:18], v[3:4], v[13:14]
	v_fma_f64 v[15:16], v[3:4], v[11:12], -v[15:16]
	v_fma_f64 v[17:18], v[5:6], v[11:12], v[17:18]
	v_add_f64 v[23:24], v[23:24], v[15:16]
	v_add_f64 v[25:26], v[17:18], v[25:26]
	ds_read_b128 v[15:18], v31 offset:2304
	s_waitcnt lgkmcnt(0)
	v_mul_f64 v[41:42], v[5:6], v[17:18]
	v_fma_f64 v[41:42], v[3:4], v[15:16], -v[41:42]
	v_mul_f64 v[3:4], v[3:4], v[17:18]
	v_add_f64 v[33:34], v[33:34], v[41:42]
	v_fma_f64 v[3:4], v[5:6], v[15:16], v[3:4]
	v_add_f64 v[35:36], v[3:4], v[35:36]
	ds_read_b128 v[3:6], v32 offset:2112
	s_waitcnt lgkmcnt(0)
	v_mul_f64 v[41:42], v[5:6], v[13:14]
	v_mul_f64 v[13:14], v[3:4], v[13:14]
	v_fma_f64 v[41:42], v[3:4], v[11:12], -v[41:42]
	v_fma_f64 v[11:12], v[5:6], v[11:12], v[13:14]
	v_add_f64 v[37:38], v[37:38], v[41:42]
	v_add_f64 v[39:40], v[11:12], v[39:40]
	v_mul_f64 v[11:12], v[5:6], v[17:18]
	v_fma_f64 v[11:12], v[3:4], v[15:16], -v[11:12]
	v_mul_f64 v[3:4], v[3:4], v[17:18]
	v_add_f64 v[19:20], v[19:20], v[11:12]
	v_fma_f64 v[3:4], v[5:6], v[15:16], v[3:4]
	v_add_f64 v[21:22], v[3:4], v[21:22]
	ds_read_b128 v[3:6], v32 offset:80
	ds_read_b128 v[11:14], v31 offset:2560
	s_waitcnt lgkmcnt(0)
	v_mul_f64 v[15:16], v[5:6], v[13:14]
	v_mul_f64 v[17:18], v[3:4], v[13:14]
	v_fma_f64 v[15:16], v[3:4], v[11:12], -v[15:16]
	v_fma_f64 v[17:18], v[5:6], v[11:12], v[17:18]
	v_add_f64 v[23:24], v[23:24], v[15:16]
	v_add_f64 v[25:26], v[17:18], v[25:26]
	ds_read_b128 v[15:18], v31 offset:2816
	s_waitcnt lgkmcnt(0)
	v_mul_f64 v[41:42], v[5:6], v[17:18]
	v_fma_f64 v[41:42], v[3:4], v[15:16], -v[41:42]
	v_mul_f64 v[3:4], v[3:4], v[17:18]
	v_add_f64 v[33:34], v[33:34], v[41:42]
	v_fma_f64 v[3:4], v[5:6], v[15:16], v[3:4]
	v_add_f64 v[35:36], v[3:4], v[35:36]
	ds_read_b128 v[3:6], v32 offset:2128
	s_waitcnt lgkmcnt(0)
	v_mul_f64 v[41:42], v[5:6], v[13:14]
	v_mul_f64 v[13:14], v[3:4], v[13:14]
	v_fma_f64 v[41:42], v[3:4], v[11:12], -v[41:42]
	v_fma_f64 v[11:12], v[5:6], v[11:12], v[13:14]
	v_add_f64 v[37:38], v[37:38], v[41:42]
	v_add_f64 v[39:40], v[11:12], v[39:40]
	v_mul_f64 v[11:12], v[5:6], v[17:18]
	v_fma_f64 v[11:12], v[3:4], v[15:16], -v[11:12]
	v_mul_f64 v[3:4], v[3:4], v[17:18]
	v_add_f64 v[19:20], v[19:20], v[11:12]
	v_fma_f64 v[3:4], v[5:6], v[15:16], v[3:4]
	;; [unrolled: 31-line block ×3, first 2 shown]
	v_add_f64 v[43:44], v[3:4], v[21:22]
	ds_read_b128 v[3:6], v32 offset:112
	ds_read_b128 v[15:18], v31 offset:3584
	s_waitcnt lgkmcnt(0)
	v_mul_f64 v[11:12], v[5:6], v[17:18]
	v_mul_f64 v[13:14], v[3:4], v[17:18]
	v_fma_f64 v[11:12], v[3:4], v[15:16], -v[11:12]
	v_fma_f64 v[13:14], v[5:6], v[15:16], v[13:14]
	v_add_f64 v[19:20], v[23:24], v[11:12]
	v_add_f64 v[21:22], v[13:14], v[25:26]
	ds_read_b128 v[23:26], v31 offset:3840
	s_waitcnt lgkmcnt(0)
	v_mul_f64 v[11:12], v[5:6], v[25:26]
	v_fma_f64 v[11:12], v[3:4], v[23:24], -v[11:12]
	v_mul_f64 v[3:4], v[3:4], v[25:26]
	v_add_f64 v[11:12], v[33:34], v[11:12]
	v_fma_f64 v[3:4], v[5:6], v[23:24], v[3:4]
	v_add_f64 v[13:14], v[3:4], v[35:36]
	ds_read_b128 v[3:6], v32 offset:2160
	s_waitcnt lgkmcnt(0)
	s_barrier
	v_mul_f64 v[33:34], v[5:6], v[17:18]
	v_mul_f64 v[17:18], v[3:4], v[17:18]
	v_fma_f64 v[33:34], v[3:4], v[15:16], -v[33:34]
	v_fma_f64 v[17:18], v[5:6], v[15:16], v[17:18]
	v_add_f64 v[15:16], v[37:38], v[33:34]
	v_mul_f64 v[33:34], v[5:6], v[25:26]
	v_add_f64 v[17:18], v[17:18], v[39:40]
	v_fma_f64 v[33:34], v[3:4], v[23:24], -v[33:34]
	v_mul_f64 v[3:4], v[3:4], v[25:26]
	v_add_f64 v[25:26], v[41:42], v[33:34]
	v_fma_f64 v[3:4], v[5:6], v[23:24], v[3:4]
	v_add_f64 v[23:24], v[3:4], v[43:44]
	s_cbranch_scc1 .LBB454_10
.LBB454_3:                              ; =>This Inner Loop Header: Depth=1
	v_add_u32_e32 v3, s31, v28
	v_cmp_gt_i32_e32 vcc, s11, v3
	v_mov_b32_e32 v3, 0
	v_mov_b32_e32 v5, 0
	;; [unrolled: 1-line block ×4, first 2 shown]
	s_and_b64 s[12:13], s[0:1], vcc
	s_and_saveexec_b64 s[6:7], s[12:13]
	s_cbranch_execz .LBB454_5
; %bb.4:                                ;   in Loop: Header=BB454_3 Depth=1
	global_load_dwordx4 v[3:6], v[7:8], off offset:-8
	s_waitcnt vmcnt(0)
	v_xor_b32_e32 v6, 0x80000000, v6
.LBB454_5:                              ;   in Loop: Header=BB454_3 Depth=1
	s_or_b64 exec, exec, s[6:7]
	ds_write_b128 v29, v[3:6]
	v_add_u32_e32 v3, s31, v27
	v_cmp_le_i32_e32 vcc, s11, v3
	s_or_b64 s[6:7], vcc, s[2:3]
	s_and_saveexec_b64 s[12:13], s[6:7]
	s_xor_b64 s[6:7], exec, s[12:13]
; %bb.6:                                ;   in Loop: Header=BB454_3 Depth=1
	v_mov_b32_e32 v3, v2
	v_mov_b32_e32 v4, v2
	;; [unrolled: 1-line block ×3, first 2 shown]
	ds_write_b128 v30, v[2:5]
; %bb.7:                                ;   in Loop: Header=BB454_3 Depth=1
	s_andn2_saveexec_b64 s[6:7], s[6:7]
	s_cbranch_execz .LBB454_2
; %bb.8:                                ;   in Loop: Header=BB454_3 Depth=1
	global_load_dwordx4 v[3:6], v[9:10], off
	s_waitcnt vmcnt(0)
	ds_write2_b64 v30, v[3:4], v[5:6] offset1:1
	s_branch .LBB454_2
.LBB454_9:
	v_mov_b32_e32 v19, 0
	v_mov_b32_e32 v21, 0
	;; [unrolled: 1-line block ×16, first 2 shown]
.LBB454_10:
	s_load_dwordx2 s[0:1], s[4:5], 0x68
	s_load_dword s6, s[4:5], 0x60
	v_add_u32_e32 v4, s30, v1
	v_add_u32_e32 v0, s9, v0
	s_waitcnt lgkmcnt(0)
	s_mul_i32 s1, s1, s8
	s_mul_hi_u32 s2, s0, s8
	s_add_i32 s1, s2, s1
	v_mad_i64_i32 v[1:2], s[2:3], v4, s6, 0
	s_mul_i32 s0, s0, s8
	s_lshl_b64 s[0:1], s[0:1], 4
	s_add_u32 s7, s18, s0
	v_lshlrev_b64 v[1:2], 4, v[1:2]
	s_addc_u32 s8, s19, s1
	v_mov_b32_e32 v3, s8
	v_add_co_u32_e32 v5, vcc, s7, v1
	v_addc_co_u32_e32 v6, vcc, v3, v2, vcc
	v_cmp_le_i32_e64 s[0:1], v4, v0
	v_cmp_gt_i32_e32 vcc, s10, v0
	s_and_b64 s[0:1], s[0:1], vcc
	s_and_saveexec_b64 s[2:3], s[0:1]
	s_cbranch_execz .LBB454_12
; %bb.11:
	v_ashrrev_i32_e32 v1, 31, v0
	v_lshlrev_b64 v[1:2], 4, v[0:1]
	v_mul_f64 v[27:28], s[20:21], v[21:22]
	v_add_co_u32_e64 v1, s[0:1], v5, v1
	v_addc_co_u32_e64 v2, s[0:1], v6, v2, s[0:1]
	global_load_dwordx4 v[7:10], v[1:2], off
	v_mul_f64 v[21:22], s[22:23], v[21:22]
	v_cmp_ne_u32_e64 s[0:1], v4, v0
	v_fma_f64 v[27:28], s[22:23], v[19:20], v[27:28]
	v_fma_f64 v[19:20], s[20:21], v[19:20], -v[21:22]
	s_waitcnt vmcnt(0)
	v_mul_f64 v[29:30], s[14:15], v[9:10]
	v_mul_f64 v[9:10], s[16:17], v[9:10]
	v_fma_f64 v[29:30], s[16:17], v[7:8], v[29:30]
	v_fma_f64 v[7:8], s[14:15], v[7:8], -v[9:10]
	v_add_f64 v[9:10], v[27:28], v[29:30]
	v_add_f64 v[7:8], v[19:20], v[7:8]
	v_cndmask_b32_e64 v10, 0, v10, s[0:1]
	v_cndmask_b32_e64 v9, 0, v9, s[0:1]
	global_store_dwordx4 v[1:2], v[7:10], off
.LBB454_12:
	s_or_b64 exec, exec, s[2:3]
	v_add_u32_e32 v2, 16, v0
	v_cmp_le_i32_e64 s[2:3], v4, v2
	v_cmp_gt_i32_e64 s[0:1], s10, v2
	s_and_b64 s[2:3], s[2:3], s[0:1]
	s_and_saveexec_b64 s[4:5], s[2:3]
	s_cbranch_execz .LBB454_14
; %bb.13:
	v_ashrrev_i32_e32 v3, 31, v2
	v_lshlrev_b64 v[7:8], 4, v[2:3]
	v_mul_f64 v[19:20], s[20:21], v[13:14]
	v_add_co_u32_e64 v9, s[2:3], v5, v7
	v_addc_co_u32_e64 v10, s[2:3], v6, v8, s[2:3]
	global_load_dwordx4 v[5:8], v[9:10], off
	v_mul_f64 v[13:14], s[22:23], v[13:14]
	v_cmp_ne_u32_e64 s[2:3], v4, v2
	v_fma_f64 v[19:20], s[22:23], v[11:12], v[19:20]
	v_fma_f64 v[11:12], s[20:21], v[11:12], -v[13:14]
	s_waitcnt vmcnt(0)
	v_mul_f64 v[21:22], s[14:15], v[7:8]
	v_mul_f64 v[7:8], s[16:17], v[7:8]
	v_fma_f64 v[21:22], s[16:17], v[5:6], v[21:22]
	v_fma_f64 v[5:6], s[14:15], v[5:6], -v[7:8]
	v_add_f64 v[7:8], v[19:20], v[21:22]
	v_add_f64 v[5:6], v[11:12], v[5:6]
	v_cndmask_b32_e64 v8, 0, v8, s[2:3]
	v_cndmask_b32_e64 v7, 0, v7, s[2:3]
	global_store_dwordx4 v[9:10], v[5:8], off
.LBB454_14:
	s_or_b64 exec, exec, s[4:5]
	v_add_u32_e32 v3, 16, v4
	v_mad_i64_i32 v[5:6], s[2:3], v3, s6, 0
	v_mov_b32_e32 v1, s8
	v_lshlrev_b64 v[5:6], 4, v[5:6]
	v_add_co_u32_e64 v5, s[2:3], s7, v5
	v_addc_co_u32_e64 v6, s[2:3], v1, v6, s[2:3]
	v_cmp_le_i32_e64 s[2:3], v3, v0
	s_and_b64 s[4:5], s[2:3], vcc
	s_and_saveexec_b64 s[2:3], s[4:5]
	s_cbranch_execz .LBB454_16
; %bb.15:
	v_ashrrev_i32_e32 v1, 31, v0
	v_lshlrev_b64 v[7:8], 4, v[0:1]
	v_mul_f64 v[13:14], s[20:21], v[17:18]
	v_add_co_u32_e32 v11, vcc, v5, v7
	v_addc_co_u32_e32 v12, vcc, v6, v8, vcc
	global_load_dwordx4 v[7:10], v[11:12], off
	v_mul_f64 v[17:18], s[22:23], v[17:18]
	v_cmp_ne_u32_e32 vcc, v3, v0
	v_fma_f64 v[13:14], s[22:23], v[15:16], v[13:14]
	v_fma_f64 v[15:16], s[20:21], v[15:16], -v[17:18]
	s_waitcnt vmcnt(0)
	v_mul_f64 v[19:20], s[14:15], v[9:10]
	v_mul_f64 v[9:10], s[16:17], v[9:10]
	v_fma_f64 v[19:20], s[16:17], v[7:8], v[19:20]
	v_fma_f64 v[7:8], s[14:15], v[7:8], -v[9:10]
	v_add_f64 v[9:10], v[13:14], v[19:20]
	v_add_f64 v[7:8], v[15:16], v[7:8]
	v_cndmask_b32_e32 v10, 0, v10, vcc
	v_cndmask_b32_e32 v9, 0, v9, vcc
	global_store_dwordx4 v[11:12], v[7:10], off
.LBB454_16:
	s_or_b64 exec, exec, s[2:3]
	v_cmp_le_i32_e32 vcc, v3, v2
	s_and_b64 s[0:1], vcc, s[0:1]
	s_and_saveexec_b64 s[2:3], s[0:1]
	s_cbranch_execz .LBB454_18
; %bb.17:
	v_ashrrev_i32_e32 v3, 31, v2
	v_lshlrev_b64 v[1:2], 4, v[2:3]
	v_mul_f64 v[13:14], s[22:23], v[23:24]
	v_add_co_u32_e32 v9, vcc, v5, v1
	v_addc_co_u32_e32 v10, vcc, v6, v2, vcc
	global_load_dwordx4 v[5:8], v[9:10], off
	v_mul_f64 v[1:2], s[20:21], v[23:24]
	v_cmp_ne_u32_e32 vcc, v4, v0
	v_fma_f64 v[13:14], s[20:21], v[25:26], -v[13:14]
	v_fma_f64 v[1:2], s[22:23], v[25:26], v[1:2]
	s_waitcnt vmcnt(0)
	v_mul_f64 v[11:12], s[14:15], v[7:8]
	v_mul_f64 v[7:8], s[16:17], v[7:8]
	v_fma_f64 v[11:12], s[16:17], v[5:6], v[11:12]
	v_fma_f64 v[5:6], s[14:15], v[5:6], -v[7:8]
	v_add_f64 v[7:8], v[1:2], v[11:12]
	v_add_f64 v[1:2], v[13:14], v[5:6]
	v_cndmask_b32_e32 v4, 0, v8, vcc
	v_cndmask_b32_e32 v3, 0, v7, vcc
	global_store_dwordx4 v[9:10], v[1:4], off
.LBB454_18:
	s_endpgm
	.section	.rodata,"a",@progbits
	.p2align	6, 0x0
	.amdhsa_kernel _ZL34rocblas_syrkx_herkx_general_kernelIi19rocblas_complex_numIdELi16ELi32ELi8ELb0ELb1ELc67ELc76EKS1_S1_EviT_T0_PT8_S3_lS6_S3_lS4_PT9_S3_li
		.amdhsa_group_segment_fixed_size 8192
		.amdhsa_private_segment_fixed_size 0
		.amdhsa_kernarg_size 116
		.amdhsa_user_sgpr_count 6
		.amdhsa_user_sgpr_private_segment_buffer 1
		.amdhsa_user_sgpr_dispatch_ptr 0
		.amdhsa_user_sgpr_queue_ptr 0
		.amdhsa_user_sgpr_kernarg_segment_ptr 1
		.amdhsa_user_sgpr_dispatch_id 0
		.amdhsa_user_sgpr_flat_scratch_init 0
		.amdhsa_user_sgpr_private_segment_size 0
		.amdhsa_uses_dynamic_stack 0
		.amdhsa_system_sgpr_private_segment_wavefront_offset 0
		.amdhsa_system_sgpr_workgroup_id_x 1
		.amdhsa_system_sgpr_workgroup_id_y 1
		.amdhsa_system_sgpr_workgroup_id_z 1
		.amdhsa_system_sgpr_workgroup_info 0
		.amdhsa_system_vgpr_workitem_id 1
		.amdhsa_next_free_vgpr 57
		.amdhsa_next_free_sgpr 61
		.amdhsa_reserve_vcc 1
		.amdhsa_reserve_flat_scratch 0
		.amdhsa_float_round_mode_32 0
		.amdhsa_float_round_mode_16_64 0
		.amdhsa_float_denorm_mode_32 3
		.amdhsa_float_denorm_mode_16_64 3
		.amdhsa_dx10_clamp 1
		.amdhsa_ieee_mode 1
		.amdhsa_fp16_overflow 0
		.amdhsa_exception_fp_ieee_invalid_op 0
		.amdhsa_exception_fp_denorm_src 0
		.amdhsa_exception_fp_ieee_div_zero 0
		.amdhsa_exception_fp_ieee_overflow 0
		.amdhsa_exception_fp_ieee_underflow 0
		.amdhsa_exception_fp_ieee_inexact 0
		.amdhsa_exception_int_div_zero 0
	.end_amdhsa_kernel
	.section	.text._ZL34rocblas_syrkx_herkx_general_kernelIi19rocblas_complex_numIdELi16ELi32ELi8ELb0ELb1ELc67ELc76EKS1_S1_EviT_T0_PT8_S3_lS6_S3_lS4_PT9_S3_li,"axG",@progbits,_ZL34rocblas_syrkx_herkx_general_kernelIi19rocblas_complex_numIdELi16ELi32ELi8ELb0ELb1ELc67ELc76EKS1_S1_EviT_T0_PT8_S3_lS6_S3_lS4_PT9_S3_li,comdat
.Lfunc_end454:
	.size	_ZL34rocblas_syrkx_herkx_general_kernelIi19rocblas_complex_numIdELi16ELi32ELi8ELb0ELb1ELc67ELc76EKS1_S1_EviT_T0_PT8_S3_lS6_S3_lS4_PT9_S3_li, .Lfunc_end454-_ZL34rocblas_syrkx_herkx_general_kernelIi19rocblas_complex_numIdELi16ELi32ELi8ELb0ELb1ELc67ELc76EKS1_S1_EviT_T0_PT8_S3_lS6_S3_lS4_PT9_S3_li
                                        ; -- End function
	.set _ZL34rocblas_syrkx_herkx_general_kernelIi19rocblas_complex_numIdELi16ELi32ELi8ELb0ELb1ELc67ELc76EKS1_S1_EviT_T0_PT8_S3_lS6_S3_lS4_PT9_S3_li.num_vgpr, 57
	.set _ZL34rocblas_syrkx_herkx_general_kernelIi19rocblas_complex_numIdELi16ELi32ELi8ELb0ELb1ELc67ELc76EKS1_S1_EviT_T0_PT8_S3_lS6_S3_lS4_PT9_S3_li.num_agpr, 0
	.set _ZL34rocblas_syrkx_herkx_general_kernelIi19rocblas_complex_numIdELi16ELi32ELi8ELb0ELb1ELc67ELc76EKS1_S1_EviT_T0_PT8_S3_lS6_S3_lS4_PT9_S3_li.numbered_sgpr, 32
	.set _ZL34rocblas_syrkx_herkx_general_kernelIi19rocblas_complex_numIdELi16ELi32ELi8ELb0ELb1ELc67ELc76EKS1_S1_EviT_T0_PT8_S3_lS6_S3_lS4_PT9_S3_li.num_named_barrier, 0
	.set _ZL34rocblas_syrkx_herkx_general_kernelIi19rocblas_complex_numIdELi16ELi32ELi8ELb0ELb1ELc67ELc76EKS1_S1_EviT_T0_PT8_S3_lS6_S3_lS4_PT9_S3_li.private_seg_size, 0
	.set _ZL34rocblas_syrkx_herkx_general_kernelIi19rocblas_complex_numIdELi16ELi32ELi8ELb0ELb1ELc67ELc76EKS1_S1_EviT_T0_PT8_S3_lS6_S3_lS4_PT9_S3_li.uses_vcc, 1
	.set _ZL34rocblas_syrkx_herkx_general_kernelIi19rocblas_complex_numIdELi16ELi32ELi8ELb0ELb1ELc67ELc76EKS1_S1_EviT_T0_PT8_S3_lS6_S3_lS4_PT9_S3_li.uses_flat_scratch, 0
	.set _ZL34rocblas_syrkx_herkx_general_kernelIi19rocblas_complex_numIdELi16ELi32ELi8ELb0ELb1ELc67ELc76EKS1_S1_EviT_T0_PT8_S3_lS6_S3_lS4_PT9_S3_li.has_dyn_sized_stack, 0
	.set _ZL34rocblas_syrkx_herkx_general_kernelIi19rocblas_complex_numIdELi16ELi32ELi8ELb0ELb1ELc67ELc76EKS1_S1_EviT_T0_PT8_S3_lS6_S3_lS4_PT9_S3_li.has_recursion, 0
	.set _ZL34rocblas_syrkx_herkx_general_kernelIi19rocblas_complex_numIdELi16ELi32ELi8ELb0ELb1ELc67ELc76EKS1_S1_EviT_T0_PT8_S3_lS6_S3_lS4_PT9_S3_li.has_indirect_call, 0
	.section	.AMDGPU.csdata,"",@progbits
; Kernel info:
; codeLenInByte = 3408
; TotalNumSgprs: 36
; NumVgprs: 57
; ScratchSize: 0
; MemoryBound: 1
; FloatMode: 240
; IeeeMode: 1
; LDSByteSize: 8192 bytes/workgroup (compile time only)
; SGPRBlocks: 8
; VGPRBlocks: 14
; NumSGPRsForWavesPerEU: 65
; NumVGPRsForWavesPerEU: 57
; Occupancy: 4
; WaveLimiterHint : 0
; COMPUTE_PGM_RSRC2:SCRATCH_EN: 0
; COMPUTE_PGM_RSRC2:USER_SGPR: 6
; COMPUTE_PGM_RSRC2:TRAP_HANDLER: 0
; COMPUTE_PGM_RSRC2:TGID_X_EN: 1
; COMPUTE_PGM_RSRC2:TGID_Y_EN: 1
; COMPUTE_PGM_RSRC2:TGID_Z_EN: 1
; COMPUTE_PGM_RSRC2:TIDIG_COMP_CNT: 1
	.section	.text._ZL34rocblas_syrkx_herkx_general_kernelIi19rocblas_complex_numIdELi16ELi32ELi8ELb0ELb1ELc78ELc76EKS1_S1_EviT_T0_PT8_S3_lS6_S3_lS4_PT9_S3_li,"axG",@progbits,_ZL34rocblas_syrkx_herkx_general_kernelIi19rocblas_complex_numIdELi16ELi32ELi8ELb0ELb1ELc78ELc76EKS1_S1_EviT_T0_PT8_S3_lS6_S3_lS4_PT9_S3_li,comdat
	.globl	_ZL34rocblas_syrkx_herkx_general_kernelIi19rocblas_complex_numIdELi16ELi32ELi8ELb0ELb1ELc78ELc76EKS1_S1_EviT_T0_PT8_S3_lS6_S3_lS4_PT9_S3_li ; -- Begin function _ZL34rocblas_syrkx_herkx_general_kernelIi19rocblas_complex_numIdELi16ELi32ELi8ELb0ELb1ELc78ELc76EKS1_S1_EviT_T0_PT8_S3_lS6_S3_lS4_PT9_S3_li
	.p2align	8
	.type	_ZL34rocblas_syrkx_herkx_general_kernelIi19rocblas_complex_numIdELi16ELi32ELi8ELb0ELb1ELc78ELc76EKS1_S1_EviT_T0_PT8_S3_lS6_S3_lS4_PT9_S3_li,@function
_ZL34rocblas_syrkx_herkx_general_kernelIi19rocblas_complex_numIdELi16ELi32ELi8ELb0ELb1ELc78ELc76EKS1_S1_EviT_T0_PT8_S3_lS6_S3_lS4_PT9_S3_li: ; @_ZL34rocblas_syrkx_herkx_general_kernelIi19rocblas_complex_numIdELi16ELi32ELi8ELb0ELb1ELc78ELc76EKS1_S1_EviT_T0_PT8_S3_lS6_S3_lS4_PT9_S3_li
; %bb.0:
	s_load_dwordx2 s[10:11], s[4:5], 0x0
	s_load_dwordx4 s[20:23], s[4:5], 0x8
	s_load_dwordx2 s[28:29], s[4:5], 0x18
	s_load_dwordx8 s[12:19], s[4:5], 0x40
	s_lshl_b32 s9, s6, 5
	s_lshl_b32 s30, s7, 5
	s_waitcnt lgkmcnt(0)
	s_cmp_lt_i32 s11, 1
	s_mov_b32 s31, 0
	s_cbranch_scc1 .LBB455_9
; %bb.1:
	v_lshl_add_u32 v3, v1, 4, v0
	v_and_b32_e32 v6, 31, v3
	s_load_dword s6, s[4:5], 0x20
	s_load_dword s34, s[4:5], 0x38
	s_load_dwordx4 s[24:27], s[4:5], 0x28
	v_lshrrev_b32_e32 v28, 5, v3
	v_lshrrev_b32_e32 v4, 3, v3
	v_or_b32_e32 v3, s9, v6
	v_and_b32_e32 v27, 7, v0
	v_cmp_gt_i32_e64 s[0:1], s10, v3
	v_lshlrev_b32_e32 v3, 4, v6
	v_lshl_or_b32 v29, v28, 9, v3
	v_lshlrev_b32_e32 v3, 4, v27
	v_add_u32_e32 v2, s30, v4
	v_lshl_or_b32 v3, v4, 7, v3
	s_waitcnt lgkmcnt(0)
	v_mad_i64_i32 v[4:5], s[2:3], v28, s6, 0
	s_mul_i32 s2, s25, s8
	s_mul_hi_u32 s3, s24, s8
	v_lshlrev_b64 v[4:5], 4, v[4:5]
	s_add_i32 s3, s3, s2
	s_mul_i32 s2, s24, s8
	v_mov_b32_e32 v7, 0x1000
	s_lshl_b64 s[2:3], s[2:3], 4
	v_lshl_add_u32 v32, v1, 7, v7
	v_mov_b32_e32 v7, s3
	v_add_co_u32_e64 v8, s[2:3], s2, v4
	v_add_u32_e32 v4, s9, v6
	v_addc_co_u32_e64 v7, s[2:3], v5, v7, s[2:3]
	v_ashrrev_i32_e32 v5, 31, v4
	v_lshlrev_b64 v[4:5], 4, v[4:5]
	v_mov_b32_e32 v6, s29
	v_add_co_u32_e64 v4, s[2:3], v8, v4
	v_addc_co_u32_e64 v5, s[2:3], v7, v5, s[2:3]
	v_add_co_u32_e64 v7, s[2:3], s28, v4
	v_addc_co_u32_e64 v8, s[2:3], v6, v5, s[2:3]
	v_mad_i64_i32 v[4:5], s[2:3], s34, v27, 0
	s_mul_i32 s13, s13, s8
	s_mul_hi_u32 s24, s12, s8
	s_add_i32 s3, s24, s13
	s_mul_i32 s2, s12, s8
	v_lshlrev_b64 v[4:5], 4, v[4:5]
	v_add_u32_e32 v30, 0x1000, v3
	v_ashrrev_i32_e32 v3, 31, v2
	s_lshl_b64 s[2:3], s[2:3], 4
	v_cmp_gt_i32_e32 vcc, s10, v2
	v_mov_b32_e32 v6, s3
	v_add_co_u32_e64 v4, s[2:3], s2, v4
	v_lshlrev_b64 v[2:3], 4, v[2:3]
	v_addc_co_u32_e64 v5, s[2:3], v6, v5, s[2:3]
	v_add_co_u32_e64 v2, s[2:3], v4, v2
	v_addc_co_u32_e64 v3, s[2:3], v5, v3, s[2:3]
	v_mov_b32_e32 v4, s27
	v_add_co_u32_e64 v2, s[2:3], s26, v2
	v_addc_co_u32_e64 v3, s[2:3], v4, v3, s[2:3]
	v_add_co_u32_e64 v9, s[2:3], 8, v2
	s_ashr_i32 s7, s6, 31
	s_ashr_i32 s35, s34, 31
	v_addc_co_u32_e64 v10, s[2:3], 0, v3, s[2:3]
	s_lshl_b64 s[6:7], s[6:7], 7
	s_lshl_b64 s[2:3], s[34:35], 7
	v_mov_b32_e32 v23, 0
	v_mov_b32_e32 v25, 0
	;; [unrolled: 1-line block ×8, first 2 shown]
	v_lshlrev_b32_e32 v31, 4, v0
	v_mov_b32_e32 v24, 0
	s_xor_b64 s[12:13], s[0:1], -1
	v_mov_b32_e32 v33, s7
	v_mov_b32_e32 v34, s3
	v_mov_b32_e32 v26, 0
	v_mov_b32_e32 v18, 0
	v_mov_b32_e32 v16, 0
	v_mov_b32_e32 v14, 0
	v_mov_b32_e32 v12, 0
	v_mov_b32_e32 v22, 0
	v_mov_b32_e32 v20, 0
	v_mov_b32_e32 v2, 0
	s_branch .LBB455_3
.LBB455_2:                              ;   in Loop: Header=BB455_3 Depth=1
	s_or_b64 exec, exec, s[0:1]
	ds_write_b128 v30, v[3:6]
	s_waitcnt lgkmcnt(0)
	s_barrier
	ds_read_b128 v[3:6], v32
	ds_read_b128 v[35:38], v32 offset:16
	ds_read_b128 v[39:42], v32 offset:32
	;; [unrolled: 1-line block ×3, first 2 shown]
	ds_read_b128 v[47:50], v31
	v_add_co_u32_e64 v7, s[0:1], s6, v7
	v_addc_co_u32_e64 v8, s[0:1], v8, v33, s[0:1]
	s_waitcnt lgkmcnt(0)
	v_mul_f64 v[51:52], v[5:6], v[49:50]
	v_mul_f64 v[53:54], v[3:4], v[49:50]
	s_add_i32 s31, s31, 8
	v_add_co_u32_e64 v9, s[0:1], s2, v9
	v_addc_co_u32_e64 v10, s[0:1], v10, v34, s[0:1]
	s_cmp_ge_i32 s31, s11
	v_fma_f64 v[51:52], v[3:4], v[47:48], -v[51:52]
	v_fma_f64 v[53:54], v[5:6], v[47:48], v[53:54]
	v_add_f64 v[51:52], v[19:20], v[51:52]
	v_add_f64 v[53:54], v[53:54], v[21:22]
	ds_read_b128 v[19:22], v31 offset:256
	s_waitcnt lgkmcnt(0)
	v_mul_f64 v[55:56], v[5:6], v[21:22]
	v_fma_f64 v[55:56], v[3:4], v[19:20], -v[55:56]
	v_mul_f64 v[3:4], v[3:4], v[21:22]
	v_add_f64 v[55:56], v[11:12], v[55:56]
	v_fma_f64 v[3:4], v[5:6], v[19:20], v[3:4]
	v_add_f64 v[57:58], v[3:4], v[13:14]
	ds_read_b128 v[3:6], v32 offset:2048
	s_waitcnt lgkmcnt(0)
	v_mul_f64 v[11:12], v[5:6], v[49:50]
	v_mul_f64 v[13:14], v[3:4], v[49:50]
	v_fma_f64 v[11:12], v[3:4], v[47:48], -v[11:12]
	v_fma_f64 v[13:14], v[5:6], v[47:48], v[13:14]
	v_add_f64 v[47:48], v[15:16], v[11:12]
	v_mul_f64 v[11:12], v[5:6], v[21:22]
	v_add_f64 v[49:50], v[13:14], v[17:18]
	v_fma_f64 v[11:12], v[3:4], v[19:20], -v[11:12]
	v_mul_f64 v[3:4], v[3:4], v[21:22]
	v_fma_f64 v[3:4], v[5:6], v[19:20], v[3:4]
	v_add_f64 v[19:20], v[25:26], v[11:12]
	v_add_f64 v[21:22], v[3:4], v[23:24]
	ds_read_b128 v[3:6], v31 offset:512
	s_waitcnt lgkmcnt(0)
	v_mul_f64 v[11:12], v[37:38], v[5:6]
	v_mul_f64 v[13:14], v[35:36], v[5:6]
	v_fma_f64 v[11:12], v[35:36], v[3:4], -v[11:12]
	v_fma_f64 v[13:14], v[37:38], v[3:4], v[13:14]
	v_add_f64 v[23:24], v[51:52], v[11:12]
	v_add_f64 v[25:26], v[13:14], v[53:54]
	ds_read_b128 v[11:14], v31 offset:768
	s_waitcnt lgkmcnt(0)
	v_mul_f64 v[15:16], v[37:38], v[13:14]
	v_mul_f64 v[17:18], v[35:36], v[13:14]
	v_fma_f64 v[15:16], v[35:36], v[11:12], -v[15:16]
	;; [unrolled: 8-line block ×3, first 2 shown]
	v_fma_f64 v[3:4], v[17:18], v[3:4], v[5:6]
	v_mul_f64 v[5:6], v[15:16], v[13:14]
	v_add_f64 v[47:48], v[47:48], v[51:52]
	v_add_f64 v[49:50], v[3:4], v[49:50]
	v_mul_f64 v[3:4], v[17:18], v[13:14]
	v_fma_f64 v[5:6], v[17:18], v[11:12], v[5:6]
	v_fma_f64 v[3:4], v[15:16], v[11:12], -v[3:4]
	v_add_f64 v[21:22], v[5:6], v[21:22]
	v_add_f64 v[19:20], v[19:20], v[3:4]
	ds_read_b128 v[3:6], v31 offset:1024
	s_waitcnt lgkmcnt(0)
	v_mul_f64 v[11:12], v[41:42], v[5:6]
	v_mul_f64 v[13:14], v[39:40], v[5:6]
	v_fma_f64 v[11:12], v[39:40], v[3:4], -v[11:12]
	v_fma_f64 v[13:14], v[41:42], v[3:4], v[13:14]
	v_add_f64 v[23:24], v[23:24], v[11:12]
	v_add_f64 v[25:26], v[13:14], v[25:26]
	ds_read_b128 v[11:14], v31 offset:1280
	s_waitcnt lgkmcnt(0)
	v_mul_f64 v[15:16], v[41:42], v[13:14]
	v_mul_f64 v[17:18], v[39:40], v[13:14]
	v_fma_f64 v[15:16], v[39:40], v[11:12], -v[15:16]
	v_fma_f64 v[17:18], v[41:42], v[11:12], v[17:18]
	;; [unrolled: 8-line block ×3, first 2 shown]
	v_mul_f64 v[5:6], v[15:16], v[13:14]
	v_add_f64 v[39:40], v[47:48], v[39:40]
	v_add_f64 v[41:42], v[3:4], v[49:50]
	v_mul_f64 v[3:4], v[17:18], v[13:14]
	v_fma_f64 v[5:6], v[17:18], v[11:12], v[5:6]
	v_fma_f64 v[3:4], v[15:16], v[11:12], -v[3:4]
	v_add_f64 v[21:22], v[5:6], v[21:22]
	v_add_f64 v[19:20], v[19:20], v[3:4]
	ds_read_b128 v[3:6], v31 offset:1536
	s_waitcnt lgkmcnt(0)
	v_mul_f64 v[11:12], v[45:46], v[5:6]
	v_mul_f64 v[13:14], v[43:44], v[5:6]
	v_fma_f64 v[11:12], v[43:44], v[3:4], -v[11:12]
	v_fma_f64 v[13:14], v[45:46], v[3:4], v[13:14]
	v_add_f64 v[23:24], v[23:24], v[11:12]
	v_add_f64 v[25:26], v[13:14], v[25:26]
	ds_read_b128 v[11:14], v31 offset:1792
	s_waitcnt lgkmcnt(0)
	v_mul_f64 v[15:16], v[45:46], v[13:14]
	v_mul_f64 v[17:18], v[43:44], v[13:14]
	v_fma_f64 v[15:16], v[43:44], v[11:12], -v[15:16]
	v_fma_f64 v[17:18], v[45:46], v[11:12], v[17:18]
	;; [unrolled: 8-line block ×3, first 2 shown]
	v_mul_f64 v[5:6], v[15:16], v[13:14]
	v_add_f64 v[39:40], v[39:40], v[43:44]
	v_add_f64 v[41:42], v[3:4], v[41:42]
	v_mul_f64 v[3:4], v[17:18], v[13:14]
	v_fma_f64 v[5:6], v[17:18], v[11:12], v[5:6]
	v_fma_f64 v[3:4], v[15:16], v[11:12], -v[3:4]
	v_add_f64 v[21:22], v[5:6], v[21:22]
	v_add_f64 v[19:20], v[19:20], v[3:4]
	ds_read_b128 v[3:6], v32 offset:64
	ds_read_b128 v[11:14], v31 offset:2048
	s_waitcnt lgkmcnt(0)
	v_mul_f64 v[15:16], v[5:6], v[13:14]
	v_mul_f64 v[17:18], v[3:4], v[13:14]
	v_fma_f64 v[15:16], v[3:4], v[11:12], -v[15:16]
	v_fma_f64 v[17:18], v[5:6], v[11:12], v[17:18]
	v_add_f64 v[23:24], v[23:24], v[15:16]
	v_add_f64 v[25:26], v[17:18], v[25:26]
	ds_read_b128 v[15:18], v31 offset:2304
	s_waitcnt lgkmcnt(0)
	v_mul_f64 v[43:44], v[5:6], v[17:18]
	v_fma_f64 v[43:44], v[3:4], v[15:16], -v[43:44]
	v_mul_f64 v[3:4], v[3:4], v[17:18]
	v_add_f64 v[35:36], v[35:36], v[43:44]
	v_fma_f64 v[3:4], v[5:6], v[15:16], v[3:4]
	v_add_f64 v[37:38], v[3:4], v[37:38]
	ds_read_b128 v[3:6], v32 offset:2112
	s_waitcnt lgkmcnt(0)
	v_mul_f64 v[43:44], v[5:6], v[13:14]
	v_mul_f64 v[13:14], v[3:4], v[13:14]
	v_fma_f64 v[43:44], v[3:4], v[11:12], -v[43:44]
	v_fma_f64 v[11:12], v[5:6], v[11:12], v[13:14]
	v_add_f64 v[39:40], v[39:40], v[43:44]
	v_add_f64 v[41:42], v[11:12], v[41:42]
	v_mul_f64 v[11:12], v[5:6], v[17:18]
	v_fma_f64 v[11:12], v[3:4], v[15:16], -v[11:12]
	v_mul_f64 v[3:4], v[3:4], v[17:18]
	v_add_f64 v[19:20], v[19:20], v[11:12]
	v_fma_f64 v[3:4], v[5:6], v[15:16], v[3:4]
	v_add_f64 v[21:22], v[3:4], v[21:22]
	ds_read_b128 v[3:6], v32 offset:80
	ds_read_b128 v[11:14], v31 offset:2560
	s_waitcnt lgkmcnt(0)
	v_mul_f64 v[15:16], v[5:6], v[13:14]
	v_mul_f64 v[17:18], v[3:4], v[13:14]
	v_fma_f64 v[15:16], v[3:4], v[11:12], -v[15:16]
	v_fma_f64 v[17:18], v[5:6], v[11:12], v[17:18]
	v_add_f64 v[23:24], v[23:24], v[15:16]
	v_add_f64 v[25:26], v[17:18], v[25:26]
	ds_read_b128 v[15:18], v31 offset:2816
	s_waitcnt lgkmcnt(0)
	v_mul_f64 v[43:44], v[5:6], v[17:18]
	v_fma_f64 v[43:44], v[3:4], v[15:16], -v[43:44]
	v_mul_f64 v[3:4], v[3:4], v[17:18]
	v_add_f64 v[35:36], v[35:36], v[43:44]
	v_fma_f64 v[3:4], v[5:6], v[15:16], v[3:4]
	v_add_f64 v[37:38], v[3:4], v[37:38]
	ds_read_b128 v[3:6], v32 offset:2128
	s_waitcnt lgkmcnt(0)
	v_mul_f64 v[43:44], v[5:6], v[13:14]
	v_mul_f64 v[13:14], v[3:4], v[13:14]
	v_fma_f64 v[43:44], v[3:4], v[11:12], -v[43:44]
	v_fma_f64 v[11:12], v[5:6], v[11:12], v[13:14]
	v_add_f64 v[39:40], v[39:40], v[43:44]
	v_add_f64 v[41:42], v[11:12], v[41:42]
	v_mul_f64 v[11:12], v[5:6], v[17:18]
	v_fma_f64 v[11:12], v[3:4], v[15:16], -v[11:12]
	v_mul_f64 v[3:4], v[3:4], v[17:18]
	v_add_f64 v[19:20], v[19:20], v[11:12]
	v_fma_f64 v[3:4], v[5:6], v[15:16], v[3:4]
	;; [unrolled: 31-line block ×3, first 2 shown]
	v_add_f64 v[45:46], v[3:4], v[21:22]
	ds_read_b128 v[3:6], v32 offset:112
	ds_read_b128 v[15:18], v31 offset:3584
	s_waitcnt lgkmcnt(0)
	v_mul_f64 v[11:12], v[5:6], v[17:18]
	v_mul_f64 v[13:14], v[3:4], v[17:18]
	v_fma_f64 v[11:12], v[3:4], v[15:16], -v[11:12]
	v_fma_f64 v[13:14], v[5:6], v[15:16], v[13:14]
	v_add_f64 v[19:20], v[23:24], v[11:12]
	v_add_f64 v[21:22], v[13:14], v[25:26]
	ds_read_b128 v[23:26], v31 offset:3840
	s_waitcnt lgkmcnt(0)
	v_mul_f64 v[11:12], v[5:6], v[25:26]
	v_fma_f64 v[11:12], v[3:4], v[23:24], -v[11:12]
	v_mul_f64 v[3:4], v[3:4], v[25:26]
	v_add_f64 v[11:12], v[35:36], v[11:12]
	v_fma_f64 v[3:4], v[5:6], v[23:24], v[3:4]
	v_add_f64 v[13:14], v[3:4], v[37:38]
	ds_read_b128 v[3:6], v32 offset:2160
	s_waitcnt lgkmcnt(0)
	s_barrier
	v_mul_f64 v[35:36], v[5:6], v[17:18]
	v_mul_f64 v[17:18], v[3:4], v[17:18]
	v_fma_f64 v[35:36], v[3:4], v[15:16], -v[35:36]
	v_fma_f64 v[17:18], v[5:6], v[15:16], v[17:18]
	v_add_f64 v[15:16], v[39:40], v[35:36]
	v_mul_f64 v[35:36], v[5:6], v[25:26]
	v_add_f64 v[17:18], v[17:18], v[41:42]
	v_fma_f64 v[35:36], v[3:4], v[23:24], -v[35:36]
	v_mul_f64 v[3:4], v[3:4], v[25:26]
	v_add_f64 v[25:26], v[43:44], v[35:36]
	v_fma_f64 v[3:4], v[5:6], v[23:24], v[3:4]
	v_add_f64 v[23:24], v[3:4], v[45:46]
	s_cbranch_scc1 .LBB455_10
.LBB455_3:                              ; =>This Inner Loop Header: Depth=1
	v_add_u32_e32 v3, s31, v28
	v_cmp_le_i32_e64 s[0:1], s11, v3
	s_or_b64 s[0:1], s[12:13], s[0:1]
	s_and_saveexec_b64 s[24:25], s[0:1]
	s_xor_b64 s[0:1], exec, s[24:25]
; %bb.4:                                ;   in Loop: Header=BB455_3 Depth=1
	v_mov_b32_e32 v3, v2
	v_mov_b32_e32 v4, v2
	;; [unrolled: 1-line block ×3, first 2 shown]
	ds_write_b128 v29, v[2:5]
; %bb.5:                                ;   in Loop: Header=BB455_3 Depth=1
	s_andn2_saveexec_b64 s[0:1], s[0:1]
	s_cbranch_execz .LBB455_7
; %bb.6:                                ;   in Loop: Header=BB455_3 Depth=1
	global_load_dwordx4 v[3:6], v[7:8], off
	s_waitcnt vmcnt(0)
	ds_write2_b64 v29, v[3:4], v[5:6] offset1:1
.LBB455_7:                              ;   in Loop: Header=BB455_3 Depth=1
	s_or_b64 exec, exec, s[0:1]
	v_add_u32_e32 v3, s31, v27
	v_cmp_gt_i32_e64 s[0:1], s11, v3
	v_mov_b32_e32 v3, 0
	v_mov_b32_e32 v5, 0
	;; [unrolled: 1-line block ×4, first 2 shown]
	s_and_b64 s[24:25], s[0:1], vcc
	s_and_saveexec_b64 s[0:1], s[24:25]
	s_cbranch_execz .LBB455_2
; %bb.8:                                ;   in Loop: Header=BB455_3 Depth=1
	global_load_dwordx4 v[3:6], v[9:10], off offset:-8
	s_waitcnt vmcnt(0)
	v_xor_b32_e32 v6, 0x80000000, v6
	s_branch .LBB455_2
.LBB455_9:
	v_mov_b32_e32 v19, 0
	v_mov_b32_e32 v21, 0
	;; [unrolled: 1-line block ×16, first 2 shown]
.LBB455_10:
	s_load_dwordx2 s[0:1], s[4:5], 0x68
	s_load_dword s6, s[4:5], 0x60
	v_add_u32_e32 v4, s30, v1
	v_add_u32_e32 v0, s9, v0
	s_waitcnt lgkmcnt(0)
	s_mul_i32 s1, s1, s8
	s_mul_hi_u32 s2, s0, s8
	s_add_i32 s1, s2, s1
	v_mad_i64_i32 v[1:2], s[2:3], v4, s6, 0
	s_mul_i32 s0, s0, s8
	s_lshl_b64 s[0:1], s[0:1], 4
	s_add_u32 s7, s18, s0
	v_lshlrev_b64 v[1:2], 4, v[1:2]
	s_addc_u32 s8, s19, s1
	v_mov_b32_e32 v3, s8
	v_add_co_u32_e32 v5, vcc, s7, v1
	v_addc_co_u32_e32 v6, vcc, v3, v2, vcc
	v_cmp_le_i32_e64 s[0:1], v4, v0
	v_cmp_gt_i32_e32 vcc, s10, v0
	s_and_b64 s[0:1], s[0:1], vcc
	s_and_saveexec_b64 s[2:3], s[0:1]
	s_cbranch_execz .LBB455_12
; %bb.11:
	v_ashrrev_i32_e32 v1, 31, v0
	v_lshlrev_b64 v[1:2], 4, v[0:1]
	v_mul_f64 v[27:28], s[20:21], v[21:22]
	v_add_co_u32_e64 v1, s[0:1], v5, v1
	v_addc_co_u32_e64 v2, s[0:1], v6, v2, s[0:1]
	global_load_dwordx4 v[7:10], v[1:2], off
	v_mul_f64 v[21:22], s[22:23], v[21:22]
	v_cmp_ne_u32_e64 s[0:1], v4, v0
	v_fma_f64 v[27:28], s[22:23], v[19:20], v[27:28]
	v_fma_f64 v[19:20], s[20:21], v[19:20], -v[21:22]
	s_waitcnt vmcnt(0)
	v_mul_f64 v[29:30], s[14:15], v[9:10]
	v_mul_f64 v[9:10], s[16:17], v[9:10]
	v_fma_f64 v[29:30], s[16:17], v[7:8], v[29:30]
	v_fma_f64 v[7:8], s[14:15], v[7:8], -v[9:10]
	v_add_f64 v[9:10], v[27:28], v[29:30]
	v_add_f64 v[7:8], v[19:20], v[7:8]
	v_cndmask_b32_e64 v10, 0, v10, s[0:1]
	v_cndmask_b32_e64 v9, 0, v9, s[0:1]
	global_store_dwordx4 v[1:2], v[7:10], off
.LBB455_12:
	s_or_b64 exec, exec, s[2:3]
	v_add_u32_e32 v2, 16, v0
	v_cmp_le_i32_e64 s[2:3], v4, v2
	v_cmp_gt_i32_e64 s[0:1], s10, v2
	s_and_b64 s[2:3], s[2:3], s[0:1]
	s_and_saveexec_b64 s[4:5], s[2:3]
	s_cbranch_execz .LBB455_14
; %bb.13:
	v_ashrrev_i32_e32 v3, 31, v2
	v_lshlrev_b64 v[7:8], 4, v[2:3]
	v_mul_f64 v[19:20], s[20:21], v[13:14]
	v_add_co_u32_e64 v9, s[2:3], v5, v7
	v_addc_co_u32_e64 v10, s[2:3], v6, v8, s[2:3]
	global_load_dwordx4 v[5:8], v[9:10], off
	v_mul_f64 v[13:14], s[22:23], v[13:14]
	v_cmp_ne_u32_e64 s[2:3], v4, v2
	v_fma_f64 v[19:20], s[22:23], v[11:12], v[19:20]
	v_fma_f64 v[11:12], s[20:21], v[11:12], -v[13:14]
	s_waitcnt vmcnt(0)
	v_mul_f64 v[21:22], s[14:15], v[7:8]
	v_mul_f64 v[7:8], s[16:17], v[7:8]
	v_fma_f64 v[21:22], s[16:17], v[5:6], v[21:22]
	v_fma_f64 v[5:6], s[14:15], v[5:6], -v[7:8]
	v_add_f64 v[7:8], v[19:20], v[21:22]
	v_add_f64 v[5:6], v[11:12], v[5:6]
	v_cndmask_b32_e64 v8, 0, v8, s[2:3]
	v_cndmask_b32_e64 v7, 0, v7, s[2:3]
	global_store_dwordx4 v[9:10], v[5:8], off
.LBB455_14:
	s_or_b64 exec, exec, s[4:5]
	v_add_u32_e32 v3, 16, v4
	v_mad_i64_i32 v[5:6], s[2:3], v3, s6, 0
	v_mov_b32_e32 v1, s8
	v_lshlrev_b64 v[5:6], 4, v[5:6]
	v_add_co_u32_e64 v5, s[2:3], s7, v5
	v_addc_co_u32_e64 v6, s[2:3], v1, v6, s[2:3]
	v_cmp_le_i32_e64 s[2:3], v3, v0
	s_and_b64 s[4:5], s[2:3], vcc
	s_and_saveexec_b64 s[2:3], s[4:5]
	s_cbranch_execz .LBB455_16
; %bb.15:
	v_ashrrev_i32_e32 v1, 31, v0
	v_lshlrev_b64 v[7:8], 4, v[0:1]
	v_mul_f64 v[13:14], s[20:21], v[17:18]
	v_add_co_u32_e32 v11, vcc, v5, v7
	v_addc_co_u32_e32 v12, vcc, v6, v8, vcc
	global_load_dwordx4 v[7:10], v[11:12], off
	v_mul_f64 v[17:18], s[22:23], v[17:18]
	v_cmp_ne_u32_e32 vcc, v3, v0
	v_fma_f64 v[13:14], s[22:23], v[15:16], v[13:14]
	v_fma_f64 v[15:16], s[20:21], v[15:16], -v[17:18]
	s_waitcnt vmcnt(0)
	v_mul_f64 v[19:20], s[14:15], v[9:10]
	v_mul_f64 v[9:10], s[16:17], v[9:10]
	v_fma_f64 v[19:20], s[16:17], v[7:8], v[19:20]
	v_fma_f64 v[7:8], s[14:15], v[7:8], -v[9:10]
	v_add_f64 v[9:10], v[13:14], v[19:20]
	v_add_f64 v[7:8], v[15:16], v[7:8]
	v_cndmask_b32_e32 v10, 0, v10, vcc
	v_cndmask_b32_e32 v9, 0, v9, vcc
	global_store_dwordx4 v[11:12], v[7:10], off
.LBB455_16:
	s_or_b64 exec, exec, s[2:3]
	v_cmp_le_i32_e32 vcc, v3, v2
	s_and_b64 s[0:1], vcc, s[0:1]
	s_and_saveexec_b64 s[2:3], s[0:1]
	s_cbranch_execz .LBB455_18
; %bb.17:
	v_ashrrev_i32_e32 v3, 31, v2
	v_lshlrev_b64 v[1:2], 4, v[2:3]
	v_mul_f64 v[13:14], s[22:23], v[23:24]
	v_add_co_u32_e32 v9, vcc, v5, v1
	v_addc_co_u32_e32 v10, vcc, v6, v2, vcc
	global_load_dwordx4 v[5:8], v[9:10], off
	v_mul_f64 v[1:2], s[20:21], v[23:24]
	v_cmp_ne_u32_e32 vcc, v4, v0
	v_fma_f64 v[13:14], s[20:21], v[25:26], -v[13:14]
	v_fma_f64 v[1:2], s[22:23], v[25:26], v[1:2]
	s_waitcnt vmcnt(0)
	v_mul_f64 v[11:12], s[14:15], v[7:8]
	v_mul_f64 v[7:8], s[16:17], v[7:8]
	v_fma_f64 v[11:12], s[16:17], v[5:6], v[11:12]
	v_fma_f64 v[5:6], s[14:15], v[5:6], -v[7:8]
	v_add_f64 v[7:8], v[1:2], v[11:12]
	v_add_f64 v[1:2], v[13:14], v[5:6]
	v_cndmask_b32_e32 v4, 0, v8, vcc
	v_cndmask_b32_e32 v3, 0, v7, vcc
	global_store_dwordx4 v[9:10], v[1:4], off
.LBB455_18:
	s_endpgm
	.section	.rodata,"a",@progbits
	.p2align	6, 0x0
	.amdhsa_kernel _ZL34rocblas_syrkx_herkx_general_kernelIi19rocblas_complex_numIdELi16ELi32ELi8ELb0ELb1ELc78ELc76EKS1_S1_EviT_T0_PT8_S3_lS6_S3_lS4_PT9_S3_li
		.amdhsa_group_segment_fixed_size 8192
		.amdhsa_private_segment_fixed_size 0
		.amdhsa_kernarg_size 116
		.amdhsa_user_sgpr_count 6
		.amdhsa_user_sgpr_private_segment_buffer 1
		.amdhsa_user_sgpr_dispatch_ptr 0
		.amdhsa_user_sgpr_queue_ptr 0
		.amdhsa_user_sgpr_kernarg_segment_ptr 1
		.amdhsa_user_sgpr_dispatch_id 0
		.amdhsa_user_sgpr_flat_scratch_init 0
		.amdhsa_user_sgpr_private_segment_size 0
		.amdhsa_uses_dynamic_stack 0
		.amdhsa_system_sgpr_private_segment_wavefront_offset 0
		.amdhsa_system_sgpr_workgroup_id_x 1
		.amdhsa_system_sgpr_workgroup_id_y 1
		.amdhsa_system_sgpr_workgroup_id_z 1
		.amdhsa_system_sgpr_workgroup_info 0
		.amdhsa_system_vgpr_workitem_id 1
		.amdhsa_next_free_vgpr 59
		.amdhsa_next_free_sgpr 61
		.amdhsa_reserve_vcc 1
		.amdhsa_reserve_flat_scratch 0
		.amdhsa_float_round_mode_32 0
		.amdhsa_float_round_mode_16_64 0
		.amdhsa_float_denorm_mode_32 3
		.amdhsa_float_denorm_mode_16_64 3
		.amdhsa_dx10_clamp 1
		.amdhsa_ieee_mode 1
		.amdhsa_fp16_overflow 0
		.amdhsa_exception_fp_ieee_invalid_op 0
		.amdhsa_exception_fp_denorm_src 0
		.amdhsa_exception_fp_ieee_div_zero 0
		.amdhsa_exception_fp_ieee_overflow 0
		.amdhsa_exception_fp_ieee_underflow 0
		.amdhsa_exception_fp_ieee_inexact 0
		.amdhsa_exception_int_div_zero 0
	.end_amdhsa_kernel
	.section	.text._ZL34rocblas_syrkx_herkx_general_kernelIi19rocblas_complex_numIdELi16ELi32ELi8ELb0ELb1ELc78ELc76EKS1_S1_EviT_T0_PT8_S3_lS6_S3_lS4_PT9_S3_li,"axG",@progbits,_ZL34rocblas_syrkx_herkx_general_kernelIi19rocblas_complex_numIdELi16ELi32ELi8ELb0ELb1ELc78ELc76EKS1_S1_EviT_T0_PT8_S3_lS6_S3_lS4_PT9_S3_li,comdat
.Lfunc_end455:
	.size	_ZL34rocblas_syrkx_herkx_general_kernelIi19rocblas_complex_numIdELi16ELi32ELi8ELb0ELb1ELc78ELc76EKS1_S1_EviT_T0_PT8_S3_lS6_S3_lS4_PT9_S3_li, .Lfunc_end455-_ZL34rocblas_syrkx_herkx_general_kernelIi19rocblas_complex_numIdELi16ELi32ELi8ELb0ELb1ELc78ELc76EKS1_S1_EviT_T0_PT8_S3_lS6_S3_lS4_PT9_S3_li
                                        ; -- End function
	.set _ZL34rocblas_syrkx_herkx_general_kernelIi19rocblas_complex_numIdELi16ELi32ELi8ELb0ELb1ELc78ELc76EKS1_S1_EviT_T0_PT8_S3_lS6_S3_lS4_PT9_S3_li.num_vgpr, 59
	.set _ZL34rocblas_syrkx_herkx_general_kernelIi19rocblas_complex_numIdELi16ELi32ELi8ELb0ELb1ELc78ELc76EKS1_S1_EviT_T0_PT8_S3_lS6_S3_lS4_PT9_S3_li.num_agpr, 0
	.set _ZL34rocblas_syrkx_herkx_general_kernelIi19rocblas_complex_numIdELi16ELi32ELi8ELb0ELb1ELc78ELc76EKS1_S1_EviT_T0_PT8_S3_lS6_S3_lS4_PT9_S3_li.numbered_sgpr, 36
	.set _ZL34rocblas_syrkx_herkx_general_kernelIi19rocblas_complex_numIdELi16ELi32ELi8ELb0ELb1ELc78ELc76EKS1_S1_EviT_T0_PT8_S3_lS6_S3_lS4_PT9_S3_li.num_named_barrier, 0
	.set _ZL34rocblas_syrkx_herkx_general_kernelIi19rocblas_complex_numIdELi16ELi32ELi8ELb0ELb1ELc78ELc76EKS1_S1_EviT_T0_PT8_S3_lS6_S3_lS4_PT9_S3_li.private_seg_size, 0
	.set _ZL34rocblas_syrkx_herkx_general_kernelIi19rocblas_complex_numIdELi16ELi32ELi8ELb0ELb1ELc78ELc76EKS1_S1_EviT_T0_PT8_S3_lS6_S3_lS4_PT9_S3_li.uses_vcc, 1
	.set _ZL34rocblas_syrkx_herkx_general_kernelIi19rocblas_complex_numIdELi16ELi32ELi8ELb0ELb1ELc78ELc76EKS1_S1_EviT_T0_PT8_S3_lS6_S3_lS4_PT9_S3_li.uses_flat_scratch, 0
	.set _ZL34rocblas_syrkx_herkx_general_kernelIi19rocblas_complex_numIdELi16ELi32ELi8ELb0ELb1ELc78ELc76EKS1_S1_EviT_T0_PT8_S3_lS6_S3_lS4_PT9_S3_li.has_dyn_sized_stack, 0
	.set _ZL34rocblas_syrkx_herkx_general_kernelIi19rocblas_complex_numIdELi16ELi32ELi8ELb0ELb1ELc78ELc76EKS1_S1_EviT_T0_PT8_S3_lS6_S3_lS4_PT9_S3_li.has_recursion, 0
	.set _ZL34rocblas_syrkx_herkx_general_kernelIi19rocblas_complex_numIdELi16ELi32ELi8ELb0ELb1ELc78ELc76EKS1_S1_EviT_T0_PT8_S3_lS6_S3_lS4_PT9_S3_li.has_indirect_call, 0
	.section	.AMDGPU.csdata,"",@progbits
; Kernel info:
; codeLenInByte = 3468
; TotalNumSgprs: 40
; NumVgprs: 59
; ScratchSize: 0
; MemoryBound: 1
; FloatMode: 240
; IeeeMode: 1
; LDSByteSize: 8192 bytes/workgroup (compile time only)
; SGPRBlocks: 8
; VGPRBlocks: 14
; NumSGPRsForWavesPerEU: 65
; NumVGPRsForWavesPerEU: 59
; Occupancy: 4
; WaveLimiterHint : 0
; COMPUTE_PGM_RSRC2:SCRATCH_EN: 0
; COMPUTE_PGM_RSRC2:USER_SGPR: 6
; COMPUTE_PGM_RSRC2:TRAP_HANDLER: 0
; COMPUTE_PGM_RSRC2:TGID_X_EN: 1
; COMPUTE_PGM_RSRC2:TGID_Y_EN: 1
; COMPUTE_PGM_RSRC2:TGID_Z_EN: 1
; COMPUTE_PGM_RSRC2:TIDIG_COMP_CNT: 1
	.section	.text._ZL34rocblas_syrkx_herkx_general_kernelIi19rocblas_complex_numIdELi16ELi32ELi8ELb0ELb1ELc84ELc85EKS1_S1_EviT_T0_PT8_S3_lS6_S3_lS4_PT9_S3_li,"axG",@progbits,_ZL34rocblas_syrkx_herkx_general_kernelIi19rocblas_complex_numIdELi16ELi32ELi8ELb0ELb1ELc84ELc85EKS1_S1_EviT_T0_PT8_S3_lS6_S3_lS4_PT9_S3_li,comdat
	.globl	_ZL34rocblas_syrkx_herkx_general_kernelIi19rocblas_complex_numIdELi16ELi32ELi8ELb0ELb1ELc84ELc85EKS1_S1_EviT_T0_PT8_S3_lS6_S3_lS4_PT9_S3_li ; -- Begin function _ZL34rocblas_syrkx_herkx_general_kernelIi19rocblas_complex_numIdELi16ELi32ELi8ELb0ELb1ELc84ELc85EKS1_S1_EviT_T0_PT8_S3_lS6_S3_lS4_PT9_S3_li
	.p2align	8
	.type	_ZL34rocblas_syrkx_herkx_general_kernelIi19rocblas_complex_numIdELi16ELi32ELi8ELb0ELb1ELc84ELc85EKS1_S1_EviT_T0_PT8_S3_lS6_S3_lS4_PT9_S3_li,@function
_ZL34rocblas_syrkx_herkx_general_kernelIi19rocblas_complex_numIdELi16ELi32ELi8ELb0ELb1ELc84ELc85EKS1_S1_EviT_T0_PT8_S3_lS6_S3_lS4_PT9_S3_li: ; @_ZL34rocblas_syrkx_herkx_general_kernelIi19rocblas_complex_numIdELi16ELi32ELi8ELb0ELb1ELc84ELc85EKS1_S1_EviT_T0_PT8_S3_lS6_S3_lS4_PT9_S3_li
; %bb.0:
	s_load_dwordx2 s[10:11], s[4:5], 0x0
	s_load_dwordx4 s[20:23], s[4:5], 0x8
	s_load_dwordx2 s[28:29], s[4:5], 0x18
	s_load_dwordx8 s[12:19], s[4:5], 0x40
	s_lshl_b32 s9, s6, 5
	s_lshl_b32 s30, s7, 5
	s_waitcnt lgkmcnt(0)
	s_cmp_lt_i32 s11, 1
	s_mov_b32 s31, 0
	s_cbranch_scc1 .LBB456_11
; %bb.1:
	v_lshl_add_u32 v2, v1, 4, v0
	v_lshrrev_b32_e32 v27, 5, v2
	v_lshrrev_b32_e32 v3, 3, v2
	v_and_b32_e32 v2, 31, v2
	v_or_b32_e32 v5, s9, v2
	s_load_dword s2, s[4:5], 0x20
	s_load_dwordx4 s[24:27], s[4:5], 0x28
	s_load_dword s6, s[4:5], 0x38
	v_and_b32_e32 v26, 7, v0
	v_cmp_gt_i32_e32 vcc, s10, v5
	v_lshlrev_b32_e32 v5, 4, v2
	v_lshl_or_b32 v28, v27, 9, v5
	v_lshlrev_b32_e32 v5, 4, v26
	v_add_u32_e32 v4, s30, v3
	v_lshl_or_b32 v3, v3, 7, v5
	v_add_u32_e32 v2, s9, v2
	v_add_u32_e32 v29, 0x1000, v3
	s_waitcnt lgkmcnt(0)
	v_mad_i64_i32 v[2:3], s[2:3], s2, v2, 0
	s_mul_i32 s2, s25, s8
	s_mul_hi_u32 s3, s24, s8
	v_lshlrev_b64 v[2:3], 4, v[2:3]
	s_add_i32 s3, s3, s2
	s_mul_i32 s2, s24, s8
	v_mov_b32_e32 v6, 0x1000
	s_lshl_b64 s[2:3], s[2:3], 4
	v_lshl_add_u32 v31, v1, 7, v6
	v_mov_b32_e32 v6, s3
	v_add_co_u32_e64 v2, s[2:3], s2, v2
	v_addc_co_u32_e64 v3, s[2:3], v3, v6, s[2:3]
	v_lshlrev_b32_e32 v6, 4, v27
	v_add_co_u32_e64 v6, s[2:3], v2, v6
	v_addc_co_u32_e64 v7, s[2:3], 0, v3, s[2:3]
	v_mad_i64_i32 v[2:3], s[2:3], s6, v4, 0
	v_mov_b32_e32 v8, s29
	v_add_co_u32_e64 v6, s[2:3], s28, v6
	v_addc_co_u32_e64 v7, s[2:3], v8, v7, s[2:3]
	s_mul_i32 s2, s13, s8
	s_mul_hi_u32 s3, s12, s8
	v_lshlrev_b64 v[2:3], 4, v[2:3]
	s_add_i32 s3, s3, s2
	s_mul_i32 s2, s12, s8
	s_lshl_b64 s[2:3], s[2:3], 4
	v_cmp_gt_i32_e64 s[0:1], s10, v4
	v_mov_b32_e32 v4, s3
	v_add_co_u32_e64 v2, s[2:3], s2, v2
	v_addc_co_u32_e64 v3, s[2:3], v3, v4, s[2:3]
	v_add_co_u32_e64 v2, s[2:3], v2, v5
	v_addc_co_u32_e64 v3, s[2:3], 0, v3, s[2:3]
	v_mov_b32_e32 v4, s27
	v_add_co_u32_e64 v8, s[2:3], s26, v2
	v_addc_co_u32_e64 v9, s[2:3], v4, v3, s[2:3]
	v_mov_b32_e32 v22, 0
	v_mov_b32_e32 v24, 0
	;; [unrolled: 1-line block ×8, first 2 shown]
	v_lshlrev_b32_e32 v30, 4, v0
	v_mov_b32_e32 v23, 0
	s_xor_b64 s[2:3], vcc, -1
	s_xor_b64 s[0:1], s[0:1], -1
	v_mov_b32_e32 v25, 0
	v_mov_b32_e32 v17, 0
	;; [unrolled: 1-line block ×8, first 2 shown]
	s_branch .LBB456_3
.LBB456_2:                              ;   in Loop: Header=BB456_3 Depth=1
	s_or_b64 exec, exec, s[6:7]
	s_waitcnt lgkmcnt(0)
	s_barrier
	ds_read_b128 v[32:35], v31
	ds_read_b128 v[36:39], v31 offset:16
	ds_read_b128 v[40:43], v31 offset:32
	;; [unrolled: 1-line block ×3, first 2 shown]
	ds_read_b128 v[48:51], v30
	v_add_co_u32_e32 v6, vcc, 0x80, v6
	v_addc_co_u32_e32 v7, vcc, 0, v7, vcc
	s_waitcnt lgkmcnt(0)
	v_mul_f64 v[3:4], v[34:35], v[50:51]
	v_mul_f64 v[52:53], v[32:33], v[50:51]
	s_add_i32 s31, s31, 8
	v_add_co_u32_e32 v8, vcc, 0x80, v8
	v_addc_co_u32_e32 v9, vcc, 0, v9, vcc
	s_cmp_ge_i32 s31, s11
	v_fma_f64 v[3:4], v[32:33], v[48:49], -v[3:4]
	v_fma_f64 v[52:53], v[34:35], v[48:49], v[52:53]
	v_add_f64 v[3:4], v[18:19], v[3:4]
	v_add_f64 v[52:53], v[52:53], v[20:21]
	ds_read_b128 v[18:21], v30 offset:256
	s_waitcnt lgkmcnt(0)
	v_mul_f64 v[54:55], v[34:35], v[20:21]
	v_fma_f64 v[54:55], v[32:33], v[18:19], -v[54:55]
	v_mul_f64 v[32:33], v[32:33], v[20:21]
	v_fma_f64 v[32:33], v[34:35], v[18:19], v[32:33]
	v_add_f64 v[34:35], v[10:11], v[54:55]
	v_add_f64 v[32:33], v[32:33], v[12:13]
	ds_read_b128 v[10:13], v31 offset:2048
	s_waitcnt lgkmcnt(0)
	v_mul_f64 v[54:55], v[12:13], v[50:51]
	v_mul_f64 v[50:51], v[10:11], v[50:51]
	v_fma_f64 v[54:55], v[10:11], v[48:49], -v[54:55]
	v_fma_f64 v[48:49], v[12:13], v[48:49], v[50:51]
	v_add_f64 v[50:51], v[14:15], v[54:55]
	v_mul_f64 v[14:15], v[12:13], v[20:21]
	v_add_f64 v[48:49], v[48:49], v[16:17]
	v_fma_f64 v[14:15], v[10:11], v[18:19], -v[14:15]
	v_mul_f64 v[10:11], v[10:11], v[20:21]
	v_add_f64 v[24:25], v[24:25], v[14:15]
	v_fma_f64 v[10:11], v[12:13], v[18:19], v[10:11]
	v_add_f64 v[22:23], v[10:11], v[22:23]
	ds_read_b128 v[10:13], v30 offset:512
	s_waitcnt lgkmcnt(0)
	v_mul_f64 v[14:15], v[38:39], v[12:13]
	v_mul_f64 v[16:17], v[36:37], v[12:13]
	v_fma_f64 v[14:15], v[36:37], v[10:11], -v[14:15]
	v_fma_f64 v[16:17], v[38:39], v[10:11], v[16:17]
	v_add_f64 v[3:4], v[3:4], v[14:15]
	v_add_f64 v[52:53], v[16:17], v[52:53]
	ds_read_b128 v[14:17], v30 offset:768
	s_waitcnt lgkmcnt(0)
	v_mul_f64 v[18:19], v[38:39], v[16:17]
	v_mul_f64 v[20:21], v[36:37], v[16:17]
	v_fma_f64 v[18:19], v[36:37], v[14:15], -v[18:19]
	v_fma_f64 v[20:21], v[38:39], v[14:15], v[20:21]
	v_add_f64 v[34:35], v[34:35], v[18:19]
	v_add_f64 v[32:33], v[20:21], v[32:33]
	ds_read_b128 v[18:21], v31 offset:2064
	s_waitcnt lgkmcnt(0)
	v_mul_f64 v[36:37], v[20:21], v[12:13]
	v_mul_f64 v[12:13], v[18:19], v[12:13]
	v_fma_f64 v[36:37], v[18:19], v[10:11], -v[36:37]
	v_fma_f64 v[10:11], v[20:21], v[10:11], v[12:13]
	v_mul_f64 v[12:13], v[18:19], v[16:17]
	v_add_f64 v[36:37], v[50:51], v[36:37]
	v_add_f64 v[38:39], v[10:11], v[48:49]
	v_mul_f64 v[10:11], v[20:21], v[16:17]
	v_fma_f64 v[12:13], v[20:21], v[14:15], v[12:13]
	v_fma_f64 v[10:11], v[18:19], v[14:15], -v[10:11]
	v_add_f64 v[22:23], v[12:13], v[22:23]
	v_add_f64 v[24:25], v[24:25], v[10:11]
	ds_read_b128 v[10:13], v30 offset:1024
	s_waitcnt lgkmcnt(0)
	v_mul_f64 v[14:15], v[42:43], v[12:13]
	v_mul_f64 v[16:17], v[40:41], v[12:13]
	v_fma_f64 v[14:15], v[40:41], v[10:11], -v[14:15]
	v_fma_f64 v[16:17], v[42:43], v[10:11], v[16:17]
	v_add_f64 v[3:4], v[3:4], v[14:15]
	v_add_f64 v[48:49], v[16:17], v[52:53]
	ds_read_b128 v[14:17], v30 offset:1280
	s_waitcnt lgkmcnt(0)
	v_mul_f64 v[18:19], v[42:43], v[16:17]
	v_mul_f64 v[20:21], v[40:41], v[16:17]
	v_fma_f64 v[18:19], v[40:41], v[14:15], -v[18:19]
	v_fma_f64 v[20:21], v[42:43], v[14:15], v[20:21]
	v_add_f64 v[34:35], v[34:35], v[18:19]
	v_add_f64 v[32:33], v[20:21], v[32:33]
	ds_read_b128 v[18:21], v31 offset:2080
	s_waitcnt lgkmcnt(0)
	v_mul_f64 v[40:41], v[20:21], v[12:13]
	v_mul_f64 v[12:13], v[18:19], v[12:13]
	v_fma_f64 v[40:41], v[18:19], v[10:11], -v[40:41]
	v_fma_f64 v[10:11], v[20:21], v[10:11], v[12:13]
	v_mul_f64 v[12:13], v[18:19], v[16:17]
	v_add_f64 v[36:37], v[36:37], v[40:41]
	v_add_f64 v[38:39], v[10:11], v[38:39]
	v_mul_f64 v[10:11], v[20:21], v[16:17]
	v_fma_f64 v[12:13], v[20:21], v[14:15], v[12:13]
	v_fma_f64 v[10:11], v[18:19], v[14:15], -v[10:11]
	v_add_f64 v[22:23], v[12:13], v[22:23]
	;; [unrolled: 30-line block ×3, first 2 shown]
	v_add_f64 v[24:25], v[24:25], v[10:11]
	ds_read_b128 v[10:13], v31 offset:64
	ds_read_b128 v[14:17], v30 offset:2048
	s_waitcnt lgkmcnt(0)
	v_mul_f64 v[18:19], v[12:13], v[16:17]
	v_mul_f64 v[20:21], v[10:11], v[16:17]
	v_fma_f64 v[18:19], v[10:11], v[14:15], -v[18:19]
	v_fma_f64 v[20:21], v[12:13], v[14:15], v[20:21]
	v_add_f64 v[3:4], v[3:4], v[18:19]
	v_add_f64 v[40:41], v[20:21], v[40:41]
	ds_read_b128 v[18:21], v30 offset:2304
	s_waitcnt lgkmcnt(0)
	v_mul_f64 v[42:43], v[12:13], v[20:21]
	v_fma_f64 v[42:43], v[10:11], v[18:19], -v[42:43]
	v_mul_f64 v[10:11], v[10:11], v[20:21]
	v_add_f64 v[34:35], v[34:35], v[42:43]
	v_fma_f64 v[10:11], v[12:13], v[18:19], v[10:11]
	v_add_f64 v[32:33], v[10:11], v[32:33]
	ds_read_b128 v[10:13], v31 offset:2112
	s_waitcnt lgkmcnt(0)
	v_mul_f64 v[42:43], v[12:13], v[16:17]
	v_mul_f64 v[16:17], v[10:11], v[16:17]
	v_fma_f64 v[42:43], v[10:11], v[14:15], -v[42:43]
	v_fma_f64 v[14:15], v[12:13], v[14:15], v[16:17]
	v_add_f64 v[36:37], v[36:37], v[42:43]
	v_add_f64 v[38:39], v[14:15], v[38:39]
	v_mul_f64 v[14:15], v[12:13], v[20:21]
	v_fma_f64 v[14:15], v[10:11], v[18:19], -v[14:15]
	v_mul_f64 v[10:11], v[10:11], v[20:21]
	v_add_f64 v[24:25], v[24:25], v[14:15]
	v_fma_f64 v[10:11], v[12:13], v[18:19], v[10:11]
	v_add_f64 v[22:23], v[10:11], v[22:23]
	ds_read_b128 v[10:13], v31 offset:80
	ds_read_b128 v[14:17], v30 offset:2560
	s_waitcnt lgkmcnt(0)
	v_mul_f64 v[18:19], v[12:13], v[16:17]
	v_mul_f64 v[20:21], v[10:11], v[16:17]
	v_fma_f64 v[18:19], v[10:11], v[14:15], -v[18:19]
	v_fma_f64 v[20:21], v[12:13], v[14:15], v[20:21]
	v_add_f64 v[3:4], v[3:4], v[18:19]
	v_add_f64 v[40:41], v[20:21], v[40:41]
	ds_read_b128 v[18:21], v30 offset:2816
	s_waitcnt lgkmcnt(0)
	v_mul_f64 v[42:43], v[12:13], v[20:21]
	v_fma_f64 v[42:43], v[10:11], v[18:19], -v[42:43]
	v_mul_f64 v[10:11], v[10:11], v[20:21]
	v_add_f64 v[34:35], v[34:35], v[42:43]
	v_fma_f64 v[10:11], v[12:13], v[18:19], v[10:11]
	v_add_f64 v[32:33], v[10:11], v[32:33]
	ds_read_b128 v[10:13], v31 offset:2128
	s_waitcnt lgkmcnt(0)
	v_mul_f64 v[42:43], v[12:13], v[16:17]
	v_mul_f64 v[16:17], v[10:11], v[16:17]
	v_fma_f64 v[42:43], v[10:11], v[14:15], -v[42:43]
	v_fma_f64 v[14:15], v[12:13], v[14:15], v[16:17]
	v_add_f64 v[36:37], v[36:37], v[42:43]
	v_add_f64 v[38:39], v[14:15], v[38:39]
	v_mul_f64 v[14:15], v[12:13], v[20:21]
	v_fma_f64 v[14:15], v[10:11], v[18:19], -v[14:15]
	v_mul_f64 v[10:11], v[10:11], v[20:21]
	v_add_f64 v[24:25], v[24:25], v[14:15]
	v_fma_f64 v[10:11], v[12:13], v[18:19], v[10:11]
	;; [unrolled: 31-line block ×3, first 2 shown]
	v_add_f64 v[44:45], v[10:11], v[22:23]
	ds_read_b128 v[10:13], v31 offset:112
	ds_read_b128 v[14:17], v30 offset:3584
	;; [unrolled: 1-line block ×3, first 2 shown]
	s_waitcnt lgkmcnt(1)
	v_mul_f64 v[18:19], v[12:13], v[16:17]
	v_mul_f64 v[20:21], v[10:11], v[16:17]
	v_fma_f64 v[18:19], v[10:11], v[14:15], -v[18:19]
	v_fma_f64 v[20:21], v[12:13], v[14:15], v[20:21]
	v_add_f64 v[18:19], v[3:4], v[18:19]
	s_waitcnt lgkmcnt(0)
	v_mul_f64 v[3:4], v[12:13], v[24:25]
	v_add_f64 v[20:21], v[20:21], v[40:41]
	v_fma_f64 v[3:4], v[10:11], v[22:23], -v[3:4]
	v_mul_f64 v[10:11], v[10:11], v[24:25]
	v_fma_f64 v[12:13], v[12:13], v[22:23], v[10:11]
	v_add_f64 v[10:11], v[34:35], v[3:4]
	v_add_f64 v[12:13], v[12:13], v[32:33]
	ds_read_b128 v[32:35], v31 offset:2160
	s_waitcnt lgkmcnt(0)
	s_barrier
	v_mul_f64 v[3:4], v[34:35], v[16:17]
	v_mul_f64 v[16:17], v[32:33], v[16:17]
	v_fma_f64 v[3:4], v[32:33], v[14:15], -v[3:4]
	v_fma_f64 v[16:17], v[34:35], v[14:15], v[16:17]
	v_add_f64 v[14:15], v[36:37], v[3:4]
	v_mul_f64 v[3:4], v[34:35], v[24:25]
	v_mul_f64 v[24:25], v[32:33], v[24:25]
	v_add_f64 v[16:17], v[16:17], v[38:39]
	v_fma_f64 v[3:4], v[32:33], v[22:23], -v[3:4]
	v_fma_f64 v[22:23], v[34:35], v[22:23], v[24:25]
	v_add_f64 v[24:25], v[42:43], v[3:4]
	v_add_f64 v[22:23], v[22:23], v[44:45]
	s_cbranch_scc1 .LBB456_12
.LBB456_3:                              ; =>This Inner Loop Header: Depth=1
	v_add_u32_e32 v3, s31, v27
	v_cmp_le_i32_e32 vcc, s11, v3
	s_or_b64 s[6:7], s[2:3], vcc
	s_and_saveexec_b64 s[12:13], s[6:7]
	s_xor_b64 s[6:7], exec, s[12:13]
; %bb.4:                                ;   in Loop: Header=BB456_3 Depth=1
	v_mov_b32_e32 v3, v2
	v_mov_b32_e32 v4, v2
	;; [unrolled: 1-line block ×3, first 2 shown]
	ds_write_b128 v28, v[2:5]
; %bb.5:                                ;   in Loop: Header=BB456_3 Depth=1
	s_andn2_saveexec_b64 s[6:7], s[6:7]
	s_cbranch_execz .LBB456_7
; %bb.6:                                ;   in Loop: Header=BB456_3 Depth=1
	global_load_dwordx4 v[32:35], v[6:7], off
	s_waitcnt vmcnt(0)
	ds_write2_b64 v28, v[32:33], v[34:35] offset1:1
.LBB456_7:                              ;   in Loop: Header=BB456_3 Depth=1
	s_or_b64 exec, exec, s[6:7]
	v_add_u32_e32 v3, s31, v26
	v_cmp_le_i32_e32 vcc, s11, v3
	s_or_b64 s[6:7], vcc, s[0:1]
	s_and_saveexec_b64 s[12:13], s[6:7]
	s_xor_b64 s[6:7], exec, s[12:13]
; %bb.8:                                ;   in Loop: Header=BB456_3 Depth=1
	v_mov_b32_e32 v3, v2
	v_mov_b32_e32 v4, v2
	;; [unrolled: 1-line block ×3, first 2 shown]
	ds_write_b128 v29, v[2:5]
; %bb.9:                                ;   in Loop: Header=BB456_3 Depth=1
	s_andn2_saveexec_b64 s[6:7], s[6:7]
	s_cbranch_execz .LBB456_2
; %bb.10:                               ;   in Loop: Header=BB456_3 Depth=1
	global_load_dwordx4 v[32:35], v[8:9], off
	s_waitcnt vmcnt(0)
	ds_write2_b64 v29, v[32:33], v[34:35] offset1:1
	s_branch .LBB456_2
.LBB456_11:
	v_mov_b32_e32 v18, 0
	v_mov_b32_e32 v20, 0
	;; [unrolled: 1-line block ×16, first 2 shown]
.LBB456_12:
	s_load_dwordx2 s[0:1], s[4:5], 0x68
	s_load_dword s6, s[4:5], 0x60
	v_add_u32_e32 v4, s30, v1
	v_add_u32_e32 v0, s9, v0
	v_cmp_gt_i32_e32 vcc, s10, v4
	s_waitcnt lgkmcnt(0)
	s_mul_i32 s1, s1, s8
	s_mul_hi_u32 s2, s0, s8
	s_add_i32 s1, s2, s1
	v_mad_i64_i32 v[1:2], s[2:3], v4, s6, 0
	s_mul_i32 s0, s0, s8
	s_lshl_b64 s[0:1], s[0:1], 4
	s_add_u32 s4, s18, s0
	v_lshlrev_b64 v[1:2], 4, v[1:2]
	s_addc_u32 s5, s19, s1
	v_mov_b32_e32 v3, s5
	v_add_co_u32_e64 v5, s[0:1], s4, v1
	v_addc_co_u32_e64 v6, s[0:1], v3, v2, s[0:1]
	v_cmp_le_i32_e64 s[0:1], v0, v4
	s_and_b64 s[0:1], vcc, s[0:1]
	s_and_saveexec_b64 s[2:3], s[0:1]
	s_cbranch_execz .LBB456_14
; %bb.13:
	v_ashrrev_i32_e32 v1, 31, v0
	v_lshlrev_b64 v[1:2], 4, v[0:1]
	v_mul_f64 v[7:8], s[20:21], v[20:21]
	v_add_co_u32_e64 v1, s[0:1], v5, v1
	v_addc_co_u32_e64 v2, s[0:1], v6, v2, s[0:1]
	global_load_dwordx4 v[26:29], v[1:2], off
	v_mul_f64 v[20:21], s[22:23], v[20:21]
	v_cmp_ne_u32_e64 s[0:1], v4, v0
	v_fma_f64 v[7:8], s[22:23], v[18:19], v[7:8]
	v_fma_f64 v[18:19], s[20:21], v[18:19], -v[20:21]
	s_waitcnt vmcnt(0)
	v_mul_f64 v[30:31], s[14:15], v[28:29]
	v_mul_f64 v[28:29], s[16:17], v[28:29]
	v_fma_f64 v[30:31], s[16:17], v[26:27], v[30:31]
	v_fma_f64 v[20:21], s[14:15], v[26:27], -v[28:29]
	v_add_f64 v[7:8], v[7:8], v[30:31]
	v_add_f64 v[18:19], v[18:19], v[20:21]
	v_cndmask_b32_e64 v21, 0, v8, s[0:1]
	v_cndmask_b32_e64 v20, 0, v7, s[0:1]
	global_store_dwordx4 v[1:2], v[18:21], off
.LBB456_14:
	s_or_b64 exec, exec, s[2:3]
	v_add_u32_e32 v2, 16, v0
	v_cmp_le_i32_e64 s[0:1], v2, v4
	s_and_b64 s[2:3], vcc, s[0:1]
	s_and_saveexec_b64 s[0:1], s[2:3]
	s_cbranch_execz .LBB456_16
; %bb.15:
	v_ashrrev_i32_e32 v3, 31, v2
	v_lshlrev_b64 v[7:8], 4, v[2:3]
	v_mul_f64 v[20:21], s[20:21], v[12:13]
	v_add_co_u32_e32 v18, vcc, v5, v7
	v_addc_co_u32_e32 v19, vcc, v6, v8, vcc
	global_load_dwordx4 v[5:8], v[18:19], off
	v_mul_f64 v[12:13], s[22:23], v[12:13]
	v_cmp_ne_u32_e32 vcc, v4, v2
	v_fma_f64 v[20:21], s[22:23], v[10:11], v[20:21]
	v_fma_f64 v[9:10], s[20:21], v[10:11], -v[12:13]
	s_waitcnt vmcnt(0)
	v_mul_f64 v[26:27], s[14:15], v[7:8]
	v_mul_f64 v[7:8], s[16:17], v[7:8]
	v_fma_f64 v[26:27], s[16:17], v[5:6], v[26:27]
	v_fma_f64 v[5:6], s[14:15], v[5:6], -v[7:8]
	v_add_f64 v[7:8], v[20:21], v[26:27]
	v_add_f64 v[5:6], v[9:10], v[5:6]
	v_cndmask_b32_e32 v8, 0, v8, vcc
	v_cndmask_b32_e32 v7, 0, v7, vcc
	global_store_dwordx4 v[18:19], v[5:8], off
.LBB456_16:
	s_or_b64 exec, exec, s[0:1]
	v_add_u32_e32 v3, 16, v4
	v_mad_i64_i32 v[5:6], s[0:1], v3, s6, 0
	v_mov_b32_e32 v1, s5
	v_cmp_gt_i32_e32 vcc, s10, v3
	v_lshlrev_b64 v[5:6], 4, v[5:6]
	v_add_co_u32_e64 v5, s[0:1], s4, v5
	v_addc_co_u32_e64 v6, s[0:1], v1, v6, s[0:1]
	v_cmp_le_i32_e64 s[0:1], v0, v3
	s_and_b64 s[0:1], vcc, s[0:1]
	s_and_saveexec_b64 s[2:3], s[0:1]
	s_cbranch_execz .LBB456_18
; %bb.17:
	v_ashrrev_i32_e32 v1, 31, v0
	v_lshlrev_b64 v[7:8], 4, v[0:1]
	v_mul_f64 v[18:19], s[20:21], v[16:17]
	v_add_co_u32_e64 v11, s[0:1], v5, v7
	v_addc_co_u32_e64 v12, s[0:1], v6, v8, s[0:1]
	global_load_dwordx4 v[7:10], v[11:12], off
	v_mul_f64 v[16:17], s[22:23], v[16:17]
	v_cmp_ne_u32_e64 s[0:1], v3, v0
	v_fma_f64 v[18:19], s[22:23], v[14:15], v[18:19]
	v_fma_f64 v[13:14], s[20:21], v[14:15], -v[16:17]
	s_waitcnt vmcnt(0)
	v_mul_f64 v[20:21], s[14:15], v[9:10]
	v_mul_f64 v[9:10], s[16:17], v[9:10]
	v_fma_f64 v[20:21], s[16:17], v[7:8], v[20:21]
	v_fma_f64 v[7:8], s[14:15], v[7:8], -v[9:10]
	v_add_f64 v[9:10], v[18:19], v[20:21]
	v_add_f64 v[7:8], v[13:14], v[7:8]
	v_cndmask_b32_e64 v10, 0, v10, s[0:1]
	v_cndmask_b32_e64 v9, 0, v9, s[0:1]
	global_store_dwordx4 v[11:12], v[7:10], off
.LBB456_18:
	s_or_b64 exec, exec, s[2:3]
	v_cmp_le_i32_e64 s[0:1], v2, v3
	s_and_b64 s[0:1], vcc, s[0:1]
	s_and_saveexec_b64 s[2:3], s[0:1]
	s_cbranch_execz .LBB456_20
; %bb.19:
	v_ashrrev_i32_e32 v3, 31, v2
	v_lshlrev_b64 v[1:2], 4, v[2:3]
	v_mul_f64 v[13:14], s[22:23], v[22:23]
	v_add_co_u32_e32 v9, vcc, v5, v1
	v_addc_co_u32_e32 v10, vcc, v6, v2, vcc
	global_load_dwordx4 v[5:8], v[9:10], off
	v_mul_f64 v[1:2], s[20:21], v[22:23]
	v_cmp_ne_u32_e32 vcc, v4, v0
	v_fma_f64 v[13:14], s[20:21], v[24:25], -v[13:14]
	v_fma_f64 v[1:2], s[22:23], v[24:25], v[1:2]
	s_waitcnt vmcnt(0)
	v_mul_f64 v[11:12], s[14:15], v[7:8]
	v_mul_f64 v[7:8], s[16:17], v[7:8]
	v_fma_f64 v[11:12], s[16:17], v[5:6], v[11:12]
	v_fma_f64 v[5:6], s[14:15], v[5:6], -v[7:8]
	v_add_f64 v[7:8], v[1:2], v[11:12]
	v_add_f64 v[1:2], v[13:14], v[5:6]
	v_cndmask_b32_e32 v4, 0, v8, vcc
	v_cndmask_b32_e32 v3, 0, v7, vcc
	global_store_dwordx4 v[9:10], v[1:4], off
.LBB456_20:
	s_endpgm
	.section	.rodata,"a",@progbits
	.p2align	6, 0x0
	.amdhsa_kernel _ZL34rocblas_syrkx_herkx_general_kernelIi19rocblas_complex_numIdELi16ELi32ELi8ELb0ELb1ELc84ELc85EKS1_S1_EviT_T0_PT8_S3_lS6_S3_lS4_PT9_S3_li
		.amdhsa_group_segment_fixed_size 8192
		.amdhsa_private_segment_fixed_size 0
		.amdhsa_kernarg_size 116
		.amdhsa_user_sgpr_count 6
		.amdhsa_user_sgpr_private_segment_buffer 1
		.amdhsa_user_sgpr_dispatch_ptr 0
		.amdhsa_user_sgpr_queue_ptr 0
		.amdhsa_user_sgpr_kernarg_segment_ptr 1
		.amdhsa_user_sgpr_dispatch_id 0
		.amdhsa_user_sgpr_flat_scratch_init 0
		.amdhsa_user_sgpr_private_segment_size 0
		.amdhsa_uses_dynamic_stack 0
		.amdhsa_system_sgpr_private_segment_wavefront_offset 0
		.amdhsa_system_sgpr_workgroup_id_x 1
		.amdhsa_system_sgpr_workgroup_id_y 1
		.amdhsa_system_sgpr_workgroup_id_z 1
		.amdhsa_system_sgpr_workgroup_info 0
		.amdhsa_system_vgpr_workitem_id 1
		.amdhsa_next_free_vgpr 56
		.amdhsa_next_free_sgpr 61
		.amdhsa_reserve_vcc 1
		.amdhsa_reserve_flat_scratch 0
		.amdhsa_float_round_mode_32 0
		.amdhsa_float_round_mode_16_64 0
		.amdhsa_float_denorm_mode_32 3
		.amdhsa_float_denorm_mode_16_64 3
		.amdhsa_dx10_clamp 1
		.amdhsa_ieee_mode 1
		.amdhsa_fp16_overflow 0
		.amdhsa_exception_fp_ieee_invalid_op 0
		.amdhsa_exception_fp_denorm_src 0
		.amdhsa_exception_fp_ieee_div_zero 0
		.amdhsa_exception_fp_ieee_overflow 0
		.amdhsa_exception_fp_ieee_underflow 0
		.amdhsa_exception_fp_ieee_inexact 0
		.amdhsa_exception_int_div_zero 0
	.end_amdhsa_kernel
	.section	.text._ZL34rocblas_syrkx_herkx_general_kernelIi19rocblas_complex_numIdELi16ELi32ELi8ELb0ELb1ELc84ELc85EKS1_S1_EviT_T0_PT8_S3_lS6_S3_lS4_PT9_S3_li,"axG",@progbits,_ZL34rocblas_syrkx_herkx_general_kernelIi19rocblas_complex_numIdELi16ELi32ELi8ELb0ELb1ELc84ELc85EKS1_S1_EviT_T0_PT8_S3_lS6_S3_lS4_PT9_S3_li,comdat
.Lfunc_end456:
	.size	_ZL34rocblas_syrkx_herkx_general_kernelIi19rocblas_complex_numIdELi16ELi32ELi8ELb0ELb1ELc84ELc85EKS1_S1_EviT_T0_PT8_S3_lS6_S3_lS4_PT9_S3_li, .Lfunc_end456-_ZL34rocblas_syrkx_herkx_general_kernelIi19rocblas_complex_numIdELi16ELi32ELi8ELb0ELb1ELc84ELc85EKS1_S1_EviT_T0_PT8_S3_lS6_S3_lS4_PT9_S3_li
                                        ; -- End function
	.set _ZL34rocblas_syrkx_herkx_general_kernelIi19rocblas_complex_numIdELi16ELi32ELi8ELb0ELb1ELc84ELc85EKS1_S1_EviT_T0_PT8_S3_lS6_S3_lS4_PT9_S3_li.num_vgpr, 56
	.set _ZL34rocblas_syrkx_herkx_general_kernelIi19rocblas_complex_numIdELi16ELi32ELi8ELb0ELb1ELc84ELc85EKS1_S1_EviT_T0_PT8_S3_lS6_S3_lS4_PT9_S3_li.num_agpr, 0
	.set _ZL34rocblas_syrkx_herkx_general_kernelIi19rocblas_complex_numIdELi16ELi32ELi8ELb0ELb1ELc84ELc85EKS1_S1_EviT_T0_PT8_S3_lS6_S3_lS4_PT9_S3_li.numbered_sgpr, 32
	.set _ZL34rocblas_syrkx_herkx_general_kernelIi19rocblas_complex_numIdELi16ELi32ELi8ELb0ELb1ELc84ELc85EKS1_S1_EviT_T0_PT8_S3_lS6_S3_lS4_PT9_S3_li.num_named_barrier, 0
	.set _ZL34rocblas_syrkx_herkx_general_kernelIi19rocblas_complex_numIdELi16ELi32ELi8ELb0ELb1ELc84ELc85EKS1_S1_EviT_T0_PT8_S3_lS6_S3_lS4_PT9_S3_li.private_seg_size, 0
	.set _ZL34rocblas_syrkx_herkx_general_kernelIi19rocblas_complex_numIdELi16ELi32ELi8ELb0ELb1ELc84ELc85EKS1_S1_EviT_T0_PT8_S3_lS6_S3_lS4_PT9_S3_li.uses_vcc, 1
	.set _ZL34rocblas_syrkx_herkx_general_kernelIi19rocblas_complex_numIdELi16ELi32ELi8ELb0ELb1ELc84ELc85EKS1_S1_EviT_T0_PT8_S3_lS6_S3_lS4_PT9_S3_li.uses_flat_scratch, 0
	.set _ZL34rocblas_syrkx_herkx_general_kernelIi19rocblas_complex_numIdELi16ELi32ELi8ELb0ELb1ELc84ELc85EKS1_S1_EviT_T0_PT8_S3_lS6_S3_lS4_PT9_S3_li.has_dyn_sized_stack, 0
	.set _ZL34rocblas_syrkx_herkx_general_kernelIi19rocblas_complex_numIdELi16ELi32ELi8ELb0ELb1ELc84ELc85EKS1_S1_EviT_T0_PT8_S3_lS6_S3_lS4_PT9_S3_li.has_recursion, 0
	.set _ZL34rocblas_syrkx_herkx_general_kernelIi19rocblas_complex_numIdELi16ELi32ELi8ELb0ELb1ELc84ELc85EKS1_S1_EviT_T0_PT8_S3_lS6_S3_lS4_PT9_S3_li.has_indirect_call, 0
	.section	.AMDGPU.csdata,"",@progbits
; Kernel info:
; codeLenInByte = 3408
; TotalNumSgprs: 36
; NumVgprs: 56
; ScratchSize: 0
; MemoryBound: 0
; FloatMode: 240
; IeeeMode: 1
; LDSByteSize: 8192 bytes/workgroup (compile time only)
; SGPRBlocks: 8
; VGPRBlocks: 13
; NumSGPRsForWavesPerEU: 65
; NumVGPRsForWavesPerEU: 56
; Occupancy: 4
; WaveLimiterHint : 0
; COMPUTE_PGM_RSRC2:SCRATCH_EN: 0
; COMPUTE_PGM_RSRC2:USER_SGPR: 6
; COMPUTE_PGM_RSRC2:TRAP_HANDLER: 0
; COMPUTE_PGM_RSRC2:TGID_X_EN: 1
; COMPUTE_PGM_RSRC2:TGID_Y_EN: 1
; COMPUTE_PGM_RSRC2:TGID_Z_EN: 1
; COMPUTE_PGM_RSRC2:TIDIG_COMP_CNT: 1
	.section	.text._ZL34rocblas_syrkx_herkx_general_kernelIi19rocblas_complex_numIdELi16ELi32ELi8ELb0ELb1ELc67ELc85EKS1_S1_EviT_T0_PT8_S3_lS6_S3_lS4_PT9_S3_li,"axG",@progbits,_ZL34rocblas_syrkx_herkx_general_kernelIi19rocblas_complex_numIdELi16ELi32ELi8ELb0ELb1ELc67ELc85EKS1_S1_EviT_T0_PT8_S3_lS6_S3_lS4_PT9_S3_li,comdat
	.globl	_ZL34rocblas_syrkx_herkx_general_kernelIi19rocblas_complex_numIdELi16ELi32ELi8ELb0ELb1ELc67ELc85EKS1_S1_EviT_T0_PT8_S3_lS6_S3_lS4_PT9_S3_li ; -- Begin function _ZL34rocblas_syrkx_herkx_general_kernelIi19rocblas_complex_numIdELi16ELi32ELi8ELb0ELb1ELc67ELc85EKS1_S1_EviT_T0_PT8_S3_lS6_S3_lS4_PT9_S3_li
	.p2align	8
	.type	_ZL34rocblas_syrkx_herkx_general_kernelIi19rocblas_complex_numIdELi16ELi32ELi8ELb0ELb1ELc67ELc85EKS1_S1_EviT_T0_PT8_S3_lS6_S3_lS4_PT9_S3_li,@function
_ZL34rocblas_syrkx_herkx_general_kernelIi19rocblas_complex_numIdELi16ELi32ELi8ELb0ELb1ELc67ELc85EKS1_S1_EviT_T0_PT8_S3_lS6_S3_lS4_PT9_S3_li: ; @_ZL34rocblas_syrkx_herkx_general_kernelIi19rocblas_complex_numIdELi16ELi32ELi8ELb0ELb1ELc67ELc85EKS1_S1_EviT_T0_PT8_S3_lS6_S3_lS4_PT9_S3_li
; %bb.0:
	s_load_dwordx2 s[10:11], s[4:5], 0x0
	s_load_dwordx4 s[20:23], s[4:5], 0x8
	s_load_dwordx2 s[28:29], s[4:5], 0x18
	s_load_dwordx8 s[12:19], s[4:5], 0x40
	s_lshl_b32 s9, s6, 5
	s_lshl_b32 s30, s7, 5
	s_waitcnt lgkmcnt(0)
	s_cmp_lt_i32 s11, 1
	s_mov_b32 s31, 0
	s_cbranch_scc1 .LBB457_9
; %bb.1:
	v_lshl_add_u32 v2, v1, 4, v0
	v_lshrrev_b32_e32 v28, 5, v2
	v_lshrrev_b32_e32 v3, 3, v2
	v_and_b32_e32 v2, 31, v2
	v_or_b32_e32 v5, s9, v2
	s_load_dword s2, s[4:5], 0x20
	s_load_dwordx4 s[24:27], s[4:5], 0x28
	s_load_dword s6, s[4:5], 0x38
	v_and_b32_e32 v27, 7, v0
	v_cmp_gt_i32_e64 s[0:1], s10, v5
	v_lshlrev_b32_e32 v5, 4, v2
	v_lshl_or_b32 v29, v28, 9, v5
	v_lshlrev_b32_e32 v5, 4, v27
	v_add_u32_e32 v4, s30, v3
	v_lshl_or_b32 v3, v3, 7, v5
	v_add_u32_e32 v2, s9, v2
	v_add_u32_e32 v30, 0x1000, v3
	s_waitcnt lgkmcnt(0)
	v_mad_i64_i32 v[2:3], s[2:3], s2, v2, 0
	s_mul_i32 s2, s25, s8
	s_mul_hi_u32 s3, s24, s8
	v_lshlrev_b64 v[2:3], 4, v[2:3]
	s_add_i32 s3, s3, s2
	s_mul_i32 s2, s24, s8
	v_mov_b32_e32 v6, 0x1000
	s_lshl_b64 s[2:3], s[2:3], 4
	v_lshl_add_u32 v32, v1, 7, v6
	v_mov_b32_e32 v6, s3
	v_add_co_u32_e64 v2, s[2:3], s2, v2
	v_addc_co_u32_e64 v3, s[2:3], v3, v6, s[2:3]
	v_lshlrev_b32_e32 v6, 4, v28
	v_add_co_u32_e64 v2, s[2:3], v2, v6
	v_addc_co_u32_e64 v3, s[2:3], 0, v3, s[2:3]
	v_mov_b32_e32 v6, s29
	v_add_co_u32_e64 v7, s[2:3], s28, v2
	v_addc_co_u32_e64 v6, s[2:3], v6, v3, s[2:3]
	v_mad_i64_i32 v[2:3], s[2:3], s6, v4, 0
	v_add_co_u32_e64 v7, s[2:3], 8, v7
	v_addc_co_u32_e64 v8, s[2:3], 0, v6, s[2:3]
	s_mul_i32 s2, s13, s8
	s_mul_hi_u32 s3, s12, s8
	v_lshlrev_b64 v[2:3], 4, v[2:3]
	s_add_i32 s3, s3, s2
	s_mul_i32 s2, s12, s8
	s_lshl_b64 s[2:3], s[2:3], 4
	v_cmp_gt_i32_e32 vcc, s10, v4
	v_mov_b32_e32 v4, s3
	v_add_co_u32_e64 v2, s[2:3], s2, v2
	v_addc_co_u32_e64 v3, s[2:3], v3, v4, s[2:3]
	v_add_co_u32_e64 v2, s[2:3], v2, v5
	v_addc_co_u32_e64 v3, s[2:3], 0, v3, s[2:3]
	v_mov_b32_e32 v4, s27
	v_add_co_u32_e64 v9, s[2:3], s26, v2
	v_addc_co_u32_e64 v10, s[2:3], v4, v3, s[2:3]
	v_mov_b32_e32 v23, 0
	v_mov_b32_e32 v25, 0
	;; [unrolled: 1-line block ×8, first 2 shown]
	v_lshlrev_b32_e32 v31, 4, v0
	v_mov_b32_e32 v24, 0
	s_xor_b64 s[2:3], vcc, -1
	v_mov_b32_e32 v26, 0
	v_mov_b32_e32 v18, 0
	;; [unrolled: 1-line block ×8, first 2 shown]
	s_branch .LBB457_3
.LBB457_2:                              ;   in Loop: Header=BB457_3 Depth=1
	s_or_b64 exec, exec, s[6:7]
	s_waitcnt lgkmcnt(0)
	s_barrier
	ds_read_b128 v[3:6], v32
	ds_read_b128 v[33:36], v32 offset:16
	ds_read_b128 v[37:40], v32 offset:32
	;; [unrolled: 1-line block ×3, first 2 shown]
	ds_read_b128 v[45:48], v31
	v_add_co_u32_e32 v7, vcc, 0x80, v7
	v_addc_co_u32_e32 v8, vcc, 0, v8, vcc
	s_waitcnt lgkmcnt(0)
	v_mul_f64 v[49:50], v[5:6], v[47:48]
	v_mul_f64 v[51:52], v[3:4], v[47:48]
	s_add_i32 s31, s31, 8
	v_add_co_u32_e32 v9, vcc, 0x80, v9
	v_addc_co_u32_e32 v10, vcc, 0, v10, vcc
	s_cmp_ge_i32 s31, s11
	v_fma_f64 v[49:50], v[3:4], v[45:46], -v[49:50]
	v_fma_f64 v[51:52], v[5:6], v[45:46], v[51:52]
	v_add_f64 v[49:50], v[19:20], v[49:50]
	v_add_f64 v[51:52], v[51:52], v[21:22]
	ds_read_b128 v[19:22], v31 offset:256
	s_waitcnt lgkmcnt(0)
	v_mul_f64 v[53:54], v[5:6], v[21:22]
	v_fma_f64 v[53:54], v[3:4], v[19:20], -v[53:54]
	v_mul_f64 v[3:4], v[3:4], v[21:22]
	v_add_f64 v[53:54], v[11:12], v[53:54]
	v_fma_f64 v[3:4], v[5:6], v[19:20], v[3:4]
	v_add_f64 v[55:56], v[3:4], v[13:14]
	ds_read_b128 v[3:6], v32 offset:2048
	s_waitcnt lgkmcnt(0)
	v_mul_f64 v[11:12], v[5:6], v[47:48]
	v_mul_f64 v[13:14], v[3:4], v[47:48]
	v_fma_f64 v[11:12], v[3:4], v[45:46], -v[11:12]
	v_fma_f64 v[13:14], v[5:6], v[45:46], v[13:14]
	v_add_f64 v[45:46], v[15:16], v[11:12]
	v_mul_f64 v[11:12], v[5:6], v[21:22]
	v_add_f64 v[47:48], v[13:14], v[17:18]
	v_fma_f64 v[11:12], v[3:4], v[19:20], -v[11:12]
	v_mul_f64 v[3:4], v[3:4], v[21:22]
	v_fma_f64 v[3:4], v[5:6], v[19:20], v[3:4]
	v_add_f64 v[19:20], v[25:26], v[11:12]
	v_add_f64 v[21:22], v[3:4], v[23:24]
	ds_read_b128 v[3:6], v31 offset:512
	s_waitcnt lgkmcnt(0)
	v_mul_f64 v[11:12], v[35:36], v[5:6]
	v_mul_f64 v[13:14], v[33:34], v[5:6]
	v_fma_f64 v[11:12], v[33:34], v[3:4], -v[11:12]
	v_fma_f64 v[13:14], v[35:36], v[3:4], v[13:14]
	v_add_f64 v[23:24], v[49:50], v[11:12]
	v_add_f64 v[25:26], v[13:14], v[51:52]
	ds_read_b128 v[11:14], v31 offset:768
	s_waitcnt lgkmcnt(0)
	v_mul_f64 v[15:16], v[35:36], v[13:14]
	v_mul_f64 v[17:18], v[33:34], v[13:14]
	v_fma_f64 v[15:16], v[33:34], v[11:12], -v[15:16]
	;; [unrolled: 8-line block ×3, first 2 shown]
	v_fma_f64 v[3:4], v[17:18], v[3:4], v[5:6]
	v_mul_f64 v[5:6], v[15:16], v[13:14]
	v_add_f64 v[45:46], v[45:46], v[49:50]
	v_add_f64 v[47:48], v[3:4], v[47:48]
	v_mul_f64 v[3:4], v[17:18], v[13:14]
	v_fma_f64 v[5:6], v[17:18], v[11:12], v[5:6]
	v_fma_f64 v[3:4], v[15:16], v[11:12], -v[3:4]
	v_add_f64 v[21:22], v[5:6], v[21:22]
	v_add_f64 v[19:20], v[19:20], v[3:4]
	ds_read_b128 v[3:6], v31 offset:1024
	s_waitcnt lgkmcnt(0)
	v_mul_f64 v[11:12], v[39:40], v[5:6]
	v_mul_f64 v[13:14], v[37:38], v[5:6]
	v_fma_f64 v[11:12], v[37:38], v[3:4], -v[11:12]
	v_fma_f64 v[13:14], v[39:40], v[3:4], v[13:14]
	v_add_f64 v[23:24], v[23:24], v[11:12]
	v_add_f64 v[25:26], v[13:14], v[25:26]
	ds_read_b128 v[11:14], v31 offset:1280
	s_waitcnt lgkmcnt(0)
	v_mul_f64 v[15:16], v[39:40], v[13:14]
	v_mul_f64 v[17:18], v[37:38], v[13:14]
	v_fma_f64 v[15:16], v[37:38], v[11:12], -v[15:16]
	v_fma_f64 v[17:18], v[39:40], v[11:12], v[17:18]
	;; [unrolled: 8-line block ×3, first 2 shown]
	v_mul_f64 v[5:6], v[15:16], v[13:14]
	v_add_f64 v[37:38], v[45:46], v[37:38]
	v_add_f64 v[39:40], v[3:4], v[47:48]
	v_mul_f64 v[3:4], v[17:18], v[13:14]
	v_fma_f64 v[5:6], v[17:18], v[11:12], v[5:6]
	v_fma_f64 v[3:4], v[15:16], v[11:12], -v[3:4]
	v_add_f64 v[21:22], v[5:6], v[21:22]
	v_add_f64 v[19:20], v[19:20], v[3:4]
	ds_read_b128 v[3:6], v31 offset:1536
	s_waitcnt lgkmcnt(0)
	v_mul_f64 v[11:12], v[43:44], v[5:6]
	v_mul_f64 v[13:14], v[41:42], v[5:6]
	v_fma_f64 v[11:12], v[41:42], v[3:4], -v[11:12]
	v_fma_f64 v[13:14], v[43:44], v[3:4], v[13:14]
	v_add_f64 v[23:24], v[23:24], v[11:12]
	v_add_f64 v[25:26], v[13:14], v[25:26]
	ds_read_b128 v[11:14], v31 offset:1792
	s_waitcnt lgkmcnt(0)
	v_mul_f64 v[15:16], v[43:44], v[13:14]
	v_mul_f64 v[17:18], v[41:42], v[13:14]
	v_fma_f64 v[15:16], v[41:42], v[11:12], -v[15:16]
	v_fma_f64 v[17:18], v[43:44], v[11:12], v[17:18]
	;; [unrolled: 8-line block ×3, first 2 shown]
	v_mul_f64 v[5:6], v[15:16], v[13:14]
	v_add_f64 v[37:38], v[37:38], v[41:42]
	v_add_f64 v[39:40], v[3:4], v[39:40]
	v_mul_f64 v[3:4], v[17:18], v[13:14]
	v_fma_f64 v[5:6], v[17:18], v[11:12], v[5:6]
	v_fma_f64 v[3:4], v[15:16], v[11:12], -v[3:4]
	v_add_f64 v[21:22], v[5:6], v[21:22]
	v_add_f64 v[19:20], v[19:20], v[3:4]
	ds_read_b128 v[3:6], v32 offset:64
	ds_read_b128 v[11:14], v31 offset:2048
	s_waitcnt lgkmcnt(0)
	v_mul_f64 v[15:16], v[5:6], v[13:14]
	v_mul_f64 v[17:18], v[3:4], v[13:14]
	v_fma_f64 v[15:16], v[3:4], v[11:12], -v[15:16]
	v_fma_f64 v[17:18], v[5:6], v[11:12], v[17:18]
	v_add_f64 v[23:24], v[23:24], v[15:16]
	v_add_f64 v[25:26], v[17:18], v[25:26]
	ds_read_b128 v[15:18], v31 offset:2304
	s_waitcnt lgkmcnt(0)
	v_mul_f64 v[41:42], v[5:6], v[17:18]
	v_fma_f64 v[41:42], v[3:4], v[15:16], -v[41:42]
	v_mul_f64 v[3:4], v[3:4], v[17:18]
	v_add_f64 v[33:34], v[33:34], v[41:42]
	v_fma_f64 v[3:4], v[5:6], v[15:16], v[3:4]
	v_add_f64 v[35:36], v[3:4], v[35:36]
	ds_read_b128 v[3:6], v32 offset:2112
	s_waitcnt lgkmcnt(0)
	v_mul_f64 v[41:42], v[5:6], v[13:14]
	v_mul_f64 v[13:14], v[3:4], v[13:14]
	v_fma_f64 v[41:42], v[3:4], v[11:12], -v[41:42]
	v_fma_f64 v[11:12], v[5:6], v[11:12], v[13:14]
	v_add_f64 v[37:38], v[37:38], v[41:42]
	v_add_f64 v[39:40], v[11:12], v[39:40]
	v_mul_f64 v[11:12], v[5:6], v[17:18]
	v_fma_f64 v[11:12], v[3:4], v[15:16], -v[11:12]
	v_mul_f64 v[3:4], v[3:4], v[17:18]
	v_add_f64 v[19:20], v[19:20], v[11:12]
	v_fma_f64 v[3:4], v[5:6], v[15:16], v[3:4]
	v_add_f64 v[21:22], v[3:4], v[21:22]
	ds_read_b128 v[3:6], v32 offset:80
	ds_read_b128 v[11:14], v31 offset:2560
	s_waitcnt lgkmcnt(0)
	v_mul_f64 v[15:16], v[5:6], v[13:14]
	v_mul_f64 v[17:18], v[3:4], v[13:14]
	v_fma_f64 v[15:16], v[3:4], v[11:12], -v[15:16]
	v_fma_f64 v[17:18], v[5:6], v[11:12], v[17:18]
	v_add_f64 v[23:24], v[23:24], v[15:16]
	v_add_f64 v[25:26], v[17:18], v[25:26]
	ds_read_b128 v[15:18], v31 offset:2816
	s_waitcnt lgkmcnt(0)
	v_mul_f64 v[41:42], v[5:6], v[17:18]
	v_fma_f64 v[41:42], v[3:4], v[15:16], -v[41:42]
	v_mul_f64 v[3:4], v[3:4], v[17:18]
	v_add_f64 v[33:34], v[33:34], v[41:42]
	v_fma_f64 v[3:4], v[5:6], v[15:16], v[3:4]
	v_add_f64 v[35:36], v[3:4], v[35:36]
	ds_read_b128 v[3:6], v32 offset:2128
	s_waitcnt lgkmcnt(0)
	v_mul_f64 v[41:42], v[5:6], v[13:14]
	v_mul_f64 v[13:14], v[3:4], v[13:14]
	v_fma_f64 v[41:42], v[3:4], v[11:12], -v[41:42]
	v_fma_f64 v[11:12], v[5:6], v[11:12], v[13:14]
	v_add_f64 v[37:38], v[37:38], v[41:42]
	v_add_f64 v[39:40], v[11:12], v[39:40]
	v_mul_f64 v[11:12], v[5:6], v[17:18]
	v_fma_f64 v[11:12], v[3:4], v[15:16], -v[11:12]
	v_mul_f64 v[3:4], v[3:4], v[17:18]
	v_add_f64 v[19:20], v[19:20], v[11:12]
	v_fma_f64 v[3:4], v[5:6], v[15:16], v[3:4]
	v_add_f64 v[21:22], v[3:4], v[21:22]
	ds_read_b128 v[3:6], v32 offset:96
	ds_read_b128 v[11:14], v31 offset:3072
	s_waitcnt lgkmcnt(0)
	v_mul_f64 v[15:16], v[5:6], v[13:14]
	v_mul_f64 v[17:18], v[3:4], v[13:14]
	v_fma_f64 v[15:16], v[3:4], v[11:12], -v[15:16]
	v_fma_f64 v[17:18], v[5:6], v[11:12], v[17:18]
	v_add_f64 v[23:24], v[23:24], v[15:16]
	v_add_f64 v[25:26], v[17:18], v[25:26]
	ds_read_b128 v[15:18], v31 offset:3328
	s_waitcnt lgkmcnt(0)
	v_mul_f64 v[41:42], v[5:6], v[17:18]
	v_fma_f64 v[41:42], v[3:4], v[15:16], -v[41:42]
	v_mul_f64 v[3:4], v[3:4], v[17:18]
	v_add_f64 v[33:34], v[33:34], v[41:42]
	v_fma_f64 v[3:4], v[5:6], v[15:16], v[3:4]
	v_add_f64 v[35:36], v[3:4], v[35:36]
	ds_read_b128 v[3:6], v32 offset:2144
	s_waitcnt lgkmcnt(0)
	v_mul_f64 v[41:42], v[5:6], v[13:14]
	v_mul_f64 v[13:14], v[3:4], v[13:14]
	v_fma_f64 v[41:42], v[3:4], v[11:12], -v[41:42]
	v_fma_f64 v[11:12], v[5:6], v[11:12], v[13:14]
	v_add_f64 v[37:38], v[37:38], v[41:42]
	v_add_f64 v[39:40], v[11:12], v[39:40]
	v_mul_f64 v[11:12], v[5:6], v[17:18]
	v_fma_f64 v[11:12], v[3:4], v[15:16], -v[11:12]
	v_mul_f64 v[3:4], v[3:4], v[17:18]
	v_add_f64 v[41:42], v[19:20], v[11:12]
	v_fma_f64 v[3:4], v[5:6], v[15:16], v[3:4]
	v_add_f64 v[43:44], v[3:4], v[21:22]
	ds_read_b128 v[3:6], v32 offset:112
	ds_read_b128 v[15:18], v31 offset:3584
	s_waitcnt lgkmcnt(0)
	v_mul_f64 v[11:12], v[5:6], v[17:18]
	v_mul_f64 v[13:14], v[3:4], v[17:18]
	v_fma_f64 v[11:12], v[3:4], v[15:16], -v[11:12]
	v_fma_f64 v[13:14], v[5:6], v[15:16], v[13:14]
	v_add_f64 v[19:20], v[23:24], v[11:12]
	v_add_f64 v[21:22], v[13:14], v[25:26]
	ds_read_b128 v[23:26], v31 offset:3840
	s_waitcnt lgkmcnt(0)
	v_mul_f64 v[11:12], v[5:6], v[25:26]
	v_fma_f64 v[11:12], v[3:4], v[23:24], -v[11:12]
	v_mul_f64 v[3:4], v[3:4], v[25:26]
	v_add_f64 v[11:12], v[33:34], v[11:12]
	v_fma_f64 v[3:4], v[5:6], v[23:24], v[3:4]
	v_add_f64 v[13:14], v[3:4], v[35:36]
	ds_read_b128 v[3:6], v32 offset:2160
	s_waitcnt lgkmcnt(0)
	s_barrier
	v_mul_f64 v[33:34], v[5:6], v[17:18]
	v_mul_f64 v[17:18], v[3:4], v[17:18]
	v_fma_f64 v[33:34], v[3:4], v[15:16], -v[33:34]
	v_fma_f64 v[17:18], v[5:6], v[15:16], v[17:18]
	v_add_f64 v[15:16], v[37:38], v[33:34]
	v_mul_f64 v[33:34], v[5:6], v[25:26]
	v_add_f64 v[17:18], v[17:18], v[39:40]
	v_fma_f64 v[33:34], v[3:4], v[23:24], -v[33:34]
	v_mul_f64 v[3:4], v[3:4], v[25:26]
	v_add_f64 v[25:26], v[41:42], v[33:34]
	v_fma_f64 v[3:4], v[5:6], v[23:24], v[3:4]
	v_add_f64 v[23:24], v[3:4], v[43:44]
	s_cbranch_scc1 .LBB457_10
.LBB457_3:                              ; =>This Inner Loop Header: Depth=1
	v_add_u32_e32 v3, s31, v28
	v_cmp_gt_i32_e32 vcc, s11, v3
	v_mov_b32_e32 v3, 0
	v_mov_b32_e32 v5, 0
	;; [unrolled: 1-line block ×4, first 2 shown]
	s_and_b64 s[12:13], s[0:1], vcc
	s_and_saveexec_b64 s[6:7], s[12:13]
	s_cbranch_execz .LBB457_5
; %bb.4:                                ;   in Loop: Header=BB457_3 Depth=1
	global_load_dwordx4 v[3:6], v[7:8], off offset:-8
	s_waitcnt vmcnt(0)
	v_xor_b32_e32 v6, 0x80000000, v6
.LBB457_5:                              ;   in Loop: Header=BB457_3 Depth=1
	s_or_b64 exec, exec, s[6:7]
	ds_write_b128 v29, v[3:6]
	v_add_u32_e32 v3, s31, v27
	v_cmp_le_i32_e32 vcc, s11, v3
	s_or_b64 s[6:7], vcc, s[2:3]
	s_and_saveexec_b64 s[12:13], s[6:7]
	s_xor_b64 s[6:7], exec, s[12:13]
; %bb.6:                                ;   in Loop: Header=BB457_3 Depth=1
	v_mov_b32_e32 v3, v2
	v_mov_b32_e32 v4, v2
	;; [unrolled: 1-line block ×3, first 2 shown]
	ds_write_b128 v30, v[2:5]
; %bb.7:                                ;   in Loop: Header=BB457_3 Depth=1
	s_andn2_saveexec_b64 s[6:7], s[6:7]
	s_cbranch_execz .LBB457_2
; %bb.8:                                ;   in Loop: Header=BB457_3 Depth=1
	global_load_dwordx4 v[3:6], v[9:10], off
	s_waitcnt vmcnt(0)
	ds_write2_b64 v30, v[3:4], v[5:6] offset1:1
	s_branch .LBB457_2
.LBB457_9:
	v_mov_b32_e32 v19, 0
	v_mov_b32_e32 v21, 0
	;; [unrolled: 1-line block ×16, first 2 shown]
.LBB457_10:
	s_load_dwordx2 s[0:1], s[4:5], 0x68
	s_load_dword s6, s[4:5], 0x60
	v_add_u32_e32 v4, s30, v1
	v_add_u32_e32 v0, s9, v0
	v_cmp_gt_i32_e32 vcc, s10, v4
	s_waitcnt lgkmcnt(0)
	s_mul_i32 s1, s1, s8
	s_mul_hi_u32 s2, s0, s8
	s_add_i32 s1, s2, s1
	v_mad_i64_i32 v[1:2], s[2:3], v4, s6, 0
	s_mul_i32 s0, s0, s8
	s_lshl_b64 s[0:1], s[0:1], 4
	s_add_u32 s4, s18, s0
	v_lshlrev_b64 v[1:2], 4, v[1:2]
	s_addc_u32 s5, s19, s1
	v_mov_b32_e32 v3, s5
	v_add_co_u32_e64 v5, s[0:1], s4, v1
	v_addc_co_u32_e64 v6, s[0:1], v3, v2, s[0:1]
	v_cmp_le_i32_e64 s[0:1], v0, v4
	s_and_b64 s[0:1], vcc, s[0:1]
	s_and_saveexec_b64 s[2:3], s[0:1]
	s_cbranch_execz .LBB457_12
; %bb.11:
	v_ashrrev_i32_e32 v1, 31, v0
	v_lshlrev_b64 v[1:2], 4, v[0:1]
	v_mul_f64 v[27:28], s[20:21], v[21:22]
	v_add_co_u32_e64 v1, s[0:1], v5, v1
	v_addc_co_u32_e64 v2, s[0:1], v6, v2, s[0:1]
	global_load_dwordx4 v[7:10], v[1:2], off
	v_mul_f64 v[21:22], s[22:23], v[21:22]
	v_cmp_ne_u32_e64 s[0:1], v4, v0
	v_fma_f64 v[27:28], s[22:23], v[19:20], v[27:28]
	v_fma_f64 v[19:20], s[20:21], v[19:20], -v[21:22]
	s_waitcnt vmcnt(0)
	v_mul_f64 v[29:30], s[14:15], v[9:10]
	v_mul_f64 v[9:10], s[16:17], v[9:10]
	v_fma_f64 v[29:30], s[16:17], v[7:8], v[29:30]
	v_fma_f64 v[7:8], s[14:15], v[7:8], -v[9:10]
	v_add_f64 v[9:10], v[27:28], v[29:30]
	v_add_f64 v[7:8], v[19:20], v[7:8]
	v_cndmask_b32_e64 v10, 0, v10, s[0:1]
	v_cndmask_b32_e64 v9, 0, v9, s[0:1]
	global_store_dwordx4 v[1:2], v[7:10], off
.LBB457_12:
	s_or_b64 exec, exec, s[2:3]
	v_add_u32_e32 v2, 16, v0
	v_cmp_le_i32_e64 s[0:1], v2, v4
	s_and_b64 s[2:3], vcc, s[0:1]
	s_and_saveexec_b64 s[0:1], s[2:3]
	s_cbranch_execz .LBB457_14
; %bb.13:
	v_ashrrev_i32_e32 v3, 31, v2
	v_lshlrev_b64 v[7:8], 4, v[2:3]
	v_mul_f64 v[19:20], s[20:21], v[13:14]
	v_add_co_u32_e32 v9, vcc, v5, v7
	v_addc_co_u32_e32 v10, vcc, v6, v8, vcc
	global_load_dwordx4 v[5:8], v[9:10], off
	v_mul_f64 v[13:14], s[22:23], v[13:14]
	v_cmp_ne_u32_e32 vcc, v4, v2
	v_fma_f64 v[19:20], s[22:23], v[11:12], v[19:20]
	v_fma_f64 v[11:12], s[20:21], v[11:12], -v[13:14]
	s_waitcnt vmcnt(0)
	v_mul_f64 v[21:22], s[14:15], v[7:8]
	v_mul_f64 v[7:8], s[16:17], v[7:8]
	v_fma_f64 v[21:22], s[16:17], v[5:6], v[21:22]
	v_fma_f64 v[5:6], s[14:15], v[5:6], -v[7:8]
	v_add_f64 v[7:8], v[19:20], v[21:22]
	v_add_f64 v[5:6], v[11:12], v[5:6]
	v_cndmask_b32_e32 v8, 0, v8, vcc
	v_cndmask_b32_e32 v7, 0, v7, vcc
	global_store_dwordx4 v[9:10], v[5:8], off
.LBB457_14:
	s_or_b64 exec, exec, s[0:1]
	v_add_u32_e32 v3, 16, v4
	v_mad_i64_i32 v[5:6], s[0:1], v3, s6, 0
	v_mov_b32_e32 v1, s5
	v_cmp_gt_i32_e32 vcc, s10, v3
	v_lshlrev_b64 v[5:6], 4, v[5:6]
	v_add_co_u32_e64 v5, s[0:1], s4, v5
	v_addc_co_u32_e64 v6, s[0:1], v1, v6, s[0:1]
	v_cmp_le_i32_e64 s[0:1], v0, v3
	s_and_b64 s[0:1], vcc, s[0:1]
	s_and_saveexec_b64 s[2:3], s[0:1]
	s_cbranch_execz .LBB457_16
; %bb.15:
	v_ashrrev_i32_e32 v1, 31, v0
	v_lshlrev_b64 v[7:8], 4, v[0:1]
	v_mul_f64 v[13:14], s[20:21], v[17:18]
	v_add_co_u32_e64 v11, s[0:1], v5, v7
	v_addc_co_u32_e64 v12, s[0:1], v6, v8, s[0:1]
	global_load_dwordx4 v[7:10], v[11:12], off
	v_mul_f64 v[17:18], s[22:23], v[17:18]
	v_cmp_ne_u32_e64 s[0:1], v3, v0
	v_fma_f64 v[13:14], s[22:23], v[15:16], v[13:14]
	v_fma_f64 v[15:16], s[20:21], v[15:16], -v[17:18]
	s_waitcnt vmcnt(0)
	v_mul_f64 v[19:20], s[14:15], v[9:10]
	v_mul_f64 v[9:10], s[16:17], v[9:10]
	v_fma_f64 v[19:20], s[16:17], v[7:8], v[19:20]
	v_fma_f64 v[7:8], s[14:15], v[7:8], -v[9:10]
	v_add_f64 v[9:10], v[13:14], v[19:20]
	v_add_f64 v[7:8], v[15:16], v[7:8]
	v_cndmask_b32_e64 v10, 0, v10, s[0:1]
	v_cndmask_b32_e64 v9, 0, v9, s[0:1]
	global_store_dwordx4 v[11:12], v[7:10], off
.LBB457_16:
	s_or_b64 exec, exec, s[2:3]
	v_cmp_le_i32_e64 s[0:1], v2, v3
	s_and_b64 s[0:1], vcc, s[0:1]
	s_and_saveexec_b64 s[2:3], s[0:1]
	s_cbranch_execz .LBB457_18
; %bb.17:
	v_ashrrev_i32_e32 v3, 31, v2
	v_lshlrev_b64 v[1:2], 4, v[2:3]
	v_mul_f64 v[13:14], s[22:23], v[23:24]
	v_add_co_u32_e32 v9, vcc, v5, v1
	v_addc_co_u32_e32 v10, vcc, v6, v2, vcc
	global_load_dwordx4 v[5:8], v[9:10], off
	v_mul_f64 v[1:2], s[20:21], v[23:24]
	v_cmp_ne_u32_e32 vcc, v4, v0
	v_fma_f64 v[13:14], s[20:21], v[25:26], -v[13:14]
	v_fma_f64 v[1:2], s[22:23], v[25:26], v[1:2]
	s_waitcnt vmcnt(0)
	v_mul_f64 v[11:12], s[14:15], v[7:8]
	v_mul_f64 v[7:8], s[16:17], v[7:8]
	v_fma_f64 v[11:12], s[16:17], v[5:6], v[11:12]
	v_fma_f64 v[5:6], s[14:15], v[5:6], -v[7:8]
	v_add_f64 v[7:8], v[1:2], v[11:12]
	v_add_f64 v[1:2], v[13:14], v[5:6]
	v_cndmask_b32_e32 v4, 0, v8, vcc
	v_cndmask_b32_e32 v3, 0, v7, vcc
	global_store_dwordx4 v[9:10], v[1:4], off
.LBB457_18:
	s_endpgm
	.section	.rodata,"a",@progbits
	.p2align	6, 0x0
	.amdhsa_kernel _ZL34rocblas_syrkx_herkx_general_kernelIi19rocblas_complex_numIdELi16ELi32ELi8ELb0ELb1ELc67ELc85EKS1_S1_EviT_T0_PT8_S3_lS6_S3_lS4_PT9_S3_li
		.amdhsa_group_segment_fixed_size 8192
		.amdhsa_private_segment_fixed_size 0
		.amdhsa_kernarg_size 116
		.amdhsa_user_sgpr_count 6
		.amdhsa_user_sgpr_private_segment_buffer 1
		.amdhsa_user_sgpr_dispatch_ptr 0
		.amdhsa_user_sgpr_queue_ptr 0
		.amdhsa_user_sgpr_kernarg_segment_ptr 1
		.amdhsa_user_sgpr_dispatch_id 0
		.amdhsa_user_sgpr_flat_scratch_init 0
		.amdhsa_user_sgpr_private_segment_size 0
		.amdhsa_uses_dynamic_stack 0
		.amdhsa_system_sgpr_private_segment_wavefront_offset 0
		.amdhsa_system_sgpr_workgroup_id_x 1
		.amdhsa_system_sgpr_workgroup_id_y 1
		.amdhsa_system_sgpr_workgroup_id_z 1
		.amdhsa_system_sgpr_workgroup_info 0
		.amdhsa_system_vgpr_workitem_id 1
		.amdhsa_next_free_vgpr 57
		.amdhsa_next_free_sgpr 61
		.amdhsa_reserve_vcc 1
		.amdhsa_reserve_flat_scratch 0
		.amdhsa_float_round_mode_32 0
		.amdhsa_float_round_mode_16_64 0
		.amdhsa_float_denorm_mode_32 3
		.amdhsa_float_denorm_mode_16_64 3
		.amdhsa_dx10_clamp 1
		.amdhsa_ieee_mode 1
		.amdhsa_fp16_overflow 0
		.amdhsa_exception_fp_ieee_invalid_op 0
		.amdhsa_exception_fp_denorm_src 0
		.amdhsa_exception_fp_ieee_div_zero 0
		.amdhsa_exception_fp_ieee_overflow 0
		.amdhsa_exception_fp_ieee_underflow 0
		.amdhsa_exception_fp_ieee_inexact 0
		.amdhsa_exception_int_div_zero 0
	.end_amdhsa_kernel
	.section	.text._ZL34rocblas_syrkx_herkx_general_kernelIi19rocblas_complex_numIdELi16ELi32ELi8ELb0ELb1ELc67ELc85EKS1_S1_EviT_T0_PT8_S3_lS6_S3_lS4_PT9_S3_li,"axG",@progbits,_ZL34rocblas_syrkx_herkx_general_kernelIi19rocblas_complex_numIdELi16ELi32ELi8ELb0ELb1ELc67ELc85EKS1_S1_EviT_T0_PT8_S3_lS6_S3_lS4_PT9_S3_li,comdat
.Lfunc_end457:
	.size	_ZL34rocblas_syrkx_herkx_general_kernelIi19rocblas_complex_numIdELi16ELi32ELi8ELb0ELb1ELc67ELc85EKS1_S1_EviT_T0_PT8_S3_lS6_S3_lS4_PT9_S3_li, .Lfunc_end457-_ZL34rocblas_syrkx_herkx_general_kernelIi19rocblas_complex_numIdELi16ELi32ELi8ELb0ELb1ELc67ELc85EKS1_S1_EviT_T0_PT8_S3_lS6_S3_lS4_PT9_S3_li
                                        ; -- End function
	.set _ZL34rocblas_syrkx_herkx_general_kernelIi19rocblas_complex_numIdELi16ELi32ELi8ELb0ELb1ELc67ELc85EKS1_S1_EviT_T0_PT8_S3_lS6_S3_lS4_PT9_S3_li.num_vgpr, 57
	.set _ZL34rocblas_syrkx_herkx_general_kernelIi19rocblas_complex_numIdELi16ELi32ELi8ELb0ELb1ELc67ELc85EKS1_S1_EviT_T0_PT8_S3_lS6_S3_lS4_PT9_S3_li.num_agpr, 0
	.set _ZL34rocblas_syrkx_herkx_general_kernelIi19rocblas_complex_numIdELi16ELi32ELi8ELb0ELb1ELc67ELc85EKS1_S1_EviT_T0_PT8_S3_lS6_S3_lS4_PT9_S3_li.numbered_sgpr, 32
	.set _ZL34rocblas_syrkx_herkx_general_kernelIi19rocblas_complex_numIdELi16ELi32ELi8ELb0ELb1ELc67ELc85EKS1_S1_EviT_T0_PT8_S3_lS6_S3_lS4_PT9_S3_li.num_named_barrier, 0
	.set _ZL34rocblas_syrkx_herkx_general_kernelIi19rocblas_complex_numIdELi16ELi32ELi8ELb0ELb1ELc67ELc85EKS1_S1_EviT_T0_PT8_S3_lS6_S3_lS4_PT9_S3_li.private_seg_size, 0
	.set _ZL34rocblas_syrkx_herkx_general_kernelIi19rocblas_complex_numIdELi16ELi32ELi8ELb0ELb1ELc67ELc85EKS1_S1_EviT_T0_PT8_S3_lS6_S3_lS4_PT9_S3_li.uses_vcc, 1
	.set _ZL34rocblas_syrkx_herkx_general_kernelIi19rocblas_complex_numIdELi16ELi32ELi8ELb0ELb1ELc67ELc85EKS1_S1_EviT_T0_PT8_S3_lS6_S3_lS4_PT9_S3_li.uses_flat_scratch, 0
	.set _ZL34rocblas_syrkx_herkx_general_kernelIi19rocblas_complex_numIdELi16ELi32ELi8ELb0ELb1ELc67ELc85EKS1_S1_EviT_T0_PT8_S3_lS6_S3_lS4_PT9_S3_li.has_dyn_sized_stack, 0
	.set _ZL34rocblas_syrkx_herkx_general_kernelIi19rocblas_complex_numIdELi16ELi32ELi8ELb0ELb1ELc67ELc85EKS1_S1_EviT_T0_PT8_S3_lS6_S3_lS4_PT9_S3_li.has_recursion, 0
	.set _ZL34rocblas_syrkx_herkx_general_kernelIi19rocblas_complex_numIdELi16ELi32ELi8ELb0ELb1ELc67ELc85EKS1_S1_EviT_T0_PT8_S3_lS6_S3_lS4_PT9_S3_li.has_indirect_call, 0
	.section	.AMDGPU.csdata,"",@progbits
; Kernel info:
; codeLenInByte = 3416
; TotalNumSgprs: 36
; NumVgprs: 57
; ScratchSize: 0
; MemoryBound: 1
; FloatMode: 240
; IeeeMode: 1
; LDSByteSize: 8192 bytes/workgroup (compile time only)
; SGPRBlocks: 8
; VGPRBlocks: 14
; NumSGPRsForWavesPerEU: 65
; NumVGPRsForWavesPerEU: 57
; Occupancy: 4
; WaveLimiterHint : 0
; COMPUTE_PGM_RSRC2:SCRATCH_EN: 0
; COMPUTE_PGM_RSRC2:USER_SGPR: 6
; COMPUTE_PGM_RSRC2:TRAP_HANDLER: 0
; COMPUTE_PGM_RSRC2:TGID_X_EN: 1
; COMPUTE_PGM_RSRC2:TGID_Y_EN: 1
; COMPUTE_PGM_RSRC2:TGID_Z_EN: 1
; COMPUTE_PGM_RSRC2:TIDIG_COMP_CNT: 1
	.section	.text._ZL34rocblas_syrkx_herkx_general_kernelIi19rocblas_complex_numIdELi16ELi32ELi8ELb0ELb1ELc78ELc85EKS1_S1_EviT_T0_PT8_S3_lS6_S3_lS4_PT9_S3_li,"axG",@progbits,_ZL34rocblas_syrkx_herkx_general_kernelIi19rocblas_complex_numIdELi16ELi32ELi8ELb0ELb1ELc78ELc85EKS1_S1_EviT_T0_PT8_S3_lS6_S3_lS4_PT9_S3_li,comdat
	.globl	_ZL34rocblas_syrkx_herkx_general_kernelIi19rocblas_complex_numIdELi16ELi32ELi8ELb0ELb1ELc78ELc85EKS1_S1_EviT_T0_PT8_S3_lS6_S3_lS4_PT9_S3_li ; -- Begin function _ZL34rocblas_syrkx_herkx_general_kernelIi19rocblas_complex_numIdELi16ELi32ELi8ELb0ELb1ELc78ELc85EKS1_S1_EviT_T0_PT8_S3_lS6_S3_lS4_PT9_S3_li
	.p2align	8
	.type	_ZL34rocblas_syrkx_herkx_general_kernelIi19rocblas_complex_numIdELi16ELi32ELi8ELb0ELb1ELc78ELc85EKS1_S1_EviT_T0_PT8_S3_lS6_S3_lS4_PT9_S3_li,@function
_ZL34rocblas_syrkx_herkx_general_kernelIi19rocblas_complex_numIdELi16ELi32ELi8ELb0ELb1ELc78ELc85EKS1_S1_EviT_T0_PT8_S3_lS6_S3_lS4_PT9_S3_li: ; @_ZL34rocblas_syrkx_herkx_general_kernelIi19rocblas_complex_numIdELi16ELi32ELi8ELb0ELb1ELc78ELc85EKS1_S1_EviT_T0_PT8_S3_lS6_S3_lS4_PT9_S3_li
; %bb.0:
	s_load_dwordx2 s[10:11], s[4:5], 0x0
	s_load_dwordx4 s[20:23], s[4:5], 0x8
	s_load_dwordx2 s[28:29], s[4:5], 0x18
	s_load_dwordx8 s[12:19], s[4:5], 0x40
	s_lshl_b32 s9, s6, 5
	s_lshl_b32 s30, s7, 5
	s_waitcnt lgkmcnt(0)
	s_cmp_lt_i32 s11, 1
	s_mov_b32 s31, 0
	s_cbranch_scc1 .LBB458_9
; %bb.1:
	v_lshl_add_u32 v3, v1, 4, v0
	v_and_b32_e32 v6, 31, v3
	s_load_dword s6, s[4:5], 0x20
	s_load_dword s34, s[4:5], 0x38
	s_load_dwordx4 s[24:27], s[4:5], 0x28
	v_lshrrev_b32_e32 v28, 5, v3
	v_lshrrev_b32_e32 v4, 3, v3
	v_or_b32_e32 v3, s9, v6
	v_and_b32_e32 v27, 7, v0
	v_cmp_gt_i32_e64 s[0:1], s10, v3
	v_lshlrev_b32_e32 v3, 4, v6
	v_lshl_or_b32 v29, v28, 9, v3
	v_lshlrev_b32_e32 v3, 4, v27
	v_add_u32_e32 v2, s30, v4
	v_lshl_or_b32 v3, v4, 7, v3
	s_waitcnt lgkmcnt(0)
	v_mad_i64_i32 v[4:5], s[2:3], v28, s6, 0
	s_mul_i32 s2, s25, s8
	s_mul_hi_u32 s3, s24, s8
	v_lshlrev_b64 v[4:5], 4, v[4:5]
	s_add_i32 s3, s3, s2
	s_mul_i32 s2, s24, s8
	v_mov_b32_e32 v7, 0x1000
	s_lshl_b64 s[2:3], s[2:3], 4
	v_lshl_add_u32 v32, v1, 7, v7
	v_mov_b32_e32 v7, s3
	v_add_co_u32_e64 v8, s[2:3], s2, v4
	v_add_u32_e32 v4, s9, v6
	v_addc_co_u32_e64 v7, s[2:3], v5, v7, s[2:3]
	v_ashrrev_i32_e32 v5, 31, v4
	v_lshlrev_b64 v[4:5], 4, v[4:5]
	v_mov_b32_e32 v6, s29
	v_add_co_u32_e64 v4, s[2:3], v8, v4
	v_addc_co_u32_e64 v5, s[2:3], v7, v5, s[2:3]
	v_add_co_u32_e64 v7, s[2:3], s28, v4
	v_addc_co_u32_e64 v8, s[2:3], v6, v5, s[2:3]
	v_mad_i64_i32 v[4:5], s[2:3], s34, v27, 0
	s_mul_i32 s13, s13, s8
	s_mul_hi_u32 s24, s12, s8
	s_add_i32 s3, s24, s13
	s_mul_i32 s2, s12, s8
	v_lshlrev_b64 v[4:5], 4, v[4:5]
	v_add_u32_e32 v30, 0x1000, v3
	v_ashrrev_i32_e32 v3, 31, v2
	s_lshl_b64 s[2:3], s[2:3], 4
	v_cmp_gt_i32_e32 vcc, s10, v2
	v_mov_b32_e32 v6, s3
	v_add_co_u32_e64 v4, s[2:3], s2, v4
	v_lshlrev_b64 v[2:3], 4, v[2:3]
	v_addc_co_u32_e64 v5, s[2:3], v6, v5, s[2:3]
	v_add_co_u32_e64 v2, s[2:3], v4, v2
	v_addc_co_u32_e64 v3, s[2:3], v5, v3, s[2:3]
	v_mov_b32_e32 v4, s27
	v_add_co_u32_e64 v2, s[2:3], s26, v2
	v_addc_co_u32_e64 v3, s[2:3], v4, v3, s[2:3]
	v_add_co_u32_e64 v9, s[2:3], 8, v2
	s_ashr_i32 s7, s6, 31
	s_ashr_i32 s35, s34, 31
	v_addc_co_u32_e64 v10, s[2:3], 0, v3, s[2:3]
	s_lshl_b64 s[6:7], s[6:7], 7
	s_lshl_b64 s[2:3], s[34:35], 7
	v_mov_b32_e32 v23, 0
	v_mov_b32_e32 v25, 0
	;; [unrolled: 1-line block ×8, first 2 shown]
	v_lshlrev_b32_e32 v31, 4, v0
	v_mov_b32_e32 v24, 0
	s_xor_b64 s[12:13], s[0:1], -1
	v_mov_b32_e32 v33, s7
	v_mov_b32_e32 v34, s3
	;; [unrolled: 1-line block ×10, first 2 shown]
	s_branch .LBB458_3
.LBB458_2:                              ;   in Loop: Header=BB458_3 Depth=1
	s_or_b64 exec, exec, s[0:1]
	ds_write_b128 v30, v[3:6]
	s_waitcnt lgkmcnt(0)
	s_barrier
	ds_read_b128 v[3:6], v32
	ds_read_b128 v[35:38], v32 offset:16
	ds_read_b128 v[39:42], v32 offset:32
	ds_read_b128 v[43:46], v32 offset:48
	ds_read_b128 v[47:50], v31
	v_add_co_u32_e64 v7, s[0:1], s6, v7
	v_addc_co_u32_e64 v8, s[0:1], v8, v33, s[0:1]
	s_waitcnt lgkmcnt(0)
	v_mul_f64 v[51:52], v[5:6], v[49:50]
	v_mul_f64 v[53:54], v[3:4], v[49:50]
	s_add_i32 s31, s31, 8
	v_add_co_u32_e64 v9, s[0:1], s2, v9
	v_addc_co_u32_e64 v10, s[0:1], v10, v34, s[0:1]
	s_cmp_ge_i32 s31, s11
	v_fma_f64 v[51:52], v[3:4], v[47:48], -v[51:52]
	v_fma_f64 v[53:54], v[5:6], v[47:48], v[53:54]
	v_add_f64 v[51:52], v[19:20], v[51:52]
	v_add_f64 v[53:54], v[53:54], v[21:22]
	ds_read_b128 v[19:22], v31 offset:256
	s_waitcnt lgkmcnt(0)
	v_mul_f64 v[55:56], v[5:6], v[21:22]
	v_fma_f64 v[55:56], v[3:4], v[19:20], -v[55:56]
	v_mul_f64 v[3:4], v[3:4], v[21:22]
	v_add_f64 v[55:56], v[11:12], v[55:56]
	v_fma_f64 v[3:4], v[5:6], v[19:20], v[3:4]
	v_add_f64 v[57:58], v[3:4], v[13:14]
	ds_read_b128 v[3:6], v32 offset:2048
	s_waitcnt lgkmcnt(0)
	v_mul_f64 v[11:12], v[5:6], v[49:50]
	v_mul_f64 v[13:14], v[3:4], v[49:50]
	v_fma_f64 v[11:12], v[3:4], v[47:48], -v[11:12]
	v_fma_f64 v[13:14], v[5:6], v[47:48], v[13:14]
	v_add_f64 v[47:48], v[15:16], v[11:12]
	v_mul_f64 v[11:12], v[5:6], v[21:22]
	v_add_f64 v[49:50], v[13:14], v[17:18]
	v_fma_f64 v[11:12], v[3:4], v[19:20], -v[11:12]
	v_mul_f64 v[3:4], v[3:4], v[21:22]
	v_fma_f64 v[3:4], v[5:6], v[19:20], v[3:4]
	v_add_f64 v[19:20], v[25:26], v[11:12]
	v_add_f64 v[21:22], v[3:4], v[23:24]
	ds_read_b128 v[3:6], v31 offset:512
	s_waitcnt lgkmcnt(0)
	v_mul_f64 v[11:12], v[37:38], v[5:6]
	v_mul_f64 v[13:14], v[35:36], v[5:6]
	v_fma_f64 v[11:12], v[35:36], v[3:4], -v[11:12]
	v_fma_f64 v[13:14], v[37:38], v[3:4], v[13:14]
	v_add_f64 v[23:24], v[51:52], v[11:12]
	v_add_f64 v[25:26], v[13:14], v[53:54]
	ds_read_b128 v[11:14], v31 offset:768
	s_waitcnt lgkmcnt(0)
	v_mul_f64 v[15:16], v[37:38], v[13:14]
	v_mul_f64 v[17:18], v[35:36], v[13:14]
	v_fma_f64 v[15:16], v[35:36], v[11:12], -v[15:16]
	;; [unrolled: 8-line block ×3, first 2 shown]
	v_fma_f64 v[3:4], v[17:18], v[3:4], v[5:6]
	v_mul_f64 v[5:6], v[15:16], v[13:14]
	v_add_f64 v[47:48], v[47:48], v[51:52]
	v_add_f64 v[49:50], v[3:4], v[49:50]
	v_mul_f64 v[3:4], v[17:18], v[13:14]
	v_fma_f64 v[5:6], v[17:18], v[11:12], v[5:6]
	v_fma_f64 v[3:4], v[15:16], v[11:12], -v[3:4]
	v_add_f64 v[21:22], v[5:6], v[21:22]
	v_add_f64 v[19:20], v[19:20], v[3:4]
	ds_read_b128 v[3:6], v31 offset:1024
	s_waitcnt lgkmcnt(0)
	v_mul_f64 v[11:12], v[41:42], v[5:6]
	v_mul_f64 v[13:14], v[39:40], v[5:6]
	v_fma_f64 v[11:12], v[39:40], v[3:4], -v[11:12]
	v_fma_f64 v[13:14], v[41:42], v[3:4], v[13:14]
	v_add_f64 v[23:24], v[23:24], v[11:12]
	v_add_f64 v[25:26], v[13:14], v[25:26]
	ds_read_b128 v[11:14], v31 offset:1280
	s_waitcnt lgkmcnt(0)
	v_mul_f64 v[15:16], v[41:42], v[13:14]
	v_mul_f64 v[17:18], v[39:40], v[13:14]
	v_fma_f64 v[15:16], v[39:40], v[11:12], -v[15:16]
	v_fma_f64 v[17:18], v[41:42], v[11:12], v[17:18]
	;; [unrolled: 8-line block ×3, first 2 shown]
	v_mul_f64 v[5:6], v[15:16], v[13:14]
	v_add_f64 v[39:40], v[47:48], v[39:40]
	v_add_f64 v[41:42], v[3:4], v[49:50]
	v_mul_f64 v[3:4], v[17:18], v[13:14]
	v_fma_f64 v[5:6], v[17:18], v[11:12], v[5:6]
	v_fma_f64 v[3:4], v[15:16], v[11:12], -v[3:4]
	v_add_f64 v[21:22], v[5:6], v[21:22]
	v_add_f64 v[19:20], v[19:20], v[3:4]
	ds_read_b128 v[3:6], v31 offset:1536
	s_waitcnt lgkmcnt(0)
	v_mul_f64 v[11:12], v[45:46], v[5:6]
	v_mul_f64 v[13:14], v[43:44], v[5:6]
	v_fma_f64 v[11:12], v[43:44], v[3:4], -v[11:12]
	v_fma_f64 v[13:14], v[45:46], v[3:4], v[13:14]
	v_add_f64 v[23:24], v[23:24], v[11:12]
	v_add_f64 v[25:26], v[13:14], v[25:26]
	ds_read_b128 v[11:14], v31 offset:1792
	s_waitcnt lgkmcnt(0)
	v_mul_f64 v[15:16], v[45:46], v[13:14]
	v_mul_f64 v[17:18], v[43:44], v[13:14]
	v_fma_f64 v[15:16], v[43:44], v[11:12], -v[15:16]
	v_fma_f64 v[17:18], v[45:46], v[11:12], v[17:18]
	;; [unrolled: 8-line block ×3, first 2 shown]
	v_mul_f64 v[5:6], v[15:16], v[13:14]
	v_add_f64 v[39:40], v[39:40], v[43:44]
	v_add_f64 v[41:42], v[3:4], v[41:42]
	v_mul_f64 v[3:4], v[17:18], v[13:14]
	v_fma_f64 v[5:6], v[17:18], v[11:12], v[5:6]
	v_fma_f64 v[3:4], v[15:16], v[11:12], -v[3:4]
	v_add_f64 v[21:22], v[5:6], v[21:22]
	v_add_f64 v[19:20], v[19:20], v[3:4]
	ds_read_b128 v[3:6], v32 offset:64
	ds_read_b128 v[11:14], v31 offset:2048
	s_waitcnt lgkmcnt(0)
	v_mul_f64 v[15:16], v[5:6], v[13:14]
	v_mul_f64 v[17:18], v[3:4], v[13:14]
	v_fma_f64 v[15:16], v[3:4], v[11:12], -v[15:16]
	v_fma_f64 v[17:18], v[5:6], v[11:12], v[17:18]
	v_add_f64 v[23:24], v[23:24], v[15:16]
	v_add_f64 v[25:26], v[17:18], v[25:26]
	ds_read_b128 v[15:18], v31 offset:2304
	s_waitcnt lgkmcnt(0)
	v_mul_f64 v[43:44], v[5:6], v[17:18]
	v_fma_f64 v[43:44], v[3:4], v[15:16], -v[43:44]
	v_mul_f64 v[3:4], v[3:4], v[17:18]
	v_add_f64 v[35:36], v[35:36], v[43:44]
	v_fma_f64 v[3:4], v[5:6], v[15:16], v[3:4]
	v_add_f64 v[37:38], v[3:4], v[37:38]
	ds_read_b128 v[3:6], v32 offset:2112
	s_waitcnt lgkmcnt(0)
	v_mul_f64 v[43:44], v[5:6], v[13:14]
	v_mul_f64 v[13:14], v[3:4], v[13:14]
	v_fma_f64 v[43:44], v[3:4], v[11:12], -v[43:44]
	v_fma_f64 v[11:12], v[5:6], v[11:12], v[13:14]
	v_add_f64 v[39:40], v[39:40], v[43:44]
	v_add_f64 v[41:42], v[11:12], v[41:42]
	v_mul_f64 v[11:12], v[5:6], v[17:18]
	v_fma_f64 v[11:12], v[3:4], v[15:16], -v[11:12]
	v_mul_f64 v[3:4], v[3:4], v[17:18]
	v_add_f64 v[19:20], v[19:20], v[11:12]
	v_fma_f64 v[3:4], v[5:6], v[15:16], v[3:4]
	v_add_f64 v[21:22], v[3:4], v[21:22]
	ds_read_b128 v[3:6], v32 offset:80
	ds_read_b128 v[11:14], v31 offset:2560
	s_waitcnt lgkmcnt(0)
	v_mul_f64 v[15:16], v[5:6], v[13:14]
	v_mul_f64 v[17:18], v[3:4], v[13:14]
	v_fma_f64 v[15:16], v[3:4], v[11:12], -v[15:16]
	v_fma_f64 v[17:18], v[5:6], v[11:12], v[17:18]
	v_add_f64 v[23:24], v[23:24], v[15:16]
	v_add_f64 v[25:26], v[17:18], v[25:26]
	ds_read_b128 v[15:18], v31 offset:2816
	s_waitcnt lgkmcnt(0)
	v_mul_f64 v[43:44], v[5:6], v[17:18]
	v_fma_f64 v[43:44], v[3:4], v[15:16], -v[43:44]
	v_mul_f64 v[3:4], v[3:4], v[17:18]
	v_add_f64 v[35:36], v[35:36], v[43:44]
	v_fma_f64 v[3:4], v[5:6], v[15:16], v[3:4]
	v_add_f64 v[37:38], v[3:4], v[37:38]
	ds_read_b128 v[3:6], v32 offset:2128
	s_waitcnt lgkmcnt(0)
	v_mul_f64 v[43:44], v[5:6], v[13:14]
	v_mul_f64 v[13:14], v[3:4], v[13:14]
	v_fma_f64 v[43:44], v[3:4], v[11:12], -v[43:44]
	v_fma_f64 v[11:12], v[5:6], v[11:12], v[13:14]
	v_add_f64 v[39:40], v[39:40], v[43:44]
	v_add_f64 v[41:42], v[11:12], v[41:42]
	v_mul_f64 v[11:12], v[5:6], v[17:18]
	v_fma_f64 v[11:12], v[3:4], v[15:16], -v[11:12]
	v_mul_f64 v[3:4], v[3:4], v[17:18]
	v_add_f64 v[19:20], v[19:20], v[11:12]
	v_fma_f64 v[3:4], v[5:6], v[15:16], v[3:4]
	;; [unrolled: 31-line block ×3, first 2 shown]
	v_add_f64 v[45:46], v[3:4], v[21:22]
	ds_read_b128 v[3:6], v32 offset:112
	ds_read_b128 v[15:18], v31 offset:3584
	s_waitcnt lgkmcnt(0)
	v_mul_f64 v[11:12], v[5:6], v[17:18]
	v_mul_f64 v[13:14], v[3:4], v[17:18]
	v_fma_f64 v[11:12], v[3:4], v[15:16], -v[11:12]
	v_fma_f64 v[13:14], v[5:6], v[15:16], v[13:14]
	v_add_f64 v[19:20], v[23:24], v[11:12]
	v_add_f64 v[21:22], v[13:14], v[25:26]
	ds_read_b128 v[23:26], v31 offset:3840
	s_waitcnt lgkmcnt(0)
	v_mul_f64 v[11:12], v[5:6], v[25:26]
	v_fma_f64 v[11:12], v[3:4], v[23:24], -v[11:12]
	v_mul_f64 v[3:4], v[3:4], v[25:26]
	v_add_f64 v[11:12], v[35:36], v[11:12]
	v_fma_f64 v[3:4], v[5:6], v[23:24], v[3:4]
	v_add_f64 v[13:14], v[3:4], v[37:38]
	ds_read_b128 v[3:6], v32 offset:2160
	s_waitcnt lgkmcnt(0)
	s_barrier
	v_mul_f64 v[35:36], v[5:6], v[17:18]
	v_mul_f64 v[17:18], v[3:4], v[17:18]
	v_fma_f64 v[35:36], v[3:4], v[15:16], -v[35:36]
	v_fma_f64 v[17:18], v[5:6], v[15:16], v[17:18]
	v_add_f64 v[15:16], v[39:40], v[35:36]
	v_mul_f64 v[35:36], v[5:6], v[25:26]
	v_add_f64 v[17:18], v[17:18], v[41:42]
	v_fma_f64 v[35:36], v[3:4], v[23:24], -v[35:36]
	v_mul_f64 v[3:4], v[3:4], v[25:26]
	v_add_f64 v[25:26], v[43:44], v[35:36]
	v_fma_f64 v[3:4], v[5:6], v[23:24], v[3:4]
	v_add_f64 v[23:24], v[3:4], v[45:46]
	s_cbranch_scc1 .LBB458_10
.LBB458_3:                              ; =>This Inner Loop Header: Depth=1
	v_add_u32_e32 v3, s31, v28
	v_cmp_le_i32_e64 s[0:1], s11, v3
	s_or_b64 s[0:1], s[12:13], s[0:1]
	s_and_saveexec_b64 s[24:25], s[0:1]
	s_xor_b64 s[0:1], exec, s[24:25]
; %bb.4:                                ;   in Loop: Header=BB458_3 Depth=1
	v_mov_b32_e32 v3, v2
	v_mov_b32_e32 v4, v2
	;; [unrolled: 1-line block ×3, first 2 shown]
	ds_write_b128 v29, v[2:5]
; %bb.5:                                ;   in Loop: Header=BB458_3 Depth=1
	s_andn2_saveexec_b64 s[0:1], s[0:1]
	s_cbranch_execz .LBB458_7
; %bb.6:                                ;   in Loop: Header=BB458_3 Depth=1
	global_load_dwordx4 v[3:6], v[7:8], off
	s_waitcnt vmcnt(0)
	ds_write2_b64 v29, v[3:4], v[5:6] offset1:1
.LBB458_7:                              ;   in Loop: Header=BB458_3 Depth=1
	s_or_b64 exec, exec, s[0:1]
	v_add_u32_e32 v3, s31, v27
	v_cmp_gt_i32_e64 s[0:1], s11, v3
	v_mov_b32_e32 v3, 0
	v_mov_b32_e32 v5, 0
	;; [unrolled: 1-line block ×4, first 2 shown]
	s_and_b64 s[24:25], s[0:1], vcc
	s_and_saveexec_b64 s[0:1], s[24:25]
	s_cbranch_execz .LBB458_2
; %bb.8:                                ;   in Loop: Header=BB458_3 Depth=1
	global_load_dwordx4 v[3:6], v[9:10], off offset:-8
	s_waitcnt vmcnt(0)
	v_xor_b32_e32 v6, 0x80000000, v6
	s_branch .LBB458_2
.LBB458_9:
	v_mov_b32_e32 v19, 0
	v_mov_b32_e32 v21, 0
	v_mov_b32_e32 v11, 0
	v_mov_b32_e32 v13, 0
	v_mov_b32_e32 v15, 0
	v_mov_b32_e32 v17, 0
	v_mov_b32_e32 v25, 0
	v_mov_b32_e32 v23, 0
	v_mov_b32_e32 v20, 0
	v_mov_b32_e32 v22, 0
	v_mov_b32_e32 v12, 0
	v_mov_b32_e32 v14, 0
	v_mov_b32_e32 v16, 0
	v_mov_b32_e32 v18, 0
	v_mov_b32_e32 v26, 0
	v_mov_b32_e32 v24, 0
.LBB458_10:
	s_load_dwordx2 s[0:1], s[4:5], 0x68
	s_load_dword s6, s[4:5], 0x60
	v_add_u32_e32 v4, s30, v1
	v_add_u32_e32 v0, s9, v0
	v_cmp_gt_i32_e32 vcc, s10, v4
	s_waitcnt lgkmcnt(0)
	s_mul_i32 s1, s1, s8
	s_mul_hi_u32 s2, s0, s8
	s_add_i32 s1, s2, s1
	v_mad_i64_i32 v[1:2], s[2:3], v4, s6, 0
	s_mul_i32 s0, s0, s8
	s_lshl_b64 s[0:1], s[0:1], 4
	s_add_u32 s4, s18, s0
	v_lshlrev_b64 v[1:2], 4, v[1:2]
	s_addc_u32 s5, s19, s1
	v_mov_b32_e32 v3, s5
	v_add_co_u32_e64 v5, s[0:1], s4, v1
	v_addc_co_u32_e64 v6, s[0:1], v3, v2, s[0:1]
	v_cmp_le_i32_e64 s[0:1], v0, v4
	s_and_b64 s[0:1], vcc, s[0:1]
	s_and_saveexec_b64 s[2:3], s[0:1]
	s_cbranch_execz .LBB458_12
; %bb.11:
	v_ashrrev_i32_e32 v1, 31, v0
	v_lshlrev_b64 v[1:2], 4, v[0:1]
	v_mul_f64 v[27:28], s[20:21], v[21:22]
	v_add_co_u32_e64 v1, s[0:1], v5, v1
	v_addc_co_u32_e64 v2, s[0:1], v6, v2, s[0:1]
	global_load_dwordx4 v[7:10], v[1:2], off
	v_mul_f64 v[21:22], s[22:23], v[21:22]
	v_cmp_ne_u32_e64 s[0:1], v4, v0
	v_fma_f64 v[27:28], s[22:23], v[19:20], v[27:28]
	v_fma_f64 v[19:20], s[20:21], v[19:20], -v[21:22]
	s_waitcnt vmcnt(0)
	v_mul_f64 v[29:30], s[14:15], v[9:10]
	v_mul_f64 v[9:10], s[16:17], v[9:10]
	v_fma_f64 v[29:30], s[16:17], v[7:8], v[29:30]
	v_fma_f64 v[7:8], s[14:15], v[7:8], -v[9:10]
	v_add_f64 v[9:10], v[27:28], v[29:30]
	v_add_f64 v[7:8], v[19:20], v[7:8]
	v_cndmask_b32_e64 v10, 0, v10, s[0:1]
	v_cndmask_b32_e64 v9, 0, v9, s[0:1]
	global_store_dwordx4 v[1:2], v[7:10], off
.LBB458_12:
	s_or_b64 exec, exec, s[2:3]
	v_add_u32_e32 v2, 16, v0
	v_cmp_le_i32_e64 s[0:1], v2, v4
	s_and_b64 s[2:3], vcc, s[0:1]
	s_and_saveexec_b64 s[0:1], s[2:3]
	s_cbranch_execz .LBB458_14
; %bb.13:
	v_ashrrev_i32_e32 v3, 31, v2
	v_lshlrev_b64 v[7:8], 4, v[2:3]
	v_mul_f64 v[19:20], s[20:21], v[13:14]
	v_add_co_u32_e32 v9, vcc, v5, v7
	v_addc_co_u32_e32 v10, vcc, v6, v8, vcc
	global_load_dwordx4 v[5:8], v[9:10], off
	v_mul_f64 v[13:14], s[22:23], v[13:14]
	v_cmp_ne_u32_e32 vcc, v4, v2
	v_fma_f64 v[19:20], s[22:23], v[11:12], v[19:20]
	v_fma_f64 v[11:12], s[20:21], v[11:12], -v[13:14]
	s_waitcnt vmcnt(0)
	v_mul_f64 v[21:22], s[14:15], v[7:8]
	v_mul_f64 v[7:8], s[16:17], v[7:8]
	v_fma_f64 v[21:22], s[16:17], v[5:6], v[21:22]
	v_fma_f64 v[5:6], s[14:15], v[5:6], -v[7:8]
	v_add_f64 v[7:8], v[19:20], v[21:22]
	v_add_f64 v[5:6], v[11:12], v[5:6]
	v_cndmask_b32_e32 v8, 0, v8, vcc
	v_cndmask_b32_e32 v7, 0, v7, vcc
	global_store_dwordx4 v[9:10], v[5:8], off
.LBB458_14:
	s_or_b64 exec, exec, s[0:1]
	v_add_u32_e32 v3, 16, v4
	v_mad_i64_i32 v[5:6], s[0:1], v3, s6, 0
	v_mov_b32_e32 v1, s5
	v_cmp_gt_i32_e32 vcc, s10, v3
	v_lshlrev_b64 v[5:6], 4, v[5:6]
	v_add_co_u32_e64 v5, s[0:1], s4, v5
	v_addc_co_u32_e64 v6, s[0:1], v1, v6, s[0:1]
	v_cmp_le_i32_e64 s[0:1], v0, v3
	s_and_b64 s[0:1], vcc, s[0:1]
	s_and_saveexec_b64 s[2:3], s[0:1]
	s_cbranch_execz .LBB458_16
; %bb.15:
	v_ashrrev_i32_e32 v1, 31, v0
	v_lshlrev_b64 v[7:8], 4, v[0:1]
	v_mul_f64 v[13:14], s[20:21], v[17:18]
	v_add_co_u32_e64 v11, s[0:1], v5, v7
	v_addc_co_u32_e64 v12, s[0:1], v6, v8, s[0:1]
	global_load_dwordx4 v[7:10], v[11:12], off
	v_mul_f64 v[17:18], s[22:23], v[17:18]
	v_cmp_ne_u32_e64 s[0:1], v3, v0
	v_fma_f64 v[13:14], s[22:23], v[15:16], v[13:14]
	v_fma_f64 v[15:16], s[20:21], v[15:16], -v[17:18]
	s_waitcnt vmcnt(0)
	v_mul_f64 v[19:20], s[14:15], v[9:10]
	v_mul_f64 v[9:10], s[16:17], v[9:10]
	v_fma_f64 v[19:20], s[16:17], v[7:8], v[19:20]
	v_fma_f64 v[7:8], s[14:15], v[7:8], -v[9:10]
	v_add_f64 v[9:10], v[13:14], v[19:20]
	v_add_f64 v[7:8], v[15:16], v[7:8]
	v_cndmask_b32_e64 v10, 0, v10, s[0:1]
	v_cndmask_b32_e64 v9, 0, v9, s[0:1]
	global_store_dwordx4 v[11:12], v[7:10], off
.LBB458_16:
	s_or_b64 exec, exec, s[2:3]
	v_cmp_le_i32_e64 s[0:1], v2, v3
	s_and_b64 s[0:1], vcc, s[0:1]
	s_and_saveexec_b64 s[2:3], s[0:1]
	s_cbranch_execz .LBB458_18
; %bb.17:
	v_ashrrev_i32_e32 v3, 31, v2
	v_lshlrev_b64 v[1:2], 4, v[2:3]
	v_mul_f64 v[13:14], s[22:23], v[23:24]
	v_add_co_u32_e32 v9, vcc, v5, v1
	v_addc_co_u32_e32 v10, vcc, v6, v2, vcc
	global_load_dwordx4 v[5:8], v[9:10], off
	v_mul_f64 v[1:2], s[20:21], v[23:24]
	v_cmp_ne_u32_e32 vcc, v4, v0
	v_fma_f64 v[13:14], s[20:21], v[25:26], -v[13:14]
	v_fma_f64 v[1:2], s[22:23], v[25:26], v[1:2]
	s_waitcnt vmcnt(0)
	v_mul_f64 v[11:12], s[14:15], v[7:8]
	v_mul_f64 v[7:8], s[16:17], v[7:8]
	v_fma_f64 v[11:12], s[16:17], v[5:6], v[11:12]
	v_fma_f64 v[5:6], s[14:15], v[5:6], -v[7:8]
	v_add_f64 v[7:8], v[1:2], v[11:12]
	v_add_f64 v[1:2], v[13:14], v[5:6]
	v_cndmask_b32_e32 v4, 0, v8, vcc
	v_cndmask_b32_e32 v3, 0, v7, vcc
	global_store_dwordx4 v[9:10], v[1:4], off
.LBB458_18:
	s_endpgm
	.section	.rodata,"a",@progbits
	.p2align	6, 0x0
	.amdhsa_kernel _ZL34rocblas_syrkx_herkx_general_kernelIi19rocblas_complex_numIdELi16ELi32ELi8ELb0ELb1ELc78ELc85EKS1_S1_EviT_T0_PT8_S3_lS6_S3_lS4_PT9_S3_li
		.amdhsa_group_segment_fixed_size 8192
		.amdhsa_private_segment_fixed_size 0
		.amdhsa_kernarg_size 116
		.amdhsa_user_sgpr_count 6
		.amdhsa_user_sgpr_private_segment_buffer 1
		.amdhsa_user_sgpr_dispatch_ptr 0
		.amdhsa_user_sgpr_queue_ptr 0
		.amdhsa_user_sgpr_kernarg_segment_ptr 1
		.amdhsa_user_sgpr_dispatch_id 0
		.amdhsa_user_sgpr_flat_scratch_init 0
		.amdhsa_user_sgpr_private_segment_size 0
		.amdhsa_uses_dynamic_stack 0
		.amdhsa_system_sgpr_private_segment_wavefront_offset 0
		.amdhsa_system_sgpr_workgroup_id_x 1
		.amdhsa_system_sgpr_workgroup_id_y 1
		.amdhsa_system_sgpr_workgroup_id_z 1
		.amdhsa_system_sgpr_workgroup_info 0
		.amdhsa_system_vgpr_workitem_id 1
		.amdhsa_next_free_vgpr 59
		.amdhsa_next_free_sgpr 61
		.amdhsa_reserve_vcc 1
		.amdhsa_reserve_flat_scratch 0
		.amdhsa_float_round_mode_32 0
		.amdhsa_float_round_mode_16_64 0
		.amdhsa_float_denorm_mode_32 3
		.amdhsa_float_denorm_mode_16_64 3
		.amdhsa_dx10_clamp 1
		.amdhsa_ieee_mode 1
		.amdhsa_fp16_overflow 0
		.amdhsa_exception_fp_ieee_invalid_op 0
		.amdhsa_exception_fp_denorm_src 0
		.amdhsa_exception_fp_ieee_div_zero 0
		.amdhsa_exception_fp_ieee_overflow 0
		.amdhsa_exception_fp_ieee_underflow 0
		.amdhsa_exception_fp_ieee_inexact 0
		.amdhsa_exception_int_div_zero 0
	.end_amdhsa_kernel
	.section	.text._ZL34rocblas_syrkx_herkx_general_kernelIi19rocblas_complex_numIdELi16ELi32ELi8ELb0ELb1ELc78ELc85EKS1_S1_EviT_T0_PT8_S3_lS6_S3_lS4_PT9_S3_li,"axG",@progbits,_ZL34rocblas_syrkx_herkx_general_kernelIi19rocblas_complex_numIdELi16ELi32ELi8ELb0ELb1ELc78ELc85EKS1_S1_EviT_T0_PT8_S3_lS6_S3_lS4_PT9_S3_li,comdat
.Lfunc_end458:
	.size	_ZL34rocblas_syrkx_herkx_general_kernelIi19rocblas_complex_numIdELi16ELi32ELi8ELb0ELb1ELc78ELc85EKS1_S1_EviT_T0_PT8_S3_lS6_S3_lS4_PT9_S3_li, .Lfunc_end458-_ZL34rocblas_syrkx_herkx_general_kernelIi19rocblas_complex_numIdELi16ELi32ELi8ELb0ELb1ELc78ELc85EKS1_S1_EviT_T0_PT8_S3_lS6_S3_lS4_PT9_S3_li
                                        ; -- End function
	.set _ZL34rocblas_syrkx_herkx_general_kernelIi19rocblas_complex_numIdELi16ELi32ELi8ELb0ELb1ELc78ELc85EKS1_S1_EviT_T0_PT8_S3_lS6_S3_lS4_PT9_S3_li.num_vgpr, 59
	.set _ZL34rocblas_syrkx_herkx_general_kernelIi19rocblas_complex_numIdELi16ELi32ELi8ELb0ELb1ELc78ELc85EKS1_S1_EviT_T0_PT8_S3_lS6_S3_lS4_PT9_S3_li.num_agpr, 0
	.set _ZL34rocblas_syrkx_herkx_general_kernelIi19rocblas_complex_numIdELi16ELi32ELi8ELb0ELb1ELc78ELc85EKS1_S1_EviT_T0_PT8_S3_lS6_S3_lS4_PT9_S3_li.numbered_sgpr, 36
	.set _ZL34rocblas_syrkx_herkx_general_kernelIi19rocblas_complex_numIdELi16ELi32ELi8ELb0ELb1ELc78ELc85EKS1_S1_EviT_T0_PT8_S3_lS6_S3_lS4_PT9_S3_li.num_named_barrier, 0
	.set _ZL34rocblas_syrkx_herkx_general_kernelIi19rocblas_complex_numIdELi16ELi32ELi8ELb0ELb1ELc78ELc85EKS1_S1_EviT_T0_PT8_S3_lS6_S3_lS4_PT9_S3_li.private_seg_size, 0
	.set _ZL34rocblas_syrkx_herkx_general_kernelIi19rocblas_complex_numIdELi16ELi32ELi8ELb0ELb1ELc78ELc85EKS1_S1_EviT_T0_PT8_S3_lS6_S3_lS4_PT9_S3_li.uses_vcc, 1
	.set _ZL34rocblas_syrkx_herkx_general_kernelIi19rocblas_complex_numIdELi16ELi32ELi8ELb0ELb1ELc78ELc85EKS1_S1_EviT_T0_PT8_S3_lS6_S3_lS4_PT9_S3_li.uses_flat_scratch, 0
	.set _ZL34rocblas_syrkx_herkx_general_kernelIi19rocblas_complex_numIdELi16ELi32ELi8ELb0ELb1ELc78ELc85EKS1_S1_EviT_T0_PT8_S3_lS6_S3_lS4_PT9_S3_li.has_dyn_sized_stack, 0
	.set _ZL34rocblas_syrkx_herkx_general_kernelIi19rocblas_complex_numIdELi16ELi32ELi8ELb0ELb1ELc78ELc85EKS1_S1_EviT_T0_PT8_S3_lS6_S3_lS4_PT9_S3_li.has_recursion, 0
	.set _ZL34rocblas_syrkx_herkx_general_kernelIi19rocblas_complex_numIdELi16ELi32ELi8ELb0ELb1ELc78ELc85EKS1_S1_EviT_T0_PT8_S3_lS6_S3_lS4_PT9_S3_li.has_indirect_call, 0
	.section	.AMDGPU.csdata,"",@progbits
; Kernel info:
; codeLenInByte = 3476
; TotalNumSgprs: 40
; NumVgprs: 59
; ScratchSize: 0
; MemoryBound: 1
; FloatMode: 240
; IeeeMode: 1
; LDSByteSize: 8192 bytes/workgroup (compile time only)
; SGPRBlocks: 8
; VGPRBlocks: 14
; NumSGPRsForWavesPerEU: 65
; NumVGPRsForWavesPerEU: 59
; Occupancy: 4
; WaveLimiterHint : 0
; COMPUTE_PGM_RSRC2:SCRATCH_EN: 0
; COMPUTE_PGM_RSRC2:USER_SGPR: 6
; COMPUTE_PGM_RSRC2:TRAP_HANDLER: 0
; COMPUTE_PGM_RSRC2:TGID_X_EN: 1
; COMPUTE_PGM_RSRC2:TGID_Y_EN: 1
; COMPUTE_PGM_RSRC2:TGID_Z_EN: 1
; COMPUTE_PGM_RSRC2:TIDIG_COMP_CNT: 1
	.section	.text._ZL26rocblas_syr2k_scale_kernelIiLi128ELi8ELb1E19rocblas_complex_numIdES1_PS1_EvbiT_T3_T4_T5_S3_li,"axG",@progbits,_ZL26rocblas_syr2k_scale_kernelIiLi128ELi8ELb1E19rocblas_complex_numIdES1_PS1_EvbiT_T3_T4_T5_S3_li,comdat
	.globl	_ZL26rocblas_syr2k_scale_kernelIiLi128ELi8ELb1E19rocblas_complex_numIdES1_PS1_EvbiT_T3_T4_T5_S3_li ; -- Begin function _ZL26rocblas_syr2k_scale_kernelIiLi128ELi8ELb1E19rocblas_complex_numIdES1_PS1_EvbiT_T3_T4_T5_S3_li
	.p2align	8
	.type	_ZL26rocblas_syr2k_scale_kernelIiLi128ELi8ELb1E19rocblas_complex_numIdES1_PS1_EvbiT_T3_T4_T5_S3_li,@function
_ZL26rocblas_syr2k_scale_kernelIiLi128ELi8ELb1E19rocblas_complex_numIdES1_PS1_EvbiT_T3_T4_T5_S3_li: ; @_ZL26rocblas_syr2k_scale_kernelIiLi128ELi8ELb1E19rocblas_complex_numIdES1_PS1_EvbiT_T3_T4_T5_S3_li
; %bb.0:
	s_load_dwordx8 s[12:19], s[4:5], 0x10
	s_load_dwordx4 s[0:3], s[4:5], 0x0
	s_load_dwordx2 s[10:11], s[4:5], 0x30
	s_mov_b64 s[20:21], 0
	s_waitcnt lgkmcnt(0)
	v_cmp_eq_f64_e64 s[22:23], s[16:17], 1.0
	v_cmp_eq_f64_e64 s[24:25], s[18:19], 0
	s_and_b64 s[22:23], s[22:23], s[24:25]
	s_andn2_b64 vcc, exec, s[22:23]
	s_mov_b64 s[22:23], -1
	s_cbranch_vccnz .LBB459_4
; %bb.1:
	s_cmp_lg_u32 s2, 0
	s_cbranch_scc0 .LBB459_3
; %bb.2:
	v_cmp_neq_f64_e64 s[2:3], s[12:13], 0
	v_cmp_neq_f64_e64 s[12:13], s[14:15], 0
	s_or_b64 s[20:21], s[2:3], s[12:13]
.LBB459_3:
	s_mov_b64 s[22:23], s[20:21]
.LBB459_4:
	s_and_b64 vcc, exec, s[22:23]
	s_cbranch_vccz .LBB459_9
; %bb.5:
	s_load_dword s2, s[4:5], 0x5c
	s_bitcmp1_b32 s0, 0
	s_cselect_b64 vcc, -1, 0
	s_waitcnt lgkmcnt(0)
	s_lshr_b32 s0, s2, 16
	s_and_b32 s2, s2, 0xffff
	s_mul_i32 s6, s6, s2
	s_mul_i32 s7, s7, s0
	v_add_u32_e32 v2, s6, v0
	v_add_u32_e32 v8, s7, v1
	v_cndmask_b32_e32 v0, v8, v2, vcc
	v_cndmask_b32_e32 v1, v2, v8, vcc
	v_max_u32_e32 v3, v2, v8
	v_cmp_gt_u32_e32 vcc, s1, v3
	v_cmp_le_i32_e64 s[0:1], v0, v1
	s_and_b64 s[0:1], vcc, s[0:1]
	s_and_saveexec_b64 s[2:3], s[0:1]
	s_cbranch_execz .LBB459_9
; %bb.6:
	s_load_dword s2, s[4:5], 0x38
	s_load_dwordx2 s[0:1], s[4:5], 0x40
	v_mov_b32_e32 v6, 0
	v_mov_b32_e32 v7, 0
	s_waitcnt lgkmcnt(0)
	s_ashr_i32 s4, s2, 31
	v_mad_u64_u32 v[0:1], s[2:3], v8, s2, 0
	s_mul_i32 s1, s1, s8
	s_mul_hi_u32 s2, s0, s8
	s_mul_i32 s0, s0, s8
	s_add_i32 s1, s2, s1
	s_lshl_b64 s[0:1], s[0:1], 4
	v_mad_u64_u32 v[3:4], s[2:3], v8, s4, v[1:2]
	s_add_u32 s4, s10, s0
	s_addc_u32 s5, s11, s1
	v_cmp_neq_f64_e64 s[0:1], s[16:17], 0
	v_cmp_neq_f64_e64 s[2:3], s[18:19], 0
	v_mov_b32_e32 v1, v3
	v_lshlrev_b64 v[0:1], 4, v[0:1]
	v_mov_b32_e32 v3, 0
	v_mov_b32_e32 v4, s5
	v_add_co_u32_e32 v9, vcc, s4, v0
	v_addc_co_u32_e32 v10, vcc, v4, v1, vcc
	v_lshlrev_b64 v[4:5], 4, v[2:3]
	s_or_b64 s[0:1], s[0:1], s[2:3]
	v_mov_b32_e32 v0, 0
	s_andn2_b64 vcc, exec, s[0:1]
	v_add_co_u32_e64 v4, s[0:1], v9, v4
	v_mov_b32_e32 v1, 0
	v_addc_co_u32_e64 v5, s[0:1], v10, v5, s[0:1]
	s_cbranch_vccnz .LBB459_8
; %bb.7:
	global_load_dwordx4 v[9:12], v[4:5], off
	s_waitcnt vmcnt(0)
	v_mul_f64 v[0:1], s[18:19], v[11:12]
	v_mul_f64 v[6:7], s[16:17], v[11:12]
	v_fma_f64 v[0:1], s[16:17], v[9:10], -v[0:1]
	v_fma_f64 v[6:7], s[18:19], v[9:10], v[6:7]
.LBB459_8:
	v_cmp_ne_u32_e32 vcc, v2, v8
	v_cndmask_b32_e32 v3, 0, v7, vcc
	v_cndmask_b32_e32 v2, 0, v6, vcc
	global_store_dwordx4 v[4:5], v[0:3], off
.LBB459_9:
	s_endpgm
	.section	.rodata,"a",@progbits
	.p2align	6, 0x0
	.amdhsa_kernel _ZL26rocblas_syr2k_scale_kernelIiLi128ELi8ELb1E19rocblas_complex_numIdES1_PS1_EvbiT_T3_T4_T5_S3_li
		.amdhsa_group_segment_fixed_size 0
		.amdhsa_private_segment_fixed_size 0
		.amdhsa_kernarg_size 336
		.amdhsa_user_sgpr_count 6
		.amdhsa_user_sgpr_private_segment_buffer 1
		.amdhsa_user_sgpr_dispatch_ptr 0
		.amdhsa_user_sgpr_queue_ptr 0
		.amdhsa_user_sgpr_kernarg_segment_ptr 1
		.amdhsa_user_sgpr_dispatch_id 0
		.amdhsa_user_sgpr_flat_scratch_init 0
		.amdhsa_user_sgpr_private_segment_size 0
		.amdhsa_uses_dynamic_stack 0
		.amdhsa_system_sgpr_private_segment_wavefront_offset 0
		.amdhsa_system_sgpr_workgroup_id_x 1
		.amdhsa_system_sgpr_workgroup_id_y 1
		.amdhsa_system_sgpr_workgroup_id_z 1
		.amdhsa_system_sgpr_workgroup_info 0
		.amdhsa_system_vgpr_workitem_id 1
		.amdhsa_next_free_vgpr 13
		.amdhsa_next_free_sgpr 26
		.amdhsa_reserve_vcc 1
		.amdhsa_reserve_flat_scratch 0
		.amdhsa_float_round_mode_32 0
		.amdhsa_float_round_mode_16_64 0
		.amdhsa_float_denorm_mode_32 3
		.amdhsa_float_denorm_mode_16_64 3
		.amdhsa_dx10_clamp 1
		.amdhsa_ieee_mode 1
		.amdhsa_fp16_overflow 0
		.amdhsa_exception_fp_ieee_invalid_op 0
		.amdhsa_exception_fp_denorm_src 0
		.amdhsa_exception_fp_ieee_div_zero 0
		.amdhsa_exception_fp_ieee_overflow 0
		.amdhsa_exception_fp_ieee_underflow 0
		.amdhsa_exception_fp_ieee_inexact 0
		.amdhsa_exception_int_div_zero 0
	.end_amdhsa_kernel
	.section	.text._ZL26rocblas_syr2k_scale_kernelIiLi128ELi8ELb1E19rocblas_complex_numIdES1_PS1_EvbiT_T3_T4_T5_S3_li,"axG",@progbits,_ZL26rocblas_syr2k_scale_kernelIiLi128ELi8ELb1E19rocblas_complex_numIdES1_PS1_EvbiT_T3_T4_T5_S3_li,comdat
.Lfunc_end459:
	.size	_ZL26rocblas_syr2k_scale_kernelIiLi128ELi8ELb1E19rocblas_complex_numIdES1_PS1_EvbiT_T3_T4_T5_S3_li, .Lfunc_end459-_ZL26rocblas_syr2k_scale_kernelIiLi128ELi8ELb1E19rocblas_complex_numIdES1_PS1_EvbiT_T3_T4_T5_S3_li
                                        ; -- End function
	.set _ZL26rocblas_syr2k_scale_kernelIiLi128ELi8ELb1E19rocblas_complex_numIdES1_PS1_EvbiT_T3_T4_T5_S3_li.num_vgpr, 13
	.set _ZL26rocblas_syr2k_scale_kernelIiLi128ELi8ELb1E19rocblas_complex_numIdES1_PS1_EvbiT_T3_T4_T5_S3_li.num_agpr, 0
	.set _ZL26rocblas_syr2k_scale_kernelIiLi128ELi8ELb1E19rocblas_complex_numIdES1_PS1_EvbiT_T3_T4_T5_S3_li.numbered_sgpr, 26
	.set _ZL26rocblas_syr2k_scale_kernelIiLi128ELi8ELb1E19rocblas_complex_numIdES1_PS1_EvbiT_T3_T4_T5_S3_li.num_named_barrier, 0
	.set _ZL26rocblas_syr2k_scale_kernelIiLi128ELi8ELb1E19rocblas_complex_numIdES1_PS1_EvbiT_T3_T4_T5_S3_li.private_seg_size, 0
	.set _ZL26rocblas_syr2k_scale_kernelIiLi128ELi8ELb1E19rocblas_complex_numIdES1_PS1_EvbiT_T3_T4_T5_S3_li.uses_vcc, 1
	.set _ZL26rocblas_syr2k_scale_kernelIiLi128ELi8ELb1E19rocblas_complex_numIdES1_PS1_EvbiT_T3_T4_T5_S3_li.uses_flat_scratch, 0
	.set _ZL26rocblas_syr2k_scale_kernelIiLi128ELi8ELb1E19rocblas_complex_numIdES1_PS1_EvbiT_T3_T4_T5_S3_li.has_dyn_sized_stack, 0
	.set _ZL26rocblas_syr2k_scale_kernelIiLi128ELi8ELb1E19rocblas_complex_numIdES1_PS1_EvbiT_T3_T4_T5_S3_li.has_recursion, 0
	.set _ZL26rocblas_syr2k_scale_kernelIiLi128ELi8ELb1E19rocblas_complex_numIdES1_PS1_EvbiT_T3_T4_T5_S3_li.has_indirect_call, 0
	.section	.AMDGPU.csdata,"",@progbits
; Kernel info:
; codeLenInByte = 420
; TotalNumSgprs: 30
; NumVgprs: 13
; ScratchSize: 0
; MemoryBound: 0
; FloatMode: 240
; IeeeMode: 1
; LDSByteSize: 0 bytes/workgroup (compile time only)
; SGPRBlocks: 3
; VGPRBlocks: 3
; NumSGPRsForWavesPerEU: 30
; NumVGPRsForWavesPerEU: 13
; Occupancy: 10
; WaveLimiterHint : 0
; COMPUTE_PGM_RSRC2:SCRATCH_EN: 0
; COMPUTE_PGM_RSRC2:USER_SGPR: 6
; COMPUTE_PGM_RSRC2:TRAP_HANDLER: 0
; COMPUTE_PGM_RSRC2:TGID_X_EN: 1
; COMPUTE_PGM_RSRC2:TGID_Y_EN: 1
; COMPUTE_PGM_RSRC2:TGID_Z_EN: 1
; COMPUTE_PGM_RSRC2:TIDIG_COMP_CNT: 1
	.section	.text._ZL26rocblas_syr2k_her2k_kernelIiLb0ELb1ELb0ELi32EPK19rocblas_complex_numIdES3_PS1_EvbiT_T4_T5_S5_lS7_S5_lT6_S5_li,"axG",@progbits,_ZL26rocblas_syr2k_her2k_kernelIiLb0ELb1ELb0ELi32EPK19rocblas_complex_numIdES3_PS1_EvbiT_T4_T5_S5_lS7_S5_lT6_S5_li,comdat
	.globl	_ZL26rocblas_syr2k_her2k_kernelIiLb0ELb1ELb0ELi32EPK19rocblas_complex_numIdES3_PS1_EvbiT_T4_T5_S5_lS7_S5_lT6_S5_li ; -- Begin function _ZL26rocblas_syr2k_her2k_kernelIiLb0ELb1ELb0ELi32EPK19rocblas_complex_numIdES3_PS1_EvbiT_T4_T5_S5_lS7_S5_lT6_S5_li
	.p2align	8
	.type	_ZL26rocblas_syr2k_her2k_kernelIiLb0ELb1ELb0ELi32EPK19rocblas_complex_numIdES3_PS1_EvbiT_T4_T5_S5_lS7_S5_lT6_S5_li,@function
_ZL26rocblas_syr2k_her2k_kernelIiLb0ELb1ELb0ELi32EPK19rocblas_complex_numIdES3_PS1_EvbiT_T4_T5_S5_lS7_S5_lT6_S5_li: ; @_ZL26rocblas_syr2k_her2k_kernelIiLb0ELb1ELb0ELi32EPK19rocblas_complex_numIdES3_PS1_EvbiT_T4_T5_S5_lS7_S5_lT6_S5_li
; %bb.0:
	s_load_dwordx4 s[0:3], s[4:5], 0x10
	s_waitcnt lgkmcnt(0)
	s_load_dwordx4 s[12:15], s[0:1], 0x0
	s_waitcnt lgkmcnt(0)
	v_cmp_eq_f64_e64 s[0:1], s[12:13], 0
	v_cmp_eq_f64_e64 s[10:11], s[14:15], 0
	s_and_b64 s[0:1], s[0:1], s[10:11]
	s_and_b64 vcc, exec, s[0:1]
	s_cbranch_vccnz .LBB460_13
; %bb.1:
	s_load_dwordx4 s[16:19], s[4:5], 0x0
	s_lshl_b32 s7, s7, 5
	s_lshl_b32 s6, s6, 5
	s_waitcnt lgkmcnt(0)
	s_and_b32 s0, 1, s16
	s_cmp_eq_u32 s0, 1
	s_cselect_b64 s[0:1], -1, 0
	s_and_b64 s[10:11], s[0:1], exec
	s_cselect_b32 s9, s6, s7
	s_cselect_b32 s10, s7, s6
	s_cmp_gt_i32 s9, s10
	s_cbranch_scc1 .LBB460_13
; %bb.2:
	s_load_dwordx2 s[10:11], s[4:5], 0x58
	s_load_dwordx4 s[20:23], s[4:5], 0x40
	s_load_dword s9, s[4:5], 0x50
	v_add_u32_e32 v8, s6, v0
	v_add_u32_e32 v10, s7, v1
	s_waitcnt lgkmcnt(0)
	s_mul_i32 s11, s11, s8
	s_mul_hi_u32 s16, s10, s8
	s_mul_i32 s10, s10, s8
	s_add_i32 s11, s16, s11
	s_lshl_b64 s[10:11], s[10:11], 4
	s_add_u32 s10, s22, s10
	s_addc_u32 s11, s23, s11
	s_cmp_lt_i32 s18, 1
	v_cmp_gt_i32_e32 vcc, s17, v8
	v_ashrrev_i32_e32 v9, 31, v8
	s_cbranch_scc1 .LBB460_11
; %bb.3:
	s_load_dwordx4 s[24:27], s[4:5], 0x28
	s_load_dword s19, s[4:5], 0x20
	s_load_dword s22, s[4:5], 0x38
	v_lshlrev_b64 v[2:3], 4, v[8:9]
	v_cndmask_b32_e64 v6, v8, v10, s[0:1]
	v_cndmask_b32_e64 v7, v10, v8, s[0:1]
	s_waitcnt lgkmcnt(0)
	s_mul_i32 s4, s25, s8
	s_mul_hi_u32 s5, s24, s8
	s_add_i32 s5, s5, s4
	s_mul_i32 s4, s24, s8
	s_lshl_b64 s[4:5], s[4:5], 4
	s_add_u32 s4, s2, s4
	s_addc_u32 s5, s3, s5
	s_mul_i32 s2, s21, s8
	s_mul_hi_u32 s3, s20, s8
	s_add_i32 s3, s3, s2
	s_mul_i32 s2, s20, s8
	s_lshl_b64 s[2:3], s[2:3], 4
	v_mov_b32_e32 v4, s5
	v_add_co_u32_e64 v13, s[0:1], s4, v2
	v_ashrrev_i32_e32 v11, 31, v10
	s_add_u32 s2, s26, s2
	v_addc_co_u32_e64 v14, s[0:1], v4, v3, s[0:1]
	v_lshlrev_b64 v[4:5], 4, v[10:11]
	s_addc_u32 s3, s27, s3
	v_mov_b32_e32 v11, s3
	v_add_co_u32_e64 v17, s[2:3], s2, v4
	v_addc_co_u32_e64 v18, s[2:3], v11, v5, s[2:3]
	v_mad_i64_i32 v[4:5], s[2:3], s9, v10, 0
	v_cmp_gt_i32_e64 s[0:1], s17, v10
	v_cmp_le_i32_e64 s[2:3], v7, v6
	v_lshlrev_b64 v[4:5], 4, v[4:5]
	s_and_b64 s[4:5], s[0:1], vcc
	s_and_b64 s[4:5], s[4:5], s[2:3]
	v_mov_b32_e32 v6, s11
	v_add_co_u32_e64 v4, s[2:3], s10, v4
	v_lshlrev_b32_e32 v12, 4, v1
	v_addc_co_u32_e64 v5, s[2:3], v6, v5, s[2:3]
	v_lshlrev_b32_e32 v15, 9, v0
	v_or_b32_e32 v19, 0x4000, v12
	v_add_co_u32_e64 v11, s[2:3], v4, v2
	s_mov_b32 s16, 0
	v_add_u32_e32 v16, v15, v12
	v_add_u32_e32 v20, v19, v15
	v_addc_co_u32_e64 v12, s[2:3], v5, v3, s[2:3]
	s_branch .LBB460_5
.LBB460_4:                              ;   in Loop: Header=BB460_5 Depth=1
	s_or_b64 exec, exec, s[2:3]
	s_add_i32 s16, s16, 32
	s_cmp_ge_i32 s16, s18
	s_waitcnt vmcnt(0)
	s_barrier
	s_cbranch_scc1 .LBB460_11
.LBB460_5:                              ; =>This Inner Loop Header: Depth=1
	v_add_u32_e32 v21, s16, v1
	v_cmp_gt_i32_e64 s[2:3], s18, v21
	v_mov_b32_e32 v2, 0
	v_mov_b32_e32 v4, 0
	;; [unrolled: 1-line block ×6, first 2 shown]
	s_and_b64 s[2:3], vcc, s[2:3]
	s_and_saveexec_b64 s[6:7], s[2:3]
	s_cbranch_execz .LBB460_7
; %bb.6:                                ;   in Loop: Header=BB460_5 Depth=1
	v_mad_i64_i32 v[4:5], s[2:3], v21, s19, 0
	v_lshlrev_b64 v[4:5], 4, v[4:5]
	v_add_co_u32_e64 v4, s[2:3], v13, v4
	v_addc_co_u32_e64 v5, s[2:3], v14, v5, s[2:3]
	global_load_dwordx4 v[4:7], v[4:5], off
.LBB460_7:                              ;   in Loop: Header=BB460_5 Depth=1
	s_or_b64 exec, exec, s[6:7]
	s_waitcnt vmcnt(0)
	ds_write_b128 v16, v[4:7]
	v_add_u32_e32 v6, s16, v0
	v_cmp_gt_i32_e64 s[2:3], s18, v6
	v_mov_b32_e32 v4, 0
	v_mov_b32_e32 v5, 0
	s_and_b64 s[2:3], s[0:1], s[2:3]
	s_and_saveexec_b64 s[6:7], s[2:3]
	s_cbranch_execz .LBB460_9
; %bb.8:                                ;   in Loop: Header=BB460_5 Depth=1
	v_mad_i64_i32 v[2:3], s[2:3], v6, s22, 0
	v_lshlrev_b64 v[2:3], 4, v[2:3]
	v_add_co_u32_e64 v2, s[2:3], v17, v2
	v_addc_co_u32_e64 v3, s[2:3], v18, v3, s[2:3]
	global_load_dwordx4 v[2:5], v[2:3], off
	s_waitcnt vmcnt(0)
	v_xor_b32_e32 v5, 0x80000000, v5
.LBB460_9:                              ;   in Loop: Header=BB460_5 Depth=1
	s_or_b64 exec, exec, s[6:7]
	ds_write_b128 v20, v[2:5]
	s_waitcnt lgkmcnt(0)
	s_barrier
	s_and_saveexec_b64 s[2:3], s[4:5]
	s_cbranch_execz .LBB460_4
; %bb.10:                               ;   in Loop: Header=BB460_5 Depth=1
	ds_read_b128 v[21:24], v19
	ds_read_b128 v[25:28], v15
	ds_read_b128 v[29:32], v15 offset:16
	ds_read_b128 v[33:36], v15 offset:32
	;; [unrolled: 1-line block ×3, first 2 shown]
	s_waitcnt lgkmcnt(3)
	v_mul_f64 v[6:7], v[23:24], v[27:28]
	v_fma_f64 v[6:7], v[21:22], v[25:26], -v[6:7]
	v_mul_f64 v[21:22], v[21:22], v[27:28]
	v_add_f64 v[6:7], v[6:7], 0
	v_fma_f64 v[21:22], v[23:24], v[25:26], v[21:22]
	v_add_f64 v[25:26], v[21:22], 0
	ds_read_b128 v[21:24], v19 offset:512
	s_waitcnt lgkmcnt(0)
	v_mul_f64 v[27:28], v[23:24], v[31:32]
	v_fma_f64 v[27:28], v[21:22], v[29:30], -v[27:28]
	v_mul_f64 v[21:22], v[21:22], v[31:32]
	v_add_f64 v[6:7], v[6:7], v[27:28]
	v_fma_f64 v[21:22], v[23:24], v[29:30], v[21:22]
	v_add_f64 v[25:26], v[25:26], v[21:22]
	ds_read_b128 v[21:24], v19 offset:1024
	;; [unrolled: 8-line block ×3, first 2 shown]
	s_waitcnt lgkmcnt(0)
	v_mul_f64 v[27:28], v[23:24], v[4:5]
	v_mul_f64 v[4:5], v[21:22], v[4:5]
	v_fma_f64 v[27:28], v[21:22], v[2:3], -v[27:28]
	v_fma_f64 v[2:3], v[23:24], v[2:3], v[4:5]
	v_add_f64 v[6:7], v[6:7], v[27:28]
	v_add_f64 v[25:26], v[25:26], v[2:3]
	ds_read_b128 v[2:5], v19 offset:2048
	ds_read_b128 v[21:24], v15 offset:64
	s_waitcnt lgkmcnt(0)
	v_mul_f64 v[27:28], v[4:5], v[23:24]
	v_fma_f64 v[27:28], v[2:3], v[21:22], -v[27:28]
	v_mul_f64 v[2:3], v[2:3], v[23:24]
	v_add_f64 v[6:7], v[6:7], v[27:28]
	v_fma_f64 v[2:3], v[4:5], v[21:22], v[2:3]
	v_add_f64 v[25:26], v[25:26], v[2:3]
	ds_read_b128 v[2:5], v19 offset:2560
	ds_read_b128 v[21:24], v15 offset:80
	s_waitcnt lgkmcnt(0)
	v_mul_f64 v[27:28], v[4:5], v[23:24]
	v_fma_f64 v[27:28], v[2:3], v[21:22], -v[27:28]
	v_mul_f64 v[2:3], v[2:3], v[23:24]
	v_add_f64 v[6:7], v[6:7], v[27:28]
	v_fma_f64 v[2:3], v[4:5], v[21:22], v[2:3]
	;; [unrolled: 9-line block ×27, first 2 shown]
	v_add_f64 v[25:26], v[25:26], v[2:3]
	ds_read_b128 v[2:5], v19 offset:15872
	ds_read_b128 v[21:24], v15 offset:496
	s_waitcnt lgkmcnt(0)
	v_mul_f64 v[27:28], v[4:5], v[23:24]
	v_fma_f64 v[27:28], v[2:3], v[21:22], -v[27:28]
	v_mul_f64 v[2:3], v[2:3], v[23:24]
	v_fma_f64 v[2:3], v[4:5], v[21:22], v[2:3]
	global_load_dwordx4 v[21:24], v[11:12], off
	v_add_f64 v[4:5], v[6:7], v[27:28]
	v_add_f64 v[6:7], v[25:26], v[2:3]
	v_mul_f64 v[2:3], s[14:15], v[6:7]
	v_mul_f64 v[6:7], s[12:13], v[6:7]
	v_fma_f64 v[2:3], s[12:13], v[4:5], -v[2:3]
	v_fma_f64 v[4:5], s[14:15], v[4:5], v[6:7]
	s_waitcnt vmcnt(0)
	v_add_f64 v[2:3], v[21:22], v[2:3]
	v_add_f64 v[4:5], v[23:24], v[4:5]
	global_store_dwordx4 v[11:12], v[2:5], off
	s_branch .LBB460_4
.LBB460_11:
	v_cmp_eq_u32_e32 vcc, v8, v10
	v_cmp_gt_i32_e64 s[0:1], s17, v8
	s_and_b64 s[0:1], vcc, s[0:1]
	s_and_saveexec_b64 s[2:3], s[0:1]
	s_cbranch_execz .LBB460_13
; %bb.12:
	v_mad_i64_i32 v[0:1], s[0:1], s9, v8, 0
	v_mov_b32_e32 v2, s11
	v_lshlrev_b64 v[0:1], 4, v[0:1]
	v_add_co_u32_e32 v3, vcc, s10, v0
	v_addc_co_u32_e32 v2, vcc, v2, v1, vcc
	v_lshlrev_b64 v[0:1], 4, v[8:9]
	v_add_co_u32_e32 v0, vcc, v3, v0
	v_addc_co_u32_e32 v1, vcc, v2, v1, vcc
	v_mov_b32_e32 v2, 0
	v_mov_b32_e32 v3, v2
	global_store_dwordx2 v[0:1], v[2:3], off offset:8
.LBB460_13:
	s_endpgm
	.section	.rodata,"a",@progbits
	.p2align	6, 0x0
	.amdhsa_kernel _ZL26rocblas_syr2k_her2k_kernelIiLb0ELb1ELb0ELi32EPK19rocblas_complex_numIdES3_PS1_EvbiT_T4_T5_S5_lS7_S5_lT6_S5_li
		.amdhsa_group_segment_fixed_size 32768
		.amdhsa_private_segment_fixed_size 0
		.amdhsa_kernarg_size 100
		.amdhsa_user_sgpr_count 6
		.amdhsa_user_sgpr_private_segment_buffer 1
		.amdhsa_user_sgpr_dispatch_ptr 0
		.amdhsa_user_sgpr_queue_ptr 0
		.amdhsa_user_sgpr_kernarg_segment_ptr 1
		.amdhsa_user_sgpr_dispatch_id 0
		.amdhsa_user_sgpr_flat_scratch_init 0
		.amdhsa_user_sgpr_private_segment_size 0
		.amdhsa_uses_dynamic_stack 0
		.amdhsa_system_sgpr_private_segment_wavefront_offset 0
		.amdhsa_system_sgpr_workgroup_id_x 1
		.amdhsa_system_sgpr_workgroup_id_y 1
		.amdhsa_system_sgpr_workgroup_id_z 1
		.amdhsa_system_sgpr_workgroup_info 0
		.amdhsa_system_vgpr_workitem_id 1
		.amdhsa_next_free_vgpr 37
		.amdhsa_next_free_sgpr 61
		.amdhsa_reserve_vcc 1
		.amdhsa_reserve_flat_scratch 0
		.amdhsa_float_round_mode_32 0
		.amdhsa_float_round_mode_16_64 0
		.amdhsa_float_denorm_mode_32 3
		.amdhsa_float_denorm_mode_16_64 3
		.amdhsa_dx10_clamp 1
		.amdhsa_ieee_mode 1
		.amdhsa_fp16_overflow 0
		.amdhsa_exception_fp_ieee_invalid_op 0
		.amdhsa_exception_fp_denorm_src 0
		.amdhsa_exception_fp_ieee_div_zero 0
		.amdhsa_exception_fp_ieee_overflow 0
		.amdhsa_exception_fp_ieee_underflow 0
		.amdhsa_exception_fp_ieee_inexact 0
		.amdhsa_exception_int_div_zero 0
	.end_amdhsa_kernel
	.section	.text._ZL26rocblas_syr2k_her2k_kernelIiLb0ELb1ELb0ELi32EPK19rocblas_complex_numIdES3_PS1_EvbiT_T4_T5_S5_lS7_S5_lT6_S5_li,"axG",@progbits,_ZL26rocblas_syr2k_her2k_kernelIiLb0ELb1ELb0ELi32EPK19rocblas_complex_numIdES3_PS1_EvbiT_T4_T5_S5_lS7_S5_lT6_S5_li,comdat
.Lfunc_end460:
	.size	_ZL26rocblas_syr2k_her2k_kernelIiLb0ELb1ELb0ELi32EPK19rocblas_complex_numIdES3_PS1_EvbiT_T4_T5_S5_lS7_S5_lT6_S5_li, .Lfunc_end460-_ZL26rocblas_syr2k_her2k_kernelIiLb0ELb1ELb0ELi32EPK19rocblas_complex_numIdES3_PS1_EvbiT_T4_T5_S5_lS7_S5_lT6_S5_li
                                        ; -- End function
	.set _ZL26rocblas_syr2k_her2k_kernelIiLb0ELb1ELb0ELi32EPK19rocblas_complex_numIdES3_PS1_EvbiT_T4_T5_S5_lS7_S5_lT6_S5_li.num_vgpr, 37
	.set _ZL26rocblas_syr2k_her2k_kernelIiLb0ELb1ELb0ELi32EPK19rocblas_complex_numIdES3_PS1_EvbiT_T4_T5_S5_lS7_S5_lT6_S5_li.num_agpr, 0
	.set _ZL26rocblas_syr2k_her2k_kernelIiLb0ELb1ELb0ELi32EPK19rocblas_complex_numIdES3_PS1_EvbiT_T4_T5_S5_lS7_S5_lT6_S5_li.numbered_sgpr, 28
	.set _ZL26rocblas_syr2k_her2k_kernelIiLb0ELb1ELb0ELi32EPK19rocblas_complex_numIdES3_PS1_EvbiT_T4_T5_S5_lS7_S5_lT6_S5_li.num_named_barrier, 0
	.set _ZL26rocblas_syr2k_her2k_kernelIiLb0ELb1ELb0ELi32EPK19rocblas_complex_numIdES3_PS1_EvbiT_T4_T5_S5_lS7_S5_lT6_S5_li.private_seg_size, 0
	.set _ZL26rocblas_syr2k_her2k_kernelIiLb0ELb1ELb0ELi32EPK19rocblas_complex_numIdES3_PS1_EvbiT_T4_T5_S5_lS7_S5_lT6_S5_li.uses_vcc, 1
	.set _ZL26rocblas_syr2k_her2k_kernelIiLb0ELb1ELb0ELi32EPK19rocblas_complex_numIdES3_PS1_EvbiT_T4_T5_S5_lS7_S5_lT6_S5_li.uses_flat_scratch, 0
	.set _ZL26rocblas_syr2k_her2k_kernelIiLb0ELb1ELb0ELi32EPK19rocblas_complex_numIdES3_PS1_EvbiT_T4_T5_S5_lS7_S5_lT6_S5_li.has_dyn_sized_stack, 0
	.set _ZL26rocblas_syr2k_her2k_kernelIiLb0ELb1ELb0ELi32EPK19rocblas_complex_numIdES3_PS1_EvbiT_T4_T5_S5_lS7_S5_lT6_S5_li.has_recursion, 0
	.set _ZL26rocblas_syr2k_her2k_kernelIiLb0ELb1ELb0ELi32EPK19rocblas_complex_numIdES3_PS1_EvbiT_T4_T5_S5_lS7_S5_lT6_S5_li.has_indirect_call, 0
	.section	.AMDGPU.csdata,"",@progbits
; Kernel info:
; codeLenInByte = 3028
; TotalNumSgprs: 32
; NumVgprs: 37
; ScratchSize: 0
; MemoryBound: 1
; FloatMode: 240
; IeeeMode: 1
; LDSByteSize: 32768 bytes/workgroup (compile time only)
; SGPRBlocks: 8
; VGPRBlocks: 9
; NumSGPRsForWavesPerEU: 65
; NumVGPRsForWavesPerEU: 37
; Occupancy: 6
; WaveLimiterHint : 0
; COMPUTE_PGM_RSRC2:SCRATCH_EN: 0
; COMPUTE_PGM_RSRC2:USER_SGPR: 6
; COMPUTE_PGM_RSRC2:TRAP_HANDLER: 0
; COMPUTE_PGM_RSRC2:TGID_X_EN: 1
; COMPUTE_PGM_RSRC2:TGID_Y_EN: 1
; COMPUTE_PGM_RSRC2:TGID_Z_EN: 1
; COMPUTE_PGM_RSRC2:TIDIG_COMP_CNT: 1
	.section	.text._ZL26rocblas_syr2k_her2k_kernelIiLb0ELb1ELb1ELi32EPK19rocblas_complex_numIdES3_PS1_EvbiT_T4_T5_S5_lS7_S5_lT6_S5_li,"axG",@progbits,_ZL26rocblas_syr2k_her2k_kernelIiLb0ELb1ELb1ELi32EPK19rocblas_complex_numIdES3_PS1_EvbiT_T4_T5_S5_lS7_S5_lT6_S5_li,comdat
	.globl	_ZL26rocblas_syr2k_her2k_kernelIiLb0ELb1ELb1ELi32EPK19rocblas_complex_numIdES3_PS1_EvbiT_T4_T5_S5_lS7_S5_lT6_S5_li ; -- Begin function _ZL26rocblas_syr2k_her2k_kernelIiLb0ELb1ELb1ELi32EPK19rocblas_complex_numIdES3_PS1_EvbiT_T4_T5_S5_lS7_S5_lT6_S5_li
	.p2align	8
	.type	_ZL26rocblas_syr2k_her2k_kernelIiLb0ELb1ELb1ELi32EPK19rocblas_complex_numIdES3_PS1_EvbiT_T4_T5_S5_lS7_S5_lT6_S5_li,@function
_ZL26rocblas_syr2k_her2k_kernelIiLb0ELb1ELb1ELi32EPK19rocblas_complex_numIdES3_PS1_EvbiT_T4_T5_S5_lS7_S5_lT6_S5_li: ; @_ZL26rocblas_syr2k_her2k_kernelIiLb0ELb1ELb1ELi32EPK19rocblas_complex_numIdES3_PS1_EvbiT_T4_T5_S5_lS7_S5_lT6_S5_li
; %bb.0:
	s_load_dwordx4 s[0:3], s[4:5], 0x10
	s_waitcnt lgkmcnt(0)
	s_load_dwordx4 s[12:15], s[0:1], 0x0
	s_waitcnt lgkmcnt(0)
	v_cmp_eq_f64_e64 s[0:1], s[12:13], 0
	v_cmp_eq_f64_e64 s[10:11], s[14:15], 0
	s_and_b64 s[0:1], s[0:1], s[10:11]
	s_and_b64 vcc, exec, s[0:1]
	s_cbranch_vccnz .LBB461_13
; %bb.1:
	s_load_dwordx4 s[16:19], s[4:5], 0x0
	s_lshl_b32 s7, s7, 5
	s_lshl_b32 s6, s6, 5
	s_waitcnt lgkmcnt(0)
	s_and_b32 s0, 1, s16
	s_cmp_eq_u32 s0, 1
	s_cselect_b64 s[0:1], -1, 0
	s_and_b64 s[10:11], s[0:1], exec
	s_cselect_b32 s9, s6, s7
	s_cselect_b32 s10, s7, s6
	s_cmp_gt_i32 s9, s10
	s_cbranch_scc1 .LBB461_13
; %bb.2:
	s_load_dwordx2 s[10:11], s[4:5], 0x58
	s_load_dwordx4 s[20:23], s[4:5], 0x40
	s_load_dword s9, s[4:5], 0x50
	v_add_u32_e32 v8, s6, v0
	v_add_u32_e32 v14, s7, v1
	s_waitcnt lgkmcnt(0)
	s_mul_i32 s11, s11, s8
	s_mul_hi_u32 s16, s10, s8
	s_mul_i32 s10, s10, s8
	s_add_i32 s11, s16, s11
	s_lshl_b64 s[10:11], s[10:11], 4
	s_add_u32 s10, s22, s10
	s_addc_u32 s11, s23, s11
	s_cmp_lt_i32 s18, 1
	v_cmp_gt_i32_e32 vcc, s17, v8
	v_ashrrev_i32_e32 v9, 31, v8
	s_cbranch_scc1 .LBB461_11
; %bb.3:
	s_load_dwordx4 s[24:27], s[4:5], 0x28
	s_load_dword s6, s[4:5], 0x20
	s_load_dword s7, s[4:5], 0x38
	v_cndmask_b32_e64 v4, v8, v14, s[0:1]
	v_cndmask_b32_e64 v5, v14, v8, s[0:1]
	v_lshlrev_b32_e32 v17, 9, v0
	s_waitcnt lgkmcnt(0)
	s_mul_i32 s4, s25, s8
	s_mul_hi_u32 s5, s24, s8
	s_add_i32 s5, s5, s4
	s_mul_i32 s4, s24, s8
	s_lshl_b64 s[4:5], s[4:5], 4
	s_add_u32 s19, s2, s4
	s_addc_u32 s22, s3, s5
	v_mad_i64_i32 v[2:3], s[4:5], s6, v8, 0
	v_mov_b32_e32 v6, s22
	s_mul_i32 s2, s21, s8
	v_lshlrev_b64 v[2:3], 4, v[2:3]
	s_mul_hi_u32 s3, s20, s8
	v_add_co_u32_e64 v15, s[0:1], s19, v2
	v_addc_co_u32_e64 v16, s[0:1], v6, v3, s[0:1]
	v_mad_i64_i32 v[2:3], s[0:1], s7, v14, 0
	s_add_i32 s3, s3, s2
	s_mul_i32 s2, s20, s8
	s_lshl_b64 s[2:3], s[2:3], 4
	s_add_u32 s2, s26, s2
	v_lshlrev_b64 v[2:3], 4, v[2:3]
	s_addc_u32 s3, s27, s3
	v_mov_b32_e32 v7, s3
	v_add_co_u32_e64 v19, s[2:3], s2, v2
	v_addc_co_u32_e64 v20, s[2:3], v7, v3, s[2:3]
	v_mad_i64_i32 v[2:3], s[2:3], s9, v14, 0
	v_cmp_gt_i32_e64 s[0:1], s17, v14
	v_cmp_le_i32_e64 s[2:3], v5, v4
	v_lshlrev_b64 v[2:3], 4, v[2:3]
	s_and_b64 s[4:5], s[0:1], vcc
	s_and_b64 s[4:5], s[4:5], s[2:3]
	v_mov_b32_e32 v4, s11
	v_add_co_u32_e64 v5, s[2:3], s10, v2
	v_addc_co_u32_e64 v4, s[2:3], v4, v3, s[2:3]
	v_lshlrev_b64 v[2:3], 4, v[8:9]
	v_lshlrev_b32_e32 v6, 4, v1
	v_or_b32_e32 v21, 0x4000, v6
	v_add_co_u32_e64 v10, s[2:3], v5, v2
	s_mov_b32 s16, 0
	v_add_u32_e32 v18, v17, v6
	v_add_u32_e32 v22, v21, v17
	v_addc_co_u32_e64 v11, s[2:3], v4, v3, s[2:3]
	s_branch .LBB461_5
.LBB461_4:                              ;   in Loop: Header=BB461_5 Depth=1
	s_or_b64 exec, exec, s[2:3]
	s_add_i32 s16, s16, 32
	s_cmp_ge_i32 s16, s18
	s_waitcnt vmcnt(0)
	s_barrier
	s_cbranch_scc1 .LBB461_11
.LBB461_5:                              ; =>This Inner Loop Header: Depth=1
	v_add_u32_e32 v12, s16, v1
	v_cmp_gt_i32_e64 s[2:3], s18, v12
	v_mov_b32_e32 v2, 0
	v_mov_b32_e32 v4, 0
	;; [unrolled: 1-line block ×6, first 2 shown]
	s_and_b64 s[2:3], vcc, s[2:3]
	s_and_saveexec_b64 s[6:7], s[2:3]
	s_cbranch_execz .LBB461_7
; %bb.6:                                ;   in Loop: Header=BB461_5 Depth=1
	v_ashrrev_i32_e32 v13, 31, v12
	v_lshlrev_b64 v[4:5], 4, v[12:13]
	v_add_co_u32_e64 v4, s[2:3], v15, v4
	v_addc_co_u32_e64 v5, s[2:3], v16, v5, s[2:3]
	global_load_dwordx4 v[4:7], v[4:5], off
	s_waitcnt vmcnt(0)
	v_xor_b32_e32 v7, 0x80000000, v7
.LBB461_7:                              ;   in Loop: Header=BB461_5 Depth=1
	s_or_b64 exec, exec, s[6:7]
	ds_write_b128 v18, v[4:7]
	v_add_u32_e32 v6, s16, v0
	v_cmp_gt_i32_e64 s[2:3], s18, v6
	v_mov_b32_e32 v4, 0
	v_mov_b32_e32 v5, 0
	s_and_b64 s[2:3], s[0:1], s[2:3]
	s_and_saveexec_b64 s[6:7], s[2:3]
	s_cbranch_execz .LBB461_9
; %bb.8:                                ;   in Loop: Header=BB461_5 Depth=1
	v_ashrrev_i32_e32 v7, 31, v6
	v_lshlrev_b64 v[2:3], 4, v[6:7]
	v_add_co_u32_e64 v2, s[2:3], v19, v2
	v_addc_co_u32_e64 v3, s[2:3], v20, v3, s[2:3]
	global_load_dwordx4 v[2:5], v[2:3], off
.LBB461_9:                              ;   in Loop: Header=BB461_5 Depth=1
	s_or_b64 exec, exec, s[6:7]
	s_waitcnt vmcnt(0)
	ds_write_b128 v22, v[2:5]
	s_waitcnt lgkmcnt(0)
	s_barrier
	s_and_saveexec_b64 s[2:3], s[4:5]
	s_cbranch_execz .LBB461_4
; %bb.10:                               ;   in Loop: Header=BB461_5 Depth=1
	ds_read_b128 v[23:26], v21
	ds_read_b128 v[27:30], v17
	ds_read_b128 v[31:34], v17 offset:16
	ds_read_b128 v[35:38], v17 offset:32
	;; [unrolled: 1-line block ×3, first 2 shown]
	s_waitcnt lgkmcnt(3)
	v_mul_f64 v[6:7], v[25:26], v[29:30]
	v_mul_f64 v[12:13], v[23:24], v[29:30]
	v_fma_f64 v[6:7], v[23:24], v[27:28], -v[6:7]
	v_fma_f64 v[12:13], v[25:26], v[27:28], v[12:13]
	ds_read_b128 v[23:26], v21 offset:512
	s_waitcnt lgkmcnt(0)
	v_mul_f64 v[27:28], v[25:26], v[33:34]
	v_add_f64 v[6:7], v[6:7], 0
	v_add_f64 v[12:13], v[12:13], 0
	v_fma_f64 v[27:28], v[23:24], v[31:32], -v[27:28]
	v_mul_f64 v[23:24], v[23:24], v[33:34]
	v_add_f64 v[6:7], v[6:7], v[27:28]
	v_fma_f64 v[23:24], v[25:26], v[31:32], v[23:24]
	v_add_f64 v[12:13], v[12:13], v[23:24]
	ds_read_b128 v[23:26], v21 offset:1024
	s_waitcnt lgkmcnt(0)
	v_mul_f64 v[27:28], v[25:26], v[37:38]
	v_fma_f64 v[27:28], v[23:24], v[35:36], -v[27:28]
	v_mul_f64 v[23:24], v[23:24], v[37:38]
	v_add_f64 v[6:7], v[6:7], v[27:28]
	v_fma_f64 v[23:24], v[25:26], v[35:36], v[23:24]
	v_add_f64 v[12:13], v[12:13], v[23:24]
	ds_read_b128 v[23:26], v21 offset:1536
	s_waitcnt lgkmcnt(0)
	v_mul_f64 v[27:28], v[25:26], v[4:5]
	v_mul_f64 v[4:5], v[23:24], v[4:5]
	v_fma_f64 v[27:28], v[23:24], v[2:3], -v[27:28]
	v_fma_f64 v[2:3], v[25:26], v[2:3], v[4:5]
	v_add_f64 v[6:7], v[6:7], v[27:28]
	v_add_f64 v[12:13], v[12:13], v[2:3]
	ds_read_b128 v[2:5], v21 offset:2048
	ds_read_b128 v[23:26], v17 offset:64
	s_waitcnt lgkmcnt(0)
	v_mul_f64 v[27:28], v[4:5], v[25:26]
	v_fma_f64 v[27:28], v[2:3], v[23:24], -v[27:28]
	v_mul_f64 v[2:3], v[2:3], v[25:26]
	v_add_f64 v[6:7], v[6:7], v[27:28]
	v_fma_f64 v[2:3], v[4:5], v[23:24], v[2:3]
	v_add_f64 v[12:13], v[12:13], v[2:3]
	ds_read_b128 v[2:5], v21 offset:2560
	ds_read_b128 v[23:26], v17 offset:80
	s_waitcnt lgkmcnt(0)
	v_mul_f64 v[27:28], v[4:5], v[25:26]
	v_fma_f64 v[27:28], v[2:3], v[23:24], -v[27:28]
	v_mul_f64 v[2:3], v[2:3], v[25:26]
	v_add_f64 v[6:7], v[6:7], v[27:28]
	v_fma_f64 v[2:3], v[4:5], v[23:24], v[2:3]
	;; [unrolled: 9-line block ×27, first 2 shown]
	v_add_f64 v[12:13], v[12:13], v[2:3]
	ds_read_b128 v[2:5], v21 offset:15872
	ds_read_b128 v[23:26], v17 offset:496
	s_waitcnt lgkmcnt(0)
	v_mul_f64 v[27:28], v[4:5], v[25:26]
	v_fma_f64 v[27:28], v[2:3], v[23:24], -v[27:28]
	v_mul_f64 v[2:3], v[2:3], v[25:26]
	v_fma_f64 v[2:3], v[4:5], v[23:24], v[2:3]
	global_load_dwordx4 v[23:26], v[10:11], off
	v_add_f64 v[4:5], v[6:7], v[27:28]
	v_add_f64 v[6:7], v[12:13], v[2:3]
	v_mul_f64 v[2:3], s[14:15], v[6:7]
	v_mul_f64 v[6:7], s[12:13], v[6:7]
	v_fma_f64 v[2:3], s[12:13], v[4:5], -v[2:3]
	v_fma_f64 v[4:5], s[14:15], v[4:5], v[6:7]
	s_waitcnt vmcnt(0)
	v_add_f64 v[2:3], v[23:24], v[2:3]
	v_add_f64 v[4:5], v[25:26], v[4:5]
	global_store_dwordx4 v[10:11], v[2:5], off
	s_branch .LBB461_4
.LBB461_11:
	v_cmp_eq_u32_e32 vcc, v8, v14
	v_cmp_gt_i32_e64 s[0:1], s17, v8
	s_and_b64 s[0:1], vcc, s[0:1]
	s_and_saveexec_b64 s[2:3], s[0:1]
	s_cbranch_execz .LBB461_13
; %bb.12:
	v_mad_i64_i32 v[0:1], s[0:1], s9, v8, 0
	v_mov_b32_e32 v2, s11
	v_lshlrev_b64 v[0:1], 4, v[0:1]
	v_add_co_u32_e32 v3, vcc, s10, v0
	v_addc_co_u32_e32 v2, vcc, v2, v1, vcc
	v_lshlrev_b64 v[0:1], 4, v[8:9]
	v_add_co_u32_e32 v0, vcc, v3, v0
	v_addc_co_u32_e32 v1, vcc, v2, v1, vcc
	v_mov_b32_e32 v2, 0
	v_mov_b32_e32 v3, v2
	global_store_dwordx2 v[0:1], v[2:3], off offset:8
.LBB461_13:
	s_endpgm
	.section	.rodata,"a",@progbits
	.p2align	6, 0x0
	.amdhsa_kernel _ZL26rocblas_syr2k_her2k_kernelIiLb0ELb1ELb1ELi32EPK19rocblas_complex_numIdES3_PS1_EvbiT_T4_T5_S5_lS7_S5_lT6_S5_li
		.amdhsa_group_segment_fixed_size 32768
		.amdhsa_private_segment_fixed_size 0
		.amdhsa_kernarg_size 100
		.amdhsa_user_sgpr_count 6
		.amdhsa_user_sgpr_private_segment_buffer 1
		.amdhsa_user_sgpr_dispatch_ptr 0
		.amdhsa_user_sgpr_queue_ptr 0
		.amdhsa_user_sgpr_kernarg_segment_ptr 1
		.amdhsa_user_sgpr_dispatch_id 0
		.amdhsa_user_sgpr_flat_scratch_init 0
		.amdhsa_user_sgpr_private_segment_size 0
		.amdhsa_uses_dynamic_stack 0
		.amdhsa_system_sgpr_private_segment_wavefront_offset 0
		.amdhsa_system_sgpr_workgroup_id_x 1
		.amdhsa_system_sgpr_workgroup_id_y 1
		.amdhsa_system_sgpr_workgroup_id_z 1
		.amdhsa_system_sgpr_workgroup_info 0
		.amdhsa_system_vgpr_workitem_id 1
		.amdhsa_next_free_vgpr 39
		.amdhsa_next_free_sgpr 61
		.amdhsa_reserve_vcc 1
		.amdhsa_reserve_flat_scratch 0
		.amdhsa_float_round_mode_32 0
		.amdhsa_float_round_mode_16_64 0
		.amdhsa_float_denorm_mode_32 3
		.amdhsa_float_denorm_mode_16_64 3
		.amdhsa_dx10_clamp 1
		.amdhsa_ieee_mode 1
		.amdhsa_fp16_overflow 0
		.amdhsa_exception_fp_ieee_invalid_op 0
		.amdhsa_exception_fp_denorm_src 0
		.amdhsa_exception_fp_ieee_div_zero 0
		.amdhsa_exception_fp_ieee_overflow 0
		.amdhsa_exception_fp_ieee_underflow 0
		.amdhsa_exception_fp_ieee_inexact 0
		.amdhsa_exception_int_div_zero 0
	.end_amdhsa_kernel
	.section	.text._ZL26rocblas_syr2k_her2k_kernelIiLb0ELb1ELb1ELi32EPK19rocblas_complex_numIdES3_PS1_EvbiT_T4_T5_S5_lS7_S5_lT6_S5_li,"axG",@progbits,_ZL26rocblas_syr2k_her2k_kernelIiLb0ELb1ELb1ELi32EPK19rocblas_complex_numIdES3_PS1_EvbiT_T4_T5_S5_lS7_S5_lT6_S5_li,comdat
.Lfunc_end461:
	.size	_ZL26rocblas_syr2k_her2k_kernelIiLb0ELb1ELb1ELi32EPK19rocblas_complex_numIdES3_PS1_EvbiT_T4_T5_S5_lS7_S5_lT6_S5_li, .Lfunc_end461-_ZL26rocblas_syr2k_her2k_kernelIiLb0ELb1ELb1ELi32EPK19rocblas_complex_numIdES3_PS1_EvbiT_T4_T5_S5_lS7_S5_lT6_S5_li
                                        ; -- End function
	.set _ZL26rocblas_syr2k_her2k_kernelIiLb0ELb1ELb1ELi32EPK19rocblas_complex_numIdES3_PS1_EvbiT_T4_T5_S5_lS7_S5_lT6_S5_li.num_vgpr, 39
	.set _ZL26rocblas_syr2k_her2k_kernelIiLb0ELb1ELb1ELi32EPK19rocblas_complex_numIdES3_PS1_EvbiT_T4_T5_S5_lS7_S5_lT6_S5_li.num_agpr, 0
	.set _ZL26rocblas_syr2k_her2k_kernelIiLb0ELb1ELb1ELi32EPK19rocblas_complex_numIdES3_PS1_EvbiT_T4_T5_S5_lS7_S5_lT6_S5_li.numbered_sgpr, 28
	.set _ZL26rocblas_syr2k_her2k_kernelIiLb0ELb1ELb1ELi32EPK19rocblas_complex_numIdES3_PS1_EvbiT_T4_T5_S5_lS7_S5_lT6_S5_li.num_named_barrier, 0
	.set _ZL26rocblas_syr2k_her2k_kernelIiLb0ELb1ELb1ELi32EPK19rocblas_complex_numIdES3_PS1_EvbiT_T4_T5_S5_lS7_S5_lT6_S5_li.private_seg_size, 0
	.set _ZL26rocblas_syr2k_her2k_kernelIiLb0ELb1ELb1ELi32EPK19rocblas_complex_numIdES3_PS1_EvbiT_T4_T5_S5_lS7_S5_lT6_S5_li.uses_vcc, 1
	.set _ZL26rocblas_syr2k_her2k_kernelIiLb0ELb1ELb1ELi32EPK19rocblas_complex_numIdES3_PS1_EvbiT_T4_T5_S5_lS7_S5_lT6_S5_li.uses_flat_scratch, 0
	.set _ZL26rocblas_syr2k_her2k_kernelIiLb0ELb1ELb1ELi32EPK19rocblas_complex_numIdES3_PS1_EvbiT_T4_T5_S5_lS7_S5_lT6_S5_li.has_dyn_sized_stack, 0
	.set _ZL26rocblas_syr2k_her2k_kernelIiLb0ELb1ELb1ELi32EPK19rocblas_complex_numIdES3_PS1_EvbiT_T4_T5_S5_lS7_S5_lT6_S5_li.has_recursion, 0
	.set _ZL26rocblas_syr2k_her2k_kernelIiLb0ELb1ELb1ELi32EPK19rocblas_complex_numIdES3_PS1_EvbiT_T4_T5_S5_lS7_S5_lT6_S5_li.has_indirect_call, 0
	.section	.AMDGPU.csdata,"",@progbits
; Kernel info:
; codeLenInByte = 3040
; TotalNumSgprs: 32
; NumVgprs: 39
; ScratchSize: 0
; MemoryBound: 1
; FloatMode: 240
; IeeeMode: 1
; LDSByteSize: 32768 bytes/workgroup (compile time only)
; SGPRBlocks: 8
; VGPRBlocks: 9
; NumSGPRsForWavesPerEU: 65
; NumVGPRsForWavesPerEU: 39
; Occupancy: 6
; WaveLimiterHint : 0
; COMPUTE_PGM_RSRC2:SCRATCH_EN: 0
; COMPUTE_PGM_RSRC2:USER_SGPR: 6
; COMPUTE_PGM_RSRC2:TRAP_HANDLER: 0
; COMPUTE_PGM_RSRC2:TGID_X_EN: 1
; COMPUTE_PGM_RSRC2:TGID_Y_EN: 1
; COMPUTE_PGM_RSRC2:TGID_Z_EN: 1
; COMPUTE_PGM_RSRC2:TIDIG_COMP_CNT: 1
	.section	.text._ZL26rocblas_syr2k_her2k_kernelIiLb0ELb0ELb0ELi32EfPKPKfPKPfEvbiT_T4_T5_S7_lS9_S7_lT6_S7_li,"axG",@progbits,_ZL26rocblas_syr2k_her2k_kernelIiLb0ELb0ELb0ELi32EfPKPKfPKPfEvbiT_T4_T5_S7_lS9_S7_lT6_S7_li,comdat
	.globl	_ZL26rocblas_syr2k_her2k_kernelIiLb0ELb0ELb0ELi32EfPKPKfPKPfEvbiT_T4_T5_S7_lS9_S7_lT6_S7_li ; -- Begin function _ZL26rocblas_syr2k_her2k_kernelIiLb0ELb0ELb0ELi32EfPKPKfPKPfEvbiT_T4_T5_S7_lS9_S7_lT6_S7_li
	.p2align	8
	.type	_ZL26rocblas_syr2k_her2k_kernelIiLb0ELb0ELb0ELi32EfPKPKfPKPfEvbiT_T4_T5_S7_lS9_S7_lT6_S7_li,@function
_ZL26rocblas_syr2k_her2k_kernelIiLb0ELb0ELb0ELi32EfPKPKfPKPfEvbiT_T4_T5_S7_lS9_S7_lT6_S7_li: ; @_ZL26rocblas_syr2k_her2k_kernelIiLb0ELb0ELb0ELi32EfPKPKfPKPfEvbiT_T4_T5_S7_lS9_S7_lT6_S7_li
; %bb.0:
	s_load_dwordx4 s[12:15], s[4:5], 0x0
	s_waitcnt lgkmcnt(0)
	v_cmp_eq_f32_e64 s[0:1], s15, 0
	s_and_b64 vcc, exec, s[0:1]
	s_cbranch_vccnz .LBB462_11
; %bb.1:
	s_and_b32 s2, 1, s12
	s_lshl_b32 s0, s7, 5
	s_lshl_b32 s1, s6, 5
	s_cmp_eq_u32 s2, 1
	s_cselect_b64 vcc, -1, 0
	s_and_b64 s[2:3], vcc, exec
	s_cselect_b32 s2, s1, s0
	s_cselect_b32 s3, s0, s1
	s_cmp_gt_i32 s2, s3
	s_cbranch_scc1 .LBB462_11
; %bb.2:
	s_cmp_lt_i32 s14, 1
	s_cbranch_scc1 .LBB462_11
; %bb.3:
	s_mov_b32 s9, 0
	s_load_dwordx2 s[2:3], s[4:5], 0x10
	s_load_dword s10, s[4:5], 0x18
	s_load_dwordx4 s[16:19], s[4:5], 0x20
	s_load_dword s11, s[4:5], 0x30
	s_load_dwordx4 s[20:23], s[4:5], 0x38
	s_load_dword s12, s[4:5], 0x48
	s_lshl_b64 s[6:7], s[8:9], 3
	s_waitcnt lgkmcnt(0)
	s_add_u32 s2, s2, s6
	s_addc_u32 s3, s3, s7
	s_load_dwordx2 s[2:3], s[2:3], 0x0
	s_add_u32 s18, s18, s6
	s_addc_u32 s19, s19, s7
	s_add_u32 s6, s22, s6
	s_load_dwordx2 s[18:19], s[18:19], 0x0
	s_addc_u32 s7, s23, s7
	v_add_u32_e32 v3, s1, v0
	s_load_dwordx2 s[22:23], s[6:7], 0x0
	s_load_dwordx2 s[24:25], s[4:5], 0x50
	s_lshl_b64 s[4:5], s[16:17], 2
	v_ashrrev_i32_e32 v4, 31, v3
	s_waitcnt lgkmcnt(0)
	s_add_u32 s4, s2, s4
	v_lshlrev_b64 v[12:13], 2, v[3:4]
	s_addc_u32 s5, s3, s5
	v_add_u32_e32 v2, s0, v1
	s_lshl_b64 s[2:3], s[20:21], 2
	v_cndmask_b32_e32 v14, v3, v2, vcc
	v_cndmask_b32_e32 v15, v2, v3, vcc
	v_cmp_gt_i32_e32 vcc, s13, v3
	v_mov_b32_e32 v3, s5
	v_add_co_u32_e64 v4, s[0:1], s4, v12
	s_add_u32 s6, s18, s2
	v_addc_co_u32_e64 v5, s[0:1], v3, v13, s[0:1]
	v_ashrrev_i32_e32 v3, 31, v2
	s_addc_u32 s7, s19, s3
	s_lshl_b64 s[2:3], s[24:25], 2
	v_lshlrev_b64 v[8:9], 2, v[2:3]
	s_add_u32 s8, s22, s2
	s_addc_u32 s16, s23, s3
	v_mov_b32_e32 v3, s7
	v_add_co_u32_e64 v8, s[2:3], s6, v8
	v_cmp_gt_i32_e64 s[0:1], s13, v2
	v_addc_co_u32_e64 v9, s[2:3], v3, v9, s[2:3]
	v_mad_i64_i32 v[2:3], s[2:3], s12, v2, 0
	v_cmp_le_i32_e64 s[2:3], v15, v14
	s_and_b64 s[4:5], s[0:1], vcc
	v_lshlrev_b64 v[2:3], 2, v[2:3]
	s_and_b64 s[4:5], s[4:5], s[2:3]
	v_mov_b32_e32 v14, s16
	v_add_co_u32_e64 v2, s[2:3], s8, v2
	v_lshlrev_b32_e32 v6, 7, v0
	v_lshlrev_b32_e32 v10, 2, v1
	v_addc_co_u32_e64 v3, s[2:3], v14, v3, s[2:3]
	v_add_u32_e32 v7, v6, v10
	v_or_b32_e32 v10, 0x1000, v10
	v_add_co_u32_e64 v2, s[2:3], v2, v12
	v_add_u32_e32 v11, v10, v6
	v_addc_co_u32_e64 v3, s[2:3], v3, v13, s[2:3]
	v_add_u32_e32 v12, 0x400, v10
	v_add_u32_e32 v13, 0x800, v10
	;; [unrolled: 1-line block ×3, first 2 shown]
	s_branch .LBB462_5
.LBB462_4:                              ;   in Loop: Header=BB462_5 Depth=1
	s_or_b64 exec, exec, s[2:3]
	s_add_i32 s9, s9, 32
	s_cmp_lt_i32 s9, s14
	s_waitcnt vmcnt(0) lgkmcnt(0)
	s_barrier
	s_cbranch_scc0 .LBB462_11
.LBB462_5:                              ; =>This Inner Loop Header: Depth=1
	v_add_u32_e32 v16, s9, v1
	v_cmp_gt_i32_e64 s[2:3], s14, v16
	s_and_b64 s[2:3], vcc, s[2:3]
	v_mov_b32_e32 v15, 0
	s_and_saveexec_b64 s[6:7], s[2:3]
	s_cbranch_execz .LBB462_7
; %bb.6:                                ;   in Loop: Header=BB462_5 Depth=1
	v_mad_i64_i32 v[15:16], s[2:3], v16, s10, 0
	v_lshlrev_b64 v[15:16], 2, v[15:16]
	v_add_co_u32_e64 v15, s[2:3], v4, v15
	v_addc_co_u32_e64 v16, s[2:3], v5, v16, s[2:3]
	flat_load_dword v15, v[15:16]
.LBB462_7:                              ;   in Loop: Header=BB462_5 Depth=1
	s_or_b64 exec, exec, s[6:7]
	v_add_u32_e32 v16, s9, v0
	v_cmp_gt_i32_e64 s[2:3], s14, v16
	s_waitcnt vmcnt(0) lgkmcnt(0)
	ds_write_b32 v7, v15
	s_and_b64 s[2:3], s[0:1], s[2:3]
	v_mov_b32_e32 v15, 0
	s_and_saveexec_b64 s[6:7], s[2:3]
	s_cbranch_execz .LBB462_9
; %bb.8:                                ;   in Loop: Header=BB462_5 Depth=1
	v_mad_i64_i32 v[15:16], s[2:3], v16, s11, 0
	v_lshlrev_b64 v[15:16], 2, v[15:16]
	v_add_co_u32_e64 v15, s[2:3], v8, v15
	v_addc_co_u32_e64 v16, s[2:3], v9, v16, s[2:3]
	flat_load_dword v15, v[15:16]
.LBB462_9:                              ;   in Loop: Header=BB462_5 Depth=1
	s_or_b64 exec, exec, s[6:7]
	s_waitcnt vmcnt(0) lgkmcnt(0)
	ds_write_b32 v11, v15
	s_waitcnt lgkmcnt(0)
	s_barrier
	s_and_saveexec_b64 s[2:3], s[4:5]
	s_cbranch_execz .LBB462_4
; %bb.10:                               ;   in Loop: Header=BB462_5 Depth=1
	flat_load_dword v27, v[2:3]
	ds_read_b128 v[15:18], v6
	ds_read2_b32 v[23:24], v10 offset1:32
	ds_read2_b32 v[25:26], v10 offset0:64 offset1:96
	ds_read_b128 v[19:22], v6 offset:16
	s_waitcnt lgkmcnt(0)
	v_fma_f32 v28, v15, v23, 0
	v_fmac_f32_e32 v28, v16, v24
	ds_read2_b32 v[23:24], v10 offset0:128 offset1:160
	v_fmac_f32_e32 v28, v17, v25
	v_fmac_f32_e32 v28, v18, v26
	ds_read2_b32 v[25:26], v10 offset0:192 offset1:224
	ds_read_b128 v[15:18], v6 offset:32
	s_waitcnt lgkmcnt(0)
	v_fmac_f32_e32 v28, v19, v23
	v_fmac_f32_e32 v28, v20, v24
	ds_read2_b32 v[23:24], v12 offset1:32
	v_fmac_f32_e32 v28, v21, v25
	v_fmac_f32_e32 v28, v22, v26
	ds_read_b128 v[19:22], v6 offset:48
	ds_read2_b32 v[25:26], v12 offset0:64 offset1:96
	s_waitcnt lgkmcnt(0)
	v_fmac_f32_e32 v28, v15, v23
	v_fmac_f32_e32 v28, v16, v24
	ds_read2_b32 v[15:16], v12 offset0:128 offset1:160
	v_fmac_f32_e32 v28, v17, v25
	v_fmac_f32_e32 v28, v18, v26
	ds_read2_b32 v[23:24], v12 offset0:192 offset1:224
	s_waitcnt lgkmcnt(0)
	v_fmac_f32_e32 v28, v19, v15
	v_fmac_f32_e32 v28, v20, v16
	ds_read_b128 v[15:18], v6 offset:64
	ds_read2_b32 v[25:26], v13 offset1:32
	v_fmac_f32_e32 v28, v21, v23
	v_fmac_f32_e32 v28, v22, v24
	ds_read2_b32 v[23:24], v13 offset0:64 offset1:96
	ds_read_b128 v[19:22], v6 offset:80
	s_waitcnt lgkmcnt(0)
	v_fmac_f32_e32 v28, v15, v25
	v_fmac_f32_e32 v28, v16, v26
	ds_read2_b32 v[15:16], v13 offset0:128 offset1:160
	v_fmac_f32_e32 v28, v17, v23
	v_fmac_f32_e32 v28, v18, v24
	ds_read2_b32 v[23:24], v13 offset0:192 offset1:224
	s_waitcnt lgkmcnt(0)
	v_fmac_f32_e32 v28, v19, v15
	v_fmac_f32_e32 v28, v20, v16
	ds_read_b128 v[15:18], v6 offset:96
	ds_read2_b32 v[25:26], v14 offset1:32
	v_fmac_f32_e32 v28, v21, v23
	v_fmac_f32_e32 v28, v22, v24
	ds_read2_b32 v[23:24], v14 offset0:64 offset1:96
	ds_read_b128 v[19:22], v6 offset:112
	s_waitcnt lgkmcnt(0)
	v_fmac_f32_e32 v28, v15, v25
	v_fmac_f32_e32 v28, v16, v26
	ds_read2_b32 v[15:16], v14 offset0:128 offset1:160
	v_fmac_f32_e32 v28, v17, v23
	v_fmac_f32_e32 v28, v18, v24
	ds_read2_b32 v[17:18], v14 offset0:192 offset1:224
	s_waitcnt lgkmcnt(0)
	v_fmac_f32_e32 v28, v19, v15
	v_fmac_f32_e32 v28, v20, v16
	;; [unrolled: 1-line block ×4, first 2 shown]
	s_waitcnt vmcnt(0)
	v_fmac_f32_e32 v27, s15, v28
	flat_store_dword v[2:3], v27
	s_branch .LBB462_4
.LBB462_11:
	s_endpgm
	.section	.rodata,"a",@progbits
	.p2align	6, 0x0
	.amdhsa_kernel _ZL26rocblas_syr2k_her2k_kernelIiLb0ELb0ELb0ELi32EfPKPKfPKPfEvbiT_T4_T5_S7_lS9_S7_lT6_S7_li
		.amdhsa_group_segment_fixed_size 8192
		.amdhsa_private_segment_fixed_size 0
		.amdhsa_kernarg_size 92
		.amdhsa_user_sgpr_count 6
		.amdhsa_user_sgpr_private_segment_buffer 1
		.amdhsa_user_sgpr_dispatch_ptr 0
		.amdhsa_user_sgpr_queue_ptr 0
		.amdhsa_user_sgpr_kernarg_segment_ptr 1
		.amdhsa_user_sgpr_dispatch_id 0
		.amdhsa_user_sgpr_flat_scratch_init 0
		.amdhsa_user_sgpr_private_segment_size 0
		.amdhsa_uses_dynamic_stack 0
		.amdhsa_system_sgpr_private_segment_wavefront_offset 0
		.amdhsa_system_sgpr_workgroup_id_x 1
		.amdhsa_system_sgpr_workgroup_id_y 1
		.amdhsa_system_sgpr_workgroup_id_z 1
		.amdhsa_system_sgpr_workgroup_info 0
		.amdhsa_system_vgpr_workitem_id 1
		.amdhsa_next_free_vgpr 29
		.amdhsa_next_free_sgpr 61
		.amdhsa_reserve_vcc 1
		.amdhsa_reserve_flat_scratch 0
		.amdhsa_float_round_mode_32 0
		.amdhsa_float_round_mode_16_64 0
		.amdhsa_float_denorm_mode_32 3
		.amdhsa_float_denorm_mode_16_64 3
		.amdhsa_dx10_clamp 1
		.amdhsa_ieee_mode 1
		.amdhsa_fp16_overflow 0
		.amdhsa_exception_fp_ieee_invalid_op 0
		.amdhsa_exception_fp_denorm_src 0
		.amdhsa_exception_fp_ieee_div_zero 0
		.amdhsa_exception_fp_ieee_overflow 0
		.amdhsa_exception_fp_ieee_underflow 0
		.amdhsa_exception_fp_ieee_inexact 0
		.amdhsa_exception_int_div_zero 0
	.end_amdhsa_kernel
	.section	.text._ZL26rocblas_syr2k_her2k_kernelIiLb0ELb0ELb0ELi32EfPKPKfPKPfEvbiT_T4_T5_S7_lS9_S7_lT6_S7_li,"axG",@progbits,_ZL26rocblas_syr2k_her2k_kernelIiLb0ELb0ELb0ELi32EfPKPKfPKPfEvbiT_T4_T5_S7_lS9_S7_lT6_S7_li,comdat
.Lfunc_end462:
	.size	_ZL26rocblas_syr2k_her2k_kernelIiLb0ELb0ELb0ELi32EfPKPKfPKPfEvbiT_T4_T5_S7_lS9_S7_lT6_S7_li, .Lfunc_end462-_ZL26rocblas_syr2k_her2k_kernelIiLb0ELb0ELb0ELi32EfPKPKfPKPfEvbiT_T4_T5_S7_lS9_S7_lT6_S7_li
                                        ; -- End function
	.set _ZL26rocblas_syr2k_her2k_kernelIiLb0ELb0ELb0ELi32EfPKPKfPKPfEvbiT_T4_T5_S7_lS9_S7_lT6_S7_li.num_vgpr, 29
	.set _ZL26rocblas_syr2k_her2k_kernelIiLb0ELb0ELb0ELi32EfPKPKfPKPfEvbiT_T4_T5_S7_lS9_S7_lT6_S7_li.num_agpr, 0
	.set _ZL26rocblas_syr2k_her2k_kernelIiLb0ELb0ELb0ELi32EfPKPKfPKPfEvbiT_T4_T5_S7_lS9_S7_lT6_S7_li.numbered_sgpr, 26
	.set _ZL26rocblas_syr2k_her2k_kernelIiLb0ELb0ELb0ELi32EfPKPKfPKPfEvbiT_T4_T5_S7_lS9_S7_lT6_S7_li.num_named_barrier, 0
	.set _ZL26rocblas_syr2k_her2k_kernelIiLb0ELb0ELb0ELi32EfPKPKfPKPfEvbiT_T4_T5_S7_lS9_S7_lT6_S7_li.private_seg_size, 0
	.set _ZL26rocblas_syr2k_her2k_kernelIiLb0ELb0ELb0ELi32EfPKPKfPKPfEvbiT_T4_T5_S7_lS9_S7_lT6_S7_li.uses_vcc, 1
	.set _ZL26rocblas_syr2k_her2k_kernelIiLb0ELb0ELb0ELi32EfPKPKfPKPfEvbiT_T4_T5_S7_lS9_S7_lT6_S7_li.uses_flat_scratch, 0
	.set _ZL26rocblas_syr2k_her2k_kernelIiLb0ELb0ELb0ELi32EfPKPKfPKPfEvbiT_T4_T5_S7_lS9_S7_lT6_S7_li.has_dyn_sized_stack, 0
	.set _ZL26rocblas_syr2k_her2k_kernelIiLb0ELb0ELb0ELi32EfPKPKfPKPfEvbiT_T4_T5_S7_lS9_S7_lT6_S7_li.has_recursion, 0
	.set _ZL26rocblas_syr2k_her2k_kernelIiLb0ELb0ELb0ELi32EfPKPKfPKPfEvbiT_T4_T5_S7_lS9_S7_lT6_S7_li.has_indirect_call, 0
	.section	.AMDGPU.csdata,"",@progbits
; Kernel info:
; codeLenInByte = 1040
; TotalNumSgprs: 30
; NumVgprs: 29
; ScratchSize: 0
; MemoryBound: 0
; FloatMode: 240
; IeeeMode: 1
; LDSByteSize: 8192 bytes/workgroup (compile time only)
; SGPRBlocks: 8
; VGPRBlocks: 7
; NumSGPRsForWavesPerEU: 65
; NumVGPRsForWavesPerEU: 29
; Occupancy: 8
; WaveLimiterHint : 1
; COMPUTE_PGM_RSRC2:SCRATCH_EN: 0
; COMPUTE_PGM_RSRC2:USER_SGPR: 6
; COMPUTE_PGM_RSRC2:TRAP_HANDLER: 0
; COMPUTE_PGM_RSRC2:TGID_X_EN: 1
; COMPUTE_PGM_RSRC2:TGID_Y_EN: 1
; COMPUTE_PGM_RSRC2:TGID_Z_EN: 1
; COMPUTE_PGM_RSRC2:TIDIG_COMP_CNT: 1
	.section	.text._ZL26rocblas_syr2k_her2k_kernelIiLb0ELb0ELb1ELi32EfPKPKfPKPfEvbiT_T4_T5_S7_lS9_S7_lT6_S7_li,"axG",@progbits,_ZL26rocblas_syr2k_her2k_kernelIiLb0ELb0ELb1ELi32EfPKPKfPKPfEvbiT_T4_T5_S7_lS9_S7_lT6_S7_li,comdat
	.globl	_ZL26rocblas_syr2k_her2k_kernelIiLb0ELb0ELb1ELi32EfPKPKfPKPfEvbiT_T4_T5_S7_lS9_S7_lT6_S7_li ; -- Begin function _ZL26rocblas_syr2k_her2k_kernelIiLb0ELb0ELb1ELi32EfPKPKfPKPfEvbiT_T4_T5_S7_lS9_S7_lT6_S7_li
	.p2align	8
	.type	_ZL26rocblas_syr2k_her2k_kernelIiLb0ELb0ELb1ELi32EfPKPKfPKPfEvbiT_T4_T5_S7_lS9_S7_lT6_S7_li,@function
_ZL26rocblas_syr2k_her2k_kernelIiLb0ELb0ELb1ELi32EfPKPKfPKPfEvbiT_T4_T5_S7_lS9_S7_lT6_S7_li: ; @_ZL26rocblas_syr2k_her2k_kernelIiLb0ELb0ELb1ELi32EfPKPKfPKPfEvbiT_T4_T5_S7_lS9_S7_lT6_S7_li
; %bb.0:
	s_load_dwordx4 s[12:15], s[4:5], 0x0
	s_waitcnt lgkmcnt(0)
	v_cmp_eq_f32_e64 s[0:1], s15, 0
	s_and_b64 vcc, exec, s[0:1]
	s_cbranch_vccnz .LBB463_11
; %bb.1:
	s_and_b32 s2, 1, s12
	s_lshl_b32 s0, s7, 5
	s_lshl_b32 s1, s6, 5
	s_cmp_eq_u32 s2, 1
	s_cselect_b64 vcc, -1, 0
	s_and_b64 s[2:3], vcc, exec
	s_cselect_b32 s2, s1, s0
	s_cselect_b32 s3, s0, s1
	s_cmp_gt_i32 s2, s3
	s_cbranch_scc1 .LBB463_11
; %bb.2:
	s_cmp_lt_i32 s14, 1
	s_cbranch_scc1 .LBB463_11
; %bb.3:
	s_mov_b32 s9, 0
	s_load_dwordx2 s[2:3], s[4:5], 0x10
	s_load_dword s12, s[4:5], 0x18
	s_load_dwordx4 s[16:19], s[4:5], 0x20
	s_load_dword s24, s[4:5], 0x30
	s_load_dwordx4 s[20:23], s[4:5], 0x38
	s_load_dword s25, s[4:5], 0x48
	s_lshl_b64 s[6:7], s[8:9], 3
	s_waitcnt lgkmcnt(0)
	s_add_u32 s2, s2, s6
	s_addc_u32 s3, s3, s7
	s_load_dwordx2 s[2:3], s[2:3], 0x0
	s_add_u32 s10, s18, s6
	v_add_u32_e32 v2, s1, v0
	s_addc_u32 s11, s19, s7
	v_add_u32_e32 v14, s0, v1
	v_mad_i64_i32 v[4:5], s[0:1], s12, v2, 0
	s_add_u32 s6, s22, s6
	s_addc_u32 s7, s23, s7
	s_load_dwordx2 s[10:11], s[10:11], 0x0
	s_nop 0
	s_load_dwordx2 s[18:19], s[6:7], 0x0
	s_load_dwordx2 s[22:23], s[4:5], 0x50
	s_lshl_b64 s[4:5], s[16:17], 2
	s_waitcnt lgkmcnt(0)
	s_add_u32 s4, s2, s4
	v_lshlrev_b64 v[4:5], 2, v[4:5]
	s_addc_u32 s5, s3, s5
	v_mov_b32_e32 v7, s5
	v_add_co_u32_e64 v6, s[0:1], s4, v4
	v_addc_co_u32_e64 v7, s[0:1], v7, v5, s[0:1]
	v_mad_i64_i32 v[4:5], s[0:1], s24, v14, 0
	s_lshl_b64 s[2:3], s[20:21], 2
	s_add_u32 s6, s10, s2
	s_addc_u32 s7, s11, s3
	s_lshl_b64 s[2:3], s[22:23], 2
	v_lshlrev_b64 v[4:5], 2, v[4:5]
	s_add_u32 s8, s18, s2
	s_addc_u32 s10, s19, s3
	v_mov_b32_e32 v11, s7
	v_add_co_u32_e64 v10, s[2:3], s6, v4
	v_addc_co_u32_e64 v11, s[2:3], v11, v5, s[2:3]
	v_mad_i64_i32 v[4:5], s[2:3], s25, v14, 0
	v_cndmask_b32_e32 v15, v2, v14, vcc
	v_cndmask_b32_e32 v16, v14, v2, vcc
	v_cmp_gt_i32_e32 vcc, s13, v2
	v_cmp_gt_i32_e64 s[0:1], s13, v14
	v_lshlrev_b64 v[4:5], 2, v[4:5]
	v_ashrrev_i32_e32 v3, 31, v2
	v_cmp_le_i32_e64 s[2:3], v16, v15
	s_and_b64 s[4:5], s[0:1], vcc
	s_and_b64 s[4:5], s[4:5], s[2:3]
	v_mov_b32_e32 v14, s10
	v_add_co_u32_e64 v4, s[2:3], s8, v4
	v_lshlrev_b64 v[2:3], 2, v[2:3]
	v_lshlrev_b32_e32 v8, 7, v0
	v_lshlrev_b32_e32 v12, 2, v1
	v_addc_co_u32_e64 v5, s[2:3], v14, v5, s[2:3]
	v_add_u32_e32 v9, v8, v12
	v_or_b32_e32 v12, 0x1000, v12
	v_add_co_u32_e64 v2, s[2:3], v4, v2
	v_add_u32_e32 v13, v12, v8
	v_addc_co_u32_e64 v3, s[2:3], v5, v3, s[2:3]
	v_add_u32_e32 v14, 0x400, v12
	v_add_u32_e32 v15, 0x800, v12
	;; [unrolled: 1-line block ×3, first 2 shown]
	s_branch .LBB463_5
.LBB463_4:                              ;   in Loop: Header=BB463_5 Depth=1
	s_or_b64 exec, exec, s[2:3]
	s_add_i32 s9, s9, 32
	s_cmp_lt_i32 s9, s14
	s_waitcnt vmcnt(0) lgkmcnt(0)
	s_barrier
	s_cbranch_scc0 .LBB463_11
.LBB463_5:                              ; =>This Inner Loop Header: Depth=1
	v_add_u32_e32 v4, s9, v1
	v_cmp_gt_i32_e64 s[2:3], s14, v4
	s_and_b64 s[2:3], vcc, s[2:3]
	v_mov_b32_e32 v5, 0
	s_and_saveexec_b64 s[6:7], s[2:3]
	s_cbranch_execz .LBB463_7
; %bb.6:                                ;   in Loop: Header=BB463_5 Depth=1
	v_ashrrev_i32_e32 v5, 31, v4
	v_lshlrev_b64 v[4:5], 2, v[4:5]
	v_add_co_u32_e64 v4, s[2:3], v6, v4
	v_addc_co_u32_e64 v5, s[2:3], v7, v5, s[2:3]
	flat_load_dword v5, v[4:5]
.LBB463_7:                              ;   in Loop: Header=BB463_5 Depth=1
	s_or_b64 exec, exec, s[6:7]
	v_add_u32_e32 v4, s9, v0
	v_cmp_gt_i32_e64 s[2:3], s14, v4
	s_waitcnt vmcnt(0) lgkmcnt(0)
	ds_write_b32 v9, v5
	s_and_b64 s[2:3], s[0:1], s[2:3]
	v_mov_b32_e32 v5, 0
	s_and_saveexec_b64 s[6:7], s[2:3]
	s_cbranch_execz .LBB463_9
; %bb.8:                                ;   in Loop: Header=BB463_5 Depth=1
	v_ashrrev_i32_e32 v5, 31, v4
	v_lshlrev_b64 v[4:5], 2, v[4:5]
	v_add_co_u32_e64 v4, s[2:3], v10, v4
	v_addc_co_u32_e64 v5, s[2:3], v11, v5, s[2:3]
	flat_load_dword v5, v[4:5]
.LBB463_9:                              ;   in Loop: Header=BB463_5 Depth=1
	s_or_b64 exec, exec, s[6:7]
	s_waitcnt vmcnt(0) lgkmcnt(0)
	ds_write_b32 v13, v5
	s_waitcnt lgkmcnt(0)
	s_barrier
	s_and_saveexec_b64 s[2:3], s[4:5]
	s_cbranch_execz .LBB463_4
; %bb.10:                               ;   in Loop: Header=BB463_5 Depth=1
	flat_load_dword v27, v[2:3]
	ds_read_b128 v[17:20], v8
	ds_read2_b32 v[4:5], v12 offset1:32
	ds_read2_b32 v[25:26], v12 offset0:64 offset1:96
	ds_read_b128 v[21:24], v8 offset:16
	s_waitcnt lgkmcnt(0)
	v_fma_f32 v28, v17, v4, 0
	v_fmac_f32_e32 v28, v18, v5
	ds_read2_b32 v[4:5], v12 offset0:128 offset1:160
	v_fmac_f32_e32 v28, v19, v25
	v_fmac_f32_e32 v28, v20, v26
	ds_read2_b32 v[25:26], v12 offset0:192 offset1:224
	ds_read_b128 v[17:20], v8 offset:32
	s_waitcnt lgkmcnt(0)
	v_fmac_f32_e32 v28, v21, v4
	v_fmac_f32_e32 v28, v22, v5
	ds_read2_b32 v[4:5], v14 offset1:32
	v_fmac_f32_e32 v28, v23, v25
	v_fmac_f32_e32 v28, v24, v26
	ds_read_b128 v[21:24], v8 offset:48
	ds_read2_b32 v[25:26], v14 offset0:64 offset1:96
	s_waitcnt lgkmcnt(0)
	v_fmac_f32_e32 v28, v17, v4
	v_fmac_f32_e32 v28, v18, v5
	ds_read2_b32 v[4:5], v14 offset0:128 offset1:160
	v_fmac_f32_e32 v28, v19, v25
	v_fmac_f32_e32 v28, v20, v26
	ds_read2_b32 v[25:26], v14 offset0:192 offset1:224
	s_waitcnt lgkmcnt(0)
	v_fmac_f32_e32 v28, v21, v4
	v_fmac_f32_e32 v28, v22, v5
	ds_read_b128 v[17:20], v8 offset:64
	ds_read2_b32 v[4:5], v15 offset1:32
	v_fmac_f32_e32 v28, v23, v25
	v_fmac_f32_e32 v28, v24, v26
	ds_read2_b32 v[25:26], v15 offset0:64 offset1:96
	ds_read_b128 v[21:24], v8 offset:80
	s_waitcnt lgkmcnt(0)
	v_fmac_f32_e32 v28, v17, v4
	v_fmac_f32_e32 v28, v18, v5
	ds_read2_b32 v[4:5], v15 offset0:128 offset1:160
	v_fmac_f32_e32 v28, v19, v25
	v_fmac_f32_e32 v28, v20, v26
	ds_read2_b32 v[25:26], v15 offset0:192 offset1:224
	s_waitcnt lgkmcnt(0)
	v_fmac_f32_e32 v28, v21, v4
	v_fmac_f32_e32 v28, v22, v5
	ds_read_b128 v[17:20], v8 offset:96
	ds_read2_b32 v[4:5], v16 offset1:32
	v_fmac_f32_e32 v28, v23, v25
	v_fmac_f32_e32 v28, v24, v26
	ds_read2_b32 v[25:26], v16 offset0:64 offset1:96
	ds_read_b128 v[21:24], v8 offset:112
	s_waitcnt lgkmcnt(0)
	v_fmac_f32_e32 v28, v17, v4
	v_fmac_f32_e32 v28, v18, v5
	ds_read2_b32 v[4:5], v16 offset0:128 offset1:160
	ds_read2_b32 v[17:18], v16 offset0:192 offset1:224
	v_fmac_f32_e32 v28, v19, v25
	v_fmac_f32_e32 v28, v20, v26
	s_waitcnt lgkmcnt(0)
	v_fmac_f32_e32 v28, v21, v4
	v_fmac_f32_e32 v28, v22, v5
	;; [unrolled: 1-line block ×4, first 2 shown]
	s_waitcnt vmcnt(0)
	v_fmac_f32_e32 v27, s15, v28
	flat_store_dword v[2:3], v27
	s_branch .LBB463_4
.LBB463_11:
	s_endpgm
	.section	.rodata,"a",@progbits
	.p2align	6, 0x0
	.amdhsa_kernel _ZL26rocblas_syr2k_her2k_kernelIiLb0ELb0ELb1ELi32EfPKPKfPKPfEvbiT_T4_T5_S7_lS9_S7_lT6_S7_li
		.amdhsa_group_segment_fixed_size 8192
		.amdhsa_private_segment_fixed_size 0
		.amdhsa_kernarg_size 92
		.amdhsa_user_sgpr_count 6
		.amdhsa_user_sgpr_private_segment_buffer 1
		.amdhsa_user_sgpr_dispatch_ptr 0
		.amdhsa_user_sgpr_queue_ptr 0
		.amdhsa_user_sgpr_kernarg_segment_ptr 1
		.amdhsa_user_sgpr_dispatch_id 0
		.amdhsa_user_sgpr_flat_scratch_init 0
		.amdhsa_user_sgpr_private_segment_size 0
		.amdhsa_uses_dynamic_stack 0
		.amdhsa_system_sgpr_private_segment_wavefront_offset 0
		.amdhsa_system_sgpr_workgroup_id_x 1
		.amdhsa_system_sgpr_workgroup_id_y 1
		.amdhsa_system_sgpr_workgroup_id_z 1
		.amdhsa_system_sgpr_workgroup_info 0
		.amdhsa_system_vgpr_workitem_id 1
		.amdhsa_next_free_vgpr 29
		.amdhsa_next_free_sgpr 61
		.amdhsa_reserve_vcc 1
		.amdhsa_reserve_flat_scratch 0
		.amdhsa_float_round_mode_32 0
		.amdhsa_float_round_mode_16_64 0
		.amdhsa_float_denorm_mode_32 3
		.amdhsa_float_denorm_mode_16_64 3
		.amdhsa_dx10_clamp 1
		.amdhsa_ieee_mode 1
		.amdhsa_fp16_overflow 0
		.amdhsa_exception_fp_ieee_invalid_op 0
		.amdhsa_exception_fp_denorm_src 0
		.amdhsa_exception_fp_ieee_div_zero 0
		.amdhsa_exception_fp_ieee_overflow 0
		.amdhsa_exception_fp_ieee_underflow 0
		.amdhsa_exception_fp_ieee_inexact 0
		.amdhsa_exception_int_div_zero 0
	.end_amdhsa_kernel
	.section	.text._ZL26rocblas_syr2k_her2k_kernelIiLb0ELb0ELb1ELi32EfPKPKfPKPfEvbiT_T4_T5_S7_lS9_S7_lT6_S7_li,"axG",@progbits,_ZL26rocblas_syr2k_her2k_kernelIiLb0ELb0ELb1ELi32EfPKPKfPKPfEvbiT_T4_T5_S7_lS9_S7_lT6_S7_li,comdat
.Lfunc_end463:
	.size	_ZL26rocblas_syr2k_her2k_kernelIiLb0ELb0ELb1ELi32EfPKPKfPKPfEvbiT_T4_T5_S7_lS9_S7_lT6_S7_li, .Lfunc_end463-_ZL26rocblas_syr2k_her2k_kernelIiLb0ELb0ELb1ELi32EfPKPKfPKPfEvbiT_T4_T5_S7_lS9_S7_lT6_S7_li
                                        ; -- End function
	.set _ZL26rocblas_syr2k_her2k_kernelIiLb0ELb0ELb1ELi32EfPKPKfPKPfEvbiT_T4_T5_S7_lS9_S7_lT6_S7_li.num_vgpr, 29
	.set _ZL26rocblas_syr2k_her2k_kernelIiLb0ELb0ELb1ELi32EfPKPKfPKPfEvbiT_T4_T5_S7_lS9_S7_lT6_S7_li.num_agpr, 0
	.set _ZL26rocblas_syr2k_her2k_kernelIiLb0ELb0ELb1ELi32EfPKPKfPKPfEvbiT_T4_T5_S7_lS9_S7_lT6_S7_li.numbered_sgpr, 26
	.set _ZL26rocblas_syr2k_her2k_kernelIiLb0ELb0ELb1ELi32EfPKPKfPKPfEvbiT_T4_T5_S7_lS9_S7_lT6_S7_li.num_named_barrier, 0
	.set _ZL26rocblas_syr2k_her2k_kernelIiLb0ELb0ELb1ELi32EfPKPKfPKPfEvbiT_T4_T5_S7_lS9_S7_lT6_S7_li.private_seg_size, 0
	.set _ZL26rocblas_syr2k_her2k_kernelIiLb0ELb0ELb1ELi32EfPKPKfPKPfEvbiT_T4_T5_S7_lS9_S7_lT6_S7_li.uses_vcc, 1
	.set _ZL26rocblas_syr2k_her2k_kernelIiLb0ELb0ELb1ELi32EfPKPKfPKPfEvbiT_T4_T5_S7_lS9_S7_lT6_S7_li.uses_flat_scratch, 0
	.set _ZL26rocblas_syr2k_her2k_kernelIiLb0ELb0ELb1ELi32EfPKPKfPKPfEvbiT_T4_T5_S7_lS9_S7_lT6_S7_li.has_dyn_sized_stack, 0
	.set _ZL26rocblas_syr2k_her2k_kernelIiLb0ELb0ELb1ELi32EfPKPKfPKPfEvbiT_T4_T5_S7_lS9_S7_lT6_S7_li.has_recursion, 0
	.set _ZL26rocblas_syr2k_her2k_kernelIiLb0ELb0ELb1ELi32EfPKPKfPKPfEvbiT_T4_T5_S7_lS9_S7_lT6_S7_li.has_indirect_call, 0
	.section	.AMDGPU.csdata,"",@progbits
; Kernel info:
; codeLenInByte = 1056
; TotalNumSgprs: 30
; NumVgprs: 29
; ScratchSize: 0
; MemoryBound: 0
; FloatMode: 240
; IeeeMode: 1
; LDSByteSize: 8192 bytes/workgroup (compile time only)
; SGPRBlocks: 8
; VGPRBlocks: 7
; NumSGPRsForWavesPerEU: 65
; NumVGPRsForWavesPerEU: 29
; Occupancy: 8
; WaveLimiterHint : 1
; COMPUTE_PGM_RSRC2:SCRATCH_EN: 0
; COMPUTE_PGM_RSRC2:USER_SGPR: 6
; COMPUTE_PGM_RSRC2:TRAP_HANDLER: 0
; COMPUTE_PGM_RSRC2:TGID_X_EN: 1
; COMPUTE_PGM_RSRC2:TGID_Y_EN: 1
; COMPUTE_PGM_RSRC2:TGID_Z_EN: 1
; COMPUTE_PGM_RSRC2:TIDIG_COMP_CNT: 1
	.section	.text._ZL37rocblas_syrkx_herkx_restricted_kernelIifLi16ELi32ELi8ELi1ELi1ELb0ELc84ELc76EKPKfKPfEviT_PT9_S5_lS7_S5_lPT10_S5_li,"axG",@progbits,_ZL37rocblas_syrkx_herkx_restricted_kernelIifLi16ELi32ELi8ELi1ELi1ELb0ELc84ELc76EKPKfKPfEviT_PT9_S5_lS7_S5_lPT10_S5_li,comdat
	.globl	_ZL37rocblas_syrkx_herkx_restricted_kernelIifLi16ELi32ELi8ELi1ELi1ELb0ELc84ELc76EKPKfKPfEviT_PT9_S5_lS7_S5_lPT10_S5_li ; -- Begin function _ZL37rocblas_syrkx_herkx_restricted_kernelIifLi16ELi32ELi8ELi1ELi1ELb0ELc84ELc76EKPKfKPfEviT_PT9_S5_lS7_S5_lPT10_S5_li
	.p2align	8
	.type	_ZL37rocblas_syrkx_herkx_restricted_kernelIifLi16ELi32ELi8ELi1ELi1ELb0ELc84ELc76EKPKfKPfEviT_PT9_S5_lS7_S5_lPT10_S5_li,@function
_ZL37rocblas_syrkx_herkx_restricted_kernelIifLi16ELi32ELi8ELi1ELi1ELb0ELc84ELc76EKPKfKPfEviT_PT9_S5_lS7_S5_lPT10_S5_li: ; @_ZL37rocblas_syrkx_herkx_restricted_kernelIifLi16ELi32ELi8ELi1ELi1ELb0ELc84ELc76EKPKfKPfEviT_PT9_S5_lS7_S5_lPT10_S5_li
; %bb.0:
	s_load_dwordx2 s[2:3], s[4:5], 0x38
	s_load_dwordx2 s[12:13], s[4:5], 0x0
	s_mov_b32 s9, 0
	s_lshl_b64 s[0:1], s[8:9], 3
	s_waitcnt lgkmcnt(0)
	s_add_u32 s2, s2, s0
	s_addc_u32 s3, s3, s1
	s_load_dwordx2 s[10:11], s[2:3], 0x0
	s_lshl_b32 s2, s6, 5
	s_lshl_b32 s3, s7, 5
	s_cmp_lt_i32 s13, 1
	s_cbranch_scc1 .LBB464_3
; %bb.1:
	s_load_dwordx2 s[6:7], s[4:5], 0x8
	s_load_dword s8, s[4:5], 0x10
	s_load_dwordx2 s[14:15], s[4:5], 0x20
	s_load_dword s16, s[4:5], 0x28
	v_lshl_add_u32 v4, v1, 4, v0
	s_waitcnt lgkmcnt(0)
	s_add_u32 s6, s6, s0
	s_addc_u32 s7, s7, s1
	v_lshrrev_b32_e32 v8, 3, v4
	s_add_u32 s0, s14, s0
	v_add_u32_e32 v5, s3, v8
	v_and_b32_e32 v2, 7, v0
	v_mov_b32_e32 v3, 0
	s_addc_u32 s1, s15, s1
	v_mad_i64_i32 v[6:7], s[14:15], s16, v5, v[2:3]
	v_lshlrev_b32_e32 v2, 2, v2
	v_and_b32_e32 v9, 31, v4
	v_lshl_or_b32 v2, v8, 5, v2
	v_lshrrev_b32_e32 v4, 5, v4
	v_mov_b32_e32 v5, v3
	v_lshlrev_b32_e32 v10, 2, v9
	v_add_u32_e32 v11, 0x400, v2
	v_add_u32_e32 v2, s2, v9
	v_lshl_or_b32 v10, v4, 7, v10
	v_mad_i64_i32 v[4:5], s[14:15], s8, v2, v[4:5]
	s_load_dwordx2 s[6:7], s[6:7], 0x0
	v_mov_b32_e32 v2, 0x400
	s_load_dwordx2 s[0:1], s[0:1], 0x0
	v_lshlrev_b64 v[4:5], 2, v[4:5]
	v_lshl_add_u32 v13, v1, 5, v2
	s_waitcnt lgkmcnt(0)
	v_mov_b32_e32 v2, s7
	v_add_co_u32_e32 v4, vcc, s6, v4
	v_lshlrev_b64 v[6:7], 2, v[6:7]
	v_addc_co_u32_e32 v5, vcc, v2, v5, vcc
	v_mov_b32_e32 v2, s1
	v_add_co_u32_e32 v6, vcc, s0, v6
	v_lshlrev_b32_e32 v12, 2, v0
	v_addc_co_u32_e32 v7, vcc, v2, v7, vcc
	v_mov_b32_e32 v2, v3
	v_mov_b32_e32 v8, v3
	;; [unrolled: 1-line block ×3, first 2 shown]
.LBB464_2:                              ; =>This Inner Loop Header: Depth=1
	flat_load_dword v14, v[4:5]
	v_add_co_u32_e32 v4, vcc, 32, v4
	v_addc_co_u32_e32 v5, vcc, 0, v5, vcc
	s_add_i32 s9, s9, 8
	s_cmp_ge_i32 s9, s13
	s_waitcnt vmcnt(0) lgkmcnt(0)
	ds_write_b32 v10, v14
	flat_load_dword v14, v[6:7]
	v_add_co_u32_e32 v6, vcc, 32, v6
	v_addc_co_u32_e32 v7, vcc, 0, v7, vcc
	s_waitcnt vmcnt(0) lgkmcnt(0)
	ds_write_b32 v11, v14
	s_waitcnt lgkmcnt(0)
	s_barrier
	ds_read2_b32 v[26:27], v12 offset1:16
	ds_read_b128 v[14:17], v13
	ds_read2_b32 v[28:29], v12 offset0:32 offset1:48
	ds_read2_b32 v[30:31], v12 offset0:64 offset1:80
	ds_read_b128 v[18:21], v13 offset:16
	ds_read2_b32 v[32:33], v12 offset0:96 offset1:112
	s_waitcnt lgkmcnt(4)
	v_fmac_f32_e32 v9, v26, v14
	v_fmac_f32_e32 v8, v27, v14
	s_waitcnt lgkmcnt(3)
	v_fmac_f32_e32 v9, v28, v15
	v_fmac_f32_e32 v8, v29, v15
	;; [unrolled: 3-line block ×4, first 2 shown]
	ds_read_b128 v[14:17], v13 offset:512
	ds_read_b128 v[22:25], v13 offset:528
	s_waitcnt lgkmcnt(1)
	v_fmac_f32_e32 v2, v26, v14
	v_fmac_f32_e32 v3, v27, v14
	;; [unrolled: 1-line block ×8, first 2 shown]
	ds_read2_b32 v[14:15], v12 offset0:128 offset1:144
	ds_read2_b32 v[16:17], v12 offset0:160 offset1:176
	;; [unrolled: 1-line block ×3, first 2 shown]
	s_waitcnt lgkmcnt(2)
	v_fmac_f32_e32 v9, v14, v18
	v_fmac_f32_e32 v8, v15, v18
	v_fmac_f32_e32 v2, v14, v22
	v_fmac_f32_e32 v3, v15, v22
	ds_read2_b32 v[14:15], v12 offset0:224 offset1:240
	s_waitcnt lgkmcnt(2)
	v_fmac_f32_e32 v9, v16, v19
	v_fmac_f32_e32 v8, v17, v19
	v_fmac_f32_e32 v2, v16, v23
	v_fmac_f32_e32 v3, v17, v23
	s_waitcnt lgkmcnt(1)
	v_fmac_f32_e32 v9, v26, v20
	v_fmac_f32_e32 v8, v27, v20
	v_fmac_f32_e32 v2, v26, v24
	v_fmac_f32_e32 v3, v27, v24
	;; [unrolled: 5-line block ×3, first 2 shown]
	s_barrier
	s_cbranch_scc0 .LBB464_2
	s_branch .LBB464_4
.LBB464_3:
	v_mov_b32_e32 v9, 0
	v_mov_b32_e32 v8, 0
	;; [unrolled: 1-line block ×4, first 2 shown]
.LBB464_4:
	s_load_dword s6, s[4:5], 0x40
	v_add_u32_e32 v6, s3, v1
	s_waitcnt lgkmcnt(0)
	v_mov_b32_e32 v1, s11
	v_add_u32_e32 v0, s2, v0
	v_mad_i64_i32 v[4:5], s[0:1], v6, s6, 0
	v_cmp_le_i32_e64 s[0:1], v6, v0
	v_lshlrev_b64 v[4:5], 2, v[4:5]
	v_add_co_u32_e32 v7, vcc, s10, v4
	v_addc_co_u32_e32 v10, vcc, v1, v5, vcc
	v_cmp_gt_i32_e32 vcc, s12, v0
	s_and_b64 s[0:1], s[0:1], vcc
	s_and_saveexec_b64 s[2:3], s[0:1]
	s_cbranch_execz .LBB464_6
; %bb.5:
	v_ashrrev_i32_e32 v1, 31, v0
	v_lshlrev_b64 v[4:5], 2, v[0:1]
	v_add_co_u32_e64 v4, s[0:1], v7, v4
	v_addc_co_u32_e64 v5, s[0:1], v10, v5, s[0:1]
	flat_load_dword v1, v[4:5]
	s_waitcnt vmcnt(0) lgkmcnt(0)
	v_add_f32_e32 v1, v9, v1
	flat_store_dword v[4:5], v1
.LBB464_6:
	s_or_b64 exec, exec, s[2:3]
	v_add_u32_e32 v4, 16, v0
	v_cmp_le_i32_e64 s[2:3], v6, v4
	v_cmp_gt_i32_e64 s[0:1], s12, v4
	s_and_b64 s[2:3], s[2:3], s[0:1]
	s_and_saveexec_b64 s[4:5], s[2:3]
	s_cbranch_execz .LBB464_8
; %bb.7:
	v_ashrrev_i32_e32 v5, 31, v4
	v_lshlrev_b64 v[11:12], 2, v[4:5]
	v_add_co_u32_e64 v9, s[2:3], v7, v11
	v_addc_co_u32_e64 v10, s[2:3], v10, v12, s[2:3]
	flat_load_dword v1, v[9:10]
	s_waitcnt vmcnt(0) lgkmcnt(0)
	v_add_f32_e32 v1, v8, v1
	flat_store_dword v[9:10], v1
.LBB464_8:
	s_or_b64 exec, exec, s[4:5]
	v_add_u32_e32 v5, 16, v6
	v_mad_i64_i32 v[6:7], s[2:3], v5, s6, 0
	v_mov_b32_e32 v1, s11
	v_lshlrev_b64 v[6:7], 2, v[6:7]
	v_add_co_u32_e64 v6, s[2:3], s10, v6
	v_addc_co_u32_e64 v7, s[2:3], v1, v7, s[2:3]
	v_cmp_le_i32_e64 s[2:3], v5, v0
	s_and_b64 s[4:5], s[2:3], vcc
	s_and_saveexec_b64 s[2:3], s[4:5]
	s_cbranch_execz .LBB464_10
; %bb.9:
	v_ashrrev_i32_e32 v1, 31, v0
	v_lshlrev_b64 v[0:1], 2, v[0:1]
	v_add_co_u32_e32 v0, vcc, v6, v0
	v_addc_co_u32_e32 v1, vcc, v7, v1, vcc
	flat_load_dword v8, v[0:1]
	s_waitcnt vmcnt(0) lgkmcnt(0)
	v_add_f32_e32 v2, v2, v8
	flat_store_dword v[0:1], v2
.LBB464_10:
	s_or_b64 exec, exec, s[2:3]
	v_cmp_le_i32_e32 vcc, v5, v4
	s_and_b64 s[0:1], vcc, s[0:1]
	s_and_saveexec_b64 s[2:3], s[0:1]
	s_cbranch_execz .LBB464_12
; %bb.11:
	v_ashrrev_i32_e32 v5, 31, v4
	v_lshlrev_b64 v[0:1], 2, v[4:5]
	v_add_co_u32_e32 v0, vcc, v6, v0
	v_addc_co_u32_e32 v1, vcc, v7, v1, vcc
	flat_load_dword v2, v[0:1]
	s_waitcnt vmcnt(0) lgkmcnt(0)
	v_add_f32_e32 v2, v3, v2
	flat_store_dword v[0:1], v2
.LBB464_12:
	s_endpgm
	.section	.rodata,"a",@progbits
	.p2align	6, 0x0
	.amdhsa_kernel _ZL37rocblas_syrkx_herkx_restricted_kernelIifLi16ELi32ELi8ELi1ELi1ELb0ELc84ELc76EKPKfKPfEviT_PT9_S5_lS7_S5_lPT10_S5_li
		.amdhsa_group_segment_fixed_size 2048
		.amdhsa_private_segment_fixed_size 0
		.amdhsa_kernarg_size 84
		.amdhsa_user_sgpr_count 6
		.amdhsa_user_sgpr_private_segment_buffer 1
		.amdhsa_user_sgpr_dispatch_ptr 0
		.amdhsa_user_sgpr_queue_ptr 0
		.amdhsa_user_sgpr_kernarg_segment_ptr 1
		.amdhsa_user_sgpr_dispatch_id 0
		.amdhsa_user_sgpr_flat_scratch_init 0
		.amdhsa_user_sgpr_private_segment_size 0
		.amdhsa_uses_dynamic_stack 0
		.amdhsa_system_sgpr_private_segment_wavefront_offset 0
		.amdhsa_system_sgpr_workgroup_id_x 1
		.amdhsa_system_sgpr_workgroup_id_y 1
		.amdhsa_system_sgpr_workgroup_id_z 1
		.amdhsa_system_sgpr_workgroup_info 0
		.amdhsa_system_vgpr_workitem_id 1
		.amdhsa_next_free_vgpr 34
		.amdhsa_next_free_sgpr 17
		.amdhsa_reserve_vcc 1
		.amdhsa_reserve_flat_scratch 0
		.amdhsa_float_round_mode_32 0
		.amdhsa_float_round_mode_16_64 0
		.amdhsa_float_denorm_mode_32 3
		.amdhsa_float_denorm_mode_16_64 3
		.amdhsa_dx10_clamp 1
		.amdhsa_ieee_mode 1
		.amdhsa_fp16_overflow 0
		.amdhsa_exception_fp_ieee_invalid_op 0
		.amdhsa_exception_fp_denorm_src 0
		.amdhsa_exception_fp_ieee_div_zero 0
		.amdhsa_exception_fp_ieee_overflow 0
		.amdhsa_exception_fp_ieee_underflow 0
		.amdhsa_exception_fp_ieee_inexact 0
		.amdhsa_exception_int_div_zero 0
	.end_amdhsa_kernel
	.section	.text._ZL37rocblas_syrkx_herkx_restricted_kernelIifLi16ELi32ELi8ELi1ELi1ELb0ELc84ELc76EKPKfKPfEviT_PT9_S5_lS7_S5_lPT10_S5_li,"axG",@progbits,_ZL37rocblas_syrkx_herkx_restricted_kernelIifLi16ELi32ELi8ELi1ELi1ELb0ELc84ELc76EKPKfKPfEviT_PT9_S5_lS7_S5_lPT10_S5_li,comdat
.Lfunc_end464:
	.size	_ZL37rocblas_syrkx_herkx_restricted_kernelIifLi16ELi32ELi8ELi1ELi1ELb0ELc84ELc76EKPKfKPfEviT_PT9_S5_lS7_S5_lPT10_S5_li, .Lfunc_end464-_ZL37rocblas_syrkx_herkx_restricted_kernelIifLi16ELi32ELi8ELi1ELi1ELb0ELc84ELc76EKPKfKPfEviT_PT9_S5_lS7_S5_lPT10_S5_li
                                        ; -- End function
	.set _ZL37rocblas_syrkx_herkx_restricted_kernelIifLi16ELi32ELi8ELi1ELi1ELb0ELc84ELc76EKPKfKPfEviT_PT9_S5_lS7_S5_lPT10_S5_li.num_vgpr, 34
	.set _ZL37rocblas_syrkx_herkx_restricted_kernelIifLi16ELi32ELi8ELi1ELi1ELb0ELc84ELc76EKPKfKPfEviT_PT9_S5_lS7_S5_lPT10_S5_li.num_agpr, 0
	.set _ZL37rocblas_syrkx_herkx_restricted_kernelIifLi16ELi32ELi8ELi1ELi1ELb0ELc84ELc76EKPKfKPfEviT_PT9_S5_lS7_S5_lPT10_S5_li.numbered_sgpr, 17
	.set _ZL37rocblas_syrkx_herkx_restricted_kernelIifLi16ELi32ELi8ELi1ELi1ELb0ELc84ELc76EKPKfKPfEviT_PT9_S5_lS7_S5_lPT10_S5_li.num_named_barrier, 0
	.set _ZL37rocblas_syrkx_herkx_restricted_kernelIifLi16ELi32ELi8ELi1ELi1ELb0ELc84ELc76EKPKfKPfEviT_PT9_S5_lS7_S5_lPT10_S5_li.private_seg_size, 0
	.set _ZL37rocblas_syrkx_herkx_restricted_kernelIifLi16ELi32ELi8ELi1ELi1ELb0ELc84ELc76EKPKfKPfEviT_PT9_S5_lS7_S5_lPT10_S5_li.uses_vcc, 1
	.set _ZL37rocblas_syrkx_herkx_restricted_kernelIifLi16ELi32ELi8ELi1ELi1ELb0ELc84ELc76EKPKfKPfEviT_PT9_S5_lS7_S5_lPT10_S5_li.uses_flat_scratch, 0
	.set _ZL37rocblas_syrkx_herkx_restricted_kernelIifLi16ELi32ELi8ELi1ELi1ELb0ELc84ELc76EKPKfKPfEviT_PT9_S5_lS7_S5_lPT10_S5_li.has_dyn_sized_stack, 0
	.set _ZL37rocblas_syrkx_herkx_restricted_kernelIifLi16ELi32ELi8ELi1ELi1ELb0ELc84ELc76EKPKfKPfEviT_PT9_S5_lS7_S5_lPT10_S5_li.has_recursion, 0
	.set _ZL37rocblas_syrkx_herkx_restricted_kernelIifLi16ELi32ELi8ELi1ELi1ELb0ELc84ELc76EKPKfKPfEviT_PT9_S5_lS7_S5_lPT10_S5_li.has_indirect_call, 0
	.section	.AMDGPU.csdata,"",@progbits
; Kernel info:
; codeLenInByte = 1040
; TotalNumSgprs: 21
; NumVgprs: 34
; ScratchSize: 0
; MemoryBound: 0
; FloatMode: 240
; IeeeMode: 1
; LDSByteSize: 2048 bytes/workgroup (compile time only)
; SGPRBlocks: 2
; VGPRBlocks: 8
; NumSGPRsForWavesPerEU: 21
; NumVGPRsForWavesPerEU: 34
; Occupancy: 7
; WaveLimiterHint : 1
; COMPUTE_PGM_RSRC2:SCRATCH_EN: 0
; COMPUTE_PGM_RSRC2:USER_SGPR: 6
; COMPUTE_PGM_RSRC2:TRAP_HANDLER: 0
; COMPUTE_PGM_RSRC2:TGID_X_EN: 1
; COMPUTE_PGM_RSRC2:TGID_Y_EN: 1
; COMPUTE_PGM_RSRC2:TGID_Z_EN: 1
; COMPUTE_PGM_RSRC2:TIDIG_COMP_CNT: 1
	.section	.text._ZL37rocblas_syrkx_herkx_restricted_kernelIifLi16ELi32ELi8ELi1ELi1ELb0ELc67ELc76EKPKfKPfEviT_PT9_S5_lS7_S5_lPT10_S5_li,"axG",@progbits,_ZL37rocblas_syrkx_herkx_restricted_kernelIifLi16ELi32ELi8ELi1ELi1ELb0ELc67ELc76EKPKfKPfEviT_PT9_S5_lS7_S5_lPT10_S5_li,comdat
	.globl	_ZL37rocblas_syrkx_herkx_restricted_kernelIifLi16ELi32ELi8ELi1ELi1ELb0ELc67ELc76EKPKfKPfEviT_PT9_S5_lS7_S5_lPT10_S5_li ; -- Begin function _ZL37rocblas_syrkx_herkx_restricted_kernelIifLi16ELi32ELi8ELi1ELi1ELb0ELc67ELc76EKPKfKPfEviT_PT9_S5_lS7_S5_lPT10_S5_li
	.p2align	8
	.type	_ZL37rocblas_syrkx_herkx_restricted_kernelIifLi16ELi32ELi8ELi1ELi1ELb0ELc67ELc76EKPKfKPfEviT_PT9_S5_lS7_S5_lPT10_S5_li,@function
_ZL37rocblas_syrkx_herkx_restricted_kernelIifLi16ELi32ELi8ELi1ELi1ELb0ELc67ELc76EKPKfKPfEviT_PT9_S5_lS7_S5_lPT10_S5_li: ; @_ZL37rocblas_syrkx_herkx_restricted_kernelIifLi16ELi32ELi8ELi1ELi1ELb0ELc67ELc76EKPKfKPfEviT_PT9_S5_lS7_S5_lPT10_S5_li
; %bb.0:
	s_load_dwordx2 s[2:3], s[4:5], 0x38
	s_load_dwordx2 s[12:13], s[4:5], 0x0
	s_mov_b32 s9, 0
	s_lshl_b64 s[0:1], s[8:9], 3
	s_waitcnt lgkmcnt(0)
	s_add_u32 s2, s2, s0
	s_addc_u32 s3, s3, s1
	s_load_dwordx2 s[10:11], s[2:3], 0x0
	s_lshl_b32 s2, s6, 5
	s_lshl_b32 s3, s7, 5
	s_cmp_lt_i32 s13, 1
	s_cbranch_scc1 .LBB465_3
; %bb.1:
	s_load_dwordx2 s[6:7], s[4:5], 0x8
	s_load_dword s8, s[4:5], 0x10
	s_load_dwordx2 s[14:15], s[4:5], 0x20
	s_load_dword s16, s[4:5], 0x28
	v_lshl_add_u32 v4, v1, 4, v0
	s_waitcnt lgkmcnt(0)
	s_add_u32 s6, s6, s0
	s_addc_u32 s7, s7, s1
	v_lshrrev_b32_e32 v8, 3, v4
	s_add_u32 s0, s14, s0
	v_add_u32_e32 v5, s3, v8
	v_and_b32_e32 v2, 7, v0
	v_mov_b32_e32 v3, 0
	s_addc_u32 s1, s15, s1
	v_mad_i64_i32 v[6:7], s[14:15], s16, v5, v[2:3]
	v_lshlrev_b32_e32 v2, 2, v2
	v_and_b32_e32 v9, 31, v4
	v_lshl_or_b32 v2, v8, 5, v2
	v_lshrrev_b32_e32 v4, 5, v4
	v_mov_b32_e32 v5, v3
	v_lshlrev_b32_e32 v10, 2, v9
	v_add_u32_e32 v11, 0x400, v2
	v_add_u32_e32 v2, s2, v9
	v_lshl_or_b32 v10, v4, 7, v10
	v_mad_i64_i32 v[4:5], s[14:15], s8, v2, v[4:5]
	s_load_dwordx2 s[6:7], s[6:7], 0x0
	v_mov_b32_e32 v2, 0x400
	s_load_dwordx2 s[0:1], s[0:1], 0x0
	v_lshlrev_b64 v[4:5], 2, v[4:5]
	v_lshl_add_u32 v13, v1, 5, v2
	s_waitcnt lgkmcnt(0)
	v_mov_b32_e32 v2, s7
	v_add_co_u32_e32 v4, vcc, s6, v4
	v_lshlrev_b64 v[6:7], 2, v[6:7]
	v_addc_co_u32_e32 v5, vcc, v2, v5, vcc
	v_mov_b32_e32 v2, s1
	v_add_co_u32_e32 v6, vcc, s0, v6
	v_lshlrev_b32_e32 v12, 2, v0
	v_addc_co_u32_e32 v7, vcc, v2, v7, vcc
	v_mov_b32_e32 v2, v3
	v_mov_b32_e32 v8, v3
	v_mov_b32_e32 v9, v3
.LBB465_2:                              ; =>This Inner Loop Header: Depth=1
	flat_load_dword v14, v[4:5]
	v_add_co_u32_e32 v4, vcc, 32, v4
	v_addc_co_u32_e32 v5, vcc, 0, v5, vcc
	s_add_i32 s9, s9, 8
	s_cmp_ge_i32 s9, s13
	s_waitcnt vmcnt(0) lgkmcnt(0)
	ds_write_b32 v10, v14
	flat_load_dword v14, v[6:7]
	v_add_co_u32_e32 v6, vcc, 32, v6
	v_addc_co_u32_e32 v7, vcc, 0, v7, vcc
	s_waitcnt vmcnt(0) lgkmcnt(0)
	ds_write_b32 v11, v14
	s_waitcnt lgkmcnt(0)
	s_barrier
	ds_read2_b32 v[26:27], v12 offset1:16
	ds_read_b128 v[14:17], v13
	ds_read2_b32 v[28:29], v12 offset0:32 offset1:48
	ds_read2_b32 v[30:31], v12 offset0:64 offset1:80
	ds_read_b128 v[18:21], v13 offset:16
	ds_read2_b32 v[32:33], v12 offset0:96 offset1:112
	s_waitcnt lgkmcnt(4)
	v_fmac_f32_e32 v9, v26, v14
	v_fmac_f32_e32 v8, v27, v14
	s_waitcnt lgkmcnt(3)
	v_fmac_f32_e32 v9, v28, v15
	v_fmac_f32_e32 v8, v29, v15
	;; [unrolled: 3-line block ×4, first 2 shown]
	ds_read_b128 v[14:17], v13 offset:512
	ds_read_b128 v[22:25], v13 offset:528
	s_waitcnt lgkmcnt(1)
	v_fmac_f32_e32 v2, v26, v14
	v_fmac_f32_e32 v3, v27, v14
	;; [unrolled: 1-line block ×8, first 2 shown]
	ds_read2_b32 v[14:15], v12 offset0:128 offset1:144
	ds_read2_b32 v[16:17], v12 offset0:160 offset1:176
	;; [unrolled: 1-line block ×3, first 2 shown]
	s_waitcnt lgkmcnt(2)
	v_fmac_f32_e32 v9, v14, v18
	v_fmac_f32_e32 v8, v15, v18
	v_fmac_f32_e32 v2, v14, v22
	v_fmac_f32_e32 v3, v15, v22
	ds_read2_b32 v[14:15], v12 offset0:224 offset1:240
	s_waitcnt lgkmcnt(2)
	v_fmac_f32_e32 v9, v16, v19
	v_fmac_f32_e32 v8, v17, v19
	v_fmac_f32_e32 v2, v16, v23
	v_fmac_f32_e32 v3, v17, v23
	s_waitcnt lgkmcnt(1)
	v_fmac_f32_e32 v9, v26, v20
	v_fmac_f32_e32 v8, v27, v20
	v_fmac_f32_e32 v2, v26, v24
	v_fmac_f32_e32 v3, v27, v24
	;; [unrolled: 5-line block ×3, first 2 shown]
	s_barrier
	s_cbranch_scc0 .LBB465_2
	s_branch .LBB465_4
.LBB465_3:
	v_mov_b32_e32 v9, 0
	v_mov_b32_e32 v8, 0
	;; [unrolled: 1-line block ×4, first 2 shown]
.LBB465_4:
	s_load_dword s6, s[4:5], 0x40
	v_add_u32_e32 v6, s3, v1
	s_waitcnt lgkmcnt(0)
	v_mov_b32_e32 v1, s11
	v_add_u32_e32 v0, s2, v0
	v_mad_i64_i32 v[4:5], s[0:1], v6, s6, 0
	v_cmp_le_i32_e64 s[0:1], v6, v0
	v_lshlrev_b64 v[4:5], 2, v[4:5]
	v_add_co_u32_e32 v7, vcc, s10, v4
	v_addc_co_u32_e32 v10, vcc, v1, v5, vcc
	v_cmp_gt_i32_e32 vcc, s12, v0
	s_and_b64 s[0:1], s[0:1], vcc
	s_and_saveexec_b64 s[2:3], s[0:1]
	s_cbranch_execz .LBB465_6
; %bb.5:
	v_ashrrev_i32_e32 v1, 31, v0
	v_lshlrev_b64 v[4:5], 2, v[0:1]
	v_add_co_u32_e64 v4, s[0:1], v7, v4
	v_addc_co_u32_e64 v5, s[0:1], v10, v5, s[0:1]
	flat_load_dword v1, v[4:5]
	s_waitcnt vmcnt(0) lgkmcnt(0)
	v_add_f32_e32 v1, v9, v1
	flat_store_dword v[4:5], v1
.LBB465_6:
	s_or_b64 exec, exec, s[2:3]
	v_add_u32_e32 v4, 16, v0
	v_cmp_le_i32_e64 s[2:3], v6, v4
	v_cmp_gt_i32_e64 s[0:1], s12, v4
	s_and_b64 s[2:3], s[2:3], s[0:1]
	s_and_saveexec_b64 s[4:5], s[2:3]
	s_cbranch_execz .LBB465_8
; %bb.7:
	v_ashrrev_i32_e32 v5, 31, v4
	v_lshlrev_b64 v[11:12], 2, v[4:5]
	v_add_co_u32_e64 v9, s[2:3], v7, v11
	v_addc_co_u32_e64 v10, s[2:3], v10, v12, s[2:3]
	flat_load_dword v1, v[9:10]
	s_waitcnt vmcnt(0) lgkmcnt(0)
	v_add_f32_e32 v1, v8, v1
	flat_store_dword v[9:10], v1
.LBB465_8:
	s_or_b64 exec, exec, s[4:5]
	v_add_u32_e32 v5, 16, v6
	v_mad_i64_i32 v[6:7], s[2:3], v5, s6, 0
	v_mov_b32_e32 v1, s11
	v_lshlrev_b64 v[6:7], 2, v[6:7]
	v_add_co_u32_e64 v6, s[2:3], s10, v6
	v_addc_co_u32_e64 v7, s[2:3], v1, v7, s[2:3]
	v_cmp_le_i32_e64 s[2:3], v5, v0
	s_and_b64 s[4:5], s[2:3], vcc
	s_and_saveexec_b64 s[2:3], s[4:5]
	s_cbranch_execz .LBB465_10
; %bb.9:
	v_ashrrev_i32_e32 v1, 31, v0
	v_lshlrev_b64 v[0:1], 2, v[0:1]
	v_add_co_u32_e32 v0, vcc, v6, v0
	v_addc_co_u32_e32 v1, vcc, v7, v1, vcc
	flat_load_dword v8, v[0:1]
	s_waitcnt vmcnt(0) lgkmcnt(0)
	v_add_f32_e32 v2, v2, v8
	flat_store_dword v[0:1], v2
.LBB465_10:
	s_or_b64 exec, exec, s[2:3]
	v_cmp_le_i32_e32 vcc, v5, v4
	s_and_b64 s[0:1], vcc, s[0:1]
	s_and_saveexec_b64 s[2:3], s[0:1]
	s_cbranch_execz .LBB465_12
; %bb.11:
	v_ashrrev_i32_e32 v5, 31, v4
	v_lshlrev_b64 v[0:1], 2, v[4:5]
	v_add_co_u32_e32 v0, vcc, v6, v0
	v_addc_co_u32_e32 v1, vcc, v7, v1, vcc
	flat_load_dword v2, v[0:1]
	s_waitcnt vmcnt(0) lgkmcnt(0)
	v_add_f32_e32 v2, v3, v2
	flat_store_dword v[0:1], v2
.LBB465_12:
	s_endpgm
	.section	.rodata,"a",@progbits
	.p2align	6, 0x0
	.amdhsa_kernel _ZL37rocblas_syrkx_herkx_restricted_kernelIifLi16ELi32ELi8ELi1ELi1ELb0ELc67ELc76EKPKfKPfEviT_PT9_S5_lS7_S5_lPT10_S5_li
		.amdhsa_group_segment_fixed_size 2048
		.amdhsa_private_segment_fixed_size 0
		.amdhsa_kernarg_size 84
		.amdhsa_user_sgpr_count 6
		.amdhsa_user_sgpr_private_segment_buffer 1
		.amdhsa_user_sgpr_dispatch_ptr 0
		.amdhsa_user_sgpr_queue_ptr 0
		.amdhsa_user_sgpr_kernarg_segment_ptr 1
		.amdhsa_user_sgpr_dispatch_id 0
		.amdhsa_user_sgpr_flat_scratch_init 0
		.amdhsa_user_sgpr_private_segment_size 0
		.amdhsa_uses_dynamic_stack 0
		.amdhsa_system_sgpr_private_segment_wavefront_offset 0
		.amdhsa_system_sgpr_workgroup_id_x 1
		.amdhsa_system_sgpr_workgroup_id_y 1
		.amdhsa_system_sgpr_workgroup_id_z 1
		.amdhsa_system_sgpr_workgroup_info 0
		.amdhsa_system_vgpr_workitem_id 1
		.amdhsa_next_free_vgpr 34
		.amdhsa_next_free_sgpr 17
		.amdhsa_reserve_vcc 1
		.amdhsa_reserve_flat_scratch 0
		.amdhsa_float_round_mode_32 0
		.amdhsa_float_round_mode_16_64 0
		.amdhsa_float_denorm_mode_32 3
		.amdhsa_float_denorm_mode_16_64 3
		.amdhsa_dx10_clamp 1
		.amdhsa_ieee_mode 1
		.amdhsa_fp16_overflow 0
		.amdhsa_exception_fp_ieee_invalid_op 0
		.amdhsa_exception_fp_denorm_src 0
		.amdhsa_exception_fp_ieee_div_zero 0
		.amdhsa_exception_fp_ieee_overflow 0
		.amdhsa_exception_fp_ieee_underflow 0
		.amdhsa_exception_fp_ieee_inexact 0
		.amdhsa_exception_int_div_zero 0
	.end_amdhsa_kernel
	.section	.text._ZL37rocblas_syrkx_herkx_restricted_kernelIifLi16ELi32ELi8ELi1ELi1ELb0ELc67ELc76EKPKfKPfEviT_PT9_S5_lS7_S5_lPT10_S5_li,"axG",@progbits,_ZL37rocblas_syrkx_herkx_restricted_kernelIifLi16ELi32ELi8ELi1ELi1ELb0ELc67ELc76EKPKfKPfEviT_PT9_S5_lS7_S5_lPT10_S5_li,comdat
.Lfunc_end465:
	.size	_ZL37rocblas_syrkx_herkx_restricted_kernelIifLi16ELi32ELi8ELi1ELi1ELb0ELc67ELc76EKPKfKPfEviT_PT9_S5_lS7_S5_lPT10_S5_li, .Lfunc_end465-_ZL37rocblas_syrkx_herkx_restricted_kernelIifLi16ELi32ELi8ELi1ELi1ELb0ELc67ELc76EKPKfKPfEviT_PT9_S5_lS7_S5_lPT10_S5_li
                                        ; -- End function
	.set _ZL37rocblas_syrkx_herkx_restricted_kernelIifLi16ELi32ELi8ELi1ELi1ELb0ELc67ELc76EKPKfKPfEviT_PT9_S5_lS7_S5_lPT10_S5_li.num_vgpr, 34
	.set _ZL37rocblas_syrkx_herkx_restricted_kernelIifLi16ELi32ELi8ELi1ELi1ELb0ELc67ELc76EKPKfKPfEviT_PT9_S5_lS7_S5_lPT10_S5_li.num_agpr, 0
	.set _ZL37rocblas_syrkx_herkx_restricted_kernelIifLi16ELi32ELi8ELi1ELi1ELb0ELc67ELc76EKPKfKPfEviT_PT9_S5_lS7_S5_lPT10_S5_li.numbered_sgpr, 17
	.set _ZL37rocblas_syrkx_herkx_restricted_kernelIifLi16ELi32ELi8ELi1ELi1ELb0ELc67ELc76EKPKfKPfEviT_PT9_S5_lS7_S5_lPT10_S5_li.num_named_barrier, 0
	.set _ZL37rocblas_syrkx_herkx_restricted_kernelIifLi16ELi32ELi8ELi1ELi1ELb0ELc67ELc76EKPKfKPfEviT_PT9_S5_lS7_S5_lPT10_S5_li.private_seg_size, 0
	.set _ZL37rocblas_syrkx_herkx_restricted_kernelIifLi16ELi32ELi8ELi1ELi1ELb0ELc67ELc76EKPKfKPfEviT_PT9_S5_lS7_S5_lPT10_S5_li.uses_vcc, 1
	.set _ZL37rocblas_syrkx_herkx_restricted_kernelIifLi16ELi32ELi8ELi1ELi1ELb0ELc67ELc76EKPKfKPfEviT_PT9_S5_lS7_S5_lPT10_S5_li.uses_flat_scratch, 0
	.set _ZL37rocblas_syrkx_herkx_restricted_kernelIifLi16ELi32ELi8ELi1ELi1ELb0ELc67ELc76EKPKfKPfEviT_PT9_S5_lS7_S5_lPT10_S5_li.has_dyn_sized_stack, 0
	.set _ZL37rocblas_syrkx_herkx_restricted_kernelIifLi16ELi32ELi8ELi1ELi1ELb0ELc67ELc76EKPKfKPfEviT_PT9_S5_lS7_S5_lPT10_S5_li.has_recursion, 0
	.set _ZL37rocblas_syrkx_herkx_restricted_kernelIifLi16ELi32ELi8ELi1ELi1ELb0ELc67ELc76EKPKfKPfEviT_PT9_S5_lS7_S5_lPT10_S5_li.has_indirect_call, 0
	.section	.AMDGPU.csdata,"",@progbits
; Kernel info:
; codeLenInByte = 1040
; TotalNumSgprs: 21
; NumVgprs: 34
; ScratchSize: 0
; MemoryBound: 0
; FloatMode: 240
; IeeeMode: 1
; LDSByteSize: 2048 bytes/workgroup (compile time only)
; SGPRBlocks: 2
; VGPRBlocks: 8
; NumSGPRsForWavesPerEU: 21
; NumVGPRsForWavesPerEU: 34
; Occupancy: 7
; WaveLimiterHint : 1
; COMPUTE_PGM_RSRC2:SCRATCH_EN: 0
; COMPUTE_PGM_RSRC2:USER_SGPR: 6
; COMPUTE_PGM_RSRC2:TRAP_HANDLER: 0
; COMPUTE_PGM_RSRC2:TGID_X_EN: 1
; COMPUTE_PGM_RSRC2:TGID_Y_EN: 1
; COMPUTE_PGM_RSRC2:TGID_Z_EN: 1
; COMPUTE_PGM_RSRC2:TIDIG_COMP_CNT: 1
	.section	.text._ZL37rocblas_syrkx_herkx_restricted_kernelIifLi16ELi32ELi8ELi1ELi1ELb0ELc78ELc76EKPKfKPfEviT_PT9_S5_lS7_S5_lPT10_S5_li,"axG",@progbits,_ZL37rocblas_syrkx_herkx_restricted_kernelIifLi16ELi32ELi8ELi1ELi1ELb0ELc78ELc76EKPKfKPfEviT_PT9_S5_lS7_S5_lPT10_S5_li,comdat
	.globl	_ZL37rocblas_syrkx_herkx_restricted_kernelIifLi16ELi32ELi8ELi1ELi1ELb0ELc78ELc76EKPKfKPfEviT_PT9_S5_lS7_S5_lPT10_S5_li ; -- Begin function _ZL37rocblas_syrkx_herkx_restricted_kernelIifLi16ELi32ELi8ELi1ELi1ELb0ELc78ELc76EKPKfKPfEviT_PT9_S5_lS7_S5_lPT10_S5_li
	.p2align	8
	.type	_ZL37rocblas_syrkx_herkx_restricted_kernelIifLi16ELi32ELi8ELi1ELi1ELb0ELc78ELc76EKPKfKPfEviT_PT9_S5_lS7_S5_lPT10_S5_li,@function
_ZL37rocblas_syrkx_herkx_restricted_kernelIifLi16ELi32ELi8ELi1ELi1ELb0ELc78ELc76EKPKfKPfEviT_PT9_S5_lS7_S5_lPT10_S5_li: ; @_ZL37rocblas_syrkx_herkx_restricted_kernelIifLi16ELi32ELi8ELi1ELi1ELb0ELc78ELc76EKPKfKPfEviT_PT9_S5_lS7_S5_lPT10_S5_li
; %bb.0:
	s_load_dwordx2 s[2:3], s[4:5], 0x38
	s_load_dwordx2 s[12:13], s[4:5], 0x0
	s_mov_b32 s9, 0
	s_lshl_b64 s[0:1], s[8:9], 3
	s_waitcnt lgkmcnt(0)
	s_add_u32 s2, s2, s0
	s_addc_u32 s3, s3, s1
	s_load_dwordx2 s[10:11], s[2:3], 0x0
	s_lshl_b32 s6, s6, 5
	s_lshl_b32 s7, s7, 5
	s_cmp_lt_i32 s13, 1
	s_cbranch_scc1 .LBB466_3
; %bb.1:
	s_load_dword s2, s[4:5], 0x10
	s_load_dword s14, s[4:5], 0x28
	s_load_dwordx2 s[16:17], s[4:5], 0x8
	s_load_dwordx2 s[18:19], s[4:5], 0x20
	v_lshl_add_u32 v7, v1, 4, v0
	s_waitcnt lgkmcnt(0)
	s_ashr_i32 s3, s2, 31
	s_ashr_i32 s15, s14, 31
	s_add_u32 s16, s16, s0
	s_addc_u32 s17, s17, s1
	v_lshrrev_b32_e32 v8, 3, v7
	s_add_u32 s0, s18, s0
	v_add_u32_e32 v2, s7, v8
	s_addc_u32 s1, s19, s1
	v_and_b32_e32 v6, 7, v0
	v_ashrrev_i32_e32 v3, 31, v2
	s_load_dwordx2 s[18:19], s[0:1], 0x0
	v_mad_i64_i32 v[4:5], s[0:1], s14, v6, v[2:3]
	v_and_b32_e32 v2, 31, v7
	v_lshrrev_b32_e32 v9, 5, v7
	v_lshlrev_b32_e32 v3, 2, v2
	v_lshl_or_b32 v10, v9, 7, v3
	v_lshlrev_b32_e32 v3, 2, v6
	v_lshl_or_b32 v3, v8, 5, v3
	v_add_u32_e32 v2, s6, v2
	v_add_u32_e32 v11, 0x400, v3
	v_ashrrev_i32_e32 v3, 31, v2
	v_mad_i64_i32 v[2:3], s[0:1], s2, v9, v[2:3]
	s_load_dwordx2 s[16:17], s[16:17], 0x0
	v_mov_b32_e32 v6, 0x400
	v_lshlrev_b64 v[2:3], 2, v[2:3]
	v_lshl_add_u32 v13, v1, 5, v6
	v_lshlrev_b64 v[4:5], 2, v[4:5]
	s_waitcnt lgkmcnt(0)
	v_mov_b32_e32 v6, s17
	v_add_co_u32_e32 v2, vcc, s16, v2
	v_addc_co_u32_e32 v3, vcc, v6, v3, vcc
	s_lshl_b64 s[0:1], s[2:3], 5
	v_mov_b32_e32 v6, s19
	v_add_co_u32_e32 v4, vcc, s18, v4
	s_lshl_b64 s[2:3], s[14:15], 5
	v_lshlrev_b32_e32 v12, 2, v0
	v_addc_co_u32_e32 v5, vcc, v6, v5, vcc
	v_mov_b32_e32 v6, 0
	v_mov_b32_e32 v14, s1
	;; [unrolled: 1-line block ×6, first 2 shown]
.LBB466_2:                              ; =>This Inner Loop Header: Depth=1
	flat_load_dword v16, v[2:3]
	v_add_co_u32_e32 v2, vcc, s0, v2
	v_addc_co_u32_e32 v3, vcc, v3, v14, vcc
	s_add_i32 s9, s9, 8
	s_cmp_ge_i32 s9, s13
	s_waitcnt vmcnt(0) lgkmcnt(0)
	ds_write_b32 v10, v16
	flat_load_dword v16, v[4:5]
	v_add_co_u32_e32 v4, vcc, s2, v4
	v_addc_co_u32_e32 v5, vcc, v5, v15, vcc
	s_waitcnt vmcnt(0) lgkmcnt(0)
	ds_write_b32 v11, v16
	s_waitcnt lgkmcnt(0)
	s_barrier
	ds_read2_b32 v[28:29], v12 offset1:16
	ds_read_b128 v[16:19], v13
	ds_read2_b32 v[30:31], v12 offset0:32 offset1:48
	ds_read2_b32 v[32:33], v12 offset0:64 offset1:80
	ds_read_b128 v[20:23], v13 offset:16
	ds_read2_b32 v[34:35], v12 offset0:96 offset1:112
	s_waitcnt lgkmcnt(4)
	v_fmac_f32_e32 v9, v28, v16
	v_fmac_f32_e32 v8, v29, v16
	s_waitcnt lgkmcnt(3)
	v_fmac_f32_e32 v9, v30, v17
	v_fmac_f32_e32 v8, v31, v17
	s_waitcnt lgkmcnt(2)
	v_fmac_f32_e32 v9, v32, v18
	v_fmac_f32_e32 v8, v33, v18
	s_waitcnt lgkmcnt(0)
	v_fmac_f32_e32 v9, v34, v19
	v_fmac_f32_e32 v8, v35, v19
	ds_read_b128 v[16:19], v13 offset:512
	ds_read_b128 v[24:27], v13 offset:528
	s_waitcnt lgkmcnt(1)
	v_fmac_f32_e32 v7, v28, v16
	v_fmac_f32_e32 v6, v29, v16
	;; [unrolled: 1-line block ×8, first 2 shown]
	ds_read2_b32 v[16:17], v12 offset0:128 offset1:144
	ds_read2_b32 v[18:19], v12 offset0:160 offset1:176
	;; [unrolled: 1-line block ×3, first 2 shown]
	s_waitcnt lgkmcnt(2)
	v_fmac_f32_e32 v9, v16, v20
	v_fmac_f32_e32 v8, v17, v20
	v_fmac_f32_e32 v7, v16, v24
	v_fmac_f32_e32 v6, v17, v24
	ds_read2_b32 v[16:17], v12 offset0:224 offset1:240
	s_waitcnt lgkmcnt(2)
	v_fmac_f32_e32 v9, v18, v21
	v_fmac_f32_e32 v8, v19, v21
	v_fmac_f32_e32 v7, v18, v25
	v_fmac_f32_e32 v6, v19, v25
	s_waitcnt lgkmcnt(1)
	v_fmac_f32_e32 v9, v28, v22
	v_fmac_f32_e32 v8, v29, v22
	v_fmac_f32_e32 v7, v28, v26
	v_fmac_f32_e32 v6, v29, v26
	;; [unrolled: 5-line block ×3, first 2 shown]
	s_barrier
	s_cbranch_scc0 .LBB466_2
	s_branch .LBB466_4
.LBB466_3:
	v_mov_b32_e32 v9, 0
	v_mov_b32_e32 v8, 0
	;; [unrolled: 1-line block ×4, first 2 shown]
.LBB466_4:
	s_load_dword s8, s[4:5], 0x40
	v_add_u32_e32 v4, s7, v1
	s_waitcnt lgkmcnt(0)
	v_mov_b32_e32 v3, s11
	v_add_u32_e32 v0, s6, v0
	v_mad_i64_i32 v[1:2], s[0:1], v4, s8, 0
	v_cmp_le_i32_e64 s[0:1], v4, v0
	v_lshlrev_b64 v[1:2], 2, v[1:2]
	v_add_co_u32_e32 v5, vcc, s10, v1
	v_addc_co_u32_e32 v10, vcc, v3, v2, vcc
	v_cmp_gt_i32_e32 vcc, s12, v0
	s_and_b64 s[0:1], s[0:1], vcc
	s_and_saveexec_b64 s[2:3], s[0:1]
	s_cbranch_execz .LBB466_6
; %bb.5:
	v_ashrrev_i32_e32 v1, 31, v0
	v_lshlrev_b64 v[1:2], 2, v[0:1]
	v_add_co_u32_e64 v1, s[0:1], v5, v1
	v_addc_co_u32_e64 v2, s[0:1], v10, v2, s[0:1]
	flat_load_dword v3, v[1:2]
	s_waitcnt vmcnt(0) lgkmcnt(0)
	v_add_f32_e32 v3, v9, v3
	flat_store_dword v[1:2], v3
.LBB466_6:
	s_or_b64 exec, exec, s[2:3]
	v_add_u32_e32 v2, 16, v0
	v_cmp_le_i32_e64 s[2:3], v4, v2
	v_cmp_gt_i32_e64 s[0:1], s12, v2
	s_and_b64 s[2:3], s[2:3], s[0:1]
	s_and_saveexec_b64 s[4:5], s[2:3]
	s_cbranch_execz .LBB466_8
; %bb.7:
	v_ashrrev_i32_e32 v3, 31, v2
	v_lshlrev_b64 v[11:12], 2, v[2:3]
	v_add_co_u32_e64 v9, s[2:3], v5, v11
	v_addc_co_u32_e64 v10, s[2:3], v10, v12, s[2:3]
	flat_load_dword v1, v[9:10]
	s_waitcnt vmcnt(0) lgkmcnt(0)
	v_add_f32_e32 v1, v8, v1
	flat_store_dword v[9:10], v1
.LBB466_8:
	s_or_b64 exec, exec, s[4:5]
	v_add_u32_e32 v3, 16, v4
	v_mad_i64_i32 v[4:5], s[2:3], v3, s8, 0
	v_mov_b32_e32 v1, s11
	v_lshlrev_b64 v[4:5], 2, v[4:5]
	v_add_co_u32_e64 v4, s[2:3], s10, v4
	v_addc_co_u32_e64 v5, s[2:3], v1, v5, s[2:3]
	v_cmp_le_i32_e64 s[2:3], v3, v0
	s_and_b64 s[4:5], s[2:3], vcc
	s_and_saveexec_b64 s[2:3], s[4:5]
	s_cbranch_execz .LBB466_10
; %bb.9:
	v_ashrrev_i32_e32 v1, 31, v0
	v_lshlrev_b64 v[0:1], 2, v[0:1]
	v_add_co_u32_e32 v0, vcc, v4, v0
	v_addc_co_u32_e32 v1, vcc, v5, v1, vcc
	flat_load_dword v8, v[0:1]
	s_waitcnt vmcnt(0) lgkmcnt(0)
	v_add_f32_e32 v7, v7, v8
	flat_store_dword v[0:1], v7
.LBB466_10:
	s_or_b64 exec, exec, s[2:3]
	v_cmp_le_i32_e32 vcc, v3, v2
	s_and_b64 s[0:1], vcc, s[0:1]
	s_and_saveexec_b64 s[2:3], s[0:1]
	s_cbranch_execz .LBB466_12
; %bb.11:
	v_ashrrev_i32_e32 v3, 31, v2
	v_lshlrev_b64 v[0:1], 2, v[2:3]
	v_add_co_u32_e32 v0, vcc, v4, v0
	v_addc_co_u32_e32 v1, vcc, v5, v1, vcc
	flat_load_dword v2, v[0:1]
	s_waitcnt vmcnt(0) lgkmcnt(0)
	v_add_f32_e32 v2, v6, v2
	flat_store_dword v[0:1], v2
.LBB466_12:
	s_endpgm
	.section	.rodata,"a",@progbits
	.p2align	6, 0x0
	.amdhsa_kernel _ZL37rocblas_syrkx_herkx_restricted_kernelIifLi16ELi32ELi8ELi1ELi1ELb0ELc78ELc76EKPKfKPfEviT_PT9_S5_lS7_S5_lPT10_S5_li
		.amdhsa_group_segment_fixed_size 2048
		.amdhsa_private_segment_fixed_size 0
		.amdhsa_kernarg_size 84
		.amdhsa_user_sgpr_count 6
		.amdhsa_user_sgpr_private_segment_buffer 1
		.amdhsa_user_sgpr_dispatch_ptr 0
		.amdhsa_user_sgpr_queue_ptr 0
		.amdhsa_user_sgpr_kernarg_segment_ptr 1
		.amdhsa_user_sgpr_dispatch_id 0
		.amdhsa_user_sgpr_flat_scratch_init 0
		.amdhsa_user_sgpr_private_segment_size 0
		.amdhsa_uses_dynamic_stack 0
		.amdhsa_system_sgpr_private_segment_wavefront_offset 0
		.amdhsa_system_sgpr_workgroup_id_x 1
		.amdhsa_system_sgpr_workgroup_id_y 1
		.amdhsa_system_sgpr_workgroup_id_z 1
		.amdhsa_system_sgpr_workgroup_info 0
		.amdhsa_system_vgpr_workitem_id 1
		.amdhsa_next_free_vgpr 36
		.amdhsa_next_free_sgpr 20
		.amdhsa_reserve_vcc 1
		.amdhsa_reserve_flat_scratch 0
		.amdhsa_float_round_mode_32 0
		.amdhsa_float_round_mode_16_64 0
		.amdhsa_float_denorm_mode_32 3
		.amdhsa_float_denorm_mode_16_64 3
		.amdhsa_dx10_clamp 1
		.amdhsa_ieee_mode 1
		.amdhsa_fp16_overflow 0
		.amdhsa_exception_fp_ieee_invalid_op 0
		.amdhsa_exception_fp_denorm_src 0
		.amdhsa_exception_fp_ieee_div_zero 0
		.amdhsa_exception_fp_ieee_overflow 0
		.amdhsa_exception_fp_ieee_underflow 0
		.amdhsa_exception_fp_ieee_inexact 0
		.amdhsa_exception_int_div_zero 0
	.end_amdhsa_kernel
	.section	.text._ZL37rocblas_syrkx_herkx_restricted_kernelIifLi16ELi32ELi8ELi1ELi1ELb0ELc78ELc76EKPKfKPfEviT_PT9_S5_lS7_S5_lPT10_S5_li,"axG",@progbits,_ZL37rocblas_syrkx_herkx_restricted_kernelIifLi16ELi32ELi8ELi1ELi1ELb0ELc78ELc76EKPKfKPfEviT_PT9_S5_lS7_S5_lPT10_S5_li,comdat
.Lfunc_end466:
	.size	_ZL37rocblas_syrkx_herkx_restricted_kernelIifLi16ELi32ELi8ELi1ELi1ELb0ELc78ELc76EKPKfKPfEviT_PT9_S5_lS7_S5_lPT10_S5_li, .Lfunc_end466-_ZL37rocblas_syrkx_herkx_restricted_kernelIifLi16ELi32ELi8ELi1ELi1ELb0ELc78ELc76EKPKfKPfEviT_PT9_S5_lS7_S5_lPT10_S5_li
                                        ; -- End function
	.set _ZL37rocblas_syrkx_herkx_restricted_kernelIifLi16ELi32ELi8ELi1ELi1ELb0ELc78ELc76EKPKfKPfEviT_PT9_S5_lS7_S5_lPT10_S5_li.num_vgpr, 36
	.set _ZL37rocblas_syrkx_herkx_restricted_kernelIifLi16ELi32ELi8ELi1ELi1ELb0ELc78ELc76EKPKfKPfEviT_PT9_S5_lS7_S5_lPT10_S5_li.num_agpr, 0
	.set _ZL37rocblas_syrkx_herkx_restricted_kernelIifLi16ELi32ELi8ELi1ELi1ELb0ELc78ELc76EKPKfKPfEviT_PT9_S5_lS7_S5_lPT10_S5_li.numbered_sgpr, 20
	.set _ZL37rocblas_syrkx_herkx_restricted_kernelIifLi16ELi32ELi8ELi1ELi1ELb0ELc78ELc76EKPKfKPfEviT_PT9_S5_lS7_S5_lPT10_S5_li.num_named_barrier, 0
	.set _ZL37rocblas_syrkx_herkx_restricted_kernelIifLi16ELi32ELi8ELi1ELi1ELb0ELc78ELc76EKPKfKPfEviT_PT9_S5_lS7_S5_lPT10_S5_li.private_seg_size, 0
	.set _ZL37rocblas_syrkx_herkx_restricted_kernelIifLi16ELi32ELi8ELi1ELi1ELb0ELc78ELc76EKPKfKPfEviT_PT9_S5_lS7_S5_lPT10_S5_li.uses_vcc, 1
	.set _ZL37rocblas_syrkx_herkx_restricted_kernelIifLi16ELi32ELi8ELi1ELi1ELb0ELc78ELc76EKPKfKPfEviT_PT9_S5_lS7_S5_lPT10_S5_li.uses_flat_scratch, 0
	.set _ZL37rocblas_syrkx_herkx_restricted_kernelIifLi16ELi32ELi8ELi1ELi1ELb0ELc78ELc76EKPKfKPfEviT_PT9_S5_lS7_S5_lPT10_S5_li.has_dyn_sized_stack, 0
	.set _ZL37rocblas_syrkx_herkx_restricted_kernelIifLi16ELi32ELi8ELi1ELi1ELb0ELc78ELc76EKPKfKPfEviT_PT9_S5_lS7_S5_lPT10_S5_li.has_recursion, 0
	.set _ZL37rocblas_syrkx_herkx_restricted_kernelIifLi16ELi32ELi8ELi1ELi1ELb0ELc78ELc76EKPKfKPfEviT_PT9_S5_lS7_S5_lPT10_S5_li.has_indirect_call, 0
	.section	.AMDGPU.csdata,"",@progbits
; Kernel info:
; codeLenInByte = 1068
; TotalNumSgprs: 24
; NumVgprs: 36
; ScratchSize: 0
; MemoryBound: 0
; FloatMode: 240
; IeeeMode: 1
; LDSByteSize: 2048 bytes/workgroup (compile time only)
; SGPRBlocks: 2
; VGPRBlocks: 8
; NumSGPRsForWavesPerEU: 24
; NumVGPRsForWavesPerEU: 36
; Occupancy: 7
; WaveLimiterHint : 1
; COMPUTE_PGM_RSRC2:SCRATCH_EN: 0
; COMPUTE_PGM_RSRC2:USER_SGPR: 6
; COMPUTE_PGM_RSRC2:TRAP_HANDLER: 0
; COMPUTE_PGM_RSRC2:TGID_X_EN: 1
; COMPUTE_PGM_RSRC2:TGID_Y_EN: 1
; COMPUTE_PGM_RSRC2:TGID_Z_EN: 1
; COMPUTE_PGM_RSRC2:TIDIG_COMP_CNT: 1
	.section	.text._ZL37rocblas_syrkx_herkx_restricted_kernelIifLi16ELi32ELi8ELi1ELi1ELb0ELc84ELc85EKPKfKPfEviT_PT9_S5_lS7_S5_lPT10_S5_li,"axG",@progbits,_ZL37rocblas_syrkx_herkx_restricted_kernelIifLi16ELi32ELi8ELi1ELi1ELb0ELc84ELc85EKPKfKPfEviT_PT9_S5_lS7_S5_lPT10_S5_li,comdat
	.globl	_ZL37rocblas_syrkx_herkx_restricted_kernelIifLi16ELi32ELi8ELi1ELi1ELb0ELc84ELc85EKPKfKPfEviT_PT9_S5_lS7_S5_lPT10_S5_li ; -- Begin function _ZL37rocblas_syrkx_herkx_restricted_kernelIifLi16ELi32ELi8ELi1ELi1ELb0ELc84ELc85EKPKfKPfEviT_PT9_S5_lS7_S5_lPT10_S5_li
	.p2align	8
	.type	_ZL37rocblas_syrkx_herkx_restricted_kernelIifLi16ELi32ELi8ELi1ELi1ELb0ELc84ELc85EKPKfKPfEviT_PT9_S5_lS7_S5_lPT10_S5_li,@function
_ZL37rocblas_syrkx_herkx_restricted_kernelIifLi16ELi32ELi8ELi1ELi1ELb0ELc84ELc85EKPKfKPfEviT_PT9_S5_lS7_S5_lPT10_S5_li: ; @_ZL37rocblas_syrkx_herkx_restricted_kernelIifLi16ELi32ELi8ELi1ELi1ELb0ELc84ELc85EKPKfKPfEviT_PT9_S5_lS7_S5_lPT10_S5_li
; %bb.0:
	s_load_dwordx2 s[10:11], s[4:5], 0x38
	s_load_dwordx2 s[2:3], s[4:5], 0x0
	s_mov_b32 s9, 0
	s_lshl_b64 s[0:1], s[8:9], 3
	s_waitcnt lgkmcnt(0)
	s_add_u32 s10, s10, s0
	s_addc_u32 s11, s11, s1
	s_load_dwordx2 s[10:11], s[10:11], 0x0
	s_lshl_b32 s6, s6, 5
	s_lshl_b32 s7, s7, 5
	s_cmp_lt_i32 s3, 1
	s_cbranch_scc1 .LBB467_3
; %bb.1:
	s_load_dwordx2 s[12:13], s[4:5], 0x8
	s_load_dword s8, s[4:5], 0x10
	s_load_dwordx2 s[14:15], s[4:5], 0x20
	s_load_dword s16, s[4:5], 0x28
	v_lshl_add_u32 v4, v1, 4, v0
	s_waitcnt lgkmcnt(0)
	s_add_u32 s12, s12, s0
	s_addc_u32 s13, s13, s1
	v_lshrrev_b32_e32 v8, 3, v4
	s_add_u32 s0, s14, s0
	v_add_u32_e32 v5, s7, v8
	v_and_b32_e32 v2, 7, v0
	v_mov_b32_e32 v3, 0
	s_addc_u32 s1, s15, s1
	v_mad_i64_i32 v[6:7], s[14:15], s16, v5, v[2:3]
	v_lshlrev_b32_e32 v2, 2, v2
	v_and_b32_e32 v9, 31, v4
	v_lshl_or_b32 v2, v8, 5, v2
	v_lshrrev_b32_e32 v4, 5, v4
	v_mov_b32_e32 v5, v3
	v_lshlrev_b32_e32 v10, 2, v9
	v_add_u32_e32 v11, 0x400, v2
	v_add_u32_e32 v2, s6, v9
	v_lshl_or_b32 v10, v4, 7, v10
	v_mad_i64_i32 v[4:5], s[14:15], s8, v2, v[4:5]
	s_load_dwordx2 s[12:13], s[12:13], 0x0
	v_mov_b32_e32 v2, 0x400
	s_load_dwordx2 s[0:1], s[0:1], 0x0
	v_lshlrev_b64 v[4:5], 2, v[4:5]
	v_lshl_add_u32 v13, v1, 5, v2
	s_waitcnt lgkmcnt(0)
	v_mov_b32_e32 v2, s13
	v_add_co_u32_e32 v4, vcc, s12, v4
	v_lshlrev_b64 v[6:7], 2, v[6:7]
	v_addc_co_u32_e32 v5, vcc, v2, v5, vcc
	v_mov_b32_e32 v2, s1
	v_add_co_u32_e32 v6, vcc, s0, v6
	v_lshlrev_b32_e32 v12, 2, v0
	v_addc_co_u32_e32 v7, vcc, v2, v7, vcc
	v_mov_b32_e32 v2, v3
	v_mov_b32_e32 v8, v3
	v_mov_b32_e32 v9, v3
.LBB467_2:                              ; =>This Inner Loop Header: Depth=1
	flat_load_dword v14, v[4:5]
	v_add_co_u32_e32 v4, vcc, 32, v4
	v_addc_co_u32_e32 v5, vcc, 0, v5, vcc
	s_add_i32 s9, s9, 8
	s_cmp_ge_i32 s9, s3
	s_waitcnt vmcnt(0) lgkmcnt(0)
	ds_write_b32 v10, v14
	flat_load_dword v14, v[6:7]
	v_add_co_u32_e32 v6, vcc, 32, v6
	v_addc_co_u32_e32 v7, vcc, 0, v7, vcc
	s_waitcnt vmcnt(0) lgkmcnt(0)
	ds_write_b32 v11, v14
	s_waitcnt lgkmcnt(0)
	s_barrier
	ds_read2_b32 v[26:27], v12 offset1:16
	ds_read_b128 v[14:17], v13
	ds_read2_b32 v[28:29], v12 offset0:32 offset1:48
	ds_read2_b32 v[30:31], v12 offset0:64 offset1:80
	ds_read_b128 v[18:21], v13 offset:16
	ds_read2_b32 v[32:33], v12 offset0:96 offset1:112
	s_waitcnt lgkmcnt(4)
	v_fmac_f32_e32 v9, v26, v14
	v_fmac_f32_e32 v8, v27, v14
	s_waitcnt lgkmcnt(3)
	v_fmac_f32_e32 v9, v28, v15
	v_fmac_f32_e32 v8, v29, v15
	;; [unrolled: 3-line block ×4, first 2 shown]
	ds_read_b128 v[14:17], v13 offset:512
	ds_read_b128 v[22:25], v13 offset:528
	s_waitcnt lgkmcnt(1)
	v_fmac_f32_e32 v2, v26, v14
	v_fmac_f32_e32 v3, v27, v14
	;; [unrolled: 1-line block ×8, first 2 shown]
	ds_read2_b32 v[14:15], v12 offset0:128 offset1:144
	ds_read2_b32 v[16:17], v12 offset0:160 offset1:176
	;; [unrolled: 1-line block ×3, first 2 shown]
	s_waitcnt lgkmcnt(2)
	v_fmac_f32_e32 v9, v14, v18
	v_fmac_f32_e32 v8, v15, v18
	;; [unrolled: 1-line block ×4, first 2 shown]
	ds_read2_b32 v[14:15], v12 offset0:224 offset1:240
	s_waitcnt lgkmcnt(2)
	v_fmac_f32_e32 v9, v16, v19
	v_fmac_f32_e32 v8, v17, v19
	v_fmac_f32_e32 v2, v16, v23
	v_fmac_f32_e32 v3, v17, v23
	s_waitcnt lgkmcnt(1)
	v_fmac_f32_e32 v9, v26, v20
	v_fmac_f32_e32 v8, v27, v20
	v_fmac_f32_e32 v2, v26, v24
	v_fmac_f32_e32 v3, v27, v24
	;; [unrolled: 5-line block ×3, first 2 shown]
	s_barrier
	s_cbranch_scc0 .LBB467_2
	s_branch .LBB467_4
.LBB467_3:
	v_mov_b32_e32 v9, 0
	v_mov_b32_e32 v8, 0
	;; [unrolled: 1-line block ×4, first 2 shown]
.LBB467_4:
	s_load_dword s3, s[4:5], 0x40
	v_add_u32_e32 v6, s7, v1
	s_waitcnt lgkmcnt(0)
	v_mov_b32_e32 v1, s11
	v_add_u32_e32 v0, s6, v0
	v_cmp_gt_i32_e32 vcc, s2, v6
	v_mad_i64_i32 v[4:5], s[0:1], v6, s3, 0
	v_lshlrev_b64 v[4:5], 2, v[4:5]
	v_add_co_u32_e64 v7, s[0:1], s10, v4
	v_addc_co_u32_e64 v10, s[0:1], v1, v5, s[0:1]
	v_cmp_le_i32_e64 s[0:1], v0, v6
	s_and_b64 s[0:1], vcc, s[0:1]
	s_and_saveexec_b64 s[4:5], s[0:1]
	s_cbranch_execz .LBB467_6
; %bb.5:
	v_ashrrev_i32_e32 v1, 31, v0
	v_lshlrev_b64 v[4:5], 2, v[0:1]
	v_add_co_u32_e64 v4, s[0:1], v7, v4
	v_addc_co_u32_e64 v5, s[0:1], v10, v5, s[0:1]
	flat_load_dword v1, v[4:5]
	s_waitcnt vmcnt(0) lgkmcnt(0)
	v_add_f32_e32 v1, v9, v1
	flat_store_dword v[4:5], v1
.LBB467_6:
	s_or_b64 exec, exec, s[4:5]
	v_add_u32_e32 v4, 16, v0
	v_cmp_le_i32_e64 s[0:1], v4, v6
	s_and_b64 s[4:5], vcc, s[0:1]
	s_and_saveexec_b64 s[0:1], s[4:5]
	s_cbranch_execz .LBB467_8
; %bb.7:
	v_ashrrev_i32_e32 v5, 31, v4
	v_lshlrev_b64 v[11:12], 2, v[4:5]
	v_add_co_u32_e32 v9, vcc, v7, v11
	v_addc_co_u32_e32 v10, vcc, v10, v12, vcc
	flat_load_dword v1, v[9:10]
	s_waitcnt vmcnt(0) lgkmcnt(0)
	v_add_f32_e32 v1, v8, v1
	flat_store_dword v[9:10], v1
.LBB467_8:
	s_or_b64 exec, exec, s[0:1]
	v_add_u32_e32 v5, 16, v6
	v_mad_i64_i32 v[6:7], s[0:1], v5, s3, 0
	v_mov_b32_e32 v1, s11
	v_cmp_gt_i32_e32 vcc, s2, v5
	v_lshlrev_b64 v[6:7], 2, v[6:7]
	v_add_co_u32_e64 v6, s[0:1], s10, v6
	v_addc_co_u32_e64 v7, s[0:1], v1, v7, s[0:1]
	v_cmp_le_i32_e64 s[0:1], v0, v5
	s_and_b64 s[0:1], vcc, s[0:1]
	s_and_saveexec_b64 s[2:3], s[0:1]
	s_cbranch_execz .LBB467_10
; %bb.9:
	v_ashrrev_i32_e32 v1, 31, v0
	v_lshlrev_b64 v[0:1], 2, v[0:1]
	v_add_co_u32_e64 v0, s[0:1], v6, v0
	v_addc_co_u32_e64 v1, s[0:1], v7, v1, s[0:1]
	flat_load_dword v8, v[0:1]
	s_waitcnt vmcnt(0) lgkmcnt(0)
	v_add_f32_e32 v2, v2, v8
	flat_store_dword v[0:1], v2
.LBB467_10:
	s_or_b64 exec, exec, s[2:3]
	v_cmp_le_i32_e64 s[0:1], v4, v5
	s_and_b64 s[0:1], vcc, s[0:1]
	s_and_saveexec_b64 s[2:3], s[0:1]
	s_cbranch_execz .LBB467_12
; %bb.11:
	v_ashrrev_i32_e32 v5, 31, v4
	v_lshlrev_b64 v[0:1], 2, v[4:5]
	v_add_co_u32_e32 v0, vcc, v6, v0
	v_addc_co_u32_e32 v1, vcc, v7, v1, vcc
	flat_load_dword v2, v[0:1]
	s_waitcnt vmcnt(0) lgkmcnt(0)
	v_add_f32_e32 v2, v3, v2
	flat_store_dword v[0:1], v2
.LBB467_12:
	s_endpgm
	.section	.rodata,"a",@progbits
	.p2align	6, 0x0
	.amdhsa_kernel _ZL37rocblas_syrkx_herkx_restricted_kernelIifLi16ELi32ELi8ELi1ELi1ELb0ELc84ELc85EKPKfKPfEviT_PT9_S5_lS7_S5_lPT10_S5_li
		.amdhsa_group_segment_fixed_size 2048
		.amdhsa_private_segment_fixed_size 0
		.amdhsa_kernarg_size 84
		.amdhsa_user_sgpr_count 6
		.amdhsa_user_sgpr_private_segment_buffer 1
		.amdhsa_user_sgpr_dispatch_ptr 0
		.amdhsa_user_sgpr_queue_ptr 0
		.amdhsa_user_sgpr_kernarg_segment_ptr 1
		.amdhsa_user_sgpr_dispatch_id 0
		.amdhsa_user_sgpr_flat_scratch_init 0
		.amdhsa_user_sgpr_private_segment_size 0
		.amdhsa_uses_dynamic_stack 0
		.amdhsa_system_sgpr_private_segment_wavefront_offset 0
		.amdhsa_system_sgpr_workgroup_id_x 1
		.amdhsa_system_sgpr_workgroup_id_y 1
		.amdhsa_system_sgpr_workgroup_id_z 1
		.amdhsa_system_sgpr_workgroup_info 0
		.amdhsa_system_vgpr_workitem_id 1
		.amdhsa_next_free_vgpr 34
		.amdhsa_next_free_sgpr 17
		.amdhsa_reserve_vcc 1
		.amdhsa_reserve_flat_scratch 0
		.amdhsa_float_round_mode_32 0
		.amdhsa_float_round_mode_16_64 0
		.amdhsa_float_denorm_mode_32 3
		.amdhsa_float_denorm_mode_16_64 3
		.amdhsa_dx10_clamp 1
		.amdhsa_ieee_mode 1
		.amdhsa_fp16_overflow 0
		.amdhsa_exception_fp_ieee_invalid_op 0
		.amdhsa_exception_fp_denorm_src 0
		.amdhsa_exception_fp_ieee_div_zero 0
		.amdhsa_exception_fp_ieee_overflow 0
		.amdhsa_exception_fp_ieee_underflow 0
		.amdhsa_exception_fp_ieee_inexact 0
		.amdhsa_exception_int_div_zero 0
	.end_amdhsa_kernel
	.section	.text._ZL37rocblas_syrkx_herkx_restricted_kernelIifLi16ELi32ELi8ELi1ELi1ELb0ELc84ELc85EKPKfKPfEviT_PT9_S5_lS7_S5_lPT10_S5_li,"axG",@progbits,_ZL37rocblas_syrkx_herkx_restricted_kernelIifLi16ELi32ELi8ELi1ELi1ELb0ELc84ELc85EKPKfKPfEviT_PT9_S5_lS7_S5_lPT10_S5_li,comdat
.Lfunc_end467:
	.size	_ZL37rocblas_syrkx_herkx_restricted_kernelIifLi16ELi32ELi8ELi1ELi1ELb0ELc84ELc85EKPKfKPfEviT_PT9_S5_lS7_S5_lPT10_S5_li, .Lfunc_end467-_ZL37rocblas_syrkx_herkx_restricted_kernelIifLi16ELi32ELi8ELi1ELi1ELb0ELc84ELc85EKPKfKPfEviT_PT9_S5_lS7_S5_lPT10_S5_li
                                        ; -- End function
	.set _ZL37rocblas_syrkx_herkx_restricted_kernelIifLi16ELi32ELi8ELi1ELi1ELb0ELc84ELc85EKPKfKPfEviT_PT9_S5_lS7_S5_lPT10_S5_li.num_vgpr, 34
	.set _ZL37rocblas_syrkx_herkx_restricted_kernelIifLi16ELi32ELi8ELi1ELi1ELb0ELc84ELc85EKPKfKPfEviT_PT9_S5_lS7_S5_lPT10_S5_li.num_agpr, 0
	.set _ZL37rocblas_syrkx_herkx_restricted_kernelIifLi16ELi32ELi8ELi1ELi1ELb0ELc84ELc85EKPKfKPfEviT_PT9_S5_lS7_S5_lPT10_S5_li.numbered_sgpr, 17
	.set _ZL37rocblas_syrkx_herkx_restricted_kernelIifLi16ELi32ELi8ELi1ELi1ELb0ELc84ELc85EKPKfKPfEviT_PT9_S5_lS7_S5_lPT10_S5_li.num_named_barrier, 0
	.set _ZL37rocblas_syrkx_herkx_restricted_kernelIifLi16ELi32ELi8ELi1ELi1ELb0ELc84ELc85EKPKfKPfEviT_PT9_S5_lS7_S5_lPT10_S5_li.private_seg_size, 0
	.set _ZL37rocblas_syrkx_herkx_restricted_kernelIifLi16ELi32ELi8ELi1ELi1ELb0ELc84ELc85EKPKfKPfEviT_PT9_S5_lS7_S5_lPT10_S5_li.uses_vcc, 1
	.set _ZL37rocblas_syrkx_herkx_restricted_kernelIifLi16ELi32ELi8ELi1ELi1ELb0ELc84ELc85EKPKfKPfEviT_PT9_S5_lS7_S5_lPT10_S5_li.uses_flat_scratch, 0
	.set _ZL37rocblas_syrkx_herkx_restricted_kernelIifLi16ELi32ELi8ELi1ELi1ELb0ELc84ELc85EKPKfKPfEviT_PT9_S5_lS7_S5_lPT10_S5_li.has_dyn_sized_stack, 0
	.set _ZL37rocblas_syrkx_herkx_restricted_kernelIifLi16ELi32ELi8ELi1ELi1ELb0ELc84ELc85EKPKfKPfEviT_PT9_S5_lS7_S5_lPT10_S5_li.has_recursion, 0
	.set _ZL37rocblas_syrkx_herkx_restricted_kernelIifLi16ELi32ELi8ELi1ELi1ELb0ELc84ELc85EKPKfKPfEviT_PT9_S5_lS7_S5_lPT10_S5_li.has_indirect_call, 0
	.section	.AMDGPU.csdata,"",@progbits
; Kernel info:
; codeLenInByte = 1048
; TotalNumSgprs: 21
; NumVgprs: 34
; ScratchSize: 0
; MemoryBound: 0
; FloatMode: 240
; IeeeMode: 1
; LDSByteSize: 2048 bytes/workgroup (compile time only)
; SGPRBlocks: 2
; VGPRBlocks: 8
; NumSGPRsForWavesPerEU: 21
; NumVGPRsForWavesPerEU: 34
; Occupancy: 7
; WaveLimiterHint : 1
; COMPUTE_PGM_RSRC2:SCRATCH_EN: 0
; COMPUTE_PGM_RSRC2:USER_SGPR: 6
; COMPUTE_PGM_RSRC2:TRAP_HANDLER: 0
; COMPUTE_PGM_RSRC2:TGID_X_EN: 1
; COMPUTE_PGM_RSRC2:TGID_Y_EN: 1
; COMPUTE_PGM_RSRC2:TGID_Z_EN: 1
; COMPUTE_PGM_RSRC2:TIDIG_COMP_CNT: 1
	.section	.text._ZL37rocblas_syrkx_herkx_restricted_kernelIifLi16ELi32ELi8ELi1ELi1ELb0ELc67ELc85EKPKfKPfEviT_PT9_S5_lS7_S5_lPT10_S5_li,"axG",@progbits,_ZL37rocblas_syrkx_herkx_restricted_kernelIifLi16ELi32ELi8ELi1ELi1ELb0ELc67ELc85EKPKfKPfEviT_PT9_S5_lS7_S5_lPT10_S5_li,comdat
	.globl	_ZL37rocblas_syrkx_herkx_restricted_kernelIifLi16ELi32ELi8ELi1ELi1ELb0ELc67ELc85EKPKfKPfEviT_PT9_S5_lS7_S5_lPT10_S5_li ; -- Begin function _ZL37rocblas_syrkx_herkx_restricted_kernelIifLi16ELi32ELi8ELi1ELi1ELb0ELc67ELc85EKPKfKPfEviT_PT9_S5_lS7_S5_lPT10_S5_li
	.p2align	8
	.type	_ZL37rocblas_syrkx_herkx_restricted_kernelIifLi16ELi32ELi8ELi1ELi1ELb0ELc67ELc85EKPKfKPfEviT_PT9_S5_lS7_S5_lPT10_S5_li,@function
_ZL37rocblas_syrkx_herkx_restricted_kernelIifLi16ELi32ELi8ELi1ELi1ELb0ELc67ELc85EKPKfKPfEviT_PT9_S5_lS7_S5_lPT10_S5_li: ; @_ZL37rocblas_syrkx_herkx_restricted_kernelIifLi16ELi32ELi8ELi1ELi1ELb0ELc67ELc85EKPKfKPfEviT_PT9_S5_lS7_S5_lPT10_S5_li
; %bb.0:
	s_load_dwordx2 s[10:11], s[4:5], 0x38
	s_load_dwordx2 s[2:3], s[4:5], 0x0
	s_mov_b32 s9, 0
	s_lshl_b64 s[0:1], s[8:9], 3
	s_waitcnt lgkmcnt(0)
	s_add_u32 s10, s10, s0
	s_addc_u32 s11, s11, s1
	s_load_dwordx2 s[10:11], s[10:11], 0x0
	s_lshl_b32 s6, s6, 5
	s_lshl_b32 s7, s7, 5
	s_cmp_lt_i32 s3, 1
	s_cbranch_scc1 .LBB468_3
; %bb.1:
	s_load_dwordx2 s[12:13], s[4:5], 0x8
	s_load_dword s8, s[4:5], 0x10
	s_load_dwordx2 s[14:15], s[4:5], 0x20
	s_load_dword s16, s[4:5], 0x28
	v_lshl_add_u32 v4, v1, 4, v0
	s_waitcnt lgkmcnt(0)
	s_add_u32 s12, s12, s0
	s_addc_u32 s13, s13, s1
	v_lshrrev_b32_e32 v8, 3, v4
	s_add_u32 s0, s14, s0
	v_add_u32_e32 v5, s7, v8
	v_and_b32_e32 v2, 7, v0
	v_mov_b32_e32 v3, 0
	s_addc_u32 s1, s15, s1
	v_mad_i64_i32 v[6:7], s[14:15], s16, v5, v[2:3]
	v_lshlrev_b32_e32 v2, 2, v2
	v_and_b32_e32 v9, 31, v4
	v_lshl_or_b32 v2, v8, 5, v2
	v_lshrrev_b32_e32 v4, 5, v4
	v_mov_b32_e32 v5, v3
	v_lshlrev_b32_e32 v10, 2, v9
	v_add_u32_e32 v11, 0x400, v2
	v_add_u32_e32 v2, s6, v9
	v_lshl_or_b32 v10, v4, 7, v10
	v_mad_i64_i32 v[4:5], s[14:15], s8, v2, v[4:5]
	s_load_dwordx2 s[12:13], s[12:13], 0x0
	v_mov_b32_e32 v2, 0x400
	s_load_dwordx2 s[0:1], s[0:1], 0x0
	v_lshlrev_b64 v[4:5], 2, v[4:5]
	v_lshl_add_u32 v13, v1, 5, v2
	s_waitcnt lgkmcnt(0)
	v_mov_b32_e32 v2, s13
	v_add_co_u32_e32 v4, vcc, s12, v4
	v_lshlrev_b64 v[6:7], 2, v[6:7]
	v_addc_co_u32_e32 v5, vcc, v2, v5, vcc
	v_mov_b32_e32 v2, s1
	v_add_co_u32_e32 v6, vcc, s0, v6
	v_lshlrev_b32_e32 v12, 2, v0
	v_addc_co_u32_e32 v7, vcc, v2, v7, vcc
	v_mov_b32_e32 v2, v3
	v_mov_b32_e32 v8, v3
	;; [unrolled: 1-line block ×3, first 2 shown]
.LBB468_2:                              ; =>This Inner Loop Header: Depth=1
	flat_load_dword v14, v[4:5]
	v_add_co_u32_e32 v4, vcc, 32, v4
	v_addc_co_u32_e32 v5, vcc, 0, v5, vcc
	s_add_i32 s9, s9, 8
	s_cmp_ge_i32 s9, s3
	s_waitcnt vmcnt(0) lgkmcnt(0)
	ds_write_b32 v10, v14
	flat_load_dword v14, v[6:7]
	v_add_co_u32_e32 v6, vcc, 32, v6
	v_addc_co_u32_e32 v7, vcc, 0, v7, vcc
	s_waitcnt vmcnt(0) lgkmcnt(0)
	ds_write_b32 v11, v14
	s_waitcnt lgkmcnt(0)
	s_barrier
	ds_read2_b32 v[26:27], v12 offset1:16
	ds_read_b128 v[14:17], v13
	ds_read2_b32 v[28:29], v12 offset0:32 offset1:48
	ds_read2_b32 v[30:31], v12 offset0:64 offset1:80
	ds_read_b128 v[18:21], v13 offset:16
	ds_read2_b32 v[32:33], v12 offset0:96 offset1:112
	s_waitcnt lgkmcnt(4)
	v_fmac_f32_e32 v9, v26, v14
	v_fmac_f32_e32 v8, v27, v14
	s_waitcnt lgkmcnt(3)
	v_fmac_f32_e32 v9, v28, v15
	v_fmac_f32_e32 v8, v29, v15
	;; [unrolled: 3-line block ×4, first 2 shown]
	ds_read_b128 v[14:17], v13 offset:512
	ds_read_b128 v[22:25], v13 offset:528
	s_waitcnt lgkmcnt(1)
	v_fmac_f32_e32 v2, v26, v14
	v_fmac_f32_e32 v3, v27, v14
	v_fmac_f32_e32 v2, v28, v15
	v_fmac_f32_e32 v3, v29, v15
	v_fmac_f32_e32 v2, v30, v16
	v_fmac_f32_e32 v3, v31, v16
	v_fmac_f32_e32 v2, v32, v17
	v_fmac_f32_e32 v3, v33, v17
	ds_read2_b32 v[14:15], v12 offset0:128 offset1:144
	ds_read2_b32 v[16:17], v12 offset0:160 offset1:176
	;; [unrolled: 1-line block ×3, first 2 shown]
	s_waitcnt lgkmcnt(2)
	v_fmac_f32_e32 v9, v14, v18
	v_fmac_f32_e32 v8, v15, v18
	;; [unrolled: 1-line block ×4, first 2 shown]
	ds_read2_b32 v[14:15], v12 offset0:224 offset1:240
	s_waitcnt lgkmcnt(2)
	v_fmac_f32_e32 v9, v16, v19
	v_fmac_f32_e32 v8, v17, v19
	v_fmac_f32_e32 v2, v16, v23
	v_fmac_f32_e32 v3, v17, v23
	s_waitcnt lgkmcnt(1)
	v_fmac_f32_e32 v9, v26, v20
	v_fmac_f32_e32 v8, v27, v20
	v_fmac_f32_e32 v2, v26, v24
	v_fmac_f32_e32 v3, v27, v24
	;; [unrolled: 5-line block ×3, first 2 shown]
	s_barrier
	s_cbranch_scc0 .LBB468_2
	s_branch .LBB468_4
.LBB468_3:
	v_mov_b32_e32 v9, 0
	v_mov_b32_e32 v8, 0
	v_mov_b32_e32 v2, 0
	v_mov_b32_e32 v3, 0
.LBB468_4:
	s_load_dword s3, s[4:5], 0x40
	v_add_u32_e32 v6, s7, v1
	s_waitcnt lgkmcnt(0)
	v_mov_b32_e32 v1, s11
	v_add_u32_e32 v0, s6, v0
	v_cmp_gt_i32_e32 vcc, s2, v6
	v_mad_i64_i32 v[4:5], s[0:1], v6, s3, 0
	v_lshlrev_b64 v[4:5], 2, v[4:5]
	v_add_co_u32_e64 v7, s[0:1], s10, v4
	v_addc_co_u32_e64 v10, s[0:1], v1, v5, s[0:1]
	v_cmp_le_i32_e64 s[0:1], v0, v6
	s_and_b64 s[0:1], vcc, s[0:1]
	s_and_saveexec_b64 s[4:5], s[0:1]
	s_cbranch_execz .LBB468_6
; %bb.5:
	v_ashrrev_i32_e32 v1, 31, v0
	v_lshlrev_b64 v[4:5], 2, v[0:1]
	v_add_co_u32_e64 v4, s[0:1], v7, v4
	v_addc_co_u32_e64 v5, s[0:1], v10, v5, s[0:1]
	flat_load_dword v1, v[4:5]
	s_waitcnt vmcnt(0) lgkmcnt(0)
	v_add_f32_e32 v1, v9, v1
	flat_store_dword v[4:5], v1
.LBB468_6:
	s_or_b64 exec, exec, s[4:5]
	v_add_u32_e32 v4, 16, v0
	v_cmp_le_i32_e64 s[0:1], v4, v6
	s_and_b64 s[4:5], vcc, s[0:1]
	s_and_saveexec_b64 s[0:1], s[4:5]
	s_cbranch_execz .LBB468_8
; %bb.7:
	v_ashrrev_i32_e32 v5, 31, v4
	v_lshlrev_b64 v[11:12], 2, v[4:5]
	v_add_co_u32_e32 v9, vcc, v7, v11
	v_addc_co_u32_e32 v10, vcc, v10, v12, vcc
	flat_load_dword v1, v[9:10]
	s_waitcnt vmcnt(0) lgkmcnt(0)
	v_add_f32_e32 v1, v8, v1
	flat_store_dword v[9:10], v1
.LBB468_8:
	s_or_b64 exec, exec, s[0:1]
	v_add_u32_e32 v5, 16, v6
	v_mad_i64_i32 v[6:7], s[0:1], v5, s3, 0
	v_mov_b32_e32 v1, s11
	v_cmp_gt_i32_e32 vcc, s2, v5
	v_lshlrev_b64 v[6:7], 2, v[6:7]
	v_add_co_u32_e64 v6, s[0:1], s10, v6
	v_addc_co_u32_e64 v7, s[0:1], v1, v7, s[0:1]
	v_cmp_le_i32_e64 s[0:1], v0, v5
	s_and_b64 s[0:1], vcc, s[0:1]
	s_and_saveexec_b64 s[2:3], s[0:1]
	s_cbranch_execz .LBB468_10
; %bb.9:
	v_ashrrev_i32_e32 v1, 31, v0
	v_lshlrev_b64 v[0:1], 2, v[0:1]
	v_add_co_u32_e64 v0, s[0:1], v6, v0
	v_addc_co_u32_e64 v1, s[0:1], v7, v1, s[0:1]
	flat_load_dword v8, v[0:1]
	s_waitcnt vmcnt(0) lgkmcnt(0)
	v_add_f32_e32 v2, v2, v8
	flat_store_dword v[0:1], v2
.LBB468_10:
	s_or_b64 exec, exec, s[2:3]
	v_cmp_le_i32_e64 s[0:1], v4, v5
	s_and_b64 s[0:1], vcc, s[0:1]
	s_and_saveexec_b64 s[2:3], s[0:1]
	s_cbranch_execz .LBB468_12
; %bb.11:
	v_ashrrev_i32_e32 v5, 31, v4
	v_lshlrev_b64 v[0:1], 2, v[4:5]
	v_add_co_u32_e32 v0, vcc, v6, v0
	v_addc_co_u32_e32 v1, vcc, v7, v1, vcc
	flat_load_dword v2, v[0:1]
	s_waitcnt vmcnt(0) lgkmcnt(0)
	v_add_f32_e32 v2, v3, v2
	flat_store_dword v[0:1], v2
.LBB468_12:
	s_endpgm
	.section	.rodata,"a",@progbits
	.p2align	6, 0x0
	.amdhsa_kernel _ZL37rocblas_syrkx_herkx_restricted_kernelIifLi16ELi32ELi8ELi1ELi1ELb0ELc67ELc85EKPKfKPfEviT_PT9_S5_lS7_S5_lPT10_S5_li
		.amdhsa_group_segment_fixed_size 2048
		.amdhsa_private_segment_fixed_size 0
		.amdhsa_kernarg_size 84
		.amdhsa_user_sgpr_count 6
		.amdhsa_user_sgpr_private_segment_buffer 1
		.amdhsa_user_sgpr_dispatch_ptr 0
		.amdhsa_user_sgpr_queue_ptr 0
		.amdhsa_user_sgpr_kernarg_segment_ptr 1
		.amdhsa_user_sgpr_dispatch_id 0
		.amdhsa_user_sgpr_flat_scratch_init 0
		.amdhsa_user_sgpr_private_segment_size 0
		.amdhsa_uses_dynamic_stack 0
		.amdhsa_system_sgpr_private_segment_wavefront_offset 0
		.amdhsa_system_sgpr_workgroup_id_x 1
		.amdhsa_system_sgpr_workgroup_id_y 1
		.amdhsa_system_sgpr_workgroup_id_z 1
		.amdhsa_system_sgpr_workgroup_info 0
		.amdhsa_system_vgpr_workitem_id 1
		.amdhsa_next_free_vgpr 34
		.amdhsa_next_free_sgpr 17
		.amdhsa_reserve_vcc 1
		.amdhsa_reserve_flat_scratch 0
		.amdhsa_float_round_mode_32 0
		.amdhsa_float_round_mode_16_64 0
		.amdhsa_float_denorm_mode_32 3
		.amdhsa_float_denorm_mode_16_64 3
		.amdhsa_dx10_clamp 1
		.amdhsa_ieee_mode 1
		.amdhsa_fp16_overflow 0
		.amdhsa_exception_fp_ieee_invalid_op 0
		.amdhsa_exception_fp_denorm_src 0
		.amdhsa_exception_fp_ieee_div_zero 0
		.amdhsa_exception_fp_ieee_overflow 0
		.amdhsa_exception_fp_ieee_underflow 0
		.amdhsa_exception_fp_ieee_inexact 0
		.amdhsa_exception_int_div_zero 0
	.end_amdhsa_kernel
	.section	.text._ZL37rocblas_syrkx_herkx_restricted_kernelIifLi16ELi32ELi8ELi1ELi1ELb0ELc67ELc85EKPKfKPfEviT_PT9_S5_lS7_S5_lPT10_S5_li,"axG",@progbits,_ZL37rocblas_syrkx_herkx_restricted_kernelIifLi16ELi32ELi8ELi1ELi1ELb0ELc67ELc85EKPKfKPfEviT_PT9_S5_lS7_S5_lPT10_S5_li,comdat
.Lfunc_end468:
	.size	_ZL37rocblas_syrkx_herkx_restricted_kernelIifLi16ELi32ELi8ELi1ELi1ELb0ELc67ELc85EKPKfKPfEviT_PT9_S5_lS7_S5_lPT10_S5_li, .Lfunc_end468-_ZL37rocblas_syrkx_herkx_restricted_kernelIifLi16ELi32ELi8ELi1ELi1ELb0ELc67ELc85EKPKfKPfEviT_PT9_S5_lS7_S5_lPT10_S5_li
                                        ; -- End function
	.set _ZL37rocblas_syrkx_herkx_restricted_kernelIifLi16ELi32ELi8ELi1ELi1ELb0ELc67ELc85EKPKfKPfEviT_PT9_S5_lS7_S5_lPT10_S5_li.num_vgpr, 34
	.set _ZL37rocblas_syrkx_herkx_restricted_kernelIifLi16ELi32ELi8ELi1ELi1ELb0ELc67ELc85EKPKfKPfEviT_PT9_S5_lS7_S5_lPT10_S5_li.num_agpr, 0
	.set _ZL37rocblas_syrkx_herkx_restricted_kernelIifLi16ELi32ELi8ELi1ELi1ELb0ELc67ELc85EKPKfKPfEviT_PT9_S5_lS7_S5_lPT10_S5_li.numbered_sgpr, 17
	.set _ZL37rocblas_syrkx_herkx_restricted_kernelIifLi16ELi32ELi8ELi1ELi1ELb0ELc67ELc85EKPKfKPfEviT_PT9_S5_lS7_S5_lPT10_S5_li.num_named_barrier, 0
	.set _ZL37rocblas_syrkx_herkx_restricted_kernelIifLi16ELi32ELi8ELi1ELi1ELb0ELc67ELc85EKPKfKPfEviT_PT9_S5_lS7_S5_lPT10_S5_li.private_seg_size, 0
	.set _ZL37rocblas_syrkx_herkx_restricted_kernelIifLi16ELi32ELi8ELi1ELi1ELb0ELc67ELc85EKPKfKPfEviT_PT9_S5_lS7_S5_lPT10_S5_li.uses_vcc, 1
	.set _ZL37rocblas_syrkx_herkx_restricted_kernelIifLi16ELi32ELi8ELi1ELi1ELb0ELc67ELc85EKPKfKPfEviT_PT9_S5_lS7_S5_lPT10_S5_li.uses_flat_scratch, 0
	.set _ZL37rocblas_syrkx_herkx_restricted_kernelIifLi16ELi32ELi8ELi1ELi1ELb0ELc67ELc85EKPKfKPfEviT_PT9_S5_lS7_S5_lPT10_S5_li.has_dyn_sized_stack, 0
	.set _ZL37rocblas_syrkx_herkx_restricted_kernelIifLi16ELi32ELi8ELi1ELi1ELb0ELc67ELc85EKPKfKPfEviT_PT9_S5_lS7_S5_lPT10_S5_li.has_recursion, 0
	.set _ZL37rocblas_syrkx_herkx_restricted_kernelIifLi16ELi32ELi8ELi1ELi1ELb0ELc67ELc85EKPKfKPfEviT_PT9_S5_lS7_S5_lPT10_S5_li.has_indirect_call, 0
	.section	.AMDGPU.csdata,"",@progbits
; Kernel info:
; codeLenInByte = 1048
; TotalNumSgprs: 21
; NumVgprs: 34
; ScratchSize: 0
; MemoryBound: 0
; FloatMode: 240
; IeeeMode: 1
; LDSByteSize: 2048 bytes/workgroup (compile time only)
; SGPRBlocks: 2
; VGPRBlocks: 8
; NumSGPRsForWavesPerEU: 21
; NumVGPRsForWavesPerEU: 34
; Occupancy: 7
; WaveLimiterHint : 1
; COMPUTE_PGM_RSRC2:SCRATCH_EN: 0
; COMPUTE_PGM_RSRC2:USER_SGPR: 6
; COMPUTE_PGM_RSRC2:TRAP_HANDLER: 0
; COMPUTE_PGM_RSRC2:TGID_X_EN: 1
; COMPUTE_PGM_RSRC2:TGID_Y_EN: 1
; COMPUTE_PGM_RSRC2:TGID_Z_EN: 1
; COMPUTE_PGM_RSRC2:TIDIG_COMP_CNT: 1
	.section	.text._ZL37rocblas_syrkx_herkx_restricted_kernelIifLi16ELi32ELi8ELi1ELi1ELb0ELc78ELc85EKPKfKPfEviT_PT9_S5_lS7_S5_lPT10_S5_li,"axG",@progbits,_ZL37rocblas_syrkx_herkx_restricted_kernelIifLi16ELi32ELi8ELi1ELi1ELb0ELc78ELc85EKPKfKPfEviT_PT9_S5_lS7_S5_lPT10_S5_li,comdat
	.globl	_ZL37rocblas_syrkx_herkx_restricted_kernelIifLi16ELi32ELi8ELi1ELi1ELb0ELc78ELc85EKPKfKPfEviT_PT9_S5_lS7_S5_lPT10_S5_li ; -- Begin function _ZL37rocblas_syrkx_herkx_restricted_kernelIifLi16ELi32ELi8ELi1ELi1ELb0ELc78ELc85EKPKfKPfEviT_PT9_S5_lS7_S5_lPT10_S5_li
	.p2align	8
	.type	_ZL37rocblas_syrkx_herkx_restricted_kernelIifLi16ELi32ELi8ELi1ELi1ELb0ELc78ELc85EKPKfKPfEviT_PT9_S5_lS7_S5_lPT10_S5_li,@function
_ZL37rocblas_syrkx_herkx_restricted_kernelIifLi16ELi32ELi8ELi1ELi1ELb0ELc78ELc85EKPKfKPfEviT_PT9_S5_lS7_S5_lPT10_S5_li: ; @_ZL37rocblas_syrkx_herkx_restricted_kernelIifLi16ELi32ELi8ELi1ELi1ELb0ELc78ELc85EKPKfKPfEviT_PT9_S5_lS7_S5_lPT10_S5_li
; %bb.0:
	s_load_dwordx2 s[10:11], s[4:5], 0x38
	s_load_dwordx2 s[2:3], s[4:5], 0x0
	s_mov_b32 s9, 0
	s_lshl_b64 s[0:1], s[8:9], 3
	s_waitcnt lgkmcnt(0)
	s_add_u32 s10, s10, s0
	s_addc_u32 s11, s11, s1
	s_load_dwordx2 s[10:11], s[10:11], 0x0
	s_lshl_b32 s8, s6, 5
	s_lshl_b32 s12, s7, 5
	s_cmp_lt_i32 s3, 1
	s_cbranch_scc1 .LBB469_3
; %bb.1:
	s_load_dword s6, s[4:5], 0x10
	s_load_dword s14, s[4:5], 0x28
	s_load_dwordx2 s[16:17], s[4:5], 0x8
	s_load_dwordx2 s[18:19], s[4:5], 0x20
	v_lshl_add_u32 v7, v1, 4, v0
	s_waitcnt lgkmcnt(0)
	s_ashr_i32 s7, s6, 31
	s_ashr_i32 s15, s14, 31
	s_add_u32 s16, s16, s0
	s_addc_u32 s17, s17, s1
	v_lshrrev_b32_e32 v8, 3, v7
	s_add_u32 s0, s18, s0
	v_add_u32_e32 v2, s12, v8
	s_addc_u32 s1, s19, s1
	v_and_b32_e32 v6, 7, v0
	v_ashrrev_i32_e32 v3, 31, v2
	s_load_dwordx2 s[18:19], s[0:1], 0x0
	v_mad_i64_i32 v[4:5], s[0:1], s14, v6, v[2:3]
	v_and_b32_e32 v2, 31, v7
	v_lshrrev_b32_e32 v9, 5, v7
	v_lshlrev_b32_e32 v3, 2, v2
	v_lshl_or_b32 v10, v9, 7, v3
	v_lshlrev_b32_e32 v3, 2, v6
	v_lshl_or_b32 v3, v8, 5, v3
	v_add_u32_e32 v2, s8, v2
	v_add_u32_e32 v11, 0x400, v3
	v_ashrrev_i32_e32 v3, 31, v2
	v_mad_i64_i32 v[2:3], s[0:1], s6, v9, v[2:3]
	s_load_dwordx2 s[16:17], s[16:17], 0x0
	v_mov_b32_e32 v6, 0x400
	v_lshlrev_b64 v[2:3], 2, v[2:3]
	v_lshl_add_u32 v13, v1, 5, v6
	v_lshlrev_b64 v[4:5], 2, v[4:5]
	s_waitcnt lgkmcnt(0)
	v_mov_b32_e32 v6, s17
	v_add_co_u32_e32 v2, vcc, s16, v2
	v_addc_co_u32_e32 v3, vcc, v6, v3, vcc
	s_lshl_b64 s[0:1], s[6:7], 5
	v_mov_b32_e32 v6, s19
	v_add_co_u32_e32 v4, vcc, s18, v4
	s_lshl_b64 s[6:7], s[14:15], 5
	v_lshlrev_b32_e32 v12, 2, v0
	v_addc_co_u32_e32 v5, vcc, v6, v5, vcc
	v_mov_b32_e32 v6, 0
	v_mov_b32_e32 v14, s1
	;; [unrolled: 1-line block ×6, first 2 shown]
.LBB469_2:                              ; =>This Inner Loop Header: Depth=1
	flat_load_dword v16, v[2:3]
	v_add_co_u32_e32 v2, vcc, s0, v2
	v_addc_co_u32_e32 v3, vcc, v3, v14, vcc
	s_add_i32 s9, s9, 8
	s_cmp_ge_i32 s9, s3
	s_waitcnt vmcnt(0) lgkmcnt(0)
	ds_write_b32 v10, v16
	flat_load_dword v16, v[4:5]
	v_add_co_u32_e32 v4, vcc, s6, v4
	v_addc_co_u32_e32 v5, vcc, v5, v15, vcc
	s_waitcnt vmcnt(0) lgkmcnt(0)
	ds_write_b32 v11, v16
	s_waitcnt lgkmcnt(0)
	s_barrier
	ds_read2_b32 v[28:29], v12 offset1:16
	ds_read_b128 v[16:19], v13
	ds_read2_b32 v[30:31], v12 offset0:32 offset1:48
	ds_read2_b32 v[32:33], v12 offset0:64 offset1:80
	ds_read_b128 v[20:23], v13 offset:16
	ds_read2_b32 v[34:35], v12 offset0:96 offset1:112
	s_waitcnt lgkmcnt(4)
	v_fmac_f32_e32 v9, v28, v16
	v_fmac_f32_e32 v8, v29, v16
	s_waitcnt lgkmcnt(3)
	v_fmac_f32_e32 v9, v30, v17
	v_fmac_f32_e32 v8, v31, v17
	;; [unrolled: 3-line block ×4, first 2 shown]
	ds_read_b128 v[16:19], v13 offset:512
	ds_read_b128 v[24:27], v13 offset:528
	s_waitcnt lgkmcnt(1)
	v_fmac_f32_e32 v7, v28, v16
	v_fmac_f32_e32 v6, v29, v16
	;; [unrolled: 1-line block ×8, first 2 shown]
	ds_read2_b32 v[16:17], v12 offset0:128 offset1:144
	ds_read2_b32 v[18:19], v12 offset0:160 offset1:176
	;; [unrolled: 1-line block ×3, first 2 shown]
	s_waitcnt lgkmcnt(2)
	v_fmac_f32_e32 v9, v16, v20
	v_fmac_f32_e32 v8, v17, v20
	;; [unrolled: 1-line block ×4, first 2 shown]
	ds_read2_b32 v[16:17], v12 offset0:224 offset1:240
	s_waitcnt lgkmcnt(2)
	v_fmac_f32_e32 v9, v18, v21
	v_fmac_f32_e32 v8, v19, v21
	v_fmac_f32_e32 v7, v18, v25
	v_fmac_f32_e32 v6, v19, v25
	s_waitcnt lgkmcnt(1)
	v_fmac_f32_e32 v9, v28, v22
	v_fmac_f32_e32 v8, v29, v22
	v_fmac_f32_e32 v7, v28, v26
	v_fmac_f32_e32 v6, v29, v26
	;; [unrolled: 5-line block ×3, first 2 shown]
	s_barrier
	s_cbranch_scc0 .LBB469_2
	s_branch .LBB469_4
.LBB469_3:
	v_mov_b32_e32 v9, 0
	v_mov_b32_e32 v8, 0
	;; [unrolled: 1-line block ×4, first 2 shown]
.LBB469_4:
	s_load_dword s3, s[4:5], 0x40
	v_add_u32_e32 v4, s12, v1
	s_waitcnt lgkmcnt(0)
	v_mov_b32_e32 v3, s11
	v_add_u32_e32 v0, s8, v0
	v_cmp_gt_i32_e32 vcc, s2, v4
	v_mad_i64_i32 v[1:2], s[0:1], v4, s3, 0
	v_lshlrev_b64 v[1:2], 2, v[1:2]
	v_add_co_u32_e64 v5, s[0:1], s10, v1
	v_addc_co_u32_e64 v10, s[0:1], v3, v2, s[0:1]
	v_cmp_le_i32_e64 s[0:1], v0, v4
	s_and_b64 s[0:1], vcc, s[0:1]
	s_and_saveexec_b64 s[4:5], s[0:1]
	s_cbranch_execz .LBB469_6
; %bb.5:
	v_ashrrev_i32_e32 v1, 31, v0
	v_lshlrev_b64 v[1:2], 2, v[0:1]
	v_add_co_u32_e64 v1, s[0:1], v5, v1
	v_addc_co_u32_e64 v2, s[0:1], v10, v2, s[0:1]
	flat_load_dword v3, v[1:2]
	s_waitcnt vmcnt(0) lgkmcnt(0)
	v_add_f32_e32 v3, v9, v3
	flat_store_dword v[1:2], v3
.LBB469_6:
	s_or_b64 exec, exec, s[4:5]
	v_add_u32_e32 v2, 16, v0
	v_cmp_le_i32_e64 s[0:1], v2, v4
	s_and_b64 s[4:5], vcc, s[0:1]
	s_and_saveexec_b64 s[0:1], s[4:5]
	s_cbranch_execz .LBB469_8
; %bb.7:
	v_ashrrev_i32_e32 v3, 31, v2
	v_lshlrev_b64 v[11:12], 2, v[2:3]
	v_add_co_u32_e32 v9, vcc, v5, v11
	v_addc_co_u32_e32 v10, vcc, v10, v12, vcc
	flat_load_dword v1, v[9:10]
	s_waitcnt vmcnt(0) lgkmcnt(0)
	v_add_f32_e32 v1, v8, v1
	flat_store_dword v[9:10], v1
.LBB469_8:
	s_or_b64 exec, exec, s[0:1]
	v_add_u32_e32 v3, 16, v4
	v_mad_i64_i32 v[4:5], s[0:1], v3, s3, 0
	v_mov_b32_e32 v1, s11
	v_cmp_gt_i32_e32 vcc, s2, v3
	v_lshlrev_b64 v[4:5], 2, v[4:5]
	v_add_co_u32_e64 v4, s[0:1], s10, v4
	v_addc_co_u32_e64 v5, s[0:1], v1, v5, s[0:1]
	v_cmp_le_i32_e64 s[0:1], v0, v3
	s_and_b64 s[0:1], vcc, s[0:1]
	s_and_saveexec_b64 s[2:3], s[0:1]
	s_cbranch_execz .LBB469_10
; %bb.9:
	v_ashrrev_i32_e32 v1, 31, v0
	v_lshlrev_b64 v[0:1], 2, v[0:1]
	v_add_co_u32_e64 v0, s[0:1], v4, v0
	v_addc_co_u32_e64 v1, s[0:1], v5, v1, s[0:1]
	flat_load_dword v8, v[0:1]
	s_waitcnt vmcnt(0) lgkmcnt(0)
	v_add_f32_e32 v7, v7, v8
	flat_store_dword v[0:1], v7
.LBB469_10:
	s_or_b64 exec, exec, s[2:3]
	v_cmp_le_i32_e64 s[0:1], v2, v3
	s_and_b64 s[0:1], vcc, s[0:1]
	s_and_saveexec_b64 s[2:3], s[0:1]
	s_cbranch_execz .LBB469_12
; %bb.11:
	v_ashrrev_i32_e32 v3, 31, v2
	v_lshlrev_b64 v[0:1], 2, v[2:3]
	v_add_co_u32_e32 v0, vcc, v4, v0
	v_addc_co_u32_e32 v1, vcc, v5, v1, vcc
	flat_load_dword v2, v[0:1]
	s_waitcnt vmcnt(0) lgkmcnt(0)
	v_add_f32_e32 v2, v6, v2
	flat_store_dword v[0:1], v2
.LBB469_12:
	s_endpgm
	.section	.rodata,"a",@progbits
	.p2align	6, 0x0
	.amdhsa_kernel _ZL37rocblas_syrkx_herkx_restricted_kernelIifLi16ELi32ELi8ELi1ELi1ELb0ELc78ELc85EKPKfKPfEviT_PT9_S5_lS7_S5_lPT10_S5_li
		.amdhsa_group_segment_fixed_size 2048
		.amdhsa_private_segment_fixed_size 0
		.amdhsa_kernarg_size 84
		.amdhsa_user_sgpr_count 6
		.amdhsa_user_sgpr_private_segment_buffer 1
		.amdhsa_user_sgpr_dispatch_ptr 0
		.amdhsa_user_sgpr_queue_ptr 0
		.amdhsa_user_sgpr_kernarg_segment_ptr 1
		.amdhsa_user_sgpr_dispatch_id 0
		.amdhsa_user_sgpr_flat_scratch_init 0
		.amdhsa_user_sgpr_private_segment_size 0
		.amdhsa_uses_dynamic_stack 0
		.amdhsa_system_sgpr_private_segment_wavefront_offset 0
		.amdhsa_system_sgpr_workgroup_id_x 1
		.amdhsa_system_sgpr_workgroup_id_y 1
		.amdhsa_system_sgpr_workgroup_id_z 1
		.amdhsa_system_sgpr_workgroup_info 0
		.amdhsa_system_vgpr_workitem_id 1
		.amdhsa_next_free_vgpr 36
		.amdhsa_next_free_sgpr 20
		.amdhsa_reserve_vcc 1
		.amdhsa_reserve_flat_scratch 0
		.amdhsa_float_round_mode_32 0
		.amdhsa_float_round_mode_16_64 0
		.amdhsa_float_denorm_mode_32 3
		.amdhsa_float_denorm_mode_16_64 3
		.amdhsa_dx10_clamp 1
		.amdhsa_ieee_mode 1
		.amdhsa_fp16_overflow 0
		.amdhsa_exception_fp_ieee_invalid_op 0
		.amdhsa_exception_fp_denorm_src 0
		.amdhsa_exception_fp_ieee_div_zero 0
		.amdhsa_exception_fp_ieee_overflow 0
		.amdhsa_exception_fp_ieee_underflow 0
		.amdhsa_exception_fp_ieee_inexact 0
		.amdhsa_exception_int_div_zero 0
	.end_amdhsa_kernel
	.section	.text._ZL37rocblas_syrkx_herkx_restricted_kernelIifLi16ELi32ELi8ELi1ELi1ELb0ELc78ELc85EKPKfKPfEviT_PT9_S5_lS7_S5_lPT10_S5_li,"axG",@progbits,_ZL37rocblas_syrkx_herkx_restricted_kernelIifLi16ELi32ELi8ELi1ELi1ELb0ELc78ELc85EKPKfKPfEviT_PT9_S5_lS7_S5_lPT10_S5_li,comdat
.Lfunc_end469:
	.size	_ZL37rocblas_syrkx_herkx_restricted_kernelIifLi16ELi32ELi8ELi1ELi1ELb0ELc78ELc85EKPKfKPfEviT_PT9_S5_lS7_S5_lPT10_S5_li, .Lfunc_end469-_ZL37rocblas_syrkx_herkx_restricted_kernelIifLi16ELi32ELi8ELi1ELi1ELb0ELc78ELc85EKPKfKPfEviT_PT9_S5_lS7_S5_lPT10_S5_li
                                        ; -- End function
	.set _ZL37rocblas_syrkx_herkx_restricted_kernelIifLi16ELi32ELi8ELi1ELi1ELb0ELc78ELc85EKPKfKPfEviT_PT9_S5_lS7_S5_lPT10_S5_li.num_vgpr, 36
	.set _ZL37rocblas_syrkx_herkx_restricted_kernelIifLi16ELi32ELi8ELi1ELi1ELb0ELc78ELc85EKPKfKPfEviT_PT9_S5_lS7_S5_lPT10_S5_li.num_agpr, 0
	.set _ZL37rocblas_syrkx_herkx_restricted_kernelIifLi16ELi32ELi8ELi1ELi1ELb0ELc78ELc85EKPKfKPfEviT_PT9_S5_lS7_S5_lPT10_S5_li.numbered_sgpr, 20
	.set _ZL37rocblas_syrkx_herkx_restricted_kernelIifLi16ELi32ELi8ELi1ELi1ELb0ELc78ELc85EKPKfKPfEviT_PT9_S5_lS7_S5_lPT10_S5_li.num_named_barrier, 0
	.set _ZL37rocblas_syrkx_herkx_restricted_kernelIifLi16ELi32ELi8ELi1ELi1ELb0ELc78ELc85EKPKfKPfEviT_PT9_S5_lS7_S5_lPT10_S5_li.private_seg_size, 0
	.set _ZL37rocblas_syrkx_herkx_restricted_kernelIifLi16ELi32ELi8ELi1ELi1ELb0ELc78ELc85EKPKfKPfEviT_PT9_S5_lS7_S5_lPT10_S5_li.uses_vcc, 1
	.set _ZL37rocblas_syrkx_herkx_restricted_kernelIifLi16ELi32ELi8ELi1ELi1ELb0ELc78ELc85EKPKfKPfEviT_PT9_S5_lS7_S5_lPT10_S5_li.uses_flat_scratch, 0
	.set _ZL37rocblas_syrkx_herkx_restricted_kernelIifLi16ELi32ELi8ELi1ELi1ELb0ELc78ELc85EKPKfKPfEviT_PT9_S5_lS7_S5_lPT10_S5_li.has_dyn_sized_stack, 0
	.set _ZL37rocblas_syrkx_herkx_restricted_kernelIifLi16ELi32ELi8ELi1ELi1ELb0ELc78ELc85EKPKfKPfEviT_PT9_S5_lS7_S5_lPT10_S5_li.has_recursion, 0
	.set _ZL37rocblas_syrkx_herkx_restricted_kernelIifLi16ELi32ELi8ELi1ELi1ELb0ELc78ELc85EKPKfKPfEviT_PT9_S5_lS7_S5_lPT10_S5_li.has_indirect_call, 0
	.section	.AMDGPU.csdata,"",@progbits
; Kernel info:
; codeLenInByte = 1076
; TotalNumSgprs: 24
; NumVgprs: 36
; ScratchSize: 0
; MemoryBound: 0
; FloatMode: 240
; IeeeMode: 1
; LDSByteSize: 2048 bytes/workgroup (compile time only)
; SGPRBlocks: 2
; VGPRBlocks: 8
; NumSGPRsForWavesPerEU: 24
; NumVGPRsForWavesPerEU: 36
; Occupancy: 7
; WaveLimiterHint : 1
; COMPUTE_PGM_RSRC2:SCRATCH_EN: 0
; COMPUTE_PGM_RSRC2:USER_SGPR: 6
; COMPUTE_PGM_RSRC2:TRAP_HANDLER: 0
; COMPUTE_PGM_RSRC2:TGID_X_EN: 1
; COMPUTE_PGM_RSRC2:TGID_Y_EN: 1
; COMPUTE_PGM_RSRC2:TGID_Z_EN: 1
; COMPUTE_PGM_RSRC2:TIDIG_COMP_CNT: 1
	.section	.text._ZL37rocblas_syrkx_herkx_restricted_kernelIifLi16ELi32ELi8ELi1ELin1ELb0ELc84ELc76EKPKfKPfEviT_PT9_S5_lS7_S5_lPT10_S5_li,"axG",@progbits,_ZL37rocblas_syrkx_herkx_restricted_kernelIifLi16ELi32ELi8ELi1ELin1ELb0ELc84ELc76EKPKfKPfEviT_PT9_S5_lS7_S5_lPT10_S5_li,comdat
	.globl	_ZL37rocblas_syrkx_herkx_restricted_kernelIifLi16ELi32ELi8ELi1ELin1ELb0ELc84ELc76EKPKfKPfEviT_PT9_S5_lS7_S5_lPT10_S5_li ; -- Begin function _ZL37rocblas_syrkx_herkx_restricted_kernelIifLi16ELi32ELi8ELi1ELin1ELb0ELc84ELc76EKPKfKPfEviT_PT9_S5_lS7_S5_lPT10_S5_li
	.p2align	8
	.type	_ZL37rocblas_syrkx_herkx_restricted_kernelIifLi16ELi32ELi8ELi1ELin1ELb0ELc84ELc76EKPKfKPfEviT_PT9_S5_lS7_S5_lPT10_S5_li,@function
_ZL37rocblas_syrkx_herkx_restricted_kernelIifLi16ELi32ELi8ELi1ELin1ELb0ELc84ELc76EKPKfKPfEviT_PT9_S5_lS7_S5_lPT10_S5_li: ; @_ZL37rocblas_syrkx_herkx_restricted_kernelIifLi16ELi32ELi8ELi1ELin1ELb0ELc84ELc76EKPKfKPfEviT_PT9_S5_lS7_S5_lPT10_S5_li
; %bb.0:
	s_load_dwordx2 s[2:3], s[4:5], 0x38
	s_load_dwordx2 s[12:13], s[4:5], 0x0
	s_mov_b32 s9, 0
	s_lshl_b64 s[0:1], s[8:9], 3
	s_waitcnt lgkmcnt(0)
	s_add_u32 s2, s2, s0
	s_addc_u32 s3, s3, s1
	s_load_dwordx2 s[10:11], s[2:3], 0x0
	s_lshl_b32 s2, s6, 5
	s_lshl_b32 s3, s7, 5
	s_cmp_lt_i32 s13, 1
	s_cbranch_scc1 .LBB470_3
; %bb.1:
	s_load_dwordx2 s[6:7], s[4:5], 0x8
	s_load_dword s8, s[4:5], 0x10
	s_load_dwordx2 s[14:15], s[4:5], 0x20
	s_load_dword s16, s[4:5], 0x28
	v_lshl_add_u32 v4, v1, 4, v0
	s_waitcnt lgkmcnt(0)
	s_add_u32 s6, s6, s0
	s_addc_u32 s7, s7, s1
	v_lshrrev_b32_e32 v8, 3, v4
	s_add_u32 s0, s14, s0
	v_add_u32_e32 v5, s3, v8
	v_and_b32_e32 v2, 7, v0
	v_mov_b32_e32 v3, 0
	s_addc_u32 s1, s15, s1
	v_mad_i64_i32 v[6:7], s[14:15], s16, v5, v[2:3]
	v_lshlrev_b32_e32 v2, 2, v2
	v_and_b32_e32 v9, 31, v4
	v_lshl_or_b32 v2, v8, 5, v2
	v_lshrrev_b32_e32 v4, 5, v4
	v_mov_b32_e32 v5, v3
	v_lshlrev_b32_e32 v10, 2, v9
	v_add_u32_e32 v11, 0x400, v2
	v_add_u32_e32 v2, s2, v9
	v_lshl_or_b32 v10, v4, 7, v10
	v_mad_i64_i32 v[4:5], s[14:15], s8, v2, v[4:5]
	s_load_dwordx2 s[6:7], s[6:7], 0x0
	v_mov_b32_e32 v2, 0x400
	s_load_dwordx2 s[0:1], s[0:1], 0x0
	v_lshlrev_b64 v[4:5], 2, v[4:5]
	v_lshl_add_u32 v13, v1, 5, v2
	s_waitcnt lgkmcnt(0)
	v_mov_b32_e32 v2, s7
	v_add_co_u32_e32 v4, vcc, s6, v4
	v_lshlrev_b64 v[6:7], 2, v[6:7]
	v_addc_co_u32_e32 v5, vcc, v2, v5, vcc
	v_mov_b32_e32 v2, s1
	v_add_co_u32_e32 v6, vcc, s0, v6
	v_lshlrev_b32_e32 v12, 2, v0
	v_addc_co_u32_e32 v7, vcc, v2, v7, vcc
	v_mov_b32_e32 v2, v3
	v_mov_b32_e32 v8, v3
	;; [unrolled: 1-line block ×3, first 2 shown]
.LBB470_2:                              ; =>This Inner Loop Header: Depth=1
	flat_load_dword v14, v[4:5]
	v_add_co_u32_e32 v4, vcc, 32, v4
	v_addc_co_u32_e32 v5, vcc, 0, v5, vcc
	s_add_i32 s9, s9, 8
	s_cmp_ge_i32 s9, s13
	s_waitcnt vmcnt(0) lgkmcnt(0)
	ds_write_b32 v10, v14
	flat_load_dword v14, v[6:7]
	v_add_co_u32_e32 v6, vcc, 32, v6
	v_addc_co_u32_e32 v7, vcc, 0, v7, vcc
	s_waitcnt vmcnt(0) lgkmcnt(0)
	ds_write_b32 v11, v14
	s_waitcnt lgkmcnt(0)
	s_barrier
	ds_read2_b32 v[26:27], v12 offset1:16
	ds_read_b128 v[14:17], v13
	ds_read2_b32 v[28:29], v12 offset0:32 offset1:48
	ds_read2_b32 v[30:31], v12 offset0:64 offset1:80
	ds_read_b128 v[18:21], v13 offset:16
	ds_read2_b32 v[32:33], v12 offset0:96 offset1:112
	s_waitcnt lgkmcnt(4)
	v_fmac_f32_e32 v9, v26, v14
	v_fmac_f32_e32 v8, v27, v14
	s_waitcnt lgkmcnt(3)
	v_fmac_f32_e32 v9, v28, v15
	v_fmac_f32_e32 v8, v29, v15
	;; [unrolled: 3-line block ×4, first 2 shown]
	ds_read_b128 v[14:17], v13 offset:512
	ds_read_b128 v[22:25], v13 offset:528
	s_waitcnt lgkmcnt(1)
	v_fmac_f32_e32 v2, v26, v14
	v_fmac_f32_e32 v3, v27, v14
	;; [unrolled: 1-line block ×8, first 2 shown]
	ds_read2_b32 v[14:15], v12 offset0:128 offset1:144
	ds_read2_b32 v[16:17], v12 offset0:160 offset1:176
	ds_read2_b32 v[26:27], v12 offset0:192 offset1:208
	s_waitcnt lgkmcnt(2)
	v_fmac_f32_e32 v9, v14, v18
	v_fmac_f32_e32 v8, v15, v18
	;; [unrolled: 1-line block ×4, first 2 shown]
	ds_read2_b32 v[14:15], v12 offset0:224 offset1:240
	s_waitcnt lgkmcnt(2)
	v_fmac_f32_e32 v9, v16, v19
	v_fmac_f32_e32 v8, v17, v19
	v_fmac_f32_e32 v2, v16, v23
	v_fmac_f32_e32 v3, v17, v23
	s_waitcnt lgkmcnt(1)
	v_fmac_f32_e32 v9, v26, v20
	v_fmac_f32_e32 v8, v27, v20
	v_fmac_f32_e32 v2, v26, v24
	v_fmac_f32_e32 v3, v27, v24
	;; [unrolled: 5-line block ×3, first 2 shown]
	s_barrier
	s_cbranch_scc0 .LBB470_2
	s_branch .LBB470_4
.LBB470_3:
	v_mov_b32_e32 v9, 0
	v_mov_b32_e32 v8, 0
	;; [unrolled: 1-line block ×4, first 2 shown]
.LBB470_4:
	s_load_dword s6, s[4:5], 0x40
	v_add_u32_e32 v6, s3, v1
	s_waitcnt lgkmcnt(0)
	v_mov_b32_e32 v1, s11
	v_add_u32_e32 v0, s2, v0
	v_mad_i64_i32 v[4:5], s[0:1], v6, s6, 0
	v_cmp_le_i32_e64 s[0:1], v6, v0
	v_lshlrev_b64 v[4:5], 2, v[4:5]
	v_add_co_u32_e32 v7, vcc, s10, v4
	v_addc_co_u32_e32 v10, vcc, v1, v5, vcc
	v_cmp_gt_i32_e32 vcc, s12, v0
	s_and_b64 s[0:1], s[0:1], vcc
	s_and_saveexec_b64 s[2:3], s[0:1]
	s_cbranch_execz .LBB470_6
; %bb.5:
	v_ashrrev_i32_e32 v1, 31, v0
	v_lshlrev_b64 v[4:5], 2, v[0:1]
	v_add_co_u32_e64 v4, s[0:1], v7, v4
	v_addc_co_u32_e64 v5, s[0:1], v10, v5, s[0:1]
	flat_load_dword v1, v[4:5]
	s_waitcnt vmcnt(0) lgkmcnt(0)
	v_sub_f32_e32 v1, v9, v1
	flat_store_dword v[4:5], v1
.LBB470_6:
	s_or_b64 exec, exec, s[2:3]
	v_add_u32_e32 v4, 16, v0
	v_cmp_le_i32_e64 s[2:3], v6, v4
	v_cmp_gt_i32_e64 s[0:1], s12, v4
	s_and_b64 s[2:3], s[2:3], s[0:1]
	s_and_saveexec_b64 s[4:5], s[2:3]
	s_cbranch_execz .LBB470_8
; %bb.7:
	v_ashrrev_i32_e32 v5, 31, v4
	v_lshlrev_b64 v[11:12], 2, v[4:5]
	v_add_co_u32_e64 v9, s[2:3], v7, v11
	v_addc_co_u32_e64 v10, s[2:3], v10, v12, s[2:3]
	flat_load_dword v1, v[9:10]
	s_waitcnt vmcnt(0) lgkmcnt(0)
	v_sub_f32_e32 v1, v8, v1
	flat_store_dword v[9:10], v1
.LBB470_8:
	s_or_b64 exec, exec, s[4:5]
	v_add_u32_e32 v5, 16, v6
	v_mad_i64_i32 v[6:7], s[2:3], v5, s6, 0
	v_mov_b32_e32 v1, s11
	v_lshlrev_b64 v[6:7], 2, v[6:7]
	v_add_co_u32_e64 v6, s[2:3], s10, v6
	v_addc_co_u32_e64 v7, s[2:3], v1, v7, s[2:3]
	v_cmp_le_i32_e64 s[2:3], v5, v0
	s_and_b64 s[4:5], s[2:3], vcc
	s_and_saveexec_b64 s[2:3], s[4:5]
	s_cbranch_execz .LBB470_10
; %bb.9:
	v_ashrrev_i32_e32 v1, 31, v0
	v_lshlrev_b64 v[0:1], 2, v[0:1]
	v_add_co_u32_e32 v0, vcc, v6, v0
	v_addc_co_u32_e32 v1, vcc, v7, v1, vcc
	flat_load_dword v8, v[0:1]
	s_waitcnt vmcnt(0) lgkmcnt(0)
	v_sub_f32_e32 v2, v2, v8
	flat_store_dword v[0:1], v2
.LBB470_10:
	s_or_b64 exec, exec, s[2:3]
	v_cmp_le_i32_e32 vcc, v5, v4
	s_and_b64 s[0:1], vcc, s[0:1]
	s_and_saveexec_b64 s[2:3], s[0:1]
	s_cbranch_execz .LBB470_12
; %bb.11:
	v_ashrrev_i32_e32 v5, 31, v4
	v_lshlrev_b64 v[0:1], 2, v[4:5]
	v_add_co_u32_e32 v0, vcc, v6, v0
	v_addc_co_u32_e32 v1, vcc, v7, v1, vcc
	flat_load_dword v2, v[0:1]
	s_waitcnt vmcnt(0) lgkmcnt(0)
	v_sub_f32_e32 v2, v3, v2
	flat_store_dword v[0:1], v2
.LBB470_12:
	s_endpgm
	.section	.rodata,"a",@progbits
	.p2align	6, 0x0
	.amdhsa_kernel _ZL37rocblas_syrkx_herkx_restricted_kernelIifLi16ELi32ELi8ELi1ELin1ELb0ELc84ELc76EKPKfKPfEviT_PT9_S5_lS7_S5_lPT10_S5_li
		.amdhsa_group_segment_fixed_size 2048
		.amdhsa_private_segment_fixed_size 0
		.amdhsa_kernarg_size 84
		.amdhsa_user_sgpr_count 6
		.amdhsa_user_sgpr_private_segment_buffer 1
		.amdhsa_user_sgpr_dispatch_ptr 0
		.amdhsa_user_sgpr_queue_ptr 0
		.amdhsa_user_sgpr_kernarg_segment_ptr 1
		.amdhsa_user_sgpr_dispatch_id 0
		.amdhsa_user_sgpr_flat_scratch_init 0
		.amdhsa_user_sgpr_private_segment_size 0
		.amdhsa_uses_dynamic_stack 0
		.amdhsa_system_sgpr_private_segment_wavefront_offset 0
		.amdhsa_system_sgpr_workgroup_id_x 1
		.amdhsa_system_sgpr_workgroup_id_y 1
		.amdhsa_system_sgpr_workgroup_id_z 1
		.amdhsa_system_sgpr_workgroup_info 0
		.amdhsa_system_vgpr_workitem_id 1
		.amdhsa_next_free_vgpr 34
		.amdhsa_next_free_sgpr 17
		.amdhsa_reserve_vcc 1
		.amdhsa_reserve_flat_scratch 0
		.amdhsa_float_round_mode_32 0
		.amdhsa_float_round_mode_16_64 0
		.amdhsa_float_denorm_mode_32 3
		.amdhsa_float_denorm_mode_16_64 3
		.amdhsa_dx10_clamp 1
		.amdhsa_ieee_mode 1
		.amdhsa_fp16_overflow 0
		.amdhsa_exception_fp_ieee_invalid_op 0
		.amdhsa_exception_fp_denorm_src 0
		.amdhsa_exception_fp_ieee_div_zero 0
		.amdhsa_exception_fp_ieee_overflow 0
		.amdhsa_exception_fp_ieee_underflow 0
		.amdhsa_exception_fp_ieee_inexact 0
		.amdhsa_exception_int_div_zero 0
	.end_amdhsa_kernel
	.section	.text._ZL37rocblas_syrkx_herkx_restricted_kernelIifLi16ELi32ELi8ELi1ELin1ELb0ELc84ELc76EKPKfKPfEviT_PT9_S5_lS7_S5_lPT10_S5_li,"axG",@progbits,_ZL37rocblas_syrkx_herkx_restricted_kernelIifLi16ELi32ELi8ELi1ELin1ELb0ELc84ELc76EKPKfKPfEviT_PT9_S5_lS7_S5_lPT10_S5_li,comdat
.Lfunc_end470:
	.size	_ZL37rocblas_syrkx_herkx_restricted_kernelIifLi16ELi32ELi8ELi1ELin1ELb0ELc84ELc76EKPKfKPfEviT_PT9_S5_lS7_S5_lPT10_S5_li, .Lfunc_end470-_ZL37rocblas_syrkx_herkx_restricted_kernelIifLi16ELi32ELi8ELi1ELin1ELb0ELc84ELc76EKPKfKPfEviT_PT9_S5_lS7_S5_lPT10_S5_li
                                        ; -- End function
	.set _ZL37rocblas_syrkx_herkx_restricted_kernelIifLi16ELi32ELi8ELi1ELin1ELb0ELc84ELc76EKPKfKPfEviT_PT9_S5_lS7_S5_lPT10_S5_li.num_vgpr, 34
	.set _ZL37rocblas_syrkx_herkx_restricted_kernelIifLi16ELi32ELi8ELi1ELin1ELb0ELc84ELc76EKPKfKPfEviT_PT9_S5_lS7_S5_lPT10_S5_li.num_agpr, 0
	.set _ZL37rocblas_syrkx_herkx_restricted_kernelIifLi16ELi32ELi8ELi1ELin1ELb0ELc84ELc76EKPKfKPfEviT_PT9_S5_lS7_S5_lPT10_S5_li.numbered_sgpr, 17
	.set _ZL37rocblas_syrkx_herkx_restricted_kernelIifLi16ELi32ELi8ELi1ELin1ELb0ELc84ELc76EKPKfKPfEviT_PT9_S5_lS7_S5_lPT10_S5_li.num_named_barrier, 0
	.set _ZL37rocblas_syrkx_herkx_restricted_kernelIifLi16ELi32ELi8ELi1ELin1ELb0ELc84ELc76EKPKfKPfEviT_PT9_S5_lS7_S5_lPT10_S5_li.private_seg_size, 0
	.set _ZL37rocblas_syrkx_herkx_restricted_kernelIifLi16ELi32ELi8ELi1ELin1ELb0ELc84ELc76EKPKfKPfEviT_PT9_S5_lS7_S5_lPT10_S5_li.uses_vcc, 1
	.set _ZL37rocblas_syrkx_herkx_restricted_kernelIifLi16ELi32ELi8ELi1ELin1ELb0ELc84ELc76EKPKfKPfEviT_PT9_S5_lS7_S5_lPT10_S5_li.uses_flat_scratch, 0
	.set _ZL37rocblas_syrkx_herkx_restricted_kernelIifLi16ELi32ELi8ELi1ELin1ELb0ELc84ELc76EKPKfKPfEviT_PT9_S5_lS7_S5_lPT10_S5_li.has_dyn_sized_stack, 0
	.set _ZL37rocblas_syrkx_herkx_restricted_kernelIifLi16ELi32ELi8ELi1ELin1ELb0ELc84ELc76EKPKfKPfEviT_PT9_S5_lS7_S5_lPT10_S5_li.has_recursion, 0
	.set _ZL37rocblas_syrkx_herkx_restricted_kernelIifLi16ELi32ELi8ELi1ELin1ELb0ELc84ELc76EKPKfKPfEviT_PT9_S5_lS7_S5_lPT10_S5_li.has_indirect_call, 0
	.section	.AMDGPU.csdata,"",@progbits
; Kernel info:
; codeLenInByte = 1040
; TotalNumSgprs: 21
; NumVgprs: 34
; ScratchSize: 0
; MemoryBound: 0
; FloatMode: 240
; IeeeMode: 1
; LDSByteSize: 2048 bytes/workgroup (compile time only)
; SGPRBlocks: 2
; VGPRBlocks: 8
; NumSGPRsForWavesPerEU: 21
; NumVGPRsForWavesPerEU: 34
; Occupancy: 7
; WaveLimiterHint : 1
; COMPUTE_PGM_RSRC2:SCRATCH_EN: 0
; COMPUTE_PGM_RSRC2:USER_SGPR: 6
; COMPUTE_PGM_RSRC2:TRAP_HANDLER: 0
; COMPUTE_PGM_RSRC2:TGID_X_EN: 1
; COMPUTE_PGM_RSRC2:TGID_Y_EN: 1
; COMPUTE_PGM_RSRC2:TGID_Z_EN: 1
; COMPUTE_PGM_RSRC2:TIDIG_COMP_CNT: 1
	.section	.text._ZL37rocblas_syrkx_herkx_restricted_kernelIifLi16ELi32ELi8ELi1ELin1ELb0ELc67ELc76EKPKfKPfEviT_PT9_S5_lS7_S5_lPT10_S5_li,"axG",@progbits,_ZL37rocblas_syrkx_herkx_restricted_kernelIifLi16ELi32ELi8ELi1ELin1ELb0ELc67ELc76EKPKfKPfEviT_PT9_S5_lS7_S5_lPT10_S5_li,comdat
	.globl	_ZL37rocblas_syrkx_herkx_restricted_kernelIifLi16ELi32ELi8ELi1ELin1ELb0ELc67ELc76EKPKfKPfEviT_PT9_S5_lS7_S5_lPT10_S5_li ; -- Begin function _ZL37rocblas_syrkx_herkx_restricted_kernelIifLi16ELi32ELi8ELi1ELin1ELb0ELc67ELc76EKPKfKPfEviT_PT9_S5_lS7_S5_lPT10_S5_li
	.p2align	8
	.type	_ZL37rocblas_syrkx_herkx_restricted_kernelIifLi16ELi32ELi8ELi1ELin1ELb0ELc67ELc76EKPKfKPfEviT_PT9_S5_lS7_S5_lPT10_S5_li,@function
_ZL37rocblas_syrkx_herkx_restricted_kernelIifLi16ELi32ELi8ELi1ELin1ELb0ELc67ELc76EKPKfKPfEviT_PT9_S5_lS7_S5_lPT10_S5_li: ; @_ZL37rocblas_syrkx_herkx_restricted_kernelIifLi16ELi32ELi8ELi1ELin1ELb0ELc67ELc76EKPKfKPfEviT_PT9_S5_lS7_S5_lPT10_S5_li
; %bb.0:
	s_load_dwordx2 s[2:3], s[4:5], 0x38
	s_load_dwordx2 s[12:13], s[4:5], 0x0
	s_mov_b32 s9, 0
	s_lshl_b64 s[0:1], s[8:9], 3
	s_waitcnt lgkmcnt(0)
	s_add_u32 s2, s2, s0
	s_addc_u32 s3, s3, s1
	s_load_dwordx2 s[10:11], s[2:3], 0x0
	s_lshl_b32 s2, s6, 5
	s_lshl_b32 s3, s7, 5
	s_cmp_lt_i32 s13, 1
	s_cbranch_scc1 .LBB471_3
; %bb.1:
	s_load_dwordx2 s[6:7], s[4:5], 0x8
	s_load_dword s8, s[4:5], 0x10
	s_load_dwordx2 s[14:15], s[4:5], 0x20
	s_load_dword s16, s[4:5], 0x28
	v_lshl_add_u32 v4, v1, 4, v0
	s_waitcnt lgkmcnt(0)
	s_add_u32 s6, s6, s0
	s_addc_u32 s7, s7, s1
	v_lshrrev_b32_e32 v8, 3, v4
	s_add_u32 s0, s14, s0
	v_add_u32_e32 v5, s3, v8
	v_and_b32_e32 v2, 7, v0
	v_mov_b32_e32 v3, 0
	s_addc_u32 s1, s15, s1
	v_mad_i64_i32 v[6:7], s[14:15], s16, v5, v[2:3]
	v_lshlrev_b32_e32 v2, 2, v2
	v_and_b32_e32 v9, 31, v4
	v_lshl_or_b32 v2, v8, 5, v2
	v_lshrrev_b32_e32 v4, 5, v4
	v_mov_b32_e32 v5, v3
	v_lshlrev_b32_e32 v10, 2, v9
	v_add_u32_e32 v11, 0x400, v2
	v_add_u32_e32 v2, s2, v9
	v_lshl_or_b32 v10, v4, 7, v10
	v_mad_i64_i32 v[4:5], s[14:15], s8, v2, v[4:5]
	s_load_dwordx2 s[6:7], s[6:7], 0x0
	v_mov_b32_e32 v2, 0x400
	s_load_dwordx2 s[0:1], s[0:1], 0x0
	v_lshlrev_b64 v[4:5], 2, v[4:5]
	v_lshl_add_u32 v13, v1, 5, v2
	s_waitcnt lgkmcnt(0)
	v_mov_b32_e32 v2, s7
	v_add_co_u32_e32 v4, vcc, s6, v4
	v_lshlrev_b64 v[6:7], 2, v[6:7]
	v_addc_co_u32_e32 v5, vcc, v2, v5, vcc
	v_mov_b32_e32 v2, s1
	v_add_co_u32_e32 v6, vcc, s0, v6
	v_lshlrev_b32_e32 v12, 2, v0
	v_addc_co_u32_e32 v7, vcc, v2, v7, vcc
	v_mov_b32_e32 v2, v3
	v_mov_b32_e32 v8, v3
	;; [unrolled: 1-line block ×3, first 2 shown]
.LBB471_2:                              ; =>This Inner Loop Header: Depth=1
	flat_load_dword v14, v[4:5]
	v_add_co_u32_e32 v4, vcc, 32, v4
	v_addc_co_u32_e32 v5, vcc, 0, v5, vcc
	s_add_i32 s9, s9, 8
	s_cmp_ge_i32 s9, s13
	s_waitcnt vmcnt(0) lgkmcnt(0)
	ds_write_b32 v10, v14
	flat_load_dword v14, v[6:7]
	v_add_co_u32_e32 v6, vcc, 32, v6
	v_addc_co_u32_e32 v7, vcc, 0, v7, vcc
	s_waitcnt vmcnt(0) lgkmcnt(0)
	ds_write_b32 v11, v14
	s_waitcnt lgkmcnt(0)
	s_barrier
	ds_read2_b32 v[26:27], v12 offset1:16
	ds_read_b128 v[14:17], v13
	ds_read2_b32 v[28:29], v12 offset0:32 offset1:48
	ds_read2_b32 v[30:31], v12 offset0:64 offset1:80
	ds_read_b128 v[18:21], v13 offset:16
	ds_read2_b32 v[32:33], v12 offset0:96 offset1:112
	s_waitcnt lgkmcnt(4)
	v_fmac_f32_e32 v9, v26, v14
	v_fmac_f32_e32 v8, v27, v14
	s_waitcnt lgkmcnt(3)
	v_fmac_f32_e32 v9, v28, v15
	v_fmac_f32_e32 v8, v29, v15
	;; [unrolled: 3-line block ×4, first 2 shown]
	ds_read_b128 v[14:17], v13 offset:512
	ds_read_b128 v[22:25], v13 offset:528
	s_waitcnt lgkmcnt(1)
	v_fmac_f32_e32 v2, v26, v14
	v_fmac_f32_e32 v3, v27, v14
	;; [unrolled: 1-line block ×8, first 2 shown]
	ds_read2_b32 v[14:15], v12 offset0:128 offset1:144
	ds_read2_b32 v[16:17], v12 offset0:160 offset1:176
	;; [unrolled: 1-line block ×3, first 2 shown]
	s_waitcnt lgkmcnt(2)
	v_fmac_f32_e32 v9, v14, v18
	v_fmac_f32_e32 v8, v15, v18
	;; [unrolled: 1-line block ×4, first 2 shown]
	ds_read2_b32 v[14:15], v12 offset0:224 offset1:240
	s_waitcnt lgkmcnt(2)
	v_fmac_f32_e32 v9, v16, v19
	v_fmac_f32_e32 v8, v17, v19
	v_fmac_f32_e32 v2, v16, v23
	v_fmac_f32_e32 v3, v17, v23
	s_waitcnt lgkmcnt(1)
	v_fmac_f32_e32 v9, v26, v20
	v_fmac_f32_e32 v8, v27, v20
	v_fmac_f32_e32 v2, v26, v24
	v_fmac_f32_e32 v3, v27, v24
	;; [unrolled: 5-line block ×3, first 2 shown]
	s_barrier
	s_cbranch_scc0 .LBB471_2
	s_branch .LBB471_4
.LBB471_3:
	v_mov_b32_e32 v9, 0
	v_mov_b32_e32 v8, 0
	;; [unrolled: 1-line block ×4, first 2 shown]
.LBB471_4:
	s_load_dword s6, s[4:5], 0x40
	v_add_u32_e32 v6, s3, v1
	s_waitcnt lgkmcnt(0)
	v_mov_b32_e32 v1, s11
	v_add_u32_e32 v0, s2, v0
	v_mad_i64_i32 v[4:5], s[0:1], v6, s6, 0
	v_cmp_le_i32_e64 s[0:1], v6, v0
	v_lshlrev_b64 v[4:5], 2, v[4:5]
	v_add_co_u32_e32 v7, vcc, s10, v4
	v_addc_co_u32_e32 v10, vcc, v1, v5, vcc
	v_cmp_gt_i32_e32 vcc, s12, v0
	s_and_b64 s[0:1], s[0:1], vcc
	s_and_saveexec_b64 s[2:3], s[0:1]
	s_cbranch_execz .LBB471_6
; %bb.5:
	v_ashrrev_i32_e32 v1, 31, v0
	v_lshlrev_b64 v[4:5], 2, v[0:1]
	v_add_co_u32_e64 v4, s[0:1], v7, v4
	v_addc_co_u32_e64 v5, s[0:1], v10, v5, s[0:1]
	flat_load_dword v1, v[4:5]
	s_waitcnt vmcnt(0) lgkmcnt(0)
	v_sub_f32_e32 v1, v9, v1
	flat_store_dword v[4:5], v1
.LBB471_6:
	s_or_b64 exec, exec, s[2:3]
	v_add_u32_e32 v4, 16, v0
	v_cmp_le_i32_e64 s[2:3], v6, v4
	v_cmp_gt_i32_e64 s[0:1], s12, v4
	s_and_b64 s[2:3], s[2:3], s[0:1]
	s_and_saveexec_b64 s[4:5], s[2:3]
	s_cbranch_execz .LBB471_8
; %bb.7:
	v_ashrrev_i32_e32 v5, 31, v4
	v_lshlrev_b64 v[11:12], 2, v[4:5]
	v_add_co_u32_e64 v9, s[2:3], v7, v11
	v_addc_co_u32_e64 v10, s[2:3], v10, v12, s[2:3]
	flat_load_dword v1, v[9:10]
	s_waitcnt vmcnt(0) lgkmcnt(0)
	v_sub_f32_e32 v1, v8, v1
	flat_store_dword v[9:10], v1
.LBB471_8:
	s_or_b64 exec, exec, s[4:5]
	v_add_u32_e32 v5, 16, v6
	v_mad_i64_i32 v[6:7], s[2:3], v5, s6, 0
	v_mov_b32_e32 v1, s11
	v_lshlrev_b64 v[6:7], 2, v[6:7]
	v_add_co_u32_e64 v6, s[2:3], s10, v6
	v_addc_co_u32_e64 v7, s[2:3], v1, v7, s[2:3]
	v_cmp_le_i32_e64 s[2:3], v5, v0
	s_and_b64 s[4:5], s[2:3], vcc
	s_and_saveexec_b64 s[2:3], s[4:5]
	s_cbranch_execz .LBB471_10
; %bb.9:
	v_ashrrev_i32_e32 v1, 31, v0
	v_lshlrev_b64 v[0:1], 2, v[0:1]
	v_add_co_u32_e32 v0, vcc, v6, v0
	v_addc_co_u32_e32 v1, vcc, v7, v1, vcc
	flat_load_dword v8, v[0:1]
	s_waitcnt vmcnt(0) lgkmcnt(0)
	v_sub_f32_e32 v2, v2, v8
	flat_store_dword v[0:1], v2
.LBB471_10:
	s_or_b64 exec, exec, s[2:3]
	v_cmp_le_i32_e32 vcc, v5, v4
	s_and_b64 s[0:1], vcc, s[0:1]
	s_and_saveexec_b64 s[2:3], s[0:1]
	s_cbranch_execz .LBB471_12
; %bb.11:
	v_ashrrev_i32_e32 v5, 31, v4
	v_lshlrev_b64 v[0:1], 2, v[4:5]
	v_add_co_u32_e32 v0, vcc, v6, v0
	v_addc_co_u32_e32 v1, vcc, v7, v1, vcc
	flat_load_dword v2, v[0:1]
	s_waitcnt vmcnt(0) lgkmcnt(0)
	v_sub_f32_e32 v2, v3, v2
	flat_store_dword v[0:1], v2
.LBB471_12:
	s_endpgm
	.section	.rodata,"a",@progbits
	.p2align	6, 0x0
	.amdhsa_kernel _ZL37rocblas_syrkx_herkx_restricted_kernelIifLi16ELi32ELi8ELi1ELin1ELb0ELc67ELc76EKPKfKPfEviT_PT9_S5_lS7_S5_lPT10_S5_li
		.amdhsa_group_segment_fixed_size 2048
		.amdhsa_private_segment_fixed_size 0
		.amdhsa_kernarg_size 84
		.amdhsa_user_sgpr_count 6
		.amdhsa_user_sgpr_private_segment_buffer 1
		.amdhsa_user_sgpr_dispatch_ptr 0
		.amdhsa_user_sgpr_queue_ptr 0
		.amdhsa_user_sgpr_kernarg_segment_ptr 1
		.amdhsa_user_sgpr_dispatch_id 0
		.amdhsa_user_sgpr_flat_scratch_init 0
		.amdhsa_user_sgpr_private_segment_size 0
		.amdhsa_uses_dynamic_stack 0
		.amdhsa_system_sgpr_private_segment_wavefront_offset 0
		.amdhsa_system_sgpr_workgroup_id_x 1
		.amdhsa_system_sgpr_workgroup_id_y 1
		.amdhsa_system_sgpr_workgroup_id_z 1
		.amdhsa_system_sgpr_workgroup_info 0
		.amdhsa_system_vgpr_workitem_id 1
		.amdhsa_next_free_vgpr 34
		.amdhsa_next_free_sgpr 17
		.amdhsa_reserve_vcc 1
		.amdhsa_reserve_flat_scratch 0
		.amdhsa_float_round_mode_32 0
		.amdhsa_float_round_mode_16_64 0
		.amdhsa_float_denorm_mode_32 3
		.amdhsa_float_denorm_mode_16_64 3
		.amdhsa_dx10_clamp 1
		.amdhsa_ieee_mode 1
		.amdhsa_fp16_overflow 0
		.amdhsa_exception_fp_ieee_invalid_op 0
		.amdhsa_exception_fp_denorm_src 0
		.amdhsa_exception_fp_ieee_div_zero 0
		.amdhsa_exception_fp_ieee_overflow 0
		.amdhsa_exception_fp_ieee_underflow 0
		.amdhsa_exception_fp_ieee_inexact 0
		.amdhsa_exception_int_div_zero 0
	.end_amdhsa_kernel
	.section	.text._ZL37rocblas_syrkx_herkx_restricted_kernelIifLi16ELi32ELi8ELi1ELin1ELb0ELc67ELc76EKPKfKPfEviT_PT9_S5_lS7_S5_lPT10_S5_li,"axG",@progbits,_ZL37rocblas_syrkx_herkx_restricted_kernelIifLi16ELi32ELi8ELi1ELin1ELb0ELc67ELc76EKPKfKPfEviT_PT9_S5_lS7_S5_lPT10_S5_li,comdat
.Lfunc_end471:
	.size	_ZL37rocblas_syrkx_herkx_restricted_kernelIifLi16ELi32ELi8ELi1ELin1ELb0ELc67ELc76EKPKfKPfEviT_PT9_S5_lS7_S5_lPT10_S5_li, .Lfunc_end471-_ZL37rocblas_syrkx_herkx_restricted_kernelIifLi16ELi32ELi8ELi1ELin1ELb0ELc67ELc76EKPKfKPfEviT_PT9_S5_lS7_S5_lPT10_S5_li
                                        ; -- End function
	.set _ZL37rocblas_syrkx_herkx_restricted_kernelIifLi16ELi32ELi8ELi1ELin1ELb0ELc67ELc76EKPKfKPfEviT_PT9_S5_lS7_S5_lPT10_S5_li.num_vgpr, 34
	.set _ZL37rocblas_syrkx_herkx_restricted_kernelIifLi16ELi32ELi8ELi1ELin1ELb0ELc67ELc76EKPKfKPfEviT_PT9_S5_lS7_S5_lPT10_S5_li.num_agpr, 0
	.set _ZL37rocblas_syrkx_herkx_restricted_kernelIifLi16ELi32ELi8ELi1ELin1ELb0ELc67ELc76EKPKfKPfEviT_PT9_S5_lS7_S5_lPT10_S5_li.numbered_sgpr, 17
	.set _ZL37rocblas_syrkx_herkx_restricted_kernelIifLi16ELi32ELi8ELi1ELin1ELb0ELc67ELc76EKPKfKPfEviT_PT9_S5_lS7_S5_lPT10_S5_li.num_named_barrier, 0
	.set _ZL37rocblas_syrkx_herkx_restricted_kernelIifLi16ELi32ELi8ELi1ELin1ELb0ELc67ELc76EKPKfKPfEviT_PT9_S5_lS7_S5_lPT10_S5_li.private_seg_size, 0
	.set _ZL37rocblas_syrkx_herkx_restricted_kernelIifLi16ELi32ELi8ELi1ELin1ELb0ELc67ELc76EKPKfKPfEviT_PT9_S5_lS7_S5_lPT10_S5_li.uses_vcc, 1
	.set _ZL37rocblas_syrkx_herkx_restricted_kernelIifLi16ELi32ELi8ELi1ELin1ELb0ELc67ELc76EKPKfKPfEviT_PT9_S5_lS7_S5_lPT10_S5_li.uses_flat_scratch, 0
	.set _ZL37rocblas_syrkx_herkx_restricted_kernelIifLi16ELi32ELi8ELi1ELin1ELb0ELc67ELc76EKPKfKPfEviT_PT9_S5_lS7_S5_lPT10_S5_li.has_dyn_sized_stack, 0
	.set _ZL37rocblas_syrkx_herkx_restricted_kernelIifLi16ELi32ELi8ELi1ELin1ELb0ELc67ELc76EKPKfKPfEviT_PT9_S5_lS7_S5_lPT10_S5_li.has_recursion, 0
	.set _ZL37rocblas_syrkx_herkx_restricted_kernelIifLi16ELi32ELi8ELi1ELin1ELb0ELc67ELc76EKPKfKPfEviT_PT9_S5_lS7_S5_lPT10_S5_li.has_indirect_call, 0
	.section	.AMDGPU.csdata,"",@progbits
; Kernel info:
; codeLenInByte = 1040
; TotalNumSgprs: 21
; NumVgprs: 34
; ScratchSize: 0
; MemoryBound: 0
; FloatMode: 240
; IeeeMode: 1
; LDSByteSize: 2048 bytes/workgroup (compile time only)
; SGPRBlocks: 2
; VGPRBlocks: 8
; NumSGPRsForWavesPerEU: 21
; NumVGPRsForWavesPerEU: 34
; Occupancy: 7
; WaveLimiterHint : 1
; COMPUTE_PGM_RSRC2:SCRATCH_EN: 0
; COMPUTE_PGM_RSRC2:USER_SGPR: 6
; COMPUTE_PGM_RSRC2:TRAP_HANDLER: 0
; COMPUTE_PGM_RSRC2:TGID_X_EN: 1
; COMPUTE_PGM_RSRC2:TGID_Y_EN: 1
; COMPUTE_PGM_RSRC2:TGID_Z_EN: 1
; COMPUTE_PGM_RSRC2:TIDIG_COMP_CNT: 1
	.section	.text._ZL37rocblas_syrkx_herkx_restricted_kernelIifLi16ELi32ELi8ELi1ELin1ELb0ELc78ELc76EKPKfKPfEviT_PT9_S5_lS7_S5_lPT10_S5_li,"axG",@progbits,_ZL37rocblas_syrkx_herkx_restricted_kernelIifLi16ELi32ELi8ELi1ELin1ELb0ELc78ELc76EKPKfKPfEviT_PT9_S5_lS7_S5_lPT10_S5_li,comdat
	.globl	_ZL37rocblas_syrkx_herkx_restricted_kernelIifLi16ELi32ELi8ELi1ELin1ELb0ELc78ELc76EKPKfKPfEviT_PT9_S5_lS7_S5_lPT10_S5_li ; -- Begin function _ZL37rocblas_syrkx_herkx_restricted_kernelIifLi16ELi32ELi8ELi1ELin1ELb0ELc78ELc76EKPKfKPfEviT_PT9_S5_lS7_S5_lPT10_S5_li
	.p2align	8
	.type	_ZL37rocblas_syrkx_herkx_restricted_kernelIifLi16ELi32ELi8ELi1ELin1ELb0ELc78ELc76EKPKfKPfEviT_PT9_S5_lS7_S5_lPT10_S5_li,@function
_ZL37rocblas_syrkx_herkx_restricted_kernelIifLi16ELi32ELi8ELi1ELin1ELb0ELc78ELc76EKPKfKPfEviT_PT9_S5_lS7_S5_lPT10_S5_li: ; @_ZL37rocblas_syrkx_herkx_restricted_kernelIifLi16ELi32ELi8ELi1ELin1ELb0ELc78ELc76EKPKfKPfEviT_PT9_S5_lS7_S5_lPT10_S5_li
; %bb.0:
	s_load_dwordx2 s[2:3], s[4:5], 0x38
	s_load_dwordx2 s[12:13], s[4:5], 0x0
	s_mov_b32 s9, 0
	s_lshl_b64 s[0:1], s[8:9], 3
	s_waitcnt lgkmcnt(0)
	s_add_u32 s2, s2, s0
	s_addc_u32 s3, s3, s1
	s_load_dwordx2 s[10:11], s[2:3], 0x0
	s_lshl_b32 s6, s6, 5
	s_lshl_b32 s7, s7, 5
	s_cmp_lt_i32 s13, 1
	s_cbranch_scc1 .LBB472_3
; %bb.1:
	s_load_dword s2, s[4:5], 0x10
	s_load_dword s14, s[4:5], 0x28
	s_load_dwordx2 s[16:17], s[4:5], 0x8
	s_load_dwordx2 s[18:19], s[4:5], 0x20
	v_lshl_add_u32 v7, v1, 4, v0
	s_waitcnt lgkmcnt(0)
	s_ashr_i32 s3, s2, 31
	s_ashr_i32 s15, s14, 31
	s_add_u32 s16, s16, s0
	s_addc_u32 s17, s17, s1
	v_lshrrev_b32_e32 v8, 3, v7
	s_add_u32 s0, s18, s0
	v_add_u32_e32 v2, s7, v8
	s_addc_u32 s1, s19, s1
	v_and_b32_e32 v6, 7, v0
	v_ashrrev_i32_e32 v3, 31, v2
	s_load_dwordx2 s[18:19], s[0:1], 0x0
	v_mad_i64_i32 v[4:5], s[0:1], s14, v6, v[2:3]
	v_and_b32_e32 v2, 31, v7
	v_lshrrev_b32_e32 v9, 5, v7
	v_lshlrev_b32_e32 v3, 2, v2
	v_lshl_or_b32 v10, v9, 7, v3
	v_lshlrev_b32_e32 v3, 2, v6
	v_lshl_or_b32 v3, v8, 5, v3
	v_add_u32_e32 v2, s6, v2
	v_add_u32_e32 v11, 0x400, v3
	v_ashrrev_i32_e32 v3, 31, v2
	v_mad_i64_i32 v[2:3], s[0:1], s2, v9, v[2:3]
	s_load_dwordx2 s[16:17], s[16:17], 0x0
	v_mov_b32_e32 v6, 0x400
	v_lshlrev_b64 v[2:3], 2, v[2:3]
	v_lshl_add_u32 v13, v1, 5, v6
	v_lshlrev_b64 v[4:5], 2, v[4:5]
	s_waitcnt lgkmcnt(0)
	v_mov_b32_e32 v6, s17
	v_add_co_u32_e32 v2, vcc, s16, v2
	v_addc_co_u32_e32 v3, vcc, v6, v3, vcc
	s_lshl_b64 s[0:1], s[2:3], 5
	v_mov_b32_e32 v6, s19
	v_add_co_u32_e32 v4, vcc, s18, v4
	s_lshl_b64 s[2:3], s[14:15], 5
	v_lshlrev_b32_e32 v12, 2, v0
	v_addc_co_u32_e32 v5, vcc, v6, v5, vcc
	v_mov_b32_e32 v6, 0
	v_mov_b32_e32 v14, s1
	;; [unrolled: 1-line block ×6, first 2 shown]
.LBB472_2:                              ; =>This Inner Loop Header: Depth=1
	flat_load_dword v16, v[2:3]
	v_add_co_u32_e32 v2, vcc, s0, v2
	v_addc_co_u32_e32 v3, vcc, v3, v14, vcc
	s_add_i32 s9, s9, 8
	s_cmp_ge_i32 s9, s13
	s_waitcnt vmcnt(0) lgkmcnt(0)
	ds_write_b32 v10, v16
	flat_load_dword v16, v[4:5]
	v_add_co_u32_e32 v4, vcc, s2, v4
	v_addc_co_u32_e32 v5, vcc, v5, v15, vcc
	s_waitcnt vmcnt(0) lgkmcnt(0)
	ds_write_b32 v11, v16
	s_waitcnt lgkmcnt(0)
	s_barrier
	ds_read2_b32 v[28:29], v12 offset1:16
	ds_read_b128 v[16:19], v13
	ds_read2_b32 v[30:31], v12 offset0:32 offset1:48
	ds_read2_b32 v[32:33], v12 offset0:64 offset1:80
	ds_read_b128 v[20:23], v13 offset:16
	ds_read2_b32 v[34:35], v12 offset0:96 offset1:112
	s_waitcnt lgkmcnt(4)
	v_fmac_f32_e32 v9, v28, v16
	v_fmac_f32_e32 v8, v29, v16
	s_waitcnt lgkmcnt(3)
	v_fmac_f32_e32 v9, v30, v17
	v_fmac_f32_e32 v8, v31, v17
	s_waitcnt lgkmcnt(2)
	v_fmac_f32_e32 v9, v32, v18
	v_fmac_f32_e32 v8, v33, v18
	s_waitcnt lgkmcnt(0)
	v_fmac_f32_e32 v9, v34, v19
	v_fmac_f32_e32 v8, v35, v19
	ds_read_b128 v[16:19], v13 offset:512
	ds_read_b128 v[24:27], v13 offset:528
	s_waitcnt lgkmcnt(1)
	v_fmac_f32_e32 v7, v28, v16
	v_fmac_f32_e32 v6, v29, v16
	;; [unrolled: 1-line block ×8, first 2 shown]
	ds_read2_b32 v[16:17], v12 offset0:128 offset1:144
	ds_read2_b32 v[18:19], v12 offset0:160 offset1:176
	;; [unrolled: 1-line block ×3, first 2 shown]
	s_waitcnt lgkmcnt(2)
	v_fmac_f32_e32 v9, v16, v20
	v_fmac_f32_e32 v8, v17, v20
	;; [unrolled: 1-line block ×4, first 2 shown]
	ds_read2_b32 v[16:17], v12 offset0:224 offset1:240
	s_waitcnt lgkmcnt(2)
	v_fmac_f32_e32 v9, v18, v21
	v_fmac_f32_e32 v8, v19, v21
	v_fmac_f32_e32 v7, v18, v25
	v_fmac_f32_e32 v6, v19, v25
	s_waitcnt lgkmcnt(1)
	v_fmac_f32_e32 v9, v28, v22
	v_fmac_f32_e32 v8, v29, v22
	v_fmac_f32_e32 v7, v28, v26
	v_fmac_f32_e32 v6, v29, v26
	;; [unrolled: 5-line block ×3, first 2 shown]
	s_barrier
	s_cbranch_scc0 .LBB472_2
	s_branch .LBB472_4
.LBB472_3:
	v_mov_b32_e32 v9, 0
	v_mov_b32_e32 v8, 0
	;; [unrolled: 1-line block ×4, first 2 shown]
.LBB472_4:
	s_load_dword s8, s[4:5], 0x40
	v_add_u32_e32 v4, s7, v1
	s_waitcnt lgkmcnt(0)
	v_mov_b32_e32 v3, s11
	v_add_u32_e32 v0, s6, v0
	v_mad_i64_i32 v[1:2], s[0:1], v4, s8, 0
	v_cmp_le_i32_e64 s[0:1], v4, v0
	v_lshlrev_b64 v[1:2], 2, v[1:2]
	v_add_co_u32_e32 v5, vcc, s10, v1
	v_addc_co_u32_e32 v10, vcc, v3, v2, vcc
	v_cmp_gt_i32_e32 vcc, s12, v0
	s_and_b64 s[0:1], s[0:1], vcc
	s_and_saveexec_b64 s[2:3], s[0:1]
	s_cbranch_execz .LBB472_6
; %bb.5:
	v_ashrrev_i32_e32 v1, 31, v0
	v_lshlrev_b64 v[1:2], 2, v[0:1]
	v_add_co_u32_e64 v1, s[0:1], v5, v1
	v_addc_co_u32_e64 v2, s[0:1], v10, v2, s[0:1]
	flat_load_dword v3, v[1:2]
	s_waitcnt vmcnt(0) lgkmcnt(0)
	v_sub_f32_e32 v3, v9, v3
	flat_store_dword v[1:2], v3
.LBB472_6:
	s_or_b64 exec, exec, s[2:3]
	v_add_u32_e32 v2, 16, v0
	v_cmp_le_i32_e64 s[2:3], v4, v2
	v_cmp_gt_i32_e64 s[0:1], s12, v2
	s_and_b64 s[2:3], s[2:3], s[0:1]
	s_and_saveexec_b64 s[4:5], s[2:3]
	s_cbranch_execz .LBB472_8
; %bb.7:
	v_ashrrev_i32_e32 v3, 31, v2
	v_lshlrev_b64 v[11:12], 2, v[2:3]
	v_add_co_u32_e64 v9, s[2:3], v5, v11
	v_addc_co_u32_e64 v10, s[2:3], v10, v12, s[2:3]
	flat_load_dword v1, v[9:10]
	s_waitcnt vmcnt(0) lgkmcnt(0)
	v_sub_f32_e32 v1, v8, v1
	flat_store_dword v[9:10], v1
.LBB472_8:
	s_or_b64 exec, exec, s[4:5]
	v_add_u32_e32 v3, 16, v4
	v_mad_i64_i32 v[4:5], s[2:3], v3, s8, 0
	v_mov_b32_e32 v1, s11
	v_lshlrev_b64 v[4:5], 2, v[4:5]
	v_add_co_u32_e64 v4, s[2:3], s10, v4
	v_addc_co_u32_e64 v5, s[2:3], v1, v5, s[2:3]
	v_cmp_le_i32_e64 s[2:3], v3, v0
	s_and_b64 s[4:5], s[2:3], vcc
	s_and_saveexec_b64 s[2:3], s[4:5]
	s_cbranch_execz .LBB472_10
; %bb.9:
	v_ashrrev_i32_e32 v1, 31, v0
	v_lshlrev_b64 v[0:1], 2, v[0:1]
	v_add_co_u32_e32 v0, vcc, v4, v0
	v_addc_co_u32_e32 v1, vcc, v5, v1, vcc
	flat_load_dword v8, v[0:1]
	s_waitcnt vmcnt(0) lgkmcnt(0)
	v_sub_f32_e32 v7, v7, v8
	flat_store_dword v[0:1], v7
.LBB472_10:
	s_or_b64 exec, exec, s[2:3]
	v_cmp_le_i32_e32 vcc, v3, v2
	s_and_b64 s[0:1], vcc, s[0:1]
	s_and_saveexec_b64 s[2:3], s[0:1]
	s_cbranch_execz .LBB472_12
; %bb.11:
	v_ashrrev_i32_e32 v3, 31, v2
	v_lshlrev_b64 v[0:1], 2, v[2:3]
	v_add_co_u32_e32 v0, vcc, v4, v0
	v_addc_co_u32_e32 v1, vcc, v5, v1, vcc
	flat_load_dword v2, v[0:1]
	s_waitcnt vmcnt(0) lgkmcnt(0)
	v_sub_f32_e32 v2, v6, v2
	flat_store_dword v[0:1], v2
.LBB472_12:
	s_endpgm
	.section	.rodata,"a",@progbits
	.p2align	6, 0x0
	.amdhsa_kernel _ZL37rocblas_syrkx_herkx_restricted_kernelIifLi16ELi32ELi8ELi1ELin1ELb0ELc78ELc76EKPKfKPfEviT_PT9_S5_lS7_S5_lPT10_S5_li
		.amdhsa_group_segment_fixed_size 2048
		.amdhsa_private_segment_fixed_size 0
		.amdhsa_kernarg_size 84
		.amdhsa_user_sgpr_count 6
		.amdhsa_user_sgpr_private_segment_buffer 1
		.amdhsa_user_sgpr_dispatch_ptr 0
		.amdhsa_user_sgpr_queue_ptr 0
		.amdhsa_user_sgpr_kernarg_segment_ptr 1
		.amdhsa_user_sgpr_dispatch_id 0
		.amdhsa_user_sgpr_flat_scratch_init 0
		.amdhsa_user_sgpr_private_segment_size 0
		.amdhsa_uses_dynamic_stack 0
		.amdhsa_system_sgpr_private_segment_wavefront_offset 0
		.amdhsa_system_sgpr_workgroup_id_x 1
		.amdhsa_system_sgpr_workgroup_id_y 1
		.amdhsa_system_sgpr_workgroup_id_z 1
		.amdhsa_system_sgpr_workgroup_info 0
		.amdhsa_system_vgpr_workitem_id 1
		.amdhsa_next_free_vgpr 36
		.amdhsa_next_free_sgpr 20
		.amdhsa_reserve_vcc 1
		.amdhsa_reserve_flat_scratch 0
		.amdhsa_float_round_mode_32 0
		.amdhsa_float_round_mode_16_64 0
		.amdhsa_float_denorm_mode_32 3
		.amdhsa_float_denorm_mode_16_64 3
		.amdhsa_dx10_clamp 1
		.amdhsa_ieee_mode 1
		.amdhsa_fp16_overflow 0
		.amdhsa_exception_fp_ieee_invalid_op 0
		.amdhsa_exception_fp_denorm_src 0
		.amdhsa_exception_fp_ieee_div_zero 0
		.amdhsa_exception_fp_ieee_overflow 0
		.amdhsa_exception_fp_ieee_underflow 0
		.amdhsa_exception_fp_ieee_inexact 0
		.amdhsa_exception_int_div_zero 0
	.end_amdhsa_kernel
	.section	.text._ZL37rocblas_syrkx_herkx_restricted_kernelIifLi16ELi32ELi8ELi1ELin1ELb0ELc78ELc76EKPKfKPfEviT_PT9_S5_lS7_S5_lPT10_S5_li,"axG",@progbits,_ZL37rocblas_syrkx_herkx_restricted_kernelIifLi16ELi32ELi8ELi1ELin1ELb0ELc78ELc76EKPKfKPfEviT_PT9_S5_lS7_S5_lPT10_S5_li,comdat
.Lfunc_end472:
	.size	_ZL37rocblas_syrkx_herkx_restricted_kernelIifLi16ELi32ELi8ELi1ELin1ELb0ELc78ELc76EKPKfKPfEviT_PT9_S5_lS7_S5_lPT10_S5_li, .Lfunc_end472-_ZL37rocblas_syrkx_herkx_restricted_kernelIifLi16ELi32ELi8ELi1ELin1ELb0ELc78ELc76EKPKfKPfEviT_PT9_S5_lS7_S5_lPT10_S5_li
                                        ; -- End function
	.set _ZL37rocblas_syrkx_herkx_restricted_kernelIifLi16ELi32ELi8ELi1ELin1ELb0ELc78ELc76EKPKfKPfEviT_PT9_S5_lS7_S5_lPT10_S5_li.num_vgpr, 36
	.set _ZL37rocblas_syrkx_herkx_restricted_kernelIifLi16ELi32ELi8ELi1ELin1ELb0ELc78ELc76EKPKfKPfEviT_PT9_S5_lS7_S5_lPT10_S5_li.num_agpr, 0
	.set _ZL37rocblas_syrkx_herkx_restricted_kernelIifLi16ELi32ELi8ELi1ELin1ELb0ELc78ELc76EKPKfKPfEviT_PT9_S5_lS7_S5_lPT10_S5_li.numbered_sgpr, 20
	.set _ZL37rocblas_syrkx_herkx_restricted_kernelIifLi16ELi32ELi8ELi1ELin1ELb0ELc78ELc76EKPKfKPfEviT_PT9_S5_lS7_S5_lPT10_S5_li.num_named_barrier, 0
	.set _ZL37rocblas_syrkx_herkx_restricted_kernelIifLi16ELi32ELi8ELi1ELin1ELb0ELc78ELc76EKPKfKPfEviT_PT9_S5_lS7_S5_lPT10_S5_li.private_seg_size, 0
	.set _ZL37rocblas_syrkx_herkx_restricted_kernelIifLi16ELi32ELi8ELi1ELin1ELb0ELc78ELc76EKPKfKPfEviT_PT9_S5_lS7_S5_lPT10_S5_li.uses_vcc, 1
	.set _ZL37rocblas_syrkx_herkx_restricted_kernelIifLi16ELi32ELi8ELi1ELin1ELb0ELc78ELc76EKPKfKPfEviT_PT9_S5_lS7_S5_lPT10_S5_li.uses_flat_scratch, 0
	.set _ZL37rocblas_syrkx_herkx_restricted_kernelIifLi16ELi32ELi8ELi1ELin1ELb0ELc78ELc76EKPKfKPfEviT_PT9_S5_lS7_S5_lPT10_S5_li.has_dyn_sized_stack, 0
	.set _ZL37rocblas_syrkx_herkx_restricted_kernelIifLi16ELi32ELi8ELi1ELin1ELb0ELc78ELc76EKPKfKPfEviT_PT9_S5_lS7_S5_lPT10_S5_li.has_recursion, 0
	.set _ZL37rocblas_syrkx_herkx_restricted_kernelIifLi16ELi32ELi8ELi1ELin1ELb0ELc78ELc76EKPKfKPfEviT_PT9_S5_lS7_S5_lPT10_S5_li.has_indirect_call, 0
	.section	.AMDGPU.csdata,"",@progbits
; Kernel info:
; codeLenInByte = 1068
; TotalNumSgprs: 24
; NumVgprs: 36
; ScratchSize: 0
; MemoryBound: 0
; FloatMode: 240
; IeeeMode: 1
; LDSByteSize: 2048 bytes/workgroup (compile time only)
; SGPRBlocks: 2
; VGPRBlocks: 8
; NumSGPRsForWavesPerEU: 24
; NumVGPRsForWavesPerEU: 36
; Occupancy: 7
; WaveLimiterHint : 1
; COMPUTE_PGM_RSRC2:SCRATCH_EN: 0
; COMPUTE_PGM_RSRC2:USER_SGPR: 6
; COMPUTE_PGM_RSRC2:TRAP_HANDLER: 0
; COMPUTE_PGM_RSRC2:TGID_X_EN: 1
; COMPUTE_PGM_RSRC2:TGID_Y_EN: 1
; COMPUTE_PGM_RSRC2:TGID_Z_EN: 1
; COMPUTE_PGM_RSRC2:TIDIG_COMP_CNT: 1
	.section	.text._ZL37rocblas_syrkx_herkx_restricted_kernelIifLi16ELi32ELi8ELi1ELin1ELb0ELc84ELc85EKPKfKPfEviT_PT9_S5_lS7_S5_lPT10_S5_li,"axG",@progbits,_ZL37rocblas_syrkx_herkx_restricted_kernelIifLi16ELi32ELi8ELi1ELin1ELb0ELc84ELc85EKPKfKPfEviT_PT9_S5_lS7_S5_lPT10_S5_li,comdat
	.globl	_ZL37rocblas_syrkx_herkx_restricted_kernelIifLi16ELi32ELi8ELi1ELin1ELb0ELc84ELc85EKPKfKPfEviT_PT9_S5_lS7_S5_lPT10_S5_li ; -- Begin function _ZL37rocblas_syrkx_herkx_restricted_kernelIifLi16ELi32ELi8ELi1ELin1ELb0ELc84ELc85EKPKfKPfEviT_PT9_S5_lS7_S5_lPT10_S5_li
	.p2align	8
	.type	_ZL37rocblas_syrkx_herkx_restricted_kernelIifLi16ELi32ELi8ELi1ELin1ELb0ELc84ELc85EKPKfKPfEviT_PT9_S5_lS7_S5_lPT10_S5_li,@function
_ZL37rocblas_syrkx_herkx_restricted_kernelIifLi16ELi32ELi8ELi1ELin1ELb0ELc84ELc85EKPKfKPfEviT_PT9_S5_lS7_S5_lPT10_S5_li: ; @_ZL37rocblas_syrkx_herkx_restricted_kernelIifLi16ELi32ELi8ELi1ELin1ELb0ELc84ELc85EKPKfKPfEviT_PT9_S5_lS7_S5_lPT10_S5_li
; %bb.0:
	s_load_dwordx2 s[10:11], s[4:5], 0x38
	s_load_dwordx2 s[2:3], s[4:5], 0x0
	s_mov_b32 s9, 0
	s_lshl_b64 s[0:1], s[8:9], 3
	s_waitcnt lgkmcnt(0)
	s_add_u32 s10, s10, s0
	s_addc_u32 s11, s11, s1
	s_load_dwordx2 s[10:11], s[10:11], 0x0
	s_lshl_b32 s6, s6, 5
	s_lshl_b32 s7, s7, 5
	s_cmp_lt_i32 s3, 1
	s_cbranch_scc1 .LBB473_3
; %bb.1:
	s_load_dwordx2 s[12:13], s[4:5], 0x8
	s_load_dword s8, s[4:5], 0x10
	s_load_dwordx2 s[14:15], s[4:5], 0x20
	s_load_dword s16, s[4:5], 0x28
	v_lshl_add_u32 v4, v1, 4, v0
	s_waitcnt lgkmcnt(0)
	s_add_u32 s12, s12, s0
	s_addc_u32 s13, s13, s1
	v_lshrrev_b32_e32 v8, 3, v4
	s_add_u32 s0, s14, s0
	v_add_u32_e32 v5, s7, v8
	v_and_b32_e32 v2, 7, v0
	v_mov_b32_e32 v3, 0
	s_addc_u32 s1, s15, s1
	v_mad_i64_i32 v[6:7], s[14:15], s16, v5, v[2:3]
	v_lshlrev_b32_e32 v2, 2, v2
	v_and_b32_e32 v9, 31, v4
	v_lshl_or_b32 v2, v8, 5, v2
	v_lshrrev_b32_e32 v4, 5, v4
	v_mov_b32_e32 v5, v3
	v_lshlrev_b32_e32 v10, 2, v9
	v_add_u32_e32 v11, 0x400, v2
	v_add_u32_e32 v2, s6, v9
	v_lshl_or_b32 v10, v4, 7, v10
	v_mad_i64_i32 v[4:5], s[14:15], s8, v2, v[4:5]
	s_load_dwordx2 s[12:13], s[12:13], 0x0
	v_mov_b32_e32 v2, 0x400
	s_load_dwordx2 s[0:1], s[0:1], 0x0
	v_lshlrev_b64 v[4:5], 2, v[4:5]
	v_lshl_add_u32 v13, v1, 5, v2
	s_waitcnt lgkmcnt(0)
	v_mov_b32_e32 v2, s13
	v_add_co_u32_e32 v4, vcc, s12, v4
	v_lshlrev_b64 v[6:7], 2, v[6:7]
	v_addc_co_u32_e32 v5, vcc, v2, v5, vcc
	v_mov_b32_e32 v2, s1
	v_add_co_u32_e32 v6, vcc, s0, v6
	v_lshlrev_b32_e32 v12, 2, v0
	v_addc_co_u32_e32 v7, vcc, v2, v7, vcc
	v_mov_b32_e32 v2, v3
	v_mov_b32_e32 v8, v3
	;; [unrolled: 1-line block ×3, first 2 shown]
.LBB473_2:                              ; =>This Inner Loop Header: Depth=1
	flat_load_dword v14, v[4:5]
	v_add_co_u32_e32 v4, vcc, 32, v4
	v_addc_co_u32_e32 v5, vcc, 0, v5, vcc
	s_add_i32 s9, s9, 8
	s_cmp_ge_i32 s9, s3
	s_waitcnt vmcnt(0) lgkmcnt(0)
	ds_write_b32 v10, v14
	flat_load_dword v14, v[6:7]
	v_add_co_u32_e32 v6, vcc, 32, v6
	v_addc_co_u32_e32 v7, vcc, 0, v7, vcc
	s_waitcnt vmcnt(0) lgkmcnt(0)
	ds_write_b32 v11, v14
	s_waitcnt lgkmcnt(0)
	s_barrier
	ds_read2_b32 v[26:27], v12 offset1:16
	ds_read_b128 v[14:17], v13
	ds_read2_b32 v[28:29], v12 offset0:32 offset1:48
	ds_read2_b32 v[30:31], v12 offset0:64 offset1:80
	ds_read_b128 v[18:21], v13 offset:16
	ds_read2_b32 v[32:33], v12 offset0:96 offset1:112
	s_waitcnt lgkmcnt(4)
	v_fmac_f32_e32 v9, v26, v14
	v_fmac_f32_e32 v8, v27, v14
	s_waitcnt lgkmcnt(3)
	v_fmac_f32_e32 v9, v28, v15
	v_fmac_f32_e32 v8, v29, v15
	;; [unrolled: 3-line block ×4, first 2 shown]
	ds_read_b128 v[14:17], v13 offset:512
	ds_read_b128 v[22:25], v13 offset:528
	s_waitcnt lgkmcnt(1)
	v_fmac_f32_e32 v2, v26, v14
	v_fmac_f32_e32 v3, v27, v14
	;; [unrolled: 1-line block ×8, first 2 shown]
	ds_read2_b32 v[14:15], v12 offset0:128 offset1:144
	ds_read2_b32 v[16:17], v12 offset0:160 offset1:176
	;; [unrolled: 1-line block ×3, first 2 shown]
	s_waitcnt lgkmcnt(2)
	v_fmac_f32_e32 v9, v14, v18
	v_fmac_f32_e32 v8, v15, v18
	;; [unrolled: 1-line block ×4, first 2 shown]
	ds_read2_b32 v[14:15], v12 offset0:224 offset1:240
	s_waitcnt lgkmcnt(2)
	v_fmac_f32_e32 v9, v16, v19
	v_fmac_f32_e32 v8, v17, v19
	v_fmac_f32_e32 v2, v16, v23
	v_fmac_f32_e32 v3, v17, v23
	s_waitcnt lgkmcnt(1)
	v_fmac_f32_e32 v9, v26, v20
	v_fmac_f32_e32 v8, v27, v20
	v_fmac_f32_e32 v2, v26, v24
	v_fmac_f32_e32 v3, v27, v24
	;; [unrolled: 5-line block ×3, first 2 shown]
	s_barrier
	s_cbranch_scc0 .LBB473_2
	s_branch .LBB473_4
.LBB473_3:
	v_mov_b32_e32 v9, 0
	v_mov_b32_e32 v8, 0
	;; [unrolled: 1-line block ×4, first 2 shown]
.LBB473_4:
	s_load_dword s3, s[4:5], 0x40
	v_add_u32_e32 v6, s7, v1
	s_waitcnt lgkmcnt(0)
	v_mov_b32_e32 v1, s11
	v_add_u32_e32 v0, s6, v0
	v_cmp_gt_i32_e32 vcc, s2, v6
	v_mad_i64_i32 v[4:5], s[0:1], v6, s3, 0
	v_lshlrev_b64 v[4:5], 2, v[4:5]
	v_add_co_u32_e64 v7, s[0:1], s10, v4
	v_addc_co_u32_e64 v10, s[0:1], v1, v5, s[0:1]
	v_cmp_le_i32_e64 s[0:1], v0, v6
	s_and_b64 s[0:1], vcc, s[0:1]
	s_and_saveexec_b64 s[4:5], s[0:1]
	s_cbranch_execz .LBB473_6
; %bb.5:
	v_ashrrev_i32_e32 v1, 31, v0
	v_lshlrev_b64 v[4:5], 2, v[0:1]
	v_add_co_u32_e64 v4, s[0:1], v7, v4
	v_addc_co_u32_e64 v5, s[0:1], v10, v5, s[0:1]
	flat_load_dword v1, v[4:5]
	s_waitcnt vmcnt(0) lgkmcnt(0)
	v_sub_f32_e32 v1, v9, v1
	flat_store_dword v[4:5], v1
.LBB473_6:
	s_or_b64 exec, exec, s[4:5]
	v_add_u32_e32 v4, 16, v0
	v_cmp_le_i32_e64 s[0:1], v4, v6
	s_and_b64 s[4:5], vcc, s[0:1]
	s_and_saveexec_b64 s[0:1], s[4:5]
	s_cbranch_execz .LBB473_8
; %bb.7:
	v_ashrrev_i32_e32 v5, 31, v4
	v_lshlrev_b64 v[11:12], 2, v[4:5]
	v_add_co_u32_e32 v9, vcc, v7, v11
	v_addc_co_u32_e32 v10, vcc, v10, v12, vcc
	flat_load_dword v1, v[9:10]
	s_waitcnt vmcnt(0) lgkmcnt(0)
	v_sub_f32_e32 v1, v8, v1
	flat_store_dword v[9:10], v1
.LBB473_8:
	s_or_b64 exec, exec, s[0:1]
	v_add_u32_e32 v5, 16, v6
	v_mad_i64_i32 v[6:7], s[0:1], v5, s3, 0
	v_mov_b32_e32 v1, s11
	v_cmp_gt_i32_e32 vcc, s2, v5
	v_lshlrev_b64 v[6:7], 2, v[6:7]
	v_add_co_u32_e64 v6, s[0:1], s10, v6
	v_addc_co_u32_e64 v7, s[0:1], v1, v7, s[0:1]
	v_cmp_le_i32_e64 s[0:1], v0, v5
	s_and_b64 s[0:1], vcc, s[0:1]
	s_and_saveexec_b64 s[2:3], s[0:1]
	s_cbranch_execz .LBB473_10
; %bb.9:
	v_ashrrev_i32_e32 v1, 31, v0
	v_lshlrev_b64 v[0:1], 2, v[0:1]
	v_add_co_u32_e64 v0, s[0:1], v6, v0
	v_addc_co_u32_e64 v1, s[0:1], v7, v1, s[0:1]
	flat_load_dword v8, v[0:1]
	s_waitcnt vmcnt(0) lgkmcnt(0)
	v_sub_f32_e32 v2, v2, v8
	flat_store_dword v[0:1], v2
.LBB473_10:
	s_or_b64 exec, exec, s[2:3]
	v_cmp_le_i32_e64 s[0:1], v4, v5
	s_and_b64 s[0:1], vcc, s[0:1]
	s_and_saveexec_b64 s[2:3], s[0:1]
	s_cbranch_execz .LBB473_12
; %bb.11:
	v_ashrrev_i32_e32 v5, 31, v4
	v_lshlrev_b64 v[0:1], 2, v[4:5]
	v_add_co_u32_e32 v0, vcc, v6, v0
	v_addc_co_u32_e32 v1, vcc, v7, v1, vcc
	flat_load_dword v2, v[0:1]
	s_waitcnt vmcnt(0) lgkmcnt(0)
	v_sub_f32_e32 v2, v3, v2
	flat_store_dword v[0:1], v2
.LBB473_12:
	s_endpgm
	.section	.rodata,"a",@progbits
	.p2align	6, 0x0
	.amdhsa_kernel _ZL37rocblas_syrkx_herkx_restricted_kernelIifLi16ELi32ELi8ELi1ELin1ELb0ELc84ELc85EKPKfKPfEviT_PT9_S5_lS7_S5_lPT10_S5_li
		.amdhsa_group_segment_fixed_size 2048
		.amdhsa_private_segment_fixed_size 0
		.amdhsa_kernarg_size 84
		.amdhsa_user_sgpr_count 6
		.amdhsa_user_sgpr_private_segment_buffer 1
		.amdhsa_user_sgpr_dispatch_ptr 0
		.amdhsa_user_sgpr_queue_ptr 0
		.amdhsa_user_sgpr_kernarg_segment_ptr 1
		.amdhsa_user_sgpr_dispatch_id 0
		.amdhsa_user_sgpr_flat_scratch_init 0
		.amdhsa_user_sgpr_private_segment_size 0
		.amdhsa_uses_dynamic_stack 0
		.amdhsa_system_sgpr_private_segment_wavefront_offset 0
		.amdhsa_system_sgpr_workgroup_id_x 1
		.amdhsa_system_sgpr_workgroup_id_y 1
		.amdhsa_system_sgpr_workgroup_id_z 1
		.amdhsa_system_sgpr_workgroup_info 0
		.amdhsa_system_vgpr_workitem_id 1
		.amdhsa_next_free_vgpr 34
		.amdhsa_next_free_sgpr 17
		.amdhsa_reserve_vcc 1
		.amdhsa_reserve_flat_scratch 0
		.amdhsa_float_round_mode_32 0
		.amdhsa_float_round_mode_16_64 0
		.amdhsa_float_denorm_mode_32 3
		.amdhsa_float_denorm_mode_16_64 3
		.amdhsa_dx10_clamp 1
		.amdhsa_ieee_mode 1
		.amdhsa_fp16_overflow 0
		.amdhsa_exception_fp_ieee_invalid_op 0
		.amdhsa_exception_fp_denorm_src 0
		.amdhsa_exception_fp_ieee_div_zero 0
		.amdhsa_exception_fp_ieee_overflow 0
		.amdhsa_exception_fp_ieee_underflow 0
		.amdhsa_exception_fp_ieee_inexact 0
		.amdhsa_exception_int_div_zero 0
	.end_amdhsa_kernel
	.section	.text._ZL37rocblas_syrkx_herkx_restricted_kernelIifLi16ELi32ELi8ELi1ELin1ELb0ELc84ELc85EKPKfKPfEviT_PT9_S5_lS7_S5_lPT10_S5_li,"axG",@progbits,_ZL37rocblas_syrkx_herkx_restricted_kernelIifLi16ELi32ELi8ELi1ELin1ELb0ELc84ELc85EKPKfKPfEviT_PT9_S5_lS7_S5_lPT10_S5_li,comdat
.Lfunc_end473:
	.size	_ZL37rocblas_syrkx_herkx_restricted_kernelIifLi16ELi32ELi8ELi1ELin1ELb0ELc84ELc85EKPKfKPfEviT_PT9_S5_lS7_S5_lPT10_S5_li, .Lfunc_end473-_ZL37rocblas_syrkx_herkx_restricted_kernelIifLi16ELi32ELi8ELi1ELin1ELb0ELc84ELc85EKPKfKPfEviT_PT9_S5_lS7_S5_lPT10_S5_li
                                        ; -- End function
	.set _ZL37rocblas_syrkx_herkx_restricted_kernelIifLi16ELi32ELi8ELi1ELin1ELb0ELc84ELc85EKPKfKPfEviT_PT9_S5_lS7_S5_lPT10_S5_li.num_vgpr, 34
	.set _ZL37rocblas_syrkx_herkx_restricted_kernelIifLi16ELi32ELi8ELi1ELin1ELb0ELc84ELc85EKPKfKPfEviT_PT9_S5_lS7_S5_lPT10_S5_li.num_agpr, 0
	.set _ZL37rocblas_syrkx_herkx_restricted_kernelIifLi16ELi32ELi8ELi1ELin1ELb0ELc84ELc85EKPKfKPfEviT_PT9_S5_lS7_S5_lPT10_S5_li.numbered_sgpr, 17
	.set _ZL37rocblas_syrkx_herkx_restricted_kernelIifLi16ELi32ELi8ELi1ELin1ELb0ELc84ELc85EKPKfKPfEviT_PT9_S5_lS7_S5_lPT10_S5_li.num_named_barrier, 0
	.set _ZL37rocblas_syrkx_herkx_restricted_kernelIifLi16ELi32ELi8ELi1ELin1ELb0ELc84ELc85EKPKfKPfEviT_PT9_S5_lS7_S5_lPT10_S5_li.private_seg_size, 0
	.set _ZL37rocblas_syrkx_herkx_restricted_kernelIifLi16ELi32ELi8ELi1ELin1ELb0ELc84ELc85EKPKfKPfEviT_PT9_S5_lS7_S5_lPT10_S5_li.uses_vcc, 1
	.set _ZL37rocblas_syrkx_herkx_restricted_kernelIifLi16ELi32ELi8ELi1ELin1ELb0ELc84ELc85EKPKfKPfEviT_PT9_S5_lS7_S5_lPT10_S5_li.uses_flat_scratch, 0
	.set _ZL37rocblas_syrkx_herkx_restricted_kernelIifLi16ELi32ELi8ELi1ELin1ELb0ELc84ELc85EKPKfKPfEviT_PT9_S5_lS7_S5_lPT10_S5_li.has_dyn_sized_stack, 0
	.set _ZL37rocblas_syrkx_herkx_restricted_kernelIifLi16ELi32ELi8ELi1ELin1ELb0ELc84ELc85EKPKfKPfEviT_PT9_S5_lS7_S5_lPT10_S5_li.has_recursion, 0
	.set _ZL37rocblas_syrkx_herkx_restricted_kernelIifLi16ELi32ELi8ELi1ELin1ELb0ELc84ELc85EKPKfKPfEviT_PT9_S5_lS7_S5_lPT10_S5_li.has_indirect_call, 0
	.section	.AMDGPU.csdata,"",@progbits
; Kernel info:
; codeLenInByte = 1048
; TotalNumSgprs: 21
; NumVgprs: 34
; ScratchSize: 0
; MemoryBound: 0
; FloatMode: 240
; IeeeMode: 1
; LDSByteSize: 2048 bytes/workgroup (compile time only)
; SGPRBlocks: 2
; VGPRBlocks: 8
; NumSGPRsForWavesPerEU: 21
; NumVGPRsForWavesPerEU: 34
; Occupancy: 7
; WaveLimiterHint : 1
; COMPUTE_PGM_RSRC2:SCRATCH_EN: 0
; COMPUTE_PGM_RSRC2:USER_SGPR: 6
; COMPUTE_PGM_RSRC2:TRAP_HANDLER: 0
; COMPUTE_PGM_RSRC2:TGID_X_EN: 1
; COMPUTE_PGM_RSRC2:TGID_Y_EN: 1
; COMPUTE_PGM_RSRC2:TGID_Z_EN: 1
; COMPUTE_PGM_RSRC2:TIDIG_COMP_CNT: 1
	.section	.text._ZL37rocblas_syrkx_herkx_restricted_kernelIifLi16ELi32ELi8ELi1ELin1ELb0ELc67ELc85EKPKfKPfEviT_PT9_S5_lS7_S5_lPT10_S5_li,"axG",@progbits,_ZL37rocblas_syrkx_herkx_restricted_kernelIifLi16ELi32ELi8ELi1ELin1ELb0ELc67ELc85EKPKfKPfEviT_PT9_S5_lS7_S5_lPT10_S5_li,comdat
	.globl	_ZL37rocblas_syrkx_herkx_restricted_kernelIifLi16ELi32ELi8ELi1ELin1ELb0ELc67ELc85EKPKfKPfEviT_PT9_S5_lS7_S5_lPT10_S5_li ; -- Begin function _ZL37rocblas_syrkx_herkx_restricted_kernelIifLi16ELi32ELi8ELi1ELin1ELb0ELc67ELc85EKPKfKPfEviT_PT9_S5_lS7_S5_lPT10_S5_li
	.p2align	8
	.type	_ZL37rocblas_syrkx_herkx_restricted_kernelIifLi16ELi32ELi8ELi1ELin1ELb0ELc67ELc85EKPKfKPfEviT_PT9_S5_lS7_S5_lPT10_S5_li,@function
_ZL37rocblas_syrkx_herkx_restricted_kernelIifLi16ELi32ELi8ELi1ELin1ELb0ELc67ELc85EKPKfKPfEviT_PT9_S5_lS7_S5_lPT10_S5_li: ; @_ZL37rocblas_syrkx_herkx_restricted_kernelIifLi16ELi32ELi8ELi1ELin1ELb0ELc67ELc85EKPKfKPfEviT_PT9_S5_lS7_S5_lPT10_S5_li
; %bb.0:
	s_load_dwordx2 s[10:11], s[4:5], 0x38
	s_load_dwordx2 s[2:3], s[4:5], 0x0
	s_mov_b32 s9, 0
	s_lshl_b64 s[0:1], s[8:9], 3
	s_waitcnt lgkmcnt(0)
	s_add_u32 s10, s10, s0
	s_addc_u32 s11, s11, s1
	s_load_dwordx2 s[10:11], s[10:11], 0x0
	s_lshl_b32 s6, s6, 5
	s_lshl_b32 s7, s7, 5
	s_cmp_lt_i32 s3, 1
	s_cbranch_scc1 .LBB474_3
; %bb.1:
	s_load_dwordx2 s[12:13], s[4:5], 0x8
	s_load_dword s8, s[4:5], 0x10
	s_load_dwordx2 s[14:15], s[4:5], 0x20
	s_load_dword s16, s[4:5], 0x28
	v_lshl_add_u32 v4, v1, 4, v0
	s_waitcnt lgkmcnt(0)
	s_add_u32 s12, s12, s0
	s_addc_u32 s13, s13, s1
	v_lshrrev_b32_e32 v8, 3, v4
	s_add_u32 s0, s14, s0
	v_add_u32_e32 v5, s7, v8
	v_and_b32_e32 v2, 7, v0
	v_mov_b32_e32 v3, 0
	s_addc_u32 s1, s15, s1
	v_mad_i64_i32 v[6:7], s[14:15], s16, v5, v[2:3]
	v_lshlrev_b32_e32 v2, 2, v2
	v_and_b32_e32 v9, 31, v4
	v_lshl_or_b32 v2, v8, 5, v2
	v_lshrrev_b32_e32 v4, 5, v4
	v_mov_b32_e32 v5, v3
	v_lshlrev_b32_e32 v10, 2, v9
	v_add_u32_e32 v11, 0x400, v2
	v_add_u32_e32 v2, s6, v9
	v_lshl_or_b32 v10, v4, 7, v10
	v_mad_i64_i32 v[4:5], s[14:15], s8, v2, v[4:5]
	s_load_dwordx2 s[12:13], s[12:13], 0x0
	v_mov_b32_e32 v2, 0x400
	s_load_dwordx2 s[0:1], s[0:1], 0x0
	v_lshlrev_b64 v[4:5], 2, v[4:5]
	v_lshl_add_u32 v13, v1, 5, v2
	s_waitcnt lgkmcnt(0)
	v_mov_b32_e32 v2, s13
	v_add_co_u32_e32 v4, vcc, s12, v4
	v_lshlrev_b64 v[6:7], 2, v[6:7]
	v_addc_co_u32_e32 v5, vcc, v2, v5, vcc
	v_mov_b32_e32 v2, s1
	v_add_co_u32_e32 v6, vcc, s0, v6
	v_lshlrev_b32_e32 v12, 2, v0
	v_addc_co_u32_e32 v7, vcc, v2, v7, vcc
	v_mov_b32_e32 v2, v3
	v_mov_b32_e32 v8, v3
	;; [unrolled: 1-line block ×3, first 2 shown]
.LBB474_2:                              ; =>This Inner Loop Header: Depth=1
	flat_load_dword v14, v[4:5]
	v_add_co_u32_e32 v4, vcc, 32, v4
	v_addc_co_u32_e32 v5, vcc, 0, v5, vcc
	s_add_i32 s9, s9, 8
	s_cmp_ge_i32 s9, s3
	s_waitcnt vmcnt(0) lgkmcnt(0)
	ds_write_b32 v10, v14
	flat_load_dword v14, v[6:7]
	v_add_co_u32_e32 v6, vcc, 32, v6
	v_addc_co_u32_e32 v7, vcc, 0, v7, vcc
	s_waitcnt vmcnt(0) lgkmcnt(0)
	ds_write_b32 v11, v14
	s_waitcnt lgkmcnt(0)
	s_barrier
	ds_read2_b32 v[26:27], v12 offset1:16
	ds_read_b128 v[14:17], v13
	ds_read2_b32 v[28:29], v12 offset0:32 offset1:48
	ds_read2_b32 v[30:31], v12 offset0:64 offset1:80
	ds_read_b128 v[18:21], v13 offset:16
	ds_read2_b32 v[32:33], v12 offset0:96 offset1:112
	s_waitcnt lgkmcnt(4)
	v_fmac_f32_e32 v9, v26, v14
	v_fmac_f32_e32 v8, v27, v14
	s_waitcnt lgkmcnt(3)
	v_fmac_f32_e32 v9, v28, v15
	v_fmac_f32_e32 v8, v29, v15
	;; [unrolled: 3-line block ×4, first 2 shown]
	ds_read_b128 v[14:17], v13 offset:512
	ds_read_b128 v[22:25], v13 offset:528
	s_waitcnt lgkmcnt(1)
	v_fmac_f32_e32 v2, v26, v14
	v_fmac_f32_e32 v3, v27, v14
	;; [unrolled: 1-line block ×8, first 2 shown]
	ds_read2_b32 v[14:15], v12 offset0:128 offset1:144
	ds_read2_b32 v[16:17], v12 offset0:160 offset1:176
	;; [unrolled: 1-line block ×3, first 2 shown]
	s_waitcnt lgkmcnt(2)
	v_fmac_f32_e32 v9, v14, v18
	v_fmac_f32_e32 v8, v15, v18
	;; [unrolled: 1-line block ×4, first 2 shown]
	ds_read2_b32 v[14:15], v12 offset0:224 offset1:240
	s_waitcnt lgkmcnt(2)
	v_fmac_f32_e32 v9, v16, v19
	v_fmac_f32_e32 v8, v17, v19
	v_fmac_f32_e32 v2, v16, v23
	v_fmac_f32_e32 v3, v17, v23
	s_waitcnt lgkmcnt(1)
	v_fmac_f32_e32 v9, v26, v20
	v_fmac_f32_e32 v8, v27, v20
	v_fmac_f32_e32 v2, v26, v24
	v_fmac_f32_e32 v3, v27, v24
	s_waitcnt lgkmcnt(0)
	v_fmac_f32_e32 v9, v14, v21
	v_fmac_f32_e32 v8, v15, v21
	v_fmac_f32_e32 v2, v14, v25
	v_fmac_f32_e32 v3, v15, v25
	s_barrier
	s_cbranch_scc0 .LBB474_2
	s_branch .LBB474_4
.LBB474_3:
	v_mov_b32_e32 v9, 0
	v_mov_b32_e32 v8, 0
	;; [unrolled: 1-line block ×4, first 2 shown]
.LBB474_4:
	s_load_dword s3, s[4:5], 0x40
	v_add_u32_e32 v6, s7, v1
	s_waitcnt lgkmcnt(0)
	v_mov_b32_e32 v1, s11
	v_add_u32_e32 v0, s6, v0
	v_cmp_gt_i32_e32 vcc, s2, v6
	v_mad_i64_i32 v[4:5], s[0:1], v6, s3, 0
	v_lshlrev_b64 v[4:5], 2, v[4:5]
	v_add_co_u32_e64 v7, s[0:1], s10, v4
	v_addc_co_u32_e64 v10, s[0:1], v1, v5, s[0:1]
	v_cmp_le_i32_e64 s[0:1], v0, v6
	s_and_b64 s[0:1], vcc, s[0:1]
	s_and_saveexec_b64 s[4:5], s[0:1]
	s_cbranch_execz .LBB474_6
; %bb.5:
	v_ashrrev_i32_e32 v1, 31, v0
	v_lshlrev_b64 v[4:5], 2, v[0:1]
	v_add_co_u32_e64 v4, s[0:1], v7, v4
	v_addc_co_u32_e64 v5, s[0:1], v10, v5, s[0:1]
	flat_load_dword v1, v[4:5]
	s_waitcnt vmcnt(0) lgkmcnt(0)
	v_sub_f32_e32 v1, v9, v1
	flat_store_dword v[4:5], v1
.LBB474_6:
	s_or_b64 exec, exec, s[4:5]
	v_add_u32_e32 v4, 16, v0
	v_cmp_le_i32_e64 s[0:1], v4, v6
	s_and_b64 s[4:5], vcc, s[0:1]
	s_and_saveexec_b64 s[0:1], s[4:5]
	s_cbranch_execz .LBB474_8
; %bb.7:
	v_ashrrev_i32_e32 v5, 31, v4
	v_lshlrev_b64 v[11:12], 2, v[4:5]
	v_add_co_u32_e32 v9, vcc, v7, v11
	v_addc_co_u32_e32 v10, vcc, v10, v12, vcc
	flat_load_dword v1, v[9:10]
	s_waitcnt vmcnt(0) lgkmcnt(0)
	v_sub_f32_e32 v1, v8, v1
	flat_store_dword v[9:10], v1
.LBB474_8:
	s_or_b64 exec, exec, s[0:1]
	v_add_u32_e32 v5, 16, v6
	v_mad_i64_i32 v[6:7], s[0:1], v5, s3, 0
	v_mov_b32_e32 v1, s11
	v_cmp_gt_i32_e32 vcc, s2, v5
	v_lshlrev_b64 v[6:7], 2, v[6:7]
	v_add_co_u32_e64 v6, s[0:1], s10, v6
	v_addc_co_u32_e64 v7, s[0:1], v1, v7, s[0:1]
	v_cmp_le_i32_e64 s[0:1], v0, v5
	s_and_b64 s[0:1], vcc, s[0:1]
	s_and_saveexec_b64 s[2:3], s[0:1]
	s_cbranch_execz .LBB474_10
; %bb.9:
	v_ashrrev_i32_e32 v1, 31, v0
	v_lshlrev_b64 v[0:1], 2, v[0:1]
	v_add_co_u32_e64 v0, s[0:1], v6, v0
	v_addc_co_u32_e64 v1, s[0:1], v7, v1, s[0:1]
	flat_load_dword v8, v[0:1]
	s_waitcnt vmcnt(0) lgkmcnt(0)
	v_sub_f32_e32 v2, v2, v8
	flat_store_dword v[0:1], v2
.LBB474_10:
	s_or_b64 exec, exec, s[2:3]
	v_cmp_le_i32_e64 s[0:1], v4, v5
	s_and_b64 s[0:1], vcc, s[0:1]
	s_and_saveexec_b64 s[2:3], s[0:1]
	s_cbranch_execz .LBB474_12
; %bb.11:
	v_ashrrev_i32_e32 v5, 31, v4
	v_lshlrev_b64 v[0:1], 2, v[4:5]
	v_add_co_u32_e32 v0, vcc, v6, v0
	v_addc_co_u32_e32 v1, vcc, v7, v1, vcc
	flat_load_dword v2, v[0:1]
	s_waitcnt vmcnt(0) lgkmcnt(0)
	v_sub_f32_e32 v2, v3, v2
	flat_store_dword v[0:1], v2
.LBB474_12:
	s_endpgm
	.section	.rodata,"a",@progbits
	.p2align	6, 0x0
	.amdhsa_kernel _ZL37rocblas_syrkx_herkx_restricted_kernelIifLi16ELi32ELi8ELi1ELin1ELb0ELc67ELc85EKPKfKPfEviT_PT9_S5_lS7_S5_lPT10_S5_li
		.amdhsa_group_segment_fixed_size 2048
		.amdhsa_private_segment_fixed_size 0
		.amdhsa_kernarg_size 84
		.amdhsa_user_sgpr_count 6
		.amdhsa_user_sgpr_private_segment_buffer 1
		.amdhsa_user_sgpr_dispatch_ptr 0
		.amdhsa_user_sgpr_queue_ptr 0
		.amdhsa_user_sgpr_kernarg_segment_ptr 1
		.amdhsa_user_sgpr_dispatch_id 0
		.amdhsa_user_sgpr_flat_scratch_init 0
		.amdhsa_user_sgpr_private_segment_size 0
		.amdhsa_uses_dynamic_stack 0
		.amdhsa_system_sgpr_private_segment_wavefront_offset 0
		.amdhsa_system_sgpr_workgroup_id_x 1
		.amdhsa_system_sgpr_workgroup_id_y 1
		.amdhsa_system_sgpr_workgroup_id_z 1
		.amdhsa_system_sgpr_workgroup_info 0
		.amdhsa_system_vgpr_workitem_id 1
		.amdhsa_next_free_vgpr 34
		.amdhsa_next_free_sgpr 17
		.amdhsa_reserve_vcc 1
		.amdhsa_reserve_flat_scratch 0
		.amdhsa_float_round_mode_32 0
		.amdhsa_float_round_mode_16_64 0
		.amdhsa_float_denorm_mode_32 3
		.amdhsa_float_denorm_mode_16_64 3
		.amdhsa_dx10_clamp 1
		.amdhsa_ieee_mode 1
		.amdhsa_fp16_overflow 0
		.amdhsa_exception_fp_ieee_invalid_op 0
		.amdhsa_exception_fp_denorm_src 0
		.amdhsa_exception_fp_ieee_div_zero 0
		.amdhsa_exception_fp_ieee_overflow 0
		.amdhsa_exception_fp_ieee_underflow 0
		.amdhsa_exception_fp_ieee_inexact 0
		.amdhsa_exception_int_div_zero 0
	.end_amdhsa_kernel
	.section	.text._ZL37rocblas_syrkx_herkx_restricted_kernelIifLi16ELi32ELi8ELi1ELin1ELb0ELc67ELc85EKPKfKPfEviT_PT9_S5_lS7_S5_lPT10_S5_li,"axG",@progbits,_ZL37rocblas_syrkx_herkx_restricted_kernelIifLi16ELi32ELi8ELi1ELin1ELb0ELc67ELc85EKPKfKPfEviT_PT9_S5_lS7_S5_lPT10_S5_li,comdat
.Lfunc_end474:
	.size	_ZL37rocblas_syrkx_herkx_restricted_kernelIifLi16ELi32ELi8ELi1ELin1ELb0ELc67ELc85EKPKfKPfEviT_PT9_S5_lS7_S5_lPT10_S5_li, .Lfunc_end474-_ZL37rocblas_syrkx_herkx_restricted_kernelIifLi16ELi32ELi8ELi1ELin1ELb0ELc67ELc85EKPKfKPfEviT_PT9_S5_lS7_S5_lPT10_S5_li
                                        ; -- End function
	.set _ZL37rocblas_syrkx_herkx_restricted_kernelIifLi16ELi32ELi8ELi1ELin1ELb0ELc67ELc85EKPKfKPfEviT_PT9_S5_lS7_S5_lPT10_S5_li.num_vgpr, 34
	.set _ZL37rocblas_syrkx_herkx_restricted_kernelIifLi16ELi32ELi8ELi1ELin1ELb0ELc67ELc85EKPKfKPfEviT_PT9_S5_lS7_S5_lPT10_S5_li.num_agpr, 0
	.set _ZL37rocblas_syrkx_herkx_restricted_kernelIifLi16ELi32ELi8ELi1ELin1ELb0ELc67ELc85EKPKfKPfEviT_PT9_S5_lS7_S5_lPT10_S5_li.numbered_sgpr, 17
	.set _ZL37rocblas_syrkx_herkx_restricted_kernelIifLi16ELi32ELi8ELi1ELin1ELb0ELc67ELc85EKPKfKPfEviT_PT9_S5_lS7_S5_lPT10_S5_li.num_named_barrier, 0
	.set _ZL37rocblas_syrkx_herkx_restricted_kernelIifLi16ELi32ELi8ELi1ELin1ELb0ELc67ELc85EKPKfKPfEviT_PT9_S5_lS7_S5_lPT10_S5_li.private_seg_size, 0
	.set _ZL37rocblas_syrkx_herkx_restricted_kernelIifLi16ELi32ELi8ELi1ELin1ELb0ELc67ELc85EKPKfKPfEviT_PT9_S5_lS7_S5_lPT10_S5_li.uses_vcc, 1
	.set _ZL37rocblas_syrkx_herkx_restricted_kernelIifLi16ELi32ELi8ELi1ELin1ELb0ELc67ELc85EKPKfKPfEviT_PT9_S5_lS7_S5_lPT10_S5_li.uses_flat_scratch, 0
	.set _ZL37rocblas_syrkx_herkx_restricted_kernelIifLi16ELi32ELi8ELi1ELin1ELb0ELc67ELc85EKPKfKPfEviT_PT9_S5_lS7_S5_lPT10_S5_li.has_dyn_sized_stack, 0
	.set _ZL37rocblas_syrkx_herkx_restricted_kernelIifLi16ELi32ELi8ELi1ELin1ELb0ELc67ELc85EKPKfKPfEviT_PT9_S5_lS7_S5_lPT10_S5_li.has_recursion, 0
	.set _ZL37rocblas_syrkx_herkx_restricted_kernelIifLi16ELi32ELi8ELi1ELin1ELb0ELc67ELc85EKPKfKPfEviT_PT9_S5_lS7_S5_lPT10_S5_li.has_indirect_call, 0
	.section	.AMDGPU.csdata,"",@progbits
; Kernel info:
; codeLenInByte = 1048
; TotalNumSgprs: 21
; NumVgprs: 34
; ScratchSize: 0
; MemoryBound: 0
; FloatMode: 240
; IeeeMode: 1
; LDSByteSize: 2048 bytes/workgroup (compile time only)
; SGPRBlocks: 2
; VGPRBlocks: 8
; NumSGPRsForWavesPerEU: 21
; NumVGPRsForWavesPerEU: 34
; Occupancy: 7
; WaveLimiterHint : 1
; COMPUTE_PGM_RSRC2:SCRATCH_EN: 0
; COMPUTE_PGM_RSRC2:USER_SGPR: 6
; COMPUTE_PGM_RSRC2:TRAP_HANDLER: 0
; COMPUTE_PGM_RSRC2:TGID_X_EN: 1
; COMPUTE_PGM_RSRC2:TGID_Y_EN: 1
; COMPUTE_PGM_RSRC2:TGID_Z_EN: 1
; COMPUTE_PGM_RSRC2:TIDIG_COMP_CNT: 1
	.section	.text._ZL37rocblas_syrkx_herkx_restricted_kernelIifLi16ELi32ELi8ELi1ELin1ELb0ELc78ELc85EKPKfKPfEviT_PT9_S5_lS7_S5_lPT10_S5_li,"axG",@progbits,_ZL37rocblas_syrkx_herkx_restricted_kernelIifLi16ELi32ELi8ELi1ELin1ELb0ELc78ELc85EKPKfKPfEviT_PT9_S5_lS7_S5_lPT10_S5_li,comdat
	.globl	_ZL37rocblas_syrkx_herkx_restricted_kernelIifLi16ELi32ELi8ELi1ELin1ELb0ELc78ELc85EKPKfKPfEviT_PT9_S5_lS7_S5_lPT10_S5_li ; -- Begin function _ZL37rocblas_syrkx_herkx_restricted_kernelIifLi16ELi32ELi8ELi1ELin1ELb0ELc78ELc85EKPKfKPfEviT_PT9_S5_lS7_S5_lPT10_S5_li
	.p2align	8
	.type	_ZL37rocblas_syrkx_herkx_restricted_kernelIifLi16ELi32ELi8ELi1ELin1ELb0ELc78ELc85EKPKfKPfEviT_PT9_S5_lS7_S5_lPT10_S5_li,@function
_ZL37rocblas_syrkx_herkx_restricted_kernelIifLi16ELi32ELi8ELi1ELin1ELb0ELc78ELc85EKPKfKPfEviT_PT9_S5_lS7_S5_lPT10_S5_li: ; @_ZL37rocblas_syrkx_herkx_restricted_kernelIifLi16ELi32ELi8ELi1ELin1ELb0ELc78ELc85EKPKfKPfEviT_PT9_S5_lS7_S5_lPT10_S5_li
; %bb.0:
	s_load_dwordx2 s[10:11], s[4:5], 0x38
	s_load_dwordx2 s[2:3], s[4:5], 0x0
	s_mov_b32 s9, 0
	s_lshl_b64 s[0:1], s[8:9], 3
	s_waitcnt lgkmcnt(0)
	s_add_u32 s10, s10, s0
	s_addc_u32 s11, s11, s1
	s_load_dwordx2 s[10:11], s[10:11], 0x0
	s_lshl_b32 s8, s6, 5
	s_lshl_b32 s12, s7, 5
	s_cmp_lt_i32 s3, 1
	s_cbranch_scc1 .LBB475_3
; %bb.1:
	s_load_dword s6, s[4:5], 0x10
	s_load_dword s14, s[4:5], 0x28
	s_load_dwordx2 s[16:17], s[4:5], 0x8
	s_load_dwordx2 s[18:19], s[4:5], 0x20
	v_lshl_add_u32 v7, v1, 4, v0
	s_waitcnt lgkmcnt(0)
	s_ashr_i32 s7, s6, 31
	s_ashr_i32 s15, s14, 31
	s_add_u32 s16, s16, s0
	s_addc_u32 s17, s17, s1
	v_lshrrev_b32_e32 v8, 3, v7
	s_add_u32 s0, s18, s0
	v_add_u32_e32 v2, s12, v8
	s_addc_u32 s1, s19, s1
	v_and_b32_e32 v6, 7, v0
	v_ashrrev_i32_e32 v3, 31, v2
	s_load_dwordx2 s[18:19], s[0:1], 0x0
	v_mad_i64_i32 v[4:5], s[0:1], s14, v6, v[2:3]
	v_and_b32_e32 v2, 31, v7
	v_lshrrev_b32_e32 v9, 5, v7
	v_lshlrev_b32_e32 v3, 2, v2
	v_lshl_or_b32 v10, v9, 7, v3
	v_lshlrev_b32_e32 v3, 2, v6
	v_lshl_or_b32 v3, v8, 5, v3
	v_add_u32_e32 v2, s8, v2
	v_add_u32_e32 v11, 0x400, v3
	v_ashrrev_i32_e32 v3, 31, v2
	v_mad_i64_i32 v[2:3], s[0:1], s6, v9, v[2:3]
	s_load_dwordx2 s[16:17], s[16:17], 0x0
	v_mov_b32_e32 v6, 0x400
	v_lshlrev_b64 v[2:3], 2, v[2:3]
	v_lshl_add_u32 v13, v1, 5, v6
	v_lshlrev_b64 v[4:5], 2, v[4:5]
	s_waitcnt lgkmcnt(0)
	v_mov_b32_e32 v6, s17
	v_add_co_u32_e32 v2, vcc, s16, v2
	v_addc_co_u32_e32 v3, vcc, v6, v3, vcc
	s_lshl_b64 s[0:1], s[6:7], 5
	v_mov_b32_e32 v6, s19
	v_add_co_u32_e32 v4, vcc, s18, v4
	s_lshl_b64 s[6:7], s[14:15], 5
	v_lshlrev_b32_e32 v12, 2, v0
	v_addc_co_u32_e32 v5, vcc, v6, v5, vcc
	v_mov_b32_e32 v6, 0
	v_mov_b32_e32 v14, s1
	;; [unrolled: 1-line block ×6, first 2 shown]
.LBB475_2:                              ; =>This Inner Loop Header: Depth=1
	flat_load_dword v16, v[2:3]
	v_add_co_u32_e32 v2, vcc, s0, v2
	v_addc_co_u32_e32 v3, vcc, v3, v14, vcc
	s_add_i32 s9, s9, 8
	s_cmp_ge_i32 s9, s3
	s_waitcnt vmcnt(0) lgkmcnt(0)
	ds_write_b32 v10, v16
	flat_load_dword v16, v[4:5]
	v_add_co_u32_e32 v4, vcc, s6, v4
	v_addc_co_u32_e32 v5, vcc, v5, v15, vcc
	s_waitcnt vmcnt(0) lgkmcnt(0)
	ds_write_b32 v11, v16
	s_waitcnt lgkmcnt(0)
	s_barrier
	ds_read2_b32 v[28:29], v12 offset1:16
	ds_read_b128 v[16:19], v13
	ds_read2_b32 v[30:31], v12 offset0:32 offset1:48
	ds_read2_b32 v[32:33], v12 offset0:64 offset1:80
	ds_read_b128 v[20:23], v13 offset:16
	ds_read2_b32 v[34:35], v12 offset0:96 offset1:112
	s_waitcnt lgkmcnt(4)
	v_fmac_f32_e32 v9, v28, v16
	v_fmac_f32_e32 v8, v29, v16
	s_waitcnt lgkmcnt(3)
	v_fmac_f32_e32 v9, v30, v17
	v_fmac_f32_e32 v8, v31, v17
	;; [unrolled: 3-line block ×4, first 2 shown]
	ds_read_b128 v[16:19], v13 offset:512
	ds_read_b128 v[24:27], v13 offset:528
	s_waitcnt lgkmcnt(1)
	v_fmac_f32_e32 v7, v28, v16
	v_fmac_f32_e32 v6, v29, v16
	;; [unrolled: 1-line block ×8, first 2 shown]
	ds_read2_b32 v[16:17], v12 offset0:128 offset1:144
	ds_read2_b32 v[18:19], v12 offset0:160 offset1:176
	;; [unrolled: 1-line block ×3, first 2 shown]
	s_waitcnt lgkmcnt(2)
	v_fmac_f32_e32 v9, v16, v20
	v_fmac_f32_e32 v8, v17, v20
	;; [unrolled: 1-line block ×4, first 2 shown]
	ds_read2_b32 v[16:17], v12 offset0:224 offset1:240
	s_waitcnt lgkmcnt(2)
	v_fmac_f32_e32 v9, v18, v21
	v_fmac_f32_e32 v8, v19, v21
	v_fmac_f32_e32 v7, v18, v25
	v_fmac_f32_e32 v6, v19, v25
	s_waitcnt lgkmcnt(1)
	v_fmac_f32_e32 v9, v28, v22
	v_fmac_f32_e32 v8, v29, v22
	v_fmac_f32_e32 v7, v28, v26
	v_fmac_f32_e32 v6, v29, v26
	;; [unrolled: 5-line block ×3, first 2 shown]
	s_barrier
	s_cbranch_scc0 .LBB475_2
	s_branch .LBB475_4
.LBB475_3:
	v_mov_b32_e32 v9, 0
	v_mov_b32_e32 v8, 0
	;; [unrolled: 1-line block ×4, first 2 shown]
.LBB475_4:
	s_load_dword s3, s[4:5], 0x40
	v_add_u32_e32 v4, s12, v1
	s_waitcnt lgkmcnt(0)
	v_mov_b32_e32 v3, s11
	v_add_u32_e32 v0, s8, v0
	v_cmp_gt_i32_e32 vcc, s2, v4
	v_mad_i64_i32 v[1:2], s[0:1], v4, s3, 0
	v_lshlrev_b64 v[1:2], 2, v[1:2]
	v_add_co_u32_e64 v5, s[0:1], s10, v1
	v_addc_co_u32_e64 v10, s[0:1], v3, v2, s[0:1]
	v_cmp_le_i32_e64 s[0:1], v0, v4
	s_and_b64 s[0:1], vcc, s[0:1]
	s_and_saveexec_b64 s[4:5], s[0:1]
	s_cbranch_execz .LBB475_6
; %bb.5:
	v_ashrrev_i32_e32 v1, 31, v0
	v_lshlrev_b64 v[1:2], 2, v[0:1]
	v_add_co_u32_e64 v1, s[0:1], v5, v1
	v_addc_co_u32_e64 v2, s[0:1], v10, v2, s[0:1]
	flat_load_dword v3, v[1:2]
	s_waitcnt vmcnt(0) lgkmcnt(0)
	v_sub_f32_e32 v3, v9, v3
	flat_store_dword v[1:2], v3
.LBB475_6:
	s_or_b64 exec, exec, s[4:5]
	v_add_u32_e32 v2, 16, v0
	v_cmp_le_i32_e64 s[0:1], v2, v4
	s_and_b64 s[4:5], vcc, s[0:1]
	s_and_saveexec_b64 s[0:1], s[4:5]
	s_cbranch_execz .LBB475_8
; %bb.7:
	v_ashrrev_i32_e32 v3, 31, v2
	v_lshlrev_b64 v[11:12], 2, v[2:3]
	v_add_co_u32_e32 v9, vcc, v5, v11
	v_addc_co_u32_e32 v10, vcc, v10, v12, vcc
	flat_load_dword v1, v[9:10]
	s_waitcnt vmcnt(0) lgkmcnt(0)
	v_sub_f32_e32 v1, v8, v1
	flat_store_dword v[9:10], v1
.LBB475_8:
	s_or_b64 exec, exec, s[0:1]
	v_add_u32_e32 v3, 16, v4
	v_mad_i64_i32 v[4:5], s[0:1], v3, s3, 0
	v_mov_b32_e32 v1, s11
	v_cmp_gt_i32_e32 vcc, s2, v3
	v_lshlrev_b64 v[4:5], 2, v[4:5]
	v_add_co_u32_e64 v4, s[0:1], s10, v4
	v_addc_co_u32_e64 v5, s[0:1], v1, v5, s[0:1]
	v_cmp_le_i32_e64 s[0:1], v0, v3
	s_and_b64 s[0:1], vcc, s[0:1]
	s_and_saveexec_b64 s[2:3], s[0:1]
	s_cbranch_execz .LBB475_10
; %bb.9:
	v_ashrrev_i32_e32 v1, 31, v0
	v_lshlrev_b64 v[0:1], 2, v[0:1]
	v_add_co_u32_e64 v0, s[0:1], v4, v0
	v_addc_co_u32_e64 v1, s[0:1], v5, v1, s[0:1]
	flat_load_dword v8, v[0:1]
	s_waitcnt vmcnt(0) lgkmcnt(0)
	v_sub_f32_e32 v7, v7, v8
	flat_store_dword v[0:1], v7
.LBB475_10:
	s_or_b64 exec, exec, s[2:3]
	v_cmp_le_i32_e64 s[0:1], v2, v3
	s_and_b64 s[0:1], vcc, s[0:1]
	s_and_saveexec_b64 s[2:3], s[0:1]
	s_cbranch_execz .LBB475_12
; %bb.11:
	v_ashrrev_i32_e32 v3, 31, v2
	v_lshlrev_b64 v[0:1], 2, v[2:3]
	v_add_co_u32_e32 v0, vcc, v4, v0
	v_addc_co_u32_e32 v1, vcc, v5, v1, vcc
	flat_load_dword v2, v[0:1]
	s_waitcnt vmcnt(0) lgkmcnt(0)
	v_sub_f32_e32 v2, v6, v2
	flat_store_dword v[0:1], v2
.LBB475_12:
	s_endpgm
	.section	.rodata,"a",@progbits
	.p2align	6, 0x0
	.amdhsa_kernel _ZL37rocblas_syrkx_herkx_restricted_kernelIifLi16ELi32ELi8ELi1ELin1ELb0ELc78ELc85EKPKfKPfEviT_PT9_S5_lS7_S5_lPT10_S5_li
		.amdhsa_group_segment_fixed_size 2048
		.amdhsa_private_segment_fixed_size 0
		.amdhsa_kernarg_size 84
		.amdhsa_user_sgpr_count 6
		.amdhsa_user_sgpr_private_segment_buffer 1
		.amdhsa_user_sgpr_dispatch_ptr 0
		.amdhsa_user_sgpr_queue_ptr 0
		.amdhsa_user_sgpr_kernarg_segment_ptr 1
		.amdhsa_user_sgpr_dispatch_id 0
		.amdhsa_user_sgpr_flat_scratch_init 0
		.amdhsa_user_sgpr_private_segment_size 0
		.amdhsa_uses_dynamic_stack 0
		.amdhsa_system_sgpr_private_segment_wavefront_offset 0
		.amdhsa_system_sgpr_workgroup_id_x 1
		.amdhsa_system_sgpr_workgroup_id_y 1
		.amdhsa_system_sgpr_workgroup_id_z 1
		.amdhsa_system_sgpr_workgroup_info 0
		.amdhsa_system_vgpr_workitem_id 1
		.amdhsa_next_free_vgpr 36
		.amdhsa_next_free_sgpr 20
		.amdhsa_reserve_vcc 1
		.amdhsa_reserve_flat_scratch 0
		.amdhsa_float_round_mode_32 0
		.amdhsa_float_round_mode_16_64 0
		.amdhsa_float_denorm_mode_32 3
		.amdhsa_float_denorm_mode_16_64 3
		.amdhsa_dx10_clamp 1
		.amdhsa_ieee_mode 1
		.amdhsa_fp16_overflow 0
		.amdhsa_exception_fp_ieee_invalid_op 0
		.amdhsa_exception_fp_denorm_src 0
		.amdhsa_exception_fp_ieee_div_zero 0
		.amdhsa_exception_fp_ieee_overflow 0
		.amdhsa_exception_fp_ieee_underflow 0
		.amdhsa_exception_fp_ieee_inexact 0
		.amdhsa_exception_int_div_zero 0
	.end_amdhsa_kernel
	.section	.text._ZL37rocblas_syrkx_herkx_restricted_kernelIifLi16ELi32ELi8ELi1ELin1ELb0ELc78ELc85EKPKfKPfEviT_PT9_S5_lS7_S5_lPT10_S5_li,"axG",@progbits,_ZL37rocblas_syrkx_herkx_restricted_kernelIifLi16ELi32ELi8ELi1ELin1ELb0ELc78ELc85EKPKfKPfEviT_PT9_S5_lS7_S5_lPT10_S5_li,comdat
.Lfunc_end475:
	.size	_ZL37rocblas_syrkx_herkx_restricted_kernelIifLi16ELi32ELi8ELi1ELin1ELb0ELc78ELc85EKPKfKPfEviT_PT9_S5_lS7_S5_lPT10_S5_li, .Lfunc_end475-_ZL37rocblas_syrkx_herkx_restricted_kernelIifLi16ELi32ELi8ELi1ELin1ELb0ELc78ELc85EKPKfKPfEviT_PT9_S5_lS7_S5_lPT10_S5_li
                                        ; -- End function
	.set _ZL37rocblas_syrkx_herkx_restricted_kernelIifLi16ELi32ELi8ELi1ELin1ELb0ELc78ELc85EKPKfKPfEviT_PT9_S5_lS7_S5_lPT10_S5_li.num_vgpr, 36
	.set _ZL37rocblas_syrkx_herkx_restricted_kernelIifLi16ELi32ELi8ELi1ELin1ELb0ELc78ELc85EKPKfKPfEviT_PT9_S5_lS7_S5_lPT10_S5_li.num_agpr, 0
	.set _ZL37rocblas_syrkx_herkx_restricted_kernelIifLi16ELi32ELi8ELi1ELin1ELb0ELc78ELc85EKPKfKPfEviT_PT9_S5_lS7_S5_lPT10_S5_li.numbered_sgpr, 20
	.set _ZL37rocblas_syrkx_herkx_restricted_kernelIifLi16ELi32ELi8ELi1ELin1ELb0ELc78ELc85EKPKfKPfEviT_PT9_S5_lS7_S5_lPT10_S5_li.num_named_barrier, 0
	.set _ZL37rocblas_syrkx_herkx_restricted_kernelIifLi16ELi32ELi8ELi1ELin1ELb0ELc78ELc85EKPKfKPfEviT_PT9_S5_lS7_S5_lPT10_S5_li.private_seg_size, 0
	.set _ZL37rocblas_syrkx_herkx_restricted_kernelIifLi16ELi32ELi8ELi1ELin1ELb0ELc78ELc85EKPKfKPfEviT_PT9_S5_lS7_S5_lPT10_S5_li.uses_vcc, 1
	.set _ZL37rocblas_syrkx_herkx_restricted_kernelIifLi16ELi32ELi8ELi1ELin1ELb0ELc78ELc85EKPKfKPfEviT_PT9_S5_lS7_S5_lPT10_S5_li.uses_flat_scratch, 0
	.set _ZL37rocblas_syrkx_herkx_restricted_kernelIifLi16ELi32ELi8ELi1ELin1ELb0ELc78ELc85EKPKfKPfEviT_PT9_S5_lS7_S5_lPT10_S5_li.has_dyn_sized_stack, 0
	.set _ZL37rocblas_syrkx_herkx_restricted_kernelIifLi16ELi32ELi8ELi1ELin1ELb0ELc78ELc85EKPKfKPfEviT_PT9_S5_lS7_S5_lPT10_S5_li.has_recursion, 0
	.set _ZL37rocblas_syrkx_herkx_restricted_kernelIifLi16ELi32ELi8ELi1ELin1ELb0ELc78ELc85EKPKfKPfEviT_PT9_S5_lS7_S5_lPT10_S5_li.has_indirect_call, 0
	.section	.AMDGPU.csdata,"",@progbits
; Kernel info:
; codeLenInByte = 1076
; TotalNumSgprs: 24
; NumVgprs: 36
; ScratchSize: 0
; MemoryBound: 0
; FloatMode: 240
; IeeeMode: 1
; LDSByteSize: 2048 bytes/workgroup (compile time only)
; SGPRBlocks: 2
; VGPRBlocks: 8
; NumSGPRsForWavesPerEU: 24
; NumVGPRsForWavesPerEU: 36
; Occupancy: 7
; WaveLimiterHint : 1
; COMPUTE_PGM_RSRC2:SCRATCH_EN: 0
; COMPUTE_PGM_RSRC2:USER_SGPR: 6
; COMPUTE_PGM_RSRC2:TRAP_HANDLER: 0
; COMPUTE_PGM_RSRC2:TGID_X_EN: 1
; COMPUTE_PGM_RSRC2:TGID_Y_EN: 1
; COMPUTE_PGM_RSRC2:TGID_Z_EN: 1
; COMPUTE_PGM_RSRC2:TIDIG_COMP_CNT: 1
	.section	.text._ZL37rocblas_syrkx_herkx_restricted_kernelIifLi16ELi32ELi8ELi1ELi0ELb0ELc84ELc76EKPKfKPfEviT_PT9_S5_lS7_S5_lPT10_S5_li,"axG",@progbits,_ZL37rocblas_syrkx_herkx_restricted_kernelIifLi16ELi32ELi8ELi1ELi0ELb0ELc84ELc76EKPKfKPfEviT_PT9_S5_lS7_S5_lPT10_S5_li,comdat
	.globl	_ZL37rocblas_syrkx_herkx_restricted_kernelIifLi16ELi32ELi8ELi1ELi0ELb0ELc84ELc76EKPKfKPfEviT_PT9_S5_lS7_S5_lPT10_S5_li ; -- Begin function _ZL37rocblas_syrkx_herkx_restricted_kernelIifLi16ELi32ELi8ELi1ELi0ELb0ELc84ELc76EKPKfKPfEviT_PT9_S5_lS7_S5_lPT10_S5_li
	.p2align	8
	.type	_ZL37rocblas_syrkx_herkx_restricted_kernelIifLi16ELi32ELi8ELi1ELi0ELb0ELc84ELc76EKPKfKPfEviT_PT9_S5_lS7_S5_lPT10_S5_li,@function
_ZL37rocblas_syrkx_herkx_restricted_kernelIifLi16ELi32ELi8ELi1ELi0ELb0ELc84ELc76EKPKfKPfEviT_PT9_S5_lS7_S5_lPT10_S5_li: ; @_ZL37rocblas_syrkx_herkx_restricted_kernelIifLi16ELi32ELi8ELi1ELi0ELb0ELc84ELc76EKPKfKPfEviT_PT9_S5_lS7_S5_lPT10_S5_li
; %bb.0:
	s_load_dwordx2 s[2:3], s[4:5], 0x38
	s_load_dwordx2 s[12:13], s[4:5], 0x0
	s_mov_b32 s9, 0
	s_lshl_b64 s[0:1], s[8:9], 3
	s_waitcnt lgkmcnt(0)
	s_add_u32 s2, s2, s0
	s_addc_u32 s3, s3, s1
	s_load_dwordx2 s[10:11], s[2:3], 0x0
	s_lshl_b32 s2, s6, 5
	s_lshl_b32 s3, s7, 5
	s_cmp_lt_i32 s13, 1
	s_cbranch_scc1 .LBB476_3
; %bb.1:
	s_load_dwordx2 s[6:7], s[4:5], 0x8
	s_load_dword s8, s[4:5], 0x10
	s_load_dwordx2 s[14:15], s[4:5], 0x20
	s_load_dword s16, s[4:5], 0x28
	v_lshl_add_u32 v4, v1, 4, v0
	s_waitcnt lgkmcnt(0)
	s_add_u32 s6, s6, s0
	s_addc_u32 s7, s7, s1
	v_lshrrev_b32_e32 v8, 3, v4
	s_add_u32 s0, s14, s0
	v_add_u32_e32 v5, s3, v8
	v_and_b32_e32 v2, 7, v0
	v_mov_b32_e32 v3, 0
	s_addc_u32 s1, s15, s1
	v_mad_i64_i32 v[6:7], s[14:15], s16, v5, v[2:3]
	v_lshlrev_b32_e32 v2, 2, v2
	v_and_b32_e32 v9, 31, v4
	v_lshl_or_b32 v2, v8, 5, v2
	v_lshrrev_b32_e32 v4, 5, v4
	v_mov_b32_e32 v5, v3
	v_lshlrev_b32_e32 v10, 2, v9
	v_add_u32_e32 v11, 0x400, v2
	v_add_u32_e32 v2, s2, v9
	v_lshl_or_b32 v10, v4, 7, v10
	v_mad_i64_i32 v[4:5], s[14:15], s8, v2, v[4:5]
	s_load_dwordx2 s[6:7], s[6:7], 0x0
	v_mov_b32_e32 v2, 0x400
	s_load_dwordx2 s[0:1], s[0:1], 0x0
	v_lshlrev_b64 v[4:5], 2, v[4:5]
	v_lshl_add_u32 v13, v1, 5, v2
	s_waitcnt lgkmcnt(0)
	v_mov_b32_e32 v2, s7
	v_add_co_u32_e32 v4, vcc, s6, v4
	v_lshlrev_b64 v[6:7], 2, v[6:7]
	v_addc_co_u32_e32 v5, vcc, v2, v5, vcc
	v_mov_b32_e32 v2, s1
	v_add_co_u32_e32 v6, vcc, s0, v6
	v_lshlrev_b32_e32 v12, 2, v0
	v_addc_co_u32_e32 v7, vcc, v2, v7, vcc
	v_mov_b32_e32 v2, v3
	v_mov_b32_e32 v8, v3
	;; [unrolled: 1-line block ×3, first 2 shown]
.LBB476_2:                              ; =>This Inner Loop Header: Depth=1
	flat_load_dword v14, v[4:5]
	v_add_co_u32_e32 v4, vcc, 32, v4
	v_addc_co_u32_e32 v5, vcc, 0, v5, vcc
	s_add_i32 s9, s9, 8
	s_cmp_ge_i32 s9, s13
	s_waitcnt vmcnt(0) lgkmcnt(0)
	ds_write_b32 v10, v14
	flat_load_dword v14, v[6:7]
	v_add_co_u32_e32 v6, vcc, 32, v6
	v_addc_co_u32_e32 v7, vcc, 0, v7, vcc
	s_waitcnt vmcnt(0) lgkmcnt(0)
	ds_write_b32 v11, v14
	s_waitcnt lgkmcnt(0)
	s_barrier
	ds_read2_b32 v[26:27], v12 offset1:16
	ds_read_b128 v[14:17], v13
	ds_read2_b32 v[28:29], v12 offset0:32 offset1:48
	ds_read2_b32 v[30:31], v12 offset0:64 offset1:80
	ds_read_b128 v[18:21], v13 offset:16
	ds_read2_b32 v[32:33], v12 offset0:96 offset1:112
	s_waitcnt lgkmcnt(4)
	v_fmac_f32_e32 v9, v26, v14
	v_fmac_f32_e32 v8, v27, v14
	s_waitcnt lgkmcnt(3)
	v_fmac_f32_e32 v9, v28, v15
	v_fmac_f32_e32 v8, v29, v15
	s_waitcnt lgkmcnt(2)
	v_fmac_f32_e32 v9, v30, v16
	v_fmac_f32_e32 v8, v31, v16
	s_waitcnt lgkmcnt(0)
	v_fmac_f32_e32 v9, v32, v17
	v_fmac_f32_e32 v8, v33, v17
	ds_read_b128 v[14:17], v13 offset:512
	ds_read_b128 v[22:25], v13 offset:528
	s_waitcnt lgkmcnt(1)
	v_fmac_f32_e32 v2, v26, v14
	v_fmac_f32_e32 v3, v27, v14
	;; [unrolled: 1-line block ×8, first 2 shown]
	ds_read2_b32 v[14:15], v12 offset0:128 offset1:144
	ds_read2_b32 v[16:17], v12 offset0:160 offset1:176
	;; [unrolled: 1-line block ×3, first 2 shown]
	s_waitcnt lgkmcnt(2)
	v_fmac_f32_e32 v9, v14, v18
	v_fmac_f32_e32 v8, v15, v18
	;; [unrolled: 1-line block ×4, first 2 shown]
	ds_read2_b32 v[14:15], v12 offset0:224 offset1:240
	s_waitcnt lgkmcnt(2)
	v_fmac_f32_e32 v9, v16, v19
	v_fmac_f32_e32 v8, v17, v19
	v_fmac_f32_e32 v2, v16, v23
	v_fmac_f32_e32 v3, v17, v23
	s_waitcnt lgkmcnt(1)
	v_fmac_f32_e32 v9, v26, v20
	v_fmac_f32_e32 v8, v27, v20
	v_fmac_f32_e32 v2, v26, v24
	v_fmac_f32_e32 v3, v27, v24
	;; [unrolled: 5-line block ×3, first 2 shown]
	s_barrier
	s_cbranch_scc0 .LBB476_2
	s_branch .LBB476_4
.LBB476_3:
	v_mov_b32_e32 v9, 0
	v_mov_b32_e32 v8, 0
	;; [unrolled: 1-line block ×4, first 2 shown]
.LBB476_4:
	s_load_dword s6, s[4:5], 0x40
	v_add_u32_e32 v6, s3, v1
	s_waitcnt lgkmcnt(0)
	v_mov_b32_e32 v1, s11
	v_add_u32_e32 v0, s2, v0
	v_mad_i64_i32 v[4:5], s[0:1], v6, s6, 0
	v_cmp_le_i32_e64 s[0:1], v6, v0
	v_lshlrev_b64 v[4:5], 2, v[4:5]
	v_add_co_u32_e32 v7, vcc, s10, v4
	v_addc_co_u32_e32 v10, vcc, v1, v5, vcc
	v_cmp_gt_i32_e32 vcc, s12, v0
	s_and_b64 s[0:1], s[0:1], vcc
	s_and_saveexec_b64 s[2:3], s[0:1]
	s_cbranch_execz .LBB476_6
; %bb.5:
	v_ashrrev_i32_e32 v1, 31, v0
	v_lshlrev_b64 v[4:5], 2, v[0:1]
	v_add_co_u32_e64 v4, s[0:1], v7, v4
	v_addc_co_u32_e64 v5, s[0:1], v10, v5, s[0:1]
	flat_store_dword v[4:5], v9
.LBB476_6:
	s_or_b64 exec, exec, s[2:3]
	v_add_u32_e32 v4, 16, v0
	v_cmp_le_i32_e64 s[2:3], v6, v4
	v_cmp_gt_i32_e64 s[0:1], s12, v4
	s_and_b64 s[2:3], s[2:3], s[0:1]
	s_and_saveexec_b64 s[4:5], s[2:3]
	s_cbranch_execz .LBB476_8
; %bb.7:
	v_ashrrev_i32_e32 v5, 31, v4
	v_lshlrev_b64 v[11:12], 2, v[4:5]
	v_add_co_u32_e64 v9, s[2:3], v7, v11
	v_addc_co_u32_e64 v10, s[2:3], v10, v12, s[2:3]
	flat_store_dword v[9:10], v8
.LBB476_8:
	s_or_b64 exec, exec, s[4:5]
	v_add_u32_e32 v5, 16, v6
	v_mad_i64_i32 v[6:7], s[2:3], v5, s6, 0
	v_mov_b32_e32 v1, s11
	v_lshlrev_b64 v[6:7], 2, v[6:7]
	v_add_co_u32_e64 v6, s[2:3], s10, v6
	v_addc_co_u32_e64 v7, s[2:3], v1, v7, s[2:3]
	v_cmp_le_i32_e64 s[2:3], v5, v0
	s_and_b64 s[4:5], s[2:3], vcc
	s_and_saveexec_b64 s[2:3], s[4:5]
	s_cbranch_execz .LBB476_10
; %bb.9:
	v_ashrrev_i32_e32 v1, 31, v0
	v_lshlrev_b64 v[0:1], 2, v[0:1]
	v_add_co_u32_e32 v0, vcc, v6, v0
	v_addc_co_u32_e32 v1, vcc, v7, v1, vcc
	flat_store_dword v[0:1], v2
.LBB476_10:
	s_or_b64 exec, exec, s[2:3]
	v_cmp_le_i32_e32 vcc, v5, v4
	s_and_b64 s[0:1], vcc, s[0:1]
	s_and_saveexec_b64 s[2:3], s[0:1]
	s_cbranch_execz .LBB476_12
; %bb.11:
	v_ashrrev_i32_e32 v5, 31, v4
	v_lshlrev_b64 v[0:1], 2, v[4:5]
	v_add_co_u32_e32 v0, vcc, v6, v0
	v_addc_co_u32_e32 v1, vcc, v7, v1, vcc
	flat_store_dword v[0:1], v3
.LBB476_12:
	s_endpgm
	.section	.rodata,"a",@progbits
	.p2align	6, 0x0
	.amdhsa_kernel _ZL37rocblas_syrkx_herkx_restricted_kernelIifLi16ELi32ELi8ELi1ELi0ELb0ELc84ELc76EKPKfKPfEviT_PT9_S5_lS7_S5_lPT10_S5_li
		.amdhsa_group_segment_fixed_size 2048
		.amdhsa_private_segment_fixed_size 0
		.amdhsa_kernarg_size 84
		.amdhsa_user_sgpr_count 6
		.amdhsa_user_sgpr_private_segment_buffer 1
		.amdhsa_user_sgpr_dispatch_ptr 0
		.amdhsa_user_sgpr_queue_ptr 0
		.amdhsa_user_sgpr_kernarg_segment_ptr 1
		.amdhsa_user_sgpr_dispatch_id 0
		.amdhsa_user_sgpr_flat_scratch_init 0
		.amdhsa_user_sgpr_private_segment_size 0
		.amdhsa_uses_dynamic_stack 0
		.amdhsa_system_sgpr_private_segment_wavefront_offset 0
		.amdhsa_system_sgpr_workgroup_id_x 1
		.amdhsa_system_sgpr_workgroup_id_y 1
		.amdhsa_system_sgpr_workgroup_id_z 1
		.amdhsa_system_sgpr_workgroup_info 0
		.amdhsa_system_vgpr_workitem_id 1
		.amdhsa_next_free_vgpr 34
		.amdhsa_next_free_sgpr 17
		.amdhsa_reserve_vcc 1
		.amdhsa_reserve_flat_scratch 0
		.amdhsa_float_round_mode_32 0
		.amdhsa_float_round_mode_16_64 0
		.amdhsa_float_denorm_mode_32 3
		.amdhsa_float_denorm_mode_16_64 3
		.amdhsa_dx10_clamp 1
		.amdhsa_ieee_mode 1
		.amdhsa_fp16_overflow 0
		.amdhsa_exception_fp_ieee_invalid_op 0
		.amdhsa_exception_fp_denorm_src 0
		.amdhsa_exception_fp_ieee_div_zero 0
		.amdhsa_exception_fp_ieee_overflow 0
		.amdhsa_exception_fp_ieee_underflow 0
		.amdhsa_exception_fp_ieee_inexact 0
		.amdhsa_exception_int_div_zero 0
	.end_amdhsa_kernel
	.section	.text._ZL37rocblas_syrkx_herkx_restricted_kernelIifLi16ELi32ELi8ELi1ELi0ELb0ELc84ELc76EKPKfKPfEviT_PT9_S5_lS7_S5_lPT10_S5_li,"axG",@progbits,_ZL37rocblas_syrkx_herkx_restricted_kernelIifLi16ELi32ELi8ELi1ELi0ELb0ELc84ELc76EKPKfKPfEviT_PT9_S5_lS7_S5_lPT10_S5_li,comdat
.Lfunc_end476:
	.size	_ZL37rocblas_syrkx_herkx_restricted_kernelIifLi16ELi32ELi8ELi1ELi0ELb0ELc84ELc76EKPKfKPfEviT_PT9_S5_lS7_S5_lPT10_S5_li, .Lfunc_end476-_ZL37rocblas_syrkx_herkx_restricted_kernelIifLi16ELi32ELi8ELi1ELi0ELb0ELc84ELc76EKPKfKPfEviT_PT9_S5_lS7_S5_lPT10_S5_li
                                        ; -- End function
	.set _ZL37rocblas_syrkx_herkx_restricted_kernelIifLi16ELi32ELi8ELi1ELi0ELb0ELc84ELc76EKPKfKPfEviT_PT9_S5_lS7_S5_lPT10_S5_li.num_vgpr, 34
	.set _ZL37rocblas_syrkx_herkx_restricted_kernelIifLi16ELi32ELi8ELi1ELi0ELb0ELc84ELc76EKPKfKPfEviT_PT9_S5_lS7_S5_lPT10_S5_li.num_agpr, 0
	.set _ZL37rocblas_syrkx_herkx_restricted_kernelIifLi16ELi32ELi8ELi1ELi0ELb0ELc84ELc76EKPKfKPfEviT_PT9_S5_lS7_S5_lPT10_S5_li.numbered_sgpr, 17
	.set _ZL37rocblas_syrkx_herkx_restricted_kernelIifLi16ELi32ELi8ELi1ELi0ELb0ELc84ELc76EKPKfKPfEviT_PT9_S5_lS7_S5_lPT10_S5_li.num_named_barrier, 0
	.set _ZL37rocblas_syrkx_herkx_restricted_kernelIifLi16ELi32ELi8ELi1ELi0ELb0ELc84ELc76EKPKfKPfEviT_PT9_S5_lS7_S5_lPT10_S5_li.private_seg_size, 0
	.set _ZL37rocblas_syrkx_herkx_restricted_kernelIifLi16ELi32ELi8ELi1ELi0ELb0ELc84ELc76EKPKfKPfEviT_PT9_S5_lS7_S5_lPT10_S5_li.uses_vcc, 1
	.set _ZL37rocblas_syrkx_herkx_restricted_kernelIifLi16ELi32ELi8ELi1ELi0ELb0ELc84ELc76EKPKfKPfEviT_PT9_S5_lS7_S5_lPT10_S5_li.uses_flat_scratch, 0
	.set _ZL37rocblas_syrkx_herkx_restricted_kernelIifLi16ELi32ELi8ELi1ELi0ELb0ELc84ELc76EKPKfKPfEviT_PT9_S5_lS7_S5_lPT10_S5_li.has_dyn_sized_stack, 0
	.set _ZL37rocblas_syrkx_herkx_restricted_kernelIifLi16ELi32ELi8ELi1ELi0ELb0ELc84ELc76EKPKfKPfEviT_PT9_S5_lS7_S5_lPT10_S5_li.has_recursion, 0
	.set _ZL37rocblas_syrkx_herkx_restricted_kernelIifLi16ELi32ELi8ELi1ELi0ELb0ELc84ELc76EKPKfKPfEviT_PT9_S5_lS7_S5_lPT10_S5_li.has_indirect_call, 0
	.section	.AMDGPU.csdata,"",@progbits
; Kernel info:
; codeLenInByte = 976
; TotalNumSgprs: 21
; NumVgprs: 34
; ScratchSize: 0
; MemoryBound: 0
; FloatMode: 240
; IeeeMode: 1
; LDSByteSize: 2048 bytes/workgroup (compile time only)
; SGPRBlocks: 2
; VGPRBlocks: 8
; NumSGPRsForWavesPerEU: 21
; NumVGPRsForWavesPerEU: 34
; Occupancy: 7
; WaveLimiterHint : 1
; COMPUTE_PGM_RSRC2:SCRATCH_EN: 0
; COMPUTE_PGM_RSRC2:USER_SGPR: 6
; COMPUTE_PGM_RSRC2:TRAP_HANDLER: 0
; COMPUTE_PGM_RSRC2:TGID_X_EN: 1
; COMPUTE_PGM_RSRC2:TGID_Y_EN: 1
; COMPUTE_PGM_RSRC2:TGID_Z_EN: 1
; COMPUTE_PGM_RSRC2:TIDIG_COMP_CNT: 1
	.section	.text._ZL37rocblas_syrkx_herkx_restricted_kernelIifLi16ELi32ELi8ELi1ELi0ELb0ELc67ELc76EKPKfKPfEviT_PT9_S5_lS7_S5_lPT10_S5_li,"axG",@progbits,_ZL37rocblas_syrkx_herkx_restricted_kernelIifLi16ELi32ELi8ELi1ELi0ELb0ELc67ELc76EKPKfKPfEviT_PT9_S5_lS7_S5_lPT10_S5_li,comdat
	.globl	_ZL37rocblas_syrkx_herkx_restricted_kernelIifLi16ELi32ELi8ELi1ELi0ELb0ELc67ELc76EKPKfKPfEviT_PT9_S5_lS7_S5_lPT10_S5_li ; -- Begin function _ZL37rocblas_syrkx_herkx_restricted_kernelIifLi16ELi32ELi8ELi1ELi0ELb0ELc67ELc76EKPKfKPfEviT_PT9_S5_lS7_S5_lPT10_S5_li
	.p2align	8
	.type	_ZL37rocblas_syrkx_herkx_restricted_kernelIifLi16ELi32ELi8ELi1ELi0ELb0ELc67ELc76EKPKfKPfEviT_PT9_S5_lS7_S5_lPT10_S5_li,@function
_ZL37rocblas_syrkx_herkx_restricted_kernelIifLi16ELi32ELi8ELi1ELi0ELb0ELc67ELc76EKPKfKPfEviT_PT9_S5_lS7_S5_lPT10_S5_li: ; @_ZL37rocblas_syrkx_herkx_restricted_kernelIifLi16ELi32ELi8ELi1ELi0ELb0ELc67ELc76EKPKfKPfEviT_PT9_S5_lS7_S5_lPT10_S5_li
; %bb.0:
	s_load_dwordx2 s[2:3], s[4:5], 0x38
	s_load_dwordx2 s[12:13], s[4:5], 0x0
	s_mov_b32 s9, 0
	s_lshl_b64 s[0:1], s[8:9], 3
	s_waitcnt lgkmcnt(0)
	s_add_u32 s2, s2, s0
	s_addc_u32 s3, s3, s1
	s_load_dwordx2 s[10:11], s[2:3], 0x0
	s_lshl_b32 s2, s6, 5
	s_lshl_b32 s3, s7, 5
	s_cmp_lt_i32 s13, 1
	s_cbranch_scc1 .LBB477_3
; %bb.1:
	s_load_dwordx2 s[6:7], s[4:5], 0x8
	s_load_dword s8, s[4:5], 0x10
	s_load_dwordx2 s[14:15], s[4:5], 0x20
	s_load_dword s16, s[4:5], 0x28
	v_lshl_add_u32 v4, v1, 4, v0
	s_waitcnt lgkmcnt(0)
	s_add_u32 s6, s6, s0
	s_addc_u32 s7, s7, s1
	v_lshrrev_b32_e32 v8, 3, v4
	s_add_u32 s0, s14, s0
	v_add_u32_e32 v5, s3, v8
	v_and_b32_e32 v2, 7, v0
	v_mov_b32_e32 v3, 0
	s_addc_u32 s1, s15, s1
	v_mad_i64_i32 v[6:7], s[14:15], s16, v5, v[2:3]
	v_lshlrev_b32_e32 v2, 2, v2
	v_and_b32_e32 v9, 31, v4
	v_lshl_or_b32 v2, v8, 5, v2
	v_lshrrev_b32_e32 v4, 5, v4
	v_mov_b32_e32 v5, v3
	v_lshlrev_b32_e32 v10, 2, v9
	v_add_u32_e32 v11, 0x400, v2
	v_add_u32_e32 v2, s2, v9
	v_lshl_or_b32 v10, v4, 7, v10
	v_mad_i64_i32 v[4:5], s[14:15], s8, v2, v[4:5]
	s_load_dwordx2 s[6:7], s[6:7], 0x0
	v_mov_b32_e32 v2, 0x400
	s_load_dwordx2 s[0:1], s[0:1], 0x0
	v_lshlrev_b64 v[4:5], 2, v[4:5]
	v_lshl_add_u32 v13, v1, 5, v2
	s_waitcnt lgkmcnt(0)
	v_mov_b32_e32 v2, s7
	v_add_co_u32_e32 v4, vcc, s6, v4
	v_lshlrev_b64 v[6:7], 2, v[6:7]
	v_addc_co_u32_e32 v5, vcc, v2, v5, vcc
	v_mov_b32_e32 v2, s1
	v_add_co_u32_e32 v6, vcc, s0, v6
	v_lshlrev_b32_e32 v12, 2, v0
	v_addc_co_u32_e32 v7, vcc, v2, v7, vcc
	v_mov_b32_e32 v2, v3
	v_mov_b32_e32 v8, v3
	;; [unrolled: 1-line block ×3, first 2 shown]
.LBB477_2:                              ; =>This Inner Loop Header: Depth=1
	flat_load_dword v14, v[4:5]
	v_add_co_u32_e32 v4, vcc, 32, v4
	v_addc_co_u32_e32 v5, vcc, 0, v5, vcc
	s_add_i32 s9, s9, 8
	s_cmp_ge_i32 s9, s13
	s_waitcnt vmcnt(0) lgkmcnt(0)
	ds_write_b32 v10, v14
	flat_load_dword v14, v[6:7]
	v_add_co_u32_e32 v6, vcc, 32, v6
	v_addc_co_u32_e32 v7, vcc, 0, v7, vcc
	s_waitcnt vmcnt(0) lgkmcnt(0)
	ds_write_b32 v11, v14
	s_waitcnt lgkmcnt(0)
	s_barrier
	ds_read2_b32 v[26:27], v12 offset1:16
	ds_read_b128 v[14:17], v13
	ds_read2_b32 v[28:29], v12 offset0:32 offset1:48
	ds_read2_b32 v[30:31], v12 offset0:64 offset1:80
	ds_read_b128 v[18:21], v13 offset:16
	ds_read2_b32 v[32:33], v12 offset0:96 offset1:112
	s_waitcnt lgkmcnt(4)
	v_fmac_f32_e32 v9, v26, v14
	v_fmac_f32_e32 v8, v27, v14
	s_waitcnt lgkmcnt(3)
	v_fmac_f32_e32 v9, v28, v15
	v_fmac_f32_e32 v8, v29, v15
	;; [unrolled: 3-line block ×4, first 2 shown]
	ds_read_b128 v[14:17], v13 offset:512
	ds_read_b128 v[22:25], v13 offset:528
	s_waitcnt lgkmcnt(1)
	v_fmac_f32_e32 v2, v26, v14
	v_fmac_f32_e32 v3, v27, v14
	;; [unrolled: 1-line block ×8, first 2 shown]
	ds_read2_b32 v[14:15], v12 offset0:128 offset1:144
	ds_read2_b32 v[16:17], v12 offset0:160 offset1:176
	;; [unrolled: 1-line block ×3, first 2 shown]
	s_waitcnt lgkmcnt(2)
	v_fmac_f32_e32 v9, v14, v18
	v_fmac_f32_e32 v8, v15, v18
	;; [unrolled: 1-line block ×4, first 2 shown]
	ds_read2_b32 v[14:15], v12 offset0:224 offset1:240
	s_waitcnt lgkmcnt(2)
	v_fmac_f32_e32 v9, v16, v19
	v_fmac_f32_e32 v8, v17, v19
	v_fmac_f32_e32 v2, v16, v23
	v_fmac_f32_e32 v3, v17, v23
	s_waitcnt lgkmcnt(1)
	v_fmac_f32_e32 v9, v26, v20
	v_fmac_f32_e32 v8, v27, v20
	v_fmac_f32_e32 v2, v26, v24
	v_fmac_f32_e32 v3, v27, v24
	;; [unrolled: 5-line block ×3, first 2 shown]
	s_barrier
	s_cbranch_scc0 .LBB477_2
	s_branch .LBB477_4
.LBB477_3:
	v_mov_b32_e32 v9, 0
	v_mov_b32_e32 v8, 0
	;; [unrolled: 1-line block ×4, first 2 shown]
.LBB477_4:
	s_load_dword s6, s[4:5], 0x40
	v_add_u32_e32 v6, s3, v1
	s_waitcnt lgkmcnt(0)
	v_mov_b32_e32 v1, s11
	v_add_u32_e32 v0, s2, v0
	v_mad_i64_i32 v[4:5], s[0:1], v6, s6, 0
	v_cmp_le_i32_e64 s[0:1], v6, v0
	v_lshlrev_b64 v[4:5], 2, v[4:5]
	v_add_co_u32_e32 v7, vcc, s10, v4
	v_addc_co_u32_e32 v10, vcc, v1, v5, vcc
	v_cmp_gt_i32_e32 vcc, s12, v0
	s_and_b64 s[0:1], s[0:1], vcc
	s_and_saveexec_b64 s[2:3], s[0:1]
	s_cbranch_execz .LBB477_6
; %bb.5:
	v_ashrrev_i32_e32 v1, 31, v0
	v_lshlrev_b64 v[4:5], 2, v[0:1]
	v_add_co_u32_e64 v4, s[0:1], v7, v4
	v_addc_co_u32_e64 v5, s[0:1], v10, v5, s[0:1]
	flat_store_dword v[4:5], v9
.LBB477_6:
	s_or_b64 exec, exec, s[2:3]
	v_add_u32_e32 v4, 16, v0
	v_cmp_le_i32_e64 s[2:3], v6, v4
	v_cmp_gt_i32_e64 s[0:1], s12, v4
	s_and_b64 s[2:3], s[2:3], s[0:1]
	s_and_saveexec_b64 s[4:5], s[2:3]
	s_cbranch_execz .LBB477_8
; %bb.7:
	v_ashrrev_i32_e32 v5, 31, v4
	v_lshlrev_b64 v[11:12], 2, v[4:5]
	v_add_co_u32_e64 v9, s[2:3], v7, v11
	v_addc_co_u32_e64 v10, s[2:3], v10, v12, s[2:3]
	flat_store_dword v[9:10], v8
.LBB477_8:
	s_or_b64 exec, exec, s[4:5]
	v_add_u32_e32 v5, 16, v6
	v_mad_i64_i32 v[6:7], s[2:3], v5, s6, 0
	v_mov_b32_e32 v1, s11
	v_lshlrev_b64 v[6:7], 2, v[6:7]
	v_add_co_u32_e64 v6, s[2:3], s10, v6
	v_addc_co_u32_e64 v7, s[2:3], v1, v7, s[2:3]
	v_cmp_le_i32_e64 s[2:3], v5, v0
	s_and_b64 s[4:5], s[2:3], vcc
	s_and_saveexec_b64 s[2:3], s[4:5]
	s_cbranch_execz .LBB477_10
; %bb.9:
	v_ashrrev_i32_e32 v1, 31, v0
	v_lshlrev_b64 v[0:1], 2, v[0:1]
	v_add_co_u32_e32 v0, vcc, v6, v0
	v_addc_co_u32_e32 v1, vcc, v7, v1, vcc
	flat_store_dword v[0:1], v2
.LBB477_10:
	s_or_b64 exec, exec, s[2:3]
	v_cmp_le_i32_e32 vcc, v5, v4
	s_and_b64 s[0:1], vcc, s[0:1]
	s_and_saveexec_b64 s[2:3], s[0:1]
	s_cbranch_execz .LBB477_12
; %bb.11:
	v_ashrrev_i32_e32 v5, 31, v4
	v_lshlrev_b64 v[0:1], 2, v[4:5]
	v_add_co_u32_e32 v0, vcc, v6, v0
	v_addc_co_u32_e32 v1, vcc, v7, v1, vcc
	flat_store_dword v[0:1], v3
.LBB477_12:
	s_endpgm
	.section	.rodata,"a",@progbits
	.p2align	6, 0x0
	.amdhsa_kernel _ZL37rocblas_syrkx_herkx_restricted_kernelIifLi16ELi32ELi8ELi1ELi0ELb0ELc67ELc76EKPKfKPfEviT_PT9_S5_lS7_S5_lPT10_S5_li
		.amdhsa_group_segment_fixed_size 2048
		.amdhsa_private_segment_fixed_size 0
		.amdhsa_kernarg_size 84
		.amdhsa_user_sgpr_count 6
		.amdhsa_user_sgpr_private_segment_buffer 1
		.amdhsa_user_sgpr_dispatch_ptr 0
		.amdhsa_user_sgpr_queue_ptr 0
		.amdhsa_user_sgpr_kernarg_segment_ptr 1
		.amdhsa_user_sgpr_dispatch_id 0
		.amdhsa_user_sgpr_flat_scratch_init 0
		.amdhsa_user_sgpr_private_segment_size 0
		.amdhsa_uses_dynamic_stack 0
		.amdhsa_system_sgpr_private_segment_wavefront_offset 0
		.amdhsa_system_sgpr_workgroup_id_x 1
		.amdhsa_system_sgpr_workgroup_id_y 1
		.amdhsa_system_sgpr_workgroup_id_z 1
		.amdhsa_system_sgpr_workgroup_info 0
		.amdhsa_system_vgpr_workitem_id 1
		.amdhsa_next_free_vgpr 34
		.amdhsa_next_free_sgpr 17
		.amdhsa_reserve_vcc 1
		.amdhsa_reserve_flat_scratch 0
		.amdhsa_float_round_mode_32 0
		.amdhsa_float_round_mode_16_64 0
		.amdhsa_float_denorm_mode_32 3
		.amdhsa_float_denorm_mode_16_64 3
		.amdhsa_dx10_clamp 1
		.amdhsa_ieee_mode 1
		.amdhsa_fp16_overflow 0
		.amdhsa_exception_fp_ieee_invalid_op 0
		.amdhsa_exception_fp_denorm_src 0
		.amdhsa_exception_fp_ieee_div_zero 0
		.amdhsa_exception_fp_ieee_overflow 0
		.amdhsa_exception_fp_ieee_underflow 0
		.amdhsa_exception_fp_ieee_inexact 0
		.amdhsa_exception_int_div_zero 0
	.end_amdhsa_kernel
	.section	.text._ZL37rocblas_syrkx_herkx_restricted_kernelIifLi16ELi32ELi8ELi1ELi0ELb0ELc67ELc76EKPKfKPfEviT_PT9_S5_lS7_S5_lPT10_S5_li,"axG",@progbits,_ZL37rocblas_syrkx_herkx_restricted_kernelIifLi16ELi32ELi8ELi1ELi0ELb0ELc67ELc76EKPKfKPfEviT_PT9_S5_lS7_S5_lPT10_S5_li,comdat
.Lfunc_end477:
	.size	_ZL37rocblas_syrkx_herkx_restricted_kernelIifLi16ELi32ELi8ELi1ELi0ELb0ELc67ELc76EKPKfKPfEviT_PT9_S5_lS7_S5_lPT10_S5_li, .Lfunc_end477-_ZL37rocblas_syrkx_herkx_restricted_kernelIifLi16ELi32ELi8ELi1ELi0ELb0ELc67ELc76EKPKfKPfEviT_PT9_S5_lS7_S5_lPT10_S5_li
                                        ; -- End function
	.set _ZL37rocblas_syrkx_herkx_restricted_kernelIifLi16ELi32ELi8ELi1ELi0ELb0ELc67ELc76EKPKfKPfEviT_PT9_S5_lS7_S5_lPT10_S5_li.num_vgpr, 34
	.set _ZL37rocblas_syrkx_herkx_restricted_kernelIifLi16ELi32ELi8ELi1ELi0ELb0ELc67ELc76EKPKfKPfEviT_PT9_S5_lS7_S5_lPT10_S5_li.num_agpr, 0
	.set _ZL37rocblas_syrkx_herkx_restricted_kernelIifLi16ELi32ELi8ELi1ELi0ELb0ELc67ELc76EKPKfKPfEviT_PT9_S5_lS7_S5_lPT10_S5_li.numbered_sgpr, 17
	.set _ZL37rocblas_syrkx_herkx_restricted_kernelIifLi16ELi32ELi8ELi1ELi0ELb0ELc67ELc76EKPKfKPfEviT_PT9_S5_lS7_S5_lPT10_S5_li.num_named_barrier, 0
	.set _ZL37rocblas_syrkx_herkx_restricted_kernelIifLi16ELi32ELi8ELi1ELi0ELb0ELc67ELc76EKPKfKPfEviT_PT9_S5_lS7_S5_lPT10_S5_li.private_seg_size, 0
	.set _ZL37rocblas_syrkx_herkx_restricted_kernelIifLi16ELi32ELi8ELi1ELi0ELb0ELc67ELc76EKPKfKPfEviT_PT9_S5_lS7_S5_lPT10_S5_li.uses_vcc, 1
	.set _ZL37rocblas_syrkx_herkx_restricted_kernelIifLi16ELi32ELi8ELi1ELi0ELb0ELc67ELc76EKPKfKPfEviT_PT9_S5_lS7_S5_lPT10_S5_li.uses_flat_scratch, 0
	.set _ZL37rocblas_syrkx_herkx_restricted_kernelIifLi16ELi32ELi8ELi1ELi0ELb0ELc67ELc76EKPKfKPfEviT_PT9_S5_lS7_S5_lPT10_S5_li.has_dyn_sized_stack, 0
	.set _ZL37rocblas_syrkx_herkx_restricted_kernelIifLi16ELi32ELi8ELi1ELi0ELb0ELc67ELc76EKPKfKPfEviT_PT9_S5_lS7_S5_lPT10_S5_li.has_recursion, 0
	.set _ZL37rocblas_syrkx_herkx_restricted_kernelIifLi16ELi32ELi8ELi1ELi0ELb0ELc67ELc76EKPKfKPfEviT_PT9_S5_lS7_S5_lPT10_S5_li.has_indirect_call, 0
	.section	.AMDGPU.csdata,"",@progbits
; Kernel info:
; codeLenInByte = 976
; TotalNumSgprs: 21
; NumVgprs: 34
; ScratchSize: 0
; MemoryBound: 0
; FloatMode: 240
; IeeeMode: 1
; LDSByteSize: 2048 bytes/workgroup (compile time only)
; SGPRBlocks: 2
; VGPRBlocks: 8
; NumSGPRsForWavesPerEU: 21
; NumVGPRsForWavesPerEU: 34
; Occupancy: 7
; WaveLimiterHint : 1
; COMPUTE_PGM_RSRC2:SCRATCH_EN: 0
; COMPUTE_PGM_RSRC2:USER_SGPR: 6
; COMPUTE_PGM_RSRC2:TRAP_HANDLER: 0
; COMPUTE_PGM_RSRC2:TGID_X_EN: 1
; COMPUTE_PGM_RSRC2:TGID_Y_EN: 1
; COMPUTE_PGM_RSRC2:TGID_Z_EN: 1
; COMPUTE_PGM_RSRC2:TIDIG_COMP_CNT: 1
	.section	.text._ZL37rocblas_syrkx_herkx_restricted_kernelIifLi16ELi32ELi8ELi1ELi0ELb0ELc78ELc76EKPKfKPfEviT_PT9_S5_lS7_S5_lPT10_S5_li,"axG",@progbits,_ZL37rocblas_syrkx_herkx_restricted_kernelIifLi16ELi32ELi8ELi1ELi0ELb0ELc78ELc76EKPKfKPfEviT_PT9_S5_lS7_S5_lPT10_S5_li,comdat
	.globl	_ZL37rocblas_syrkx_herkx_restricted_kernelIifLi16ELi32ELi8ELi1ELi0ELb0ELc78ELc76EKPKfKPfEviT_PT9_S5_lS7_S5_lPT10_S5_li ; -- Begin function _ZL37rocblas_syrkx_herkx_restricted_kernelIifLi16ELi32ELi8ELi1ELi0ELb0ELc78ELc76EKPKfKPfEviT_PT9_S5_lS7_S5_lPT10_S5_li
	.p2align	8
	.type	_ZL37rocblas_syrkx_herkx_restricted_kernelIifLi16ELi32ELi8ELi1ELi0ELb0ELc78ELc76EKPKfKPfEviT_PT9_S5_lS7_S5_lPT10_S5_li,@function
_ZL37rocblas_syrkx_herkx_restricted_kernelIifLi16ELi32ELi8ELi1ELi0ELb0ELc78ELc76EKPKfKPfEviT_PT9_S5_lS7_S5_lPT10_S5_li: ; @_ZL37rocblas_syrkx_herkx_restricted_kernelIifLi16ELi32ELi8ELi1ELi0ELb0ELc78ELc76EKPKfKPfEviT_PT9_S5_lS7_S5_lPT10_S5_li
; %bb.0:
	s_load_dwordx2 s[2:3], s[4:5], 0x38
	s_load_dwordx2 s[12:13], s[4:5], 0x0
	s_mov_b32 s9, 0
	s_lshl_b64 s[0:1], s[8:9], 3
	s_waitcnt lgkmcnt(0)
	s_add_u32 s2, s2, s0
	s_addc_u32 s3, s3, s1
	s_load_dwordx2 s[10:11], s[2:3], 0x0
	s_lshl_b32 s6, s6, 5
	s_lshl_b32 s7, s7, 5
	s_cmp_lt_i32 s13, 1
	s_cbranch_scc1 .LBB478_3
; %bb.1:
	s_load_dword s2, s[4:5], 0x10
	s_load_dword s14, s[4:5], 0x28
	s_load_dwordx2 s[16:17], s[4:5], 0x8
	s_load_dwordx2 s[18:19], s[4:5], 0x20
	v_lshl_add_u32 v7, v1, 4, v0
	s_waitcnt lgkmcnt(0)
	s_ashr_i32 s3, s2, 31
	s_ashr_i32 s15, s14, 31
	s_add_u32 s16, s16, s0
	s_addc_u32 s17, s17, s1
	v_lshrrev_b32_e32 v8, 3, v7
	s_add_u32 s0, s18, s0
	v_add_u32_e32 v2, s7, v8
	s_addc_u32 s1, s19, s1
	v_and_b32_e32 v6, 7, v0
	v_ashrrev_i32_e32 v3, 31, v2
	s_load_dwordx2 s[18:19], s[0:1], 0x0
	v_mad_i64_i32 v[4:5], s[0:1], s14, v6, v[2:3]
	v_and_b32_e32 v2, 31, v7
	v_lshrrev_b32_e32 v9, 5, v7
	v_lshlrev_b32_e32 v3, 2, v2
	v_lshl_or_b32 v10, v9, 7, v3
	v_lshlrev_b32_e32 v3, 2, v6
	v_lshl_or_b32 v3, v8, 5, v3
	v_add_u32_e32 v2, s6, v2
	v_add_u32_e32 v11, 0x400, v3
	v_ashrrev_i32_e32 v3, 31, v2
	v_mad_i64_i32 v[2:3], s[0:1], s2, v9, v[2:3]
	s_load_dwordx2 s[16:17], s[16:17], 0x0
	v_mov_b32_e32 v6, 0x400
	v_lshlrev_b64 v[2:3], 2, v[2:3]
	v_lshl_add_u32 v13, v1, 5, v6
	v_lshlrev_b64 v[4:5], 2, v[4:5]
	s_waitcnt lgkmcnt(0)
	v_mov_b32_e32 v6, s17
	v_add_co_u32_e32 v2, vcc, s16, v2
	v_addc_co_u32_e32 v3, vcc, v6, v3, vcc
	s_lshl_b64 s[0:1], s[2:3], 5
	v_mov_b32_e32 v6, s19
	v_add_co_u32_e32 v4, vcc, s18, v4
	s_lshl_b64 s[2:3], s[14:15], 5
	v_lshlrev_b32_e32 v12, 2, v0
	v_addc_co_u32_e32 v5, vcc, v6, v5, vcc
	v_mov_b32_e32 v6, 0
	v_mov_b32_e32 v14, s1
	;; [unrolled: 1-line block ×6, first 2 shown]
.LBB478_2:                              ; =>This Inner Loop Header: Depth=1
	flat_load_dword v16, v[2:3]
	v_add_co_u32_e32 v2, vcc, s0, v2
	v_addc_co_u32_e32 v3, vcc, v3, v14, vcc
	s_add_i32 s9, s9, 8
	s_cmp_ge_i32 s9, s13
	s_waitcnt vmcnt(0) lgkmcnt(0)
	ds_write_b32 v10, v16
	flat_load_dword v16, v[4:5]
	v_add_co_u32_e32 v4, vcc, s2, v4
	v_addc_co_u32_e32 v5, vcc, v5, v15, vcc
	s_waitcnt vmcnt(0) lgkmcnt(0)
	ds_write_b32 v11, v16
	s_waitcnt lgkmcnt(0)
	s_barrier
	ds_read2_b32 v[28:29], v12 offset1:16
	ds_read_b128 v[16:19], v13
	ds_read2_b32 v[30:31], v12 offset0:32 offset1:48
	ds_read2_b32 v[32:33], v12 offset0:64 offset1:80
	ds_read_b128 v[20:23], v13 offset:16
	ds_read2_b32 v[34:35], v12 offset0:96 offset1:112
	s_waitcnt lgkmcnt(4)
	v_fmac_f32_e32 v9, v28, v16
	v_fmac_f32_e32 v8, v29, v16
	s_waitcnt lgkmcnt(3)
	v_fmac_f32_e32 v9, v30, v17
	v_fmac_f32_e32 v8, v31, v17
	;; [unrolled: 3-line block ×4, first 2 shown]
	ds_read_b128 v[16:19], v13 offset:512
	ds_read_b128 v[24:27], v13 offset:528
	s_waitcnt lgkmcnt(1)
	v_fmac_f32_e32 v7, v28, v16
	v_fmac_f32_e32 v6, v29, v16
	;; [unrolled: 1-line block ×8, first 2 shown]
	ds_read2_b32 v[16:17], v12 offset0:128 offset1:144
	ds_read2_b32 v[18:19], v12 offset0:160 offset1:176
	;; [unrolled: 1-line block ×3, first 2 shown]
	s_waitcnt lgkmcnt(2)
	v_fmac_f32_e32 v9, v16, v20
	v_fmac_f32_e32 v8, v17, v20
	;; [unrolled: 1-line block ×4, first 2 shown]
	ds_read2_b32 v[16:17], v12 offset0:224 offset1:240
	s_waitcnt lgkmcnt(2)
	v_fmac_f32_e32 v9, v18, v21
	v_fmac_f32_e32 v8, v19, v21
	v_fmac_f32_e32 v7, v18, v25
	v_fmac_f32_e32 v6, v19, v25
	s_waitcnt lgkmcnt(1)
	v_fmac_f32_e32 v9, v28, v22
	v_fmac_f32_e32 v8, v29, v22
	v_fmac_f32_e32 v7, v28, v26
	v_fmac_f32_e32 v6, v29, v26
	;; [unrolled: 5-line block ×3, first 2 shown]
	s_barrier
	s_cbranch_scc0 .LBB478_2
	s_branch .LBB478_4
.LBB478_3:
	v_mov_b32_e32 v9, 0
	v_mov_b32_e32 v8, 0
	v_mov_b32_e32 v7, 0
	v_mov_b32_e32 v6, 0
.LBB478_4:
	s_load_dword s8, s[4:5], 0x40
	v_add_u32_e32 v4, s7, v1
	s_waitcnt lgkmcnt(0)
	v_mov_b32_e32 v3, s11
	v_add_u32_e32 v0, s6, v0
	v_mad_i64_i32 v[1:2], s[0:1], v4, s8, 0
	v_cmp_le_i32_e64 s[0:1], v4, v0
	v_lshlrev_b64 v[1:2], 2, v[1:2]
	v_add_co_u32_e32 v5, vcc, s10, v1
	v_addc_co_u32_e32 v10, vcc, v3, v2, vcc
	v_cmp_gt_i32_e32 vcc, s12, v0
	s_and_b64 s[0:1], s[0:1], vcc
	s_and_saveexec_b64 s[2:3], s[0:1]
	s_cbranch_execz .LBB478_6
; %bb.5:
	v_ashrrev_i32_e32 v1, 31, v0
	v_lshlrev_b64 v[1:2], 2, v[0:1]
	v_add_co_u32_e64 v1, s[0:1], v5, v1
	v_addc_co_u32_e64 v2, s[0:1], v10, v2, s[0:1]
	flat_store_dword v[1:2], v9
.LBB478_6:
	s_or_b64 exec, exec, s[2:3]
	v_add_u32_e32 v2, 16, v0
	v_cmp_le_i32_e64 s[2:3], v4, v2
	v_cmp_gt_i32_e64 s[0:1], s12, v2
	s_and_b64 s[2:3], s[2:3], s[0:1]
	s_and_saveexec_b64 s[4:5], s[2:3]
	s_cbranch_execz .LBB478_8
; %bb.7:
	v_ashrrev_i32_e32 v3, 31, v2
	v_lshlrev_b64 v[11:12], 2, v[2:3]
	v_add_co_u32_e64 v9, s[2:3], v5, v11
	v_addc_co_u32_e64 v10, s[2:3], v10, v12, s[2:3]
	flat_store_dword v[9:10], v8
.LBB478_8:
	s_or_b64 exec, exec, s[4:5]
	v_add_u32_e32 v3, 16, v4
	v_mad_i64_i32 v[4:5], s[2:3], v3, s8, 0
	v_mov_b32_e32 v1, s11
	v_lshlrev_b64 v[4:5], 2, v[4:5]
	v_add_co_u32_e64 v4, s[2:3], s10, v4
	v_addc_co_u32_e64 v5, s[2:3], v1, v5, s[2:3]
	v_cmp_le_i32_e64 s[2:3], v3, v0
	s_and_b64 s[4:5], s[2:3], vcc
	s_and_saveexec_b64 s[2:3], s[4:5]
	s_cbranch_execz .LBB478_10
; %bb.9:
	v_ashrrev_i32_e32 v1, 31, v0
	v_lshlrev_b64 v[0:1], 2, v[0:1]
	v_add_co_u32_e32 v0, vcc, v4, v0
	v_addc_co_u32_e32 v1, vcc, v5, v1, vcc
	flat_store_dword v[0:1], v7
.LBB478_10:
	s_or_b64 exec, exec, s[2:3]
	v_cmp_le_i32_e32 vcc, v3, v2
	s_and_b64 s[0:1], vcc, s[0:1]
	s_and_saveexec_b64 s[2:3], s[0:1]
	s_cbranch_execz .LBB478_12
; %bb.11:
	v_ashrrev_i32_e32 v3, 31, v2
	v_lshlrev_b64 v[0:1], 2, v[2:3]
	v_add_co_u32_e32 v0, vcc, v4, v0
	v_addc_co_u32_e32 v1, vcc, v5, v1, vcc
	flat_store_dword v[0:1], v6
.LBB478_12:
	s_endpgm
	.section	.rodata,"a",@progbits
	.p2align	6, 0x0
	.amdhsa_kernel _ZL37rocblas_syrkx_herkx_restricted_kernelIifLi16ELi32ELi8ELi1ELi0ELb0ELc78ELc76EKPKfKPfEviT_PT9_S5_lS7_S5_lPT10_S5_li
		.amdhsa_group_segment_fixed_size 2048
		.amdhsa_private_segment_fixed_size 0
		.amdhsa_kernarg_size 84
		.amdhsa_user_sgpr_count 6
		.amdhsa_user_sgpr_private_segment_buffer 1
		.amdhsa_user_sgpr_dispatch_ptr 0
		.amdhsa_user_sgpr_queue_ptr 0
		.amdhsa_user_sgpr_kernarg_segment_ptr 1
		.amdhsa_user_sgpr_dispatch_id 0
		.amdhsa_user_sgpr_flat_scratch_init 0
		.amdhsa_user_sgpr_private_segment_size 0
		.amdhsa_uses_dynamic_stack 0
		.amdhsa_system_sgpr_private_segment_wavefront_offset 0
		.amdhsa_system_sgpr_workgroup_id_x 1
		.amdhsa_system_sgpr_workgroup_id_y 1
		.amdhsa_system_sgpr_workgroup_id_z 1
		.amdhsa_system_sgpr_workgroup_info 0
		.amdhsa_system_vgpr_workitem_id 1
		.amdhsa_next_free_vgpr 36
		.amdhsa_next_free_sgpr 20
		.amdhsa_reserve_vcc 1
		.amdhsa_reserve_flat_scratch 0
		.amdhsa_float_round_mode_32 0
		.amdhsa_float_round_mode_16_64 0
		.amdhsa_float_denorm_mode_32 3
		.amdhsa_float_denorm_mode_16_64 3
		.amdhsa_dx10_clamp 1
		.amdhsa_ieee_mode 1
		.amdhsa_fp16_overflow 0
		.amdhsa_exception_fp_ieee_invalid_op 0
		.amdhsa_exception_fp_denorm_src 0
		.amdhsa_exception_fp_ieee_div_zero 0
		.amdhsa_exception_fp_ieee_overflow 0
		.amdhsa_exception_fp_ieee_underflow 0
		.amdhsa_exception_fp_ieee_inexact 0
		.amdhsa_exception_int_div_zero 0
	.end_amdhsa_kernel
	.section	.text._ZL37rocblas_syrkx_herkx_restricted_kernelIifLi16ELi32ELi8ELi1ELi0ELb0ELc78ELc76EKPKfKPfEviT_PT9_S5_lS7_S5_lPT10_S5_li,"axG",@progbits,_ZL37rocblas_syrkx_herkx_restricted_kernelIifLi16ELi32ELi8ELi1ELi0ELb0ELc78ELc76EKPKfKPfEviT_PT9_S5_lS7_S5_lPT10_S5_li,comdat
.Lfunc_end478:
	.size	_ZL37rocblas_syrkx_herkx_restricted_kernelIifLi16ELi32ELi8ELi1ELi0ELb0ELc78ELc76EKPKfKPfEviT_PT9_S5_lS7_S5_lPT10_S5_li, .Lfunc_end478-_ZL37rocblas_syrkx_herkx_restricted_kernelIifLi16ELi32ELi8ELi1ELi0ELb0ELc78ELc76EKPKfKPfEviT_PT9_S5_lS7_S5_lPT10_S5_li
                                        ; -- End function
	.set _ZL37rocblas_syrkx_herkx_restricted_kernelIifLi16ELi32ELi8ELi1ELi0ELb0ELc78ELc76EKPKfKPfEviT_PT9_S5_lS7_S5_lPT10_S5_li.num_vgpr, 36
	.set _ZL37rocblas_syrkx_herkx_restricted_kernelIifLi16ELi32ELi8ELi1ELi0ELb0ELc78ELc76EKPKfKPfEviT_PT9_S5_lS7_S5_lPT10_S5_li.num_agpr, 0
	.set _ZL37rocblas_syrkx_herkx_restricted_kernelIifLi16ELi32ELi8ELi1ELi0ELb0ELc78ELc76EKPKfKPfEviT_PT9_S5_lS7_S5_lPT10_S5_li.numbered_sgpr, 20
	.set _ZL37rocblas_syrkx_herkx_restricted_kernelIifLi16ELi32ELi8ELi1ELi0ELb0ELc78ELc76EKPKfKPfEviT_PT9_S5_lS7_S5_lPT10_S5_li.num_named_barrier, 0
	.set _ZL37rocblas_syrkx_herkx_restricted_kernelIifLi16ELi32ELi8ELi1ELi0ELb0ELc78ELc76EKPKfKPfEviT_PT9_S5_lS7_S5_lPT10_S5_li.private_seg_size, 0
	.set _ZL37rocblas_syrkx_herkx_restricted_kernelIifLi16ELi32ELi8ELi1ELi0ELb0ELc78ELc76EKPKfKPfEviT_PT9_S5_lS7_S5_lPT10_S5_li.uses_vcc, 1
	.set _ZL37rocblas_syrkx_herkx_restricted_kernelIifLi16ELi32ELi8ELi1ELi0ELb0ELc78ELc76EKPKfKPfEviT_PT9_S5_lS7_S5_lPT10_S5_li.uses_flat_scratch, 0
	.set _ZL37rocblas_syrkx_herkx_restricted_kernelIifLi16ELi32ELi8ELi1ELi0ELb0ELc78ELc76EKPKfKPfEviT_PT9_S5_lS7_S5_lPT10_S5_li.has_dyn_sized_stack, 0
	.set _ZL37rocblas_syrkx_herkx_restricted_kernelIifLi16ELi32ELi8ELi1ELi0ELb0ELc78ELc76EKPKfKPfEviT_PT9_S5_lS7_S5_lPT10_S5_li.has_recursion, 0
	.set _ZL37rocblas_syrkx_herkx_restricted_kernelIifLi16ELi32ELi8ELi1ELi0ELb0ELc78ELc76EKPKfKPfEviT_PT9_S5_lS7_S5_lPT10_S5_li.has_indirect_call, 0
	.section	.AMDGPU.csdata,"",@progbits
; Kernel info:
; codeLenInByte = 1004
; TotalNumSgprs: 24
; NumVgprs: 36
; ScratchSize: 0
; MemoryBound: 0
; FloatMode: 240
; IeeeMode: 1
; LDSByteSize: 2048 bytes/workgroup (compile time only)
; SGPRBlocks: 2
; VGPRBlocks: 8
; NumSGPRsForWavesPerEU: 24
; NumVGPRsForWavesPerEU: 36
; Occupancy: 7
; WaveLimiterHint : 1
; COMPUTE_PGM_RSRC2:SCRATCH_EN: 0
; COMPUTE_PGM_RSRC2:USER_SGPR: 6
; COMPUTE_PGM_RSRC2:TRAP_HANDLER: 0
; COMPUTE_PGM_RSRC2:TGID_X_EN: 1
; COMPUTE_PGM_RSRC2:TGID_Y_EN: 1
; COMPUTE_PGM_RSRC2:TGID_Z_EN: 1
; COMPUTE_PGM_RSRC2:TIDIG_COMP_CNT: 1
	.section	.text._ZL37rocblas_syrkx_herkx_restricted_kernelIifLi16ELi32ELi8ELi1ELi0ELb0ELc84ELc85EKPKfKPfEviT_PT9_S5_lS7_S5_lPT10_S5_li,"axG",@progbits,_ZL37rocblas_syrkx_herkx_restricted_kernelIifLi16ELi32ELi8ELi1ELi0ELb0ELc84ELc85EKPKfKPfEviT_PT9_S5_lS7_S5_lPT10_S5_li,comdat
	.globl	_ZL37rocblas_syrkx_herkx_restricted_kernelIifLi16ELi32ELi8ELi1ELi0ELb0ELc84ELc85EKPKfKPfEviT_PT9_S5_lS7_S5_lPT10_S5_li ; -- Begin function _ZL37rocblas_syrkx_herkx_restricted_kernelIifLi16ELi32ELi8ELi1ELi0ELb0ELc84ELc85EKPKfKPfEviT_PT9_S5_lS7_S5_lPT10_S5_li
	.p2align	8
	.type	_ZL37rocblas_syrkx_herkx_restricted_kernelIifLi16ELi32ELi8ELi1ELi0ELb0ELc84ELc85EKPKfKPfEviT_PT9_S5_lS7_S5_lPT10_S5_li,@function
_ZL37rocblas_syrkx_herkx_restricted_kernelIifLi16ELi32ELi8ELi1ELi0ELb0ELc84ELc85EKPKfKPfEviT_PT9_S5_lS7_S5_lPT10_S5_li: ; @_ZL37rocblas_syrkx_herkx_restricted_kernelIifLi16ELi32ELi8ELi1ELi0ELb0ELc84ELc85EKPKfKPfEviT_PT9_S5_lS7_S5_lPT10_S5_li
; %bb.0:
	s_load_dwordx2 s[10:11], s[4:5], 0x38
	s_load_dwordx2 s[2:3], s[4:5], 0x0
	s_mov_b32 s9, 0
	s_lshl_b64 s[0:1], s[8:9], 3
	s_waitcnt lgkmcnt(0)
	s_add_u32 s10, s10, s0
	s_addc_u32 s11, s11, s1
	s_load_dwordx2 s[10:11], s[10:11], 0x0
	s_lshl_b32 s6, s6, 5
	s_lshl_b32 s7, s7, 5
	s_cmp_lt_i32 s3, 1
	s_cbranch_scc1 .LBB479_3
; %bb.1:
	s_load_dwordx2 s[12:13], s[4:5], 0x8
	s_load_dword s8, s[4:5], 0x10
	s_load_dwordx2 s[14:15], s[4:5], 0x20
	s_load_dword s16, s[4:5], 0x28
	v_lshl_add_u32 v4, v1, 4, v0
	s_waitcnt lgkmcnt(0)
	s_add_u32 s12, s12, s0
	s_addc_u32 s13, s13, s1
	v_lshrrev_b32_e32 v8, 3, v4
	s_add_u32 s0, s14, s0
	v_add_u32_e32 v5, s7, v8
	v_and_b32_e32 v2, 7, v0
	v_mov_b32_e32 v3, 0
	s_addc_u32 s1, s15, s1
	v_mad_i64_i32 v[6:7], s[14:15], s16, v5, v[2:3]
	v_lshlrev_b32_e32 v2, 2, v2
	v_and_b32_e32 v9, 31, v4
	v_lshl_or_b32 v2, v8, 5, v2
	v_lshrrev_b32_e32 v4, 5, v4
	v_mov_b32_e32 v5, v3
	v_lshlrev_b32_e32 v10, 2, v9
	v_add_u32_e32 v11, 0x400, v2
	v_add_u32_e32 v2, s6, v9
	v_lshl_or_b32 v10, v4, 7, v10
	v_mad_i64_i32 v[4:5], s[14:15], s8, v2, v[4:5]
	s_load_dwordx2 s[12:13], s[12:13], 0x0
	v_mov_b32_e32 v2, 0x400
	s_load_dwordx2 s[0:1], s[0:1], 0x0
	v_lshlrev_b64 v[4:5], 2, v[4:5]
	v_lshl_add_u32 v13, v1, 5, v2
	s_waitcnt lgkmcnt(0)
	v_mov_b32_e32 v2, s13
	v_add_co_u32_e32 v4, vcc, s12, v4
	v_lshlrev_b64 v[6:7], 2, v[6:7]
	v_addc_co_u32_e32 v5, vcc, v2, v5, vcc
	v_mov_b32_e32 v2, s1
	v_add_co_u32_e32 v6, vcc, s0, v6
	v_lshlrev_b32_e32 v12, 2, v0
	v_addc_co_u32_e32 v7, vcc, v2, v7, vcc
	v_mov_b32_e32 v2, v3
	v_mov_b32_e32 v8, v3
	v_mov_b32_e32 v9, v3
.LBB479_2:                              ; =>This Inner Loop Header: Depth=1
	flat_load_dword v14, v[4:5]
	v_add_co_u32_e32 v4, vcc, 32, v4
	v_addc_co_u32_e32 v5, vcc, 0, v5, vcc
	s_add_i32 s9, s9, 8
	s_cmp_ge_i32 s9, s3
	s_waitcnt vmcnt(0) lgkmcnt(0)
	ds_write_b32 v10, v14
	flat_load_dword v14, v[6:7]
	v_add_co_u32_e32 v6, vcc, 32, v6
	v_addc_co_u32_e32 v7, vcc, 0, v7, vcc
	s_waitcnt vmcnt(0) lgkmcnt(0)
	ds_write_b32 v11, v14
	s_waitcnt lgkmcnt(0)
	s_barrier
	ds_read2_b32 v[26:27], v12 offset1:16
	ds_read_b128 v[14:17], v13
	ds_read2_b32 v[28:29], v12 offset0:32 offset1:48
	ds_read2_b32 v[30:31], v12 offset0:64 offset1:80
	ds_read_b128 v[18:21], v13 offset:16
	ds_read2_b32 v[32:33], v12 offset0:96 offset1:112
	s_waitcnt lgkmcnt(4)
	v_fmac_f32_e32 v9, v26, v14
	v_fmac_f32_e32 v8, v27, v14
	s_waitcnt lgkmcnt(3)
	v_fmac_f32_e32 v9, v28, v15
	v_fmac_f32_e32 v8, v29, v15
	;; [unrolled: 3-line block ×4, first 2 shown]
	ds_read_b128 v[14:17], v13 offset:512
	ds_read_b128 v[22:25], v13 offset:528
	s_waitcnt lgkmcnt(1)
	v_fmac_f32_e32 v2, v26, v14
	v_fmac_f32_e32 v3, v27, v14
	;; [unrolled: 1-line block ×8, first 2 shown]
	ds_read2_b32 v[14:15], v12 offset0:128 offset1:144
	ds_read2_b32 v[16:17], v12 offset0:160 offset1:176
	;; [unrolled: 1-line block ×3, first 2 shown]
	s_waitcnt lgkmcnt(2)
	v_fmac_f32_e32 v9, v14, v18
	v_fmac_f32_e32 v8, v15, v18
	;; [unrolled: 1-line block ×4, first 2 shown]
	ds_read2_b32 v[14:15], v12 offset0:224 offset1:240
	s_waitcnt lgkmcnt(2)
	v_fmac_f32_e32 v9, v16, v19
	v_fmac_f32_e32 v8, v17, v19
	v_fmac_f32_e32 v2, v16, v23
	v_fmac_f32_e32 v3, v17, v23
	s_waitcnt lgkmcnt(1)
	v_fmac_f32_e32 v9, v26, v20
	v_fmac_f32_e32 v8, v27, v20
	v_fmac_f32_e32 v2, v26, v24
	v_fmac_f32_e32 v3, v27, v24
	;; [unrolled: 5-line block ×3, first 2 shown]
	s_barrier
	s_cbranch_scc0 .LBB479_2
	s_branch .LBB479_4
.LBB479_3:
	v_mov_b32_e32 v9, 0
	v_mov_b32_e32 v8, 0
	;; [unrolled: 1-line block ×4, first 2 shown]
.LBB479_4:
	s_load_dword s3, s[4:5], 0x40
	v_add_u32_e32 v6, s7, v1
	s_waitcnt lgkmcnt(0)
	v_mov_b32_e32 v1, s11
	v_add_u32_e32 v0, s6, v0
	v_cmp_gt_i32_e32 vcc, s2, v6
	v_mad_i64_i32 v[4:5], s[0:1], v6, s3, 0
	v_lshlrev_b64 v[4:5], 2, v[4:5]
	v_add_co_u32_e64 v7, s[0:1], s10, v4
	v_addc_co_u32_e64 v10, s[0:1], v1, v5, s[0:1]
	v_cmp_le_i32_e64 s[0:1], v0, v6
	s_and_b64 s[0:1], vcc, s[0:1]
	s_and_saveexec_b64 s[4:5], s[0:1]
	s_cbranch_execz .LBB479_6
; %bb.5:
	v_ashrrev_i32_e32 v1, 31, v0
	v_lshlrev_b64 v[4:5], 2, v[0:1]
	v_add_co_u32_e64 v4, s[0:1], v7, v4
	v_addc_co_u32_e64 v5, s[0:1], v10, v5, s[0:1]
	flat_store_dword v[4:5], v9
.LBB479_6:
	s_or_b64 exec, exec, s[4:5]
	v_add_u32_e32 v4, 16, v0
	v_cmp_le_i32_e64 s[0:1], v4, v6
	s_and_b64 s[4:5], vcc, s[0:1]
	s_and_saveexec_b64 s[0:1], s[4:5]
	s_cbranch_execz .LBB479_8
; %bb.7:
	v_ashrrev_i32_e32 v5, 31, v4
	v_lshlrev_b64 v[11:12], 2, v[4:5]
	v_add_co_u32_e32 v9, vcc, v7, v11
	v_addc_co_u32_e32 v10, vcc, v10, v12, vcc
	flat_store_dword v[9:10], v8
.LBB479_8:
	s_or_b64 exec, exec, s[0:1]
	v_add_u32_e32 v5, 16, v6
	v_mad_i64_i32 v[6:7], s[0:1], v5, s3, 0
	v_mov_b32_e32 v1, s11
	v_cmp_gt_i32_e32 vcc, s2, v5
	v_lshlrev_b64 v[6:7], 2, v[6:7]
	v_add_co_u32_e64 v6, s[0:1], s10, v6
	v_addc_co_u32_e64 v7, s[0:1], v1, v7, s[0:1]
	v_cmp_le_i32_e64 s[0:1], v0, v5
	s_and_b64 s[0:1], vcc, s[0:1]
	s_and_saveexec_b64 s[2:3], s[0:1]
	s_cbranch_execz .LBB479_10
; %bb.9:
	v_ashrrev_i32_e32 v1, 31, v0
	v_lshlrev_b64 v[0:1], 2, v[0:1]
	v_add_co_u32_e64 v0, s[0:1], v6, v0
	v_addc_co_u32_e64 v1, s[0:1], v7, v1, s[0:1]
	flat_store_dword v[0:1], v2
.LBB479_10:
	s_or_b64 exec, exec, s[2:3]
	v_cmp_le_i32_e64 s[0:1], v4, v5
	s_and_b64 s[0:1], vcc, s[0:1]
	s_and_saveexec_b64 s[2:3], s[0:1]
	s_cbranch_execz .LBB479_12
; %bb.11:
	v_ashrrev_i32_e32 v5, 31, v4
	v_lshlrev_b64 v[0:1], 2, v[4:5]
	v_add_co_u32_e32 v0, vcc, v6, v0
	v_addc_co_u32_e32 v1, vcc, v7, v1, vcc
	flat_store_dword v[0:1], v3
.LBB479_12:
	s_endpgm
	.section	.rodata,"a",@progbits
	.p2align	6, 0x0
	.amdhsa_kernel _ZL37rocblas_syrkx_herkx_restricted_kernelIifLi16ELi32ELi8ELi1ELi0ELb0ELc84ELc85EKPKfKPfEviT_PT9_S5_lS7_S5_lPT10_S5_li
		.amdhsa_group_segment_fixed_size 2048
		.amdhsa_private_segment_fixed_size 0
		.amdhsa_kernarg_size 84
		.amdhsa_user_sgpr_count 6
		.amdhsa_user_sgpr_private_segment_buffer 1
		.amdhsa_user_sgpr_dispatch_ptr 0
		.amdhsa_user_sgpr_queue_ptr 0
		.amdhsa_user_sgpr_kernarg_segment_ptr 1
		.amdhsa_user_sgpr_dispatch_id 0
		.amdhsa_user_sgpr_flat_scratch_init 0
		.amdhsa_user_sgpr_private_segment_size 0
		.amdhsa_uses_dynamic_stack 0
		.amdhsa_system_sgpr_private_segment_wavefront_offset 0
		.amdhsa_system_sgpr_workgroup_id_x 1
		.amdhsa_system_sgpr_workgroup_id_y 1
		.amdhsa_system_sgpr_workgroup_id_z 1
		.amdhsa_system_sgpr_workgroup_info 0
		.amdhsa_system_vgpr_workitem_id 1
		.amdhsa_next_free_vgpr 34
		.amdhsa_next_free_sgpr 17
		.amdhsa_reserve_vcc 1
		.amdhsa_reserve_flat_scratch 0
		.amdhsa_float_round_mode_32 0
		.amdhsa_float_round_mode_16_64 0
		.amdhsa_float_denorm_mode_32 3
		.amdhsa_float_denorm_mode_16_64 3
		.amdhsa_dx10_clamp 1
		.amdhsa_ieee_mode 1
		.amdhsa_fp16_overflow 0
		.amdhsa_exception_fp_ieee_invalid_op 0
		.amdhsa_exception_fp_denorm_src 0
		.amdhsa_exception_fp_ieee_div_zero 0
		.amdhsa_exception_fp_ieee_overflow 0
		.amdhsa_exception_fp_ieee_underflow 0
		.amdhsa_exception_fp_ieee_inexact 0
		.amdhsa_exception_int_div_zero 0
	.end_amdhsa_kernel
	.section	.text._ZL37rocblas_syrkx_herkx_restricted_kernelIifLi16ELi32ELi8ELi1ELi0ELb0ELc84ELc85EKPKfKPfEviT_PT9_S5_lS7_S5_lPT10_S5_li,"axG",@progbits,_ZL37rocblas_syrkx_herkx_restricted_kernelIifLi16ELi32ELi8ELi1ELi0ELb0ELc84ELc85EKPKfKPfEviT_PT9_S5_lS7_S5_lPT10_S5_li,comdat
.Lfunc_end479:
	.size	_ZL37rocblas_syrkx_herkx_restricted_kernelIifLi16ELi32ELi8ELi1ELi0ELb0ELc84ELc85EKPKfKPfEviT_PT9_S5_lS7_S5_lPT10_S5_li, .Lfunc_end479-_ZL37rocblas_syrkx_herkx_restricted_kernelIifLi16ELi32ELi8ELi1ELi0ELb0ELc84ELc85EKPKfKPfEviT_PT9_S5_lS7_S5_lPT10_S5_li
                                        ; -- End function
	.set _ZL37rocblas_syrkx_herkx_restricted_kernelIifLi16ELi32ELi8ELi1ELi0ELb0ELc84ELc85EKPKfKPfEviT_PT9_S5_lS7_S5_lPT10_S5_li.num_vgpr, 34
	.set _ZL37rocblas_syrkx_herkx_restricted_kernelIifLi16ELi32ELi8ELi1ELi0ELb0ELc84ELc85EKPKfKPfEviT_PT9_S5_lS7_S5_lPT10_S5_li.num_agpr, 0
	.set _ZL37rocblas_syrkx_herkx_restricted_kernelIifLi16ELi32ELi8ELi1ELi0ELb0ELc84ELc85EKPKfKPfEviT_PT9_S5_lS7_S5_lPT10_S5_li.numbered_sgpr, 17
	.set _ZL37rocblas_syrkx_herkx_restricted_kernelIifLi16ELi32ELi8ELi1ELi0ELb0ELc84ELc85EKPKfKPfEviT_PT9_S5_lS7_S5_lPT10_S5_li.num_named_barrier, 0
	.set _ZL37rocblas_syrkx_herkx_restricted_kernelIifLi16ELi32ELi8ELi1ELi0ELb0ELc84ELc85EKPKfKPfEviT_PT9_S5_lS7_S5_lPT10_S5_li.private_seg_size, 0
	.set _ZL37rocblas_syrkx_herkx_restricted_kernelIifLi16ELi32ELi8ELi1ELi0ELb0ELc84ELc85EKPKfKPfEviT_PT9_S5_lS7_S5_lPT10_S5_li.uses_vcc, 1
	.set _ZL37rocblas_syrkx_herkx_restricted_kernelIifLi16ELi32ELi8ELi1ELi0ELb0ELc84ELc85EKPKfKPfEviT_PT9_S5_lS7_S5_lPT10_S5_li.uses_flat_scratch, 0
	.set _ZL37rocblas_syrkx_herkx_restricted_kernelIifLi16ELi32ELi8ELi1ELi0ELb0ELc84ELc85EKPKfKPfEviT_PT9_S5_lS7_S5_lPT10_S5_li.has_dyn_sized_stack, 0
	.set _ZL37rocblas_syrkx_herkx_restricted_kernelIifLi16ELi32ELi8ELi1ELi0ELb0ELc84ELc85EKPKfKPfEviT_PT9_S5_lS7_S5_lPT10_S5_li.has_recursion, 0
	.set _ZL37rocblas_syrkx_herkx_restricted_kernelIifLi16ELi32ELi8ELi1ELi0ELb0ELc84ELc85EKPKfKPfEviT_PT9_S5_lS7_S5_lPT10_S5_li.has_indirect_call, 0
	.section	.AMDGPU.csdata,"",@progbits
; Kernel info:
; codeLenInByte = 984
; TotalNumSgprs: 21
; NumVgprs: 34
; ScratchSize: 0
; MemoryBound: 0
; FloatMode: 240
; IeeeMode: 1
; LDSByteSize: 2048 bytes/workgroup (compile time only)
; SGPRBlocks: 2
; VGPRBlocks: 8
; NumSGPRsForWavesPerEU: 21
; NumVGPRsForWavesPerEU: 34
; Occupancy: 7
; WaveLimiterHint : 1
; COMPUTE_PGM_RSRC2:SCRATCH_EN: 0
; COMPUTE_PGM_RSRC2:USER_SGPR: 6
; COMPUTE_PGM_RSRC2:TRAP_HANDLER: 0
; COMPUTE_PGM_RSRC2:TGID_X_EN: 1
; COMPUTE_PGM_RSRC2:TGID_Y_EN: 1
; COMPUTE_PGM_RSRC2:TGID_Z_EN: 1
; COMPUTE_PGM_RSRC2:TIDIG_COMP_CNT: 1
	.section	.text._ZL37rocblas_syrkx_herkx_restricted_kernelIifLi16ELi32ELi8ELi1ELi0ELb0ELc67ELc85EKPKfKPfEviT_PT9_S5_lS7_S5_lPT10_S5_li,"axG",@progbits,_ZL37rocblas_syrkx_herkx_restricted_kernelIifLi16ELi32ELi8ELi1ELi0ELb0ELc67ELc85EKPKfKPfEviT_PT9_S5_lS7_S5_lPT10_S5_li,comdat
	.globl	_ZL37rocblas_syrkx_herkx_restricted_kernelIifLi16ELi32ELi8ELi1ELi0ELb0ELc67ELc85EKPKfKPfEviT_PT9_S5_lS7_S5_lPT10_S5_li ; -- Begin function _ZL37rocblas_syrkx_herkx_restricted_kernelIifLi16ELi32ELi8ELi1ELi0ELb0ELc67ELc85EKPKfKPfEviT_PT9_S5_lS7_S5_lPT10_S5_li
	.p2align	8
	.type	_ZL37rocblas_syrkx_herkx_restricted_kernelIifLi16ELi32ELi8ELi1ELi0ELb0ELc67ELc85EKPKfKPfEviT_PT9_S5_lS7_S5_lPT10_S5_li,@function
_ZL37rocblas_syrkx_herkx_restricted_kernelIifLi16ELi32ELi8ELi1ELi0ELb0ELc67ELc85EKPKfKPfEviT_PT9_S5_lS7_S5_lPT10_S5_li: ; @_ZL37rocblas_syrkx_herkx_restricted_kernelIifLi16ELi32ELi8ELi1ELi0ELb0ELc67ELc85EKPKfKPfEviT_PT9_S5_lS7_S5_lPT10_S5_li
; %bb.0:
	s_load_dwordx2 s[10:11], s[4:5], 0x38
	s_load_dwordx2 s[2:3], s[4:5], 0x0
	s_mov_b32 s9, 0
	s_lshl_b64 s[0:1], s[8:9], 3
	s_waitcnt lgkmcnt(0)
	s_add_u32 s10, s10, s0
	s_addc_u32 s11, s11, s1
	s_load_dwordx2 s[10:11], s[10:11], 0x0
	s_lshl_b32 s6, s6, 5
	s_lshl_b32 s7, s7, 5
	s_cmp_lt_i32 s3, 1
	s_cbranch_scc1 .LBB480_3
; %bb.1:
	s_load_dwordx2 s[12:13], s[4:5], 0x8
	s_load_dword s8, s[4:5], 0x10
	s_load_dwordx2 s[14:15], s[4:5], 0x20
	s_load_dword s16, s[4:5], 0x28
	v_lshl_add_u32 v4, v1, 4, v0
	s_waitcnt lgkmcnt(0)
	s_add_u32 s12, s12, s0
	s_addc_u32 s13, s13, s1
	v_lshrrev_b32_e32 v8, 3, v4
	s_add_u32 s0, s14, s0
	v_add_u32_e32 v5, s7, v8
	v_and_b32_e32 v2, 7, v0
	v_mov_b32_e32 v3, 0
	s_addc_u32 s1, s15, s1
	v_mad_i64_i32 v[6:7], s[14:15], s16, v5, v[2:3]
	v_lshlrev_b32_e32 v2, 2, v2
	v_and_b32_e32 v9, 31, v4
	v_lshl_or_b32 v2, v8, 5, v2
	v_lshrrev_b32_e32 v4, 5, v4
	v_mov_b32_e32 v5, v3
	v_lshlrev_b32_e32 v10, 2, v9
	v_add_u32_e32 v11, 0x400, v2
	v_add_u32_e32 v2, s6, v9
	v_lshl_or_b32 v10, v4, 7, v10
	v_mad_i64_i32 v[4:5], s[14:15], s8, v2, v[4:5]
	s_load_dwordx2 s[12:13], s[12:13], 0x0
	v_mov_b32_e32 v2, 0x400
	s_load_dwordx2 s[0:1], s[0:1], 0x0
	v_lshlrev_b64 v[4:5], 2, v[4:5]
	v_lshl_add_u32 v13, v1, 5, v2
	s_waitcnt lgkmcnt(0)
	v_mov_b32_e32 v2, s13
	v_add_co_u32_e32 v4, vcc, s12, v4
	v_lshlrev_b64 v[6:7], 2, v[6:7]
	v_addc_co_u32_e32 v5, vcc, v2, v5, vcc
	v_mov_b32_e32 v2, s1
	v_add_co_u32_e32 v6, vcc, s0, v6
	v_lshlrev_b32_e32 v12, 2, v0
	v_addc_co_u32_e32 v7, vcc, v2, v7, vcc
	v_mov_b32_e32 v2, v3
	v_mov_b32_e32 v8, v3
	;; [unrolled: 1-line block ×3, first 2 shown]
.LBB480_2:                              ; =>This Inner Loop Header: Depth=1
	flat_load_dword v14, v[4:5]
	v_add_co_u32_e32 v4, vcc, 32, v4
	v_addc_co_u32_e32 v5, vcc, 0, v5, vcc
	s_add_i32 s9, s9, 8
	s_cmp_ge_i32 s9, s3
	s_waitcnt vmcnt(0) lgkmcnt(0)
	ds_write_b32 v10, v14
	flat_load_dword v14, v[6:7]
	v_add_co_u32_e32 v6, vcc, 32, v6
	v_addc_co_u32_e32 v7, vcc, 0, v7, vcc
	s_waitcnt vmcnt(0) lgkmcnt(0)
	ds_write_b32 v11, v14
	s_waitcnt lgkmcnt(0)
	s_barrier
	ds_read2_b32 v[26:27], v12 offset1:16
	ds_read_b128 v[14:17], v13
	ds_read2_b32 v[28:29], v12 offset0:32 offset1:48
	ds_read2_b32 v[30:31], v12 offset0:64 offset1:80
	ds_read_b128 v[18:21], v13 offset:16
	ds_read2_b32 v[32:33], v12 offset0:96 offset1:112
	s_waitcnt lgkmcnt(4)
	v_fmac_f32_e32 v9, v26, v14
	v_fmac_f32_e32 v8, v27, v14
	s_waitcnt lgkmcnt(3)
	v_fmac_f32_e32 v9, v28, v15
	v_fmac_f32_e32 v8, v29, v15
	;; [unrolled: 3-line block ×4, first 2 shown]
	ds_read_b128 v[14:17], v13 offset:512
	ds_read_b128 v[22:25], v13 offset:528
	s_waitcnt lgkmcnt(1)
	v_fmac_f32_e32 v2, v26, v14
	v_fmac_f32_e32 v3, v27, v14
	;; [unrolled: 1-line block ×8, first 2 shown]
	ds_read2_b32 v[14:15], v12 offset0:128 offset1:144
	ds_read2_b32 v[16:17], v12 offset0:160 offset1:176
	;; [unrolled: 1-line block ×3, first 2 shown]
	s_waitcnt lgkmcnt(2)
	v_fmac_f32_e32 v9, v14, v18
	v_fmac_f32_e32 v8, v15, v18
	;; [unrolled: 1-line block ×4, first 2 shown]
	ds_read2_b32 v[14:15], v12 offset0:224 offset1:240
	s_waitcnt lgkmcnt(2)
	v_fmac_f32_e32 v9, v16, v19
	v_fmac_f32_e32 v8, v17, v19
	v_fmac_f32_e32 v2, v16, v23
	v_fmac_f32_e32 v3, v17, v23
	s_waitcnt lgkmcnt(1)
	v_fmac_f32_e32 v9, v26, v20
	v_fmac_f32_e32 v8, v27, v20
	v_fmac_f32_e32 v2, v26, v24
	v_fmac_f32_e32 v3, v27, v24
	;; [unrolled: 5-line block ×3, first 2 shown]
	s_barrier
	s_cbranch_scc0 .LBB480_2
	s_branch .LBB480_4
.LBB480_3:
	v_mov_b32_e32 v9, 0
	v_mov_b32_e32 v8, 0
	;; [unrolled: 1-line block ×4, first 2 shown]
.LBB480_4:
	s_load_dword s3, s[4:5], 0x40
	v_add_u32_e32 v6, s7, v1
	s_waitcnt lgkmcnt(0)
	v_mov_b32_e32 v1, s11
	v_add_u32_e32 v0, s6, v0
	v_cmp_gt_i32_e32 vcc, s2, v6
	v_mad_i64_i32 v[4:5], s[0:1], v6, s3, 0
	v_lshlrev_b64 v[4:5], 2, v[4:5]
	v_add_co_u32_e64 v7, s[0:1], s10, v4
	v_addc_co_u32_e64 v10, s[0:1], v1, v5, s[0:1]
	v_cmp_le_i32_e64 s[0:1], v0, v6
	s_and_b64 s[0:1], vcc, s[0:1]
	s_and_saveexec_b64 s[4:5], s[0:1]
	s_cbranch_execz .LBB480_6
; %bb.5:
	v_ashrrev_i32_e32 v1, 31, v0
	v_lshlrev_b64 v[4:5], 2, v[0:1]
	v_add_co_u32_e64 v4, s[0:1], v7, v4
	v_addc_co_u32_e64 v5, s[0:1], v10, v5, s[0:1]
	flat_store_dword v[4:5], v9
.LBB480_6:
	s_or_b64 exec, exec, s[4:5]
	v_add_u32_e32 v4, 16, v0
	v_cmp_le_i32_e64 s[0:1], v4, v6
	s_and_b64 s[4:5], vcc, s[0:1]
	s_and_saveexec_b64 s[0:1], s[4:5]
	s_cbranch_execz .LBB480_8
; %bb.7:
	v_ashrrev_i32_e32 v5, 31, v4
	v_lshlrev_b64 v[11:12], 2, v[4:5]
	v_add_co_u32_e32 v9, vcc, v7, v11
	v_addc_co_u32_e32 v10, vcc, v10, v12, vcc
	flat_store_dword v[9:10], v8
.LBB480_8:
	s_or_b64 exec, exec, s[0:1]
	v_add_u32_e32 v5, 16, v6
	v_mad_i64_i32 v[6:7], s[0:1], v5, s3, 0
	v_mov_b32_e32 v1, s11
	v_cmp_gt_i32_e32 vcc, s2, v5
	v_lshlrev_b64 v[6:7], 2, v[6:7]
	v_add_co_u32_e64 v6, s[0:1], s10, v6
	v_addc_co_u32_e64 v7, s[0:1], v1, v7, s[0:1]
	v_cmp_le_i32_e64 s[0:1], v0, v5
	s_and_b64 s[0:1], vcc, s[0:1]
	s_and_saveexec_b64 s[2:3], s[0:1]
	s_cbranch_execz .LBB480_10
; %bb.9:
	v_ashrrev_i32_e32 v1, 31, v0
	v_lshlrev_b64 v[0:1], 2, v[0:1]
	v_add_co_u32_e64 v0, s[0:1], v6, v0
	v_addc_co_u32_e64 v1, s[0:1], v7, v1, s[0:1]
	flat_store_dword v[0:1], v2
.LBB480_10:
	s_or_b64 exec, exec, s[2:3]
	v_cmp_le_i32_e64 s[0:1], v4, v5
	s_and_b64 s[0:1], vcc, s[0:1]
	s_and_saveexec_b64 s[2:3], s[0:1]
	s_cbranch_execz .LBB480_12
; %bb.11:
	v_ashrrev_i32_e32 v5, 31, v4
	v_lshlrev_b64 v[0:1], 2, v[4:5]
	v_add_co_u32_e32 v0, vcc, v6, v0
	v_addc_co_u32_e32 v1, vcc, v7, v1, vcc
	flat_store_dword v[0:1], v3
.LBB480_12:
	s_endpgm
	.section	.rodata,"a",@progbits
	.p2align	6, 0x0
	.amdhsa_kernel _ZL37rocblas_syrkx_herkx_restricted_kernelIifLi16ELi32ELi8ELi1ELi0ELb0ELc67ELc85EKPKfKPfEviT_PT9_S5_lS7_S5_lPT10_S5_li
		.amdhsa_group_segment_fixed_size 2048
		.amdhsa_private_segment_fixed_size 0
		.amdhsa_kernarg_size 84
		.amdhsa_user_sgpr_count 6
		.amdhsa_user_sgpr_private_segment_buffer 1
		.amdhsa_user_sgpr_dispatch_ptr 0
		.amdhsa_user_sgpr_queue_ptr 0
		.amdhsa_user_sgpr_kernarg_segment_ptr 1
		.amdhsa_user_sgpr_dispatch_id 0
		.amdhsa_user_sgpr_flat_scratch_init 0
		.amdhsa_user_sgpr_private_segment_size 0
		.amdhsa_uses_dynamic_stack 0
		.amdhsa_system_sgpr_private_segment_wavefront_offset 0
		.amdhsa_system_sgpr_workgroup_id_x 1
		.amdhsa_system_sgpr_workgroup_id_y 1
		.amdhsa_system_sgpr_workgroup_id_z 1
		.amdhsa_system_sgpr_workgroup_info 0
		.amdhsa_system_vgpr_workitem_id 1
		.amdhsa_next_free_vgpr 34
		.amdhsa_next_free_sgpr 17
		.amdhsa_reserve_vcc 1
		.amdhsa_reserve_flat_scratch 0
		.amdhsa_float_round_mode_32 0
		.amdhsa_float_round_mode_16_64 0
		.amdhsa_float_denorm_mode_32 3
		.amdhsa_float_denorm_mode_16_64 3
		.amdhsa_dx10_clamp 1
		.amdhsa_ieee_mode 1
		.amdhsa_fp16_overflow 0
		.amdhsa_exception_fp_ieee_invalid_op 0
		.amdhsa_exception_fp_denorm_src 0
		.amdhsa_exception_fp_ieee_div_zero 0
		.amdhsa_exception_fp_ieee_overflow 0
		.amdhsa_exception_fp_ieee_underflow 0
		.amdhsa_exception_fp_ieee_inexact 0
		.amdhsa_exception_int_div_zero 0
	.end_amdhsa_kernel
	.section	.text._ZL37rocblas_syrkx_herkx_restricted_kernelIifLi16ELi32ELi8ELi1ELi0ELb0ELc67ELc85EKPKfKPfEviT_PT9_S5_lS7_S5_lPT10_S5_li,"axG",@progbits,_ZL37rocblas_syrkx_herkx_restricted_kernelIifLi16ELi32ELi8ELi1ELi0ELb0ELc67ELc85EKPKfKPfEviT_PT9_S5_lS7_S5_lPT10_S5_li,comdat
.Lfunc_end480:
	.size	_ZL37rocblas_syrkx_herkx_restricted_kernelIifLi16ELi32ELi8ELi1ELi0ELb0ELc67ELc85EKPKfKPfEviT_PT9_S5_lS7_S5_lPT10_S5_li, .Lfunc_end480-_ZL37rocblas_syrkx_herkx_restricted_kernelIifLi16ELi32ELi8ELi1ELi0ELb0ELc67ELc85EKPKfKPfEviT_PT9_S5_lS7_S5_lPT10_S5_li
                                        ; -- End function
	.set _ZL37rocblas_syrkx_herkx_restricted_kernelIifLi16ELi32ELi8ELi1ELi0ELb0ELc67ELc85EKPKfKPfEviT_PT9_S5_lS7_S5_lPT10_S5_li.num_vgpr, 34
	.set _ZL37rocblas_syrkx_herkx_restricted_kernelIifLi16ELi32ELi8ELi1ELi0ELb0ELc67ELc85EKPKfKPfEviT_PT9_S5_lS7_S5_lPT10_S5_li.num_agpr, 0
	.set _ZL37rocblas_syrkx_herkx_restricted_kernelIifLi16ELi32ELi8ELi1ELi0ELb0ELc67ELc85EKPKfKPfEviT_PT9_S5_lS7_S5_lPT10_S5_li.numbered_sgpr, 17
	.set _ZL37rocblas_syrkx_herkx_restricted_kernelIifLi16ELi32ELi8ELi1ELi0ELb0ELc67ELc85EKPKfKPfEviT_PT9_S5_lS7_S5_lPT10_S5_li.num_named_barrier, 0
	.set _ZL37rocblas_syrkx_herkx_restricted_kernelIifLi16ELi32ELi8ELi1ELi0ELb0ELc67ELc85EKPKfKPfEviT_PT9_S5_lS7_S5_lPT10_S5_li.private_seg_size, 0
	.set _ZL37rocblas_syrkx_herkx_restricted_kernelIifLi16ELi32ELi8ELi1ELi0ELb0ELc67ELc85EKPKfKPfEviT_PT9_S5_lS7_S5_lPT10_S5_li.uses_vcc, 1
	.set _ZL37rocblas_syrkx_herkx_restricted_kernelIifLi16ELi32ELi8ELi1ELi0ELb0ELc67ELc85EKPKfKPfEviT_PT9_S5_lS7_S5_lPT10_S5_li.uses_flat_scratch, 0
	.set _ZL37rocblas_syrkx_herkx_restricted_kernelIifLi16ELi32ELi8ELi1ELi0ELb0ELc67ELc85EKPKfKPfEviT_PT9_S5_lS7_S5_lPT10_S5_li.has_dyn_sized_stack, 0
	.set _ZL37rocblas_syrkx_herkx_restricted_kernelIifLi16ELi32ELi8ELi1ELi0ELb0ELc67ELc85EKPKfKPfEviT_PT9_S5_lS7_S5_lPT10_S5_li.has_recursion, 0
	.set _ZL37rocblas_syrkx_herkx_restricted_kernelIifLi16ELi32ELi8ELi1ELi0ELb0ELc67ELc85EKPKfKPfEviT_PT9_S5_lS7_S5_lPT10_S5_li.has_indirect_call, 0
	.section	.AMDGPU.csdata,"",@progbits
; Kernel info:
; codeLenInByte = 984
; TotalNumSgprs: 21
; NumVgprs: 34
; ScratchSize: 0
; MemoryBound: 0
; FloatMode: 240
; IeeeMode: 1
; LDSByteSize: 2048 bytes/workgroup (compile time only)
; SGPRBlocks: 2
; VGPRBlocks: 8
; NumSGPRsForWavesPerEU: 21
; NumVGPRsForWavesPerEU: 34
; Occupancy: 7
; WaveLimiterHint : 1
; COMPUTE_PGM_RSRC2:SCRATCH_EN: 0
; COMPUTE_PGM_RSRC2:USER_SGPR: 6
; COMPUTE_PGM_RSRC2:TRAP_HANDLER: 0
; COMPUTE_PGM_RSRC2:TGID_X_EN: 1
; COMPUTE_PGM_RSRC2:TGID_Y_EN: 1
; COMPUTE_PGM_RSRC2:TGID_Z_EN: 1
; COMPUTE_PGM_RSRC2:TIDIG_COMP_CNT: 1
	.section	.text._ZL37rocblas_syrkx_herkx_restricted_kernelIifLi16ELi32ELi8ELi1ELi0ELb0ELc78ELc85EKPKfKPfEviT_PT9_S5_lS7_S5_lPT10_S5_li,"axG",@progbits,_ZL37rocblas_syrkx_herkx_restricted_kernelIifLi16ELi32ELi8ELi1ELi0ELb0ELc78ELc85EKPKfKPfEviT_PT9_S5_lS7_S5_lPT10_S5_li,comdat
	.globl	_ZL37rocblas_syrkx_herkx_restricted_kernelIifLi16ELi32ELi8ELi1ELi0ELb0ELc78ELc85EKPKfKPfEviT_PT9_S5_lS7_S5_lPT10_S5_li ; -- Begin function _ZL37rocblas_syrkx_herkx_restricted_kernelIifLi16ELi32ELi8ELi1ELi0ELb0ELc78ELc85EKPKfKPfEviT_PT9_S5_lS7_S5_lPT10_S5_li
	.p2align	8
	.type	_ZL37rocblas_syrkx_herkx_restricted_kernelIifLi16ELi32ELi8ELi1ELi0ELb0ELc78ELc85EKPKfKPfEviT_PT9_S5_lS7_S5_lPT10_S5_li,@function
_ZL37rocblas_syrkx_herkx_restricted_kernelIifLi16ELi32ELi8ELi1ELi0ELb0ELc78ELc85EKPKfKPfEviT_PT9_S5_lS7_S5_lPT10_S5_li: ; @_ZL37rocblas_syrkx_herkx_restricted_kernelIifLi16ELi32ELi8ELi1ELi0ELb0ELc78ELc85EKPKfKPfEviT_PT9_S5_lS7_S5_lPT10_S5_li
; %bb.0:
	s_load_dwordx2 s[10:11], s[4:5], 0x38
	s_load_dwordx2 s[2:3], s[4:5], 0x0
	s_mov_b32 s9, 0
	s_lshl_b64 s[0:1], s[8:9], 3
	s_waitcnt lgkmcnt(0)
	s_add_u32 s10, s10, s0
	s_addc_u32 s11, s11, s1
	s_load_dwordx2 s[10:11], s[10:11], 0x0
	s_lshl_b32 s8, s6, 5
	s_lshl_b32 s12, s7, 5
	s_cmp_lt_i32 s3, 1
	s_cbranch_scc1 .LBB481_3
; %bb.1:
	s_load_dword s6, s[4:5], 0x10
	s_load_dword s14, s[4:5], 0x28
	s_load_dwordx2 s[16:17], s[4:5], 0x8
	s_load_dwordx2 s[18:19], s[4:5], 0x20
	v_lshl_add_u32 v7, v1, 4, v0
	s_waitcnt lgkmcnt(0)
	s_ashr_i32 s7, s6, 31
	s_ashr_i32 s15, s14, 31
	s_add_u32 s16, s16, s0
	s_addc_u32 s17, s17, s1
	v_lshrrev_b32_e32 v8, 3, v7
	s_add_u32 s0, s18, s0
	v_add_u32_e32 v2, s12, v8
	s_addc_u32 s1, s19, s1
	v_and_b32_e32 v6, 7, v0
	v_ashrrev_i32_e32 v3, 31, v2
	s_load_dwordx2 s[18:19], s[0:1], 0x0
	v_mad_i64_i32 v[4:5], s[0:1], s14, v6, v[2:3]
	v_and_b32_e32 v2, 31, v7
	v_lshrrev_b32_e32 v9, 5, v7
	v_lshlrev_b32_e32 v3, 2, v2
	v_lshl_or_b32 v10, v9, 7, v3
	v_lshlrev_b32_e32 v3, 2, v6
	v_lshl_or_b32 v3, v8, 5, v3
	v_add_u32_e32 v2, s8, v2
	v_add_u32_e32 v11, 0x400, v3
	v_ashrrev_i32_e32 v3, 31, v2
	v_mad_i64_i32 v[2:3], s[0:1], s6, v9, v[2:3]
	s_load_dwordx2 s[16:17], s[16:17], 0x0
	v_mov_b32_e32 v6, 0x400
	v_lshlrev_b64 v[2:3], 2, v[2:3]
	v_lshl_add_u32 v13, v1, 5, v6
	v_lshlrev_b64 v[4:5], 2, v[4:5]
	s_waitcnt lgkmcnt(0)
	v_mov_b32_e32 v6, s17
	v_add_co_u32_e32 v2, vcc, s16, v2
	v_addc_co_u32_e32 v3, vcc, v6, v3, vcc
	s_lshl_b64 s[0:1], s[6:7], 5
	v_mov_b32_e32 v6, s19
	v_add_co_u32_e32 v4, vcc, s18, v4
	s_lshl_b64 s[6:7], s[14:15], 5
	v_lshlrev_b32_e32 v12, 2, v0
	v_addc_co_u32_e32 v5, vcc, v6, v5, vcc
	v_mov_b32_e32 v6, 0
	v_mov_b32_e32 v14, s1
	;; [unrolled: 1-line block ×6, first 2 shown]
.LBB481_2:                              ; =>This Inner Loop Header: Depth=1
	flat_load_dword v16, v[2:3]
	v_add_co_u32_e32 v2, vcc, s0, v2
	v_addc_co_u32_e32 v3, vcc, v3, v14, vcc
	s_add_i32 s9, s9, 8
	s_cmp_ge_i32 s9, s3
	s_waitcnt vmcnt(0) lgkmcnt(0)
	ds_write_b32 v10, v16
	flat_load_dword v16, v[4:5]
	v_add_co_u32_e32 v4, vcc, s6, v4
	v_addc_co_u32_e32 v5, vcc, v5, v15, vcc
	s_waitcnt vmcnt(0) lgkmcnt(0)
	ds_write_b32 v11, v16
	s_waitcnt lgkmcnt(0)
	s_barrier
	ds_read2_b32 v[28:29], v12 offset1:16
	ds_read_b128 v[16:19], v13
	ds_read2_b32 v[30:31], v12 offset0:32 offset1:48
	ds_read2_b32 v[32:33], v12 offset0:64 offset1:80
	ds_read_b128 v[20:23], v13 offset:16
	ds_read2_b32 v[34:35], v12 offset0:96 offset1:112
	s_waitcnt lgkmcnt(4)
	v_fmac_f32_e32 v9, v28, v16
	v_fmac_f32_e32 v8, v29, v16
	s_waitcnt lgkmcnt(3)
	v_fmac_f32_e32 v9, v30, v17
	v_fmac_f32_e32 v8, v31, v17
	;; [unrolled: 3-line block ×4, first 2 shown]
	ds_read_b128 v[16:19], v13 offset:512
	ds_read_b128 v[24:27], v13 offset:528
	s_waitcnt lgkmcnt(1)
	v_fmac_f32_e32 v7, v28, v16
	v_fmac_f32_e32 v6, v29, v16
	;; [unrolled: 1-line block ×8, first 2 shown]
	ds_read2_b32 v[16:17], v12 offset0:128 offset1:144
	ds_read2_b32 v[18:19], v12 offset0:160 offset1:176
	;; [unrolled: 1-line block ×3, first 2 shown]
	s_waitcnt lgkmcnt(2)
	v_fmac_f32_e32 v9, v16, v20
	v_fmac_f32_e32 v8, v17, v20
	;; [unrolled: 1-line block ×4, first 2 shown]
	ds_read2_b32 v[16:17], v12 offset0:224 offset1:240
	s_waitcnt lgkmcnt(2)
	v_fmac_f32_e32 v9, v18, v21
	v_fmac_f32_e32 v8, v19, v21
	v_fmac_f32_e32 v7, v18, v25
	v_fmac_f32_e32 v6, v19, v25
	s_waitcnt lgkmcnt(1)
	v_fmac_f32_e32 v9, v28, v22
	v_fmac_f32_e32 v8, v29, v22
	v_fmac_f32_e32 v7, v28, v26
	v_fmac_f32_e32 v6, v29, v26
	;; [unrolled: 5-line block ×3, first 2 shown]
	s_barrier
	s_cbranch_scc0 .LBB481_2
	s_branch .LBB481_4
.LBB481_3:
	v_mov_b32_e32 v9, 0
	v_mov_b32_e32 v8, 0
	;; [unrolled: 1-line block ×4, first 2 shown]
.LBB481_4:
	s_load_dword s3, s[4:5], 0x40
	v_add_u32_e32 v4, s12, v1
	s_waitcnt lgkmcnt(0)
	v_mov_b32_e32 v3, s11
	v_add_u32_e32 v0, s8, v0
	v_cmp_gt_i32_e32 vcc, s2, v4
	v_mad_i64_i32 v[1:2], s[0:1], v4, s3, 0
	v_lshlrev_b64 v[1:2], 2, v[1:2]
	v_add_co_u32_e64 v5, s[0:1], s10, v1
	v_addc_co_u32_e64 v10, s[0:1], v3, v2, s[0:1]
	v_cmp_le_i32_e64 s[0:1], v0, v4
	s_and_b64 s[0:1], vcc, s[0:1]
	s_and_saveexec_b64 s[4:5], s[0:1]
	s_cbranch_execz .LBB481_6
; %bb.5:
	v_ashrrev_i32_e32 v1, 31, v0
	v_lshlrev_b64 v[1:2], 2, v[0:1]
	v_add_co_u32_e64 v1, s[0:1], v5, v1
	v_addc_co_u32_e64 v2, s[0:1], v10, v2, s[0:1]
	flat_store_dword v[1:2], v9
.LBB481_6:
	s_or_b64 exec, exec, s[4:5]
	v_add_u32_e32 v2, 16, v0
	v_cmp_le_i32_e64 s[0:1], v2, v4
	s_and_b64 s[4:5], vcc, s[0:1]
	s_and_saveexec_b64 s[0:1], s[4:5]
	s_cbranch_execz .LBB481_8
; %bb.7:
	v_ashrrev_i32_e32 v3, 31, v2
	v_lshlrev_b64 v[11:12], 2, v[2:3]
	v_add_co_u32_e32 v9, vcc, v5, v11
	v_addc_co_u32_e32 v10, vcc, v10, v12, vcc
	flat_store_dword v[9:10], v8
.LBB481_8:
	s_or_b64 exec, exec, s[0:1]
	v_add_u32_e32 v3, 16, v4
	v_mad_i64_i32 v[4:5], s[0:1], v3, s3, 0
	v_mov_b32_e32 v1, s11
	v_cmp_gt_i32_e32 vcc, s2, v3
	v_lshlrev_b64 v[4:5], 2, v[4:5]
	v_add_co_u32_e64 v4, s[0:1], s10, v4
	v_addc_co_u32_e64 v5, s[0:1], v1, v5, s[0:1]
	v_cmp_le_i32_e64 s[0:1], v0, v3
	s_and_b64 s[0:1], vcc, s[0:1]
	s_and_saveexec_b64 s[2:3], s[0:1]
	s_cbranch_execz .LBB481_10
; %bb.9:
	v_ashrrev_i32_e32 v1, 31, v0
	v_lshlrev_b64 v[0:1], 2, v[0:1]
	v_add_co_u32_e64 v0, s[0:1], v4, v0
	v_addc_co_u32_e64 v1, s[0:1], v5, v1, s[0:1]
	flat_store_dword v[0:1], v7
.LBB481_10:
	s_or_b64 exec, exec, s[2:3]
	v_cmp_le_i32_e64 s[0:1], v2, v3
	s_and_b64 s[0:1], vcc, s[0:1]
	s_and_saveexec_b64 s[2:3], s[0:1]
	s_cbranch_execz .LBB481_12
; %bb.11:
	v_ashrrev_i32_e32 v3, 31, v2
	v_lshlrev_b64 v[0:1], 2, v[2:3]
	v_add_co_u32_e32 v0, vcc, v4, v0
	v_addc_co_u32_e32 v1, vcc, v5, v1, vcc
	flat_store_dword v[0:1], v6
.LBB481_12:
	s_endpgm
	.section	.rodata,"a",@progbits
	.p2align	6, 0x0
	.amdhsa_kernel _ZL37rocblas_syrkx_herkx_restricted_kernelIifLi16ELi32ELi8ELi1ELi0ELb0ELc78ELc85EKPKfKPfEviT_PT9_S5_lS7_S5_lPT10_S5_li
		.amdhsa_group_segment_fixed_size 2048
		.amdhsa_private_segment_fixed_size 0
		.amdhsa_kernarg_size 84
		.amdhsa_user_sgpr_count 6
		.amdhsa_user_sgpr_private_segment_buffer 1
		.amdhsa_user_sgpr_dispatch_ptr 0
		.amdhsa_user_sgpr_queue_ptr 0
		.amdhsa_user_sgpr_kernarg_segment_ptr 1
		.amdhsa_user_sgpr_dispatch_id 0
		.amdhsa_user_sgpr_flat_scratch_init 0
		.amdhsa_user_sgpr_private_segment_size 0
		.amdhsa_uses_dynamic_stack 0
		.amdhsa_system_sgpr_private_segment_wavefront_offset 0
		.amdhsa_system_sgpr_workgroup_id_x 1
		.amdhsa_system_sgpr_workgroup_id_y 1
		.amdhsa_system_sgpr_workgroup_id_z 1
		.amdhsa_system_sgpr_workgroup_info 0
		.amdhsa_system_vgpr_workitem_id 1
		.amdhsa_next_free_vgpr 36
		.amdhsa_next_free_sgpr 20
		.amdhsa_reserve_vcc 1
		.amdhsa_reserve_flat_scratch 0
		.amdhsa_float_round_mode_32 0
		.amdhsa_float_round_mode_16_64 0
		.amdhsa_float_denorm_mode_32 3
		.amdhsa_float_denorm_mode_16_64 3
		.amdhsa_dx10_clamp 1
		.amdhsa_ieee_mode 1
		.amdhsa_fp16_overflow 0
		.amdhsa_exception_fp_ieee_invalid_op 0
		.amdhsa_exception_fp_denorm_src 0
		.amdhsa_exception_fp_ieee_div_zero 0
		.amdhsa_exception_fp_ieee_overflow 0
		.amdhsa_exception_fp_ieee_underflow 0
		.amdhsa_exception_fp_ieee_inexact 0
		.amdhsa_exception_int_div_zero 0
	.end_amdhsa_kernel
	.section	.text._ZL37rocblas_syrkx_herkx_restricted_kernelIifLi16ELi32ELi8ELi1ELi0ELb0ELc78ELc85EKPKfKPfEviT_PT9_S5_lS7_S5_lPT10_S5_li,"axG",@progbits,_ZL37rocblas_syrkx_herkx_restricted_kernelIifLi16ELi32ELi8ELi1ELi0ELb0ELc78ELc85EKPKfKPfEviT_PT9_S5_lS7_S5_lPT10_S5_li,comdat
.Lfunc_end481:
	.size	_ZL37rocblas_syrkx_herkx_restricted_kernelIifLi16ELi32ELi8ELi1ELi0ELb0ELc78ELc85EKPKfKPfEviT_PT9_S5_lS7_S5_lPT10_S5_li, .Lfunc_end481-_ZL37rocblas_syrkx_herkx_restricted_kernelIifLi16ELi32ELi8ELi1ELi0ELb0ELc78ELc85EKPKfKPfEviT_PT9_S5_lS7_S5_lPT10_S5_li
                                        ; -- End function
	.set _ZL37rocblas_syrkx_herkx_restricted_kernelIifLi16ELi32ELi8ELi1ELi0ELb0ELc78ELc85EKPKfKPfEviT_PT9_S5_lS7_S5_lPT10_S5_li.num_vgpr, 36
	.set _ZL37rocblas_syrkx_herkx_restricted_kernelIifLi16ELi32ELi8ELi1ELi0ELb0ELc78ELc85EKPKfKPfEviT_PT9_S5_lS7_S5_lPT10_S5_li.num_agpr, 0
	.set _ZL37rocblas_syrkx_herkx_restricted_kernelIifLi16ELi32ELi8ELi1ELi0ELb0ELc78ELc85EKPKfKPfEviT_PT9_S5_lS7_S5_lPT10_S5_li.numbered_sgpr, 20
	.set _ZL37rocblas_syrkx_herkx_restricted_kernelIifLi16ELi32ELi8ELi1ELi0ELb0ELc78ELc85EKPKfKPfEviT_PT9_S5_lS7_S5_lPT10_S5_li.num_named_barrier, 0
	.set _ZL37rocblas_syrkx_herkx_restricted_kernelIifLi16ELi32ELi8ELi1ELi0ELb0ELc78ELc85EKPKfKPfEviT_PT9_S5_lS7_S5_lPT10_S5_li.private_seg_size, 0
	.set _ZL37rocblas_syrkx_herkx_restricted_kernelIifLi16ELi32ELi8ELi1ELi0ELb0ELc78ELc85EKPKfKPfEviT_PT9_S5_lS7_S5_lPT10_S5_li.uses_vcc, 1
	.set _ZL37rocblas_syrkx_herkx_restricted_kernelIifLi16ELi32ELi8ELi1ELi0ELb0ELc78ELc85EKPKfKPfEviT_PT9_S5_lS7_S5_lPT10_S5_li.uses_flat_scratch, 0
	.set _ZL37rocblas_syrkx_herkx_restricted_kernelIifLi16ELi32ELi8ELi1ELi0ELb0ELc78ELc85EKPKfKPfEviT_PT9_S5_lS7_S5_lPT10_S5_li.has_dyn_sized_stack, 0
	.set _ZL37rocblas_syrkx_herkx_restricted_kernelIifLi16ELi32ELi8ELi1ELi0ELb0ELc78ELc85EKPKfKPfEviT_PT9_S5_lS7_S5_lPT10_S5_li.has_recursion, 0
	.set _ZL37rocblas_syrkx_herkx_restricted_kernelIifLi16ELi32ELi8ELi1ELi0ELb0ELc78ELc85EKPKfKPfEviT_PT9_S5_lS7_S5_lPT10_S5_li.has_indirect_call, 0
	.section	.AMDGPU.csdata,"",@progbits
; Kernel info:
; codeLenInByte = 1012
; TotalNumSgprs: 24
; NumVgprs: 36
; ScratchSize: 0
; MemoryBound: 0
; FloatMode: 240
; IeeeMode: 1
; LDSByteSize: 2048 bytes/workgroup (compile time only)
; SGPRBlocks: 2
; VGPRBlocks: 8
; NumSGPRsForWavesPerEU: 24
; NumVGPRsForWavesPerEU: 36
; Occupancy: 7
; WaveLimiterHint : 1
; COMPUTE_PGM_RSRC2:SCRATCH_EN: 0
; COMPUTE_PGM_RSRC2:USER_SGPR: 6
; COMPUTE_PGM_RSRC2:TRAP_HANDLER: 0
; COMPUTE_PGM_RSRC2:TGID_X_EN: 1
; COMPUTE_PGM_RSRC2:TGID_Y_EN: 1
; COMPUTE_PGM_RSRC2:TGID_Z_EN: 1
; COMPUTE_PGM_RSRC2:TIDIG_COMP_CNT: 1
	.section	.text._ZL37rocblas_syrkx_herkx_restricted_kernelIifLi16ELi32ELi8ELin1ELi0ELb0ELc84ELc76EKPKfKPfEviT_PT9_S5_lS7_S5_lPT10_S5_li,"axG",@progbits,_ZL37rocblas_syrkx_herkx_restricted_kernelIifLi16ELi32ELi8ELin1ELi0ELb0ELc84ELc76EKPKfKPfEviT_PT9_S5_lS7_S5_lPT10_S5_li,comdat
	.globl	_ZL37rocblas_syrkx_herkx_restricted_kernelIifLi16ELi32ELi8ELin1ELi0ELb0ELc84ELc76EKPKfKPfEviT_PT9_S5_lS7_S5_lPT10_S5_li ; -- Begin function _ZL37rocblas_syrkx_herkx_restricted_kernelIifLi16ELi32ELi8ELin1ELi0ELb0ELc84ELc76EKPKfKPfEviT_PT9_S5_lS7_S5_lPT10_S5_li
	.p2align	8
	.type	_ZL37rocblas_syrkx_herkx_restricted_kernelIifLi16ELi32ELi8ELin1ELi0ELb0ELc84ELc76EKPKfKPfEviT_PT9_S5_lS7_S5_lPT10_S5_li,@function
_ZL37rocblas_syrkx_herkx_restricted_kernelIifLi16ELi32ELi8ELin1ELi0ELb0ELc84ELc76EKPKfKPfEviT_PT9_S5_lS7_S5_lPT10_S5_li: ; @_ZL37rocblas_syrkx_herkx_restricted_kernelIifLi16ELi32ELi8ELin1ELi0ELb0ELc84ELc76EKPKfKPfEviT_PT9_S5_lS7_S5_lPT10_S5_li
; %bb.0:
	s_load_dwordx2 s[2:3], s[4:5], 0x38
	s_load_dwordx2 s[12:13], s[4:5], 0x0
	s_mov_b32 s9, 0
	s_lshl_b64 s[0:1], s[8:9], 3
	s_waitcnt lgkmcnt(0)
	s_add_u32 s2, s2, s0
	s_addc_u32 s3, s3, s1
	s_load_dwordx2 s[10:11], s[2:3], 0x0
	s_lshl_b32 s2, s6, 5
	s_lshl_b32 s3, s7, 5
	s_cmp_lt_i32 s13, 1
	s_cbranch_scc1 .LBB482_3
; %bb.1:
	s_load_dwordx2 s[6:7], s[4:5], 0x8
	s_load_dword s8, s[4:5], 0x10
	s_load_dwordx2 s[14:15], s[4:5], 0x20
	s_load_dword s16, s[4:5], 0x28
	v_lshl_add_u32 v4, v1, 4, v0
	s_waitcnt lgkmcnt(0)
	s_add_u32 s6, s6, s0
	s_addc_u32 s7, s7, s1
	v_lshrrev_b32_e32 v8, 3, v4
	s_add_u32 s0, s14, s0
	v_add_u32_e32 v5, s3, v8
	v_and_b32_e32 v2, 7, v0
	v_mov_b32_e32 v3, 0
	s_addc_u32 s1, s15, s1
	v_mad_i64_i32 v[6:7], s[14:15], s16, v5, v[2:3]
	v_lshlrev_b32_e32 v2, 2, v2
	v_and_b32_e32 v9, 31, v4
	v_lshl_or_b32 v2, v8, 5, v2
	v_lshrrev_b32_e32 v4, 5, v4
	v_mov_b32_e32 v5, v3
	v_lshlrev_b32_e32 v10, 2, v9
	v_add_u32_e32 v11, 0x400, v2
	v_add_u32_e32 v2, s2, v9
	v_lshl_or_b32 v10, v4, 7, v10
	v_mad_i64_i32 v[4:5], s[14:15], s8, v2, v[4:5]
	s_load_dwordx2 s[6:7], s[6:7], 0x0
	v_mov_b32_e32 v2, 0x400
	s_load_dwordx2 s[0:1], s[0:1], 0x0
	v_lshlrev_b64 v[4:5], 2, v[4:5]
	v_lshl_add_u32 v13, v1, 5, v2
	s_waitcnt lgkmcnt(0)
	v_mov_b32_e32 v2, s7
	v_add_co_u32_e32 v4, vcc, s6, v4
	v_lshlrev_b64 v[6:7], 2, v[6:7]
	v_addc_co_u32_e32 v5, vcc, v2, v5, vcc
	v_mov_b32_e32 v2, s1
	v_add_co_u32_e32 v6, vcc, s0, v6
	v_lshlrev_b32_e32 v12, 2, v0
	v_addc_co_u32_e32 v7, vcc, v2, v7, vcc
	v_mov_b32_e32 v2, v3
	v_mov_b32_e32 v8, v3
	;; [unrolled: 1-line block ×3, first 2 shown]
.LBB482_2:                              ; =>This Inner Loop Header: Depth=1
	flat_load_dword v14, v[4:5]
	v_add_co_u32_e32 v4, vcc, 32, v4
	v_addc_co_u32_e32 v5, vcc, 0, v5, vcc
	s_add_i32 s9, s9, 8
	s_cmp_ge_i32 s9, s13
	s_waitcnt vmcnt(0) lgkmcnt(0)
	ds_write_b32 v10, v14
	flat_load_dword v14, v[6:7]
	v_add_co_u32_e32 v6, vcc, 32, v6
	v_addc_co_u32_e32 v7, vcc, 0, v7, vcc
	s_waitcnt vmcnt(0) lgkmcnt(0)
	ds_write_b32 v11, v14
	s_waitcnt lgkmcnt(0)
	s_barrier
	ds_read2_b32 v[26:27], v12 offset1:16
	ds_read_b128 v[14:17], v13
	ds_read2_b32 v[28:29], v12 offset0:32 offset1:48
	ds_read2_b32 v[30:31], v12 offset0:64 offset1:80
	ds_read_b128 v[18:21], v13 offset:16
	ds_read2_b32 v[32:33], v12 offset0:96 offset1:112
	s_waitcnt lgkmcnt(4)
	v_fmac_f32_e32 v9, v26, v14
	v_fmac_f32_e32 v8, v27, v14
	s_waitcnt lgkmcnt(3)
	v_fmac_f32_e32 v9, v28, v15
	v_fmac_f32_e32 v8, v29, v15
	;; [unrolled: 3-line block ×4, first 2 shown]
	ds_read_b128 v[14:17], v13 offset:512
	ds_read_b128 v[22:25], v13 offset:528
	s_waitcnt lgkmcnt(1)
	v_fmac_f32_e32 v2, v26, v14
	v_fmac_f32_e32 v3, v27, v14
	;; [unrolled: 1-line block ×8, first 2 shown]
	ds_read2_b32 v[14:15], v12 offset0:128 offset1:144
	ds_read2_b32 v[16:17], v12 offset0:160 offset1:176
	;; [unrolled: 1-line block ×3, first 2 shown]
	s_waitcnt lgkmcnt(2)
	v_fmac_f32_e32 v9, v14, v18
	v_fmac_f32_e32 v8, v15, v18
	v_fmac_f32_e32 v2, v14, v22
	v_fmac_f32_e32 v3, v15, v22
	ds_read2_b32 v[14:15], v12 offset0:224 offset1:240
	s_waitcnt lgkmcnt(2)
	v_fmac_f32_e32 v9, v16, v19
	v_fmac_f32_e32 v8, v17, v19
	v_fmac_f32_e32 v2, v16, v23
	v_fmac_f32_e32 v3, v17, v23
	s_waitcnt lgkmcnt(1)
	v_fmac_f32_e32 v9, v26, v20
	v_fmac_f32_e32 v8, v27, v20
	v_fmac_f32_e32 v2, v26, v24
	v_fmac_f32_e32 v3, v27, v24
	;; [unrolled: 5-line block ×3, first 2 shown]
	s_barrier
	s_cbranch_scc0 .LBB482_2
	s_branch .LBB482_4
.LBB482_3:
	v_mov_b32_e32 v9, 0
	v_mov_b32_e32 v8, 0
	;; [unrolled: 1-line block ×4, first 2 shown]
.LBB482_4:
	s_load_dword s6, s[4:5], 0x40
	v_add_u32_e32 v6, s3, v1
	s_waitcnt lgkmcnt(0)
	v_mov_b32_e32 v1, s11
	v_add_u32_e32 v0, s2, v0
	v_mad_i64_i32 v[4:5], s[0:1], v6, s6, 0
	v_cmp_le_i32_e64 s[0:1], v6, v0
	v_lshlrev_b64 v[4:5], 2, v[4:5]
	v_add_co_u32_e32 v7, vcc, s10, v4
	v_addc_co_u32_e32 v10, vcc, v1, v5, vcc
	v_cmp_gt_i32_e32 vcc, s12, v0
	s_and_b64 s[0:1], s[0:1], vcc
	s_and_saveexec_b64 s[2:3], s[0:1]
	s_cbranch_execz .LBB482_6
; %bb.5:
	v_ashrrev_i32_e32 v1, 31, v0
	v_lshlrev_b64 v[4:5], 2, v[0:1]
	v_xor_b32_e32 v9, 0x80000000, v9
	v_add_co_u32_e64 v4, s[0:1], v7, v4
	v_addc_co_u32_e64 v5, s[0:1], v10, v5, s[0:1]
	flat_store_dword v[4:5], v9
.LBB482_6:
	s_or_b64 exec, exec, s[2:3]
	v_add_u32_e32 v4, 16, v0
	v_cmp_le_i32_e64 s[2:3], v6, v4
	v_cmp_gt_i32_e64 s[0:1], s12, v4
	s_and_b64 s[2:3], s[2:3], s[0:1]
	s_and_saveexec_b64 s[4:5], s[2:3]
	s_cbranch_execz .LBB482_8
; %bb.7:
	v_ashrrev_i32_e32 v5, 31, v4
	v_xor_b32_e32 v1, 0x80000000, v8
	v_lshlrev_b64 v[8:9], 2, v[4:5]
	v_add_co_u32_e64 v7, s[2:3], v7, v8
	v_addc_co_u32_e64 v8, s[2:3], v10, v9, s[2:3]
	flat_store_dword v[7:8], v1
.LBB482_8:
	s_or_b64 exec, exec, s[4:5]
	v_add_u32_e32 v5, 16, v6
	v_mad_i64_i32 v[6:7], s[2:3], v5, s6, 0
	v_mov_b32_e32 v1, s11
	v_lshlrev_b64 v[6:7], 2, v[6:7]
	v_add_co_u32_e64 v6, s[2:3], s10, v6
	v_addc_co_u32_e64 v7, s[2:3], v1, v7, s[2:3]
	v_cmp_le_i32_e64 s[2:3], v5, v0
	s_and_b64 s[4:5], s[2:3], vcc
	s_and_saveexec_b64 s[2:3], s[4:5]
	s_cbranch_execz .LBB482_10
; %bb.9:
	v_ashrrev_i32_e32 v1, 31, v0
	v_lshlrev_b64 v[0:1], 2, v[0:1]
	v_xor_b32_e32 v2, 0x80000000, v2
	v_add_co_u32_e32 v0, vcc, v6, v0
	v_addc_co_u32_e32 v1, vcc, v7, v1, vcc
	flat_store_dword v[0:1], v2
.LBB482_10:
	s_or_b64 exec, exec, s[2:3]
	v_cmp_le_i32_e32 vcc, v5, v4
	s_and_b64 s[0:1], vcc, s[0:1]
	s_and_saveexec_b64 s[2:3], s[0:1]
	s_cbranch_execz .LBB482_12
; %bb.11:
	v_ashrrev_i32_e32 v5, 31, v4
	v_lshlrev_b64 v[0:1], 2, v[4:5]
	v_xor_b32_e32 v2, 0x80000000, v3
	v_add_co_u32_e32 v0, vcc, v6, v0
	v_addc_co_u32_e32 v1, vcc, v7, v1, vcc
	flat_store_dword v[0:1], v2
.LBB482_12:
	s_endpgm
	.section	.rodata,"a",@progbits
	.p2align	6, 0x0
	.amdhsa_kernel _ZL37rocblas_syrkx_herkx_restricted_kernelIifLi16ELi32ELi8ELin1ELi0ELb0ELc84ELc76EKPKfKPfEviT_PT9_S5_lS7_S5_lPT10_S5_li
		.amdhsa_group_segment_fixed_size 2048
		.amdhsa_private_segment_fixed_size 0
		.amdhsa_kernarg_size 84
		.amdhsa_user_sgpr_count 6
		.amdhsa_user_sgpr_private_segment_buffer 1
		.amdhsa_user_sgpr_dispatch_ptr 0
		.amdhsa_user_sgpr_queue_ptr 0
		.amdhsa_user_sgpr_kernarg_segment_ptr 1
		.amdhsa_user_sgpr_dispatch_id 0
		.amdhsa_user_sgpr_flat_scratch_init 0
		.amdhsa_user_sgpr_private_segment_size 0
		.amdhsa_uses_dynamic_stack 0
		.amdhsa_system_sgpr_private_segment_wavefront_offset 0
		.amdhsa_system_sgpr_workgroup_id_x 1
		.amdhsa_system_sgpr_workgroup_id_y 1
		.amdhsa_system_sgpr_workgroup_id_z 1
		.amdhsa_system_sgpr_workgroup_info 0
		.amdhsa_system_vgpr_workitem_id 1
		.amdhsa_next_free_vgpr 34
		.amdhsa_next_free_sgpr 17
		.amdhsa_reserve_vcc 1
		.amdhsa_reserve_flat_scratch 0
		.amdhsa_float_round_mode_32 0
		.amdhsa_float_round_mode_16_64 0
		.amdhsa_float_denorm_mode_32 3
		.amdhsa_float_denorm_mode_16_64 3
		.amdhsa_dx10_clamp 1
		.amdhsa_ieee_mode 1
		.amdhsa_fp16_overflow 0
		.amdhsa_exception_fp_ieee_invalid_op 0
		.amdhsa_exception_fp_denorm_src 0
		.amdhsa_exception_fp_ieee_div_zero 0
		.amdhsa_exception_fp_ieee_overflow 0
		.amdhsa_exception_fp_ieee_underflow 0
		.amdhsa_exception_fp_ieee_inexact 0
		.amdhsa_exception_int_div_zero 0
	.end_amdhsa_kernel
	.section	.text._ZL37rocblas_syrkx_herkx_restricted_kernelIifLi16ELi32ELi8ELin1ELi0ELb0ELc84ELc76EKPKfKPfEviT_PT9_S5_lS7_S5_lPT10_S5_li,"axG",@progbits,_ZL37rocblas_syrkx_herkx_restricted_kernelIifLi16ELi32ELi8ELin1ELi0ELb0ELc84ELc76EKPKfKPfEviT_PT9_S5_lS7_S5_lPT10_S5_li,comdat
.Lfunc_end482:
	.size	_ZL37rocblas_syrkx_herkx_restricted_kernelIifLi16ELi32ELi8ELin1ELi0ELb0ELc84ELc76EKPKfKPfEviT_PT9_S5_lS7_S5_lPT10_S5_li, .Lfunc_end482-_ZL37rocblas_syrkx_herkx_restricted_kernelIifLi16ELi32ELi8ELin1ELi0ELb0ELc84ELc76EKPKfKPfEviT_PT9_S5_lS7_S5_lPT10_S5_li
                                        ; -- End function
	.set _ZL37rocblas_syrkx_herkx_restricted_kernelIifLi16ELi32ELi8ELin1ELi0ELb0ELc84ELc76EKPKfKPfEviT_PT9_S5_lS7_S5_lPT10_S5_li.num_vgpr, 34
	.set _ZL37rocblas_syrkx_herkx_restricted_kernelIifLi16ELi32ELi8ELin1ELi0ELb0ELc84ELc76EKPKfKPfEviT_PT9_S5_lS7_S5_lPT10_S5_li.num_agpr, 0
	.set _ZL37rocblas_syrkx_herkx_restricted_kernelIifLi16ELi32ELi8ELin1ELi0ELb0ELc84ELc76EKPKfKPfEviT_PT9_S5_lS7_S5_lPT10_S5_li.numbered_sgpr, 17
	.set _ZL37rocblas_syrkx_herkx_restricted_kernelIifLi16ELi32ELi8ELin1ELi0ELb0ELc84ELc76EKPKfKPfEviT_PT9_S5_lS7_S5_lPT10_S5_li.num_named_barrier, 0
	.set _ZL37rocblas_syrkx_herkx_restricted_kernelIifLi16ELi32ELi8ELin1ELi0ELb0ELc84ELc76EKPKfKPfEviT_PT9_S5_lS7_S5_lPT10_S5_li.private_seg_size, 0
	.set _ZL37rocblas_syrkx_herkx_restricted_kernelIifLi16ELi32ELi8ELin1ELi0ELb0ELc84ELc76EKPKfKPfEviT_PT9_S5_lS7_S5_lPT10_S5_li.uses_vcc, 1
	.set _ZL37rocblas_syrkx_herkx_restricted_kernelIifLi16ELi32ELi8ELin1ELi0ELb0ELc84ELc76EKPKfKPfEviT_PT9_S5_lS7_S5_lPT10_S5_li.uses_flat_scratch, 0
	.set _ZL37rocblas_syrkx_herkx_restricted_kernelIifLi16ELi32ELi8ELin1ELi0ELb0ELc84ELc76EKPKfKPfEviT_PT9_S5_lS7_S5_lPT10_S5_li.has_dyn_sized_stack, 0
	.set _ZL37rocblas_syrkx_herkx_restricted_kernelIifLi16ELi32ELi8ELin1ELi0ELb0ELc84ELc76EKPKfKPfEviT_PT9_S5_lS7_S5_lPT10_S5_li.has_recursion, 0
	.set _ZL37rocblas_syrkx_herkx_restricted_kernelIifLi16ELi32ELi8ELin1ELi0ELb0ELc84ELc76EKPKfKPfEviT_PT9_S5_lS7_S5_lPT10_S5_li.has_indirect_call, 0
	.section	.AMDGPU.csdata,"",@progbits
; Kernel info:
; codeLenInByte = 1008
; TotalNumSgprs: 21
; NumVgprs: 34
; ScratchSize: 0
; MemoryBound: 0
; FloatMode: 240
; IeeeMode: 1
; LDSByteSize: 2048 bytes/workgroup (compile time only)
; SGPRBlocks: 2
; VGPRBlocks: 8
; NumSGPRsForWavesPerEU: 21
; NumVGPRsForWavesPerEU: 34
; Occupancy: 7
; WaveLimiterHint : 1
; COMPUTE_PGM_RSRC2:SCRATCH_EN: 0
; COMPUTE_PGM_RSRC2:USER_SGPR: 6
; COMPUTE_PGM_RSRC2:TRAP_HANDLER: 0
; COMPUTE_PGM_RSRC2:TGID_X_EN: 1
; COMPUTE_PGM_RSRC2:TGID_Y_EN: 1
; COMPUTE_PGM_RSRC2:TGID_Z_EN: 1
; COMPUTE_PGM_RSRC2:TIDIG_COMP_CNT: 1
	.section	.text._ZL37rocblas_syrkx_herkx_restricted_kernelIifLi16ELi32ELi8ELin1ELi0ELb0ELc67ELc76EKPKfKPfEviT_PT9_S5_lS7_S5_lPT10_S5_li,"axG",@progbits,_ZL37rocblas_syrkx_herkx_restricted_kernelIifLi16ELi32ELi8ELin1ELi0ELb0ELc67ELc76EKPKfKPfEviT_PT9_S5_lS7_S5_lPT10_S5_li,comdat
	.globl	_ZL37rocblas_syrkx_herkx_restricted_kernelIifLi16ELi32ELi8ELin1ELi0ELb0ELc67ELc76EKPKfKPfEviT_PT9_S5_lS7_S5_lPT10_S5_li ; -- Begin function _ZL37rocblas_syrkx_herkx_restricted_kernelIifLi16ELi32ELi8ELin1ELi0ELb0ELc67ELc76EKPKfKPfEviT_PT9_S5_lS7_S5_lPT10_S5_li
	.p2align	8
	.type	_ZL37rocblas_syrkx_herkx_restricted_kernelIifLi16ELi32ELi8ELin1ELi0ELb0ELc67ELc76EKPKfKPfEviT_PT9_S5_lS7_S5_lPT10_S5_li,@function
_ZL37rocblas_syrkx_herkx_restricted_kernelIifLi16ELi32ELi8ELin1ELi0ELb0ELc67ELc76EKPKfKPfEviT_PT9_S5_lS7_S5_lPT10_S5_li: ; @_ZL37rocblas_syrkx_herkx_restricted_kernelIifLi16ELi32ELi8ELin1ELi0ELb0ELc67ELc76EKPKfKPfEviT_PT9_S5_lS7_S5_lPT10_S5_li
; %bb.0:
	s_load_dwordx2 s[2:3], s[4:5], 0x38
	s_load_dwordx2 s[12:13], s[4:5], 0x0
	s_mov_b32 s9, 0
	s_lshl_b64 s[0:1], s[8:9], 3
	s_waitcnt lgkmcnt(0)
	s_add_u32 s2, s2, s0
	s_addc_u32 s3, s3, s1
	s_load_dwordx2 s[10:11], s[2:3], 0x0
	s_lshl_b32 s2, s6, 5
	s_lshl_b32 s3, s7, 5
	s_cmp_lt_i32 s13, 1
	s_cbranch_scc1 .LBB483_3
; %bb.1:
	s_load_dwordx2 s[6:7], s[4:5], 0x8
	s_load_dword s8, s[4:5], 0x10
	s_load_dwordx2 s[14:15], s[4:5], 0x20
	s_load_dword s16, s[4:5], 0x28
	v_lshl_add_u32 v4, v1, 4, v0
	s_waitcnt lgkmcnt(0)
	s_add_u32 s6, s6, s0
	s_addc_u32 s7, s7, s1
	v_lshrrev_b32_e32 v8, 3, v4
	s_add_u32 s0, s14, s0
	v_add_u32_e32 v5, s3, v8
	v_and_b32_e32 v2, 7, v0
	v_mov_b32_e32 v3, 0
	s_addc_u32 s1, s15, s1
	v_mad_i64_i32 v[6:7], s[14:15], s16, v5, v[2:3]
	v_lshlrev_b32_e32 v2, 2, v2
	v_and_b32_e32 v9, 31, v4
	v_lshl_or_b32 v2, v8, 5, v2
	v_lshrrev_b32_e32 v4, 5, v4
	v_mov_b32_e32 v5, v3
	v_lshlrev_b32_e32 v10, 2, v9
	v_add_u32_e32 v11, 0x400, v2
	v_add_u32_e32 v2, s2, v9
	v_lshl_or_b32 v10, v4, 7, v10
	v_mad_i64_i32 v[4:5], s[14:15], s8, v2, v[4:5]
	s_load_dwordx2 s[6:7], s[6:7], 0x0
	v_mov_b32_e32 v2, 0x400
	s_load_dwordx2 s[0:1], s[0:1], 0x0
	v_lshlrev_b64 v[4:5], 2, v[4:5]
	v_lshl_add_u32 v13, v1, 5, v2
	s_waitcnt lgkmcnt(0)
	v_mov_b32_e32 v2, s7
	v_add_co_u32_e32 v4, vcc, s6, v4
	v_lshlrev_b64 v[6:7], 2, v[6:7]
	v_addc_co_u32_e32 v5, vcc, v2, v5, vcc
	v_mov_b32_e32 v2, s1
	v_add_co_u32_e32 v6, vcc, s0, v6
	v_lshlrev_b32_e32 v12, 2, v0
	v_addc_co_u32_e32 v7, vcc, v2, v7, vcc
	v_mov_b32_e32 v2, v3
	v_mov_b32_e32 v8, v3
	;; [unrolled: 1-line block ×3, first 2 shown]
.LBB483_2:                              ; =>This Inner Loop Header: Depth=1
	flat_load_dword v14, v[4:5]
	v_add_co_u32_e32 v4, vcc, 32, v4
	v_addc_co_u32_e32 v5, vcc, 0, v5, vcc
	s_add_i32 s9, s9, 8
	s_cmp_ge_i32 s9, s13
	s_waitcnt vmcnt(0) lgkmcnt(0)
	ds_write_b32 v10, v14
	flat_load_dword v14, v[6:7]
	v_add_co_u32_e32 v6, vcc, 32, v6
	v_addc_co_u32_e32 v7, vcc, 0, v7, vcc
	s_waitcnt vmcnt(0) lgkmcnt(0)
	ds_write_b32 v11, v14
	s_waitcnt lgkmcnt(0)
	s_barrier
	ds_read2_b32 v[26:27], v12 offset1:16
	ds_read_b128 v[14:17], v13
	ds_read2_b32 v[28:29], v12 offset0:32 offset1:48
	ds_read2_b32 v[30:31], v12 offset0:64 offset1:80
	ds_read_b128 v[18:21], v13 offset:16
	ds_read2_b32 v[32:33], v12 offset0:96 offset1:112
	s_waitcnt lgkmcnt(4)
	v_fmac_f32_e32 v9, v26, v14
	v_fmac_f32_e32 v8, v27, v14
	s_waitcnt lgkmcnt(3)
	v_fmac_f32_e32 v9, v28, v15
	v_fmac_f32_e32 v8, v29, v15
	;; [unrolled: 3-line block ×4, first 2 shown]
	ds_read_b128 v[14:17], v13 offset:512
	ds_read_b128 v[22:25], v13 offset:528
	s_waitcnt lgkmcnt(1)
	v_fmac_f32_e32 v2, v26, v14
	v_fmac_f32_e32 v3, v27, v14
	;; [unrolled: 1-line block ×8, first 2 shown]
	ds_read2_b32 v[14:15], v12 offset0:128 offset1:144
	ds_read2_b32 v[16:17], v12 offset0:160 offset1:176
	;; [unrolled: 1-line block ×3, first 2 shown]
	s_waitcnt lgkmcnt(2)
	v_fmac_f32_e32 v9, v14, v18
	v_fmac_f32_e32 v8, v15, v18
	;; [unrolled: 1-line block ×4, first 2 shown]
	ds_read2_b32 v[14:15], v12 offset0:224 offset1:240
	s_waitcnt lgkmcnt(2)
	v_fmac_f32_e32 v9, v16, v19
	v_fmac_f32_e32 v8, v17, v19
	v_fmac_f32_e32 v2, v16, v23
	v_fmac_f32_e32 v3, v17, v23
	s_waitcnt lgkmcnt(1)
	v_fmac_f32_e32 v9, v26, v20
	v_fmac_f32_e32 v8, v27, v20
	v_fmac_f32_e32 v2, v26, v24
	v_fmac_f32_e32 v3, v27, v24
	;; [unrolled: 5-line block ×3, first 2 shown]
	s_barrier
	s_cbranch_scc0 .LBB483_2
	s_branch .LBB483_4
.LBB483_3:
	v_mov_b32_e32 v9, 0
	v_mov_b32_e32 v8, 0
	;; [unrolled: 1-line block ×4, first 2 shown]
.LBB483_4:
	s_load_dword s6, s[4:5], 0x40
	v_add_u32_e32 v6, s3, v1
	s_waitcnt lgkmcnt(0)
	v_mov_b32_e32 v1, s11
	v_add_u32_e32 v0, s2, v0
	v_mad_i64_i32 v[4:5], s[0:1], v6, s6, 0
	v_cmp_le_i32_e64 s[0:1], v6, v0
	v_lshlrev_b64 v[4:5], 2, v[4:5]
	v_add_co_u32_e32 v7, vcc, s10, v4
	v_addc_co_u32_e32 v10, vcc, v1, v5, vcc
	v_cmp_gt_i32_e32 vcc, s12, v0
	s_and_b64 s[0:1], s[0:1], vcc
	s_and_saveexec_b64 s[2:3], s[0:1]
	s_cbranch_execz .LBB483_6
; %bb.5:
	v_ashrrev_i32_e32 v1, 31, v0
	v_lshlrev_b64 v[4:5], 2, v[0:1]
	v_xor_b32_e32 v9, 0x80000000, v9
	v_add_co_u32_e64 v4, s[0:1], v7, v4
	v_addc_co_u32_e64 v5, s[0:1], v10, v5, s[0:1]
	flat_store_dword v[4:5], v9
.LBB483_6:
	s_or_b64 exec, exec, s[2:3]
	v_add_u32_e32 v4, 16, v0
	v_cmp_le_i32_e64 s[2:3], v6, v4
	v_cmp_gt_i32_e64 s[0:1], s12, v4
	s_and_b64 s[2:3], s[2:3], s[0:1]
	s_and_saveexec_b64 s[4:5], s[2:3]
	s_cbranch_execz .LBB483_8
; %bb.7:
	v_ashrrev_i32_e32 v5, 31, v4
	v_xor_b32_e32 v1, 0x80000000, v8
	v_lshlrev_b64 v[8:9], 2, v[4:5]
	v_add_co_u32_e64 v7, s[2:3], v7, v8
	v_addc_co_u32_e64 v8, s[2:3], v10, v9, s[2:3]
	flat_store_dword v[7:8], v1
.LBB483_8:
	s_or_b64 exec, exec, s[4:5]
	v_add_u32_e32 v5, 16, v6
	v_mad_i64_i32 v[6:7], s[2:3], v5, s6, 0
	v_mov_b32_e32 v1, s11
	v_lshlrev_b64 v[6:7], 2, v[6:7]
	v_add_co_u32_e64 v6, s[2:3], s10, v6
	v_addc_co_u32_e64 v7, s[2:3], v1, v7, s[2:3]
	v_cmp_le_i32_e64 s[2:3], v5, v0
	s_and_b64 s[4:5], s[2:3], vcc
	s_and_saveexec_b64 s[2:3], s[4:5]
	s_cbranch_execz .LBB483_10
; %bb.9:
	v_ashrrev_i32_e32 v1, 31, v0
	v_lshlrev_b64 v[0:1], 2, v[0:1]
	v_xor_b32_e32 v2, 0x80000000, v2
	v_add_co_u32_e32 v0, vcc, v6, v0
	v_addc_co_u32_e32 v1, vcc, v7, v1, vcc
	flat_store_dword v[0:1], v2
.LBB483_10:
	s_or_b64 exec, exec, s[2:3]
	v_cmp_le_i32_e32 vcc, v5, v4
	s_and_b64 s[0:1], vcc, s[0:1]
	s_and_saveexec_b64 s[2:3], s[0:1]
	s_cbranch_execz .LBB483_12
; %bb.11:
	v_ashrrev_i32_e32 v5, 31, v4
	v_lshlrev_b64 v[0:1], 2, v[4:5]
	v_xor_b32_e32 v2, 0x80000000, v3
	v_add_co_u32_e32 v0, vcc, v6, v0
	v_addc_co_u32_e32 v1, vcc, v7, v1, vcc
	flat_store_dword v[0:1], v2
.LBB483_12:
	s_endpgm
	.section	.rodata,"a",@progbits
	.p2align	6, 0x0
	.amdhsa_kernel _ZL37rocblas_syrkx_herkx_restricted_kernelIifLi16ELi32ELi8ELin1ELi0ELb0ELc67ELc76EKPKfKPfEviT_PT9_S5_lS7_S5_lPT10_S5_li
		.amdhsa_group_segment_fixed_size 2048
		.amdhsa_private_segment_fixed_size 0
		.amdhsa_kernarg_size 84
		.amdhsa_user_sgpr_count 6
		.amdhsa_user_sgpr_private_segment_buffer 1
		.amdhsa_user_sgpr_dispatch_ptr 0
		.amdhsa_user_sgpr_queue_ptr 0
		.amdhsa_user_sgpr_kernarg_segment_ptr 1
		.amdhsa_user_sgpr_dispatch_id 0
		.amdhsa_user_sgpr_flat_scratch_init 0
		.amdhsa_user_sgpr_private_segment_size 0
		.amdhsa_uses_dynamic_stack 0
		.amdhsa_system_sgpr_private_segment_wavefront_offset 0
		.amdhsa_system_sgpr_workgroup_id_x 1
		.amdhsa_system_sgpr_workgroup_id_y 1
		.amdhsa_system_sgpr_workgroup_id_z 1
		.amdhsa_system_sgpr_workgroup_info 0
		.amdhsa_system_vgpr_workitem_id 1
		.amdhsa_next_free_vgpr 34
		.amdhsa_next_free_sgpr 17
		.amdhsa_reserve_vcc 1
		.amdhsa_reserve_flat_scratch 0
		.amdhsa_float_round_mode_32 0
		.amdhsa_float_round_mode_16_64 0
		.amdhsa_float_denorm_mode_32 3
		.amdhsa_float_denorm_mode_16_64 3
		.amdhsa_dx10_clamp 1
		.amdhsa_ieee_mode 1
		.amdhsa_fp16_overflow 0
		.amdhsa_exception_fp_ieee_invalid_op 0
		.amdhsa_exception_fp_denorm_src 0
		.amdhsa_exception_fp_ieee_div_zero 0
		.amdhsa_exception_fp_ieee_overflow 0
		.amdhsa_exception_fp_ieee_underflow 0
		.amdhsa_exception_fp_ieee_inexact 0
		.amdhsa_exception_int_div_zero 0
	.end_amdhsa_kernel
	.section	.text._ZL37rocblas_syrkx_herkx_restricted_kernelIifLi16ELi32ELi8ELin1ELi0ELb0ELc67ELc76EKPKfKPfEviT_PT9_S5_lS7_S5_lPT10_S5_li,"axG",@progbits,_ZL37rocblas_syrkx_herkx_restricted_kernelIifLi16ELi32ELi8ELin1ELi0ELb0ELc67ELc76EKPKfKPfEviT_PT9_S5_lS7_S5_lPT10_S5_li,comdat
.Lfunc_end483:
	.size	_ZL37rocblas_syrkx_herkx_restricted_kernelIifLi16ELi32ELi8ELin1ELi0ELb0ELc67ELc76EKPKfKPfEviT_PT9_S5_lS7_S5_lPT10_S5_li, .Lfunc_end483-_ZL37rocblas_syrkx_herkx_restricted_kernelIifLi16ELi32ELi8ELin1ELi0ELb0ELc67ELc76EKPKfKPfEviT_PT9_S5_lS7_S5_lPT10_S5_li
                                        ; -- End function
	.set _ZL37rocblas_syrkx_herkx_restricted_kernelIifLi16ELi32ELi8ELin1ELi0ELb0ELc67ELc76EKPKfKPfEviT_PT9_S5_lS7_S5_lPT10_S5_li.num_vgpr, 34
	.set _ZL37rocblas_syrkx_herkx_restricted_kernelIifLi16ELi32ELi8ELin1ELi0ELb0ELc67ELc76EKPKfKPfEviT_PT9_S5_lS7_S5_lPT10_S5_li.num_agpr, 0
	.set _ZL37rocblas_syrkx_herkx_restricted_kernelIifLi16ELi32ELi8ELin1ELi0ELb0ELc67ELc76EKPKfKPfEviT_PT9_S5_lS7_S5_lPT10_S5_li.numbered_sgpr, 17
	.set _ZL37rocblas_syrkx_herkx_restricted_kernelIifLi16ELi32ELi8ELin1ELi0ELb0ELc67ELc76EKPKfKPfEviT_PT9_S5_lS7_S5_lPT10_S5_li.num_named_barrier, 0
	.set _ZL37rocblas_syrkx_herkx_restricted_kernelIifLi16ELi32ELi8ELin1ELi0ELb0ELc67ELc76EKPKfKPfEviT_PT9_S5_lS7_S5_lPT10_S5_li.private_seg_size, 0
	.set _ZL37rocblas_syrkx_herkx_restricted_kernelIifLi16ELi32ELi8ELin1ELi0ELb0ELc67ELc76EKPKfKPfEviT_PT9_S5_lS7_S5_lPT10_S5_li.uses_vcc, 1
	.set _ZL37rocblas_syrkx_herkx_restricted_kernelIifLi16ELi32ELi8ELin1ELi0ELb0ELc67ELc76EKPKfKPfEviT_PT9_S5_lS7_S5_lPT10_S5_li.uses_flat_scratch, 0
	.set _ZL37rocblas_syrkx_herkx_restricted_kernelIifLi16ELi32ELi8ELin1ELi0ELb0ELc67ELc76EKPKfKPfEviT_PT9_S5_lS7_S5_lPT10_S5_li.has_dyn_sized_stack, 0
	.set _ZL37rocblas_syrkx_herkx_restricted_kernelIifLi16ELi32ELi8ELin1ELi0ELb0ELc67ELc76EKPKfKPfEviT_PT9_S5_lS7_S5_lPT10_S5_li.has_recursion, 0
	.set _ZL37rocblas_syrkx_herkx_restricted_kernelIifLi16ELi32ELi8ELin1ELi0ELb0ELc67ELc76EKPKfKPfEviT_PT9_S5_lS7_S5_lPT10_S5_li.has_indirect_call, 0
	.section	.AMDGPU.csdata,"",@progbits
; Kernel info:
; codeLenInByte = 1008
; TotalNumSgprs: 21
; NumVgprs: 34
; ScratchSize: 0
; MemoryBound: 0
; FloatMode: 240
; IeeeMode: 1
; LDSByteSize: 2048 bytes/workgroup (compile time only)
; SGPRBlocks: 2
; VGPRBlocks: 8
; NumSGPRsForWavesPerEU: 21
; NumVGPRsForWavesPerEU: 34
; Occupancy: 7
; WaveLimiterHint : 1
; COMPUTE_PGM_RSRC2:SCRATCH_EN: 0
; COMPUTE_PGM_RSRC2:USER_SGPR: 6
; COMPUTE_PGM_RSRC2:TRAP_HANDLER: 0
; COMPUTE_PGM_RSRC2:TGID_X_EN: 1
; COMPUTE_PGM_RSRC2:TGID_Y_EN: 1
; COMPUTE_PGM_RSRC2:TGID_Z_EN: 1
; COMPUTE_PGM_RSRC2:TIDIG_COMP_CNT: 1
	.section	.text._ZL37rocblas_syrkx_herkx_restricted_kernelIifLi16ELi32ELi8ELin1ELi0ELb0ELc78ELc76EKPKfKPfEviT_PT9_S5_lS7_S5_lPT10_S5_li,"axG",@progbits,_ZL37rocblas_syrkx_herkx_restricted_kernelIifLi16ELi32ELi8ELin1ELi0ELb0ELc78ELc76EKPKfKPfEviT_PT9_S5_lS7_S5_lPT10_S5_li,comdat
	.globl	_ZL37rocblas_syrkx_herkx_restricted_kernelIifLi16ELi32ELi8ELin1ELi0ELb0ELc78ELc76EKPKfKPfEviT_PT9_S5_lS7_S5_lPT10_S5_li ; -- Begin function _ZL37rocblas_syrkx_herkx_restricted_kernelIifLi16ELi32ELi8ELin1ELi0ELb0ELc78ELc76EKPKfKPfEviT_PT9_S5_lS7_S5_lPT10_S5_li
	.p2align	8
	.type	_ZL37rocblas_syrkx_herkx_restricted_kernelIifLi16ELi32ELi8ELin1ELi0ELb0ELc78ELc76EKPKfKPfEviT_PT9_S5_lS7_S5_lPT10_S5_li,@function
_ZL37rocblas_syrkx_herkx_restricted_kernelIifLi16ELi32ELi8ELin1ELi0ELb0ELc78ELc76EKPKfKPfEviT_PT9_S5_lS7_S5_lPT10_S5_li: ; @_ZL37rocblas_syrkx_herkx_restricted_kernelIifLi16ELi32ELi8ELin1ELi0ELb0ELc78ELc76EKPKfKPfEviT_PT9_S5_lS7_S5_lPT10_S5_li
; %bb.0:
	s_load_dwordx2 s[2:3], s[4:5], 0x38
	s_load_dwordx2 s[12:13], s[4:5], 0x0
	s_mov_b32 s9, 0
	s_lshl_b64 s[0:1], s[8:9], 3
	s_waitcnt lgkmcnt(0)
	s_add_u32 s2, s2, s0
	s_addc_u32 s3, s3, s1
	s_load_dwordx2 s[10:11], s[2:3], 0x0
	s_lshl_b32 s6, s6, 5
	s_lshl_b32 s7, s7, 5
	s_cmp_lt_i32 s13, 1
	s_cbranch_scc1 .LBB484_3
; %bb.1:
	s_load_dword s2, s[4:5], 0x10
	s_load_dword s14, s[4:5], 0x28
	s_load_dwordx2 s[16:17], s[4:5], 0x8
	s_load_dwordx2 s[18:19], s[4:5], 0x20
	v_lshl_add_u32 v7, v1, 4, v0
	s_waitcnt lgkmcnt(0)
	s_ashr_i32 s3, s2, 31
	s_ashr_i32 s15, s14, 31
	s_add_u32 s16, s16, s0
	s_addc_u32 s17, s17, s1
	v_lshrrev_b32_e32 v8, 3, v7
	s_add_u32 s0, s18, s0
	v_add_u32_e32 v2, s7, v8
	s_addc_u32 s1, s19, s1
	v_and_b32_e32 v6, 7, v0
	v_ashrrev_i32_e32 v3, 31, v2
	s_load_dwordx2 s[18:19], s[0:1], 0x0
	v_mad_i64_i32 v[4:5], s[0:1], s14, v6, v[2:3]
	v_and_b32_e32 v2, 31, v7
	v_lshrrev_b32_e32 v9, 5, v7
	v_lshlrev_b32_e32 v3, 2, v2
	v_lshl_or_b32 v10, v9, 7, v3
	v_lshlrev_b32_e32 v3, 2, v6
	v_lshl_or_b32 v3, v8, 5, v3
	v_add_u32_e32 v2, s6, v2
	v_add_u32_e32 v11, 0x400, v3
	v_ashrrev_i32_e32 v3, 31, v2
	v_mad_i64_i32 v[2:3], s[0:1], s2, v9, v[2:3]
	s_load_dwordx2 s[16:17], s[16:17], 0x0
	v_mov_b32_e32 v6, 0x400
	v_lshlrev_b64 v[2:3], 2, v[2:3]
	v_lshl_add_u32 v13, v1, 5, v6
	v_lshlrev_b64 v[4:5], 2, v[4:5]
	s_waitcnt lgkmcnt(0)
	v_mov_b32_e32 v6, s17
	v_add_co_u32_e32 v2, vcc, s16, v2
	v_addc_co_u32_e32 v3, vcc, v6, v3, vcc
	s_lshl_b64 s[0:1], s[2:3], 5
	v_mov_b32_e32 v6, s19
	v_add_co_u32_e32 v4, vcc, s18, v4
	s_lshl_b64 s[2:3], s[14:15], 5
	v_lshlrev_b32_e32 v12, 2, v0
	v_addc_co_u32_e32 v5, vcc, v6, v5, vcc
	v_mov_b32_e32 v6, 0
	v_mov_b32_e32 v14, s1
	;; [unrolled: 1-line block ×6, first 2 shown]
.LBB484_2:                              ; =>This Inner Loop Header: Depth=1
	flat_load_dword v16, v[2:3]
	v_add_co_u32_e32 v2, vcc, s0, v2
	v_addc_co_u32_e32 v3, vcc, v3, v14, vcc
	s_add_i32 s9, s9, 8
	s_cmp_ge_i32 s9, s13
	s_waitcnt vmcnt(0) lgkmcnt(0)
	ds_write_b32 v10, v16
	flat_load_dword v16, v[4:5]
	v_add_co_u32_e32 v4, vcc, s2, v4
	v_addc_co_u32_e32 v5, vcc, v5, v15, vcc
	s_waitcnt vmcnt(0) lgkmcnt(0)
	ds_write_b32 v11, v16
	s_waitcnt lgkmcnt(0)
	s_barrier
	ds_read2_b32 v[28:29], v12 offset1:16
	ds_read_b128 v[16:19], v13
	ds_read2_b32 v[30:31], v12 offset0:32 offset1:48
	ds_read2_b32 v[32:33], v12 offset0:64 offset1:80
	ds_read_b128 v[20:23], v13 offset:16
	ds_read2_b32 v[34:35], v12 offset0:96 offset1:112
	s_waitcnt lgkmcnt(4)
	v_fmac_f32_e32 v9, v28, v16
	v_fmac_f32_e32 v8, v29, v16
	s_waitcnt lgkmcnt(3)
	v_fmac_f32_e32 v9, v30, v17
	v_fmac_f32_e32 v8, v31, v17
	;; [unrolled: 3-line block ×4, first 2 shown]
	ds_read_b128 v[16:19], v13 offset:512
	ds_read_b128 v[24:27], v13 offset:528
	s_waitcnt lgkmcnt(1)
	v_fmac_f32_e32 v7, v28, v16
	v_fmac_f32_e32 v6, v29, v16
	;; [unrolled: 1-line block ×8, first 2 shown]
	ds_read2_b32 v[16:17], v12 offset0:128 offset1:144
	ds_read2_b32 v[18:19], v12 offset0:160 offset1:176
	;; [unrolled: 1-line block ×3, first 2 shown]
	s_waitcnt lgkmcnt(2)
	v_fmac_f32_e32 v9, v16, v20
	v_fmac_f32_e32 v8, v17, v20
	;; [unrolled: 1-line block ×4, first 2 shown]
	ds_read2_b32 v[16:17], v12 offset0:224 offset1:240
	s_waitcnt lgkmcnt(2)
	v_fmac_f32_e32 v9, v18, v21
	v_fmac_f32_e32 v8, v19, v21
	v_fmac_f32_e32 v7, v18, v25
	v_fmac_f32_e32 v6, v19, v25
	s_waitcnt lgkmcnt(1)
	v_fmac_f32_e32 v9, v28, v22
	v_fmac_f32_e32 v8, v29, v22
	v_fmac_f32_e32 v7, v28, v26
	v_fmac_f32_e32 v6, v29, v26
	;; [unrolled: 5-line block ×3, first 2 shown]
	s_barrier
	s_cbranch_scc0 .LBB484_2
	s_branch .LBB484_4
.LBB484_3:
	v_mov_b32_e32 v9, 0
	v_mov_b32_e32 v8, 0
	;; [unrolled: 1-line block ×4, first 2 shown]
.LBB484_4:
	s_load_dword s8, s[4:5], 0x40
	v_add_u32_e32 v4, s7, v1
	s_waitcnt lgkmcnt(0)
	v_mov_b32_e32 v3, s11
	v_add_u32_e32 v0, s6, v0
	v_mad_i64_i32 v[1:2], s[0:1], v4, s8, 0
	v_cmp_le_i32_e64 s[0:1], v4, v0
	v_lshlrev_b64 v[1:2], 2, v[1:2]
	v_add_co_u32_e32 v5, vcc, s10, v1
	v_addc_co_u32_e32 v10, vcc, v3, v2, vcc
	v_cmp_gt_i32_e32 vcc, s12, v0
	s_and_b64 s[0:1], s[0:1], vcc
	s_and_saveexec_b64 s[2:3], s[0:1]
	s_cbranch_execz .LBB484_6
; %bb.5:
	v_ashrrev_i32_e32 v1, 31, v0
	v_lshlrev_b64 v[1:2], 2, v[0:1]
	v_xor_b32_e32 v3, 0x80000000, v9
	v_add_co_u32_e64 v1, s[0:1], v5, v1
	v_addc_co_u32_e64 v2, s[0:1], v10, v2, s[0:1]
	flat_store_dword v[1:2], v3
.LBB484_6:
	s_or_b64 exec, exec, s[2:3]
	v_add_u32_e32 v2, 16, v0
	v_cmp_le_i32_e64 s[2:3], v4, v2
	v_cmp_gt_i32_e64 s[0:1], s12, v2
	s_and_b64 s[2:3], s[2:3], s[0:1]
	s_and_saveexec_b64 s[4:5], s[2:3]
	s_cbranch_execz .LBB484_8
; %bb.7:
	v_ashrrev_i32_e32 v3, 31, v2
	v_xor_b32_e32 v1, 0x80000000, v8
	v_lshlrev_b64 v[8:9], 2, v[2:3]
	v_add_co_u32_e64 v8, s[2:3], v5, v8
	v_addc_co_u32_e64 v9, s[2:3], v10, v9, s[2:3]
	flat_store_dword v[8:9], v1
.LBB484_8:
	s_or_b64 exec, exec, s[4:5]
	v_add_u32_e32 v3, 16, v4
	v_mad_i64_i32 v[4:5], s[2:3], v3, s8, 0
	v_mov_b32_e32 v1, s11
	v_lshlrev_b64 v[4:5], 2, v[4:5]
	v_add_co_u32_e64 v4, s[2:3], s10, v4
	v_addc_co_u32_e64 v5, s[2:3], v1, v5, s[2:3]
	v_cmp_le_i32_e64 s[2:3], v3, v0
	s_and_b64 s[4:5], s[2:3], vcc
	s_and_saveexec_b64 s[2:3], s[4:5]
	s_cbranch_execz .LBB484_10
; %bb.9:
	v_ashrrev_i32_e32 v1, 31, v0
	v_lshlrev_b64 v[0:1], 2, v[0:1]
	v_xor_b32_e32 v7, 0x80000000, v7
	v_add_co_u32_e32 v0, vcc, v4, v0
	v_addc_co_u32_e32 v1, vcc, v5, v1, vcc
	flat_store_dword v[0:1], v7
.LBB484_10:
	s_or_b64 exec, exec, s[2:3]
	v_cmp_le_i32_e32 vcc, v3, v2
	s_and_b64 s[0:1], vcc, s[0:1]
	s_and_saveexec_b64 s[2:3], s[0:1]
	s_cbranch_execz .LBB484_12
; %bb.11:
	v_ashrrev_i32_e32 v3, 31, v2
	v_lshlrev_b64 v[0:1], 2, v[2:3]
	v_xor_b32_e32 v6, 0x80000000, v6
	v_add_co_u32_e32 v0, vcc, v4, v0
	v_addc_co_u32_e32 v1, vcc, v5, v1, vcc
	flat_store_dword v[0:1], v6
.LBB484_12:
	s_endpgm
	.section	.rodata,"a",@progbits
	.p2align	6, 0x0
	.amdhsa_kernel _ZL37rocblas_syrkx_herkx_restricted_kernelIifLi16ELi32ELi8ELin1ELi0ELb0ELc78ELc76EKPKfKPfEviT_PT9_S5_lS7_S5_lPT10_S5_li
		.amdhsa_group_segment_fixed_size 2048
		.amdhsa_private_segment_fixed_size 0
		.amdhsa_kernarg_size 84
		.amdhsa_user_sgpr_count 6
		.amdhsa_user_sgpr_private_segment_buffer 1
		.amdhsa_user_sgpr_dispatch_ptr 0
		.amdhsa_user_sgpr_queue_ptr 0
		.amdhsa_user_sgpr_kernarg_segment_ptr 1
		.amdhsa_user_sgpr_dispatch_id 0
		.amdhsa_user_sgpr_flat_scratch_init 0
		.amdhsa_user_sgpr_private_segment_size 0
		.amdhsa_uses_dynamic_stack 0
		.amdhsa_system_sgpr_private_segment_wavefront_offset 0
		.amdhsa_system_sgpr_workgroup_id_x 1
		.amdhsa_system_sgpr_workgroup_id_y 1
		.amdhsa_system_sgpr_workgroup_id_z 1
		.amdhsa_system_sgpr_workgroup_info 0
		.amdhsa_system_vgpr_workitem_id 1
		.amdhsa_next_free_vgpr 36
		.amdhsa_next_free_sgpr 20
		.amdhsa_reserve_vcc 1
		.amdhsa_reserve_flat_scratch 0
		.amdhsa_float_round_mode_32 0
		.amdhsa_float_round_mode_16_64 0
		.amdhsa_float_denorm_mode_32 3
		.amdhsa_float_denorm_mode_16_64 3
		.amdhsa_dx10_clamp 1
		.amdhsa_ieee_mode 1
		.amdhsa_fp16_overflow 0
		.amdhsa_exception_fp_ieee_invalid_op 0
		.amdhsa_exception_fp_denorm_src 0
		.amdhsa_exception_fp_ieee_div_zero 0
		.amdhsa_exception_fp_ieee_overflow 0
		.amdhsa_exception_fp_ieee_underflow 0
		.amdhsa_exception_fp_ieee_inexact 0
		.amdhsa_exception_int_div_zero 0
	.end_amdhsa_kernel
	.section	.text._ZL37rocblas_syrkx_herkx_restricted_kernelIifLi16ELi32ELi8ELin1ELi0ELb0ELc78ELc76EKPKfKPfEviT_PT9_S5_lS7_S5_lPT10_S5_li,"axG",@progbits,_ZL37rocblas_syrkx_herkx_restricted_kernelIifLi16ELi32ELi8ELin1ELi0ELb0ELc78ELc76EKPKfKPfEviT_PT9_S5_lS7_S5_lPT10_S5_li,comdat
.Lfunc_end484:
	.size	_ZL37rocblas_syrkx_herkx_restricted_kernelIifLi16ELi32ELi8ELin1ELi0ELb0ELc78ELc76EKPKfKPfEviT_PT9_S5_lS7_S5_lPT10_S5_li, .Lfunc_end484-_ZL37rocblas_syrkx_herkx_restricted_kernelIifLi16ELi32ELi8ELin1ELi0ELb0ELc78ELc76EKPKfKPfEviT_PT9_S5_lS7_S5_lPT10_S5_li
                                        ; -- End function
	.set _ZL37rocblas_syrkx_herkx_restricted_kernelIifLi16ELi32ELi8ELin1ELi0ELb0ELc78ELc76EKPKfKPfEviT_PT9_S5_lS7_S5_lPT10_S5_li.num_vgpr, 36
	.set _ZL37rocblas_syrkx_herkx_restricted_kernelIifLi16ELi32ELi8ELin1ELi0ELb0ELc78ELc76EKPKfKPfEviT_PT9_S5_lS7_S5_lPT10_S5_li.num_agpr, 0
	.set _ZL37rocblas_syrkx_herkx_restricted_kernelIifLi16ELi32ELi8ELin1ELi0ELb0ELc78ELc76EKPKfKPfEviT_PT9_S5_lS7_S5_lPT10_S5_li.numbered_sgpr, 20
	.set _ZL37rocblas_syrkx_herkx_restricted_kernelIifLi16ELi32ELi8ELin1ELi0ELb0ELc78ELc76EKPKfKPfEviT_PT9_S5_lS7_S5_lPT10_S5_li.num_named_barrier, 0
	.set _ZL37rocblas_syrkx_herkx_restricted_kernelIifLi16ELi32ELi8ELin1ELi0ELb0ELc78ELc76EKPKfKPfEviT_PT9_S5_lS7_S5_lPT10_S5_li.private_seg_size, 0
	.set _ZL37rocblas_syrkx_herkx_restricted_kernelIifLi16ELi32ELi8ELin1ELi0ELb0ELc78ELc76EKPKfKPfEviT_PT9_S5_lS7_S5_lPT10_S5_li.uses_vcc, 1
	.set _ZL37rocblas_syrkx_herkx_restricted_kernelIifLi16ELi32ELi8ELin1ELi0ELb0ELc78ELc76EKPKfKPfEviT_PT9_S5_lS7_S5_lPT10_S5_li.uses_flat_scratch, 0
	.set _ZL37rocblas_syrkx_herkx_restricted_kernelIifLi16ELi32ELi8ELin1ELi0ELb0ELc78ELc76EKPKfKPfEviT_PT9_S5_lS7_S5_lPT10_S5_li.has_dyn_sized_stack, 0
	.set _ZL37rocblas_syrkx_herkx_restricted_kernelIifLi16ELi32ELi8ELin1ELi0ELb0ELc78ELc76EKPKfKPfEviT_PT9_S5_lS7_S5_lPT10_S5_li.has_recursion, 0
	.set _ZL37rocblas_syrkx_herkx_restricted_kernelIifLi16ELi32ELi8ELin1ELi0ELb0ELc78ELc76EKPKfKPfEviT_PT9_S5_lS7_S5_lPT10_S5_li.has_indirect_call, 0
	.section	.AMDGPU.csdata,"",@progbits
; Kernel info:
; codeLenInByte = 1036
; TotalNumSgprs: 24
; NumVgprs: 36
; ScratchSize: 0
; MemoryBound: 0
; FloatMode: 240
; IeeeMode: 1
; LDSByteSize: 2048 bytes/workgroup (compile time only)
; SGPRBlocks: 2
; VGPRBlocks: 8
; NumSGPRsForWavesPerEU: 24
; NumVGPRsForWavesPerEU: 36
; Occupancy: 7
; WaveLimiterHint : 1
; COMPUTE_PGM_RSRC2:SCRATCH_EN: 0
; COMPUTE_PGM_RSRC2:USER_SGPR: 6
; COMPUTE_PGM_RSRC2:TRAP_HANDLER: 0
; COMPUTE_PGM_RSRC2:TGID_X_EN: 1
; COMPUTE_PGM_RSRC2:TGID_Y_EN: 1
; COMPUTE_PGM_RSRC2:TGID_Z_EN: 1
; COMPUTE_PGM_RSRC2:TIDIG_COMP_CNT: 1
	.section	.text._ZL37rocblas_syrkx_herkx_restricted_kernelIifLi16ELi32ELi8ELin1ELi0ELb0ELc84ELc85EKPKfKPfEviT_PT9_S5_lS7_S5_lPT10_S5_li,"axG",@progbits,_ZL37rocblas_syrkx_herkx_restricted_kernelIifLi16ELi32ELi8ELin1ELi0ELb0ELc84ELc85EKPKfKPfEviT_PT9_S5_lS7_S5_lPT10_S5_li,comdat
	.globl	_ZL37rocblas_syrkx_herkx_restricted_kernelIifLi16ELi32ELi8ELin1ELi0ELb0ELc84ELc85EKPKfKPfEviT_PT9_S5_lS7_S5_lPT10_S5_li ; -- Begin function _ZL37rocblas_syrkx_herkx_restricted_kernelIifLi16ELi32ELi8ELin1ELi0ELb0ELc84ELc85EKPKfKPfEviT_PT9_S5_lS7_S5_lPT10_S5_li
	.p2align	8
	.type	_ZL37rocblas_syrkx_herkx_restricted_kernelIifLi16ELi32ELi8ELin1ELi0ELb0ELc84ELc85EKPKfKPfEviT_PT9_S5_lS7_S5_lPT10_S5_li,@function
_ZL37rocblas_syrkx_herkx_restricted_kernelIifLi16ELi32ELi8ELin1ELi0ELb0ELc84ELc85EKPKfKPfEviT_PT9_S5_lS7_S5_lPT10_S5_li: ; @_ZL37rocblas_syrkx_herkx_restricted_kernelIifLi16ELi32ELi8ELin1ELi0ELb0ELc84ELc85EKPKfKPfEviT_PT9_S5_lS7_S5_lPT10_S5_li
; %bb.0:
	s_load_dwordx2 s[10:11], s[4:5], 0x38
	s_load_dwordx2 s[2:3], s[4:5], 0x0
	s_mov_b32 s9, 0
	s_lshl_b64 s[0:1], s[8:9], 3
	s_waitcnt lgkmcnt(0)
	s_add_u32 s10, s10, s0
	s_addc_u32 s11, s11, s1
	s_load_dwordx2 s[10:11], s[10:11], 0x0
	s_lshl_b32 s6, s6, 5
	s_lshl_b32 s7, s7, 5
	s_cmp_lt_i32 s3, 1
	s_cbranch_scc1 .LBB485_3
; %bb.1:
	s_load_dwordx2 s[12:13], s[4:5], 0x8
	s_load_dword s8, s[4:5], 0x10
	s_load_dwordx2 s[14:15], s[4:5], 0x20
	s_load_dword s16, s[4:5], 0x28
	v_lshl_add_u32 v4, v1, 4, v0
	s_waitcnt lgkmcnt(0)
	s_add_u32 s12, s12, s0
	s_addc_u32 s13, s13, s1
	v_lshrrev_b32_e32 v8, 3, v4
	s_add_u32 s0, s14, s0
	v_add_u32_e32 v5, s7, v8
	v_and_b32_e32 v2, 7, v0
	v_mov_b32_e32 v3, 0
	s_addc_u32 s1, s15, s1
	v_mad_i64_i32 v[6:7], s[14:15], s16, v5, v[2:3]
	v_lshlrev_b32_e32 v2, 2, v2
	v_and_b32_e32 v9, 31, v4
	v_lshl_or_b32 v2, v8, 5, v2
	v_lshrrev_b32_e32 v4, 5, v4
	v_mov_b32_e32 v5, v3
	v_lshlrev_b32_e32 v10, 2, v9
	v_add_u32_e32 v11, 0x400, v2
	v_add_u32_e32 v2, s6, v9
	v_lshl_or_b32 v10, v4, 7, v10
	v_mad_i64_i32 v[4:5], s[14:15], s8, v2, v[4:5]
	s_load_dwordx2 s[12:13], s[12:13], 0x0
	v_mov_b32_e32 v2, 0x400
	s_load_dwordx2 s[0:1], s[0:1], 0x0
	v_lshlrev_b64 v[4:5], 2, v[4:5]
	v_lshl_add_u32 v13, v1, 5, v2
	s_waitcnt lgkmcnt(0)
	v_mov_b32_e32 v2, s13
	v_add_co_u32_e32 v4, vcc, s12, v4
	v_lshlrev_b64 v[6:7], 2, v[6:7]
	v_addc_co_u32_e32 v5, vcc, v2, v5, vcc
	v_mov_b32_e32 v2, s1
	v_add_co_u32_e32 v6, vcc, s0, v6
	v_lshlrev_b32_e32 v12, 2, v0
	v_addc_co_u32_e32 v7, vcc, v2, v7, vcc
	v_mov_b32_e32 v2, v3
	v_mov_b32_e32 v8, v3
	;; [unrolled: 1-line block ×3, first 2 shown]
.LBB485_2:                              ; =>This Inner Loop Header: Depth=1
	flat_load_dword v14, v[4:5]
	v_add_co_u32_e32 v4, vcc, 32, v4
	v_addc_co_u32_e32 v5, vcc, 0, v5, vcc
	s_add_i32 s9, s9, 8
	s_cmp_ge_i32 s9, s3
	s_waitcnt vmcnt(0) lgkmcnt(0)
	ds_write_b32 v10, v14
	flat_load_dword v14, v[6:7]
	v_add_co_u32_e32 v6, vcc, 32, v6
	v_addc_co_u32_e32 v7, vcc, 0, v7, vcc
	s_waitcnt vmcnt(0) lgkmcnt(0)
	ds_write_b32 v11, v14
	s_waitcnt lgkmcnt(0)
	s_barrier
	ds_read2_b32 v[26:27], v12 offset1:16
	ds_read_b128 v[14:17], v13
	ds_read2_b32 v[28:29], v12 offset0:32 offset1:48
	ds_read2_b32 v[30:31], v12 offset0:64 offset1:80
	ds_read_b128 v[18:21], v13 offset:16
	ds_read2_b32 v[32:33], v12 offset0:96 offset1:112
	s_waitcnt lgkmcnt(4)
	v_fmac_f32_e32 v9, v26, v14
	v_fmac_f32_e32 v8, v27, v14
	s_waitcnt lgkmcnt(3)
	v_fmac_f32_e32 v9, v28, v15
	v_fmac_f32_e32 v8, v29, v15
	;; [unrolled: 3-line block ×4, first 2 shown]
	ds_read_b128 v[14:17], v13 offset:512
	ds_read_b128 v[22:25], v13 offset:528
	s_waitcnt lgkmcnt(1)
	v_fmac_f32_e32 v2, v26, v14
	v_fmac_f32_e32 v3, v27, v14
	;; [unrolled: 1-line block ×8, first 2 shown]
	ds_read2_b32 v[14:15], v12 offset0:128 offset1:144
	ds_read2_b32 v[16:17], v12 offset0:160 offset1:176
	;; [unrolled: 1-line block ×3, first 2 shown]
	s_waitcnt lgkmcnt(2)
	v_fmac_f32_e32 v9, v14, v18
	v_fmac_f32_e32 v8, v15, v18
	v_fmac_f32_e32 v2, v14, v22
	v_fmac_f32_e32 v3, v15, v22
	ds_read2_b32 v[14:15], v12 offset0:224 offset1:240
	s_waitcnt lgkmcnt(2)
	v_fmac_f32_e32 v9, v16, v19
	v_fmac_f32_e32 v8, v17, v19
	v_fmac_f32_e32 v2, v16, v23
	v_fmac_f32_e32 v3, v17, v23
	s_waitcnt lgkmcnt(1)
	v_fmac_f32_e32 v9, v26, v20
	v_fmac_f32_e32 v8, v27, v20
	v_fmac_f32_e32 v2, v26, v24
	v_fmac_f32_e32 v3, v27, v24
	;; [unrolled: 5-line block ×3, first 2 shown]
	s_barrier
	s_cbranch_scc0 .LBB485_2
	s_branch .LBB485_4
.LBB485_3:
	v_mov_b32_e32 v9, 0
	v_mov_b32_e32 v8, 0
	;; [unrolled: 1-line block ×4, first 2 shown]
.LBB485_4:
	s_load_dword s3, s[4:5], 0x40
	v_add_u32_e32 v6, s7, v1
	s_waitcnt lgkmcnt(0)
	v_mov_b32_e32 v1, s11
	v_add_u32_e32 v0, s6, v0
	v_cmp_gt_i32_e32 vcc, s2, v6
	v_mad_i64_i32 v[4:5], s[0:1], v6, s3, 0
	v_lshlrev_b64 v[4:5], 2, v[4:5]
	v_add_co_u32_e64 v7, s[0:1], s10, v4
	v_addc_co_u32_e64 v10, s[0:1], v1, v5, s[0:1]
	v_cmp_le_i32_e64 s[0:1], v0, v6
	s_and_b64 s[0:1], vcc, s[0:1]
	s_and_saveexec_b64 s[4:5], s[0:1]
	s_cbranch_execz .LBB485_6
; %bb.5:
	v_ashrrev_i32_e32 v1, 31, v0
	v_lshlrev_b64 v[4:5], 2, v[0:1]
	v_xor_b32_e32 v9, 0x80000000, v9
	v_add_co_u32_e64 v4, s[0:1], v7, v4
	v_addc_co_u32_e64 v5, s[0:1], v10, v5, s[0:1]
	flat_store_dword v[4:5], v9
.LBB485_6:
	s_or_b64 exec, exec, s[4:5]
	v_add_u32_e32 v4, 16, v0
	v_cmp_le_i32_e64 s[0:1], v4, v6
	s_and_b64 s[4:5], vcc, s[0:1]
	s_and_saveexec_b64 s[0:1], s[4:5]
	s_cbranch_execz .LBB485_8
; %bb.7:
	v_ashrrev_i32_e32 v5, 31, v4
	v_xor_b32_e32 v1, 0x80000000, v8
	v_lshlrev_b64 v[8:9], 2, v[4:5]
	v_add_co_u32_e32 v7, vcc, v7, v8
	v_addc_co_u32_e32 v8, vcc, v10, v9, vcc
	flat_store_dword v[7:8], v1
.LBB485_8:
	s_or_b64 exec, exec, s[0:1]
	v_add_u32_e32 v5, 16, v6
	v_mad_i64_i32 v[6:7], s[0:1], v5, s3, 0
	v_mov_b32_e32 v1, s11
	v_cmp_gt_i32_e32 vcc, s2, v5
	v_lshlrev_b64 v[6:7], 2, v[6:7]
	v_add_co_u32_e64 v6, s[0:1], s10, v6
	v_addc_co_u32_e64 v7, s[0:1], v1, v7, s[0:1]
	v_cmp_le_i32_e64 s[0:1], v0, v5
	s_and_b64 s[0:1], vcc, s[0:1]
	s_and_saveexec_b64 s[2:3], s[0:1]
	s_cbranch_execz .LBB485_10
; %bb.9:
	v_ashrrev_i32_e32 v1, 31, v0
	v_lshlrev_b64 v[0:1], 2, v[0:1]
	v_xor_b32_e32 v2, 0x80000000, v2
	v_add_co_u32_e64 v0, s[0:1], v6, v0
	v_addc_co_u32_e64 v1, s[0:1], v7, v1, s[0:1]
	flat_store_dword v[0:1], v2
.LBB485_10:
	s_or_b64 exec, exec, s[2:3]
	v_cmp_le_i32_e64 s[0:1], v4, v5
	s_and_b64 s[0:1], vcc, s[0:1]
	s_and_saveexec_b64 s[2:3], s[0:1]
	s_cbranch_execz .LBB485_12
; %bb.11:
	v_ashrrev_i32_e32 v5, 31, v4
	v_lshlrev_b64 v[0:1], 2, v[4:5]
	v_xor_b32_e32 v2, 0x80000000, v3
	v_add_co_u32_e32 v0, vcc, v6, v0
	v_addc_co_u32_e32 v1, vcc, v7, v1, vcc
	flat_store_dword v[0:1], v2
.LBB485_12:
	s_endpgm
	.section	.rodata,"a",@progbits
	.p2align	6, 0x0
	.amdhsa_kernel _ZL37rocblas_syrkx_herkx_restricted_kernelIifLi16ELi32ELi8ELin1ELi0ELb0ELc84ELc85EKPKfKPfEviT_PT9_S5_lS7_S5_lPT10_S5_li
		.amdhsa_group_segment_fixed_size 2048
		.amdhsa_private_segment_fixed_size 0
		.amdhsa_kernarg_size 84
		.amdhsa_user_sgpr_count 6
		.amdhsa_user_sgpr_private_segment_buffer 1
		.amdhsa_user_sgpr_dispatch_ptr 0
		.amdhsa_user_sgpr_queue_ptr 0
		.amdhsa_user_sgpr_kernarg_segment_ptr 1
		.amdhsa_user_sgpr_dispatch_id 0
		.amdhsa_user_sgpr_flat_scratch_init 0
		.amdhsa_user_sgpr_private_segment_size 0
		.amdhsa_uses_dynamic_stack 0
		.amdhsa_system_sgpr_private_segment_wavefront_offset 0
		.amdhsa_system_sgpr_workgroup_id_x 1
		.amdhsa_system_sgpr_workgroup_id_y 1
		.amdhsa_system_sgpr_workgroup_id_z 1
		.amdhsa_system_sgpr_workgroup_info 0
		.amdhsa_system_vgpr_workitem_id 1
		.amdhsa_next_free_vgpr 34
		.amdhsa_next_free_sgpr 17
		.amdhsa_reserve_vcc 1
		.amdhsa_reserve_flat_scratch 0
		.amdhsa_float_round_mode_32 0
		.amdhsa_float_round_mode_16_64 0
		.amdhsa_float_denorm_mode_32 3
		.amdhsa_float_denorm_mode_16_64 3
		.amdhsa_dx10_clamp 1
		.amdhsa_ieee_mode 1
		.amdhsa_fp16_overflow 0
		.amdhsa_exception_fp_ieee_invalid_op 0
		.amdhsa_exception_fp_denorm_src 0
		.amdhsa_exception_fp_ieee_div_zero 0
		.amdhsa_exception_fp_ieee_overflow 0
		.amdhsa_exception_fp_ieee_underflow 0
		.amdhsa_exception_fp_ieee_inexact 0
		.amdhsa_exception_int_div_zero 0
	.end_amdhsa_kernel
	.section	.text._ZL37rocblas_syrkx_herkx_restricted_kernelIifLi16ELi32ELi8ELin1ELi0ELb0ELc84ELc85EKPKfKPfEviT_PT9_S5_lS7_S5_lPT10_S5_li,"axG",@progbits,_ZL37rocblas_syrkx_herkx_restricted_kernelIifLi16ELi32ELi8ELin1ELi0ELb0ELc84ELc85EKPKfKPfEviT_PT9_S5_lS7_S5_lPT10_S5_li,comdat
.Lfunc_end485:
	.size	_ZL37rocblas_syrkx_herkx_restricted_kernelIifLi16ELi32ELi8ELin1ELi0ELb0ELc84ELc85EKPKfKPfEviT_PT9_S5_lS7_S5_lPT10_S5_li, .Lfunc_end485-_ZL37rocblas_syrkx_herkx_restricted_kernelIifLi16ELi32ELi8ELin1ELi0ELb0ELc84ELc85EKPKfKPfEviT_PT9_S5_lS7_S5_lPT10_S5_li
                                        ; -- End function
	.set _ZL37rocblas_syrkx_herkx_restricted_kernelIifLi16ELi32ELi8ELin1ELi0ELb0ELc84ELc85EKPKfKPfEviT_PT9_S5_lS7_S5_lPT10_S5_li.num_vgpr, 34
	.set _ZL37rocblas_syrkx_herkx_restricted_kernelIifLi16ELi32ELi8ELin1ELi0ELb0ELc84ELc85EKPKfKPfEviT_PT9_S5_lS7_S5_lPT10_S5_li.num_agpr, 0
	.set _ZL37rocblas_syrkx_herkx_restricted_kernelIifLi16ELi32ELi8ELin1ELi0ELb0ELc84ELc85EKPKfKPfEviT_PT9_S5_lS7_S5_lPT10_S5_li.numbered_sgpr, 17
	.set _ZL37rocblas_syrkx_herkx_restricted_kernelIifLi16ELi32ELi8ELin1ELi0ELb0ELc84ELc85EKPKfKPfEviT_PT9_S5_lS7_S5_lPT10_S5_li.num_named_barrier, 0
	.set _ZL37rocblas_syrkx_herkx_restricted_kernelIifLi16ELi32ELi8ELin1ELi0ELb0ELc84ELc85EKPKfKPfEviT_PT9_S5_lS7_S5_lPT10_S5_li.private_seg_size, 0
	.set _ZL37rocblas_syrkx_herkx_restricted_kernelIifLi16ELi32ELi8ELin1ELi0ELb0ELc84ELc85EKPKfKPfEviT_PT9_S5_lS7_S5_lPT10_S5_li.uses_vcc, 1
	.set _ZL37rocblas_syrkx_herkx_restricted_kernelIifLi16ELi32ELi8ELin1ELi0ELb0ELc84ELc85EKPKfKPfEviT_PT9_S5_lS7_S5_lPT10_S5_li.uses_flat_scratch, 0
	.set _ZL37rocblas_syrkx_herkx_restricted_kernelIifLi16ELi32ELi8ELin1ELi0ELb0ELc84ELc85EKPKfKPfEviT_PT9_S5_lS7_S5_lPT10_S5_li.has_dyn_sized_stack, 0
	.set _ZL37rocblas_syrkx_herkx_restricted_kernelIifLi16ELi32ELi8ELin1ELi0ELb0ELc84ELc85EKPKfKPfEviT_PT9_S5_lS7_S5_lPT10_S5_li.has_recursion, 0
	.set _ZL37rocblas_syrkx_herkx_restricted_kernelIifLi16ELi32ELi8ELin1ELi0ELb0ELc84ELc85EKPKfKPfEviT_PT9_S5_lS7_S5_lPT10_S5_li.has_indirect_call, 0
	.section	.AMDGPU.csdata,"",@progbits
; Kernel info:
; codeLenInByte = 1016
; TotalNumSgprs: 21
; NumVgprs: 34
; ScratchSize: 0
; MemoryBound: 0
; FloatMode: 240
; IeeeMode: 1
; LDSByteSize: 2048 bytes/workgroup (compile time only)
; SGPRBlocks: 2
; VGPRBlocks: 8
; NumSGPRsForWavesPerEU: 21
; NumVGPRsForWavesPerEU: 34
; Occupancy: 7
; WaveLimiterHint : 1
; COMPUTE_PGM_RSRC2:SCRATCH_EN: 0
; COMPUTE_PGM_RSRC2:USER_SGPR: 6
; COMPUTE_PGM_RSRC2:TRAP_HANDLER: 0
; COMPUTE_PGM_RSRC2:TGID_X_EN: 1
; COMPUTE_PGM_RSRC2:TGID_Y_EN: 1
; COMPUTE_PGM_RSRC2:TGID_Z_EN: 1
; COMPUTE_PGM_RSRC2:TIDIG_COMP_CNT: 1
	.section	.text._ZL37rocblas_syrkx_herkx_restricted_kernelIifLi16ELi32ELi8ELin1ELi0ELb0ELc67ELc85EKPKfKPfEviT_PT9_S5_lS7_S5_lPT10_S5_li,"axG",@progbits,_ZL37rocblas_syrkx_herkx_restricted_kernelIifLi16ELi32ELi8ELin1ELi0ELb0ELc67ELc85EKPKfKPfEviT_PT9_S5_lS7_S5_lPT10_S5_li,comdat
	.globl	_ZL37rocblas_syrkx_herkx_restricted_kernelIifLi16ELi32ELi8ELin1ELi0ELb0ELc67ELc85EKPKfKPfEviT_PT9_S5_lS7_S5_lPT10_S5_li ; -- Begin function _ZL37rocblas_syrkx_herkx_restricted_kernelIifLi16ELi32ELi8ELin1ELi0ELb0ELc67ELc85EKPKfKPfEviT_PT9_S5_lS7_S5_lPT10_S5_li
	.p2align	8
	.type	_ZL37rocblas_syrkx_herkx_restricted_kernelIifLi16ELi32ELi8ELin1ELi0ELb0ELc67ELc85EKPKfKPfEviT_PT9_S5_lS7_S5_lPT10_S5_li,@function
_ZL37rocblas_syrkx_herkx_restricted_kernelIifLi16ELi32ELi8ELin1ELi0ELb0ELc67ELc85EKPKfKPfEviT_PT9_S5_lS7_S5_lPT10_S5_li: ; @_ZL37rocblas_syrkx_herkx_restricted_kernelIifLi16ELi32ELi8ELin1ELi0ELb0ELc67ELc85EKPKfKPfEviT_PT9_S5_lS7_S5_lPT10_S5_li
; %bb.0:
	s_load_dwordx2 s[10:11], s[4:5], 0x38
	s_load_dwordx2 s[2:3], s[4:5], 0x0
	s_mov_b32 s9, 0
	s_lshl_b64 s[0:1], s[8:9], 3
	s_waitcnt lgkmcnt(0)
	s_add_u32 s10, s10, s0
	s_addc_u32 s11, s11, s1
	s_load_dwordx2 s[10:11], s[10:11], 0x0
	s_lshl_b32 s6, s6, 5
	s_lshl_b32 s7, s7, 5
	s_cmp_lt_i32 s3, 1
	s_cbranch_scc1 .LBB486_3
; %bb.1:
	s_load_dwordx2 s[12:13], s[4:5], 0x8
	s_load_dword s8, s[4:5], 0x10
	s_load_dwordx2 s[14:15], s[4:5], 0x20
	s_load_dword s16, s[4:5], 0x28
	v_lshl_add_u32 v4, v1, 4, v0
	s_waitcnt lgkmcnt(0)
	s_add_u32 s12, s12, s0
	s_addc_u32 s13, s13, s1
	v_lshrrev_b32_e32 v8, 3, v4
	s_add_u32 s0, s14, s0
	v_add_u32_e32 v5, s7, v8
	v_and_b32_e32 v2, 7, v0
	v_mov_b32_e32 v3, 0
	s_addc_u32 s1, s15, s1
	v_mad_i64_i32 v[6:7], s[14:15], s16, v5, v[2:3]
	v_lshlrev_b32_e32 v2, 2, v2
	v_and_b32_e32 v9, 31, v4
	v_lshl_or_b32 v2, v8, 5, v2
	v_lshrrev_b32_e32 v4, 5, v4
	v_mov_b32_e32 v5, v3
	v_lshlrev_b32_e32 v10, 2, v9
	v_add_u32_e32 v11, 0x400, v2
	v_add_u32_e32 v2, s6, v9
	v_lshl_or_b32 v10, v4, 7, v10
	v_mad_i64_i32 v[4:5], s[14:15], s8, v2, v[4:5]
	s_load_dwordx2 s[12:13], s[12:13], 0x0
	v_mov_b32_e32 v2, 0x400
	s_load_dwordx2 s[0:1], s[0:1], 0x0
	v_lshlrev_b64 v[4:5], 2, v[4:5]
	v_lshl_add_u32 v13, v1, 5, v2
	s_waitcnt lgkmcnt(0)
	v_mov_b32_e32 v2, s13
	v_add_co_u32_e32 v4, vcc, s12, v4
	v_lshlrev_b64 v[6:7], 2, v[6:7]
	v_addc_co_u32_e32 v5, vcc, v2, v5, vcc
	v_mov_b32_e32 v2, s1
	v_add_co_u32_e32 v6, vcc, s0, v6
	v_lshlrev_b32_e32 v12, 2, v0
	v_addc_co_u32_e32 v7, vcc, v2, v7, vcc
	v_mov_b32_e32 v2, v3
	v_mov_b32_e32 v8, v3
	;; [unrolled: 1-line block ×3, first 2 shown]
.LBB486_2:                              ; =>This Inner Loop Header: Depth=1
	flat_load_dword v14, v[4:5]
	v_add_co_u32_e32 v4, vcc, 32, v4
	v_addc_co_u32_e32 v5, vcc, 0, v5, vcc
	s_add_i32 s9, s9, 8
	s_cmp_ge_i32 s9, s3
	s_waitcnt vmcnt(0) lgkmcnt(0)
	ds_write_b32 v10, v14
	flat_load_dword v14, v[6:7]
	v_add_co_u32_e32 v6, vcc, 32, v6
	v_addc_co_u32_e32 v7, vcc, 0, v7, vcc
	s_waitcnt vmcnt(0) lgkmcnt(0)
	ds_write_b32 v11, v14
	s_waitcnt lgkmcnt(0)
	s_barrier
	ds_read2_b32 v[26:27], v12 offset1:16
	ds_read_b128 v[14:17], v13
	ds_read2_b32 v[28:29], v12 offset0:32 offset1:48
	ds_read2_b32 v[30:31], v12 offset0:64 offset1:80
	ds_read_b128 v[18:21], v13 offset:16
	ds_read2_b32 v[32:33], v12 offset0:96 offset1:112
	s_waitcnt lgkmcnt(4)
	v_fmac_f32_e32 v9, v26, v14
	v_fmac_f32_e32 v8, v27, v14
	s_waitcnt lgkmcnt(3)
	v_fmac_f32_e32 v9, v28, v15
	v_fmac_f32_e32 v8, v29, v15
	;; [unrolled: 3-line block ×4, first 2 shown]
	ds_read_b128 v[14:17], v13 offset:512
	ds_read_b128 v[22:25], v13 offset:528
	s_waitcnt lgkmcnt(1)
	v_fmac_f32_e32 v2, v26, v14
	v_fmac_f32_e32 v3, v27, v14
	;; [unrolled: 1-line block ×8, first 2 shown]
	ds_read2_b32 v[14:15], v12 offset0:128 offset1:144
	ds_read2_b32 v[16:17], v12 offset0:160 offset1:176
	;; [unrolled: 1-line block ×3, first 2 shown]
	s_waitcnt lgkmcnt(2)
	v_fmac_f32_e32 v9, v14, v18
	v_fmac_f32_e32 v8, v15, v18
	;; [unrolled: 1-line block ×4, first 2 shown]
	ds_read2_b32 v[14:15], v12 offset0:224 offset1:240
	s_waitcnt lgkmcnt(2)
	v_fmac_f32_e32 v9, v16, v19
	v_fmac_f32_e32 v8, v17, v19
	v_fmac_f32_e32 v2, v16, v23
	v_fmac_f32_e32 v3, v17, v23
	s_waitcnt lgkmcnt(1)
	v_fmac_f32_e32 v9, v26, v20
	v_fmac_f32_e32 v8, v27, v20
	v_fmac_f32_e32 v2, v26, v24
	v_fmac_f32_e32 v3, v27, v24
	;; [unrolled: 5-line block ×3, first 2 shown]
	s_barrier
	s_cbranch_scc0 .LBB486_2
	s_branch .LBB486_4
.LBB486_3:
	v_mov_b32_e32 v9, 0
	v_mov_b32_e32 v8, 0
	;; [unrolled: 1-line block ×4, first 2 shown]
.LBB486_4:
	s_load_dword s3, s[4:5], 0x40
	v_add_u32_e32 v6, s7, v1
	s_waitcnt lgkmcnt(0)
	v_mov_b32_e32 v1, s11
	v_add_u32_e32 v0, s6, v0
	v_cmp_gt_i32_e32 vcc, s2, v6
	v_mad_i64_i32 v[4:5], s[0:1], v6, s3, 0
	v_lshlrev_b64 v[4:5], 2, v[4:5]
	v_add_co_u32_e64 v7, s[0:1], s10, v4
	v_addc_co_u32_e64 v10, s[0:1], v1, v5, s[0:1]
	v_cmp_le_i32_e64 s[0:1], v0, v6
	s_and_b64 s[0:1], vcc, s[0:1]
	s_and_saveexec_b64 s[4:5], s[0:1]
	s_cbranch_execz .LBB486_6
; %bb.5:
	v_ashrrev_i32_e32 v1, 31, v0
	v_lshlrev_b64 v[4:5], 2, v[0:1]
	v_xor_b32_e32 v9, 0x80000000, v9
	v_add_co_u32_e64 v4, s[0:1], v7, v4
	v_addc_co_u32_e64 v5, s[0:1], v10, v5, s[0:1]
	flat_store_dword v[4:5], v9
.LBB486_6:
	s_or_b64 exec, exec, s[4:5]
	v_add_u32_e32 v4, 16, v0
	v_cmp_le_i32_e64 s[0:1], v4, v6
	s_and_b64 s[4:5], vcc, s[0:1]
	s_and_saveexec_b64 s[0:1], s[4:5]
	s_cbranch_execz .LBB486_8
; %bb.7:
	v_ashrrev_i32_e32 v5, 31, v4
	v_xor_b32_e32 v1, 0x80000000, v8
	v_lshlrev_b64 v[8:9], 2, v[4:5]
	v_add_co_u32_e32 v7, vcc, v7, v8
	v_addc_co_u32_e32 v8, vcc, v10, v9, vcc
	flat_store_dword v[7:8], v1
.LBB486_8:
	s_or_b64 exec, exec, s[0:1]
	v_add_u32_e32 v5, 16, v6
	v_mad_i64_i32 v[6:7], s[0:1], v5, s3, 0
	v_mov_b32_e32 v1, s11
	v_cmp_gt_i32_e32 vcc, s2, v5
	v_lshlrev_b64 v[6:7], 2, v[6:7]
	v_add_co_u32_e64 v6, s[0:1], s10, v6
	v_addc_co_u32_e64 v7, s[0:1], v1, v7, s[0:1]
	v_cmp_le_i32_e64 s[0:1], v0, v5
	s_and_b64 s[0:1], vcc, s[0:1]
	s_and_saveexec_b64 s[2:3], s[0:1]
	s_cbranch_execz .LBB486_10
; %bb.9:
	v_ashrrev_i32_e32 v1, 31, v0
	v_lshlrev_b64 v[0:1], 2, v[0:1]
	v_xor_b32_e32 v2, 0x80000000, v2
	v_add_co_u32_e64 v0, s[0:1], v6, v0
	v_addc_co_u32_e64 v1, s[0:1], v7, v1, s[0:1]
	flat_store_dword v[0:1], v2
.LBB486_10:
	s_or_b64 exec, exec, s[2:3]
	v_cmp_le_i32_e64 s[0:1], v4, v5
	s_and_b64 s[0:1], vcc, s[0:1]
	s_and_saveexec_b64 s[2:3], s[0:1]
	s_cbranch_execz .LBB486_12
; %bb.11:
	v_ashrrev_i32_e32 v5, 31, v4
	v_lshlrev_b64 v[0:1], 2, v[4:5]
	v_xor_b32_e32 v2, 0x80000000, v3
	v_add_co_u32_e32 v0, vcc, v6, v0
	v_addc_co_u32_e32 v1, vcc, v7, v1, vcc
	flat_store_dword v[0:1], v2
.LBB486_12:
	s_endpgm
	.section	.rodata,"a",@progbits
	.p2align	6, 0x0
	.amdhsa_kernel _ZL37rocblas_syrkx_herkx_restricted_kernelIifLi16ELi32ELi8ELin1ELi0ELb0ELc67ELc85EKPKfKPfEviT_PT9_S5_lS7_S5_lPT10_S5_li
		.amdhsa_group_segment_fixed_size 2048
		.amdhsa_private_segment_fixed_size 0
		.amdhsa_kernarg_size 84
		.amdhsa_user_sgpr_count 6
		.amdhsa_user_sgpr_private_segment_buffer 1
		.amdhsa_user_sgpr_dispatch_ptr 0
		.amdhsa_user_sgpr_queue_ptr 0
		.amdhsa_user_sgpr_kernarg_segment_ptr 1
		.amdhsa_user_sgpr_dispatch_id 0
		.amdhsa_user_sgpr_flat_scratch_init 0
		.amdhsa_user_sgpr_private_segment_size 0
		.amdhsa_uses_dynamic_stack 0
		.amdhsa_system_sgpr_private_segment_wavefront_offset 0
		.amdhsa_system_sgpr_workgroup_id_x 1
		.amdhsa_system_sgpr_workgroup_id_y 1
		.amdhsa_system_sgpr_workgroup_id_z 1
		.amdhsa_system_sgpr_workgroup_info 0
		.amdhsa_system_vgpr_workitem_id 1
		.amdhsa_next_free_vgpr 34
		.amdhsa_next_free_sgpr 17
		.amdhsa_reserve_vcc 1
		.amdhsa_reserve_flat_scratch 0
		.amdhsa_float_round_mode_32 0
		.amdhsa_float_round_mode_16_64 0
		.amdhsa_float_denorm_mode_32 3
		.amdhsa_float_denorm_mode_16_64 3
		.amdhsa_dx10_clamp 1
		.amdhsa_ieee_mode 1
		.amdhsa_fp16_overflow 0
		.amdhsa_exception_fp_ieee_invalid_op 0
		.amdhsa_exception_fp_denorm_src 0
		.amdhsa_exception_fp_ieee_div_zero 0
		.amdhsa_exception_fp_ieee_overflow 0
		.amdhsa_exception_fp_ieee_underflow 0
		.amdhsa_exception_fp_ieee_inexact 0
		.amdhsa_exception_int_div_zero 0
	.end_amdhsa_kernel
	.section	.text._ZL37rocblas_syrkx_herkx_restricted_kernelIifLi16ELi32ELi8ELin1ELi0ELb0ELc67ELc85EKPKfKPfEviT_PT9_S5_lS7_S5_lPT10_S5_li,"axG",@progbits,_ZL37rocblas_syrkx_herkx_restricted_kernelIifLi16ELi32ELi8ELin1ELi0ELb0ELc67ELc85EKPKfKPfEviT_PT9_S5_lS7_S5_lPT10_S5_li,comdat
.Lfunc_end486:
	.size	_ZL37rocblas_syrkx_herkx_restricted_kernelIifLi16ELi32ELi8ELin1ELi0ELb0ELc67ELc85EKPKfKPfEviT_PT9_S5_lS7_S5_lPT10_S5_li, .Lfunc_end486-_ZL37rocblas_syrkx_herkx_restricted_kernelIifLi16ELi32ELi8ELin1ELi0ELb0ELc67ELc85EKPKfKPfEviT_PT9_S5_lS7_S5_lPT10_S5_li
                                        ; -- End function
	.set _ZL37rocblas_syrkx_herkx_restricted_kernelIifLi16ELi32ELi8ELin1ELi0ELb0ELc67ELc85EKPKfKPfEviT_PT9_S5_lS7_S5_lPT10_S5_li.num_vgpr, 34
	.set _ZL37rocblas_syrkx_herkx_restricted_kernelIifLi16ELi32ELi8ELin1ELi0ELb0ELc67ELc85EKPKfKPfEviT_PT9_S5_lS7_S5_lPT10_S5_li.num_agpr, 0
	.set _ZL37rocblas_syrkx_herkx_restricted_kernelIifLi16ELi32ELi8ELin1ELi0ELb0ELc67ELc85EKPKfKPfEviT_PT9_S5_lS7_S5_lPT10_S5_li.numbered_sgpr, 17
	.set _ZL37rocblas_syrkx_herkx_restricted_kernelIifLi16ELi32ELi8ELin1ELi0ELb0ELc67ELc85EKPKfKPfEviT_PT9_S5_lS7_S5_lPT10_S5_li.num_named_barrier, 0
	.set _ZL37rocblas_syrkx_herkx_restricted_kernelIifLi16ELi32ELi8ELin1ELi0ELb0ELc67ELc85EKPKfKPfEviT_PT9_S5_lS7_S5_lPT10_S5_li.private_seg_size, 0
	.set _ZL37rocblas_syrkx_herkx_restricted_kernelIifLi16ELi32ELi8ELin1ELi0ELb0ELc67ELc85EKPKfKPfEviT_PT9_S5_lS7_S5_lPT10_S5_li.uses_vcc, 1
	.set _ZL37rocblas_syrkx_herkx_restricted_kernelIifLi16ELi32ELi8ELin1ELi0ELb0ELc67ELc85EKPKfKPfEviT_PT9_S5_lS7_S5_lPT10_S5_li.uses_flat_scratch, 0
	.set _ZL37rocblas_syrkx_herkx_restricted_kernelIifLi16ELi32ELi8ELin1ELi0ELb0ELc67ELc85EKPKfKPfEviT_PT9_S5_lS7_S5_lPT10_S5_li.has_dyn_sized_stack, 0
	.set _ZL37rocblas_syrkx_herkx_restricted_kernelIifLi16ELi32ELi8ELin1ELi0ELb0ELc67ELc85EKPKfKPfEviT_PT9_S5_lS7_S5_lPT10_S5_li.has_recursion, 0
	.set _ZL37rocblas_syrkx_herkx_restricted_kernelIifLi16ELi32ELi8ELin1ELi0ELb0ELc67ELc85EKPKfKPfEviT_PT9_S5_lS7_S5_lPT10_S5_li.has_indirect_call, 0
	.section	.AMDGPU.csdata,"",@progbits
; Kernel info:
; codeLenInByte = 1016
; TotalNumSgprs: 21
; NumVgprs: 34
; ScratchSize: 0
; MemoryBound: 0
; FloatMode: 240
; IeeeMode: 1
; LDSByteSize: 2048 bytes/workgroup (compile time only)
; SGPRBlocks: 2
; VGPRBlocks: 8
; NumSGPRsForWavesPerEU: 21
; NumVGPRsForWavesPerEU: 34
; Occupancy: 7
; WaveLimiterHint : 1
; COMPUTE_PGM_RSRC2:SCRATCH_EN: 0
; COMPUTE_PGM_RSRC2:USER_SGPR: 6
; COMPUTE_PGM_RSRC2:TRAP_HANDLER: 0
; COMPUTE_PGM_RSRC2:TGID_X_EN: 1
; COMPUTE_PGM_RSRC2:TGID_Y_EN: 1
; COMPUTE_PGM_RSRC2:TGID_Z_EN: 1
; COMPUTE_PGM_RSRC2:TIDIG_COMP_CNT: 1
	.section	.text._ZL37rocblas_syrkx_herkx_restricted_kernelIifLi16ELi32ELi8ELin1ELi0ELb0ELc78ELc85EKPKfKPfEviT_PT9_S5_lS7_S5_lPT10_S5_li,"axG",@progbits,_ZL37rocblas_syrkx_herkx_restricted_kernelIifLi16ELi32ELi8ELin1ELi0ELb0ELc78ELc85EKPKfKPfEviT_PT9_S5_lS7_S5_lPT10_S5_li,comdat
	.globl	_ZL37rocblas_syrkx_herkx_restricted_kernelIifLi16ELi32ELi8ELin1ELi0ELb0ELc78ELc85EKPKfKPfEviT_PT9_S5_lS7_S5_lPT10_S5_li ; -- Begin function _ZL37rocblas_syrkx_herkx_restricted_kernelIifLi16ELi32ELi8ELin1ELi0ELb0ELc78ELc85EKPKfKPfEviT_PT9_S5_lS7_S5_lPT10_S5_li
	.p2align	8
	.type	_ZL37rocblas_syrkx_herkx_restricted_kernelIifLi16ELi32ELi8ELin1ELi0ELb0ELc78ELc85EKPKfKPfEviT_PT9_S5_lS7_S5_lPT10_S5_li,@function
_ZL37rocblas_syrkx_herkx_restricted_kernelIifLi16ELi32ELi8ELin1ELi0ELb0ELc78ELc85EKPKfKPfEviT_PT9_S5_lS7_S5_lPT10_S5_li: ; @_ZL37rocblas_syrkx_herkx_restricted_kernelIifLi16ELi32ELi8ELin1ELi0ELb0ELc78ELc85EKPKfKPfEviT_PT9_S5_lS7_S5_lPT10_S5_li
; %bb.0:
	s_load_dwordx2 s[10:11], s[4:5], 0x38
	s_load_dwordx2 s[2:3], s[4:5], 0x0
	s_mov_b32 s9, 0
	s_lshl_b64 s[0:1], s[8:9], 3
	s_waitcnt lgkmcnt(0)
	s_add_u32 s10, s10, s0
	s_addc_u32 s11, s11, s1
	s_load_dwordx2 s[10:11], s[10:11], 0x0
	s_lshl_b32 s8, s6, 5
	s_lshl_b32 s12, s7, 5
	s_cmp_lt_i32 s3, 1
	s_cbranch_scc1 .LBB487_3
; %bb.1:
	s_load_dword s6, s[4:5], 0x10
	s_load_dword s14, s[4:5], 0x28
	s_load_dwordx2 s[16:17], s[4:5], 0x8
	s_load_dwordx2 s[18:19], s[4:5], 0x20
	v_lshl_add_u32 v7, v1, 4, v0
	s_waitcnt lgkmcnt(0)
	s_ashr_i32 s7, s6, 31
	s_ashr_i32 s15, s14, 31
	s_add_u32 s16, s16, s0
	s_addc_u32 s17, s17, s1
	v_lshrrev_b32_e32 v8, 3, v7
	s_add_u32 s0, s18, s0
	v_add_u32_e32 v2, s12, v8
	s_addc_u32 s1, s19, s1
	v_and_b32_e32 v6, 7, v0
	v_ashrrev_i32_e32 v3, 31, v2
	s_load_dwordx2 s[18:19], s[0:1], 0x0
	v_mad_i64_i32 v[4:5], s[0:1], s14, v6, v[2:3]
	v_and_b32_e32 v2, 31, v7
	v_lshrrev_b32_e32 v9, 5, v7
	v_lshlrev_b32_e32 v3, 2, v2
	v_lshl_or_b32 v10, v9, 7, v3
	v_lshlrev_b32_e32 v3, 2, v6
	v_lshl_or_b32 v3, v8, 5, v3
	v_add_u32_e32 v2, s8, v2
	v_add_u32_e32 v11, 0x400, v3
	v_ashrrev_i32_e32 v3, 31, v2
	v_mad_i64_i32 v[2:3], s[0:1], s6, v9, v[2:3]
	s_load_dwordx2 s[16:17], s[16:17], 0x0
	v_mov_b32_e32 v6, 0x400
	v_lshlrev_b64 v[2:3], 2, v[2:3]
	v_lshl_add_u32 v13, v1, 5, v6
	v_lshlrev_b64 v[4:5], 2, v[4:5]
	s_waitcnt lgkmcnt(0)
	v_mov_b32_e32 v6, s17
	v_add_co_u32_e32 v2, vcc, s16, v2
	v_addc_co_u32_e32 v3, vcc, v6, v3, vcc
	s_lshl_b64 s[0:1], s[6:7], 5
	v_mov_b32_e32 v6, s19
	v_add_co_u32_e32 v4, vcc, s18, v4
	s_lshl_b64 s[6:7], s[14:15], 5
	v_lshlrev_b32_e32 v12, 2, v0
	v_addc_co_u32_e32 v5, vcc, v6, v5, vcc
	v_mov_b32_e32 v6, 0
	v_mov_b32_e32 v14, s1
	;; [unrolled: 1-line block ×6, first 2 shown]
.LBB487_2:                              ; =>This Inner Loop Header: Depth=1
	flat_load_dword v16, v[2:3]
	v_add_co_u32_e32 v2, vcc, s0, v2
	v_addc_co_u32_e32 v3, vcc, v3, v14, vcc
	s_add_i32 s9, s9, 8
	s_cmp_ge_i32 s9, s3
	s_waitcnt vmcnt(0) lgkmcnt(0)
	ds_write_b32 v10, v16
	flat_load_dword v16, v[4:5]
	v_add_co_u32_e32 v4, vcc, s6, v4
	v_addc_co_u32_e32 v5, vcc, v5, v15, vcc
	s_waitcnt vmcnt(0) lgkmcnt(0)
	ds_write_b32 v11, v16
	s_waitcnt lgkmcnt(0)
	s_barrier
	ds_read2_b32 v[28:29], v12 offset1:16
	ds_read_b128 v[16:19], v13
	ds_read2_b32 v[30:31], v12 offset0:32 offset1:48
	ds_read2_b32 v[32:33], v12 offset0:64 offset1:80
	ds_read_b128 v[20:23], v13 offset:16
	ds_read2_b32 v[34:35], v12 offset0:96 offset1:112
	s_waitcnt lgkmcnt(4)
	v_fmac_f32_e32 v9, v28, v16
	v_fmac_f32_e32 v8, v29, v16
	s_waitcnt lgkmcnt(3)
	v_fmac_f32_e32 v9, v30, v17
	v_fmac_f32_e32 v8, v31, v17
	;; [unrolled: 3-line block ×4, first 2 shown]
	ds_read_b128 v[16:19], v13 offset:512
	ds_read_b128 v[24:27], v13 offset:528
	s_waitcnt lgkmcnt(1)
	v_fmac_f32_e32 v7, v28, v16
	v_fmac_f32_e32 v6, v29, v16
	;; [unrolled: 1-line block ×8, first 2 shown]
	ds_read2_b32 v[16:17], v12 offset0:128 offset1:144
	ds_read2_b32 v[18:19], v12 offset0:160 offset1:176
	;; [unrolled: 1-line block ×3, first 2 shown]
	s_waitcnt lgkmcnt(2)
	v_fmac_f32_e32 v9, v16, v20
	v_fmac_f32_e32 v8, v17, v20
	;; [unrolled: 1-line block ×4, first 2 shown]
	ds_read2_b32 v[16:17], v12 offset0:224 offset1:240
	s_waitcnt lgkmcnt(2)
	v_fmac_f32_e32 v9, v18, v21
	v_fmac_f32_e32 v8, v19, v21
	v_fmac_f32_e32 v7, v18, v25
	v_fmac_f32_e32 v6, v19, v25
	s_waitcnt lgkmcnt(1)
	v_fmac_f32_e32 v9, v28, v22
	v_fmac_f32_e32 v8, v29, v22
	v_fmac_f32_e32 v7, v28, v26
	v_fmac_f32_e32 v6, v29, v26
	;; [unrolled: 5-line block ×3, first 2 shown]
	s_barrier
	s_cbranch_scc0 .LBB487_2
	s_branch .LBB487_4
.LBB487_3:
	v_mov_b32_e32 v9, 0
	v_mov_b32_e32 v8, 0
	;; [unrolled: 1-line block ×4, first 2 shown]
.LBB487_4:
	s_load_dword s3, s[4:5], 0x40
	v_add_u32_e32 v4, s12, v1
	s_waitcnt lgkmcnt(0)
	v_mov_b32_e32 v3, s11
	v_add_u32_e32 v0, s8, v0
	v_cmp_gt_i32_e32 vcc, s2, v4
	v_mad_i64_i32 v[1:2], s[0:1], v4, s3, 0
	v_lshlrev_b64 v[1:2], 2, v[1:2]
	v_add_co_u32_e64 v5, s[0:1], s10, v1
	v_addc_co_u32_e64 v10, s[0:1], v3, v2, s[0:1]
	v_cmp_le_i32_e64 s[0:1], v0, v4
	s_and_b64 s[0:1], vcc, s[0:1]
	s_and_saveexec_b64 s[4:5], s[0:1]
	s_cbranch_execz .LBB487_6
; %bb.5:
	v_ashrrev_i32_e32 v1, 31, v0
	v_lshlrev_b64 v[1:2], 2, v[0:1]
	v_xor_b32_e32 v3, 0x80000000, v9
	v_add_co_u32_e64 v1, s[0:1], v5, v1
	v_addc_co_u32_e64 v2, s[0:1], v10, v2, s[0:1]
	flat_store_dword v[1:2], v3
.LBB487_6:
	s_or_b64 exec, exec, s[4:5]
	v_add_u32_e32 v2, 16, v0
	v_cmp_le_i32_e64 s[0:1], v2, v4
	s_and_b64 s[4:5], vcc, s[0:1]
	s_and_saveexec_b64 s[0:1], s[4:5]
	s_cbranch_execz .LBB487_8
; %bb.7:
	v_ashrrev_i32_e32 v3, 31, v2
	v_xor_b32_e32 v1, 0x80000000, v8
	v_lshlrev_b64 v[8:9], 2, v[2:3]
	v_add_co_u32_e32 v8, vcc, v5, v8
	v_addc_co_u32_e32 v9, vcc, v10, v9, vcc
	flat_store_dword v[8:9], v1
.LBB487_8:
	s_or_b64 exec, exec, s[0:1]
	v_add_u32_e32 v3, 16, v4
	v_mad_i64_i32 v[4:5], s[0:1], v3, s3, 0
	v_mov_b32_e32 v1, s11
	v_cmp_gt_i32_e32 vcc, s2, v3
	v_lshlrev_b64 v[4:5], 2, v[4:5]
	v_add_co_u32_e64 v4, s[0:1], s10, v4
	v_addc_co_u32_e64 v5, s[0:1], v1, v5, s[0:1]
	v_cmp_le_i32_e64 s[0:1], v0, v3
	s_and_b64 s[0:1], vcc, s[0:1]
	s_and_saveexec_b64 s[2:3], s[0:1]
	s_cbranch_execz .LBB487_10
; %bb.9:
	v_ashrrev_i32_e32 v1, 31, v0
	v_lshlrev_b64 v[0:1], 2, v[0:1]
	v_xor_b32_e32 v7, 0x80000000, v7
	v_add_co_u32_e64 v0, s[0:1], v4, v0
	v_addc_co_u32_e64 v1, s[0:1], v5, v1, s[0:1]
	flat_store_dword v[0:1], v7
.LBB487_10:
	s_or_b64 exec, exec, s[2:3]
	v_cmp_le_i32_e64 s[0:1], v2, v3
	s_and_b64 s[0:1], vcc, s[0:1]
	s_and_saveexec_b64 s[2:3], s[0:1]
	s_cbranch_execz .LBB487_12
; %bb.11:
	v_ashrrev_i32_e32 v3, 31, v2
	v_lshlrev_b64 v[0:1], 2, v[2:3]
	v_xor_b32_e32 v6, 0x80000000, v6
	v_add_co_u32_e32 v0, vcc, v4, v0
	v_addc_co_u32_e32 v1, vcc, v5, v1, vcc
	flat_store_dword v[0:1], v6
.LBB487_12:
	s_endpgm
	.section	.rodata,"a",@progbits
	.p2align	6, 0x0
	.amdhsa_kernel _ZL37rocblas_syrkx_herkx_restricted_kernelIifLi16ELi32ELi8ELin1ELi0ELb0ELc78ELc85EKPKfKPfEviT_PT9_S5_lS7_S5_lPT10_S5_li
		.amdhsa_group_segment_fixed_size 2048
		.amdhsa_private_segment_fixed_size 0
		.amdhsa_kernarg_size 84
		.amdhsa_user_sgpr_count 6
		.amdhsa_user_sgpr_private_segment_buffer 1
		.amdhsa_user_sgpr_dispatch_ptr 0
		.amdhsa_user_sgpr_queue_ptr 0
		.amdhsa_user_sgpr_kernarg_segment_ptr 1
		.amdhsa_user_sgpr_dispatch_id 0
		.amdhsa_user_sgpr_flat_scratch_init 0
		.amdhsa_user_sgpr_private_segment_size 0
		.amdhsa_uses_dynamic_stack 0
		.amdhsa_system_sgpr_private_segment_wavefront_offset 0
		.amdhsa_system_sgpr_workgroup_id_x 1
		.amdhsa_system_sgpr_workgroup_id_y 1
		.amdhsa_system_sgpr_workgroup_id_z 1
		.amdhsa_system_sgpr_workgroup_info 0
		.amdhsa_system_vgpr_workitem_id 1
		.amdhsa_next_free_vgpr 36
		.amdhsa_next_free_sgpr 20
		.amdhsa_reserve_vcc 1
		.amdhsa_reserve_flat_scratch 0
		.amdhsa_float_round_mode_32 0
		.amdhsa_float_round_mode_16_64 0
		.amdhsa_float_denorm_mode_32 3
		.amdhsa_float_denorm_mode_16_64 3
		.amdhsa_dx10_clamp 1
		.amdhsa_ieee_mode 1
		.amdhsa_fp16_overflow 0
		.amdhsa_exception_fp_ieee_invalid_op 0
		.amdhsa_exception_fp_denorm_src 0
		.amdhsa_exception_fp_ieee_div_zero 0
		.amdhsa_exception_fp_ieee_overflow 0
		.amdhsa_exception_fp_ieee_underflow 0
		.amdhsa_exception_fp_ieee_inexact 0
		.amdhsa_exception_int_div_zero 0
	.end_amdhsa_kernel
	.section	.text._ZL37rocblas_syrkx_herkx_restricted_kernelIifLi16ELi32ELi8ELin1ELi0ELb0ELc78ELc85EKPKfKPfEviT_PT9_S5_lS7_S5_lPT10_S5_li,"axG",@progbits,_ZL37rocblas_syrkx_herkx_restricted_kernelIifLi16ELi32ELi8ELin1ELi0ELb0ELc78ELc85EKPKfKPfEviT_PT9_S5_lS7_S5_lPT10_S5_li,comdat
.Lfunc_end487:
	.size	_ZL37rocblas_syrkx_herkx_restricted_kernelIifLi16ELi32ELi8ELin1ELi0ELb0ELc78ELc85EKPKfKPfEviT_PT9_S5_lS7_S5_lPT10_S5_li, .Lfunc_end487-_ZL37rocblas_syrkx_herkx_restricted_kernelIifLi16ELi32ELi8ELin1ELi0ELb0ELc78ELc85EKPKfKPfEviT_PT9_S5_lS7_S5_lPT10_S5_li
                                        ; -- End function
	.set _ZL37rocblas_syrkx_herkx_restricted_kernelIifLi16ELi32ELi8ELin1ELi0ELb0ELc78ELc85EKPKfKPfEviT_PT9_S5_lS7_S5_lPT10_S5_li.num_vgpr, 36
	.set _ZL37rocblas_syrkx_herkx_restricted_kernelIifLi16ELi32ELi8ELin1ELi0ELb0ELc78ELc85EKPKfKPfEviT_PT9_S5_lS7_S5_lPT10_S5_li.num_agpr, 0
	.set _ZL37rocblas_syrkx_herkx_restricted_kernelIifLi16ELi32ELi8ELin1ELi0ELb0ELc78ELc85EKPKfKPfEviT_PT9_S5_lS7_S5_lPT10_S5_li.numbered_sgpr, 20
	.set _ZL37rocblas_syrkx_herkx_restricted_kernelIifLi16ELi32ELi8ELin1ELi0ELb0ELc78ELc85EKPKfKPfEviT_PT9_S5_lS7_S5_lPT10_S5_li.num_named_barrier, 0
	.set _ZL37rocblas_syrkx_herkx_restricted_kernelIifLi16ELi32ELi8ELin1ELi0ELb0ELc78ELc85EKPKfKPfEviT_PT9_S5_lS7_S5_lPT10_S5_li.private_seg_size, 0
	.set _ZL37rocblas_syrkx_herkx_restricted_kernelIifLi16ELi32ELi8ELin1ELi0ELb0ELc78ELc85EKPKfKPfEviT_PT9_S5_lS7_S5_lPT10_S5_li.uses_vcc, 1
	.set _ZL37rocblas_syrkx_herkx_restricted_kernelIifLi16ELi32ELi8ELin1ELi0ELb0ELc78ELc85EKPKfKPfEviT_PT9_S5_lS7_S5_lPT10_S5_li.uses_flat_scratch, 0
	.set _ZL37rocblas_syrkx_herkx_restricted_kernelIifLi16ELi32ELi8ELin1ELi0ELb0ELc78ELc85EKPKfKPfEviT_PT9_S5_lS7_S5_lPT10_S5_li.has_dyn_sized_stack, 0
	.set _ZL37rocblas_syrkx_herkx_restricted_kernelIifLi16ELi32ELi8ELin1ELi0ELb0ELc78ELc85EKPKfKPfEviT_PT9_S5_lS7_S5_lPT10_S5_li.has_recursion, 0
	.set _ZL37rocblas_syrkx_herkx_restricted_kernelIifLi16ELi32ELi8ELin1ELi0ELb0ELc78ELc85EKPKfKPfEviT_PT9_S5_lS7_S5_lPT10_S5_li.has_indirect_call, 0
	.section	.AMDGPU.csdata,"",@progbits
; Kernel info:
; codeLenInByte = 1044
; TotalNumSgprs: 24
; NumVgprs: 36
; ScratchSize: 0
; MemoryBound: 0
; FloatMode: 240
; IeeeMode: 1
; LDSByteSize: 2048 bytes/workgroup (compile time only)
; SGPRBlocks: 2
; VGPRBlocks: 8
; NumSGPRsForWavesPerEU: 24
; NumVGPRsForWavesPerEU: 36
; Occupancy: 7
; WaveLimiterHint : 1
; COMPUTE_PGM_RSRC2:SCRATCH_EN: 0
; COMPUTE_PGM_RSRC2:USER_SGPR: 6
; COMPUTE_PGM_RSRC2:TRAP_HANDLER: 0
; COMPUTE_PGM_RSRC2:TGID_X_EN: 1
; COMPUTE_PGM_RSRC2:TGID_Y_EN: 1
; COMPUTE_PGM_RSRC2:TGID_Z_EN: 1
; COMPUTE_PGM_RSRC2:TIDIG_COMP_CNT: 1
	.section	.text._ZL37rocblas_syrkx_herkx_restricted_kernelIifLi16ELi32ELi8ELb1ELb0ELc84ELc76EKPKfKPfEviT_T0_PT8_S5_lS8_S5_lS6_PT9_S5_li,"axG",@progbits,_ZL37rocblas_syrkx_herkx_restricted_kernelIifLi16ELi32ELi8ELb1ELb0ELc84ELc76EKPKfKPfEviT_T0_PT8_S5_lS8_S5_lS6_PT9_S5_li,comdat
	.globl	_ZL37rocblas_syrkx_herkx_restricted_kernelIifLi16ELi32ELi8ELb1ELb0ELc84ELc76EKPKfKPfEviT_T0_PT8_S5_lS8_S5_lS6_PT9_S5_li ; -- Begin function _ZL37rocblas_syrkx_herkx_restricted_kernelIifLi16ELi32ELi8ELb1ELb0ELc84ELc76EKPKfKPfEviT_T0_PT8_S5_lS8_S5_lS6_PT9_S5_li
	.p2align	8
	.type	_ZL37rocblas_syrkx_herkx_restricted_kernelIifLi16ELi32ELi8ELb1ELb0ELc84ELc76EKPKfKPfEviT_T0_PT8_S5_lS8_S5_lS6_PT9_S5_li,@function
_ZL37rocblas_syrkx_herkx_restricted_kernelIifLi16ELi32ELi8ELb1ELb0ELc84ELc76EKPKfKPfEviT_T0_PT8_S5_lS8_S5_lS6_PT9_S5_li: ; @_ZL37rocblas_syrkx_herkx_restricted_kernelIifLi16ELi32ELi8ELb1ELb0ELc84ELc76EKPKfKPfEviT_T0_PT8_S5_lS8_S5_lS6_PT9_S5_li
; %bb.0:
	s_load_dwordx2 s[2:3], s[4:5], 0x48
	s_load_dwordx4 s[12:15], s[4:5], 0x0
	s_mov_b32 s9, 0
	s_lshl_b64 s[0:1], s[8:9], 3
	s_waitcnt lgkmcnt(0)
	s_add_u32 s2, s2, s0
	s_addc_u32 s3, s3, s1
	s_load_dwordx2 s[10:11], s[2:3], 0x0
	s_lshl_b32 s2, s6, 5
	s_lshl_b32 s3, s7, 5
	s_cmp_lt_i32 s13, 1
	s_cbranch_scc1 .LBB488_3
; %bb.1:
	s_load_dwordx2 s[6:7], s[4:5], 0x10
	s_load_dword s8, s[4:5], 0x18
	s_load_dwordx2 s[16:17], s[4:5], 0x28
	s_load_dword s15, s[4:5], 0x30
	v_lshl_add_u32 v3, v1, 4, v0
	v_and_b32_e32 v8, 31, v3
	s_waitcnt lgkmcnt(0)
	s_add_u32 s6, s6, s0
	v_lshrrev_b32_e32 v4, 5, v3
	v_and_b32_e32 v2, 7, v0
	v_lshlrev_b32_e32 v9, 2, v8
	s_addc_u32 s7, s7, s1
	v_lshrrev_b32_e32 v6, 3, v3
	v_lshl_or_b32 v10, v4, 7, v9
	v_lshlrev_b32_e32 v9, 2, v2
	s_add_u32 s0, s16, s0
	v_add_u32_e32 v7, s3, v6
	v_mov_b32_e32 v3, 0
	v_lshl_or_b32 v6, v6, 5, v9
	s_addc_u32 s1, s17, s1
	v_add_u32_e32 v11, 0x400, v6
	v_mad_i64_i32 v[6:7], s[16:17], s15, v7, v[2:3]
	s_load_dwordx2 s[0:1], s[0:1], 0x0
	v_mov_b32_e32 v5, v3
	v_add_u32_e32 v8, s2, v8
	v_mad_i64_i32 v[8:9], s[16:17], s8, v8, v[4:5]
	s_load_dwordx2 s[6:7], s[6:7], 0x0
	v_lshlrev_b64 v[6:7], 2, v[6:7]
	v_mov_b32_e32 v2, 0x400
	v_lshl_add_u32 v13, v1, 5, v2
	s_waitcnt lgkmcnt(0)
	v_mov_b32_e32 v2, s1
	v_add_co_u32_e32 v4, vcc, s0, v6
	v_addc_co_u32_e32 v5, vcc, v2, v7, vcc
	v_lshlrev_b64 v[6:7], 2, v[8:9]
	v_mov_b32_e32 v2, s7
	v_add_co_u32_e32 v6, vcc, s6, v6
	v_lshlrev_b32_e32 v12, 2, v0
	v_addc_co_u32_e32 v7, vcc, v2, v7, vcc
	v_mov_b32_e32 v2, v3
	v_mov_b32_e32 v8, v3
	;; [unrolled: 1-line block ×3, first 2 shown]
.LBB488_2:                              ; =>This Inner Loop Header: Depth=1
	flat_load_dword v14, v[6:7]
	v_add_co_u32_e32 v6, vcc, 32, v6
	v_addc_co_u32_e32 v7, vcc, 0, v7, vcc
	s_add_i32 s9, s9, 8
	s_cmp_ge_i32 s9, s13
	s_waitcnt vmcnt(0) lgkmcnt(0)
	ds_write_b32 v10, v14
	flat_load_dword v14, v[4:5]
	v_add_co_u32_e32 v4, vcc, 32, v4
	v_addc_co_u32_e32 v5, vcc, 0, v5, vcc
	s_waitcnt vmcnt(0) lgkmcnt(0)
	ds_write_b32 v11, v14
	s_waitcnt lgkmcnt(0)
	s_barrier
	ds_read2_b32 v[26:27], v12 offset1:16
	ds_read_b128 v[14:17], v13
	ds_read2_b32 v[28:29], v12 offset0:32 offset1:48
	ds_read2_b32 v[30:31], v12 offset0:64 offset1:80
	ds_read_b128 v[18:21], v13 offset:16
	ds_read2_b32 v[32:33], v12 offset0:96 offset1:112
	s_waitcnt lgkmcnt(4)
	v_fmac_f32_e32 v9, v26, v14
	v_fmac_f32_e32 v8, v27, v14
	s_waitcnt lgkmcnt(3)
	v_fmac_f32_e32 v9, v28, v15
	v_fmac_f32_e32 v8, v29, v15
	;; [unrolled: 3-line block ×4, first 2 shown]
	ds_read_b128 v[14:17], v13 offset:512
	ds_read_b128 v[22:25], v13 offset:528
	s_waitcnt lgkmcnt(1)
	v_fmac_f32_e32 v2, v26, v14
	v_fmac_f32_e32 v3, v27, v14
	;; [unrolled: 1-line block ×8, first 2 shown]
	ds_read2_b32 v[14:15], v12 offset0:128 offset1:144
	ds_read2_b32 v[16:17], v12 offset0:160 offset1:176
	;; [unrolled: 1-line block ×3, first 2 shown]
	s_waitcnt lgkmcnt(2)
	v_fmac_f32_e32 v9, v14, v18
	v_fmac_f32_e32 v8, v15, v18
	;; [unrolled: 1-line block ×4, first 2 shown]
	ds_read2_b32 v[14:15], v12 offset0:224 offset1:240
	s_waitcnt lgkmcnt(2)
	v_fmac_f32_e32 v9, v16, v19
	v_fmac_f32_e32 v8, v17, v19
	v_fmac_f32_e32 v2, v16, v23
	v_fmac_f32_e32 v3, v17, v23
	s_waitcnt lgkmcnt(1)
	v_fmac_f32_e32 v9, v26, v20
	v_fmac_f32_e32 v8, v27, v20
	v_fmac_f32_e32 v2, v26, v24
	v_fmac_f32_e32 v3, v27, v24
	;; [unrolled: 5-line block ×3, first 2 shown]
	s_barrier
	s_cbranch_scc0 .LBB488_2
	s_branch .LBB488_4
.LBB488_3:
	v_mov_b32_e32 v9, 0
	v_mov_b32_e32 v8, 0
	;; [unrolled: 1-line block ×4, first 2 shown]
.LBB488_4:
	s_load_dword s6, s[4:5], 0x50
	v_add_u32_e32 v6, s3, v1
	s_waitcnt lgkmcnt(0)
	v_mov_b32_e32 v1, s11
	v_add_u32_e32 v0, s2, v0
	v_mad_i64_i32 v[4:5], s[0:1], v6, s6, 0
	v_cmp_le_i32_e64 s[0:1], v6, v0
	v_lshlrev_b64 v[4:5], 2, v[4:5]
	v_add_co_u32_e32 v7, vcc, s10, v4
	v_addc_co_u32_e32 v10, vcc, v1, v5, vcc
	v_cmp_gt_i32_e32 vcc, s12, v0
	s_and_b64 s[0:1], s[0:1], vcc
	s_and_saveexec_b64 s[2:3], s[0:1]
	s_cbranch_execz .LBB488_6
; %bb.5:
	v_ashrrev_i32_e32 v1, 31, v0
	v_lshlrev_b64 v[4:5], 2, v[0:1]
	v_mul_f32_e32 v9, s14, v9
	v_add_co_u32_e64 v4, s[0:1], v7, v4
	v_addc_co_u32_e64 v5, s[0:1], v10, v5, s[0:1]
	flat_store_dword v[4:5], v9
.LBB488_6:
	s_or_b64 exec, exec, s[2:3]
	v_add_u32_e32 v4, 16, v0
	v_cmp_le_i32_e64 s[2:3], v6, v4
	v_cmp_gt_i32_e64 s[0:1], s12, v4
	s_and_b64 s[2:3], s[2:3], s[0:1]
	s_and_saveexec_b64 s[4:5], s[2:3]
	s_cbranch_execz .LBB488_8
; %bb.7:
	v_ashrrev_i32_e32 v5, 31, v4
	v_mul_f32_e32 v1, s14, v8
	v_lshlrev_b64 v[8:9], 2, v[4:5]
	v_add_co_u32_e64 v7, s[2:3], v7, v8
	v_addc_co_u32_e64 v8, s[2:3], v10, v9, s[2:3]
	flat_store_dword v[7:8], v1
.LBB488_8:
	s_or_b64 exec, exec, s[4:5]
	v_add_u32_e32 v5, 16, v6
	v_mad_i64_i32 v[6:7], s[2:3], v5, s6, 0
	v_mov_b32_e32 v1, s11
	v_lshlrev_b64 v[6:7], 2, v[6:7]
	v_add_co_u32_e64 v6, s[2:3], s10, v6
	v_addc_co_u32_e64 v7, s[2:3], v1, v7, s[2:3]
	v_cmp_le_i32_e64 s[2:3], v5, v0
	s_and_b64 s[4:5], s[2:3], vcc
	s_and_saveexec_b64 s[2:3], s[4:5]
	s_cbranch_execz .LBB488_10
; %bb.9:
	v_ashrrev_i32_e32 v1, 31, v0
	v_lshlrev_b64 v[0:1], 2, v[0:1]
	v_mul_f32_e32 v2, s14, v2
	v_add_co_u32_e32 v0, vcc, v6, v0
	v_addc_co_u32_e32 v1, vcc, v7, v1, vcc
	flat_store_dword v[0:1], v2
.LBB488_10:
	s_or_b64 exec, exec, s[2:3]
	v_cmp_le_i32_e32 vcc, v5, v4
	s_and_b64 s[0:1], vcc, s[0:1]
	s_and_saveexec_b64 s[2:3], s[0:1]
	s_cbranch_execz .LBB488_12
; %bb.11:
	v_ashrrev_i32_e32 v5, 31, v4
	v_lshlrev_b64 v[0:1], 2, v[4:5]
	v_mul_f32_e32 v2, s14, v3
	v_add_co_u32_e32 v0, vcc, v6, v0
	v_addc_co_u32_e32 v1, vcc, v7, v1, vcc
	flat_store_dword v[0:1], v2
.LBB488_12:
	s_endpgm
	.section	.rodata,"a",@progbits
	.p2align	6, 0x0
	.amdhsa_kernel _ZL37rocblas_syrkx_herkx_restricted_kernelIifLi16ELi32ELi8ELb1ELb0ELc84ELc76EKPKfKPfEviT_T0_PT8_S5_lS8_S5_lS6_PT9_S5_li
		.amdhsa_group_segment_fixed_size 2048
		.amdhsa_private_segment_fixed_size 0
		.amdhsa_kernarg_size 100
		.amdhsa_user_sgpr_count 6
		.amdhsa_user_sgpr_private_segment_buffer 1
		.amdhsa_user_sgpr_dispatch_ptr 0
		.amdhsa_user_sgpr_queue_ptr 0
		.amdhsa_user_sgpr_kernarg_segment_ptr 1
		.amdhsa_user_sgpr_dispatch_id 0
		.amdhsa_user_sgpr_flat_scratch_init 0
		.amdhsa_user_sgpr_private_segment_size 0
		.amdhsa_uses_dynamic_stack 0
		.amdhsa_system_sgpr_private_segment_wavefront_offset 0
		.amdhsa_system_sgpr_workgroup_id_x 1
		.amdhsa_system_sgpr_workgroup_id_y 1
		.amdhsa_system_sgpr_workgroup_id_z 1
		.amdhsa_system_sgpr_workgroup_info 0
		.amdhsa_system_vgpr_workitem_id 1
		.amdhsa_next_free_vgpr 34
		.amdhsa_next_free_sgpr 18
		.amdhsa_reserve_vcc 1
		.amdhsa_reserve_flat_scratch 0
		.amdhsa_float_round_mode_32 0
		.amdhsa_float_round_mode_16_64 0
		.amdhsa_float_denorm_mode_32 3
		.amdhsa_float_denorm_mode_16_64 3
		.amdhsa_dx10_clamp 1
		.amdhsa_ieee_mode 1
		.amdhsa_fp16_overflow 0
		.amdhsa_exception_fp_ieee_invalid_op 0
		.amdhsa_exception_fp_denorm_src 0
		.amdhsa_exception_fp_ieee_div_zero 0
		.amdhsa_exception_fp_ieee_overflow 0
		.amdhsa_exception_fp_ieee_underflow 0
		.amdhsa_exception_fp_ieee_inexact 0
		.amdhsa_exception_int_div_zero 0
	.end_amdhsa_kernel
	.section	.text._ZL37rocblas_syrkx_herkx_restricted_kernelIifLi16ELi32ELi8ELb1ELb0ELc84ELc76EKPKfKPfEviT_T0_PT8_S5_lS8_S5_lS6_PT9_S5_li,"axG",@progbits,_ZL37rocblas_syrkx_herkx_restricted_kernelIifLi16ELi32ELi8ELb1ELb0ELc84ELc76EKPKfKPfEviT_T0_PT8_S5_lS8_S5_lS6_PT9_S5_li,comdat
.Lfunc_end488:
	.size	_ZL37rocblas_syrkx_herkx_restricted_kernelIifLi16ELi32ELi8ELb1ELb0ELc84ELc76EKPKfKPfEviT_T0_PT8_S5_lS8_S5_lS6_PT9_S5_li, .Lfunc_end488-_ZL37rocblas_syrkx_herkx_restricted_kernelIifLi16ELi32ELi8ELb1ELb0ELc84ELc76EKPKfKPfEviT_T0_PT8_S5_lS8_S5_lS6_PT9_S5_li
                                        ; -- End function
	.set _ZL37rocblas_syrkx_herkx_restricted_kernelIifLi16ELi32ELi8ELb1ELb0ELc84ELc76EKPKfKPfEviT_T0_PT8_S5_lS8_S5_lS6_PT9_S5_li.num_vgpr, 34
	.set _ZL37rocblas_syrkx_herkx_restricted_kernelIifLi16ELi32ELi8ELb1ELb0ELc84ELc76EKPKfKPfEviT_T0_PT8_S5_lS8_S5_lS6_PT9_S5_li.num_agpr, 0
	.set _ZL37rocblas_syrkx_herkx_restricted_kernelIifLi16ELi32ELi8ELb1ELb0ELc84ELc76EKPKfKPfEviT_T0_PT8_S5_lS8_S5_lS6_PT9_S5_li.numbered_sgpr, 18
	.set _ZL37rocblas_syrkx_herkx_restricted_kernelIifLi16ELi32ELi8ELb1ELb0ELc84ELc76EKPKfKPfEviT_T0_PT8_S5_lS8_S5_lS6_PT9_S5_li.num_named_barrier, 0
	.set _ZL37rocblas_syrkx_herkx_restricted_kernelIifLi16ELi32ELi8ELb1ELb0ELc84ELc76EKPKfKPfEviT_T0_PT8_S5_lS8_S5_lS6_PT9_S5_li.private_seg_size, 0
	.set _ZL37rocblas_syrkx_herkx_restricted_kernelIifLi16ELi32ELi8ELb1ELb0ELc84ELc76EKPKfKPfEviT_T0_PT8_S5_lS8_S5_lS6_PT9_S5_li.uses_vcc, 1
	.set _ZL37rocblas_syrkx_herkx_restricted_kernelIifLi16ELi32ELi8ELb1ELb0ELc84ELc76EKPKfKPfEviT_T0_PT8_S5_lS8_S5_lS6_PT9_S5_li.uses_flat_scratch, 0
	.set _ZL37rocblas_syrkx_herkx_restricted_kernelIifLi16ELi32ELi8ELb1ELb0ELc84ELc76EKPKfKPfEviT_T0_PT8_S5_lS8_S5_lS6_PT9_S5_li.has_dyn_sized_stack, 0
	.set _ZL37rocblas_syrkx_herkx_restricted_kernelIifLi16ELi32ELi8ELb1ELb0ELc84ELc76EKPKfKPfEviT_T0_PT8_S5_lS8_S5_lS6_PT9_S5_li.has_recursion, 0
	.set _ZL37rocblas_syrkx_herkx_restricted_kernelIifLi16ELi32ELi8ELb1ELb0ELc84ELc76EKPKfKPfEviT_T0_PT8_S5_lS8_S5_lS6_PT9_S5_li.has_indirect_call, 0
	.section	.AMDGPU.csdata,"",@progbits
; Kernel info:
; codeLenInByte = 992
; TotalNumSgprs: 22
; NumVgprs: 34
; ScratchSize: 0
; MemoryBound: 0
; FloatMode: 240
; IeeeMode: 1
; LDSByteSize: 2048 bytes/workgroup (compile time only)
; SGPRBlocks: 2
; VGPRBlocks: 8
; NumSGPRsForWavesPerEU: 22
; NumVGPRsForWavesPerEU: 34
; Occupancy: 7
; WaveLimiterHint : 1
; COMPUTE_PGM_RSRC2:SCRATCH_EN: 0
; COMPUTE_PGM_RSRC2:USER_SGPR: 6
; COMPUTE_PGM_RSRC2:TRAP_HANDLER: 0
; COMPUTE_PGM_RSRC2:TGID_X_EN: 1
; COMPUTE_PGM_RSRC2:TGID_Y_EN: 1
; COMPUTE_PGM_RSRC2:TGID_Z_EN: 1
; COMPUTE_PGM_RSRC2:TIDIG_COMP_CNT: 1
	.section	.text._ZL37rocblas_syrkx_herkx_restricted_kernelIifLi16ELi32ELi8ELb1ELb0ELc67ELc76EKPKfKPfEviT_T0_PT8_S5_lS8_S5_lS6_PT9_S5_li,"axG",@progbits,_ZL37rocblas_syrkx_herkx_restricted_kernelIifLi16ELi32ELi8ELb1ELb0ELc67ELc76EKPKfKPfEviT_T0_PT8_S5_lS8_S5_lS6_PT9_S5_li,comdat
	.globl	_ZL37rocblas_syrkx_herkx_restricted_kernelIifLi16ELi32ELi8ELb1ELb0ELc67ELc76EKPKfKPfEviT_T0_PT8_S5_lS8_S5_lS6_PT9_S5_li ; -- Begin function _ZL37rocblas_syrkx_herkx_restricted_kernelIifLi16ELi32ELi8ELb1ELb0ELc67ELc76EKPKfKPfEviT_T0_PT8_S5_lS8_S5_lS6_PT9_S5_li
	.p2align	8
	.type	_ZL37rocblas_syrkx_herkx_restricted_kernelIifLi16ELi32ELi8ELb1ELb0ELc67ELc76EKPKfKPfEviT_T0_PT8_S5_lS8_S5_lS6_PT9_S5_li,@function
_ZL37rocblas_syrkx_herkx_restricted_kernelIifLi16ELi32ELi8ELb1ELb0ELc67ELc76EKPKfKPfEviT_T0_PT8_S5_lS8_S5_lS6_PT9_S5_li: ; @_ZL37rocblas_syrkx_herkx_restricted_kernelIifLi16ELi32ELi8ELb1ELb0ELc67ELc76EKPKfKPfEviT_T0_PT8_S5_lS8_S5_lS6_PT9_S5_li
; %bb.0:
	s_load_dwordx2 s[2:3], s[4:5], 0x48
	s_load_dwordx4 s[12:15], s[4:5], 0x0
	s_mov_b32 s9, 0
	s_lshl_b64 s[0:1], s[8:9], 3
	s_waitcnt lgkmcnt(0)
	s_add_u32 s2, s2, s0
	s_addc_u32 s3, s3, s1
	s_load_dwordx2 s[10:11], s[2:3], 0x0
	s_lshl_b32 s2, s6, 5
	s_lshl_b32 s3, s7, 5
	s_cmp_lt_i32 s13, 1
	s_cbranch_scc1 .LBB489_3
; %bb.1:
	s_load_dwordx2 s[6:7], s[4:5], 0x10
	s_load_dword s8, s[4:5], 0x18
	s_load_dwordx2 s[16:17], s[4:5], 0x28
	s_load_dword s15, s[4:5], 0x30
	v_lshl_add_u32 v3, v1, 4, v0
	v_and_b32_e32 v8, 31, v3
	s_waitcnt lgkmcnt(0)
	s_add_u32 s6, s6, s0
	v_lshrrev_b32_e32 v4, 5, v3
	v_and_b32_e32 v2, 7, v0
	v_lshlrev_b32_e32 v9, 2, v8
	s_addc_u32 s7, s7, s1
	v_lshrrev_b32_e32 v6, 3, v3
	v_lshl_or_b32 v10, v4, 7, v9
	v_lshlrev_b32_e32 v9, 2, v2
	s_add_u32 s0, s16, s0
	v_add_u32_e32 v7, s3, v6
	v_mov_b32_e32 v3, 0
	v_lshl_or_b32 v6, v6, 5, v9
	s_addc_u32 s1, s17, s1
	v_add_u32_e32 v11, 0x400, v6
	v_mad_i64_i32 v[6:7], s[16:17], s15, v7, v[2:3]
	s_load_dwordx2 s[0:1], s[0:1], 0x0
	v_mov_b32_e32 v5, v3
	v_add_u32_e32 v8, s2, v8
	v_mad_i64_i32 v[8:9], s[16:17], s8, v8, v[4:5]
	s_load_dwordx2 s[6:7], s[6:7], 0x0
	v_lshlrev_b64 v[6:7], 2, v[6:7]
	v_mov_b32_e32 v2, 0x400
	v_lshl_add_u32 v13, v1, 5, v2
	s_waitcnt lgkmcnt(0)
	v_mov_b32_e32 v2, s1
	v_add_co_u32_e32 v4, vcc, s0, v6
	v_addc_co_u32_e32 v5, vcc, v2, v7, vcc
	v_lshlrev_b64 v[6:7], 2, v[8:9]
	v_mov_b32_e32 v2, s7
	v_add_co_u32_e32 v6, vcc, s6, v6
	v_lshlrev_b32_e32 v12, 2, v0
	v_addc_co_u32_e32 v7, vcc, v2, v7, vcc
	v_mov_b32_e32 v2, v3
	v_mov_b32_e32 v8, v3
	;; [unrolled: 1-line block ×3, first 2 shown]
.LBB489_2:                              ; =>This Inner Loop Header: Depth=1
	flat_load_dword v14, v[6:7]
	v_add_co_u32_e32 v6, vcc, 32, v6
	v_addc_co_u32_e32 v7, vcc, 0, v7, vcc
	s_add_i32 s9, s9, 8
	s_cmp_ge_i32 s9, s13
	s_waitcnt vmcnt(0) lgkmcnt(0)
	ds_write_b32 v10, v14
	flat_load_dword v14, v[4:5]
	v_add_co_u32_e32 v4, vcc, 32, v4
	v_addc_co_u32_e32 v5, vcc, 0, v5, vcc
	s_waitcnt vmcnt(0) lgkmcnt(0)
	ds_write_b32 v11, v14
	s_waitcnt lgkmcnt(0)
	s_barrier
	ds_read2_b32 v[26:27], v12 offset1:16
	ds_read_b128 v[14:17], v13
	ds_read2_b32 v[28:29], v12 offset0:32 offset1:48
	ds_read2_b32 v[30:31], v12 offset0:64 offset1:80
	ds_read_b128 v[18:21], v13 offset:16
	ds_read2_b32 v[32:33], v12 offset0:96 offset1:112
	s_waitcnt lgkmcnt(4)
	v_fmac_f32_e32 v9, v26, v14
	v_fmac_f32_e32 v8, v27, v14
	s_waitcnt lgkmcnt(3)
	v_fmac_f32_e32 v9, v28, v15
	v_fmac_f32_e32 v8, v29, v15
	;; [unrolled: 3-line block ×4, first 2 shown]
	ds_read_b128 v[14:17], v13 offset:512
	ds_read_b128 v[22:25], v13 offset:528
	s_waitcnt lgkmcnt(1)
	v_fmac_f32_e32 v2, v26, v14
	v_fmac_f32_e32 v3, v27, v14
	;; [unrolled: 1-line block ×8, first 2 shown]
	ds_read2_b32 v[14:15], v12 offset0:128 offset1:144
	ds_read2_b32 v[16:17], v12 offset0:160 offset1:176
	;; [unrolled: 1-line block ×3, first 2 shown]
	s_waitcnt lgkmcnt(2)
	v_fmac_f32_e32 v9, v14, v18
	v_fmac_f32_e32 v8, v15, v18
	v_fmac_f32_e32 v2, v14, v22
	v_fmac_f32_e32 v3, v15, v22
	ds_read2_b32 v[14:15], v12 offset0:224 offset1:240
	s_waitcnt lgkmcnt(2)
	v_fmac_f32_e32 v9, v16, v19
	v_fmac_f32_e32 v8, v17, v19
	v_fmac_f32_e32 v2, v16, v23
	v_fmac_f32_e32 v3, v17, v23
	s_waitcnt lgkmcnt(1)
	v_fmac_f32_e32 v9, v26, v20
	v_fmac_f32_e32 v8, v27, v20
	v_fmac_f32_e32 v2, v26, v24
	v_fmac_f32_e32 v3, v27, v24
	;; [unrolled: 5-line block ×3, first 2 shown]
	s_barrier
	s_cbranch_scc0 .LBB489_2
	s_branch .LBB489_4
.LBB489_3:
	v_mov_b32_e32 v9, 0
	v_mov_b32_e32 v8, 0
	;; [unrolled: 1-line block ×4, first 2 shown]
.LBB489_4:
	s_load_dword s6, s[4:5], 0x50
	v_add_u32_e32 v6, s3, v1
	s_waitcnt lgkmcnt(0)
	v_mov_b32_e32 v1, s11
	v_add_u32_e32 v0, s2, v0
	v_mad_i64_i32 v[4:5], s[0:1], v6, s6, 0
	v_cmp_le_i32_e64 s[0:1], v6, v0
	v_lshlrev_b64 v[4:5], 2, v[4:5]
	v_add_co_u32_e32 v7, vcc, s10, v4
	v_addc_co_u32_e32 v10, vcc, v1, v5, vcc
	v_cmp_gt_i32_e32 vcc, s12, v0
	s_and_b64 s[0:1], s[0:1], vcc
	s_and_saveexec_b64 s[2:3], s[0:1]
	s_cbranch_execz .LBB489_6
; %bb.5:
	v_ashrrev_i32_e32 v1, 31, v0
	v_lshlrev_b64 v[4:5], 2, v[0:1]
	v_mul_f32_e32 v9, s14, v9
	v_add_co_u32_e64 v4, s[0:1], v7, v4
	v_addc_co_u32_e64 v5, s[0:1], v10, v5, s[0:1]
	flat_store_dword v[4:5], v9
.LBB489_6:
	s_or_b64 exec, exec, s[2:3]
	v_add_u32_e32 v4, 16, v0
	v_cmp_le_i32_e64 s[2:3], v6, v4
	v_cmp_gt_i32_e64 s[0:1], s12, v4
	s_and_b64 s[2:3], s[2:3], s[0:1]
	s_and_saveexec_b64 s[4:5], s[2:3]
	s_cbranch_execz .LBB489_8
; %bb.7:
	v_ashrrev_i32_e32 v5, 31, v4
	v_mul_f32_e32 v1, s14, v8
	v_lshlrev_b64 v[8:9], 2, v[4:5]
	v_add_co_u32_e64 v7, s[2:3], v7, v8
	v_addc_co_u32_e64 v8, s[2:3], v10, v9, s[2:3]
	flat_store_dword v[7:8], v1
.LBB489_8:
	s_or_b64 exec, exec, s[4:5]
	v_add_u32_e32 v5, 16, v6
	v_mad_i64_i32 v[6:7], s[2:3], v5, s6, 0
	v_mov_b32_e32 v1, s11
	v_lshlrev_b64 v[6:7], 2, v[6:7]
	v_add_co_u32_e64 v6, s[2:3], s10, v6
	v_addc_co_u32_e64 v7, s[2:3], v1, v7, s[2:3]
	v_cmp_le_i32_e64 s[2:3], v5, v0
	s_and_b64 s[4:5], s[2:3], vcc
	s_and_saveexec_b64 s[2:3], s[4:5]
	s_cbranch_execz .LBB489_10
; %bb.9:
	v_ashrrev_i32_e32 v1, 31, v0
	v_lshlrev_b64 v[0:1], 2, v[0:1]
	v_mul_f32_e32 v2, s14, v2
	v_add_co_u32_e32 v0, vcc, v6, v0
	v_addc_co_u32_e32 v1, vcc, v7, v1, vcc
	flat_store_dword v[0:1], v2
.LBB489_10:
	s_or_b64 exec, exec, s[2:3]
	v_cmp_le_i32_e32 vcc, v5, v4
	s_and_b64 s[0:1], vcc, s[0:1]
	s_and_saveexec_b64 s[2:3], s[0:1]
	s_cbranch_execz .LBB489_12
; %bb.11:
	v_ashrrev_i32_e32 v5, 31, v4
	v_lshlrev_b64 v[0:1], 2, v[4:5]
	v_mul_f32_e32 v2, s14, v3
	v_add_co_u32_e32 v0, vcc, v6, v0
	v_addc_co_u32_e32 v1, vcc, v7, v1, vcc
	flat_store_dword v[0:1], v2
.LBB489_12:
	s_endpgm
	.section	.rodata,"a",@progbits
	.p2align	6, 0x0
	.amdhsa_kernel _ZL37rocblas_syrkx_herkx_restricted_kernelIifLi16ELi32ELi8ELb1ELb0ELc67ELc76EKPKfKPfEviT_T0_PT8_S5_lS8_S5_lS6_PT9_S5_li
		.amdhsa_group_segment_fixed_size 2048
		.amdhsa_private_segment_fixed_size 0
		.amdhsa_kernarg_size 100
		.amdhsa_user_sgpr_count 6
		.amdhsa_user_sgpr_private_segment_buffer 1
		.amdhsa_user_sgpr_dispatch_ptr 0
		.amdhsa_user_sgpr_queue_ptr 0
		.amdhsa_user_sgpr_kernarg_segment_ptr 1
		.amdhsa_user_sgpr_dispatch_id 0
		.amdhsa_user_sgpr_flat_scratch_init 0
		.amdhsa_user_sgpr_private_segment_size 0
		.amdhsa_uses_dynamic_stack 0
		.amdhsa_system_sgpr_private_segment_wavefront_offset 0
		.amdhsa_system_sgpr_workgroup_id_x 1
		.amdhsa_system_sgpr_workgroup_id_y 1
		.amdhsa_system_sgpr_workgroup_id_z 1
		.amdhsa_system_sgpr_workgroup_info 0
		.amdhsa_system_vgpr_workitem_id 1
		.amdhsa_next_free_vgpr 34
		.amdhsa_next_free_sgpr 18
		.amdhsa_reserve_vcc 1
		.amdhsa_reserve_flat_scratch 0
		.amdhsa_float_round_mode_32 0
		.amdhsa_float_round_mode_16_64 0
		.amdhsa_float_denorm_mode_32 3
		.amdhsa_float_denorm_mode_16_64 3
		.amdhsa_dx10_clamp 1
		.amdhsa_ieee_mode 1
		.amdhsa_fp16_overflow 0
		.amdhsa_exception_fp_ieee_invalid_op 0
		.amdhsa_exception_fp_denorm_src 0
		.amdhsa_exception_fp_ieee_div_zero 0
		.amdhsa_exception_fp_ieee_overflow 0
		.amdhsa_exception_fp_ieee_underflow 0
		.amdhsa_exception_fp_ieee_inexact 0
		.amdhsa_exception_int_div_zero 0
	.end_amdhsa_kernel
	.section	.text._ZL37rocblas_syrkx_herkx_restricted_kernelIifLi16ELi32ELi8ELb1ELb0ELc67ELc76EKPKfKPfEviT_T0_PT8_S5_lS8_S5_lS6_PT9_S5_li,"axG",@progbits,_ZL37rocblas_syrkx_herkx_restricted_kernelIifLi16ELi32ELi8ELb1ELb0ELc67ELc76EKPKfKPfEviT_T0_PT8_S5_lS8_S5_lS6_PT9_S5_li,comdat
.Lfunc_end489:
	.size	_ZL37rocblas_syrkx_herkx_restricted_kernelIifLi16ELi32ELi8ELb1ELb0ELc67ELc76EKPKfKPfEviT_T0_PT8_S5_lS8_S5_lS6_PT9_S5_li, .Lfunc_end489-_ZL37rocblas_syrkx_herkx_restricted_kernelIifLi16ELi32ELi8ELb1ELb0ELc67ELc76EKPKfKPfEviT_T0_PT8_S5_lS8_S5_lS6_PT9_S5_li
                                        ; -- End function
	.set _ZL37rocblas_syrkx_herkx_restricted_kernelIifLi16ELi32ELi8ELb1ELb0ELc67ELc76EKPKfKPfEviT_T0_PT8_S5_lS8_S5_lS6_PT9_S5_li.num_vgpr, 34
	.set _ZL37rocblas_syrkx_herkx_restricted_kernelIifLi16ELi32ELi8ELb1ELb0ELc67ELc76EKPKfKPfEviT_T0_PT8_S5_lS8_S5_lS6_PT9_S5_li.num_agpr, 0
	.set _ZL37rocblas_syrkx_herkx_restricted_kernelIifLi16ELi32ELi8ELb1ELb0ELc67ELc76EKPKfKPfEviT_T0_PT8_S5_lS8_S5_lS6_PT9_S5_li.numbered_sgpr, 18
	.set _ZL37rocblas_syrkx_herkx_restricted_kernelIifLi16ELi32ELi8ELb1ELb0ELc67ELc76EKPKfKPfEviT_T0_PT8_S5_lS8_S5_lS6_PT9_S5_li.num_named_barrier, 0
	.set _ZL37rocblas_syrkx_herkx_restricted_kernelIifLi16ELi32ELi8ELb1ELb0ELc67ELc76EKPKfKPfEviT_T0_PT8_S5_lS8_S5_lS6_PT9_S5_li.private_seg_size, 0
	.set _ZL37rocblas_syrkx_herkx_restricted_kernelIifLi16ELi32ELi8ELb1ELb0ELc67ELc76EKPKfKPfEviT_T0_PT8_S5_lS8_S5_lS6_PT9_S5_li.uses_vcc, 1
	.set _ZL37rocblas_syrkx_herkx_restricted_kernelIifLi16ELi32ELi8ELb1ELb0ELc67ELc76EKPKfKPfEviT_T0_PT8_S5_lS8_S5_lS6_PT9_S5_li.uses_flat_scratch, 0
	.set _ZL37rocblas_syrkx_herkx_restricted_kernelIifLi16ELi32ELi8ELb1ELb0ELc67ELc76EKPKfKPfEviT_T0_PT8_S5_lS8_S5_lS6_PT9_S5_li.has_dyn_sized_stack, 0
	.set _ZL37rocblas_syrkx_herkx_restricted_kernelIifLi16ELi32ELi8ELb1ELb0ELc67ELc76EKPKfKPfEviT_T0_PT8_S5_lS8_S5_lS6_PT9_S5_li.has_recursion, 0
	.set _ZL37rocblas_syrkx_herkx_restricted_kernelIifLi16ELi32ELi8ELb1ELb0ELc67ELc76EKPKfKPfEviT_T0_PT8_S5_lS8_S5_lS6_PT9_S5_li.has_indirect_call, 0
	.section	.AMDGPU.csdata,"",@progbits
; Kernel info:
; codeLenInByte = 992
; TotalNumSgprs: 22
; NumVgprs: 34
; ScratchSize: 0
; MemoryBound: 0
; FloatMode: 240
; IeeeMode: 1
; LDSByteSize: 2048 bytes/workgroup (compile time only)
; SGPRBlocks: 2
; VGPRBlocks: 8
; NumSGPRsForWavesPerEU: 22
; NumVGPRsForWavesPerEU: 34
; Occupancy: 7
; WaveLimiterHint : 1
; COMPUTE_PGM_RSRC2:SCRATCH_EN: 0
; COMPUTE_PGM_RSRC2:USER_SGPR: 6
; COMPUTE_PGM_RSRC2:TRAP_HANDLER: 0
; COMPUTE_PGM_RSRC2:TGID_X_EN: 1
; COMPUTE_PGM_RSRC2:TGID_Y_EN: 1
; COMPUTE_PGM_RSRC2:TGID_Z_EN: 1
; COMPUTE_PGM_RSRC2:TIDIG_COMP_CNT: 1
	.section	.text._ZL37rocblas_syrkx_herkx_restricted_kernelIifLi16ELi32ELi8ELb1ELb0ELc78ELc76EKPKfKPfEviT_T0_PT8_S5_lS8_S5_lS6_PT9_S5_li,"axG",@progbits,_ZL37rocblas_syrkx_herkx_restricted_kernelIifLi16ELi32ELi8ELb1ELb0ELc78ELc76EKPKfKPfEviT_T0_PT8_S5_lS8_S5_lS6_PT9_S5_li,comdat
	.globl	_ZL37rocblas_syrkx_herkx_restricted_kernelIifLi16ELi32ELi8ELb1ELb0ELc78ELc76EKPKfKPfEviT_T0_PT8_S5_lS8_S5_lS6_PT9_S5_li ; -- Begin function _ZL37rocblas_syrkx_herkx_restricted_kernelIifLi16ELi32ELi8ELb1ELb0ELc78ELc76EKPKfKPfEviT_T0_PT8_S5_lS8_S5_lS6_PT9_S5_li
	.p2align	8
	.type	_ZL37rocblas_syrkx_herkx_restricted_kernelIifLi16ELi32ELi8ELb1ELb0ELc78ELc76EKPKfKPfEviT_T0_PT8_S5_lS8_S5_lS6_PT9_S5_li,@function
_ZL37rocblas_syrkx_herkx_restricted_kernelIifLi16ELi32ELi8ELb1ELb0ELc78ELc76EKPKfKPfEviT_T0_PT8_S5_lS8_S5_lS6_PT9_S5_li: ; @_ZL37rocblas_syrkx_herkx_restricted_kernelIifLi16ELi32ELi8ELb1ELb0ELc78ELc76EKPKfKPfEviT_T0_PT8_S5_lS8_S5_lS6_PT9_S5_li
; %bb.0:
	s_load_dwordx2 s[2:3], s[4:5], 0x48
	s_load_dwordx4 s[12:15], s[4:5], 0x0
	s_mov_b32 s9, 0
	s_lshl_b64 s[0:1], s[8:9], 3
	s_waitcnt lgkmcnt(0)
	s_add_u32 s2, s2, s0
	s_addc_u32 s3, s3, s1
	s_load_dwordx2 s[10:11], s[2:3], 0x0
	s_lshl_b32 s6, s6, 5
	s_lshl_b32 s7, s7, 5
	s_cmp_lt_i32 s13, 1
	s_cbranch_scc1 .LBB490_3
; %bb.1:
	s_load_dword s2, s[4:5], 0x18
	s_load_dword s16, s[4:5], 0x30
	s_load_dwordx2 s[18:19], s[4:5], 0x10
	s_load_dwordx2 s[20:21], s[4:5], 0x28
	v_lshl_add_u32 v2, v1, 4, v0
	v_and_b32_e32 v7, 31, v2
	s_waitcnt lgkmcnt(0)
	s_ashr_i32 s3, s2, 31
	s_ashr_i32 s17, s16, 31
	v_lshrrev_b32_e32 v6, 5, v2
	v_and_b32_e32 v5, 7, v0
	v_lshlrev_b32_e32 v8, 2, v7
	s_add_u32 s18, s18, s0
	v_lshrrev_b32_e32 v4, 3, v2
	v_lshl_or_b32 v10, v6, 7, v8
	v_lshlrev_b32_e32 v8, 2, v5
	s_addc_u32 s19, s19, s1
	v_add_u32_e32 v2, s7, v4
	v_lshl_or_b32 v4, v4, 5, v8
	s_add_u32 s0, s20, s0
	v_ashrrev_i32_e32 v3, 31, v2
	v_add_u32_e32 v11, 0x400, v4
	v_mov_b32_e32 v4, 0x400
	s_addc_u32 s1, s21, s1
	v_mad_i64_i32 v[2:3], s[20:21], s16, v5, v[2:3]
	v_lshl_add_u32 v13, v1, 5, v4
	v_add_u32_e32 v4, s6, v7
	s_load_dwordx2 s[0:1], s[0:1], 0x0
	v_ashrrev_i32_e32 v5, 31, v4
	v_mad_i64_i32 v[4:5], s[20:21], s2, v6, v[4:5]
	s_load_dwordx2 s[18:19], s[18:19], 0x0
	v_lshlrev_b64 v[2:3], 2, v[2:3]
	s_waitcnt lgkmcnt(0)
	v_mov_b32_e32 v8, s1
	v_add_co_u32_e32 v2, vcc, s0, v2
	v_lshlrev_b64 v[4:5], 2, v[4:5]
	v_addc_co_u32_e32 v3, vcc, v8, v3, vcc
	s_lshl_b64 s[0:1], s[16:17], 5
	v_mov_b32_e32 v6, s19
	v_add_co_u32_e32 v4, vcc, s18, v4
	s_lshl_b64 s[2:3], s[2:3], 5
	v_lshlrev_b32_e32 v12, 2, v0
	v_addc_co_u32_e32 v5, vcc, v6, v5, vcc
	v_mov_b32_e32 v6, 0
	v_mov_b32_e32 v14, s1
	;; [unrolled: 1-line block ×6, first 2 shown]
.LBB490_2:                              ; =>This Inner Loop Header: Depth=1
	flat_load_dword v16, v[4:5]
	v_add_co_u32_e32 v4, vcc, s2, v4
	v_addc_co_u32_e32 v5, vcc, v5, v15, vcc
	s_add_i32 s9, s9, 8
	s_cmp_ge_i32 s9, s13
	s_waitcnt vmcnt(0) lgkmcnt(0)
	ds_write_b32 v10, v16
	flat_load_dword v16, v[2:3]
	v_add_co_u32_e32 v2, vcc, s0, v2
	v_addc_co_u32_e32 v3, vcc, v3, v14, vcc
	s_waitcnt vmcnt(0) lgkmcnt(0)
	ds_write_b32 v11, v16
	s_waitcnt lgkmcnt(0)
	s_barrier
	ds_read2_b32 v[28:29], v12 offset1:16
	ds_read_b128 v[16:19], v13
	ds_read2_b32 v[30:31], v12 offset0:32 offset1:48
	ds_read2_b32 v[32:33], v12 offset0:64 offset1:80
	ds_read_b128 v[20:23], v13 offset:16
	ds_read2_b32 v[34:35], v12 offset0:96 offset1:112
	s_waitcnt lgkmcnt(4)
	v_fmac_f32_e32 v9, v28, v16
	v_fmac_f32_e32 v8, v29, v16
	s_waitcnt lgkmcnt(3)
	v_fmac_f32_e32 v9, v30, v17
	v_fmac_f32_e32 v8, v31, v17
	;; [unrolled: 3-line block ×4, first 2 shown]
	ds_read_b128 v[16:19], v13 offset:512
	ds_read_b128 v[24:27], v13 offset:528
	s_waitcnt lgkmcnt(1)
	v_fmac_f32_e32 v7, v28, v16
	v_fmac_f32_e32 v6, v29, v16
	;; [unrolled: 1-line block ×8, first 2 shown]
	ds_read2_b32 v[16:17], v12 offset0:128 offset1:144
	ds_read2_b32 v[18:19], v12 offset0:160 offset1:176
	ds_read2_b32 v[28:29], v12 offset0:192 offset1:208
	s_waitcnt lgkmcnt(2)
	v_fmac_f32_e32 v9, v16, v20
	v_fmac_f32_e32 v8, v17, v20
	;; [unrolled: 1-line block ×4, first 2 shown]
	ds_read2_b32 v[16:17], v12 offset0:224 offset1:240
	s_waitcnt lgkmcnt(2)
	v_fmac_f32_e32 v9, v18, v21
	v_fmac_f32_e32 v8, v19, v21
	v_fmac_f32_e32 v7, v18, v25
	v_fmac_f32_e32 v6, v19, v25
	s_waitcnt lgkmcnt(1)
	v_fmac_f32_e32 v9, v28, v22
	v_fmac_f32_e32 v8, v29, v22
	v_fmac_f32_e32 v7, v28, v26
	v_fmac_f32_e32 v6, v29, v26
	s_waitcnt lgkmcnt(0)
	v_fmac_f32_e32 v9, v16, v23
	v_fmac_f32_e32 v8, v17, v23
	v_fmac_f32_e32 v7, v16, v27
	v_fmac_f32_e32 v6, v17, v27
	s_barrier
	s_cbranch_scc0 .LBB490_2
	s_branch .LBB490_4
.LBB490_3:
	v_mov_b32_e32 v9, 0
	v_mov_b32_e32 v8, 0
	v_mov_b32_e32 v7, 0
	v_mov_b32_e32 v6, 0
.LBB490_4:
	s_load_dword s8, s[4:5], 0x50
	v_add_u32_e32 v4, s7, v1
	s_waitcnt lgkmcnt(0)
	v_mov_b32_e32 v3, s11
	v_add_u32_e32 v0, s6, v0
	v_mad_i64_i32 v[1:2], s[0:1], v4, s8, 0
	v_cmp_le_i32_e64 s[0:1], v4, v0
	v_lshlrev_b64 v[1:2], 2, v[1:2]
	v_add_co_u32_e32 v5, vcc, s10, v1
	v_addc_co_u32_e32 v10, vcc, v3, v2, vcc
	v_cmp_gt_i32_e32 vcc, s12, v0
	s_and_b64 s[0:1], s[0:1], vcc
	s_and_saveexec_b64 s[2:3], s[0:1]
	s_cbranch_execz .LBB490_6
; %bb.5:
	v_ashrrev_i32_e32 v1, 31, v0
	v_lshlrev_b64 v[1:2], 2, v[0:1]
	v_mul_f32_e32 v3, s14, v9
	v_add_co_u32_e64 v1, s[0:1], v5, v1
	v_addc_co_u32_e64 v2, s[0:1], v10, v2, s[0:1]
	flat_store_dword v[1:2], v3
.LBB490_6:
	s_or_b64 exec, exec, s[2:3]
	v_add_u32_e32 v2, 16, v0
	v_cmp_le_i32_e64 s[2:3], v4, v2
	v_cmp_gt_i32_e64 s[0:1], s12, v2
	s_and_b64 s[2:3], s[2:3], s[0:1]
	s_and_saveexec_b64 s[4:5], s[2:3]
	s_cbranch_execz .LBB490_8
; %bb.7:
	v_ashrrev_i32_e32 v3, 31, v2
	v_mul_f32_e32 v1, s14, v8
	v_lshlrev_b64 v[8:9], 2, v[2:3]
	v_add_co_u32_e64 v8, s[2:3], v5, v8
	v_addc_co_u32_e64 v9, s[2:3], v10, v9, s[2:3]
	flat_store_dword v[8:9], v1
.LBB490_8:
	s_or_b64 exec, exec, s[4:5]
	v_add_u32_e32 v3, 16, v4
	v_mad_i64_i32 v[4:5], s[2:3], v3, s8, 0
	v_mov_b32_e32 v1, s11
	v_lshlrev_b64 v[4:5], 2, v[4:5]
	v_add_co_u32_e64 v4, s[2:3], s10, v4
	v_addc_co_u32_e64 v5, s[2:3], v1, v5, s[2:3]
	v_cmp_le_i32_e64 s[2:3], v3, v0
	s_and_b64 s[4:5], s[2:3], vcc
	s_and_saveexec_b64 s[2:3], s[4:5]
	s_cbranch_execz .LBB490_10
; %bb.9:
	v_ashrrev_i32_e32 v1, 31, v0
	v_lshlrev_b64 v[0:1], 2, v[0:1]
	v_mul_f32_e32 v7, s14, v7
	v_add_co_u32_e32 v0, vcc, v4, v0
	v_addc_co_u32_e32 v1, vcc, v5, v1, vcc
	flat_store_dword v[0:1], v7
.LBB490_10:
	s_or_b64 exec, exec, s[2:3]
	v_cmp_le_i32_e32 vcc, v3, v2
	s_and_b64 s[0:1], vcc, s[0:1]
	s_and_saveexec_b64 s[2:3], s[0:1]
	s_cbranch_execz .LBB490_12
; %bb.11:
	v_ashrrev_i32_e32 v3, 31, v2
	v_lshlrev_b64 v[0:1], 2, v[2:3]
	v_mul_f32_e32 v6, s14, v6
	v_add_co_u32_e32 v0, vcc, v4, v0
	v_addc_co_u32_e32 v1, vcc, v5, v1, vcc
	flat_store_dword v[0:1], v6
.LBB490_12:
	s_endpgm
	.section	.rodata,"a",@progbits
	.p2align	6, 0x0
	.amdhsa_kernel _ZL37rocblas_syrkx_herkx_restricted_kernelIifLi16ELi32ELi8ELb1ELb0ELc78ELc76EKPKfKPfEviT_T0_PT8_S5_lS8_S5_lS6_PT9_S5_li
		.amdhsa_group_segment_fixed_size 2048
		.amdhsa_private_segment_fixed_size 0
		.amdhsa_kernarg_size 100
		.amdhsa_user_sgpr_count 6
		.amdhsa_user_sgpr_private_segment_buffer 1
		.amdhsa_user_sgpr_dispatch_ptr 0
		.amdhsa_user_sgpr_queue_ptr 0
		.amdhsa_user_sgpr_kernarg_segment_ptr 1
		.amdhsa_user_sgpr_dispatch_id 0
		.amdhsa_user_sgpr_flat_scratch_init 0
		.amdhsa_user_sgpr_private_segment_size 0
		.amdhsa_uses_dynamic_stack 0
		.amdhsa_system_sgpr_private_segment_wavefront_offset 0
		.amdhsa_system_sgpr_workgroup_id_x 1
		.amdhsa_system_sgpr_workgroup_id_y 1
		.amdhsa_system_sgpr_workgroup_id_z 1
		.amdhsa_system_sgpr_workgroup_info 0
		.amdhsa_system_vgpr_workitem_id 1
		.amdhsa_next_free_vgpr 36
		.amdhsa_next_free_sgpr 22
		.amdhsa_reserve_vcc 1
		.amdhsa_reserve_flat_scratch 0
		.amdhsa_float_round_mode_32 0
		.amdhsa_float_round_mode_16_64 0
		.amdhsa_float_denorm_mode_32 3
		.amdhsa_float_denorm_mode_16_64 3
		.amdhsa_dx10_clamp 1
		.amdhsa_ieee_mode 1
		.amdhsa_fp16_overflow 0
		.amdhsa_exception_fp_ieee_invalid_op 0
		.amdhsa_exception_fp_denorm_src 0
		.amdhsa_exception_fp_ieee_div_zero 0
		.amdhsa_exception_fp_ieee_overflow 0
		.amdhsa_exception_fp_ieee_underflow 0
		.amdhsa_exception_fp_ieee_inexact 0
		.amdhsa_exception_int_div_zero 0
	.end_amdhsa_kernel
	.section	.text._ZL37rocblas_syrkx_herkx_restricted_kernelIifLi16ELi32ELi8ELb1ELb0ELc78ELc76EKPKfKPfEviT_T0_PT8_S5_lS8_S5_lS6_PT9_S5_li,"axG",@progbits,_ZL37rocblas_syrkx_herkx_restricted_kernelIifLi16ELi32ELi8ELb1ELb0ELc78ELc76EKPKfKPfEviT_T0_PT8_S5_lS8_S5_lS6_PT9_S5_li,comdat
.Lfunc_end490:
	.size	_ZL37rocblas_syrkx_herkx_restricted_kernelIifLi16ELi32ELi8ELb1ELb0ELc78ELc76EKPKfKPfEviT_T0_PT8_S5_lS8_S5_lS6_PT9_S5_li, .Lfunc_end490-_ZL37rocblas_syrkx_herkx_restricted_kernelIifLi16ELi32ELi8ELb1ELb0ELc78ELc76EKPKfKPfEviT_T0_PT8_S5_lS8_S5_lS6_PT9_S5_li
                                        ; -- End function
	.set _ZL37rocblas_syrkx_herkx_restricted_kernelIifLi16ELi32ELi8ELb1ELb0ELc78ELc76EKPKfKPfEviT_T0_PT8_S5_lS8_S5_lS6_PT9_S5_li.num_vgpr, 36
	.set _ZL37rocblas_syrkx_herkx_restricted_kernelIifLi16ELi32ELi8ELb1ELb0ELc78ELc76EKPKfKPfEviT_T0_PT8_S5_lS8_S5_lS6_PT9_S5_li.num_agpr, 0
	.set _ZL37rocblas_syrkx_herkx_restricted_kernelIifLi16ELi32ELi8ELb1ELb0ELc78ELc76EKPKfKPfEviT_T0_PT8_S5_lS8_S5_lS6_PT9_S5_li.numbered_sgpr, 22
	.set _ZL37rocblas_syrkx_herkx_restricted_kernelIifLi16ELi32ELi8ELb1ELb0ELc78ELc76EKPKfKPfEviT_T0_PT8_S5_lS8_S5_lS6_PT9_S5_li.num_named_barrier, 0
	.set _ZL37rocblas_syrkx_herkx_restricted_kernelIifLi16ELi32ELi8ELb1ELb0ELc78ELc76EKPKfKPfEviT_T0_PT8_S5_lS8_S5_lS6_PT9_S5_li.private_seg_size, 0
	.set _ZL37rocblas_syrkx_herkx_restricted_kernelIifLi16ELi32ELi8ELb1ELb0ELc78ELc76EKPKfKPfEviT_T0_PT8_S5_lS8_S5_lS6_PT9_S5_li.uses_vcc, 1
	.set _ZL37rocblas_syrkx_herkx_restricted_kernelIifLi16ELi32ELi8ELb1ELb0ELc78ELc76EKPKfKPfEviT_T0_PT8_S5_lS8_S5_lS6_PT9_S5_li.uses_flat_scratch, 0
	.set _ZL37rocblas_syrkx_herkx_restricted_kernelIifLi16ELi32ELi8ELb1ELb0ELc78ELc76EKPKfKPfEviT_T0_PT8_S5_lS8_S5_lS6_PT9_S5_li.has_dyn_sized_stack, 0
	.set _ZL37rocblas_syrkx_herkx_restricted_kernelIifLi16ELi32ELi8ELb1ELb0ELc78ELc76EKPKfKPfEviT_T0_PT8_S5_lS8_S5_lS6_PT9_S5_li.has_recursion, 0
	.set _ZL37rocblas_syrkx_herkx_restricted_kernelIifLi16ELi32ELi8ELb1ELb0ELc78ELc76EKPKfKPfEviT_T0_PT8_S5_lS8_S5_lS6_PT9_S5_li.has_indirect_call, 0
	.section	.AMDGPU.csdata,"",@progbits
; Kernel info:
; codeLenInByte = 1020
; TotalNumSgprs: 26
; NumVgprs: 36
; ScratchSize: 0
; MemoryBound: 0
; FloatMode: 240
; IeeeMode: 1
; LDSByteSize: 2048 bytes/workgroup (compile time only)
; SGPRBlocks: 3
; VGPRBlocks: 8
; NumSGPRsForWavesPerEU: 26
; NumVGPRsForWavesPerEU: 36
; Occupancy: 7
; WaveLimiterHint : 1
; COMPUTE_PGM_RSRC2:SCRATCH_EN: 0
; COMPUTE_PGM_RSRC2:USER_SGPR: 6
; COMPUTE_PGM_RSRC2:TRAP_HANDLER: 0
; COMPUTE_PGM_RSRC2:TGID_X_EN: 1
; COMPUTE_PGM_RSRC2:TGID_Y_EN: 1
; COMPUTE_PGM_RSRC2:TGID_Z_EN: 1
; COMPUTE_PGM_RSRC2:TIDIG_COMP_CNT: 1
	.section	.text._ZL37rocblas_syrkx_herkx_restricted_kernelIifLi16ELi32ELi8ELb1ELb0ELc84ELc85EKPKfKPfEviT_T0_PT8_S5_lS8_S5_lS6_PT9_S5_li,"axG",@progbits,_ZL37rocblas_syrkx_herkx_restricted_kernelIifLi16ELi32ELi8ELb1ELb0ELc84ELc85EKPKfKPfEviT_T0_PT8_S5_lS8_S5_lS6_PT9_S5_li,comdat
	.globl	_ZL37rocblas_syrkx_herkx_restricted_kernelIifLi16ELi32ELi8ELb1ELb0ELc84ELc85EKPKfKPfEviT_T0_PT8_S5_lS8_S5_lS6_PT9_S5_li ; -- Begin function _ZL37rocblas_syrkx_herkx_restricted_kernelIifLi16ELi32ELi8ELb1ELb0ELc84ELc85EKPKfKPfEviT_T0_PT8_S5_lS8_S5_lS6_PT9_S5_li
	.p2align	8
	.type	_ZL37rocblas_syrkx_herkx_restricted_kernelIifLi16ELi32ELi8ELb1ELb0ELc84ELc85EKPKfKPfEviT_T0_PT8_S5_lS8_S5_lS6_PT9_S5_li,@function
_ZL37rocblas_syrkx_herkx_restricted_kernelIifLi16ELi32ELi8ELb1ELb0ELc84ELc85EKPKfKPfEviT_T0_PT8_S5_lS8_S5_lS6_PT9_S5_li: ; @_ZL37rocblas_syrkx_herkx_restricted_kernelIifLi16ELi32ELi8ELb1ELb0ELc84ELc85EKPKfKPfEviT_T0_PT8_S5_lS8_S5_lS6_PT9_S5_li
; %bb.0:
	s_load_dwordx2 s[2:3], s[4:5], 0x48
	s_load_dwordx4 s[12:15], s[4:5], 0x0
	s_mov_b32 s9, 0
	s_lshl_b64 s[0:1], s[8:9], 3
	s_waitcnt lgkmcnt(0)
	s_add_u32 s2, s2, s0
	s_addc_u32 s3, s3, s1
	s_load_dwordx2 s[2:3], s[2:3], 0x0
	s_lshl_b32 s6, s6, 5
	s_lshl_b32 s7, s7, 5
	s_cmp_lt_i32 s13, 1
	s_cbranch_scc1 .LBB491_3
; %bb.1:
	s_load_dwordx2 s[10:11], s[4:5], 0x10
	s_load_dword s8, s[4:5], 0x18
	s_load_dwordx2 s[16:17], s[4:5], 0x28
	s_load_dword s15, s[4:5], 0x30
	v_lshl_add_u32 v3, v1, 4, v0
	v_and_b32_e32 v8, 31, v3
	s_waitcnt lgkmcnt(0)
	s_add_u32 s10, s10, s0
	v_lshrrev_b32_e32 v4, 5, v3
	v_and_b32_e32 v2, 7, v0
	v_lshlrev_b32_e32 v9, 2, v8
	s_addc_u32 s11, s11, s1
	v_lshrrev_b32_e32 v6, 3, v3
	v_lshl_or_b32 v10, v4, 7, v9
	v_lshlrev_b32_e32 v9, 2, v2
	s_add_u32 s0, s16, s0
	v_add_u32_e32 v7, s7, v6
	v_mov_b32_e32 v3, 0
	v_lshl_or_b32 v6, v6, 5, v9
	s_addc_u32 s1, s17, s1
	v_add_u32_e32 v11, 0x400, v6
	v_mad_i64_i32 v[6:7], s[16:17], s15, v7, v[2:3]
	s_load_dwordx2 s[0:1], s[0:1], 0x0
	v_mov_b32_e32 v5, v3
	v_add_u32_e32 v8, s6, v8
	v_mad_i64_i32 v[8:9], s[16:17], s8, v8, v[4:5]
	s_load_dwordx2 s[10:11], s[10:11], 0x0
	v_lshlrev_b64 v[6:7], 2, v[6:7]
	v_mov_b32_e32 v2, 0x400
	v_lshl_add_u32 v13, v1, 5, v2
	s_waitcnt lgkmcnt(0)
	v_mov_b32_e32 v2, s1
	v_add_co_u32_e32 v4, vcc, s0, v6
	v_addc_co_u32_e32 v5, vcc, v2, v7, vcc
	v_lshlrev_b64 v[6:7], 2, v[8:9]
	v_mov_b32_e32 v2, s11
	v_add_co_u32_e32 v6, vcc, s10, v6
	v_lshlrev_b32_e32 v12, 2, v0
	v_addc_co_u32_e32 v7, vcc, v2, v7, vcc
	v_mov_b32_e32 v2, v3
	v_mov_b32_e32 v8, v3
	;; [unrolled: 1-line block ×3, first 2 shown]
.LBB491_2:                              ; =>This Inner Loop Header: Depth=1
	flat_load_dword v14, v[6:7]
	v_add_co_u32_e32 v6, vcc, 32, v6
	v_addc_co_u32_e32 v7, vcc, 0, v7, vcc
	s_add_i32 s9, s9, 8
	s_cmp_ge_i32 s9, s13
	s_waitcnt vmcnt(0) lgkmcnt(0)
	ds_write_b32 v10, v14
	flat_load_dword v14, v[4:5]
	v_add_co_u32_e32 v4, vcc, 32, v4
	v_addc_co_u32_e32 v5, vcc, 0, v5, vcc
	s_waitcnt vmcnt(0) lgkmcnt(0)
	ds_write_b32 v11, v14
	s_waitcnt lgkmcnt(0)
	s_barrier
	ds_read2_b32 v[26:27], v12 offset1:16
	ds_read_b128 v[14:17], v13
	ds_read2_b32 v[28:29], v12 offset0:32 offset1:48
	ds_read2_b32 v[30:31], v12 offset0:64 offset1:80
	ds_read_b128 v[18:21], v13 offset:16
	ds_read2_b32 v[32:33], v12 offset0:96 offset1:112
	s_waitcnt lgkmcnt(4)
	v_fmac_f32_e32 v9, v26, v14
	v_fmac_f32_e32 v8, v27, v14
	s_waitcnt lgkmcnt(3)
	v_fmac_f32_e32 v9, v28, v15
	v_fmac_f32_e32 v8, v29, v15
	;; [unrolled: 3-line block ×4, first 2 shown]
	ds_read_b128 v[14:17], v13 offset:512
	ds_read_b128 v[22:25], v13 offset:528
	s_waitcnt lgkmcnt(1)
	v_fmac_f32_e32 v2, v26, v14
	v_fmac_f32_e32 v3, v27, v14
	;; [unrolled: 1-line block ×8, first 2 shown]
	ds_read2_b32 v[14:15], v12 offset0:128 offset1:144
	ds_read2_b32 v[16:17], v12 offset0:160 offset1:176
	;; [unrolled: 1-line block ×3, first 2 shown]
	s_waitcnt lgkmcnt(2)
	v_fmac_f32_e32 v9, v14, v18
	v_fmac_f32_e32 v8, v15, v18
	;; [unrolled: 1-line block ×4, first 2 shown]
	ds_read2_b32 v[14:15], v12 offset0:224 offset1:240
	s_waitcnt lgkmcnt(2)
	v_fmac_f32_e32 v9, v16, v19
	v_fmac_f32_e32 v8, v17, v19
	v_fmac_f32_e32 v2, v16, v23
	v_fmac_f32_e32 v3, v17, v23
	s_waitcnt lgkmcnt(1)
	v_fmac_f32_e32 v9, v26, v20
	v_fmac_f32_e32 v8, v27, v20
	v_fmac_f32_e32 v2, v26, v24
	v_fmac_f32_e32 v3, v27, v24
	;; [unrolled: 5-line block ×3, first 2 shown]
	s_barrier
	s_cbranch_scc0 .LBB491_2
	s_branch .LBB491_4
.LBB491_3:
	v_mov_b32_e32 v9, 0
	v_mov_b32_e32 v8, 0
	;; [unrolled: 1-line block ×4, first 2 shown]
.LBB491_4:
	s_load_dword s8, s[4:5], 0x50
	v_add_u32_e32 v6, s7, v1
	s_waitcnt lgkmcnt(0)
	v_mov_b32_e32 v1, s3
	v_add_u32_e32 v0, s6, v0
	v_cmp_gt_i32_e32 vcc, s12, v6
	v_mad_i64_i32 v[4:5], s[0:1], v6, s8, 0
	v_lshlrev_b64 v[4:5], 2, v[4:5]
	v_add_co_u32_e64 v7, s[0:1], s2, v4
	v_addc_co_u32_e64 v10, s[0:1], v1, v5, s[0:1]
	v_cmp_le_i32_e64 s[0:1], v0, v6
	s_and_b64 s[0:1], vcc, s[0:1]
	s_and_saveexec_b64 s[4:5], s[0:1]
	s_cbranch_execz .LBB491_6
; %bb.5:
	v_ashrrev_i32_e32 v1, 31, v0
	v_lshlrev_b64 v[4:5], 2, v[0:1]
	v_mul_f32_e32 v9, s14, v9
	v_add_co_u32_e64 v4, s[0:1], v7, v4
	v_addc_co_u32_e64 v5, s[0:1], v10, v5, s[0:1]
	flat_store_dword v[4:5], v9
.LBB491_6:
	s_or_b64 exec, exec, s[4:5]
	v_add_u32_e32 v4, 16, v0
	v_cmp_le_i32_e64 s[0:1], v4, v6
	s_and_b64 s[4:5], vcc, s[0:1]
	s_and_saveexec_b64 s[0:1], s[4:5]
	s_cbranch_execz .LBB491_8
; %bb.7:
	v_ashrrev_i32_e32 v5, 31, v4
	v_mul_f32_e32 v1, s14, v8
	v_lshlrev_b64 v[8:9], 2, v[4:5]
	v_add_co_u32_e32 v7, vcc, v7, v8
	v_addc_co_u32_e32 v8, vcc, v10, v9, vcc
	flat_store_dword v[7:8], v1
.LBB491_8:
	s_or_b64 exec, exec, s[0:1]
	v_add_u32_e32 v5, 16, v6
	v_mad_i64_i32 v[6:7], s[0:1], v5, s8, 0
	v_mov_b32_e32 v1, s3
	v_cmp_gt_i32_e32 vcc, s12, v5
	v_lshlrev_b64 v[6:7], 2, v[6:7]
	v_add_co_u32_e64 v6, s[0:1], s2, v6
	v_addc_co_u32_e64 v7, s[0:1], v1, v7, s[0:1]
	v_cmp_le_i32_e64 s[0:1], v0, v5
	s_and_b64 s[0:1], vcc, s[0:1]
	s_and_saveexec_b64 s[2:3], s[0:1]
	s_cbranch_execz .LBB491_10
; %bb.9:
	v_ashrrev_i32_e32 v1, 31, v0
	v_lshlrev_b64 v[0:1], 2, v[0:1]
	v_mul_f32_e32 v2, s14, v2
	v_add_co_u32_e64 v0, s[0:1], v6, v0
	v_addc_co_u32_e64 v1, s[0:1], v7, v1, s[0:1]
	flat_store_dword v[0:1], v2
.LBB491_10:
	s_or_b64 exec, exec, s[2:3]
	v_cmp_le_i32_e64 s[0:1], v4, v5
	s_and_b64 s[0:1], vcc, s[0:1]
	s_and_saveexec_b64 s[2:3], s[0:1]
	s_cbranch_execz .LBB491_12
; %bb.11:
	v_ashrrev_i32_e32 v5, 31, v4
	v_lshlrev_b64 v[0:1], 2, v[4:5]
	v_mul_f32_e32 v2, s14, v3
	v_add_co_u32_e32 v0, vcc, v6, v0
	v_addc_co_u32_e32 v1, vcc, v7, v1, vcc
	flat_store_dword v[0:1], v2
.LBB491_12:
	s_endpgm
	.section	.rodata,"a",@progbits
	.p2align	6, 0x0
	.amdhsa_kernel _ZL37rocblas_syrkx_herkx_restricted_kernelIifLi16ELi32ELi8ELb1ELb0ELc84ELc85EKPKfKPfEviT_T0_PT8_S5_lS8_S5_lS6_PT9_S5_li
		.amdhsa_group_segment_fixed_size 2048
		.amdhsa_private_segment_fixed_size 0
		.amdhsa_kernarg_size 100
		.amdhsa_user_sgpr_count 6
		.amdhsa_user_sgpr_private_segment_buffer 1
		.amdhsa_user_sgpr_dispatch_ptr 0
		.amdhsa_user_sgpr_queue_ptr 0
		.amdhsa_user_sgpr_kernarg_segment_ptr 1
		.amdhsa_user_sgpr_dispatch_id 0
		.amdhsa_user_sgpr_flat_scratch_init 0
		.amdhsa_user_sgpr_private_segment_size 0
		.amdhsa_uses_dynamic_stack 0
		.amdhsa_system_sgpr_private_segment_wavefront_offset 0
		.amdhsa_system_sgpr_workgroup_id_x 1
		.amdhsa_system_sgpr_workgroup_id_y 1
		.amdhsa_system_sgpr_workgroup_id_z 1
		.amdhsa_system_sgpr_workgroup_info 0
		.amdhsa_system_vgpr_workitem_id 1
		.amdhsa_next_free_vgpr 34
		.amdhsa_next_free_sgpr 18
		.amdhsa_reserve_vcc 1
		.amdhsa_reserve_flat_scratch 0
		.amdhsa_float_round_mode_32 0
		.amdhsa_float_round_mode_16_64 0
		.amdhsa_float_denorm_mode_32 3
		.amdhsa_float_denorm_mode_16_64 3
		.amdhsa_dx10_clamp 1
		.amdhsa_ieee_mode 1
		.amdhsa_fp16_overflow 0
		.amdhsa_exception_fp_ieee_invalid_op 0
		.amdhsa_exception_fp_denorm_src 0
		.amdhsa_exception_fp_ieee_div_zero 0
		.amdhsa_exception_fp_ieee_overflow 0
		.amdhsa_exception_fp_ieee_underflow 0
		.amdhsa_exception_fp_ieee_inexact 0
		.amdhsa_exception_int_div_zero 0
	.end_amdhsa_kernel
	.section	.text._ZL37rocblas_syrkx_herkx_restricted_kernelIifLi16ELi32ELi8ELb1ELb0ELc84ELc85EKPKfKPfEviT_T0_PT8_S5_lS8_S5_lS6_PT9_S5_li,"axG",@progbits,_ZL37rocblas_syrkx_herkx_restricted_kernelIifLi16ELi32ELi8ELb1ELb0ELc84ELc85EKPKfKPfEviT_T0_PT8_S5_lS8_S5_lS6_PT9_S5_li,comdat
.Lfunc_end491:
	.size	_ZL37rocblas_syrkx_herkx_restricted_kernelIifLi16ELi32ELi8ELb1ELb0ELc84ELc85EKPKfKPfEviT_T0_PT8_S5_lS8_S5_lS6_PT9_S5_li, .Lfunc_end491-_ZL37rocblas_syrkx_herkx_restricted_kernelIifLi16ELi32ELi8ELb1ELb0ELc84ELc85EKPKfKPfEviT_T0_PT8_S5_lS8_S5_lS6_PT9_S5_li
                                        ; -- End function
	.set _ZL37rocblas_syrkx_herkx_restricted_kernelIifLi16ELi32ELi8ELb1ELb0ELc84ELc85EKPKfKPfEviT_T0_PT8_S5_lS8_S5_lS6_PT9_S5_li.num_vgpr, 34
	.set _ZL37rocblas_syrkx_herkx_restricted_kernelIifLi16ELi32ELi8ELb1ELb0ELc84ELc85EKPKfKPfEviT_T0_PT8_S5_lS8_S5_lS6_PT9_S5_li.num_agpr, 0
	.set _ZL37rocblas_syrkx_herkx_restricted_kernelIifLi16ELi32ELi8ELb1ELb0ELc84ELc85EKPKfKPfEviT_T0_PT8_S5_lS8_S5_lS6_PT9_S5_li.numbered_sgpr, 18
	.set _ZL37rocblas_syrkx_herkx_restricted_kernelIifLi16ELi32ELi8ELb1ELb0ELc84ELc85EKPKfKPfEviT_T0_PT8_S5_lS8_S5_lS6_PT9_S5_li.num_named_barrier, 0
	.set _ZL37rocblas_syrkx_herkx_restricted_kernelIifLi16ELi32ELi8ELb1ELb0ELc84ELc85EKPKfKPfEviT_T0_PT8_S5_lS8_S5_lS6_PT9_S5_li.private_seg_size, 0
	.set _ZL37rocblas_syrkx_herkx_restricted_kernelIifLi16ELi32ELi8ELb1ELb0ELc84ELc85EKPKfKPfEviT_T0_PT8_S5_lS8_S5_lS6_PT9_S5_li.uses_vcc, 1
	.set _ZL37rocblas_syrkx_herkx_restricted_kernelIifLi16ELi32ELi8ELb1ELb0ELc84ELc85EKPKfKPfEviT_T0_PT8_S5_lS8_S5_lS6_PT9_S5_li.uses_flat_scratch, 0
	.set _ZL37rocblas_syrkx_herkx_restricted_kernelIifLi16ELi32ELi8ELb1ELb0ELc84ELc85EKPKfKPfEviT_T0_PT8_S5_lS8_S5_lS6_PT9_S5_li.has_dyn_sized_stack, 0
	.set _ZL37rocblas_syrkx_herkx_restricted_kernelIifLi16ELi32ELi8ELb1ELb0ELc84ELc85EKPKfKPfEviT_T0_PT8_S5_lS8_S5_lS6_PT9_S5_li.has_recursion, 0
	.set _ZL37rocblas_syrkx_herkx_restricted_kernelIifLi16ELi32ELi8ELb1ELb0ELc84ELc85EKPKfKPfEviT_T0_PT8_S5_lS8_S5_lS6_PT9_S5_li.has_indirect_call, 0
	.section	.AMDGPU.csdata,"",@progbits
; Kernel info:
; codeLenInByte = 1000
; TotalNumSgprs: 22
; NumVgprs: 34
; ScratchSize: 0
; MemoryBound: 0
; FloatMode: 240
; IeeeMode: 1
; LDSByteSize: 2048 bytes/workgroup (compile time only)
; SGPRBlocks: 2
; VGPRBlocks: 8
; NumSGPRsForWavesPerEU: 22
; NumVGPRsForWavesPerEU: 34
; Occupancy: 7
; WaveLimiterHint : 1
; COMPUTE_PGM_RSRC2:SCRATCH_EN: 0
; COMPUTE_PGM_RSRC2:USER_SGPR: 6
; COMPUTE_PGM_RSRC2:TRAP_HANDLER: 0
; COMPUTE_PGM_RSRC2:TGID_X_EN: 1
; COMPUTE_PGM_RSRC2:TGID_Y_EN: 1
; COMPUTE_PGM_RSRC2:TGID_Z_EN: 1
; COMPUTE_PGM_RSRC2:TIDIG_COMP_CNT: 1
	.section	.text._ZL37rocblas_syrkx_herkx_restricted_kernelIifLi16ELi32ELi8ELb1ELb0ELc67ELc85EKPKfKPfEviT_T0_PT8_S5_lS8_S5_lS6_PT9_S5_li,"axG",@progbits,_ZL37rocblas_syrkx_herkx_restricted_kernelIifLi16ELi32ELi8ELb1ELb0ELc67ELc85EKPKfKPfEviT_T0_PT8_S5_lS8_S5_lS6_PT9_S5_li,comdat
	.globl	_ZL37rocblas_syrkx_herkx_restricted_kernelIifLi16ELi32ELi8ELb1ELb0ELc67ELc85EKPKfKPfEviT_T0_PT8_S5_lS8_S5_lS6_PT9_S5_li ; -- Begin function _ZL37rocblas_syrkx_herkx_restricted_kernelIifLi16ELi32ELi8ELb1ELb0ELc67ELc85EKPKfKPfEviT_T0_PT8_S5_lS8_S5_lS6_PT9_S5_li
	.p2align	8
	.type	_ZL37rocblas_syrkx_herkx_restricted_kernelIifLi16ELi32ELi8ELb1ELb0ELc67ELc85EKPKfKPfEviT_T0_PT8_S5_lS8_S5_lS6_PT9_S5_li,@function
_ZL37rocblas_syrkx_herkx_restricted_kernelIifLi16ELi32ELi8ELb1ELb0ELc67ELc85EKPKfKPfEviT_T0_PT8_S5_lS8_S5_lS6_PT9_S5_li: ; @_ZL37rocblas_syrkx_herkx_restricted_kernelIifLi16ELi32ELi8ELb1ELb0ELc67ELc85EKPKfKPfEviT_T0_PT8_S5_lS8_S5_lS6_PT9_S5_li
; %bb.0:
	s_load_dwordx2 s[2:3], s[4:5], 0x48
	s_load_dwordx4 s[12:15], s[4:5], 0x0
	s_mov_b32 s9, 0
	s_lshl_b64 s[0:1], s[8:9], 3
	s_waitcnt lgkmcnt(0)
	s_add_u32 s2, s2, s0
	s_addc_u32 s3, s3, s1
	s_load_dwordx2 s[2:3], s[2:3], 0x0
	s_lshl_b32 s6, s6, 5
	s_lshl_b32 s7, s7, 5
	s_cmp_lt_i32 s13, 1
	s_cbranch_scc1 .LBB492_3
; %bb.1:
	s_load_dwordx2 s[10:11], s[4:5], 0x10
	s_load_dword s8, s[4:5], 0x18
	s_load_dwordx2 s[16:17], s[4:5], 0x28
	s_load_dword s15, s[4:5], 0x30
	v_lshl_add_u32 v3, v1, 4, v0
	v_and_b32_e32 v8, 31, v3
	s_waitcnt lgkmcnt(0)
	s_add_u32 s10, s10, s0
	v_lshrrev_b32_e32 v4, 5, v3
	v_and_b32_e32 v2, 7, v0
	v_lshlrev_b32_e32 v9, 2, v8
	s_addc_u32 s11, s11, s1
	v_lshrrev_b32_e32 v6, 3, v3
	v_lshl_or_b32 v10, v4, 7, v9
	v_lshlrev_b32_e32 v9, 2, v2
	s_add_u32 s0, s16, s0
	v_add_u32_e32 v7, s7, v6
	v_mov_b32_e32 v3, 0
	v_lshl_or_b32 v6, v6, 5, v9
	s_addc_u32 s1, s17, s1
	v_add_u32_e32 v11, 0x400, v6
	v_mad_i64_i32 v[6:7], s[16:17], s15, v7, v[2:3]
	s_load_dwordx2 s[0:1], s[0:1], 0x0
	v_mov_b32_e32 v5, v3
	v_add_u32_e32 v8, s6, v8
	v_mad_i64_i32 v[8:9], s[16:17], s8, v8, v[4:5]
	s_load_dwordx2 s[10:11], s[10:11], 0x0
	v_lshlrev_b64 v[6:7], 2, v[6:7]
	v_mov_b32_e32 v2, 0x400
	v_lshl_add_u32 v13, v1, 5, v2
	s_waitcnt lgkmcnt(0)
	v_mov_b32_e32 v2, s1
	v_add_co_u32_e32 v4, vcc, s0, v6
	v_addc_co_u32_e32 v5, vcc, v2, v7, vcc
	v_lshlrev_b64 v[6:7], 2, v[8:9]
	v_mov_b32_e32 v2, s11
	v_add_co_u32_e32 v6, vcc, s10, v6
	v_lshlrev_b32_e32 v12, 2, v0
	v_addc_co_u32_e32 v7, vcc, v2, v7, vcc
	v_mov_b32_e32 v2, v3
	v_mov_b32_e32 v8, v3
	;; [unrolled: 1-line block ×3, first 2 shown]
.LBB492_2:                              ; =>This Inner Loop Header: Depth=1
	flat_load_dword v14, v[6:7]
	v_add_co_u32_e32 v6, vcc, 32, v6
	v_addc_co_u32_e32 v7, vcc, 0, v7, vcc
	s_add_i32 s9, s9, 8
	s_cmp_ge_i32 s9, s13
	s_waitcnt vmcnt(0) lgkmcnt(0)
	ds_write_b32 v10, v14
	flat_load_dword v14, v[4:5]
	v_add_co_u32_e32 v4, vcc, 32, v4
	v_addc_co_u32_e32 v5, vcc, 0, v5, vcc
	s_waitcnt vmcnt(0) lgkmcnt(0)
	ds_write_b32 v11, v14
	s_waitcnt lgkmcnt(0)
	s_barrier
	ds_read2_b32 v[26:27], v12 offset1:16
	ds_read_b128 v[14:17], v13
	ds_read2_b32 v[28:29], v12 offset0:32 offset1:48
	ds_read2_b32 v[30:31], v12 offset0:64 offset1:80
	ds_read_b128 v[18:21], v13 offset:16
	ds_read2_b32 v[32:33], v12 offset0:96 offset1:112
	s_waitcnt lgkmcnt(4)
	v_fmac_f32_e32 v9, v26, v14
	v_fmac_f32_e32 v8, v27, v14
	s_waitcnt lgkmcnt(3)
	v_fmac_f32_e32 v9, v28, v15
	v_fmac_f32_e32 v8, v29, v15
	;; [unrolled: 3-line block ×4, first 2 shown]
	ds_read_b128 v[14:17], v13 offset:512
	ds_read_b128 v[22:25], v13 offset:528
	s_waitcnt lgkmcnt(1)
	v_fmac_f32_e32 v2, v26, v14
	v_fmac_f32_e32 v3, v27, v14
	;; [unrolled: 1-line block ×8, first 2 shown]
	ds_read2_b32 v[14:15], v12 offset0:128 offset1:144
	ds_read2_b32 v[16:17], v12 offset0:160 offset1:176
	;; [unrolled: 1-line block ×3, first 2 shown]
	s_waitcnt lgkmcnt(2)
	v_fmac_f32_e32 v9, v14, v18
	v_fmac_f32_e32 v8, v15, v18
	;; [unrolled: 1-line block ×4, first 2 shown]
	ds_read2_b32 v[14:15], v12 offset0:224 offset1:240
	s_waitcnt lgkmcnt(2)
	v_fmac_f32_e32 v9, v16, v19
	v_fmac_f32_e32 v8, v17, v19
	v_fmac_f32_e32 v2, v16, v23
	v_fmac_f32_e32 v3, v17, v23
	s_waitcnt lgkmcnt(1)
	v_fmac_f32_e32 v9, v26, v20
	v_fmac_f32_e32 v8, v27, v20
	v_fmac_f32_e32 v2, v26, v24
	v_fmac_f32_e32 v3, v27, v24
	;; [unrolled: 5-line block ×3, first 2 shown]
	s_barrier
	s_cbranch_scc0 .LBB492_2
	s_branch .LBB492_4
.LBB492_3:
	v_mov_b32_e32 v9, 0
	v_mov_b32_e32 v8, 0
	;; [unrolled: 1-line block ×4, first 2 shown]
.LBB492_4:
	s_load_dword s8, s[4:5], 0x50
	v_add_u32_e32 v6, s7, v1
	s_waitcnt lgkmcnt(0)
	v_mov_b32_e32 v1, s3
	v_add_u32_e32 v0, s6, v0
	v_cmp_gt_i32_e32 vcc, s12, v6
	v_mad_i64_i32 v[4:5], s[0:1], v6, s8, 0
	v_lshlrev_b64 v[4:5], 2, v[4:5]
	v_add_co_u32_e64 v7, s[0:1], s2, v4
	v_addc_co_u32_e64 v10, s[0:1], v1, v5, s[0:1]
	v_cmp_le_i32_e64 s[0:1], v0, v6
	s_and_b64 s[0:1], vcc, s[0:1]
	s_and_saveexec_b64 s[4:5], s[0:1]
	s_cbranch_execz .LBB492_6
; %bb.5:
	v_ashrrev_i32_e32 v1, 31, v0
	v_lshlrev_b64 v[4:5], 2, v[0:1]
	v_mul_f32_e32 v9, s14, v9
	v_add_co_u32_e64 v4, s[0:1], v7, v4
	v_addc_co_u32_e64 v5, s[0:1], v10, v5, s[0:1]
	flat_store_dword v[4:5], v9
.LBB492_6:
	s_or_b64 exec, exec, s[4:5]
	v_add_u32_e32 v4, 16, v0
	v_cmp_le_i32_e64 s[0:1], v4, v6
	s_and_b64 s[4:5], vcc, s[0:1]
	s_and_saveexec_b64 s[0:1], s[4:5]
	s_cbranch_execz .LBB492_8
; %bb.7:
	v_ashrrev_i32_e32 v5, 31, v4
	v_mul_f32_e32 v1, s14, v8
	v_lshlrev_b64 v[8:9], 2, v[4:5]
	v_add_co_u32_e32 v7, vcc, v7, v8
	v_addc_co_u32_e32 v8, vcc, v10, v9, vcc
	flat_store_dword v[7:8], v1
.LBB492_8:
	s_or_b64 exec, exec, s[0:1]
	v_add_u32_e32 v5, 16, v6
	v_mad_i64_i32 v[6:7], s[0:1], v5, s8, 0
	v_mov_b32_e32 v1, s3
	v_cmp_gt_i32_e32 vcc, s12, v5
	v_lshlrev_b64 v[6:7], 2, v[6:7]
	v_add_co_u32_e64 v6, s[0:1], s2, v6
	v_addc_co_u32_e64 v7, s[0:1], v1, v7, s[0:1]
	v_cmp_le_i32_e64 s[0:1], v0, v5
	s_and_b64 s[0:1], vcc, s[0:1]
	s_and_saveexec_b64 s[2:3], s[0:1]
	s_cbranch_execz .LBB492_10
; %bb.9:
	v_ashrrev_i32_e32 v1, 31, v0
	v_lshlrev_b64 v[0:1], 2, v[0:1]
	v_mul_f32_e32 v2, s14, v2
	v_add_co_u32_e64 v0, s[0:1], v6, v0
	v_addc_co_u32_e64 v1, s[0:1], v7, v1, s[0:1]
	flat_store_dword v[0:1], v2
.LBB492_10:
	s_or_b64 exec, exec, s[2:3]
	v_cmp_le_i32_e64 s[0:1], v4, v5
	s_and_b64 s[0:1], vcc, s[0:1]
	s_and_saveexec_b64 s[2:3], s[0:1]
	s_cbranch_execz .LBB492_12
; %bb.11:
	v_ashrrev_i32_e32 v5, 31, v4
	v_lshlrev_b64 v[0:1], 2, v[4:5]
	v_mul_f32_e32 v2, s14, v3
	v_add_co_u32_e32 v0, vcc, v6, v0
	v_addc_co_u32_e32 v1, vcc, v7, v1, vcc
	flat_store_dword v[0:1], v2
.LBB492_12:
	s_endpgm
	.section	.rodata,"a",@progbits
	.p2align	6, 0x0
	.amdhsa_kernel _ZL37rocblas_syrkx_herkx_restricted_kernelIifLi16ELi32ELi8ELb1ELb0ELc67ELc85EKPKfKPfEviT_T0_PT8_S5_lS8_S5_lS6_PT9_S5_li
		.amdhsa_group_segment_fixed_size 2048
		.amdhsa_private_segment_fixed_size 0
		.amdhsa_kernarg_size 100
		.amdhsa_user_sgpr_count 6
		.amdhsa_user_sgpr_private_segment_buffer 1
		.amdhsa_user_sgpr_dispatch_ptr 0
		.amdhsa_user_sgpr_queue_ptr 0
		.amdhsa_user_sgpr_kernarg_segment_ptr 1
		.amdhsa_user_sgpr_dispatch_id 0
		.amdhsa_user_sgpr_flat_scratch_init 0
		.amdhsa_user_sgpr_private_segment_size 0
		.amdhsa_uses_dynamic_stack 0
		.amdhsa_system_sgpr_private_segment_wavefront_offset 0
		.amdhsa_system_sgpr_workgroup_id_x 1
		.amdhsa_system_sgpr_workgroup_id_y 1
		.amdhsa_system_sgpr_workgroup_id_z 1
		.amdhsa_system_sgpr_workgroup_info 0
		.amdhsa_system_vgpr_workitem_id 1
		.amdhsa_next_free_vgpr 34
		.amdhsa_next_free_sgpr 18
		.amdhsa_reserve_vcc 1
		.amdhsa_reserve_flat_scratch 0
		.amdhsa_float_round_mode_32 0
		.amdhsa_float_round_mode_16_64 0
		.amdhsa_float_denorm_mode_32 3
		.amdhsa_float_denorm_mode_16_64 3
		.amdhsa_dx10_clamp 1
		.amdhsa_ieee_mode 1
		.amdhsa_fp16_overflow 0
		.amdhsa_exception_fp_ieee_invalid_op 0
		.amdhsa_exception_fp_denorm_src 0
		.amdhsa_exception_fp_ieee_div_zero 0
		.amdhsa_exception_fp_ieee_overflow 0
		.amdhsa_exception_fp_ieee_underflow 0
		.amdhsa_exception_fp_ieee_inexact 0
		.amdhsa_exception_int_div_zero 0
	.end_amdhsa_kernel
	.section	.text._ZL37rocblas_syrkx_herkx_restricted_kernelIifLi16ELi32ELi8ELb1ELb0ELc67ELc85EKPKfKPfEviT_T0_PT8_S5_lS8_S5_lS6_PT9_S5_li,"axG",@progbits,_ZL37rocblas_syrkx_herkx_restricted_kernelIifLi16ELi32ELi8ELb1ELb0ELc67ELc85EKPKfKPfEviT_T0_PT8_S5_lS8_S5_lS6_PT9_S5_li,comdat
.Lfunc_end492:
	.size	_ZL37rocblas_syrkx_herkx_restricted_kernelIifLi16ELi32ELi8ELb1ELb0ELc67ELc85EKPKfKPfEviT_T0_PT8_S5_lS8_S5_lS6_PT9_S5_li, .Lfunc_end492-_ZL37rocblas_syrkx_herkx_restricted_kernelIifLi16ELi32ELi8ELb1ELb0ELc67ELc85EKPKfKPfEviT_T0_PT8_S5_lS8_S5_lS6_PT9_S5_li
                                        ; -- End function
	.set _ZL37rocblas_syrkx_herkx_restricted_kernelIifLi16ELi32ELi8ELb1ELb0ELc67ELc85EKPKfKPfEviT_T0_PT8_S5_lS8_S5_lS6_PT9_S5_li.num_vgpr, 34
	.set _ZL37rocblas_syrkx_herkx_restricted_kernelIifLi16ELi32ELi8ELb1ELb0ELc67ELc85EKPKfKPfEviT_T0_PT8_S5_lS8_S5_lS6_PT9_S5_li.num_agpr, 0
	.set _ZL37rocblas_syrkx_herkx_restricted_kernelIifLi16ELi32ELi8ELb1ELb0ELc67ELc85EKPKfKPfEviT_T0_PT8_S5_lS8_S5_lS6_PT9_S5_li.numbered_sgpr, 18
	.set _ZL37rocblas_syrkx_herkx_restricted_kernelIifLi16ELi32ELi8ELb1ELb0ELc67ELc85EKPKfKPfEviT_T0_PT8_S5_lS8_S5_lS6_PT9_S5_li.num_named_barrier, 0
	.set _ZL37rocblas_syrkx_herkx_restricted_kernelIifLi16ELi32ELi8ELb1ELb0ELc67ELc85EKPKfKPfEviT_T0_PT8_S5_lS8_S5_lS6_PT9_S5_li.private_seg_size, 0
	.set _ZL37rocblas_syrkx_herkx_restricted_kernelIifLi16ELi32ELi8ELb1ELb0ELc67ELc85EKPKfKPfEviT_T0_PT8_S5_lS8_S5_lS6_PT9_S5_li.uses_vcc, 1
	.set _ZL37rocblas_syrkx_herkx_restricted_kernelIifLi16ELi32ELi8ELb1ELb0ELc67ELc85EKPKfKPfEviT_T0_PT8_S5_lS8_S5_lS6_PT9_S5_li.uses_flat_scratch, 0
	.set _ZL37rocblas_syrkx_herkx_restricted_kernelIifLi16ELi32ELi8ELb1ELb0ELc67ELc85EKPKfKPfEviT_T0_PT8_S5_lS8_S5_lS6_PT9_S5_li.has_dyn_sized_stack, 0
	.set _ZL37rocblas_syrkx_herkx_restricted_kernelIifLi16ELi32ELi8ELb1ELb0ELc67ELc85EKPKfKPfEviT_T0_PT8_S5_lS8_S5_lS6_PT9_S5_li.has_recursion, 0
	.set _ZL37rocblas_syrkx_herkx_restricted_kernelIifLi16ELi32ELi8ELb1ELb0ELc67ELc85EKPKfKPfEviT_T0_PT8_S5_lS8_S5_lS6_PT9_S5_li.has_indirect_call, 0
	.section	.AMDGPU.csdata,"",@progbits
; Kernel info:
; codeLenInByte = 1000
; TotalNumSgprs: 22
; NumVgprs: 34
; ScratchSize: 0
; MemoryBound: 0
; FloatMode: 240
; IeeeMode: 1
; LDSByteSize: 2048 bytes/workgroup (compile time only)
; SGPRBlocks: 2
; VGPRBlocks: 8
; NumSGPRsForWavesPerEU: 22
; NumVGPRsForWavesPerEU: 34
; Occupancy: 7
; WaveLimiterHint : 1
; COMPUTE_PGM_RSRC2:SCRATCH_EN: 0
; COMPUTE_PGM_RSRC2:USER_SGPR: 6
; COMPUTE_PGM_RSRC2:TRAP_HANDLER: 0
; COMPUTE_PGM_RSRC2:TGID_X_EN: 1
; COMPUTE_PGM_RSRC2:TGID_Y_EN: 1
; COMPUTE_PGM_RSRC2:TGID_Z_EN: 1
; COMPUTE_PGM_RSRC2:TIDIG_COMP_CNT: 1
	.section	.text._ZL37rocblas_syrkx_herkx_restricted_kernelIifLi16ELi32ELi8ELb1ELb0ELc78ELc85EKPKfKPfEviT_T0_PT8_S5_lS8_S5_lS6_PT9_S5_li,"axG",@progbits,_ZL37rocblas_syrkx_herkx_restricted_kernelIifLi16ELi32ELi8ELb1ELb0ELc78ELc85EKPKfKPfEviT_T0_PT8_S5_lS8_S5_lS6_PT9_S5_li,comdat
	.globl	_ZL37rocblas_syrkx_herkx_restricted_kernelIifLi16ELi32ELi8ELb1ELb0ELc78ELc85EKPKfKPfEviT_T0_PT8_S5_lS8_S5_lS6_PT9_S5_li ; -- Begin function _ZL37rocblas_syrkx_herkx_restricted_kernelIifLi16ELi32ELi8ELb1ELb0ELc78ELc85EKPKfKPfEviT_T0_PT8_S5_lS8_S5_lS6_PT9_S5_li
	.p2align	8
	.type	_ZL37rocblas_syrkx_herkx_restricted_kernelIifLi16ELi32ELi8ELb1ELb0ELc78ELc85EKPKfKPfEviT_T0_PT8_S5_lS8_S5_lS6_PT9_S5_li,@function
_ZL37rocblas_syrkx_herkx_restricted_kernelIifLi16ELi32ELi8ELb1ELb0ELc78ELc85EKPKfKPfEviT_T0_PT8_S5_lS8_S5_lS6_PT9_S5_li: ; @_ZL37rocblas_syrkx_herkx_restricted_kernelIifLi16ELi32ELi8ELb1ELb0ELc78ELc85EKPKfKPfEviT_T0_PT8_S5_lS8_S5_lS6_PT9_S5_li
; %bb.0:
	s_load_dwordx2 s[2:3], s[4:5], 0x48
	s_load_dwordx4 s[12:15], s[4:5], 0x0
	s_mov_b32 s9, 0
	s_lshl_b64 s[0:1], s[8:9], 3
	s_waitcnt lgkmcnt(0)
	s_add_u32 s2, s2, s0
	s_addc_u32 s3, s3, s1
	s_load_dwordx2 s[2:3], s[2:3], 0x0
	s_lshl_b32 s8, s6, 5
	s_lshl_b32 s10, s7, 5
	s_cmp_lt_i32 s13, 1
	s_cbranch_scc1 .LBB493_3
; %bb.1:
	s_load_dword s6, s[4:5], 0x18
	s_load_dword s16, s[4:5], 0x30
	s_load_dwordx2 s[18:19], s[4:5], 0x10
	s_load_dwordx2 s[20:21], s[4:5], 0x28
	v_lshl_add_u32 v2, v1, 4, v0
	v_and_b32_e32 v7, 31, v2
	s_waitcnt lgkmcnt(0)
	s_ashr_i32 s7, s6, 31
	s_ashr_i32 s17, s16, 31
	v_lshrrev_b32_e32 v6, 5, v2
	v_and_b32_e32 v5, 7, v0
	v_lshlrev_b32_e32 v8, 2, v7
	s_add_u32 s18, s18, s0
	v_lshrrev_b32_e32 v4, 3, v2
	v_lshl_or_b32 v10, v6, 7, v8
	v_lshlrev_b32_e32 v8, 2, v5
	s_addc_u32 s19, s19, s1
	v_add_u32_e32 v2, s10, v4
	v_lshl_or_b32 v4, v4, 5, v8
	s_add_u32 s0, s20, s0
	v_ashrrev_i32_e32 v3, 31, v2
	v_add_u32_e32 v11, 0x400, v4
	v_mov_b32_e32 v4, 0x400
	s_addc_u32 s1, s21, s1
	v_mad_i64_i32 v[2:3], s[20:21], s16, v5, v[2:3]
	v_lshl_add_u32 v13, v1, 5, v4
	v_add_u32_e32 v4, s8, v7
	s_load_dwordx2 s[0:1], s[0:1], 0x0
	v_ashrrev_i32_e32 v5, 31, v4
	v_mad_i64_i32 v[4:5], s[20:21], s6, v6, v[4:5]
	s_load_dwordx2 s[18:19], s[18:19], 0x0
	v_lshlrev_b64 v[2:3], 2, v[2:3]
	s_waitcnt lgkmcnt(0)
	v_mov_b32_e32 v8, s1
	v_add_co_u32_e32 v2, vcc, s0, v2
	v_lshlrev_b64 v[4:5], 2, v[4:5]
	v_addc_co_u32_e32 v3, vcc, v8, v3, vcc
	s_lshl_b64 s[0:1], s[16:17], 5
	v_mov_b32_e32 v6, s19
	v_add_co_u32_e32 v4, vcc, s18, v4
	s_lshl_b64 s[6:7], s[6:7], 5
	v_lshlrev_b32_e32 v12, 2, v0
	v_addc_co_u32_e32 v5, vcc, v6, v5, vcc
	v_mov_b32_e32 v6, 0
	v_mov_b32_e32 v14, s1
	;; [unrolled: 1-line block ×6, first 2 shown]
.LBB493_2:                              ; =>This Inner Loop Header: Depth=1
	flat_load_dword v16, v[4:5]
	v_add_co_u32_e32 v4, vcc, s6, v4
	v_addc_co_u32_e32 v5, vcc, v5, v15, vcc
	s_add_i32 s9, s9, 8
	s_cmp_ge_i32 s9, s13
	s_waitcnt vmcnt(0) lgkmcnt(0)
	ds_write_b32 v10, v16
	flat_load_dword v16, v[2:3]
	v_add_co_u32_e32 v2, vcc, s0, v2
	v_addc_co_u32_e32 v3, vcc, v3, v14, vcc
	s_waitcnt vmcnt(0) lgkmcnt(0)
	ds_write_b32 v11, v16
	s_waitcnt lgkmcnt(0)
	s_barrier
	ds_read2_b32 v[28:29], v12 offset1:16
	ds_read_b128 v[16:19], v13
	ds_read2_b32 v[30:31], v12 offset0:32 offset1:48
	ds_read2_b32 v[32:33], v12 offset0:64 offset1:80
	ds_read_b128 v[20:23], v13 offset:16
	ds_read2_b32 v[34:35], v12 offset0:96 offset1:112
	s_waitcnt lgkmcnt(4)
	v_fmac_f32_e32 v9, v28, v16
	v_fmac_f32_e32 v8, v29, v16
	s_waitcnt lgkmcnt(3)
	v_fmac_f32_e32 v9, v30, v17
	v_fmac_f32_e32 v8, v31, v17
	s_waitcnt lgkmcnt(2)
	v_fmac_f32_e32 v9, v32, v18
	v_fmac_f32_e32 v8, v33, v18
	s_waitcnt lgkmcnt(0)
	v_fmac_f32_e32 v9, v34, v19
	v_fmac_f32_e32 v8, v35, v19
	ds_read_b128 v[16:19], v13 offset:512
	ds_read_b128 v[24:27], v13 offset:528
	s_waitcnt lgkmcnt(1)
	v_fmac_f32_e32 v7, v28, v16
	v_fmac_f32_e32 v6, v29, v16
	;; [unrolled: 1-line block ×8, first 2 shown]
	ds_read2_b32 v[16:17], v12 offset0:128 offset1:144
	ds_read2_b32 v[18:19], v12 offset0:160 offset1:176
	;; [unrolled: 1-line block ×3, first 2 shown]
	s_waitcnt lgkmcnt(2)
	v_fmac_f32_e32 v9, v16, v20
	v_fmac_f32_e32 v8, v17, v20
	;; [unrolled: 1-line block ×4, first 2 shown]
	ds_read2_b32 v[16:17], v12 offset0:224 offset1:240
	s_waitcnt lgkmcnt(2)
	v_fmac_f32_e32 v9, v18, v21
	v_fmac_f32_e32 v8, v19, v21
	v_fmac_f32_e32 v7, v18, v25
	v_fmac_f32_e32 v6, v19, v25
	s_waitcnt lgkmcnt(1)
	v_fmac_f32_e32 v9, v28, v22
	v_fmac_f32_e32 v8, v29, v22
	v_fmac_f32_e32 v7, v28, v26
	v_fmac_f32_e32 v6, v29, v26
	;; [unrolled: 5-line block ×3, first 2 shown]
	s_barrier
	s_cbranch_scc0 .LBB493_2
	s_branch .LBB493_4
.LBB493_3:
	v_mov_b32_e32 v9, 0
	v_mov_b32_e32 v8, 0
	;; [unrolled: 1-line block ×4, first 2 shown]
.LBB493_4:
	s_load_dword s6, s[4:5], 0x50
	v_add_u32_e32 v4, s10, v1
	s_waitcnt lgkmcnt(0)
	v_mov_b32_e32 v3, s3
	v_add_u32_e32 v0, s8, v0
	v_cmp_gt_i32_e32 vcc, s12, v4
	v_mad_i64_i32 v[1:2], s[0:1], v4, s6, 0
	v_lshlrev_b64 v[1:2], 2, v[1:2]
	v_add_co_u32_e64 v5, s[0:1], s2, v1
	v_addc_co_u32_e64 v10, s[0:1], v3, v2, s[0:1]
	v_cmp_le_i32_e64 s[0:1], v0, v4
	s_and_b64 s[0:1], vcc, s[0:1]
	s_and_saveexec_b64 s[4:5], s[0:1]
	s_cbranch_execz .LBB493_6
; %bb.5:
	v_ashrrev_i32_e32 v1, 31, v0
	v_lshlrev_b64 v[1:2], 2, v[0:1]
	v_mul_f32_e32 v3, s14, v9
	v_add_co_u32_e64 v1, s[0:1], v5, v1
	v_addc_co_u32_e64 v2, s[0:1], v10, v2, s[0:1]
	flat_store_dword v[1:2], v3
.LBB493_6:
	s_or_b64 exec, exec, s[4:5]
	v_add_u32_e32 v2, 16, v0
	v_cmp_le_i32_e64 s[0:1], v2, v4
	s_and_b64 s[4:5], vcc, s[0:1]
	s_and_saveexec_b64 s[0:1], s[4:5]
	s_cbranch_execz .LBB493_8
; %bb.7:
	v_ashrrev_i32_e32 v3, 31, v2
	v_mul_f32_e32 v1, s14, v8
	v_lshlrev_b64 v[8:9], 2, v[2:3]
	v_add_co_u32_e32 v8, vcc, v5, v8
	v_addc_co_u32_e32 v9, vcc, v10, v9, vcc
	flat_store_dword v[8:9], v1
.LBB493_8:
	s_or_b64 exec, exec, s[0:1]
	v_add_u32_e32 v3, 16, v4
	v_mad_i64_i32 v[4:5], s[0:1], v3, s6, 0
	v_mov_b32_e32 v1, s3
	v_cmp_gt_i32_e32 vcc, s12, v3
	v_lshlrev_b64 v[4:5], 2, v[4:5]
	v_add_co_u32_e64 v4, s[0:1], s2, v4
	v_addc_co_u32_e64 v5, s[0:1], v1, v5, s[0:1]
	v_cmp_le_i32_e64 s[0:1], v0, v3
	s_and_b64 s[0:1], vcc, s[0:1]
	s_and_saveexec_b64 s[2:3], s[0:1]
	s_cbranch_execz .LBB493_10
; %bb.9:
	v_ashrrev_i32_e32 v1, 31, v0
	v_lshlrev_b64 v[0:1], 2, v[0:1]
	v_mul_f32_e32 v7, s14, v7
	v_add_co_u32_e64 v0, s[0:1], v4, v0
	v_addc_co_u32_e64 v1, s[0:1], v5, v1, s[0:1]
	flat_store_dword v[0:1], v7
.LBB493_10:
	s_or_b64 exec, exec, s[2:3]
	v_cmp_le_i32_e64 s[0:1], v2, v3
	s_and_b64 s[0:1], vcc, s[0:1]
	s_and_saveexec_b64 s[2:3], s[0:1]
	s_cbranch_execz .LBB493_12
; %bb.11:
	v_ashrrev_i32_e32 v3, 31, v2
	v_lshlrev_b64 v[0:1], 2, v[2:3]
	v_mul_f32_e32 v6, s14, v6
	v_add_co_u32_e32 v0, vcc, v4, v0
	v_addc_co_u32_e32 v1, vcc, v5, v1, vcc
	flat_store_dword v[0:1], v6
.LBB493_12:
	s_endpgm
	.section	.rodata,"a",@progbits
	.p2align	6, 0x0
	.amdhsa_kernel _ZL37rocblas_syrkx_herkx_restricted_kernelIifLi16ELi32ELi8ELb1ELb0ELc78ELc85EKPKfKPfEviT_T0_PT8_S5_lS8_S5_lS6_PT9_S5_li
		.amdhsa_group_segment_fixed_size 2048
		.amdhsa_private_segment_fixed_size 0
		.amdhsa_kernarg_size 100
		.amdhsa_user_sgpr_count 6
		.amdhsa_user_sgpr_private_segment_buffer 1
		.amdhsa_user_sgpr_dispatch_ptr 0
		.amdhsa_user_sgpr_queue_ptr 0
		.amdhsa_user_sgpr_kernarg_segment_ptr 1
		.amdhsa_user_sgpr_dispatch_id 0
		.amdhsa_user_sgpr_flat_scratch_init 0
		.amdhsa_user_sgpr_private_segment_size 0
		.amdhsa_uses_dynamic_stack 0
		.amdhsa_system_sgpr_private_segment_wavefront_offset 0
		.amdhsa_system_sgpr_workgroup_id_x 1
		.amdhsa_system_sgpr_workgroup_id_y 1
		.amdhsa_system_sgpr_workgroup_id_z 1
		.amdhsa_system_sgpr_workgroup_info 0
		.amdhsa_system_vgpr_workitem_id 1
		.amdhsa_next_free_vgpr 36
		.amdhsa_next_free_sgpr 22
		.amdhsa_reserve_vcc 1
		.amdhsa_reserve_flat_scratch 0
		.amdhsa_float_round_mode_32 0
		.amdhsa_float_round_mode_16_64 0
		.amdhsa_float_denorm_mode_32 3
		.amdhsa_float_denorm_mode_16_64 3
		.amdhsa_dx10_clamp 1
		.amdhsa_ieee_mode 1
		.amdhsa_fp16_overflow 0
		.amdhsa_exception_fp_ieee_invalid_op 0
		.amdhsa_exception_fp_denorm_src 0
		.amdhsa_exception_fp_ieee_div_zero 0
		.amdhsa_exception_fp_ieee_overflow 0
		.amdhsa_exception_fp_ieee_underflow 0
		.amdhsa_exception_fp_ieee_inexact 0
		.amdhsa_exception_int_div_zero 0
	.end_amdhsa_kernel
	.section	.text._ZL37rocblas_syrkx_herkx_restricted_kernelIifLi16ELi32ELi8ELb1ELb0ELc78ELc85EKPKfKPfEviT_T0_PT8_S5_lS8_S5_lS6_PT9_S5_li,"axG",@progbits,_ZL37rocblas_syrkx_herkx_restricted_kernelIifLi16ELi32ELi8ELb1ELb0ELc78ELc85EKPKfKPfEviT_T0_PT8_S5_lS8_S5_lS6_PT9_S5_li,comdat
.Lfunc_end493:
	.size	_ZL37rocblas_syrkx_herkx_restricted_kernelIifLi16ELi32ELi8ELb1ELb0ELc78ELc85EKPKfKPfEviT_T0_PT8_S5_lS8_S5_lS6_PT9_S5_li, .Lfunc_end493-_ZL37rocblas_syrkx_herkx_restricted_kernelIifLi16ELi32ELi8ELb1ELb0ELc78ELc85EKPKfKPfEviT_T0_PT8_S5_lS8_S5_lS6_PT9_S5_li
                                        ; -- End function
	.set _ZL37rocblas_syrkx_herkx_restricted_kernelIifLi16ELi32ELi8ELb1ELb0ELc78ELc85EKPKfKPfEviT_T0_PT8_S5_lS8_S5_lS6_PT9_S5_li.num_vgpr, 36
	.set _ZL37rocblas_syrkx_herkx_restricted_kernelIifLi16ELi32ELi8ELb1ELb0ELc78ELc85EKPKfKPfEviT_T0_PT8_S5_lS8_S5_lS6_PT9_S5_li.num_agpr, 0
	.set _ZL37rocblas_syrkx_herkx_restricted_kernelIifLi16ELi32ELi8ELb1ELb0ELc78ELc85EKPKfKPfEviT_T0_PT8_S5_lS8_S5_lS6_PT9_S5_li.numbered_sgpr, 22
	.set _ZL37rocblas_syrkx_herkx_restricted_kernelIifLi16ELi32ELi8ELb1ELb0ELc78ELc85EKPKfKPfEviT_T0_PT8_S5_lS8_S5_lS6_PT9_S5_li.num_named_barrier, 0
	.set _ZL37rocblas_syrkx_herkx_restricted_kernelIifLi16ELi32ELi8ELb1ELb0ELc78ELc85EKPKfKPfEviT_T0_PT8_S5_lS8_S5_lS6_PT9_S5_li.private_seg_size, 0
	.set _ZL37rocblas_syrkx_herkx_restricted_kernelIifLi16ELi32ELi8ELb1ELb0ELc78ELc85EKPKfKPfEviT_T0_PT8_S5_lS8_S5_lS6_PT9_S5_li.uses_vcc, 1
	.set _ZL37rocblas_syrkx_herkx_restricted_kernelIifLi16ELi32ELi8ELb1ELb0ELc78ELc85EKPKfKPfEviT_T0_PT8_S5_lS8_S5_lS6_PT9_S5_li.uses_flat_scratch, 0
	.set _ZL37rocblas_syrkx_herkx_restricted_kernelIifLi16ELi32ELi8ELb1ELb0ELc78ELc85EKPKfKPfEviT_T0_PT8_S5_lS8_S5_lS6_PT9_S5_li.has_dyn_sized_stack, 0
	.set _ZL37rocblas_syrkx_herkx_restricted_kernelIifLi16ELi32ELi8ELb1ELb0ELc78ELc85EKPKfKPfEviT_T0_PT8_S5_lS8_S5_lS6_PT9_S5_li.has_recursion, 0
	.set _ZL37rocblas_syrkx_herkx_restricted_kernelIifLi16ELi32ELi8ELb1ELb0ELc78ELc85EKPKfKPfEviT_T0_PT8_S5_lS8_S5_lS6_PT9_S5_li.has_indirect_call, 0
	.section	.AMDGPU.csdata,"",@progbits
; Kernel info:
; codeLenInByte = 1028
; TotalNumSgprs: 26
; NumVgprs: 36
; ScratchSize: 0
; MemoryBound: 0
; FloatMode: 240
; IeeeMode: 1
; LDSByteSize: 2048 bytes/workgroup (compile time only)
; SGPRBlocks: 3
; VGPRBlocks: 8
; NumSGPRsForWavesPerEU: 26
; NumVGPRsForWavesPerEU: 36
; Occupancy: 7
; WaveLimiterHint : 1
; COMPUTE_PGM_RSRC2:SCRATCH_EN: 0
; COMPUTE_PGM_RSRC2:USER_SGPR: 6
; COMPUTE_PGM_RSRC2:TRAP_HANDLER: 0
; COMPUTE_PGM_RSRC2:TGID_X_EN: 1
; COMPUTE_PGM_RSRC2:TGID_Y_EN: 1
; COMPUTE_PGM_RSRC2:TGID_Z_EN: 1
; COMPUTE_PGM_RSRC2:TIDIG_COMP_CNT: 1
	.section	.text._ZL37rocblas_syrkx_herkx_restricted_kernelIifLi16ELi32ELi8ELb0ELb0ELc84ELc76EKPKfKPfEviT_T0_PT8_S5_lS8_S5_lS6_PT9_S5_li,"axG",@progbits,_ZL37rocblas_syrkx_herkx_restricted_kernelIifLi16ELi32ELi8ELb0ELb0ELc84ELc76EKPKfKPfEviT_T0_PT8_S5_lS8_S5_lS6_PT9_S5_li,comdat
	.globl	_ZL37rocblas_syrkx_herkx_restricted_kernelIifLi16ELi32ELi8ELb0ELb0ELc84ELc76EKPKfKPfEviT_T0_PT8_S5_lS8_S5_lS6_PT9_S5_li ; -- Begin function _ZL37rocblas_syrkx_herkx_restricted_kernelIifLi16ELi32ELi8ELb0ELb0ELc84ELc76EKPKfKPfEviT_T0_PT8_S5_lS8_S5_lS6_PT9_S5_li
	.p2align	8
	.type	_ZL37rocblas_syrkx_herkx_restricted_kernelIifLi16ELi32ELi8ELb0ELb0ELc84ELc76EKPKfKPfEviT_T0_PT8_S5_lS8_S5_lS6_PT9_S5_li,@function
_ZL37rocblas_syrkx_herkx_restricted_kernelIifLi16ELi32ELi8ELb0ELb0ELc84ELc76EKPKfKPfEviT_T0_PT8_S5_lS8_S5_lS6_PT9_S5_li: ; @_ZL37rocblas_syrkx_herkx_restricted_kernelIifLi16ELi32ELi8ELb0ELb0ELc84ELc76EKPKfKPfEviT_T0_PT8_S5_lS8_S5_lS6_PT9_S5_li
; %bb.0:
	s_load_dwordx2 s[2:3], s[4:5], 0x48
	s_load_dwordx4 s[12:15], s[4:5], 0x0
	s_mov_b32 s9, 0
	s_lshl_b64 s[0:1], s[8:9], 3
	s_waitcnt lgkmcnt(0)
	s_add_u32 s2, s2, s0
	s_addc_u32 s3, s3, s1
	s_load_dwordx2 s[10:11], s[2:3], 0x0
	s_lshl_b32 s2, s6, 5
	s_lshl_b32 s3, s7, 5
	s_cmp_lt_i32 s13, 1
	s_cbranch_scc1 .LBB494_3
; %bb.1:
	s_load_dwordx2 s[6:7], s[4:5], 0x10
	s_load_dword s8, s[4:5], 0x18
	s_load_dwordx2 s[16:17], s[4:5], 0x28
	s_load_dword s15, s[4:5], 0x30
	v_lshl_add_u32 v3, v1, 4, v0
	v_and_b32_e32 v8, 31, v3
	s_waitcnt lgkmcnt(0)
	s_add_u32 s6, s6, s0
	v_lshrrev_b32_e32 v4, 5, v3
	v_and_b32_e32 v2, 7, v0
	v_lshlrev_b32_e32 v9, 2, v8
	s_addc_u32 s7, s7, s1
	v_lshrrev_b32_e32 v6, 3, v3
	v_lshl_or_b32 v10, v4, 7, v9
	v_lshlrev_b32_e32 v9, 2, v2
	s_add_u32 s0, s16, s0
	v_add_u32_e32 v7, s3, v6
	v_mov_b32_e32 v3, 0
	v_lshl_or_b32 v6, v6, 5, v9
	s_addc_u32 s1, s17, s1
	v_add_u32_e32 v11, 0x400, v6
	v_mad_i64_i32 v[6:7], s[16:17], s15, v7, v[2:3]
	s_load_dwordx2 s[0:1], s[0:1], 0x0
	v_mov_b32_e32 v5, v3
	v_add_u32_e32 v8, s2, v8
	v_mad_i64_i32 v[8:9], s[16:17], s8, v8, v[4:5]
	s_load_dwordx2 s[6:7], s[6:7], 0x0
	v_lshlrev_b64 v[6:7], 2, v[6:7]
	v_mov_b32_e32 v2, 0x400
	v_lshl_add_u32 v13, v1, 5, v2
	s_waitcnt lgkmcnt(0)
	v_mov_b32_e32 v2, s1
	v_add_co_u32_e32 v4, vcc, s0, v6
	v_addc_co_u32_e32 v5, vcc, v2, v7, vcc
	v_lshlrev_b64 v[6:7], 2, v[8:9]
	v_mov_b32_e32 v2, s7
	v_add_co_u32_e32 v6, vcc, s6, v6
	v_lshlrev_b32_e32 v12, 2, v0
	v_addc_co_u32_e32 v7, vcc, v2, v7, vcc
	v_mov_b32_e32 v2, v3
	v_mov_b32_e32 v8, v3
	;; [unrolled: 1-line block ×3, first 2 shown]
.LBB494_2:                              ; =>This Inner Loop Header: Depth=1
	flat_load_dword v14, v[6:7]
	v_add_co_u32_e32 v6, vcc, 32, v6
	v_addc_co_u32_e32 v7, vcc, 0, v7, vcc
	s_add_i32 s9, s9, 8
	s_cmp_ge_i32 s9, s13
	s_waitcnt vmcnt(0) lgkmcnt(0)
	ds_write_b32 v10, v14
	flat_load_dword v14, v[4:5]
	v_add_co_u32_e32 v4, vcc, 32, v4
	v_addc_co_u32_e32 v5, vcc, 0, v5, vcc
	s_waitcnt vmcnt(0) lgkmcnt(0)
	ds_write_b32 v11, v14
	s_waitcnt lgkmcnt(0)
	s_barrier
	ds_read2_b32 v[26:27], v12 offset1:16
	ds_read_b128 v[14:17], v13
	ds_read2_b32 v[28:29], v12 offset0:32 offset1:48
	ds_read2_b32 v[30:31], v12 offset0:64 offset1:80
	ds_read_b128 v[18:21], v13 offset:16
	ds_read2_b32 v[32:33], v12 offset0:96 offset1:112
	s_waitcnt lgkmcnt(4)
	v_fmac_f32_e32 v9, v26, v14
	v_fmac_f32_e32 v8, v27, v14
	s_waitcnt lgkmcnt(3)
	v_fmac_f32_e32 v9, v28, v15
	v_fmac_f32_e32 v8, v29, v15
	;; [unrolled: 3-line block ×4, first 2 shown]
	ds_read_b128 v[14:17], v13 offset:512
	ds_read_b128 v[22:25], v13 offset:528
	s_waitcnt lgkmcnt(1)
	v_fmac_f32_e32 v2, v26, v14
	v_fmac_f32_e32 v3, v27, v14
	;; [unrolled: 1-line block ×8, first 2 shown]
	ds_read2_b32 v[14:15], v12 offset0:128 offset1:144
	ds_read2_b32 v[16:17], v12 offset0:160 offset1:176
	;; [unrolled: 1-line block ×3, first 2 shown]
	s_waitcnt lgkmcnt(2)
	v_fmac_f32_e32 v9, v14, v18
	v_fmac_f32_e32 v8, v15, v18
	;; [unrolled: 1-line block ×4, first 2 shown]
	ds_read2_b32 v[14:15], v12 offset0:224 offset1:240
	s_waitcnt lgkmcnt(2)
	v_fmac_f32_e32 v9, v16, v19
	v_fmac_f32_e32 v8, v17, v19
	v_fmac_f32_e32 v2, v16, v23
	v_fmac_f32_e32 v3, v17, v23
	s_waitcnt lgkmcnt(1)
	v_fmac_f32_e32 v9, v26, v20
	v_fmac_f32_e32 v8, v27, v20
	v_fmac_f32_e32 v2, v26, v24
	v_fmac_f32_e32 v3, v27, v24
	s_waitcnt lgkmcnt(0)
	v_fmac_f32_e32 v9, v14, v21
	v_fmac_f32_e32 v8, v15, v21
	v_fmac_f32_e32 v2, v14, v25
	v_fmac_f32_e32 v3, v15, v25
	s_barrier
	s_cbranch_scc0 .LBB494_2
	s_branch .LBB494_4
.LBB494_3:
	v_mov_b32_e32 v9, 0
	v_mov_b32_e32 v8, 0
	;; [unrolled: 1-line block ×4, first 2 shown]
.LBB494_4:
	s_load_dword s7, s[4:5], 0x50
	s_load_dword s6, s[4:5], 0x40
	v_add_u32_e32 v6, s3, v1
	s_waitcnt lgkmcnt(0)
	v_mov_b32_e32 v1, s11
	v_add_u32_e32 v0, s2, v0
	v_mad_i64_i32 v[4:5], s[0:1], v6, s7, 0
	v_cmp_le_i32_e64 s[0:1], v6, v0
	v_lshlrev_b64 v[4:5], 2, v[4:5]
	v_add_co_u32_e32 v7, vcc, s10, v4
	v_addc_co_u32_e32 v10, vcc, v1, v5, vcc
	v_cmp_gt_i32_e32 vcc, s12, v0
	s_and_b64 s[0:1], s[0:1], vcc
	s_and_saveexec_b64 s[2:3], s[0:1]
	s_cbranch_execz .LBB494_6
; %bb.5:
	v_ashrrev_i32_e32 v1, 31, v0
	v_lshlrev_b64 v[4:5], 2, v[0:1]
	v_add_co_u32_e64 v4, s[0:1], v7, v4
	v_addc_co_u32_e64 v5, s[0:1], v10, v5, s[0:1]
	flat_load_dword v1, v[4:5]
	s_waitcnt vmcnt(0) lgkmcnt(0)
	v_mul_f32_e32 v1, s6, v1
	v_fmac_f32_e32 v1, s14, v9
	flat_store_dword v[4:5], v1
.LBB494_6:
	s_or_b64 exec, exec, s[2:3]
	v_add_u32_e32 v4, 16, v0
	v_cmp_le_i32_e64 s[2:3], v6, v4
	v_cmp_gt_i32_e64 s[0:1], s12, v4
	s_and_b64 s[2:3], s[2:3], s[0:1]
	s_and_saveexec_b64 s[4:5], s[2:3]
	s_cbranch_execz .LBB494_8
; %bb.7:
	v_ashrrev_i32_e32 v5, 31, v4
	v_lshlrev_b64 v[11:12], 2, v[4:5]
	v_add_co_u32_e64 v9, s[2:3], v7, v11
	v_addc_co_u32_e64 v10, s[2:3], v10, v12, s[2:3]
	flat_load_dword v1, v[9:10]
	s_waitcnt vmcnt(0) lgkmcnt(0)
	v_mul_f32_e32 v1, s6, v1
	v_fmac_f32_e32 v1, s14, v8
	flat_store_dword v[9:10], v1
.LBB494_8:
	s_or_b64 exec, exec, s[4:5]
	v_add_u32_e32 v5, 16, v6
	v_mad_i64_i32 v[6:7], s[2:3], v5, s7, 0
	v_mov_b32_e32 v1, s11
	v_lshlrev_b64 v[6:7], 2, v[6:7]
	v_add_co_u32_e64 v6, s[2:3], s10, v6
	v_addc_co_u32_e64 v7, s[2:3], v1, v7, s[2:3]
	v_cmp_le_i32_e64 s[2:3], v5, v0
	s_and_b64 s[4:5], s[2:3], vcc
	s_and_saveexec_b64 s[2:3], s[4:5]
	s_cbranch_execz .LBB494_10
; %bb.9:
	v_ashrrev_i32_e32 v1, 31, v0
	v_lshlrev_b64 v[0:1], 2, v[0:1]
	v_add_co_u32_e32 v0, vcc, v6, v0
	v_addc_co_u32_e32 v1, vcc, v7, v1, vcc
	flat_load_dword v8, v[0:1]
	s_waitcnt vmcnt(0) lgkmcnt(0)
	v_mul_f32_e32 v8, s6, v8
	v_fmac_f32_e32 v8, s14, v2
	flat_store_dword v[0:1], v8
.LBB494_10:
	s_or_b64 exec, exec, s[2:3]
	v_cmp_le_i32_e32 vcc, v5, v4
	s_and_b64 s[0:1], vcc, s[0:1]
	s_and_saveexec_b64 s[2:3], s[0:1]
	s_cbranch_execz .LBB494_12
; %bb.11:
	v_ashrrev_i32_e32 v5, 31, v4
	v_lshlrev_b64 v[0:1], 2, v[4:5]
	v_add_co_u32_e32 v0, vcc, v6, v0
	v_addc_co_u32_e32 v1, vcc, v7, v1, vcc
	flat_load_dword v2, v[0:1]
	s_waitcnt vmcnt(0) lgkmcnt(0)
	v_mul_f32_e32 v2, s6, v2
	v_fmac_f32_e32 v2, s14, v3
	flat_store_dword v[0:1], v2
.LBB494_12:
	s_endpgm
	.section	.rodata,"a",@progbits
	.p2align	6, 0x0
	.amdhsa_kernel _ZL37rocblas_syrkx_herkx_restricted_kernelIifLi16ELi32ELi8ELb0ELb0ELc84ELc76EKPKfKPfEviT_T0_PT8_S5_lS8_S5_lS6_PT9_S5_li
		.amdhsa_group_segment_fixed_size 2048
		.amdhsa_private_segment_fixed_size 0
		.amdhsa_kernarg_size 100
		.amdhsa_user_sgpr_count 6
		.amdhsa_user_sgpr_private_segment_buffer 1
		.amdhsa_user_sgpr_dispatch_ptr 0
		.amdhsa_user_sgpr_queue_ptr 0
		.amdhsa_user_sgpr_kernarg_segment_ptr 1
		.amdhsa_user_sgpr_dispatch_id 0
		.amdhsa_user_sgpr_flat_scratch_init 0
		.amdhsa_user_sgpr_private_segment_size 0
		.amdhsa_uses_dynamic_stack 0
		.amdhsa_system_sgpr_private_segment_wavefront_offset 0
		.amdhsa_system_sgpr_workgroup_id_x 1
		.amdhsa_system_sgpr_workgroup_id_y 1
		.amdhsa_system_sgpr_workgroup_id_z 1
		.amdhsa_system_sgpr_workgroup_info 0
		.amdhsa_system_vgpr_workitem_id 1
		.amdhsa_next_free_vgpr 34
		.amdhsa_next_free_sgpr 18
		.amdhsa_reserve_vcc 1
		.amdhsa_reserve_flat_scratch 0
		.amdhsa_float_round_mode_32 0
		.amdhsa_float_round_mode_16_64 0
		.amdhsa_float_denorm_mode_32 3
		.amdhsa_float_denorm_mode_16_64 3
		.amdhsa_dx10_clamp 1
		.amdhsa_ieee_mode 1
		.amdhsa_fp16_overflow 0
		.amdhsa_exception_fp_ieee_invalid_op 0
		.amdhsa_exception_fp_denorm_src 0
		.amdhsa_exception_fp_ieee_div_zero 0
		.amdhsa_exception_fp_ieee_overflow 0
		.amdhsa_exception_fp_ieee_underflow 0
		.amdhsa_exception_fp_ieee_inexact 0
		.amdhsa_exception_int_div_zero 0
	.end_amdhsa_kernel
	.section	.text._ZL37rocblas_syrkx_herkx_restricted_kernelIifLi16ELi32ELi8ELb0ELb0ELc84ELc76EKPKfKPfEviT_T0_PT8_S5_lS8_S5_lS6_PT9_S5_li,"axG",@progbits,_ZL37rocblas_syrkx_herkx_restricted_kernelIifLi16ELi32ELi8ELb0ELb0ELc84ELc76EKPKfKPfEviT_T0_PT8_S5_lS8_S5_lS6_PT9_S5_li,comdat
.Lfunc_end494:
	.size	_ZL37rocblas_syrkx_herkx_restricted_kernelIifLi16ELi32ELi8ELb0ELb0ELc84ELc76EKPKfKPfEviT_T0_PT8_S5_lS8_S5_lS6_PT9_S5_li, .Lfunc_end494-_ZL37rocblas_syrkx_herkx_restricted_kernelIifLi16ELi32ELi8ELb0ELb0ELc84ELc76EKPKfKPfEviT_T0_PT8_S5_lS8_S5_lS6_PT9_S5_li
                                        ; -- End function
	.set _ZL37rocblas_syrkx_herkx_restricted_kernelIifLi16ELi32ELi8ELb0ELb0ELc84ELc76EKPKfKPfEviT_T0_PT8_S5_lS8_S5_lS6_PT9_S5_li.num_vgpr, 34
	.set _ZL37rocblas_syrkx_herkx_restricted_kernelIifLi16ELi32ELi8ELb0ELb0ELc84ELc76EKPKfKPfEviT_T0_PT8_S5_lS8_S5_lS6_PT9_S5_li.num_agpr, 0
	.set _ZL37rocblas_syrkx_herkx_restricted_kernelIifLi16ELi32ELi8ELb0ELb0ELc84ELc76EKPKfKPfEviT_T0_PT8_S5_lS8_S5_lS6_PT9_S5_li.numbered_sgpr, 18
	.set _ZL37rocblas_syrkx_herkx_restricted_kernelIifLi16ELi32ELi8ELb0ELb0ELc84ELc76EKPKfKPfEviT_T0_PT8_S5_lS8_S5_lS6_PT9_S5_li.num_named_barrier, 0
	.set _ZL37rocblas_syrkx_herkx_restricted_kernelIifLi16ELi32ELi8ELb0ELb0ELc84ELc76EKPKfKPfEviT_T0_PT8_S5_lS8_S5_lS6_PT9_S5_li.private_seg_size, 0
	.set _ZL37rocblas_syrkx_herkx_restricted_kernelIifLi16ELi32ELi8ELb0ELb0ELc84ELc76EKPKfKPfEviT_T0_PT8_S5_lS8_S5_lS6_PT9_S5_li.uses_vcc, 1
	.set _ZL37rocblas_syrkx_herkx_restricted_kernelIifLi16ELi32ELi8ELb0ELb0ELc84ELc76EKPKfKPfEviT_T0_PT8_S5_lS8_S5_lS6_PT9_S5_li.uses_flat_scratch, 0
	.set _ZL37rocblas_syrkx_herkx_restricted_kernelIifLi16ELi32ELi8ELb0ELb0ELc84ELc76EKPKfKPfEviT_T0_PT8_S5_lS8_S5_lS6_PT9_S5_li.has_dyn_sized_stack, 0
	.set _ZL37rocblas_syrkx_herkx_restricted_kernelIifLi16ELi32ELi8ELb0ELb0ELc84ELc76EKPKfKPfEviT_T0_PT8_S5_lS8_S5_lS6_PT9_S5_li.has_recursion, 0
	.set _ZL37rocblas_syrkx_herkx_restricted_kernelIifLi16ELi32ELi8ELb0ELb0ELc84ELc76EKPKfKPfEviT_T0_PT8_S5_lS8_S5_lS6_PT9_S5_li.has_indirect_call, 0
	.section	.AMDGPU.csdata,"",@progbits
; Kernel info:
; codeLenInByte = 1064
; TotalNumSgprs: 22
; NumVgprs: 34
; ScratchSize: 0
; MemoryBound: 0
; FloatMode: 240
; IeeeMode: 1
; LDSByteSize: 2048 bytes/workgroup (compile time only)
; SGPRBlocks: 2
; VGPRBlocks: 8
; NumSGPRsForWavesPerEU: 22
; NumVGPRsForWavesPerEU: 34
; Occupancy: 7
; WaveLimiterHint : 1
; COMPUTE_PGM_RSRC2:SCRATCH_EN: 0
; COMPUTE_PGM_RSRC2:USER_SGPR: 6
; COMPUTE_PGM_RSRC2:TRAP_HANDLER: 0
; COMPUTE_PGM_RSRC2:TGID_X_EN: 1
; COMPUTE_PGM_RSRC2:TGID_Y_EN: 1
; COMPUTE_PGM_RSRC2:TGID_Z_EN: 1
; COMPUTE_PGM_RSRC2:TIDIG_COMP_CNT: 1
	.section	.text._ZL37rocblas_syrkx_herkx_restricted_kernelIifLi16ELi32ELi8ELb0ELb0ELc67ELc76EKPKfKPfEviT_T0_PT8_S5_lS8_S5_lS6_PT9_S5_li,"axG",@progbits,_ZL37rocblas_syrkx_herkx_restricted_kernelIifLi16ELi32ELi8ELb0ELb0ELc67ELc76EKPKfKPfEviT_T0_PT8_S5_lS8_S5_lS6_PT9_S5_li,comdat
	.globl	_ZL37rocblas_syrkx_herkx_restricted_kernelIifLi16ELi32ELi8ELb0ELb0ELc67ELc76EKPKfKPfEviT_T0_PT8_S5_lS8_S5_lS6_PT9_S5_li ; -- Begin function _ZL37rocblas_syrkx_herkx_restricted_kernelIifLi16ELi32ELi8ELb0ELb0ELc67ELc76EKPKfKPfEviT_T0_PT8_S5_lS8_S5_lS6_PT9_S5_li
	.p2align	8
	.type	_ZL37rocblas_syrkx_herkx_restricted_kernelIifLi16ELi32ELi8ELb0ELb0ELc67ELc76EKPKfKPfEviT_T0_PT8_S5_lS8_S5_lS6_PT9_S5_li,@function
_ZL37rocblas_syrkx_herkx_restricted_kernelIifLi16ELi32ELi8ELb0ELb0ELc67ELc76EKPKfKPfEviT_T0_PT8_S5_lS8_S5_lS6_PT9_S5_li: ; @_ZL37rocblas_syrkx_herkx_restricted_kernelIifLi16ELi32ELi8ELb0ELb0ELc67ELc76EKPKfKPfEviT_T0_PT8_S5_lS8_S5_lS6_PT9_S5_li
; %bb.0:
	s_load_dwordx2 s[2:3], s[4:5], 0x48
	s_load_dwordx4 s[12:15], s[4:5], 0x0
	s_mov_b32 s9, 0
	s_lshl_b64 s[0:1], s[8:9], 3
	s_waitcnt lgkmcnt(0)
	s_add_u32 s2, s2, s0
	s_addc_u32 s3, s3, s1
	s_load_dwordx2 s[10:11], s[2:3], 0x0
	s_lshl_b32 s2, s6, 5
	s_lshl_b32 s3, s7, 5
	s_cmp_lt_i32 s13, 1
	s_cbranch_scc1 .LBB495_3
; %bb.1:
	s_load_dwordx2 s[6:7], s[4:5], 0x10
	s_load_dword s8, s[4:5], 0x18
	s_load_dwordx2 s[16:17], s[4:5], 0x28
	s_load_dword s15, s[4:5], 0x30
	v_lshl_add_u32 v3, v1, 4, v0
	v_and_b32_e32 v8, 31, v3
	s_waitcnt lgkmcnt(0)
	s_add_u32 s6, s6, s0
	v_lshrrev_b32_e32 v4, 5, v3
	v_and_b32_e32 v2, 7, v0
	v_lshlrev_b32_e32 v9, 2, v8
	s_addc_u32 s7, s7, s1
	v_lshrrev_b32_e32 v6, 3, v3
	v_lshl_or_b32 v10, v4, 7, v9
	v_lshlrev_b32_e32 v9, 2, v2
	s_add_u32 s0, s16, s0
	v_add_u32_e32 v7, s3, v6
	v_mov_b32_e32 v3, 0
	v_lshl_or_b32 v6, v6, 5, v9
	s_addc_u32 s1, s17, s1
	v_add_u32_e32 v11, 0x400, v6
	v_mad_i64_i32 v[6:7], s[16:17], s15, v7, v[2:3]
	s_load_dwordx2 s[0:1], s[0:1], 0x0
	v_mov_b32_e32 v5, v3
	v_add_u32_e32 v8, s2, v8
	v_mad_i64_i32 v[8:9], s[16:17], s8, v8, v[4:5]
	s_load_dwordx2 s[6:7], s[6:7], 0x0
	v_lshlrev_b64 v[6:7], 2, v[6:7]
	v_mov_b32_e32 v2, 0x400
	v_lshl_add_u32 v13, v1, 5, v2
	s_waitcnt lgkmcnt(0)
	v_mov_b32_e32 v2, s1
	v_add_co_u32_e32 v4, vcc, s0, v6
	v_addc_co_u32_e32 v5, vcc, v2, v7, vcc
	v_lshlrev_b64 v[6:7], 2, v[8:9]
	v_mov_b32_e32 v2, s7
	v_add_co_u32_e32 v6, vcc, s6, v6
	v_lshlrev_b32_e32 v12, 2, v0
	v_addc_co_u32_e32 v7, vcc, v2, v7, vcc
	v_mov_b32_e32 v2, v3
	v_mov_b32_e32 v8, v3
	;; [unrolled: 1-line block ×3, first 2 shown]
.LBB495_2:                              ; =>This Inner Loop Header: Depth=1
	flat_load_dword v14, v[6:7]
	v_add_co_u32_e32 v6, vcc, 32, v6
	v_addc_co_u32_e32 v7, vcc, 0, v7, vcc
	s_add_i32 s9, s9, 8
	s_cmp_ge_i32 s9, s13
	s_waitcnt vmcnt(0) lgkmcnt(0)
	ds_write_b32 v10, v14
	flat_load_dword v14, v[4:5]
	v_add_co_u32_e32 v4, vcc, 32, v4
	v_addc_co_u32_e32 v5, vcc, 0, v5, vcc
	s_waitcnt vmcnt(0) lgkmcnt(0)
	ds_write_b32 v11, v14
	s_waitcnt lgkmcnt(0)
	s_barrier
	ds_read2_b32 v[26:27], v12 offset1:16
	ds_read_b128 v[14:17], v13
	ds_read2_b32 v[28:29], v12 offset0:32 offset1:48
	ds_read2_b32 v[30:31], v12 offset0:64 offset1:80
	ds_read_b128 v[18:21], v13 offset:16
	ds_read2_b32 v[32:33], v12 offset0:96 offset1:112
	s_waitcnt lgkmcnt(4)
	v_fmac_f32_e32 v9, v26, v14
	v_fmac_f32_e32 v8, v27, v14
	s_waitcnt lgkmcnt(3)
	v_fmac_f32_e32 v9, v28, v15
	v_fmac_f32_e32 v8, v29, v15
	;; [unrolled: 3-line block ×4, first 2 shown]
	ds_read_b128 v[14:17], v13 offset:512
	ds_read_b128 v[22:25], v13 offset:528
	s_waitcnt lgkmcnt(1)
	v_fmac_f32_e32 v2, v26, v14
	v_fmac_f32_e32 v3, v27, v14
	;; [unrolled: 1-line block ×8, first 2 shown]
	ds_read2_b32 v[14:15], v12 offset0:128 offset1:144
	ds_read2_b32 v[16:17], v12 offset0:160 offset1:176
	;; [unrolled: 1-line block ×3, first 2 shown]
	s_waitcnt lgkmcnt(2)
	v_fmac_f32_e32 v9, v14, v18
	v_fmac_f32_e32 v8, v15, v18
	;; [unrolled: 1-line block ×4, first 2 shown]
	ds_read2_b32 v[14:15], v12 offset0:224 offset1:240
	s_waitcnt lgkmcnt(2)
	v_fmac_f32_e32 v9, v16, v19
	v_fmac_f32_e32 v8, v17, v19
	v_fmac_f32_e32 v2, v16, v23
	v_fmac_f32_e32 v3, v17, v23
	s_waitcnt lgkmcnt(1)
	v_fmac_f32_e32 v9, v26, v20
	v_fmac_f32_e32 v8, v27, v20
	v_fmac_f32_e32 v2, v26, v24
	v_fmac_f32_e32 v3, v27, v24
	;; [unrolled: 5-line block ×3, first 2 shown]
	s_barrier
	s_cbranch_scc0 .LBB495_2
	s_branch .LBB495_4
.LBB495_3:
	v_mov_b32_e32 v9, 0
	v_mov_b32_e32 v8, 0
	;; [unrolled: 1-line block ×4, first 2 shown]
.LBB495_4:
	s_load_dword s7, s[4:5], 0x50
	s_load_dword s6, s[4:5], 0x40
	v_add_u32_e32 v6, s3, v1
	s_waitcnt lgkmcnt(0)
	v_mov_b32_e32 v1, s11
	v_add_u32_e32 v0, s2, v0
	v_mad_i64_i32 v[4:5], s[0:1], v6, s7, 0
	v_cmp_le_i32_e64 s[0:1], v6, v0
	v_lshlrev_b64 v[4:5], 2, v[4:5]
	v_add_co_u32_e32 v7, vcc, s10, v4
	v_addc_co_u32_e32 v10, vcc, v1, v5, vcc
	v_cmp_gt_i32_e32 vcc, s12, v0
	s_and_b64 s[0:1], s[0:1], vcc
	s_and_saveexec_b64 s[2:3], s[0:1]
	s_cbranch_execz .LBB495_6
; %bb.5:
	v_ashrrev_i32_e32 v1, 31, v0
	v_lshlrev_b64 v[4:5], 2, v[0:1]
	v_add_co_u32_e64 v4, s[0:1], v7, v4
	v_addc_co_u32_e64 v5, s[0:1], v10, v5, s[0:1]
	flat_load_dword v1, v[4:5]
	s_waitcnt vmcnt(0) lgkmcnt(0)
	v_mul_f32_e32 v1, s6, v1
	v_fmac_f32_e32 v1, s14, v9
	flat_store_dword v[4:5], v1
.LBB495_6:
	s_or_b64 exec, exec, s[2:3]
	v_add_u32_e32 v4, 16, v0
	v_cmp_le_i32_e64 s[2:3], v6, v4
	v_cmp_gt_i32_e64 s[0:1], s12, v4
	s_and_b64 s[2:3], s[2:3], s[0:1]
	s_and_saveexec_b64 s[4:5], s[2:3]
	s_cbranch_execz .LBB495_8
; %bb.7:
	v_ashrrev_i32_e32 v5, 31, v4
	v_lshlrev_b64 v[11:12], 2, v[4:5]
	v_add_co_u32_e64 v9, s[2:3], v7, v11
	v_addc_co_u32_e64 v10, s[2:3], v10, v12, s[2:3]
	flat_load_dword v1, v[9:10]
	s_waitcnt vmcnt(0) lgkmcnt(0)
	v_mul_f32_e32 v1, s6, v1
	v_fmac_f32_e32 v1, s14, v8
	flat_store_dword v[9:10], v1
.LBB495_8:
	s_or_b64 exec, exec, s[4:5]
	v_add_u32_e32 v5, 16, v6
	v_mad_i64_i32 v[6:7], s[2:3], v5, s7, 0
	v_mov_b32_e32 v1, s11
	v_lshlrev_b64 v[6:7], 2, v[6:7]
	v_add_co_u32_e64 v6, s[2:3], s10, v6
	v_addc_co_u32_e64 v7, s[2:3], v1, v7, s[2:3]
	v_cmp_le_i32_e64 s[2:3], v5, v0
	s_and_b64 s[4:5], s[2:3], vcc
	s_and_saveexec_b64 s[2:3], s[4:5]
	s_cbranch_execz .LBB495_10
; %bb.9:
	v_ashrrev_i32_e32 v1, 31, v0
	v_lshlrev_b64 v[0:1], 2, v[0:1]
	v_add_co_u32_e32 v0, vcc, v6, v0
	v_addc_co_u32_e32 v1, vcc, v7, v1, vcc
	flat_load_dword v8, v[0:1]
	s_waitcnt vmcnt(0) lgkmcnt(0)
	v_mul_f32_e32 v8, s6, v8
	v_fmac_f32_e32 v8, s14, v2
	flat_store_dword v[0:1], v8
.LBB495_10:
	s_or_b64 exec, exec, s[2:3]
	v_cmp_le_i32_e32 vcc, v5, v4
	s_and_b64 s[0:1], vcc, s[0:1]
	s_and_saveexec_b64 s[2:3], s[0:1]
	s_cbranch_execz .LBB495_12
; %bb.11:
	v_ashrrev_i32_e32 v5, 31, v4
	v_lshlrev_b64 v[0:1], 2, v[4:5]
	v_add_co_u32_e32 v0, vcc, v6, v0
	v_addc_co_u32_e32 v1, vcc, v7, v1, vcc
	flat_load_dword v2, v[0:1]
	s_waitcnt vmcnt(0) lgkmcnt(0)
	v_mul_f32_e32 v2, s6, v2
	v_fmac_f32_e32 v2, s14, v3
	flat_store_dword v[0:1], v2
.LBB495_12:
	s_endpgm
	.section	.rodata,"a",@progbits
	.p2align	6, 0x0
	.amdhsa_kernel _ZL37rocblas_syrkx_herkx_restricted_kernelIifLi16ELi32ELi8ELb0ELb0ELc67ELc76EKPKfKPfEviT_T0_PT8_S5_lS8_S5_lS6_PT9_S5_li
		.amdhsa_group_segment_fixed_size 2048
		.amdhsa_private_segment_fixed_size 0
		.amdhsa_kernarg_size 100
		.amdhsa_user_sgpr_count 6
		.amdhsa_user_sgpr_private_segment_buffer 1
		.amdhsa_user_sgpr_dispatch_ptr 0
		.amdhsa_user_sgpr_queue_ptr 0
		.amdhsa_user_sgpr_kernarg_segment_ptr 1
		.amdhsa_user_sgpr_dispatch_id 0
		.amdhsa_user_sgpr_flat_scratch_init 0
		.amdhsa_user_sgpr_private_segment_size 0
		.amdhsa_uses_dynamic_stack 0
		.amdhsa_system_sgpr_private_segment_wavefront_offset 0
		.amdhsa_system_sgpr_workgroup_id_x 1
		.amdhsa_system_sgpr_workgroup_id_y 1
		.amdhsa_system_sgpr_workgroup_id_z 1
		.amdhsa_system_sgpr_workgroup_info 0
		.amdhsa_system_vgpr_workitem_id 1
		.amdhsa_next_free_vgpr 34
		.amdhsa_next_free_sgpr 18
		.amdhsa_reserve_vcc 1
		.amdhsa_reserve_flat_scratch 0
		.amdhsa_float_round_mode_32 0
		.amdhsa_float_round_mode_16_64 0
		.amdhsa_float_denorm_mode_32 3
		.amdhsa_float_denorm_mode_16_64 3
		.amdhsa_dx10_clamp 1
		.amdhsa_ieee_mode 1
		.amdhsa_fp16_overflow 0
		.amdhsa_exception_fp_ieee_invalid_op 0
		.amdhsa_exception_fp_denorm_src 0
		.amdhsa_exception_fp_ieee_div_zero 0
		.amdhsa_exception_fp_ieee_overflow 0
		.amdhsa_exception_fp_ieee_underflow 0
		.amdhsa_exception_fp_ieee_inexact 0
		.amdhsa_exception_int_div_zero 0
	.end_amdhsa_kernel
	.section	.text._ZL37rocblas_syrkx_herkx_restricted_kernelIifLi16ELi32ELi8ELb0ELb0ELc67ELc76EKPKfKPfEviT_T0_PT8_S5_lS8_S5_lS6_PT9_S5_li,"axG",@progbits,_ZL37rocblas_syrkx_herkx_restricted_kernelIifLi16ELi32ELi8ELb0ELb0ELc67ELc76EKPKfKPfEviT_T0_PT8_S5_lS8_S5_lS6_PT9_S5_li,comdat
.Lfunc_end495:
	.size	_ZL37rocblas_syrkx_herkx_restricted_kernelIifLi16ELi32ELi8ELb0ELb0ELc67ELc76EKPKfKPfEviT_T0_PT8_S5_lS8_S5_lS6_PT9_S5_li, .Lfunc_end495-_ZL37rocblas_syrkx_herkx_restricted_kernelIifLi16ELi32ELi8ELb0ELb0ELc67ELc76EKPKfKPfEviT_T0_PT8_S5_lS8_S5_lS6_PT9_S5_li
                                        ; -- End function
	.set _ZL37rocblas_syrkx_herkx_restricted_kernelIifLi16ELi32ELi8ELb0ELb0ELc67ELc76EKPKfKPfEviT_T0_PT8_S5_lS8_S5_lS6_PT9_S5_li.num_vgpr, 34
	.set _ZL37rocblas_syrkx_herkx_restricted_kernelIifLi16ELi32ELi8ELb0ELb0ELc67ELc76EKPKfKPfEviT_T0_PT8_S5_lS8_S5_lS6_PT9_S5_li.num_agpr, 0
	.set _ZL37rocblas_syrkx_herkx_restricted_kernelIifLi16ELi32ELi8ELb0ELb0ELc67ELc76EKPKfKPfEviT_T0_PT8_S5_lS8_S5_lS6_PT9_S5_li.numbered_sgpr, 18
	.set _ZL37rocblas_syrkx_herkx_restricted_kernelIifLi16ELi32ELi8ELb0ELb0ELc67ELc76EKPKfKPfEviT_T0_PT8_S5_lS8_S5_lS6_PT9_S5_li.num_named_barrier, 0
	.set _ZL37rocblas_syrkx_herkx_restricted_kernelIifLi16ELi32ELi8ELb0ELb0ELc67ELc76EKPKfKPfEviT_T0_PT8_S5_lS8_S5_lS6_PT9_S5_li.private_seg_size, 0
	.set _ZL37rocblas_syrkx_herkx_restricted_kernelIifLi16ELi32ELi8ELb0ELb0ELc67ELc76EKPKfKPfEviT_T0_PT8_S5_lS8_S5_lS6_PT9_S5_li.uses_vcc, 1
	.set _ZL37rocblas_syrkx_herkx_restricted_kernelIifLi16ELi32ELi8ELb0ELb0ELc67ELc76EKPKfKPfEviT_T0_PT8_S5_lS8_S5_lS6_PT9_S5_li.uses_flat_scratch, 0
	.set _ZL37rocblas_syrkx_herkx_restricted_kernelIifLi16ELi32ELi8ELb0ELb0ELc67ELc76EKPKfKPfEviT_T0_PT8_S5_lS8_S5_lS6_PT9_S5_li.has_dyn_sized_stack, 0
	.set _ZL37rocblas_syrkx_herkx_restricted_kernelIifLi16ELi32ELi8ELb0ELb0ELc67ELc76EKPKfKPfEviT_T0_PT8_S5_lS8_S5_lS6_PT9_S5_li.has_recursion, 0
	.set _ZL37rocblas_syrkx_herkx_restricted_kernelIifLi16ELi32ELi8ELb0ELb0ELc67ELc76EKPKfKPfEviT_T0_PT8_S5_lS8_S5_lS6_PT9_S5_li.has_indirect_call, 0
	.section	.AMDGPU.csdata,"",@progbits
; Kernel info:
; codeLenInByte = 1064
; TotalNumSgprs: 22
; NumVgprs: 34
; ScratchSize: 0
; MemoryBound: 0
; FloatMode: 240
; IeeeMode: 1
; LDSByteSize: 2048 bytes/workgroup (compile time only)
; SGPRBlocks: 2
; VGPRBlocks: 8
; NumSGPRsForWavesPerEU: 22
; NumVGPRsForWavesPerEU: 34
; Occupancy: 7
; WaveLimiterHint : 1
; COMPUTE_PGM_RSRC2:SCRATCH_EN: 0
; COMPUTE_PGM_RSRC2:USER_SGPR: 6
; COMPUTE_PGM_RSRC2:TRAP_HANDLER: 0
; COMPUTE_PGM_RSRC2:TGID_X_EN: 1
; COMPUTE_PGM_RSRC2:TGID_Y_EN: 1
; COMPUTE_PGM_RSRC2:TGID_Z_EN: 1
; COMPUTE_PGM_RSRC2:TIDIG_COMP_CNT: 1
	.section	.text._ZL37rocblas_syrkx_herkx_restricted_kernelIifLi16ELi32ELi8ELb0ELb0ELc78ELc76EKPKfKPfEviT_T0_PT8_S5_lS8_S5_lS6_PT9_S5_li,"axG",@progbits,_ZL37rocblas_syrkx_herkx_restricted_kernelIifLi16ELi32ELi8ELb0ELb0ELc78ELc76EKPKfKPfEviT_T0_PT8_S5_lS8_S5_lS6_PT9_S5_li,comdat
	.globl	_ZL37rocblas_syrkx_herkx_restricted_kernelIifLi16ELi32ELi8ELb0ELb0ELc78ELc76EKPKfKPfEviT_T0_PT8_S5_lS8_S5_lS6_PT9_S5_li ; -- Begin function _ZL37rocblas_syrkx_herkx_restricted_kernelIifLi16ELi32ELi8ELb0ELb0ELc78ELc76EKPKfKPfEviT_T0_PT8_S5_lS8_S5_lS6_PT9_S5_li
	.p2align	8
	.type	_ZL37rocblas_syrkx_herkx_restricted_kernelIifLi16ELi32ELi8ELb0ELb0ELc78ELc76EKPKfKPfEviT_T0_PT8_S5_lS8_S5_lS6_PT9_S5_li,@function
_ZL37rocblas_syrkx_herkx_restricted_kernelIifLi16ELi32ELi8ELb0ELb0ELc78ELc76EKPKfKPfEviT_T0_PT8_S5_lS8_S5_lS6_PT9_S5_li: ; @_ZL37rocblas_syrkx_herkx_restricted_kernelIifLi16ELi32ELi8ELb0ELb0ELc78ELc76EKPKfKPfEviT_T0_PT8_S5_lS8_S5_lS6_PT9_S5_li
; %bb.0:
	s_load_dwordx2 s[2:3], s[4:5], 0x48
	s_load_dwordx4 s[12:15], s[4:5], 0x0
	s_mov_b32 s9, 0
	s_lshl_b64 s[0:1], s[8:9], 3
	s_waitcnt lgkmcnt(0)
	s_add_u32 s2, s2, s0
	s_addc_u32 s3, s3, s1
	s_load_dwordx2 s[10:11], s[2:3], 0x0
	s_lshl_b32 s6, s6, 5
	s_lshl_b32 s7, s7, 5
	s_cmp_lt_i32 s13, 1
	s_cbranch_scc1 .LBB496_3
; %bb.1:
	s_load_dword s2, s[4:5], 0x18
	s_load_dword s16, s[4:5], 0x30
	s_load_dwordx2 s[18:19], s[4:5], 0x10
	s_load_dwordx2 s[20:21], s[4:5], 0x28
	v_lshl_add_u32 v2, v1, 4, v0
	v_and_b32_e32 v7, 31, v2
	s_waitcnt lgkmcnt(0)
	s_ashr_i32 s3, s2, 31
	s_ashr_i32 s17, s16, 31
	v_lshrrev_b32_e32 v6, 5, v2
	v_and_b32_e32 v5, 7, v0
	v_lshlrev_b32_e32 v8, 2, v7
	s_add_u32 s18, s18, s0
	v_lshrrev_b32_e32 v4, 3, v2
	v_lshl_or_b32 v10, v6, 7, v8
	v_lshlrev_b32_e32 v8, 2, v5
	s_addc_u32 s19, s19, s1
	v_add_u32_e32 v2, s7, v4
	v_lshl_or_b32 v4, v4, 5, v8
	s_add_u32 s0, s20, s0
	v_ashrrev_i32_e32 v3, 31, v2
	v_add_u32_e32 v11, 0x400, v4
	v_mov_b32_e32 v4, 0x400
	s_addc_u32 s1, s21, s1
	v_mad_i64_i32 v[2:3], s[20:21], s16, v5, v[2:3]
	v_lshl_add_u32 v13, v1, 5, v4
	v_add_u32_e32 v4, s6, v7
	s_load_dwordx2 s[0:1], s[0:1], 0x0
	v_ashrrev_i32_e32 v5, 31, v4
	v_mad_i64_i32 v[4:5], s[20:21], s2, v6, v[4:5]
	s_load_dwordx2 s[18:19], s[18:19], 0x0
	v_lshlrev_b64 v[2:3], 2, v[2:3]
	s_waitcnt lgkmcnt(0)
	v_mov_b32_e32 v8, s1
	v_add_co_u32_e32 v2, vcc, s0, v2
	v_lshlrev_b64 v[4:5], 2, v[4:5]
	v_addc_co_u32_e32 v3, vcc, v8, v3, vcc
	s_lshl_b64 s[0:1], s[16:17], 5
	v_mov_b32_e32 v6, s19
	v_add_co_u32_e32 v4, vcc, s18, v4
	s_lshl_b64 s[2:3], s[2:3], 5
	v_lshlrev_b32_e32 v12, 2, v0
	v_addc_co_u32_e32 v5, vcc, v6, v5, vcc
	v_mov_b32_e32 v6, 0
	v_mov_b32_e32 v14, s1
	;; [unrolled: 1-line block ×6, first 2 shown]
.LBB496_2:                              ; =>This Inner Loop Header: Depth=1
	flat_load_dword v16, v[4:5]
	v_add_co_u32_e32 v4, vcc, s2, v4
	v_addc_co_u32_e32 v5, vcc, v5, v15, vcc
	s_add_i32 s9, s9, 8
	s_cmp_ge_i32 s9, s13
	s_waitcnt vmcnt(0) lgkmcnt(0)
	ds_write_b32 v10, v16
	flat_load_dword v16, v[2:3]
	v_add_co_u32_e32 v2, vcc, s0, v2
	v_addc_co_u32_e32 v3, vcc, v3, v14, vcc
	s_waitcnt vmcnt(0) lgkmcnt(0)
	ds_write_b32 v11, v16
	s_waitcnt lgkmcnt(0)
	s_barrier
	ds_read2_b32 v[28:29], v12 offset1:16
	ds_read_b128 v[16:19], v13
	ds_read2_b32 v[30:31], v12 offset0:32 offset1:48
	ds_read2_b32 v[32:33], v12 offset0:64 offset1:80
	ds_read_b128 v[20:23], v13 offset:16
	ds_read2_b32 v[34:35], v12 offset0:96 offset1:112
	s_waitcnt lgkmcnt(4)
	v_fmac_f32_e32 v9, v28, v16
	v_fmac_f32_e32 v8, v29, v16
	s_waitcnt lgkmcnt(3)
	v_fmac_f32_e32 v9, v30, v17
	v_fmac_f32_e32 v8, v31, v17
	;; [unrolled: 3-line block ×4, first 2 shown]
	ds_read_b128 v[16:19], v13 offset:512
	ds_read_b128 v[24:27], v13 offset:528
	s_waitcnt lgkmcnt(1)
	v_fmac_f32_e32 v7, v28, v16
	v_fmac_f32_e32 v6, v29, v16
	;; [unrolled: 1-line block ×8, first 2 shown]
	ds_read2_b32 v[16:17], v12 offset0:128 offset1:144
	ds_read2_b32 v[18:19], v12 offset0:160 offset1:176
	;; [unrolled: 1-line block ×3, first 2 shown]
	s_waitcnt lgkmcnt(2)
	v_fmac_f32_e32 v9, v16, v20
	v_fmac_f32_e32 v8, v17, v20
	;; [unrolled: 1-line block ×4, first 2 shown]
	ds_read2_b32 v[16:17], v12 offset0:224 offset1:240
	s_waitcnt lgkmcnt(2)
	v_fmac_f32_e32 v9, v18, v21
	v_fmac_f32_e32 v8, v19, v21
	v_fmac_f32_e32 v7, v18, v25
	v_fmac_f32_e32 v6, v19, v25
	s_waitcnt lgkmcnt(1)
	v_fmac_f32_e32 v9, v28, v22
	v_fmac_f32_e32 v8, v29, v22
	v_fmac_f32_e32 v7, v28, v26
	v_fmac_f32_e32 v6, v29, v26
	;; [unrolled: 5-line block ×3, first 2 shown]
	s_barrier
	s_cbranch_scc0 .LBB496_2
	s_branch .LBB496_4
.LBB496_3:
	v_mov_b32_e32 v9, 0
	v_mov_b32_e32 v8, 0
	;; [unrolled: 1-line block ×4, first 2 shown]
.LBB496_4:
	s_load_dword s8, s[4:5], 0x50
	v_add_u32_e32 v4, s7, v1
	s_load_dword s7, s[4:5], 0x40
	s_waitcnt lgkmcnt(0)
	v_mov_b32_e32 v3, s11
	v_add_u32_e32 v0, s6, v0
	v_mad_i64_i32 v[1:2], s[0:1], v4, s8, 0
	v_cmp_le_i32_e64 s[0:1], v4, v0
	v_lshlrev_b64 v[1:2], 2, v[1:2]
	v_add_co_u32_e32 v5, vcc, s10, v1
	v_addc_co_u32_e32 v10, vcc, v3, v2, vcc
	v_cmp_gt_i32_e32 vcc, s12, v0
	s_and_b64 s[0:1], s[0:1], vcc
	s_and_saveexec_b64 s[2:3], s[0:1]
	s_cbranch_execz .LBB496_6
; %bb.5:
	v_ashrrev_i32_e32 v1, 31, v0
	v_lshlrev_b64 v[1:2], 2, v[0:1]
	v_add_co_u32_e64 v1, s[0:1], v5, v1
	v_addc_co_u32_e64 v2, s[0:1], v10, v2, s[0:1]
	flat_load_dword v3, v[1:2]
	s_waitcnt vmcnt(0) lgkmcnt(0)
	v_mul_f32_e32 v3, s7, v3
	v_fmac_f32_e32 v3, s14, v9
	flat_store_dword v[1:2], v3
.LBB496_6:
	s_or_b64 exec, exec, s[2:3]
	v_add_u32_e32 v2, 16, v0
	v_cmp_le_i32_e64 s[2:3], v4, v2
	v_cmp_gt_i32_e64 s[0:1], s12, v2
	s_and_b64 s[2:3], s[2:3], s[0:1]
	s_and_saveexec_b64 s[4:5], s[2:3]
	s_cbranch_execz .LBB496_8
; %bb.7:
	v_ashrrev_i32_e32 v3, 31, v2
	v_lshlrev_b64 v[11:12], 2, v[2:3]
	v_add_co_u32_e64 v9, s[2:3], v5, v11
	v_addc_co_u32_e64 v10, s[2:3], v10, v12, s[2:3]
	flat_load_dword v1, v[9:10]
	s_waitcnt vmcnt(0) lgkmcnt(0)
	v_mul_f32_e32 v1, s7, v1
	v_fmac_f32_e32 v1, s14, v8
	flat_store_dword v[9:10], v1
.LBB496_8:
	s_or_b64 exec, exec, s[4:5]
	v_add_u32_e32 v3, 16, v4
	v_mad_i64_i32 v[4:5], s[2:3], v3, s8, 0
	v_mov_b32_e32 v1, s11
	v_lshlrev_b64 v[4:5], 2, v[4:5]
	v_add_co_u32_e64 v4, s[2:3], s10, v4
	v_addc_co_u32_e64 v5, s[2:3], v1, v5, s[2:3]
	v_cmp_le_i32_e64 s[2:3], v3, v0
	s_and_b64 s[4:5], s[2:3], vcc
	s_and_saveexec_b64 s[2:3], s[4:5]
	s_cbranch_execz .LBB496_10
; %bb.9:
	v_ashrrev_i32_e32 v1, 31, v0
	v_lshlrev_b64 v[0:1], 2, v[0:1]
	v_add_co_u32_e32 v0, vcc, v4, v0
	v_addc_co_u32_e32 v1, vcc, v5, v1, vcc
	flat_load_dword v8, v[0:1]
	s_waitcnt vmcnt(0) lgkmcnt(0)
	v_mul_f32_e32 v8, s7, v8
	v_fmac_f32_e32 v8, s14, v7
	flat_store_dword v[0:1], v8
.LBB496_10:
	s_or_b64 exec, exec, s[2:3]
	v_cmp_le_i32_e32 vcc, v3, v2
	s_and_b64 s[0:1], vcc, s[0:1]
	s_and_saveexec_b64 s[2:3], s[0:1]
	s_cbranch_execz .LBB496_12
; %bb.11:
	v_ashrrev_i32_e32 v3, 31, v2
	v_lshlrev_b64 v[0:1], 2, v[2:3]
	v_add_co_u32_e32 v0, vcc, v4, v0
	v_addc_co_u32_e32 v1, vcc, v5, v1, vcc
	flat_load_dword v2, v[0:1]
	s_waitcnt vmcnt(0) lgkmcnt(0)
	v_mul_f32_e32 v2, s7, v2
	v_fmac_f32_e32 v2, s14, v6
	flat_store_dword v[0:1], v2
.LBB496_12:
	s_endpgm
	.section	.rodata,"a",@progbits
	.p2align	6, 0x0
	.amdhsa_kernel _ZL37rocblas_syrkx_herkx_restricted_kernelIifLi16ELi32ELi8ELb0ELb0ELc78ELc76EKPKfKPfEviT_T0_PT8_S5_lS8_S5_lS6_PT9_S5_li
		.amdhsa_group_segment_fixed_size 2048
		.amdhsa_private_segment_fixed_size 0
		.amdhsa_kernarg_size 100
		.amdhsa_user_sgpr_count 6
		.amdhsa_user_sgpr_private_segment_buffer 1
		.amdhsa_user_sgpr_dispatch_ptr 0
		.amdhsa_user_sgpr_queue_ptr 0
		.amdhsa_user_sgpr_kernarg_segment_ptr 1
		.amdhsa_user_sgpr_dispatch_id 0
		.amdhsa_user_sgpr_flat_scratch_init 0
		.amdhsa_user_sgpr_private_segment_size 0
		.amdhsa_uses_dynamic_stack 0
		.amdhsa_system_sgpr_private_segment_wavefront_offset 0
		.amdhsa_system_sgpr_workgroup_id_x 1
		.amdhsa_system_sgpr_workgroup_id_y 1
		.amdhsa_system_sgpr_workgroup_id_z 1
		.amdhsa_system_sgpr_workgroup_info 0
		.amdhsa_system_vgpr_workitem_id 1
		.amdhsa_next_free_vgpr 36
		.amdhsa_next_free_sgpr 22
		.amdhsa_reserve_vcc 1
		.amdhsa_reserve_flat_scratch 0
		.amdhsa_float_round_mode_32 0
		.amdhsa_float_round_mode_16_64 0
		.amdhsa_float_denorm_mode_32 3
		.amdhsa_float_denorm_mode_16_64 3
		.amdhsa_dx10_clamp 1
		.amdhsa_ieee_mode 1
		.amdhsa_fp16_overflow 0
		.amdhsa_exception_fp_ieee_invalid_op 0
		.amdhsa_exception_fp_denorm_src 0
		.amdhsa_exception_fp_ieee_div_zero 0
		.amdhsa_exception_fp_ieee_overflow 0
		.amdhsa_exception_fp_ieee_underflow 0
		.amdhsa_exception_fp_ieee_inexact 0
		.amdhsa_exception_int_div_zero 0
	.end_amdhsa_kernel
	.section	.text._ZL37rocblas_syrkx_herkx_restricted_kernelIifLi16ELi32ELi8ELb0ELb0ELc78ELc76EKPKfKPfEviT_T0_PT8_S5_lS8_S5_lS6_PT9_S5_li,"axG",@progbits,_ZL37rocblas_syrkx_herkx_restricted_kernelIifLi16ELi32ELi8ELb0ELb0ELc78ELc76EKPKfKPfEviT_T0_PT8_S5_lS8_S5_lS6_PT9_S5_li,comdat
.Lfunc_end496:
	.size	_ZL37rocblas_syrkx_herkx_restricted_kernelIifLi16ELi32ELi8ELb0ELb0ELc78ELc76EKPKfKPfEviT_T0_PT8_S5_lS8_S5_lS6_PT9_S5_li, .Lfunc_end496-_ZL37rocblas_syrkx_herkx_restricted_kernelIifLi16ELi32ELi8ELb0ELb0ELc78ELc76EKPKfKPfEviT_T0_PT8_S5_lS8_S5_lS6_PT9_S5_li
                                        ; -- End function
	.set _ZL37rocblas_syrkx_herkx_restricted_kernelIifLi16ELi32ELi8ELb0ELb0ELc78ELc76EKPKfKPfEviT_T0_PT8_S5_lS8_S5_lS6_PT9_S5_li.num_vgpr, 36
	.set _ZL37rocblas_syrkx_herkx_restricted_kernelIifLi16ELi32ELi8ELb0ELb0ELc78ELc76EKPKfKPfEviT_T0_PT8_S5_lS8_S5_lS6_PT9_S5_li.num_agpr, 0
	.set _ZL37rocblas_syrkx_herkx_restricted_kernelIifLi16ELi32ELi8ELb0ELb0ELc78ELc76EKPKfKPfEviT_T0_PT8_S5_lS8_S5_lS6_PT9_S5_li.numbered_sgpr, 22
	.set _ZL37rocblas_syrkx_herkx_restricted_kernelIifLi16ELi32ELi8ELb0ELb0ELc78ELc76EKPKfKPfEviT_T0_PT8_S5_lS8_S5_lS6_PT9_S5_li.num_named_barrier, 0
	.set _ZL37rocblas_syrkx_herkx_restricted_kernelIifLi16ELi32ELi8ELb0ELb0ELc78ELc76EKPKfKPfEviT_T0_PT8_S5_lS8_S5_lS6_PT9_S5_li.private_seg_size, 0
	.set _ZL37rocblas_syrkx_herkx_restricted_kernelIifLi16ELi32ELi8ELb0ELb0ELc78ELc76EKPKfKPfEviT_T0_PT8_S5_lS8_S5_lS6_PT9_S5_li.uses_vcc, 1
	.set _ZL37rocblas_syrkx_herkx_restricted_kernelIifLi16ELi32ELi8ELb0ELb0ELc78ELc76EKPKfKPfEviT_T0_PT8_S5_lS8_S5_lS6_PT9_S5_li.uses_flat_scratch, 0
	.set _ZL37rocblas_syrkx_herkx_restricted_kernelIifLi16ELi32ELi8ELb0ELb0ELc78ELc76EKPKfKPfEviT_T0_PT8_S5_lS8_S5_lS6_PT9_S5_li.has_dyn_sized_stack, 0
	.set _ZL37rocblas_syrkx_herkx_restricted_kernelIifLi16ELi32ELi8ELb0ELb0ELc78ELc76EKPKfKPfEviT_T0_PT8_S5_lS8_S5_lS6_PT9_S5_li.has_recursion, 0
	.set _ZL37rocblas_syrkx_herkx_restricted_kernelIifLi16ELi32ELi8ELb0ELb0ELc78ELc76EKPKfKPfEviT_T0_PT8_S5_lS8_S5_lS6_PT9_S5_li.has_indirect_call, 0
	.section	.AMDGPU.csdata,"",@progbits
; Kernel info:
; codeLenInByte = 1092
; TotalNumSgprs: 26
; NumVgprs: 36
; ScratchSize: 0
; MemoryBound: 0
; FloatMode: 240
; IeeeMode: 1
; LDSByteSize: 2048 bytes/workgroup (compile time only)
; SGPRBlocks: 3
; VGPRBlocks: 8
; NumSGPRsForWavesPerEU: 26
; NumVGPRsForWavesPerEU: 36
; Occupancy: 7
; WaveLimiterHint : 1
; COMPUTE_PGM_RSRC2:SCRATCH_EN: 0
; COMPUTE_PGM_RSRC2:USER_SGPR: 6
; COMPUTE_PGM_RSRC2:TRAP_HANDLER: 0
; COMPUTE_PGM_RSRC2:TGID_X_EN: 1
; COMPUTE_PGM_RSRC2:TGID_Y_EN: 1
; COMPUTE_PGM_RSRC2:TGID_Z_EN: 1
; COMPUTE_PGM_RSRC2:TIDIG_COMP_CNT: 1
	.section	.text._ZL37rocblas_syrkx_herkx_restricted_kernelIifLi16ELi32ELi8ELb0ELb0ELc84ELc85EKPKfKPfEviT_T0_PT8_S5_lS8_S5_lS6_PT9_S5_li,"axG",@progbits,_ZL37rocblas_syrkx_herkx_restricted_kernelIifLi16ELi32ELi8ELb0ELb0ELc84ELc85EKPKfKPfEviT_T0_PT8_S5_lS8_S5_lS6_PT9_S5_li,comdat
	.globl	_ZL37rocblas_syrkx_herkx_restricted_kernelIifLi16ELi32ELi8ELb0ELb0ELc84ELc85EKPKfKPfEviT_T0_PT8_S5_lS8_S5_lS6_PT9_S5_li ; -- Begin function _ZL37rocblas_syrkx_herkx_restricted_kernelIifLi16ELi32ELi8ELb0ELb0ELc84ELc85EKPKfKPfEviT_T0_PT8_S5_lS8_S5_lS6_PT9_S5_li
	.p2align	8
	.type	_ZL37rocblas_syrkx_herkx_restricted_kernelIifLi16ELi32ELi8ELb0ELb0ELc84ELc85EKPKfKPfEviT_T0_PT8_S5_lS8_S5_lS6_PT9_S5_li,@function
_ZL37rocblas_syrkx_herkx_restricted_kernelIifLi16ELi32ELi8ELb0ELb0ELc84ELc85EKPKfKPfEviT_T0_PT8_S5_lS8_S5_lS6_PT9_S5_li: ; @_ZL37rocblas_syrkx_herkx_restricted_kernelIifLi16ELi32ELi8ELb0ELb0ELc84ELc85EKPKfKPfEviT_T0_PT8_S5_lS8_S5_lS6_PT9_S5_li
; %bb.0:
	s_load_dwordx2 s[2:3], s[4:5], 0x48
	s_load_dwordx4 s[12:15], s[4:5], 0x0
	s_mov_b32 s9, 0
	s_lshl_b64 s[0:1], s[8:9], 3
	s_waitcnt lgkmcnt(0)
	s_add_u32 s2, s2, s0
	s_addc_u32 s3, s3, s1
	s_load_dwordx2 s[2:3], s[2:3], 0x0
	s_lshl_b32 s6, s6, 5
	s_lshl_b32 s7, s7, 5
	s_cmp_lt_i32 s13, 1
	s_cbranch_scc1 .LBB497_3
; %bb.1:
	s_load_dwordx2 s[10:11], s[4:5], 0x10
	s_load_dword s8, s[4:5], 0x18
	s_load_dwordx2 s[16:17], s[4:5], 0x28
	s_load_dword s15, s[4:5], 0x30
	v_lshl_add_u32 v3, v1, 4, v0
	v_and_b32_e32 v8, 31, v3
	s_waitcnt lgkmcnt(0)
	s_add_u32 s10, s10, s0
	v_lshrrev_b32_e32 v4, 5, v3
	v_and_b32_e32 v2, 7, v0
	v_lshlrev_b32_e32 v9, 2, v8
	s_addc_u32 s11, s11, s1
	v_lshrrev_b32_e32 v6, 3, v3
	v_lshl_or_b32 v10, v4, 7, v9
	v_lshlrev_b32_e32 v9, 2, v2
	s_add_u32 s0, s16, s0
	v_add_u32_e32 v7, s7, v6
	v_mov_b32_e32 v3, 0
	v_lshl_or_b32 v6, v6, 5, v9
	s_addc_u32 s1, s17, s1
	v_add_u32_e32 v11, 0x400, v6
	v_mad_i64_i32 v[6:7], s[16:17], s15, v7, v[2:3]
	s_load_dwordx2 s[0:1], s[0:1], 0x0
	v_mov_b32_e32 v5, v3
	v_add_u32_e32 v8, s6, v8
	v_mad_i64_i32 v[8:9], s[16:17], s8, v8, v[4:5]
	s_load_dwordx2 s[10:11], s[10:11], 0x0
	v_lshlrev_b64 v[6:7], 2, v[6:7]
	v_mov_b32_e32 v2, 0x400
	v_lshl_add_u32 v13, v1, 5, v2
	s_waitcnt lgkmcnt(0)
	v_mov_b32_e32 v2, s1
	v_add_co_u32_e32 v4, vcc, s0, v6
	v_addc_co_u32_e32 v5, vcc, v2, v7, vcc
	v_lshlrev_b64 v[6:7], 2, v[8:9]
	v_mov_b32_e32 v2, s11
	v_add_co_u32_e32 v6, vcc, s10, v6
	v_lshlrev_b32_e32 v12, 2, v0
	v_addc_co_u32_e32 v7, vcc, v2, v7, vcc
	v_mov_b32_e32 v2, v3
	v_mov_b32_e32 v8, v3
	;; [unrolled: 1-line block ×3, first 2 shown]
.LBB497_2:                              ; =>This Inner Loop Header: Depth=1
	flat_load_dword v14, v[6:7]
	v_add_co_u32_e32 v6, vcc, 32, v6
	v_addc_co_u32_e32 v7, vcc, 0, v7, vcc
	s_add_i32 s9, s9, 8
	s_cmp_ge_i32 s9, s13
	s_waitcnt vmcnt(0) lgkmcnt(0)
	ds_write_b32 v10, v14
	flat_load_dword v14, v[4:5]
	v_add_co_u32_e32 v4, vcc, 32, v4
	v_addc_co_u32_e32 v5, vcc, 0, v5, vcc
	s_waitcnt vmcnt(0) lgkmcnt(0)
	ds_write_b32 v11, v14
	s_waitcnt lgkmcnt(0)
	s_barrier
	ds_read2_b32 v[26:27], v12 offset1:16
	ds_read_b128 v[14:17], v13
	ds_read2_b32 v[28:29], v12 offset0:32 offset1:48
	ds_read2_b32 v[30:31], v12 offset0:64 offset1:80
	ds_read_b128 v[18:21], v13 offset:16
	ds_read2_b32 v[32:33], v12 offset0:96 offset1:112
	s_waitcnt lgkmcnt(4)
	v_fmac_f32_e32 v9, v26, v14
	v_fmac_f32_e32 v8, v27, v14
	s_waitcnt lgkmcnt(3)
	v_fmac_f32_e32 v9, v28, v15
	v_fmac_f32_e32 v8, v29, v15
	;; [unrolled: 3-line block ×4, first 2 shown]
	ds_read_b128 v[14:17], v13 offset:512
	ds_read_b128 v[22:25], v13 offset:528
	s_waitcnt lgkmcnt(1)
	v_fmac_f32_e32 v2, v26, v14
	v_fmac_f32_e32 v3, v27, v14
	;; [unrolled: 1-line block ×8, first 2 shown]
	ds_read2_b32 v[14:15], v12 offset0:128 offset1:144
	ds_read2_b32 v[16:17], v12 offset0:160 offset1:176
	;; [unrolled: 1-line block ×3, first 2 shown]
	s_waitcnt lgkmcnt(2)
	v_fmac_f32_e32 v9, v14, v18
	v_fmac_f32_e32 v8, v15, v18
	;; [unrolled: 1-line block ×4, first 2 shown]
	ds_read2_b32 v[14:15], v12 offset0:224 offset1:240
	s_waitcnt lgkmcnt(2)
	v_fmac_f32_e32 v9, v16, v19
	v_fmac_f32_e32 v8, v17, v19
	v_fmac_f32_e32 v2, v16, v23
	v_fmac_f32_e32 v3, v17, v23
	s_waitcnt lgkmcnt(1)
	v_fmac_f32_e32 v9, v26, v20
	v_fmac_f32_e32 v8, v27, v20
	v_fmac_f32_e32 v2, v26, v24
	v_fmac_f32_e32 v3, v27, v24
	;; [unrolled: 5-line block ×3, first 2 shown]
	s_barrier
	s_cbranch_scc0 .LBB497_2
	s_branch .LBB497_4
.LBB497_3:
	v_mov_b32_e32 v9, 0
	v_mov_b32_e32 v8, 0
	;; [unrolled: 1-line block ×4, first 2 shown]
.LBB497_4:
	s_load_dword s9, s[4:5], 0x50
	s_load_dword s8, s[4:5], 0x40
	v_add_u32_e32 v6, s7, v1
	s_waitcnt lgkmcnt(0)
	v_mov_b32_e32 v1, s3
	v_add_u32_e32 v0, s6, v0
	v_mad_i64_i32 v[4:5], s[0:1], v6, s9, 0
	v_cmp_gt_i32_e32 vcc, s12, v6
	v_lshlrev_b64 v[4:5], 2, v[4:5]
	v_add_co_u32_e64 v7, s[0:1], s2, v4
	v_addc_co_u32_e64 v10, s[0:1], v1, v5, s[0:1]
	v_cmp_le_i32_e64 s[0:1], v0, v6
	s_and_b64 s[0:1], vcc, s[0:1]
	s_and_saveexec_b64 s[4:5], s[0:1]
	s_cbranch_execz .LBB497_6
; %bb.5:
	v_ashrrev_i32_e32 v1, 31, v0
	v_lshlrev_b64 v[4:5], 2, v[0:1]
	v_add_co_u32_e64 v4, s[0:1], v7, v4
	v_addc_co_u32_e64 v5, s[0:1], v10, v5, s[0:1]
	flat_load_dword v1, v[4:5]
	s_waitcnt vmcnt(0) lgkmcnt(0)
	v_mul_f32_e32 v1, s8, v1
	v_fmac_f32_e32 v1, s14, v9
	flat_store_dword v[4:5], v1
.LBB497_6:
	s_or_b64 exec, exec, s[4:5]
	v_add_u32_e32 v4, 16, v0
	v_cmp_le_i32_e64 s[0:1], v4, v6
	s_and_b64 s[4:5], vcc, s[0:1]
	s_and_saveexec_b64 s[0:1], s[4:5]
	s_cbranch_execz .LBB497_8
; %bb.7:
	v_ashrrev_i32_e32 v5, 31, v4
	v_lshlrev_b64 v[11:12], 2, v[4:5]
	v_add_co_u32_e32 v9, vcc, v7, v11
	v_addc_co_u32_e32 v10, vcc, v10, v12, vcc
	flat_load_dword v1, v[9:10]
	s_waitcnt vmcnt(0) lgkmcnt(0)
	v_mul_f32_e32 v1, s8, v1
	v_fmac_f32_e32 v1, s14, v8
	flat_store_dword v[9:10], v1
.LBB497_8:
	s_or_b64 exec, exec, s[0:1]
	v_add_u32_e32 v5, 16, v6
	v_mad_i64_i32 v[6:7], s[0:1], v5, s9, 0
	v_mov_b32_e32 v1, s3
	v_cmp_gt_i32_e32 vcc, s12, v5
	v_lshlrev_b64 v[6:7], 2, v[6:7]
	v_add_co_u32_e64 v6, s[0:1], s2, v6
	v_addc_co_u32_e64 v7, s[0:1], v1, v7, s[0:1]
	v_cmp_le_i32_e64 s[0:1], v0, v5
	s_and_b64 s[0:1], vcc, s[0:1]
	s_and_saveexec_b64 s[2:3], s[0:1]
	s_cbranch_execz .LBB497_10
; %bb.9:
	v_ashrrev_i32_e32 v1, 31, v0
	v_lshlrev_b64 v[0:1], 2, v[0:1]
	v_add_co_u32_e64 v0, s[0:1], v6, v0
	v_addc_co_u32_e64 v1, s[0:1], v7, v1, s[0:1]
	flat_load_dword v8, v[0:1]
	s_waitcnt vmcnt(0) lgkmcnt(0)
	v_mul_f32_e32 v8, s8, v8
	v_fmac_f32_e32 v8, s14, v2
	flat_store_dword v[0:1], v8
.LBB497_10:
	s_or_b64 exec, exec, s[2:3]
	v_cmp_le_i32_e64 s[0:1], v4, v5
	s_and_b64 s[0:1], vcc, s[0:1]
	s_and_saveexec_b64 s[2:3], s[0:1]
	s_cbranch_execz .LBB497_12
; %bb.11:
	v_ashrrev_i32_e32 v5, 31, v4
	v_lshlrev_b64 v[0:1], 2, v[4:5]
	v_add_co_u32_e32 v0, vcc, v6, v0
	v_addc_co_u32_e32 v1, vcc, v7, v1, vcc
	flat_load_dword v2, v[0:1]
	s_waitcnt vmcnt(0) lgkmcnt(0)
	v_mul_f32_e32 v2, s8, v2
	v_fmac_f32_e32 v2, s14, v3
	flat_store_dword v[0:1], v2
.LBB497_12:
	s_endpgm
	.section	.rodata,"a",@progbits
	.p2align	6, 0x0
	.amdhsa_kernel _ZL37rocblas_syrkx_herkx_restricted_kernelIifLi16ELi32ELi8ELb0ELb0ELc84ELc85EKPKfKPfEviT_T0_PT8_S5_lS8_S5_lS6_PT9_S5_li
		.amdhsa_group_segment_fixed_size 2048
		.amdhsa_private_segment_fixed_size 0
		.amdhsa_kernarg_size 100
		.amdhsa_user_sgpr_count 6
		.amdhsa_user_sgpr_private_segment_buffer 1
		.amdhsa_user_sgpr_dispatch_ptr 0
		.amdhsa_user_sgpr_queue_ptr 0
		.amdhsa_user_sgpr_kernarg_segment_ptr 1
		.amdhsa_user_sgpr_dispatch_id 0
		.amdhsa_user_sgpr_flat_scratch_init 0
		.amdhsa_user_sgpr_private_segment_size 0
		.amdhsa_uses_dynamic_stack 0
		.amdhsa_system_sgpr_private_segment_wavefront_offset 0
		.amdhsa_system_sgpr_workgroup_id_x 1
		.amdhsa_system_sgpr_workgroup_id_y 1
		.amdhsa_system_sgpr_workgroup_id_z 1
		.amdhsa_system_sgpr_workgroup_info 0
		.amdhsa_system_vgpr_workitem_id 1
		.amdhsa_next_free_vgpr 34
		.amdhsa_next_free_sgpr 18
		.amdhsa_reserve_vcc 1
		.amdhsa_reserve_flat_scratch 0
		.amdhsa_float_round_mode_32 0
		.amdhsa_float_round_mode_16_64 0
		.amdhsa_float_denorm_mode_32 3
		.amdhsa_float_denorm_mode_16_64 3
		.amdhsa_dx10_clamp 1
		.amdhsa_ieee_mode 1
		.amdhsa_fp16_overflow 0
		.amdhsa_exception_fp_ieee_invalid_op 0
		.amdhsa_exception_fp_denorm_src 0
		.amdhsa_exception_fp_ieee_div_zero 0
		.amdhsa_exception_fp_ieee_overflow 0
		.amdhsa_exception_fp_ieee_underflow 0
		.amdhsa_exception_fp_ieee_inexact 0
		.amdhsa_exception_int_div_zero 0
	.end_amdhsa_kernel
	.section	.text._ZL37rocblas_syrkx_herkx_restricted_kernelIifLi16ELi32ELi8ELb0ELb0ELc84ELc85EKPKfKPfEviT_T0_PT8_S5_lS8_S5_lS6_PT9_S5_li,"axG",@progbits,_ZL37rocblas_syrkx_herkx_restricted_kernelIifLi16ELi32ELi8ELb0ELb0ELc84ELc85EKPKfKPfEviT_T0_PT8_S5_lS8_S5_lS6_PT9_S5_li,comdat
.Lfunc_end497:
	.size	_ZL37rocblas_syrkx_herkx_restricted_kernelIifLi16ELi32ELi8ELb0ELb0ELc84ELc85EKPKfKPfEviT_T0_PT8_S5_lS8_S5_lS6_PT9_S5_li, .Lfunc_end497-_ZL37rocblas_syrkx_herkx_restricted_kernelIifLi16ELi32ELi8ELb0ELb0ELc84ELc85EKPKfKPfEviT_T0_PT8_S5_lS8_S5_lS6_PT9_S5_li
                                        ; -- End function
	.set _ZL37rocblas_syrkx_herkx_restricted_kernelIifLi16ELi32ELi8ELb0ELb0ELc84ELc85EKPKfKPfEviT_T0_PT8_S5_lS8_S5_lS6_PT9_S5_li.num_vgpr, 34
	.set _ZL37rocblas_syrkx_herkx_restricted_kernelIifLi16ELi32ELi8ELb0ELb0ELc84ELc85EKPKfKPfEviT_T0_PT8_S5_lS8_S5_lS6_PT9_S5_li.num_agpr, 0
	.set _ZL37rocblas_syrkx_herkx_restricted_kernelIifLi16ELi32ELi8ELb0ELb0ELc84ELc85EKPKfKPfEviT_T0_PT8_S5_lS8_S5_lS6_PT9_S5_li.numbered_sgpr, 18
	.set _ZL37rocblas_syrkx_herkx_restricted_kernelIifLi16ELi32ELi8ELb0ELb0ELc84ELc85EKPKfKPfEviT_T0_PT8_S5_lS8_S5_lS6_PT9_S5_li.num_named_barrier, 0
	.set _ZL37rocblas_syrkx_herkx_restricted_kernelIifLi16ELi32ELi8ELb0ELb0ELc84ELc85EKPKfKPfEviT_T0_PT8_S5_lS8_S5_lS6_PT9_S5_li.private_seg_size, 0
	.set _ZL37rocblas_syrkx_herkx_restricted_kernelIifLi16ELi32ELi8ELb0ELb0ELc84ELc85EKPKfKPfEviT_T0_PT8_S5_lS8_S5_lS6_PT9_S5_li.uses_vcc, 1
	.set _ZL37rocblas_syrkx_herkx_restricted_kernelIifLi16ELi32ELi8ELb0ELb0ELc84ELc85EKPKfKPfEviT_T0_PT8_S5_lS8_S5_lS6_PT9_S5_li.uses_flat_scratch, 0
	.set _ZL37rocblas_syrkx_herkx_restricted_kernelIifLi16ELi32ELi8ELb0ELb0ELc84ELc85EKPKfKPfEviT_T0_PT8_S5_lS8_S5_lS6_PT9_S5_li.has_dyn_sized_stack, 0
	.set _ZL37rocblas_syrkx_herkx_restricted_kernelIifLi16ELi32ELi8ELb0ELb0ELc84ELc85EKPKfKPfEviT_T0_PT8_S5_lS8_S5_lS6_PT9_S5_li.has_recursion, 0
	.set _ZL37rocblas_syrkx_herkx_restricted_kernelIifLi16ELi32ELi8ELb0ELb0ELc84ELc85EKPKfKPfEviT_T0_PT8_S5_lS8_S5_lS6_PT9_S5_li.has_indirect_call, 0
	.section	.AMDGPU.csdata,"",@progbits
; Kernel info:
; codeLenInByte = 1072
; TotalNumSgprs: 22
; NumVgprs: 34
; ScratchSize: 0
; MemoryBound: 0
; FloatMode: 240
; IeeeMode: 1
; LDSByteSize: 2048 bytes/workgroup (compile time only)
; SGPRBlocks: 2
; VGPRBlocks: 8
; NumSGPRsForWavesPerEU: 22
; NumVGPRsForWavesPerEU: 34
; Occupancy: 7
; WaveLimiterHint : 1
; COMPUTE_PGM_RSRC2:SCRATCH_EN: 0
; COMPUTE_PGM_RSRC2:USER_SGPR: 6
; COMPUTE_PGM_RSRC2:TRAP_HANDLER: 0
; COMPUTE_PGM_RSRC2:TGID_X_EN: 1
; COMPUTE_PGM_RSRC2:TGID_Y_EN: 1
; COMPUTE_PGM_RSRC2:TGID_Z_EN: 1
; COMPUTE_PGM_RSRC2:TIDIG_COMP_CNT: 1
	.section	.text._ZL37rocblas_syrkx_herkx_restricted_kernelIifLi16ELi32ELi8ELb0ELb0ELc67ELc85EKPKfKPfEviT_T0_PT8_S5_lS8_S5_lS6_PT9_S5_li,"axG",@progbits,_ZL37rocblas_syrkx_herkx_restricted_kernelIifLi16ELi32ELi8ELb0ELb0ELc67ELc85EKPKfKPfEviT_T0_PT8_S5_lS8_S5_lS6_PT9_S5_li,comdat
	.globl	_ZL37rocblas_syrkx_herkx_restricted_kernelIifLi16ELi32ELi8ELb0ELb0ELc67ELc85EKPKfKPfEviT_T0_PT8_S5_lS8_S5_lS6_PT9_S5_li ; -- Begin function _ZL37rocblas_syrkx_herkx_restricted_kernelIifLi16ELi32ELi8ELb0ELb0ELc67ELc85EKPKfKPfEviT_T0_PT8_S5_lS8_S5_lS6_PT9_S5_li
	.p2align	8
	.type	_ZL37rocblas_syrkx_herkx_restricted_kernelIifLi16ELi32ELi8ELb0ELb0ELc67ELc85EKPKfKPfEviT_T0_PT8_S5_lS8_S5_lS6_PT9_S5_li,@function
_ZL37rocblas_syrkx_herkx_restricted_kernelIifLi16ELi32ELi8ELb0ELb0ELc67ELc85EKPKfKPfEviT_T0_PT8_S5_lS8_S5_lS6_PT9_S5_li: ; @_ZL37rocblas_syrkx_herkx_restricted_kernelIifLi16ELi32ELi8ELb0ELb0ELc67ELc85EKPKfKPfEviT_T0_PT8_S5_lS8_S5_lS6_PT9_S5_li
; %bb.0:
	s_load_dwordx2 s[2:3], s[4:5], 0x48
	s_load_dwordx4 s[12:15], s[4:5], 0x0
	s_mov_b32 s9, 0
	s_lshl_b64 s[0:1], s[8:9], 3
	s_waitcnt lgkmcnt(0)
	s_add_u32 s2, s2, s0
	s_addc_u32 s3, s3, s1
	s_load_dwordx2 s[2:3], s[2:3], 0x0
	s_lshl_b32 s6, s6, 5
	s_lshl_b32 s7, s7, 5
	s_cmp_lt_i32 s13, 1
	s_cbranch_scc1 .LBB498_3
; %bb.1:
	s_load_dwordx2 s[10:11], s[4:5], 0x10
	s_load_dword s8, s[4:5], 0x18
	s_load_dwordx2 s[16:17], s[4:5], 0x28
	s_load_dword s15, s[4:5], 0x30
	v_lshl_add_u32 v3, v1, 4, v0
	v_and_b32_e32 v8, 31, v3
	s_waitcnt lgkmcnt(0)
	s_add_u32 s10, s10, s0
	v_lshrrev_b32_e32 v4, 5, v3
	v_and_b32_e32 v2, 7, v0
	v_lshlrev_b32_e32 v9, 2, v8
	s_addc_u32 s11, s11, s1
	v_lshrrev_b32_e32 v6, 3, v3
	v_lshl_or_b32 v10, v4, 7, v9
	v_lshlrev_b32_e32 v9, 2, v2
	s_add_u32 s0, s16, s0
	v_add_u32_e32 v7, s7, v6
	v_mov_b32_e32 v3, 0
	v_lshl_or_b32 v6, v6, 5, v9
	s_addc_u32 s1, s17, s1
	v_add_u32_e32 v11, 0x400, v6
	v_mad_i64_i32 v[6:7], s[16:17], s15, v7, v[2:3]
	s_load_dwordx2 s[0:1], s[0:1], 0x0
	v_mov_b32_e32 v5, v3
	v_add_u32_e32 v8, s6, v8
	v_mad_i64_i32 v[8:9], s[16:17], s8, v8, v[4:5]
	s_load_dwordx2 s[10:11], s[10:11], 0x0
	v_lshlrev_b64 v[6:7], 2, v[6:7]
	v_mov_b32_e32 v2, 0x400
	v_lshl_add_u32 v13, v1, 5, v2
	s_waitcnt lgkmcnt(0)
	v_mov_b32_e32 v2, s1
	v_add_co_u32_e32 v4, vcc, s0, v6
	v_addc_co_u32_e32 v5, vcc, v2, v7, vcc
	v_lshlrev_b64 v[6:7], 2, v[8:9]
	v_mov_b32_e32 v2, s11
	v_add_co_u32_e32 v6, vcc, s10, v6
	v_lshlrev_b32_e32 v12, 2, v0
	v_addc_co_u32_e32 v7, vcc, v2, v7, vcc
	v_mov_b32_e32 v2, v3
	v_mov_b32_e32 v8, v3
	;; [unrolled: 1-line block ×3, first 2 shown]
.LBB498_2:                              ; =>This Inner Loop Header: Depth=1
	flat_load_dword v14, v[6:7]
	v_add_co_u32_e32 v6, vcc, 32, v6
	v_addc_co_u32_e32 v7, vcc, 0, v7, vcc
	s_add_i32 s9, s9, 8
	s_cmp_ge_i32 s9, s13
	s_waitcnt vmcnt(0) lgkmcnt(0)
	ds_write_b32 v10, v14
	flat_load_dword v14, v[4:5]
	v_add_co_u32_e32 v4, vcc, 32, v4
	v_addc_co_u32_e32 v5, vcc, 0, v5, vcc
	s_waitcnt vmcnt(0) lgkmcnt(0)
	ds_write_b32 v11, v14
	s_waitcnt lgkmcnt(0)
	s_barrier
	ds_read2_b32 v[26:27], v12 offset1:16
	ds_read_b128 v[14:17], v13
	ds_read2_b32 v[28:29], v12 offset0:32 offset1:48
	ds_read2_b32 v[30:31], v12 offset0:64 offset1:80
	ds_read_b128 v[18:21], v13 offset:16
	ds_read2_b32 v[32:33], v12 offset0:96 offset1:112
	s_waitcnt lgkmcnt(4)
	v_fmac_f32_e32 v9, v26, v14
	v_fmac_f32_e32 v8, v27, v14
	s_waitcnt lgkmcnt(3)
	v_fmac_f32_e32 v9, v28, v15
	v_fmac_f32_e32 v8, v29, v15
	;; [unrolled: 3-line block ×4, first 2 shown]
	ds_read_b128 v[14:17], v13 offset:512
	ds_read_b128 v[22:25], v13 offset:528
	s_waitcnt lgkmcnt(1)
	v_fmac_f32_e32 v2, v26, v14
	v_fmac_f32_e32 v3, v27, v14
	;; [unrolled: 1-line block ×8, first 2 shown]
	ds_read2_b32 v[14:15], v12 offset0:128 offset1:144
	ds_read2_b32 v[16:17], v12 offset0:160 offset1:176
	;; [unrolled: 1-line block ×3, first 2 shown]
	s_waitcnt lgkmcnt(2)
	v_fmac_f32_e32 v9, v14, v18
	v_fmac_f32_e32 v8, v15, v18
	;; [unrolled: 1-line block ×4, first 2 shown]
	ds_read2_b32 v[14:15], v12 offset0:224 offset1:240
	s_waitcnt lgkmcnt(2)
	v_fmac_f32_e32 v9, v16, v19
	v_fmac_f32_e32 v8, v17, v19
	v_fmac_f32_e32 v2, v16, v23
	v_fmac_f32_e32 v3, v17, v23
	s_waitcnt lgkmcnt(1)
	v_fmac_f32_e32 v9, v26, v20
	v_fmac_f32_e32 v8, v27, v20
	v_fmac_f32_e32 v2, v26, v24
	v_fmac_f32_e32 v3, v27, v24
	s_waitcnt lgkmcnt(0)
	v_fmac_f32_e32 v9, v14, v21
	v_fmac_f32_e32 v8, v15, v21
	v_fmac_f32_e32 v2, v14, v25
	v_fmac_f32_e32 v3, v15, v25
	s_barrier
	s_cbranch_scc0 .LBB498_2
	s_branch .LBB498_4
.LBB498_3:
	v_mov_b32_e32 v9, 0
	v_mov_b32_e32 v8, 0
	;; [unrolled: 1-line block ×4, first 2 shown]
.LBB498_4:
	s_load_dword s9, s[4:5], 0x50
	s_load_dword s8, s[4:5], 0x40
	v_add_u32_e32 v6, s7, v1
	s_waitcnt lgkmcnt(0)
	v_mov_b32_e32 v1, s3
	v_add_u32_e32 v0, s6, v0
	v_mad_i64_i32 v[4:5], s[0:1], v6, s9, 0
	v_cmp_gt_i32_e32 vcc, s12, v6
	v_lshlrev_b64 v[4:5], 2, v[4:5]
	v_add_co_u32_e64 v7, s[0:1], s2, v4
	v_addc_co_u32_e64 v10, s[0:1], v1, v5, s[0:1]
	v_cmp_le_i32_e64 s[0:1], v0, v6
	s_and_b64 s[0:1], vcc, s[0:1]
	s_and_saveexec_b64 s[4:5], s[0:1]
	s_cbranch_execz .LBB498_6
; %bb.5:
	v_ashrrev_i32_e32 v1, 31, v0
	v_lshlrev_b64 v[4:5], 2, v[0:1]
	v_add_co_u32_e64 v4, s[0:1], v7, v4
	v_addc_co_u32_e64 v5, s[0:1], v10, v5, s[0:1]
	flat_load_dword v1, v[4:5]
	s_waitcnt vmcnt(0) lgkmcnt(0)
	v_mul_f32_e32 v1, s8, v1
	v_fmac_f32_e32 v1, s14, v9
	flat_store_dword v[4:5], v1
.LBB498_6:
	s_or_b64 exec, exec, s[4:5]
	v_add_u32_e32 v4, 16, v0
	v_cmp_le_i32_e64 s[0:1], v4, v6
	s_and_b64 s[4:5], vcc, s[0:1]
	s_and_saveexec_b64 s[0:1], s[4:5]
	s_cbranch_execz .LBB498_8
; %bb.7:
	v_ashrrev_i32_e32 v5, 31, v4
	v_lshlrev_b64 v[11:12], 2, v[4:5]
	v_add_co_u32_e32 v9, vcc, v7, v11
	v_addc_co_u32_e32 v10, vcc, v10, v12, vcc
	flat_load_dword v1, v[9:10]
	s_waitcnt vmcnt(0) lgkmcnt(0)
	v_mul_f32_e32 v1, s8, v1
	v_fmac_f32_e32 v1, s14, v8
	flat_store_dword v[9:10], v1
.LBB498_8:
	s_or_b64 exec, exec, s[0:1]
	v_add_u32_e32 v5, 16, v6
	v_mad_i64_i32 v[6:7], s[0:1], v5, s9, 0
	v_mov_b32_e32 v1, s3
	v_cmp_gt_i32_e32 vcc, s12, v5
	v_lshlrev_b64 v[6:7], 2, v[6:7]
	v_add_co_u32_e64 v6, s[0:1], s2, v6
	v_addc_co_u32_e64 v7, s[0:1], v1, v7, s[0:1]
	v_cmp_le_i32_e64 s[0:1], v0, v5
	s_and_b64 s[0:1], vcc, s[0:1]
	s_and_saveexec_b64 s[2:3], s[0:1]
	s_cbranch_execz .LBB498_10
; %bb.9:
	v_ashrrev_i32_e32 v1, 31, v0
	v_lshlrev_b64 v[0:1], 2, v[0:1]
	v_add_co_u32_e64 v0, s[0:1], v6, v0
	v_addc_co_u32_e64 v1, s[0:1], v7, v1, s[0:1]
	flat_load_dword v8, v[0:1]
	s_waitcnt vmcnt(0) lgkmcnt(0)
	v_mul_f32_e32 v8, s8, v8
	v_fmac_f32_e32 v8, s14, v2
	flat_store_dword v[0:1], v8
.LBB498_10:
	s_or_b64 exec, exec, s[2:3]
	v_cmp_le_i32_e64 s[0:1], v4, v5
	s_and_b64 s[0:1], vcc, s[0:1]
	s_and_saveexec_b64 s[2:3], s[0:1]
	s_cbranch_execz .LBB498_12
; %bb.11:
	v_ashrrev_i32_e32 v5, 31, v4
	v_lshlrev_b64 v[0:1], 2, v[4:5]
	v_add_co_u32_e32 v0, vcc, v6, v0
	v_addc_co_u32_e32 v1, vcc, v7, v1, vcc
	flat_load_dword v2, v[0:1]
	s_waitcnt vmcnt(0) lgkmcnt(0)
	v_mul_f32_e32 v2, s8, v2
	v_fmac_f32_e32 v2, s14, v3
	flat_store_dword v[0:1], v2
.LBB498_12:
	s_endpgm
	.section	.rodata,"a",@progbits
	.p2align	6, 0x0
	.amdhsa_kernel _ZL37rocblas_syrkx_herkx_restricted_kernelIifLi16ELi32ELi8ELb0ELb0ELc67ELc85EKPKfKPfEviT_T0_PT8_S5_lS8_S5_lS6_PT9_S5_li
		.amdhsa_group_segment_fixed_size 2048
		.amdhsa_private_segment_fixed_size 0
		.amdhsa_kernarg_size 100
		.amdhsa_user_sgpr_count 6
		.amdhsa_user_sgpr_private_segment_buffer 1
		.amdhsa_user_sgpr_dispatch_ptr 0
		.amdhsa_user_sgpr_queue_ptr 0
		.amdhsa_user_sgpr_kernarg_segment_ptr 1
		.amdhsa_user_sgpr_dispatch_id 0
		.amdhsa_user_sgpr_flat_scratch_init 0
		.amdhsa_user_sgpr_private_segment_size 0
		.amdhsa_uses_dynamic_stack 0
		.amdhsa_system_sgpr_private_segment_wavefront_offset 0
		.amdhsa_system_sgpr_workgroup_id_x 1
		.amdhsa_system_sgpr_workgroup_id_y 1
		.amdhsa_system_sgpr_workgroup_id_z 1
		.amdhsa_system_sgpr_workgroup_info 0
		.amdhsa_system_vgpr_workitem_id 1
		.amdhsa_next_free_vgpr 34
		.amdhsa_next_free_sgpr 18
		.amdhsa_reserve_vcc 1
		.amdhsa_reserve_flat_scratch 0
		.amdhsa_float_round_mode_32 0
		.amdhsa_float_round_mode_16_64 0
		.amdhsa_float_denorm_mode_32 3
		.amdhsa_float_denorm_mode_16_64 3
		.amdhsa_dx10_clamp 1
		.amdhsa_ieee_mode 1
		.amdhsa_fp16_overflow 0
		.amdhsa_exception_fp_ieee_invalid_op 0
		.amdhsa_exception_fp_denorm_src 0
		.amdhsa_exception_fp_ieee_div_zero 0
		.amdhsa_exception_fp_ieee_overflow 0
		.amdhsa_exception_fp_ieee_underflow 0
		.amdhsa_exception_fp_ieee_inexact 0
		.amdhsa_exception_int_div_zero 0
	.end_amdhsa_kernel
	.section	.text._ZL37rocblas_syrkx_herkx_restricted_kernelIifLi16ELi32ELi8ELb0ELb0ELc67ELc85EKPKfKPfEviT_T0_PT8_S5_lS8_S5_lS6_PT9_S5_li,"axG",@progbits,_ZL37rocblas_syrkx_herkx_restricted_kernelIifLi16ELi32ELi8ELb0ELb0ELc67ELc85EKPKfKPfEviT_T0_PT8_S5_lS8_S5_lS6_PT9_S5_li,comdat
.Lfunc_end498:
	.size	_ZL37rocblas_syrkx_herkx_restricted_kernelIifLi16ELi32ELi8ELb0ELb0ELc67ELc85EKPKfKPfEviT_T0_PT8_S5_lS8_S5_lS6_PT9_S5_li, .Lfunc_end498-_ZL37rocblas_syrkx_herkx_restricted_kernelIifLi16ELi32ELi8ELb0ELb0ELc67ELc85EKPKfKPfEviT_T0_PT8_S5_lS8_S5_lS6_PT9_S5_li
                                        ; -- End function
	.set _ZL37rocblas_syrkx_herkx_restricted_kernelIifLi16ELi32ELi8ELb0ELb0ELc67ELc85EKPKfKPfEviT_T0_PT8_S5_lS8_S5_lS6_PT9_S5_li.num_vgpr, 34
	.set _ZL37rocblas_syrkx_herkx_restricted_kernelIifLi16ELi32ELi8ELb0ELb0ELc67ELc85EKPKfKPfEviT_T0_PT8_S5_lS8_S5_lS6_PT9_S5_li.num_agpr, 0
	.set _ZL37rocblas_syrkx_herkx_restricted_kernelIifLi16ELi32ELi8ELb0ELb0ELc67ELc85EKPKfKPfEviT_T0_PT8_S5_lS8_S5_lS6_PT9_S5_li.numbered_sgpr, 18
	.set _ZL37rocblas_syrkx_herkx_restricted_kernelIifLi16ELi32ELi8ELb0ELb0ELc67ELc85EKPKfKPfEviT_T0_PT8_S5_lS8_S5_lS6_PT9_S5_li.num_named_barrier, 0
	.set _ZL37rocblas_syrkx_herkx_restricted_kernelIifLi16ELi32ELi8ELb0ELb0ELc67ELc85EKPKfKPfEviT_T0_PT8_S5_lS8_S5_lS6_PT9_S5_li.private_seg_size, 0
	.set _ZL37rocblas_syrkx_herkx_restricted_kernelIifLi16ELi32ELi8ELb0ELb0ELc67ELc85EKPKfKPfEviT_T0_PT8_S5_lS8_S5_lS6_PT9_S5_li.uses_vcc, 1
	.set _ZL37rocblas_syrkx_herkx_restricted_kernelIifLi16ELi32ELi8ELb0ELb0ELc67ELc85EKPKfKPfEviT_T0_PT8_S5_lS8_S5_lS6_PT9_S5_li.uses_flat_scratch, 0
	.set _ZL37rocblas_syrkx_herkx_restricted_kernelIifLi16ELi32ELi8ELb0ELb0ELc67ELc85EKPKfKPfEviT_T0_PT8_S5_lS8_S5_lS6_PT9_S5_li.has_dyn_sized_stack, 0
	.set _ZL37rocblas_syrkx_herkx_restricted_kernelIifLi16ELi32ELi8ELb0ELb0ELc67ELc85EKPKfKPfEviT_T0_PT8_S5_lS8_S5_lS6_PT9_S5_li.has_recursion, 0
	.set _ZL37rocblas_syrkx_herkx_restricted_kernelIifLi16ELi32ELi8ELb0ELb0ELc67ELc85EKPKfKPfEviT_T0_PT8_S5_lS8_S5_lS6_PT9_S5_li.has_indirect_call, 0
	.section	.AMDGPU.csdata,"",@progbits
; Kernel info:
; codeLenInByte = 1072
; TotalNumSgprs: 22
; NumVgprs: 34
; ScratchSize: 0
; MemoryBound: 0
; FloatMode: 240
; IeeeMode: 1
; LDSByteSize: 2048 bytes/workgroup (compile time only)
; SGPRBlocks: 2
; VGPRBlocks: 8
; NumSGPRsForWavesPerEU: 22
; NumVGPRsForWavesPerEU: 34
; Occupancy: 7
; WaveLimiterHint : 1
; COMPUTE_PGM_RSRC2:SCRATCH_EN: 0
; COMPUTE_PGM_RSRC2:USER_SGPR: 6
; COMPUTE_PGM_RSRC2:TRAP_HANDLER: 0
; COMPUTE_PGM_RSRC2:TGID_X_EN: 1
; COMPUTE_PGM_RSRC2:TGID_Y_EN: 1
; COMPUTE_PGM_RSRC2:TGID_Z_EN: 1
; COMPUTE_PGM_RSRC2:TIDIG_COMP_CNT: 1
	.section	.text._ZL37rocblas_syrkx_herkx_restricted_kernelIifLi16ELi32ELi8ELb0ELb0ELc78ELc85EKPKfKPfEviT_T0_PT8_S5_lS8_S5_lS6_PT9_S5_li,"axG",@progbits,_ZL37rocblas_syrkx_herkx_restricted_kernelIifLi16ELi32ELi8ELb0ELb0ELc78ELc85EKPKfKPfEviT_T0_PT8_S5_lS8_S5_lS6_PT9_S5_li,comdat
	.globl	_ZL37rocblas_syrkx_herkx_restricted_kernelIifLi16ELi32ELi8ELb0ELb0ELc78ELc85EKPKfKPfEviT_T0_PT8_S5_lS8_S5_lS6_PT9_S5_li ; -- Begin function _ZL37rocblas_syrkx_herkx_restricted_kernelIifLi16ELi32ELi8ELb0ELb0ELc78ELc85EKPKfKPfEviT_T0_PT8_S5_lS8_S5_lS6_PT9_S5_li
	.p2align	8
	.type	_ZL37rocblas_syrkx_herkx_restricted_kernelIifLi16ELi32ELi8ELb0ELb0ELc78ELc85EKPKfKPfEviT_T0_PT8_S5_lS8_S5_lS6_PT9_S5_li,@function
_ZL37rocblas_syrkx_herkx_restricted_kernelIifLi16ELi32ELi8ELb0ELb0ELc78ELc85EKPKfKPfEviT_T0_PT8_S5_lS8_S5_lS6_PT9_S5_li: ; @_ZL37rocblas_syrkx_herkx_restricted_kernelIifLi16ELi32ELi8ELb0ELb0ELc78ELc85EKPKfKPfEviT_T0_PT8_S5_lS8_S5_lS6_PT9_S5_li
; %bb.0:
	s_load_dwordx2 s[2:3], s[4:5], 0x48
	s_load_dwordx4 s[12:15], s[4:5], 0x0
	s_mov_b32 s9, 0
	s_lshl_b64 s[0:1], s[8:9], 3
	s_waitcnt lgkmcnt(0)
	s_add_u32 s2, s2, s0
	s_addc_u32 s3, s3, s1
	s_load_dwordx2 s[2:3], s[2:3], 0x0
	s_lshl_b32 s8, s6, 5
	s_lshl_b32 s10, s7, 5
	s_cmp_lt_i32 s13, 1
	s_cbranch_scc1 .LBB499_3
; %bb.1:
	s_load_dword s6, s[4:5], 0x18
	s_load_dword s16, s[4:5], 0x30
	s_load_dwordx2 s[18:19], s[4:5], 0x10
	s_load_dwordx2 s[20:21], s[4:5], 0x28
	v_lshl_add_u32 v2, v1, 4, v0
	v_and_b32_e32 v7, 31, v2
	s_waitcnt lgkmcnt(0)
	s_ashr_i32 s7, s6, 31
	s_ashr_i32 s17, s16, 31
	v_lshrrev_b32_e32 v6, 5, v2
	v_and_b32_e32 v5, 7, v0
	v_lshlrev_b32_e32 v8, 2, v7
	s_add_u32 s18, s18, s0
	v_lshrrev_b32_e32 v4, 3, v2
	v_lshl_or_b32 v10, v6, 7, v8
	v_lshlrev_b32_e32 v8, 2, v5
	s_addc_u32 s19, s19, s1
	v_add_u32_e32 v2, s10, v4
	v_lshl_or_b32 v4, v4, 5, v8
	s_add_u32 s0, s20, s0
	v_ashrrev_i32_e32 v3, 31, v2
	v_add_u32_e32 v11, 0x400, v4
	v_mov_b32_e32 v4, 0x400
	s_addc_u32 s1, s21, s1
	v_mad_i64_i32 v[2:3], s[20:21], s16, v5, v[2:3]
	v_lshl_add_u32 v13, v1, 5, v4
	v_add_u32_e32 v4, s8, v7
	s_load_dwordx2 s[0:1], s[0:1], 0x0
	v_ashrrev_i32_e32 v5, 31, v4
	v_mad_i64_i32 v[4:5], s[20:21], s6, v6, v[4:5]
	s_load_dwordx2 s[18:19], s[18:19], 0x0
	v_lshlrev_b64 v[2:3], 2, v[2:3]
	s_waitcnt lgkmcnt(0)
	v_mov_b32_e32 v8, s1
	v_add_co_u32_e32 v2, vcc, s0, v2
	v_lshlrev_b64 v[4:5], 2, v[4:5]
	v_addc_co_u32_e32 v3, vcc, v8, v3, vcc
	s_lshl_b64 s[0:1], s[16:17], 5
	v_mov_b32_e32 v6, s19
	v_add_co_u32_e32 v4, vcc, s18, v4
	s_lshl_b64 s[6:7], s[6:7], 5
	v_lshlrev_b32_e32 v12, 2, v0
	v_addc_co_u32_e32 v5, vcc, v6, v5, vcc
	v_mov_b32_e32 v6, 0
	v_mov_b32_e32 v14, s1
	v_mov_b32_e32 v15, s7
	v_mov_b32_e32 v7, 0
	v_mov_b32_e32 v8, 0
	v_mov_b32_e32 v9, 0
.LBB499_2:                              ; =>This Inner Loop Header: Depth=1
	flat_load_dword v16, v[4:5]
	v_add_co_u32_e32 v4, vcc, s6, v4
	v_addc_co_u32_e32 v5, vcc, v5, v15, vcc
	s_add_i32 s9, s9, 8
	s_cmp_ge_i32 s9, s13
	s_waitcnt vmcnt(0) lgkmcnt(0)
	ds_write_b32 v10, v16
	flat_load_dword v16, v[2:3]
	v_add_co_u32_e32 v2, vcc, s0, v2
	v_addc_co_u32_e32 v3, vcc, v3, v14, vcc
	s_waitcnt vmcnt(0) lgkmcnt(0)
	ds_write_b32 v11, v16
	s_waitcnt lgkmcnt(0)
	s_barrier
	ds_read2_b32 v[28:29], v12 offset1:16
	ds_read_b128 v[16:19], v13
	ds_read2_b32 v[30:31], v12 offset0:32 offset1:48
	ds_read2_b32 v[32:33], v12 offset0:64 offset1:80
	ds_read_b128 v[20:23], v13 offset:16
	ds_read2_b32 v[34:35], v12 offset0:96 offset1:112
	s_waitcnt lgkmcnt(4)
	v_fmac_f32_e32 v9, v28, v16
	v_fmac_f32_e32 v8, v29, v16
	s_waitcnt lgkmcnt(3)
	v_fmac_f32_e32 v9, v30, v17
	v_fmac_f32_e32 v8, v31, v17
	s_waitcnt lgkmcnt(2)
	v_fmac_f32_e32 v9, v32, v18
	v_fmac_f32_e32 v8, v33, v18
	s_waitcnt lgkmcnt(0)
	v_fmac_f32_e32 v9, v34, v19
	v_fmac_f32_e32 v8, v35, v19
	ds_read_b128 v[16:19], v13 offset:512
	ds_read_b128 v[24:27], v13 offset:528
	s_waitcnt lgkmcnt(1)
	v_fmac_f32_e32 v7, v28, v16
	v_fmac_f32_e32 v6, v29, v16
	;; [unrolled: 1-line block ×8, first 2 shown]
	ds_read2_b32 v[16:17], v12 offset0:128 offset1:144
	ds_read2_b32 v[18:19], v12 offset0:160 offset1:176
	;; [unrolled: 1-line block ×3, first 2 shown]
	s_waitcnt lgkmcnt(2)
	v_fmac_f32_e32 v9, v16, v20
	v_fmac_f32_e32 v8, v17, v20
	;; [unrolled: 1-line block ×4, first 2 shown]
	ds_read2_b32 v[16:17], v12 offset0:224 offset1:240
	s_waitcnt lgkmcnt(2)
	v_fmac_f32_e32 v9, v18, v21
	v_fmac_f32_e32 v8, v19, v21
	v_fmac_f32_e32 v7, v18, v25
	v_fmac_f32_e32 v6, v19, v25
	s_waitcnt lgkmcnt(1)
	v_fmac_f32_e32 v9, v28, v22
	v_fmac_f32_e32 v8, v29, v22
	v_fmac_f32_e32 v7, v28, v26
	v_fmac_f32_e32 v6, v29, v26
	;; [unrolled: 5-line block ×3, first 2 shown]
	s_barrier
	s_cbranch_scc0 .LBB499_2
	s_branch .LBB499_4
.LBB499_3:
	v_mov_b32_e32 v9, 0
	v_mov_b32_e32 v8, 0
	;; [unrolled: 1-line block ×4, first 2 shown]
.LBB499_4:
	s_load_dword s7, s[4:5], 0x50
	s_load_dword s6, s[4:5], 0x40
	v_add_u32_e32 v4, s10, v1
	s_waitcnt lgkmcnt(0)
	v_mov_b32_e32 v3, s3
	v_add_u32_e32 v0, s8, v0
	v_mad_i64_i32 v[1:2], s[0:1], v4, s7, 0
	v_cmp_gt_i32_e32 vcc, s12, v4
	v_lshlrev_b64 v[1:2], 2, v[1:2]
	v_add_co_u32_e64 v5, s[0:1], s2, v1
	v_addc_co_u32_e64 v10, s[0:1], v3, v2, s[0:1]
	v_cmp_le_i32_e64 s[0:1], v0, v4
	s_and_b64 s[0:1], vcc, s[0:1]
	s_and_saveexec_b64 s[4:5], s[0:1]
	s_cbranch_execz .LBB499_6
; %bb.5:
	v_ashrrev_i32_e32 v1, 31, v0
	v_lshlrev_b64 v[1:2], 2, v[0:1]
	v_add_co_u32_e64 v1, s[0:1], v5, v1
	v_addc_co_u32_e64 v2, s[0:1], v10, v2, s[0:1]
	flat_load_dword v3, v[1:2]
	s_waitcnt vmcnt(0) lgkmcnt(0)
	v_mul_f32_e32 v3, s6, v3
	v_fmac_f32_e32 v3, s14, v9
	flat_store_dword v[1:2], v3
.LBB499_6:
	s_or_b64 exec, exec, s[4:5]
	v_add_u32_e32 v2, 16, v0
	v_cmp_le_i32_e64 s[0:1], v2, v4
	s_and_b64 s[4:5], vcc, s[0:1]
	s_and_saveexec_b64 s[0:1], s[4:5]
	s_cbranch_execz .LBB499_8
; %bb.7:
	v_ashrrev_i32_e32 v3, 31, v2
	v_lshlrev_b64 v[11:12], 2, v[2:3]
	v_add_co_u32_e32 v9, vcc, v5, v11
	v_addc_co_u32_e32 v10, vcc, v10, v12, vcc
	flat_load_dword v1, v[9:10]
	s_waitcnt vmcnt(0) lgkmcnt(0)
	v_mul_f32_e32 v1, s6, v1
	v_fmac_f32_e32 v1, s14, v8
	flat_store_dword v[9:10], v1
.LBB499_8:
	s_or_b64 exec, exec, s[0:1]
	v_add_u32_e32 v3, 16, v4
	v_mad_i64_i32 v[4:5], s[0:1], v3, s7, 0
	v_mov_b32_e32 v1, s3
	v_cmp_gt_i32_e32 vcc, s12, v3
	v_lshlrev_b64 v[4:5], 2, v[4:5]
	v_add_co_u32_e64 v4, s[0:1], s2, v4
	v_addc_co_u32_e64 v5, s[0:1], v1, v5, s[0:1]
	v_cmp_le_i32_e64 s[0:1], v0, v3
	s_and_b64 s[0:1], vcc, s[0:1]
	s_and_saveexec_b64 s[2:3], s[0:1]
	s_cbranch_execz .LBB499_10
; %bb.9:
	v_ashrrev_i32_e32 v1, 31, v0
	v_lshlrev_b64 v[0:1], 2, v[0:1]
	v_add_co_u32_e64 v0, s[0:1], v4, v0
	v_addc_co_u32_e64 v1, s[0:1], v5, v1, s[0:1]
	flat_load_dword v8, v[0:1]
	s_waitcnt vmcnt(0) lgkmcnt(0)
	v_mul_f32_e32 v8, s6, v8
	v_fmac_f32_e32 v8, s14, v7
	flat_store_dword v[0:1], v8
.LBB499_10:
	s_or_b64 exec, exec, s[2:3]
	v_cmp_le_i32_e64 s[0:1], v2, v3
	s_and_b64 s[0:1], vcc, s[0:1]
	s_and_saveexec_b64 s[2:3], s[0:1]
	s_cbranch_execz .LBB499_12
; %bb.11:
	v_ashrrev_i32_e32 v3, 31, v2
	v_lshlrev_b64 v[0:1], 2, v[2:3]
	v_add_co_u32_e32 v0, vcc, v4, v0
	v_addc_co_u32_e32 v1, vcc, v5, v1, vcc
	flat_load_dword v2, v[0:1]
	s_waitcnt vmcnt(0) lgkmcnt(0)
	v_mul_f32_e32 v2, s6, v2
	v_fmac_f32_e32 v2, s14, v6
	flat_store_dword v[0:1], v2
.LBB499_12:
	s_endpgm
	.section	.rodata,"a",@progbits
	.p2align	6, 0x0
	.amdhsa_kernel _ZL37rocblas_syrkx_herkx_restricted_kernelIifLi16ELi32ELi8ELb0ELb0ELc78ELc85EKPKfKPfEviT_T0_PT8_S5_lS8_S5_lS6_PT9_S5_li
		.amdhsa_group_segment_fixed_size 2048
		.amdhsa_private_segment_fixed_size 0
		.amdhsa_kernarg_size 100
		.amdhsa_user_sgpr_count 6
		.amdhsa_user_sgpr_private_segment_buffer 1
		.amdhsa_user_sgpr_dispatch_ptr 0
		.amdhsa_user_sgpr_queue_ptr 0
		.amdhsa_user_sgpr_kernarg_segment_ptr 1
		.amdhsa_user_sgpr_dispatch_id 0
		.amdhsa_user_sgpr_flat_scratch_init 0
		.amdhsa_user_sgpr_private_segment_size 0
		.amdhsa_uses_dynamic_stack 0
		.amdhsa_system_sgpr_private_segment_wavefront_offset 0
		.amdhsa_system_sgpr_workgroup_id_x 1
		.amdhsa_system_sgpr_workgroup_id_y 1
		.amdhsa_system_sgpr_workgroup_id_z 1
		.amdhsa_system_sgpr_workgroup_info 0
		.amdhsa_system_vgpr_workitem_id 1
		.amdhsa_next_free_vgpr 36
		.amdhsa_next_free_sgpr 22
		.amdhsa_reserve_vcc 1
		.amdhsa_reserve_flat_scratch 0
		.amdhsa_float_round_mode_32 0
		.amdhsa_float_round_mode_16_64 0
		.amdhsa_float_denorm_mode_32 3
		.amdhsa_float_denorm_mode_16_64 3
		.amdhsa_dx10_clamp 1
		.amdhsa_ieee_mode 1
		.amdhsa_fp16_overflow 0
		.amdhsa_exception_fp_ieee_invalid_op 0
		.amdhsa_exception_fp_denorm_src 0
		.amdhsa_exception_fp_ieee_div_zero 0
		.amdhsa_exception_fp_ieee_overflow 0
		.amdhsa_exception_fp_ieee_underflow 0
		.amdhsa_exception_fp_ieee_inexact 0
		.amdhsa_exception_int_div_zero 0
	.end_amdhsa_kernel
	.section	.text._ZL37rocblas_syrkx_herkx_restricted_kernelIifLi16ELi32ELi8ELb0ELb0ELc78ELc85EKPKfKPfEviT_T0_PT8_S5_lS8_S5_lS6_PT9_S5_li,"axG",@progbits,_ZL37rocblas_syrkx_herkx_restricted_kernelIifLi16ELi32ELi8ELb0ELb0ELc78ELc85EKPKfKPfEviT_T0_PT8_S5_lS8_S5_lS6_PT9_S5_li,comdat
.Lfunc_end499:
	.size	_ZL37rocblas_syrkx_herkx_restricted_kernelIifLi16ELi32ELi8ELb0ELb0ELc78ELc85EKPKfKPfEviT_T0_PT8_S5_lS8_S5_lS6_PT9_S5_li, .Lfunc_end499-_ZL37rocblas_syrkx_herkx_restricted_kernelIifLi16ELi32ELi8ELb0ELb0ELc78ELc85EKPKfKPfEviT_T0_PT8_S5_lS8_S5_lS6_PT9_S5_li
                                        ; -- End function
	.set _ZL37rocblas_syrkx_herkx_restricted_kernelIifLi16ELi32ELi8ELb0ELb0ELc78ELc85EKPKfKPfEviT_T0_PT8_S5_lS8_S5_lS6_PT9_S5_li.num_vgpr, 36
	.set _ZL37rocblas_syrkx_herkx_restricted_kernelIifLi16ELi32ELi8ELb0ELb0ELc78ELc85EKPKfKPfEviT_T0_PT8_S5_lS8_S5_lS6_PT9_S5_li.num_agpr, 0
	.set _ZL37rocblas_syrkx_herkx_restricted_kernelIifLi16ELi32ELi8ELb0ELb0ELc78ELc85EKPKfKPfEviT_T0_PT8_S5_lS8_S5_lS6_PT9_S5_li.numbered_sgpr, 22
	.set _ZL37rocblas_syrkx_herkx_restricted_kernelIifLi16ELi32ELi8ELb0ELb0ELc78ELc85EKPKfKPfEviT_T0_PT8_S5_lS8_S5_lS6_PT9_S5_li.num_named_barrier, 0
	.set _ZL37rocblas_syrkx_herkx_restricted_kernelIifLi16ELi32ELi8ELb0ELb0ELc78ELc85EKPKfKPfEviT_T0_PT8_S5_lS8_S5_lS6_PT9_S5_li.private_seg_size, 0
	.set _ZL37rocblas_syrkx_herkx_restricted_kernelIifLi16ELi32ELi8ELb0ELb0ELc78ELc85EKPKfKPfEviT_T0_PT8_S5_lS8_S5_lS6_PT9_S5_li.uses_vcc, 1
	.set _ZL37rocblas_syrkx_herkx_restricted_kernelIifLi16ELi32ELi8ELb0ELb0ELc78ELc85EKPKfKPfEviT_T0_PT8_S5_lS8_S5_lS6_PT9_S5_li.uses_flat_scratch, 0
	.set _ZL37rocblas_syrkx_herkx_restricted_kernelIifLi16ELi32ELi8ELb0ELb0ELc78ELc85EKPKfKPfEviT_T0_PT8_S5_lS8_S5_lS6_PT9_S5_li.has_dyn_sized_stack, 0
	.set _ZL37rocblas_syrkx_herkx_restricted_kernelIifLi16ELi32ELi8ELb0ELb0ELc78ELc85EKPKfKPfEviT_T0_PT8_S5_lS8_S5_lS6_PT9_S5_li.has_recursion, 0
	.set _ZL37rocblas_syrkx_herkx_restricted_kernelIifLi16ELi32ELi8ELb0ELb0ELc78ELc85EKPKfKPfEviT_T0_PT8_S5_lS8_S5_lS6_PT9_S5_li.has_indirect_call, 0
	.section	.AMDGPU.csdata,"",@progbits
; Kernel info:
; codeLenInByte = 1100
; TotalNumSgprs: 26
; NumVgprs: 36
; ScratchSize: 0
; MemoryBound: 0
; FloatMode: 240
; IeeeMode: 1
; LDSByteSize: 2048 bytes/workgroup (compile time only)
; SGPRBlocks: 3
; VGPRBlocks: 8
; NumSGPRsForWavesPerEU: 26
; NumVGPRsForWavesPerEU: 36
; Occupancy: 7
; WaveLimiterHint : 1
; COMPUTE_PGM_RSRC2:SCRATCH_EN: 0
; COMPUTE_PGM_RSRC2:USER_SGPR: 6
; COMPUTE_PGM_RSRC2:TRAP_HANDLER: 0
; COMPUTE_PGM_RSRC2:TGID_X_EN: 1
; COMPUTE_PGM_RSRC2:TGID_Y_EN: 1
; COMPUTE_PGM_RSRC2:TGID_Z_EN: 1
; COMPUTE_PGM_RSRC2:TIDIG_COMP_CNT: 1
	.section	.text._ZL41rocblas_syrkx_herkx_small_restrict_kernelIifLi16ELb1ELb0ELc84ELc76EKPKfKPfEviT_T0_PT6_S5_lS8_S5_lS6_PT7_S5_li,"axG",@progbits,_ZL41rocblas_syrkx_herkx_small_restrict_kernelIifLi16ELb1ELb0ELc84ELc76EKPKfKPfEviT_T0_PT6_S5_lS8_S5_lS6_PT7_S5_li,comdat
	.globl	_ZL41rocblas_syrkx_herkx_small_restrict_kernelIifLi16ELb1ELb0ELc84ELc76EKPKfKPfEviT_T0_PT6_S5_lS8_S5_lS6_PT7_S5_li ; -- Begin function _ZL41rocblas_syrkx_herkx_small_restrict_kernelIifLi16ELb1ELb0ELc84ELc76EKPKfKPfEviT_T0_PT6_S5_lS8_S5_lS6_PT7_S5_li
	.p2align	8
	.type	_ZL41rocblas_syrkx_herkx_small_restrict_kernelIifLi16ELb1ELb0ELc84ELc76EKPKfKPfEviT_T0_PT6_S5_lS8_S5_lS6_PT7_S5_li,@function
_ZL41rocblas_syrkx_herkx_small_restrict_kernelIifLi16ELb1ELb0ELc84ELc76EKPKfKPfEviT_T0_PT6_S5_lS8_S5_lS6_PT7_S5_li: ; @_ZL41rocblas_syrkx_herkx_small_restrict_kernelIifLi16ELb1ELb0ELc84ELc76EKPKfKPfEviT_T0_PT6_S5_lS8_S5_lS6_PT7_S5_li
; %bb.0:
	s_load_dwordx2 s[0:1], s[4:5], 0x48
	s_load_dwordx2 s[2:3], s[4:5], 0x4
	s_mov_b32 s9, 0
	s_lshl_b64 s[10:11], s[8:9], 3
	v_lshl_add_u32 v2, s6, 4, v0
	s_waitcnt lgkmcnt(0)
	s_add_u32 s0, s0, s10
	s_addc_u32 s1, s1, s11
	s_load_dwordx2 s[0:1], s[0:1], 0x0
	s_cmp_lt_i32 s2, 1
	v_lshl_add_u32 v5, s7, 4, v1
	s_cbranch_scc1 .LBB500_6
; %bb.1:
	s_load_dwordx2 s[6:7], s[4:5], 0x28
	s_load_dwordx2 s[12:13], s[4:5], 0x10
	s_load_dword s8, s[4:5], 0x18
	s_load_dword s14, s[4:5], 0x30
	v_lshlrev_b32_e32 v7, 2, v0
	s_waitcnt lgkmcnt(0)
	s_add_u32 s6, s6, s10
	s_addc_u32 s7, s7, s11
	s_add_u32 s10, s12, s10
	s_addc_u32 s11, s13, s11
	v_mad_i64_i32 v[3:4], s[12:13], s14, v5, 0
	s_load_dwordx2 s[6:7], s[6:7], 0x0
	v_mad_i64_i32 v[11:12], s[12:13], s8, v2, 0
	v_lshlrev_b64 v[3:4], 2, v[3:4]
	s_load_dwordx2 s[10:11], s[10:11], 0x0
	v_add_co_u32_e32 v0, vcc, v3, v7
	v_addc_co_u32_e32 v4, vcc, 0, v4, vcc
	s_waitcnt lgkmcnt(0)
	v_mov_b32_e32 v13, s7
	v_add_co_u32_e32 v3, vcc, s6, v0
	v_lshlrev_b64 v[11:12], 2, v[11:12]
	v_addc_co_u32_e32 v4, vcc, v13, v4, vcc
	v_lshlrev_b32_e32 v0, 2, v1
	v_add_co_u32_e32 v0, vcc, v11, v0
	v_lshlrev_b32_e32 v6, 6, v1
	v_addc_co_u32_e32 v1, vcc, 0, v12, vcc
	v_add_u32_e32 v9, 0x400, v6
	v_mov_b32_e32 v11, s11
	v_add_co_u32_e32 v0, vcc, s10, v0
	v_add_u32_e32 v8, v7, v6
	v_add_u32_e32 v10, v9, v7
	v_mov_b32_e32 v6, 0
	v_addc_co_u32_e32 v1, vcc, v11, v1, vcc
.LBB500_2:                              ; =>This Inner Loop Header: Depth=1
	flat_load_dword v11, v[0:1]
	v_add_co_u32_e32 v0, vcc, 64, v0
	v_addc_co_u32_e32 v1, vcc, 0, v1, vcc
	s_add_i32 s9, s9, 16
	s_cmp_lt_i32 s9, s2
	s_waitcnt vmcnt(0) lgkmcnt(0)
	ds_write_b32 v8, v11
	flat_load_dword v11, v[3:4]
	v_add_co_u32_e32 v3, vcc, 64, v3
	v_addc_co_u32_e32 v4, vcc, 0, v4, vcc
	s_waitcnt vmcnt(0) lgkmcnt(0)
	ds_write_b32 v10, v11
	s_waitcnt lgkmcnt(0)
	s_barrier
	ds_read2_b32 v[19:20], v7 offset1:16
	ds_read_b128 v[11:14], v9
	ds_read_b128 v[15:18], v9 offset:16
	s_waitcnt lgkmcnt(1)
	v_fmac_f32_e32 v6, v19, v11
	v_fmac_f32_e32 v6, v20, v12
	ds_read2_b32 v[11:12], v7 offset0:32 offset1:48
	s_waitcnt lgkmcnt(0)
	v_fmac_f32_e32 v6, v11, v13
	v_fmac_f32_e32 v6, v12, v14
	ds_read2_b32 v[11:12], v7 offset0:64 offset1:80
	ds_read2_b32 v[13:14], v7 offset0:96 offset1:112
	;; [unrolled: 1-line block ×3, first 2 shown]
	s_waitcnt lgkmcnt(2)
	v_fmac_f32_e32 v6, v11, v15
	v_fmac_f32_e32 v6, v12, v16
	s_waitcnt lgkmcnt(1)
	v_fmac_f32_e32 v6, v13, v17
	v_fmac_f32_e32 v6, v14, v18
	ds_read_b128 v[11:14], v9 offset:32
	ds_read_b128 v[15:18], v9 offset:48
	s_waitcnt lgkmcnt(1)
	v_fmac_f32_e32 v6, v19, v11
	v_fmac_f32_e32 v6, v20, v12
	ds_read2_b32 v[11:12], v7 offset0:160 offset1:176
	s_waitcnt lgkmcnt(0)
	v_fmac_f32_e32 v6, v11, v13
	v_fmac_f32_e32 v6, v12, v14
	ds_read2_b32 v[11:12], v7 offset0:192 offset1:208
	ds_read2_b32 v[13:14], v7 offset0:224 offset1:240
	s_waitcnt lgkmcnt(0)
	s_barrier
	v_fmac_f32_e32 v6, v11, v15
	v_fmac_f32_e32 v6, v12, v16
	;; [unrolled: 1-line block ×4, first 2 shown]
	s_cbranch_scc1 .LBB500_2
; %bb.3:
	v_cmp_le_i32_e32 vcc, v5, v2
	s_and_saveexec_b64 s[6:7], vcc
	s_cbranch_execz .LBB500_5
.LBB500_4:
	s_load_dword s2, s[4:5], 0x50
	v_mul_f32_e32 v4, s3, v6
	v_ashrrev_i32_e32 v3, 31, v2
	v_lshlrev_b64 v[2:3], 2, v[2:3]
	s_waitcnt lgkmcnt(0)
	v_mad_i64_i32 v[0:1], s[2:3], s2, v5, 0
	v_mov_b32_e32 v5, s1
	v_lshlrev_b64 v[0:1], 2, v[0:1]
	v_add_co_u32_e32 v0, vcc, s0, v0
	v_addc_co_u32_e32 v1, vcc, v5, v1, vcc
	v_add_co_u32_e32 v0, vcc, v0, v2
	v_addc_co_u32_e32 v1, vcc, v1, v3, vcc
	flat_store_dword v[0:1], v4
.LBB500_5:
	s_endpgm
.LBB500_6:
	v_mov_b32_e32 v6, 0
	v_cmp_le_i32_e32 vcc, v5, v2
	s_and_saveexec_b64 s[6:7], vcc
	s_cbranch_execnz .LBB500_4
	s_branch .LBB500_5
	.section	.rodata,"a",@progbits
	.p2align	6, 0x0
	.amdhsa_kernel _ZL41rocblas_syrkx_herkx_small_restrict_kernelIifLi16ELb1ELb0ELc84ELc76EKPKfKPfEviT_T0_PT6_S5_lS8_S5_lS6_PT7_S5_li
		.amdhsa_group_segment_fixed_size 2048
		.amdhsa_private_segment_fixed_size 0
		.amdhsa_kernarg_size 100
		.amdhsa_user_sgpr_count 6
		.amdhsa_user_sgpr_private_segment_buffer 1
		.amdhsa_user_sgpr_dispatch_ptr 0
		.amdhsa_user_sgpr_queue_ptr 0
		.amdhsa_user_sgpr_kernarg_segment_ptr 1
		.amdhsa_user_sgpr_dispatch_id 0
		.amdhsa_user_sgpr_flat_scratch_init 0
		.amdhsa_user_sgpr_private_segment_size 0
		.amdhsa_uses_dynamic_stack 0
		.amdhsa_system_sgpr_private_segment_wavefront_offset 0
		.amdhsa_system_sgpr_workgroup_id_x 1
		.amdhsa_system_sgpr_workgroup_id_y 1
		.amdhsa_system_sgpr_workgroup_id_z 1
		.amdhsa_system_sgpr_workgroup_info 0
		.amdhsa_system_vgpr_workitem_id 1
		.amdhsa_next_free_vgpr 21
		.amdhsa_next_free_sgpr 15
		.amdhsa_reserve_vcc 1
		.amdhsa_reserve_flat_scratch 0
		.amdhsa_float_round_mode_32 0
		.amdhsa_float_round_mode_16_64 0
		.amdhsa_float_denorm_mode_32 3
		.amdhsa_float_denorm_mode_16_64 3
		.amdhsa_dx10_clamp 1
		.amdhsa_ieee_mode 1
		.amdhsa_fp16_overflow 0
		.amdhsa_exception_fp_ieee_invalid_op 0
		.amdhsa_exception_fp_denorm_src 0
		.amdhsa_exception_fp_ieee_div_zero 0
		.amdhsa_exception_fp_ieee_overflow 0
		.amdhsa_exception_fp_ieee_underflow 0
		.amdhsa_exception_fp_ieee_inexact 0
		.amdhsa_exception_int_div_zero 0
	.end_amdhsa_kernel
	.section	.text._ZL41rocblas_syrkx_herkx_small_restrict_kernelIifLi16ELb1ELb0ELc84ELc76EKPKfKPfEviT_T0_PT6_S5_lS8_S5_lS6_PT7_S5_li,"axG",@progbits,_ZL41rocblas_syrkx_herkx_small_restrict_kernelIifLi16ELb1ELb0ELc84ELc76EKPKfKPfEviT_T0_PT6_S5_lS8_S5_lS6_PT7_S5_li,comdat
.Lfunc_end500:
	.size	_ZL41rocblas_syrkx_herkx_small_restrict_kernelIifLi16ELb1ELb0ELc84ELc76EKPKfKPfEviT_T0_PT6_S5_lS8_S5_lS6_PT7_S5_li, .Lfunc_end500-_ZL41rocblas_syrkx_herkx_small_restrict_kernelIifLi16ELb1ELb0ELc84ELc76EKPKfKPfEviT_T0_PT6_S5_lS8_S5_lS6_PT7_S5_li
                                        ; -- End function
	.set _ZL41rocblas_syrkx_herkx_small_restrict_kernelIifLi16ELb1ELb0ELc84ELc76EKPKfKPfEviT_T0_PT6_S5_lS8_S5_lS6_PT7_S5_li.num_vgpr, 21
	.set _ZL41rocblas_syrkx_herkx_small_restrict_kernelIifLi16ELb1ELb0ELc84ELc76EKPKfKPfEviT_T0_PT6_S5_lS8_S5_lS6_PT7_S5_li.num_agpr, 0
	.set _ZL41rocblas_syrkx_herkx_small_restrict_kernelIifLi16ELb1ELb0ELc84ELc76EKPKfKPfEviT_T0_PT6_S5_lS8_S5_lS6_PT7_S5_li.numbered_sgpr, 15
	.set _ZL41rocblas_syrkx_herkx_small_restrict_kernelIifLi16ELb1ELb0ELc84ELc76EKPKfKPfEviT_T0_PT6_S5_lS8_S5_lS6_PT7_S5_li.num_named_barrier, 0
	.set _ZL41rocblas_syrkx_herkx_small_restrict_kernelIifLi16ELb1ELb0ELc84ELc76EKPKfKPfEviT_T0_PT6_S5_lS8_S5_lS6_PT7_S5_li.private_seg_size, 0
	.set _ZL41rocblas_syrkx_herkx_small_restrict_kernelIifLi16ELb1ELb0ELc84ELc76EKPKfKPfEviT_T0_PT6_S5_lS8_S5_lS6_PT7_S5_li.uses_vcc, 1
	.set _ZL41rocblas_syrkx_herkx_small_restrict_kernelIifLi16ELb1ELb0ELc84ELc76EKPKfKPfEviT_T0_PT6_S5_lS8_S5_lS6_PT7_S5_li.uses_flat_scratch, 0
	.set _ZL41rocblas_syrkx_herkx_small_restrict_kernelIifLi16ELb1ELb0ELc84ELc76EKPKfKPfEviT_T0_PT6_S5_lS8_S5_lS6_PT7_S5_li.has_dyn_sized_stack, 0
	.set _ZL41rocblas_syrkx_herkx_small_restrict_kernelIifLi16ELb1ELb0ELc84ELc76EKPKfKPfEviT_T0_PT6_S5_lS8_S5_lS6_PT7_S5_li.has_recursion, 0
	.set _ZL41rocblas_syrkx_herkx_small_restrict_kernelIifLi16ELb1ELb0ELc84ELc76EKPKfKPfEviT_T0_PT6_S5_lS8_S5_lS6_PT7_S5_li.has_indirect_call, 0
	.section	.AMDGPU.csdata,"",@progbits
; Kernel info:
; codeLenInByte = 620
; TotalNumSgprs: 19
; NumVgprs: 21
; ScratchSize: 0
; MemoryBound: 0
; FloatMode: 240
; IeeeMode: 1
; LDSByteSize: 2048 bytes/workgroup (compile time only)
; SGPRBlocks: 2
; VGPRBlocks: 5
; NumSGPRsForWavesPerEU: 19
; NumVGPRsForWavesPerEU: 21
; Occupancy: 10
; WaveLimiterHint : 1
; COMPUTE_PGM_RSRC2:SCRATCH_EN: 0
; COMPUTE_PGM_RSRC2:USER_SGPR: 6
; COMPUTE_PGM_RSRC2:TRAP_HANDLER: 0
; COMPUTE_PGM_RSRC2:TGID_X_EN: 1
; COMPUTE_PGM_RSRC2:TGID_Y_EN: 1
; COMPUTE_PGM_RSRC2:TGID_Z_EN: 1
; COMPUTE_PGM_RSRC2:TIDIG_COMP_CNT: 1
	.section	.text._ZL41rocblas_syrkx_herkx_small_restrict_kernelIifLi16ELb1ELb0ELc67ELc76EKPKfKPfEviT_T0_PT6_S5_lS8_S5_lS6_PT7_S5_li,"axG",@progbits,_ZL41rocblas_syrkx_herkx_small_restrict_kernelIifLi16ELb1ELb0ELc67ELc76EKPKfKPfEviT_T0_PT6_S5_lS8_S5_lS6_PT7_S5_li,comdat
	.globl	_ZL41rocblas_syrkx_herkx_small_restrict_kernelIifLi16ELb1ELb0ELc67ELc76EKPKfKPfEviT_T0_PT6_S5_lS8_S5_lS6_PT7_S5_li ; -- Begin function _ZL41rocblas_syrkx_herkx_small_restrict_kernelIifLi16ELb1ELb0ELc67ELc76EKPKfKPfEviT_T0_PT6_S5_lS8_S5_lS6_PT7_S5_li
	.p2align	8
	.type	_ZL41rocblas_syrkx_herkx_small_restrict_kernelIifLi16ELb1ELb0ELc67ELc76EKPKfKPfEviT_T0_PT6_S5_lS8_S5_lS6_PT7_S5_li,@function
_ZL41rocblas_syrkx_herkx_small_restrict_kernelIifLi16ELb1ELb0ELc67ELc76EKPKfKPfEviT_T0_PT6_S5_lS8_S5_lS6_PT7_S5_li: ; @_ZL41rocblas_syrkx_herkx_small_restrict_kernelIifLi16ELb1ELb0ELc67ELc76EKPKfKPfEviT_T0_PT6_S5_lS8_S5_lS6_PT7_S5_li
; %bb.0:
	s_load_dwordx2 s[0:1], s[4:5], 0x48
	s_load_dwordx2 s[2:3], s[4:5], 0x4
	s_mov_b32 s9, 0
	s_lshl_b64 s[10:11], s[8:9], 3
	v_lshl_add_u32 v2, s6, 4, v0
	s_waitcnt lgkmcnt(0)
	s_add_u32 s0, s0, s10
	s_addc_u32 s1, s1, s11
	s_load_dwordx2 s[0:1], s[0:1], 0x0
	s_cmp_lt_i32 s2, 1
	v_lshl_add_u32 v5, s7, 4, v1
	s_cbranch_scc1 .LBB501_6
; %bb.1:
	s_load_dwordx2 s[6:7], s[4:5], 0x28
	s_load_dwordx2 s[12:13], s[4:5], 0x10
	s_load_dword s8, s[4:5], 0x18
	s_load_dword s14, s[4:5], 0x30
	v_lshlrev_b32_e32 v7, 2, v0
	s_waitcnt lgkmcnt(0)
	s_add_u32 s6, s6, s10
	s_addc_u32 s7, s7, s11
	s_add_u32 s10, s12, s10
	s_addc_u32 s11, s13, s11
	v_mad_i64_i32 v[3:4], s[12:13], s14, v5, 0
	s_load_dwordx2 s[6:7], s[6:7], 0x0
	v_mad_i64_i32 v[11:12], s[12:13], s8, v2, 0
	v_lshlrev_b64 v[3:4], 2, v[3:4]
	s_load_dwordx2 s[10:11], s[10:11], 0x0
	v_add_co_u32_e32 v0, vcc, v3, v7
	v_addc_co_u32_e32 v4, vcc, 0, v4, vcc
	s_waitcnt lgkmcnt(0)
	v_mov_b32_e32 v13, s7
	v_add_co_u32_e32 v3, vcc, s6, v0
	v_lshlrev_b64 v[11:12], 2, v[11:12]
	v_addc_co_u32_e32 v4, vcc, v13, v4, vcc
	v_lshlrev_b32_e32 v0, 2, v1
	v_add_co_u32_e32 v0, vcc, v11, v0
	v_lshlrev_b32_e32 v6, 6, v1
	v_addc_co_u32_e32 v1, vcc, 0, v12, vcc
	v_add_u32_e32 v9, 0x400, v6
	v_mov_b32_e32 v11, s11
	v_add_co_u32_e32 v0, vcc, s10, v0
	v_add_u32_e32 v8, v7, v6
	v_add_u32_e32 v10, v9, v7
	v_mov_b32_e32 v6, 0
	v_addc_co_u32_e32 v1, vcc, v11, v1, vcc
.LBB501_2:                              ; =>This Inner Loop Header: Depth=1
	flat_load_dword v11, v[0:1]
	v_add_co_u32_e32 v0, vcc, 64, v0
	v_addc_co_u32_e32 v1, vcc, 0, v1, vcc
	s_add_i32 s9, s9, 16
	s_cmp_lt_i32 s9, s2
	s_waitcnt vmcnt(0) lgkmcnt(0)
	ds_write_b32 v8, v11
	flat_load_dword v11, v[3:4]
	v_add_co_u32_e32 v3, vcc, 64, v3
	v_addc_co_u32_e32 v4, vcc, 0, v4, vcc
	s_waitcnt vmcnt(0) lgkmcnt(0)
	ds_write_b32 v10, v11
	s_waitcnt lgkmcnt(0)
	s_barrier
	ds_read2_b32 v[19:20], v7 offset1:16
	ds_read_b128 v[11:14], v9
	ds_read_b128 v[15:18], v9 offset:16
	s_waitcnt lgkmcnt(1)
	v_fmac_f32_e32 v6, v19, v11
	v_fmac_f32_e32 v6, v20, v12
	ds_read2_b32 v[11:12], v7 offset0:32 offset1:48
	s_waitcnt lgkmcnt(0)
	v_fmac_f32_e32 v6, v11, v13
	v_fmac_f32_e32 v6, v12, v14
	ds_read2_b32 v[11:12], v7 offset0:64 offset1:80
	ds_read2_b32 v[13:14], v7 offset0:96 offset1:112
	;; [unrolled: 1-line block ×3, first 2 shown]
	s_waitcnt lgkmcnt(2)
	v_fmac_f32_e32 v6, v11, v15
	v_fmac_f32_e32 v6, v12, v16
	s_waitcnt lgkmcnt(1)
	v_fmac_f32_e32 v6, v13, v17
	v_fmac_f32_e32 v6, v14, v18
	ds_read_b128 v[11:14], v9 offset:32
	ds_read_b128 v[15:18], v9 offset:48
	s_waitcnt lgkmcnt(1)
	v_fmac_f32_e32 v6, v19, v11
	v_fmac_f32_e32 v6, v20, v12
	ds_read2_b32 v[11:12], v7 offset0:160 offset1:176
	s_waitcnt lgkmcnt(0)
	v_fmac_f32_e32 v6, v11, v13
	v_fmac_f32_e32 v6, v12, v14
	ds_read2_b32 v[11:12], v7 offset0:192 offset1:208
	ds_read2_b32 v[13:14], v7 offset0:224 offset1:240
	s_waitcnt lgkmcnt(0)
	s_barrier
	v_fmac_f32_e32 v6, v11, v15
	v_fmac_f32_e32 v6, v12, v16
	v_fmac_f32_e32 v6, v13, v17
	v_fmac_f32_e32 v6, v14, v18
	s_cbranch_scc1 .LBB501_2
; %bb.3:
	v_cmp_le_i32_e32 vcc, v5, v2
	s_and_saveexec_b64 s[6:7], vcc
	s_cbranch_execz .LBB501_5
.LBB501_4:
	s_load_dword s2, s[4:5], 0x50
	v_mul_f32_e32 v4, s3, v6
	v_ashrrev_i32_e32 v3, 31, v2
	v_lshlrev_b64 v[2:3], 2, v[2:3]
	s_waitcnt lgkmcnt(0)
	v_mad_i64_i32 v[0:1], s[2:3], s2, v5, 0
	v_mov_b32_e32 v5, s1
	v_lshlrev_b64 v[0:1], 2, v[0:1]
	v_add_co_u32_e32 v0, vcc, s0, v0
	v_addc_co_u32_e32 v1, vcc, v5, v1, vcc
	v_add_co_u32_e32 v0, vcc, v0, v2
	v_addc_co_u32_e32 v1, vcc, v1, v3, vcc
	flat_store_dword v[0:1], v4
.LBB501_5:
	s_endpgm
.LBB501_6:
	v_mov_b32_e32 v6, 0
	v_cmp_le_i32_e32 vcc, v5, v2
	s_and_saveexec_b64 s[6:7], vcc
	s_cbranch_execnz .LBB501_4
	s_branch .LBB501_5
	.section	.rodata,"a",@progbits
	.p2align	6, 0x0
	.amdhsa_kernel _ZL41rocblas_syrkx_herkx_small_restrict_kernelIifLi16ELb1ELb0ELc67ELc76EKPKfKPfEviT_T0_PT6_S5_lS8_S5_lS6_PT7_S5_li
		.amdhsa_group_segment_fixed_size 2048
		.amdhsa_private_segment_fixed_size 0
		.amdhsa_kernarg_size 100
		.amdhsa_user_sgpr_count 6
		.amdhsa_user_sgpr_private_segment_buffer 1
		.amdhsa_user_sgpr_dispatch_ptr 0
		.amdhsa_user_sgpr_queue_ptr 0
		.amdhsa_user_sgpr_kernarg_segment_ptr 1
		.amdhsa_user_sgpr_dispatch_id 0
		.amdhsa_user_sgpr_flat_scratch_init 0
		.amdhsa_user_sgpr_private_segment_size 0
		.amdhsa_uses_dynamic_stack 0
		.amdhsa_system_sgpr_private_segment_wavefront_offset 0
		.amdhsa_system_sgpr_workgroup_id_x 1
		.amdhsa_system_sgpr_workgroup_id_y 1
		.amdhsa_system_sgpr_workgroup_id_z 1
		.amdhsa_system_sgpr_workgroup_info 0
		.amdhsa_system_vgpr_workitem_id 1
		.amdhsa_next_free_vgpr 21
		.amdhsa_next_free_sgpr 15
		.amdhsa_reserve_vcc 1
		.amdhsa_reserve_flat_scratch 0
		.amdhsa_float_round_mode_32 0
		.amdhsa_float_round_mode_16_64 0
		.amdhsa_float_denorm_mode_32 3
		.amdhsa_float_denorm_mode_16_64 3
		.amdhsa_dx10_clamp 1
		.amdhsa_ieee_mode 1
		.amdhsa_fp16_overflow 0
		.amdhsa_exception_fp_ieee_invalid_op 0
		.amdhsa_exception_fp_denorm_src 0
		.amdhsa_exception_fp_ieee_div_zero 0
		.amdhsa_exception_fp_ieee_overflow 0
		.amdhsa_exception_fp_ieee_underflow 0
		.amdhsa_exception_fp_ieee_inexact 0
		.amdhsa_exception_int_div_zero 0
	.end_amdhsa_kernel
	.section	.text._ZL41rocblas_syrkx_herkx_small_restrict_kernelIifLi16ELb1ELb0ELc67ELc76EKPKfKPfEviT_T0_PT6_S5_lS8_S5_lS6_PT7_S5_li,"axG",@progbits,_ZL41rocblas_syrkx_herkx_small_restrict_kernelIifLi16ELb1ELb0ELc67ELc76EKPKfKPfEviT_T0_PT6_S5_lS8_S5_lS6_PT7_S5_li,comdat
.Lfunc_end501:
	.size	_ZL41rocblas_syrkx_herkx_small_restrict_kernelIifLi16ELb1ELb0ELc67ELc76EKPKfKPfEviT_T0_PT6_S5_lS8_S5_lS6_PT7_S5_li, .Lfunc_end501-_ZL41rocblas_syrkx_herkx_small_restrict_kernelIifLi16ELb1ELb0ELc67ELc76EKPKfKPfEviT_T0_PT6_S5_lS8_S5_lS6_PT7_S5_li
                                        ; -- End function
	.set _ZL41rocblas_syrkx_herkx_small_restrict_kernelIifLi16ELb1ELb0ELc67ELc76EKPKfKPfEviT_T0_PT6_S5_lS8_S5_lS6_PT7_S5_li.num_vgpr, 21
	.set _ZL41rocblas_syrkx_herkx_small_restrict_kernelIifLi16ELb1ELb0ELc67ELc76EKPKfKPfEviT_T0_PT6_S5_lS8_S5_lS6_PT7_S5_li.num_agpr, 0
	.set _ZL41rocblas_syrkx_herkx_small_restrict_kernelIifLi16ELb1ELb0ELc67ELc76EKPKfKPfEviT_T0_PT6_S5_lS8_S5_lS6_PT7_S5_li.numbered_sgpr, 15
	.set _ZL41rocblas_syrkx_herkx_small_restrict_kernelIifLi16ELb1ELb0ELc67ELc76EKPKfKPfEviT_T0_PT6_S5_lS8_S5_lS6_PT7_S5_li.num_named_barrier, 0
	.set _ZL41rocblas_syrkx_herkx_small_restrict_kernelIifLi16ELb1ELb0ELc67ELc76EKPKfKPfEviT_T0_PT6_S5_lS8_S5_lS6_PT7_S5_li.private_seg_size, 0
	.set _ZL41rocblas_syrkx_herkx_small_restrict_kernelIifLi16ELb1ELb0ELc67ELc76EKPKfKPfEviT_T0_PT6_S5_lS8_S5_lS6_PT7_S5_li.uses_vcc, 1
	.set _ZL41rocblas_syrkx_herkx_small_restrict_kernelIifLi16ELb1ELb0ELc67ELc76EKPKfKPfEviT_T0_PT6_S5_lS8_S5_lS6_PT7_S5_li.uses_flat_scratch, 0
	.set _ZL41rocblas_syrkx_herkx_small_restrict_kernelIifLi16ELb1ELb0ELc67ELc76EKPKfKPfEviT_T0_PT6_S5_lS8_S5_lS6_PT7_S5_li.has_dyn_sized_stack, 0
	.set _ZL41rocblas_syrkx_herkx_small_restrict_kernelIifLi16ELb1ELb0ELc67ELc76EKPKfKPfEviT_T0_PT6_S5_lS8_S5_lS6_PT7_S5_li.has_recursion, 0
	.set _ZL41rocblas_syrkx_herkx_small_restrict_kernelIifLi16ELb1ELb0ELc67ELc76EKPKfKPfEviT_T0_PT6_S5_lS8_S5_lS6_PT7_S5_li.has_indirect_call, 0
	.section	.AMDGPU.csdata,"",@progbits
; Kernel info:
; codeLenInByte = 620
; TotalNumSgprs: 19
; NumVgprs: 21
; ScratchSize: 0
; MemoryBound: 0
; FloatMode: 240
; IeeeMode: 1
; LDSByteSize: 2048 bytes/workgroup (compile time only)
; SGPRBlocks: 2
; VGPRBlocks: 5
; NumSGPRsForWavesPerEU: 19
; NumVGPRsForWavesPerEU: 21
; Occupancy: 10
; WaveLimiterHint : 1
; COMPUTE_PGM_RSRC2:SCRATCH_EN: 0
; COMPUTE_PGM_RSRC2:USER_SGPR: 6
; COMPUTE_PGM_RSRC2:TRAP_HANDLER: 0
; COMPUTE_PGM_RSRC2:TGID_X_EN: 1
; COMPUTE_PGM_RSRC2:TGID_Y_EN: 1
; COMPUTE_PGM_RSRC2:TGID_Z_EN: 1
; COMPUTE_PGM_RSRC2:TIDIG_COMP_CNT: 1
	.section	.text._ZL41rocblas_syrkx_herkx_small_restrict_kernelIifLi16ELb1ELb0ELc78ELc76EKPKfKPfEviT_T0_PT6_S5_lS8_S5_lS6_PT7_S5_li,"axG",@progbits,_ZL41rocblas_syrkx_herkx_small_restrict_kernelIifLi16ELb1ELb0ELc78ELc76EKPKfKPfEviT_T0_PT6_S5_lS8_S5_lS6_PT7_S5_li,comdat
	.globl	_ZL41rocblas_syrkx_herkx_small_restrict_kernelIifLi16ELb1ELb0ELc78ELc76EKPKfKPfEviT_T0_PT6_S5_lS8_S5_lS6_PT7_S5_li ; -- Begin function _ZL41rocblas_syrkx_herkx_small_restrict_kernelIifLi16ELb1ELb0ELc78ELc76EKPKfKPfEviT_T0_PT6_S5_lS8_S5_lS6_PT7_S5_li
	.p2align	8
	.type	_ZL41rocblas_syrkx_herkx_small_restrict_kernelIifLi16ELb1ELb0ELc78ELc76EKPKfKPfEviT_T0_PT6_S5_lS8_S5_lS6_PT7_S5_li,@function
_ZL41rocblas_syrkx_herkx_small_restrict_kernelIifLi16ELb1ELb0ELc78ELc76EKPKfKPfEviT_T0_PT6_S5_lS8_S5_lS6_PT7_S5_li: ; @_ZL41rocblas_syrkx_herkx_small_restrict_kernelIifLi16ELb1ELb0ELc78ELc76EKPKfKPfEviT_T0_PT6_S5_lS8_S5_lS6_PT7_S5_li
; %bb.0:
	s_load_dwordx2 s[2:3], s[4:5], 0x48
	s_load_dwordx2 s[0:1], s[4:5], 0x4
	s_mov_b32 s9, 0
	s_lshl_b64 s[10:11], s[8:9], 3
	v_lshl_add_u32 v2, s6, 4, v0
	s_waitcnt lgkmcnt(0)
	s_add_u32 s2, s2, s10
	s_addc_u32 s3, s3, s11
	s_load_dwordx2 s[2:3], s[2:3], 0x0
	v_lshl_add_u32 v4, s7, 4, v1
	s_cmp_lt_i32 s0, 1
	v_ashrrev_i32_e32 v3, 31, v2
	s_cbranch_scc1 .LBB502_6
; %bb.1:
	s_load_dword s12, s[4:5], 0x18
	s_load_dword s6, s[4:5], 0x30
	s_load_dwordx2 s[14:15], s[4:5], 0x28
	s_load_dwordx2 s[16:17], s[4:5], 0x10
	v_lshlrev_b32_e32 v6, 6, v1
	s_waitcnt lgkmcnt(0)
	s_ashr_i32 s13, s12, 31
	s_ashr_i32 s7, s6, 31
	s_add_u32 s14, s14, s10
	s_addc_u32 s15, s15, s11
	s_add_u32 s10, s16, s10
	s_addc_u32 s11, s17, s11
	v_mad_i64_i32 v[11:12], s[16:17], s6, v0, 0
	v_lshlrev_b32_e32 v7, 2, v0
	v_ashrrev_i32_e32 v5, 31, v4
	v_add_u32_e32 v8, v7, v6
	v_add_u32_e32 v9, 0x400, v6
	v_lshlrev_b64 v[11:12], 2, v[11:12]
	v_lshlrev_b64 v[5:6], 2, v[4:5]
	s_load_dwordx2 s[14:15], s[14:15], 0x0
	v_add_co_u32_e32 v0, vcc, v11, v5
	v_addc_co_u32_e32 v11, vcc, v12, v6, vcc
	v_mad_i64_i32 v[5:6], s[16:17], s12, v1, 0
	s_load_dwordx2 s[10:11], s[10:11], 0x0
	s_waitcnt lgkmcnt(0)
	v_mov_b32_e32 v12, s15
	v_add_co_u32_e32 v0, vcc, s14, v0
	v_addc_co_u32_e32 v1, vcc, v12, v11, vcc
	v_lshlrev_b64 v[5:6], 2, v[5:6]
	v_lshlrev_b64 v[11:12], 2, v[2:3]
	s_lshl_b64 s[6:7], s[6:7], 6
	v_add_co_u32_e32 v5, vcc, v5, v11
	v_addc_co_u32_e32 v6, vcc, v6, v12, vcc
	v_mov_b32_e32 v11, s11
	v_add_co_u32_e32 v5, vcc, s10, v5
	v_add_u32_e32 v10, v9, v7
	v_addc_co_u32_e32 v6, vcc, v11, v6, vcc
	s_lshl_b64 s[10:11], s[12:13], 6
	v_mov_b32_e32 v11, 0
	v_mov_b32_e32 v12, s7
.LBB502_2:                              ; =>This Inner Loop Header: Depth=1
	flat_load_dword v13, v[5:6]
	v_mov_b32_e32 v14, s11
	v_add_co_u32_e32 v5, vcc, s10, v5
	v_addc_co_u32_e32 v6, vcc, v6, v14, vcc
	s_add_i32 s9, s9, 16
	s_cmp_lt_i32 s9, s0
	s_waitcnt vmcnt(0) lgkmcnt(0)
	ds_write_b32 v8, v13
	flat_load_dword v13, v[0:1]
	v_add_co_u32_e32 v0, vcc, s6, v0
	v_addc_co_u32_e32 v1, vcc, v1, v12, vcc
	s_waitcnt vmcnt(0) lgkmcnt(0)
	ds_write_b32 v10, v13
	s_waitcnt lgkmcnt(0)
	s_barrier
	ds_read2_b32 v[21:22], v7 offset1:16
	ds_read_b128 v[13:16], v9
	ds_read_b128 v[17:20], v9 offset:16
	s_waitcnt lgkmcnt(1)
	v_fmac_f32_e32 v11, v21, v13
	v_fmac_f32_e32 v11, v22, v14
	ds_read2_b32 v[13:14], v7 offset0:32 offset1:48
	s_waitcnt lgkmcnt(0)
	v_fmac_f32_e32 v11, v13, v15
	v_fmac_f32_e32 v11, v14, v16
	ds_read2_b32 v[13:14], v7 offset0:64 offset1:80
	ds_read2_b32 v[15:16], v7 offset0:96 offset1:112
	;; [unrolled: 1-line block ×3, first 2 shown]
	s_waitcnt lgkmcnt(2)
	v_fmac_f32_e32 v11, v13, v17
	v_fmac_f32_e32 v11, v14, v18
	s_waitcnt lgkmcnt(1)
	v_fmac_f32_e32 v11, v15, v19
	v_fmac_f32_e32 v11, v16, v20
	ds_read_b128 v[13:16], v9 offset:32
	ds_read_b128 v[17:20], v9 offset:48
	s_waitcnt lgkmcnt(1)
	v_fmac_f32_e32 v11, v21, v13
	v_fmac_f32_e32 v11, v22, v14
	ds_read2_b32 v[13:14], v7 offset0:160 offset1:176
	s_waitcnt lgkmcnt(0)
	v_fmac_f32_e32 v11, v13, v15
	v_fmac_f32_e32 v11, v14, v16
	ds_read2_b32 v[13:14], v7 offset0:192 offset1:208
	ds_read2_b32 v[15:16], v7 offset0:224 offset1:240
	s_waitcnt lgkmcnt(0)
	s_barrier
	v_fmac_f32_e32 v11, v13, v17
	v_fmac_f32_e32 v11, v14, v18
	;; [unrolled: 1-line block ×4, first 2 shown]
	s_cbranch_scc1 .LBB502_2
; %bb.3:
	v_cmp_le_i32_e32 vcc, v4, v2
	s_and_saveexec_b64 s[6:7], vcc
	s_cbranch_execz .LBB502_5
.LBB502_4:
	s_load_dword s0, s[4:5], 0x50
	s_waitcnt lgkmcnt(0)
	v_mov_b32_e32 v5, s3
	v_lshlrev_b64 v[2:3], 2, v[2:3]
	v_mad_i64_i32 v[0:1], s[4:5], s0, v4, 0
	v_mul_f32_e32 v4, s1, v11
	v_lshlrev_b64 v[0:1], 2, v[0:1]
	v_add_co_u32_e32 v0, vcc, s2, v0
	v_addc_co_u32_e32 v1, vcc, v5, v1, vcc
	v_add_co_u32_e32 v0, vcc, v0, v2
	v_addc_co_u32_e32 v1, vcc, v1, v3, vcc
	flat_store_dword v[0:1], v4
.LBB502_5:
	s_endpgm
.LBB502_6:
	v_mov_b32_e32 v11, 0
	v_cmp_le_i32_e32 vcc, v4, v2
	s_and_saveexec_b64 s[6:7], vcc
	s_cbranch_execnz .LBB502_4
	s_branch .LBB502_5
	.section	.rodata,"a",@progbits
	.p2align	6, 0x0
	.amdhsa_kernel _ZL41rocblas_syrkx_herkx_small_restrict_kernelIifLi16ELb1ELb0ELc78ELc76EKPKfKPfEviT_T0_PT6_S5_lS8_S5_lS6_PT7_S5_li
		.amdhsa_group_segment_fixed_size 2048
		.amdhsa_private_segment_fixed_size 0
		.amdhsa_kernarg_size 100
		.amdhsa_user_sgpr_count 6
		.amdhsa_user_sgpr_private_segment_buffer 1
		.amdhsa_user_sgpr_dispatch_ptr 0
		.amdhsa_user_sgpr_queue_ptr 0
		.amdhsa_user_sgpr_kernarg_segment_ptr 1
		.amdhsa_user_sgpr_dispatch_id 0
		.amdhsa_user_sgpr_flat_scratch_init 0
		.amdhsa_user_sgpr_private_segment_size 0
		.amdhsa_uses_dynamic_stack 0
		.amdhsa_system_sgpr_private_segment_wavefront_offset 0
		.amdhsa_system_sgpr_workgroup_id_x 1
		.amdhsa_system_sgpr_workgroup_id_y 1
		.amdhsa_system_sgpr_workgroup_id_z 1
		.amdhsa_system_sgpr_workgroup_info 0
		.amdhsa_system_vgpr_workitem_id 1
		.amdhsa_next_free_vgpr 23
		.amdhsa_next_free_sgpr 18
		.amdhsa_reserve_vcc 1
		.amdhsa_reserve_flat_scratch 0
		.amdhsa_float_round_mode_32 0
		.amdhsa_float_round_mode_16_64 0
		.amdhsa_float_denorm_mode_32 3
		.amdhsa_float_denorm_mode_16_64 3
		.amdhsa_dx10_clamp 1
		.amdhsa_ieee_mode 1
		.amdhsa_fp16_overflow 0
		.amdhsa_exception_fp_ieee_invalid_op 0
		.amdhsa_exception_fp_denorm_src 0
		.amdhsa_exception_fp_ieee_div_zero 0
		.amdhsa_exception_fp_ieee_overflow 0
		.amdhsa_exception_fp_ieee_underflow 0
		.amdhsa_exception_fp_ieee_inexact 0
		.amdhsa_exception_int_div_zero 0
	.end_amdhsa_kernel
	.section	.text._ZL41rocblas_syrkx_herkx_small_restrict_kernelIifLi16ELb1ELb0ELc78ELc76EKPKfKPfEviT_T0_PT6_S5_lS8_S5_lS6_PT7_S5_li,"axG",@progbits,_ZL41rocblas_syrkx_herkx_small_restrict_kernelIifLi16ELb1ELb0ELc78ELc76EKPKfKPfEviT_T0_PT6_S5_lS8_S5_lS6_PT7_S5_li,comdat
.Lfunc_end502:
	.size	_ZL41rocblas_syrkx_herkx_small_restrict_kernelIifLi16ELb1ELb0ELc78ELc76EKPKfKPfEviT_T0_PT6_S5_lS8_S5_lS6_PT7_S5_li, .Lfunc_end502-_ZL41rocblas_syrkx_herkx_small_restrict_kernelIifLi16ELb1ELb0ELc78ELc76EKPKfKPfEviT_T0_PT6_S5_lS8_S5_lS6_PT7_S5_li
                                        ; -- End function
	.set _ZL41rocblas_syrkx_herkx_small_restrict_kernelIifLi16ELb1ELb0ELc78ELc76EKPKfKPfEviT_T0_PT6_S5_lS8_S5_lS6_PT7_S5_li.num_vgpr, 23
	.set _ZL41rocblas_syrkx_herkx_small_restrict_kernelIifLi16ELb1ELb0ELc78ELc76EKPKfKPfEviT_T0_PT6_S5_lS8_S5_lS6_PT7_S5_li.num_agpr, 0
	.set _ZL41rocblas_syrkx_herkx_small_restrict_kernelIifLi16ELb1ELb0ELc78ELc76EKPKfKPfEviT_T0_PT6_S5_lS8_S5_lS6_PT7_S5_li.numbered_sgpr, 18
	.set _ZL41rocblas_syrkx_herkx_small_restrict_kernelIifLi16ELb1ELb0ELc78ELc76EKPKfKPfEviT_T0_PT6_S5_lS8_S5_lS6_PT7_S5_li.num_named_barrier, 0
	.set _ZL41rocblas_syrkx_herkx_small_restrict_kernelIifLi16ELb1ELb0ELc78ELc76EKPKfKPfEviT_T0_PT6_S5_lS8_S5_lS6_PT7_S5_li.private_seg_size, 0
	.set _ZL41rocblas_syrkx_herkx_small_restrict_kernelIifLi16ELb1ELb0ELc78ELc76EKPKfKPfEviT_T0_PT6_S5_lS8_S5_lS6_PT7_S5_li.uses_vcc, 1
	.set _ZL41rocblas_syrkx_herkx_small_restrict_kernelIifLi16ELb1ELb0ELc78ELc76EKPKfKPfEviT_T0_PT6_S5_lS8_S5_lS6_PT7_S5_li.uses_flat_scratch, 0
	.set _ZL41rocblas_syrkx_herkx_small_restrict_kernelIifLi16ELb1ELb0ELc78ELc76EKPKfKPfEviT_T0_PT6_S5_lS8_S5_lS6_PT7_S5_li.has_dyn_sized_stack, 0
	.set _ZL41rocblas_syrkx_herkx_small_restrict_kernelIifLi16ELb1ELb0ELc78ELc76EKPKfKPfEviT_T0_PT6_S5_lS8_S5_lS6_PT7_S5_li.has_recursion, 0
	.set _ZL41rocblas_syrkx_herkx_small_restrict_kernelIifLi16ELb1ELb0ELc78ELc76EKPKfKPfEviT_T0_PT6_S5_lS8_S5_lS6_PT7_S5_li.has_indirect_call, 0
	.section	.AMDGPU.csdata,"",@progbits
; Kernel info:
; codeLenInByte = 660
; TotalNumSgprs: 22
; NumVgprs: 23
; ScratchSize: 0
; MemoryBound: 0
; FloatMode: 240
; IeeeMode: 1
; LDSByteSize: 2048 bytes/workgroup (compile time only)
; SGPRBlocks: 2
; VGPRBlocks: 5
; NumSGPRsForWavesPerEU: 22
; NumVGPRsForWavesPerEU: 23
; Occupancy: 10
; WaveLimiterHint : 1
; COMPUTE_PGM_RSRC2:SCRATCH_EN: 0
; COMPUTE_PGM_RSRC2:USER_SGPR: 6
; COMPUTE_PGM_RSRC2:TRAP_HANDLER: 0
; COMPUTE_PGM_RSRC2:TGID_X_EN: 1
; COMPUTE_PGM_RSRC2:TGID_Y_EN: 1
; COMPUTE_PGM_RSRC2:TGID_Z_EN: 1
; COMPUTE_PGM_RSRC2:TIDIG_COMP_CNT: 1
	.section	.text._ZL41rocblas_syrkx_herkx_small_restrict_kernelIifLi16ELb1ELb0ELc84ELc85EKPKfKPfEviT_T0_PT6_S5_lS8_S5_lS6_PT7_S5_li,"axG",@progbits,_ZL41rocblas_syrkx_herkx_small_restrict_kernelIifLi16ELb1ELb0ELc84ELc85EKPKfKPfEviT_T0_PT6_S5_lS8_S5_lS6_PT7_S5_li,comdat
	.globl	_ZL41rocblas_syrkx_herkx_small_restrict_kernelIifLi16ELb1ELb0ELc84ELc85EKPKfKPfEviT_T0_PT6_S5_lS8_S5_lS6_PT7_S5_li ; -- Begin function _ZL41rocblas_syrkx_herkx_small_restrict_kernelIifLi16ELb1ELb0ELc84ELc85EKPKfKPfEviT_T0_PT6_S5_lS8_S5_lS6_PT7_S5_li
	.p2align	8
	.type	_ZL41rocblas_syrkx_herkx_small_restrict_kernelIifLi16ELb1ELb0ELc84ELc85EKPKfKPfEviT_T0_PT6_S5_lS8_S5_lS6_PT7_S5_li,@function
_ZL41rocblas_syrkx_herkx_small_restrict_kernelIifLi16ELb1ELb0ELc84ELc85EKPKfKPfEviT_T0_PT6_S5_lS8_S5_lS6_PT7_S5_li: ; @_ZL41rocblas_syrkx_herkx_small_restrict_kernelIifLi16ELb1ELb0ELc84ELc85EKPKfKPfEviT_T0_PT6_S5_lS8_S5_lS6_PT7_S5_li
; %bb.0:
	s_load_dwordx2 s[0:1], s[4:5], 0x48
	s_load_dwordx2 s[2:3], s[4:5], 0x4
	s_mov_b32 s9, 0
	s_lshl_b64 s[10:11], s[8:9], 3
	v_lshl_add_u32 v2, s6, 4, v0
	s_waitcnt lgkmcnt(0)
	s_add_u32 s0, s0, s10
	s_addc_u32 s1, s1, s11
	s_load_dwordx2 s[0:1], s[0:1], 0x0
	s_cmp_lt_i32 s2, 1
	v_lshl_add_u32 v5, s7, 4, v1
	s_cbranch_scc1 .LBB503_6
; %bb.1:
	s_load_dwordx2 s[6:7], s[4:5], 0x28
	s_load_dwordx2 s[12:13], s[4:5], 0x10
	s_load_dword s8, s[4:5], 0x18
	s_load_dword s14, s[4:5], 0x30
	v_lshlrev_b32_e32 v7, 2, v0
	s_waitcnt lgkmcnt(0)
	s_add_u32 s6, s6, s10
	s_addc_u32 s7, s7, s11
	s_add_u32 s10, s12, s10
	s_addc_u32 s11, s13, s11
	v_mad_i64_i32 v[3:4], s[12:13], s14, v5, 0
	s_load_dwordx2 s[6:7], s[6:7], 0x0
	v_mad_i64_i32 v[11:12], s[12:13], s8, v2, 0
	v_lshlrev_b64 v[3:4], 2, v[3:4]
	s_load_dwordx2 s[10:11], s[10:11], 0x0
	v_add_co_u32_e32 v0, vcc, v3, v7
	v_addc_co_u32_e32 v4, vcc, 0, v4, vcc
	s_waitcnt lgkmcnt(0)
	v_mov_b32_e32 v13, s7
	v_add_co_u32_e32 v3, vcc, s6, v0
	v_lshlrev_b64 v[11:12], 2, v[11:12]
	v_addc_co_u32_e32 v4, vcc, v13, v4, vcc
	v_lshlrev_b32_e32 v0, 2, v1
	v_add_co_u32_e32 v0, vcc, v11, v0
	v_lshlrev_b32_e32 v6, 6, v1
	v_addc_co_u32_e32 v1, vcc, 0, v12, vcc
	v_add_u32_e32 v9, 0x400, v6
	v_mov_b32_e32 v11, s11
	v_add_co_u32_e32 v0, vcc, s10, v0
	v_add_u32_e32 v8, v7, v6
	v_add_u32_e32 v10, v9, v7
	v_mov_b32_e32 v6, 0
	v_addc_co_u32_e32 v1, vcc, v11, v1, vcc
.LBB503_2:                              ; =>This Inner Loop Header: Depth=1
	flat_load_dword v11, v[0:1]
	v_add_co_u32_e32 v0, vcc, 64, v0
	v_addc_co_u32_e32 v1, vcc, 0, v1, vcc
	s_add_i32 s9, s9, 16
	s_cmp_lt_i32 s9, s2
	s_waitcnt vmcnt(0) lgkmcnt(0)
	ds_write_b32 v8, v11
	flat_load_dword v11, v[3:4]
	v_add_co_u32_e32 v3, vcc, 64, v3
	v_addc_co_u32_e32 v4, vcc, 0, v4, vcc
	s_waitcnt vmcnt(0) lgkmcnt(0)
	ds_write_b32 v10, v11
	s_waitcnt lgkmcnt(0)
	s_barrier
	ds_read2_b32 v[19:20], v7 offset1:16
	ds_read_b128 v[11:14], v9
	ds_read_b128 v[15:18], v9 offset:16
	s_waitcnt lgkmcnt(1)
	v_fmac_f32_e32 v6, v19, v11
	v_fmac_f32_e32 v6, v20, v12
	ds_read2_b32 v[11:12], v7 offset0:32 offset1:48
	s_waitcnt lgkmcnt(0)
	v_fmac_f32_e32 v6, v11, v13
	v_fmac_f32_e32 v6, v12, v14
	ds_read2_b32 v[11:12], v7 offset0:64 offset1:80
	ds_read2_b32 v[13:14], v7 offset0:96 offset1:112
	;; [unrolled: 1-line block ×3, first 2 shown]
	s_waitcnt lgkmcnt(2)
	v_fmac_f32_e32 v6, v11, v15
	v_fmac_f32_e32 v6, v12, v16
	s_waitcnt lgkmcnt(1)
	v_fmac_f32_e32 v6, v13, v17
	v_fmac_f32_e32 v6, v14, v18
	ds_read_b128 v[11:14], v9 offset:32
	ds_read_b128 v[15:18], v9 offset:48
	s_waitcnt lgkmcnt(1)
	v_fmac_f32_e32 v6, v19, v11
	v_fmac_f32_e32 v6, v20, v12
	ds_read2_b32 v[11:12], v7 offset0:160 offset1:176
	s_waitcnt lgkmcnt(0)
	v_fmac_f32_e32 v6, v11, v13
	v_fmac_f32_e32 v6, v12, v14
	ds_read2_b32 v[11:12], v7 offset0:192 offset1:208
	ds_read2_b32 v[13:14], v7 offset0:224 offset1:240
	s_waitcnt lgkmcnt(0)
	s_barrier
	v_fmac_f32_e32 v6, v11, v15
	v_fmac_f32_e32 v6, v12, v16
	;; [unrolled: 1-line block ×4, first 2 shown]
	s_cbranch_scc1 .LBB503_2
; %bb.3:
	v_cmp_le_i32_e32 vcc, v2, v5
	s_and_saveexec_b64 s[6:7], vcc
	s_cbranch_execz .LBB503_5
.LBB503_4:
	s_load_dword s2, s[4:5], 0x50
	v_mul_f32_e32 v4, s3, v6
	v_ashrrev_i32_e32 v3, 31, v2
	v_lshlrev_b64 v[2:3], 2, v[2:3]
	s_waitcnt lgkmcnt(0)
	v_mad_i64_i32 v[0:1], s[2:3], s2, v5, 0
	v_mov_b32_e32 v5, s1
	v_lshlrev_b64 v[0:1], 2, v[0:1]
	v_add_co_u32_e32 v0, vcc, s0, v0
	v_addc_co_u32_e32 v1, vcc, v5, v1, vcc
	v_add_co_u32_e32 v0, vcc, v0, v2
	v_addc_co_u32_e32 v1, vcc, v1, v3, vcc
	flat_store_dword v[0:1], v4
.LBB503_5:
	s_endpgm
.LBB503_6:
	v_mov_b32_e32 v6, 0
	v_cmp_le_i32_e32 vcc, v2, v5
	s_and_saveexec_b64 s[6:7], vcc
	s_cbranch_execnz .LBB503_4
	s_branch .LBB503_5
	.section	.rodata,"a",@progbits
	.p2align	6, 0x0
	.amdhsa_kernel _ZL41rocblas_syrkx_herkx_small_restrict_kernelIifLi16ELb1ELb0ELc84ELc85EKPKfKPfEviT_T0_PT6_S5_lS8_S5_lS6_PT7_S5_li
		.amdhsa_group_segment_fixed_size 2048
		.amdhsa_private_segment_fixed_size 0
		.amdhsa_kernarg_size 100
		.amdhsa_user_sgpr_count 6
		.amdhsa_user_sgpr_private_segment_buffer 1
		.amdhsa_user_sgpr_dispatch_ptr 0
		.amdhsa_user_sgpr_queue_ptr 0
		.amdhsa_user_sgpr_kernarg_segment_ptr 1
		.amdhsa_user_sgpr_dispatch_id 0
		.amdhsa_user_sgpr_flat_scratch_init 0
		.amdhsa_user_sgpr_private_segment_size 0
		.amdhsa_uses_dynamic_stack 0
		.amdhsa_system_sgpr_private_segment_wavefront_offset 0
		.amdhsa_system_sgpr_workgroup_id_x 1
		.amdhsa_system_sgpr_workgroup_id_y 1
		.amdhsa_system_sgpr_workgroup_id_z 1
		.amdhsa_system_sgpr_workgroup_info 0
		.amdhsa_system_vgpr_workitem_id 1
		.amdhsa_next_free_vgpr 21
		.amdhsa_next_free_sgpr 15
		.amdhsa_reserve_vcc 1
		.amdhsa_reserve_flat_scratch 0
		.amdhsa_float_round_mode_32 0
		.amdhsa_float_round_mode_16_64 0
		.amdhsa_float_denorm_mode_32 3
		.amdhsa_float_denorm_mode_16_64 3
		.amdhsa_dx10_clamp 1
		.amdhsa_ieee_mode 1
		.amdhsa_fp16_overflow 0
		.amdhsa_exception_fp_ieee_invalid_op 0
		.amdhsa_exception_fp_denorm_src 0
		.amdhsa_exception_fp_ieee_div_zero 0
		.amdhsa_exception_fp_ieee_overflow 0
		.amdhsa_exception_fp_ieee_underflow 0
		.amdhsa_exception_fp_ieee_inexact 0
		.amdhsa_exception_int_div_zero 0
	.end_amdhsa_kernel
	.section	.text._ZL41rocblas_syrkx_herkx_small_restrict_kernelIifLi16ELb1ELb0ELc84ELc85EKPKfKPfEviT_T0_PT6_S5_lS8_S5_lS6_PT7_S5_li,"axG",@progbits,_ZL41rocblas_syrkx_herkx_small_restrict_kernelIifLi16ELb1ELb0ELc84ELc85EKPKfKPfEviT_T0_PT6_S5_lS8_S5_lS6_PT7_S5_li,comdat
.Lfunc_end503:
	.size	_ZL41rocblas_syrkx_herkx_small_restrict_kernelIifLi16ELb1ELb0ELc84ELc85EKPKfKPfEviT_T0_PT6_S5_lS8_S5_lS6_PT7_S5_li, .Lfunc_end503-_ZL41rocblas_syrkx_herkx_small_restrict_kernelIifLi16ELb1ELb0ELc84ELc85EKPKfKPfEviT_T0_PT6_S5_lS8_S5_lS6_PT7_S5_li
                                        ; -- End function
	.set _ZL41rocblas_syrkx_herkx_small_restrict_kernelIifLi16ELb1ELb0ELc84ELc85EKPKfKPfEviT_T0_PT6_S5_lS8_S5_lS6_PT7_S5_li.num_vgpr, 21
	.set _ZL41rocblas_syrkx_herkx_small_restrict_kernelIifLi16ELb1ELb0ELc84ELc85EKPKfKPfEviT_T0_PT6_S5_lS8_S5_lS6_PT7_S5_li.num_agpr, 0
	.set _ZL41rocblas_syrkx_herkx_small_restrict_kernelIifLi16ELb1ELb0ELc84ELc85EKPKfKPfEviT_T0_PT6_S5_lS8_S5_lS6_PT7_S5_li.numbered_sgpr, 15
	.set _ZL41rocblas_syrkx_herkx_small_restrict_kernelIifLi16ELb1ELb0ELc84ELc85EKPKfKPfEviT_T0_PT6_S5_lS8_S5_lS6_PT7_S5_li.num_named_barrier, 0
	.set _ZL41rocblas_syrkx_herkx_small_restrict_kernelIifLi16ELb1ELb0ELc84ELc85EKPKfKPfEviT_T0_PT6_S5_lS8_S5_lS6_PT7_S5_li.private_seg_size, 0
	.set _ZL41rocblas_syrkx_herkx_small_restrict_kernelIifLi16ELb1ELb0ELc84ELc85EKPKfKPfEviT_T0_PT6_S5_lS8_S5_lS6_PT7_S5_li.uses_vcc, 1
	.set _ZL41rocblas_syrkx_herkx_small_restrict_kernelIifLi16ELb1ELb0ELc84ELc85EKPKfKPfEviT_T0_PT6_S5_lS8_S5_lS6_PT7_S5_li.uses_flat_scratch, 0
	.set _ZL41rocblas_syrkx_herkx_small_restrict_kernelIifLi16ELb1ELb0ELc84ELc85EKPKfKPfEviT_T0_PT6_S5_lS8_S5_lS6_PT7_S5_li.has_dyn_sized_stack, 0
	.set _ZL41rocblas_syrkx_herkx_small_restrict_kernelIifLi16ELb1ELb0ELc84ELc85EKPKfKPfEviT_T0_PT6_S5_lS8_S5_lS6_PT7_S5_li.has_recursion, 0
	.set _ZL41rocblas_syrkx_herkx_small_restrict_kernelIifLi16ELb1ELb0ELc84ELc85EKPKfKPfEviT_T0_PT6_S5_lS8_S5_lS6_PT7_S5_li.has_indirect_call, 0
	.section	.AMDGPU.csdata,"",@progbits
; Kernel info:
; codeLenInByte = 620
; TotalNumSgprs: 19
; NumVgprs: 21
; ScratchSize: 0
; MemoryBound: 0
; FloatMode: 240
; IeeeMode: 1
; LDSByteSize: 2048 bytes/workgroup (compile time only)
; SGPRBlocks: 2
; VGPRBlocks: 5
; NumSGPRsForWavesPerEU: 19
; NumVGPRsForWavesPerEU: 21
; Occupancy: 10
; WaveLimiterHint : 1
; COMPUTE_PGM_RSRC2:SCRATCH_EN: 0
; COMPUTE_PGM_RSRC2:USER_SGPR: 6
; COMPUTE_PGM_RSRC2:TRAP_HANDLER: 0
; COMPUTE_PGM_RSRC2:TGID_X_EN: 1
; COMPUTE_PGM_RSRC2:TGID_Y_EN: 1
; COMPUTE_PGM_RSRC2:TGID_Z_EN: 1
; COMPUTE_PGM_RSRC2:TIDIG_COMP_CNT: 1
	.section	.text._ZL41rocblas_syrkx_herkx_small_restrict_kernelIifLi16ELb1ELb0ELc67ELc85EKPKfKPfEviT_T0_PT6_S5_lS8_S5_lS6_PT7_S5_li,"axG",@progbits,_ZL41rocblas_syrkx_herkx_small_restrict_kernelIifLi16ELb1ELb0ELc67ELc85EKPKfKPfEviT_T0_PT6_S5_lS8_S5_lS6_PT7_S5_li,comdat
	.globl	_ZL41rocblas_syrkx_herkx_small_restrict_kernelIifLi16ELb1ELb0ELc67ELc85EKPKfKPfEviT_T0_PT6_S5_lS8_S5_lS6_PT7_S5_li ; -- Begin function _ZL41rocblas_syrkx_herkx_small_restrict_kernelIifLi16ELb1ELb0ELc67ELc85EKPKfKPfEviT_T0_PT6_S5_lS8_S5_lS6_PT7_S5_li
	.p2align	8
	.type	_ZL41rocblas_syrkx_herkx_small_restrict_kernelIifLi16ELb1ELb0ELc67ELc85EKPKfKPfEviT_T0_PT6_S5_lS8_S5_lS6_PT7_S5_li,@function
_ZL41rocblas_syrkx_herkx_small_restrict_kernelIifLi16ELb1ELb0ELc67ELc85EKPKfKPfEviT_T0_PT6_S5_lS8_S5_lS6_PT7_S5_li: ; @_ZL41rocblas_syrkx_herkx_small_restrict_kernelIifLi16ELb1ELb0ELc67ELc85EKPKfKPfEviT_T0_PT6_S5_lS8_S5_lS6_PT7_S5_li
; %bb.0:
	s_load_dwordx2 s[0:1], s[4:5], 0x48
	s_load_dwordx2 s[2:3], s[4:5], 0x4
	s_mov_b32 s9, 0
	s_lshl_b64 s[10:11], s[8:9], 3
	v_lshl_add_u32 v2, s6, 4, v0
	s_waitcnt lgkmcnt(0)
	s_add_u32 s0, s0, s10
	s_addc_u32 s1, s1, s11
	s_load_dwordx2 s[0:1], s[0:1], 0x0
	s_cmp_lt_i32 s2, 1
	v_lshl_add_u32 v5, s7, 4, v1
	s_cbranch_scc1 .LBB504_6
; %bb.1:
	s_load_dwordx2 s[6:7], s[4:5], 0x28
	s_load_dwordx2 s[12:13], s[4:5], 0x10
	s_load_dword s8, s[4:5], 0x18
	s_load_dword s14, s[4:5], 0x30
	v_lshlrev_b32_e32 v7, 2, v0
	s_waitcnt lgkmcnt(0)
	s_add_u32 s6, s6, s10
	s_addc_u32 s7, s7, s11
	s_add_u32 s10, s12, s10
	s_addc_u32 s11, s13, s11
	v_mad_i64_i32 v[3:4], s[12:13], s14, v5, 0
	s_load_dwordx2 s[6:7], s[6:7], 0x0
	v_mad_i64_i32 v[11:12], s[12:13], s8, v2, 0
	v_lshlrev_b64 v[3:4], 2, v[3:4]
	s_load_dwordx2 s[10:11], s[10:11], 0x0
	v_add_co_u32_e32 v0, vcc, v3, v7
	v_addc_co_u32_e32 v4, vcc, 0, v4, vcc
	s_waitcnt lgkmcnt(0)
	v_mov_b32_e32 v13, s7
	v_add_co_u32_e32 v3, vcc, s6, v0
	v_lshlrev_b64 v[11:12], 2, v[11:12]
	v_addc_co_u32_e32 v4, vcc, v13, v4, vcc
	v_lshlrev_b32_e32 v0, 2, v1
	v_add_co_u32_e32 v0, vcc, v11, v0
	v_lshlrev_b32_e32 v6, 6, v1
	v_addc_co_u32_e32 v1, vcc, 0, v12, vcc
	v_add_u32_e32 v9, 0x400, v6
	v_mov_b32_e32 v11, s11
	v_add_co_u32_e32 v0, vcc, s10, v0
	v_add_u32_e32 v8, v7, v6
	v_add_u32_e32 v10, v9, v7
	v_mov_b32_e32 v6, 0
	v_addc_co_u32_e32 v1, vcc, v11, v1, vcc
.LBB504_2:                              ; =>This Inner Loop Header: Depth=1
	flat_load_dword v11, v[0:1]
	v_add_co_u32_e32 v0, vcc, 64, v0
	v_addc_co_u32_e32 v1, vcc, 0, v1, vcc
	s_add_i32 s9, s9, 16
	s_cmp_lt_i32 s9, s2
	s_waitcnt vmcnt(0) lgkmcnt(0)
	ds_write_b32 v8, v11
	flat_load_dword v11, v[3:4]
	v_add_co_u32_e32 v3, vcc, 64, v3
	v_addc_co_u32_e32 v4, vcc, 0, v4, vcc
	s_waitcnt vmcnt(0) lgkmcnt(0)
	ds_write_b32 v10, v11
	s_waitcnt lgkmcnt(0)
	s_barrier
	ds_read2_b32 v[19:20], v7 offset1:16
	ds_read_b128 v[11:14], v9
	ds_read_b128 v[15:18], v9 offset:16
	s_waitcnt lgkmcnt(1)
	v_fmac_f32_e32 v6, v19, v11
	v_fmac_f32_e32 v6, v20, v12
	ds_read2_b32 v[11:12], v7 offset0:32 offset1:48
	s_waitcnt lgkmcnt(0)
	v_fmac_f32_e32 v6, v11, v13
	v_fmac_f32_e32 v6, v12, v14
	ds_read2_b32 v[11:12], v7 offset0:64 offset1:80
	ds_read2_b32 v[13:14], v7 offset0:96 offset1:112
	;; [unrolled: 1-line block ×3, first 2 shown]
	s_waitcnt lgkmcnt(2)
	v_fmac_f32_e32 v6, v11, v15
	v_fmac_f32_e32 v6, v12, v16
	s_waitcnt lgkmcnt(1)
	v_fmac_f32_e32 v6, v13, v17
	v_fmac_f32_e32 v6, v14, v18
	ds_read_b128 v[11:14], v9 offset:32
	ds_read_b128 v[15:18], v9 offset:48
	s_waitcnt lgkmcnt(1)
	v_fmac_f32_e32 v6, v19, v11
	v_fmac_f32_e32 v6, v20, v12
	ds_read2_b32 v[11:12], v7 offset0:160 offset1:176
	s_waitcnt lgkmcnt(0)
	v_fmac_f32_e32 v6, v11, v13
	v_fmac_f32_e32 v6, v12, v14
	ds_read2_b32 v[11:12], v7 offset0:192 offset1:208
	ds_read2_b32 v[13:14], v7 offset0:224 offset1:240
	s_waitcnt lgkmcnt(0)
	s_barrier
	v_fmac_f32_e32 v6, v11, v15
	v_fmac_f32_e32 v6, v12, v16
	v_fmac_f32_e32 v6, v13, v17
	v_fmac_f32_e32 v6, v14, v18
	s_cbranch_scc1 .LBB504_2
; %bb.3:
	v_cmp_le_i32_e32 vcc, v2, v5
	s_and_saveexec_b64 s[6:7], vcc
	s_cbranch_execz .LBB504_5
.LBB504_4:
	s_load_dword s2, s[4:5], 0x50
	v_mul_f32_e32 v4, s3, v6
	v_ashrrev_i32_e32 v3, 31, v2
	v_lshlrev_b64 v[2:3], 2, v[2:3]
	s_waitcnt lgkmcnt(0)
	v_mad_i64_i32 v[0:1], s[2:3], s2, v5, 0
	v_mov_b32_e32 v5, s1
	v_lshlrev_b64 v[0:1], 2, v[0:1]
	v_add_co_u32_e32 v0, vcc, s0, v0
	v_addc_co_u32_e32 v1, vcc, v5, v1, vcc
	v_add_co_u32_e32 v0, vcc, v0, v2
	v_addc_co_u32_e32 v1, vcc, v1, v3, vcc
	flat_store_dword v[0:1], v4
.LBB504_5:
	s_endpgm
.LBB504_6:
	v_mov_b32_e32 v6, 0
	v_cmp_le_i32_e32 vcc, v2, v5
	s_and_saveexec_b64 s[6:7], vcc
	s_cbranch_execnz .LBB504_4
	s_branch .LBB504_5
	.section	.rodata,"a",@progbits
	.p2align	6, 0x0
	.amdhsa_kernel _ZL41rocblas_syrkx_herkx_small_restrict_kernelIifLi16ELb1ELb0ELc67ELc85EKPKfKPfEviT_T0_PT6_S5_lS8_S5_lS6_PT7_S5_li
		.amdhsa_group_segment_fixed_size 2048
		.amdhsa_private_segment_fixed_size 0
		.amdhsa_kernarg_size 100
		.amdhsa_user_sgpr_count 6
		.amdhsa_user_sgpr_private_segment_buffer 1
		.amdhsa_user_sgpr_dispatch_ptr 0
		.amdhsa_user_sgpr_queue_ptr 0
		.amdhsa_user_sgpr_kernarg_segment_ptr 1
		.amdhsa_user_sgpr_dispatch_id 0
		.amdhsa_user_sgpr_flat_scratch_init 0
		.amdhsa_user_sgpr_private_segment_size 0
		.amdhsa_uses_dynamic_stack 0
		.amdhsa_system_sgpr_private_segment_wavefront_offset 0
		.amdhsa_system_sgpr_workgroup_id_x 1
		.amdhsa_system_sgpr_workgroup_id_y 1
		.amdhsa_system_sgpr_workgroup_id_z 1
		.amdhsa_system_sgpr_workgroup_info 0
		.amdhsa_system_vgpr_workitem_id 1
		.amdhsa_next_free_vgpr 21
		.amdhsa_next_free_sgpr 15
		.amdhsa_reserve_vcc 1
		.amdhsa_reserve_flat_scratch 0
		.amdhsa_float_round_mode_32 0
		.amdhsa_float_round_mode_16_64 0
		.amdhsa_float_denorm_mode_32 3
		.amdhsa_float_denorm_mode_16_64 3
		.amdhsa_dx10_clamp 1
		.amdhsa_ieee_mode 1
		.amdhsa_fp16_overflow 0
		.amdhsa_exception_fp_ieee_invalid_op 0
		.amdhsa_exception_fp_denorm_src 0
		.amdhsa_exception_fp_ieee_div_zero 0
		.amdhsa_exception_fp_ieee_overflow 0
		.amdhsa_exception_fp_ieee_underflow 0
		.amdhsa_exception_fp_ieee_inexact 0
		.amdhsa_exception_int_div_zero 0
	.end_amdhsa_kernel
	.section	.text._ZL41rocblas_syrkx_herkx_small_restrict_kernelIifLi16ELb1ELb0ELc67ELc85EKPKfKPfEviT_T0_PT6_S5_lS8_S5_lS6_PT7_S5_li,"axG",@progbits,_ZL41rocblas_syrkx_herkx_small_restrict_kernelIifLi16ELb1ELb0ELc67ELc85EKPKfKPfEviT_T0_PT6_S5_lS8_S5_lS6_PT7_S5_li,comdat
.Lfunc_end504:
	.size	_ZL41rocblas_syrkx_herkx_small_restrict_kernelIifLi16ELb1ELb0ELc67ELc85EKPKfKPfEviT_T0_PT6_S5_lS8_S5_lS6_PT7_S5_li, .Lfunc_end504-_ZL41rocblas_syrkx_herkx_small_restrict_kernelIifLi16ELb1ELb0ELc67ELc85EKPKfKPfEviT_T0_PT6_S5_lS8_S5_lS6_PT7_S5_li
                                        ; -- End function
	.set _ZL41rocblas_syrkx_herkx_small_restrict_kernelIifLi16ELb1ELb0ELc67ELc85EKPKfKPfEviT_T0_PT6_S5_lS8_S5_lS6_PT7_S5_li.num_vgpr, 21
	.set _ZL41rocblas_syrkx_herkx_small_restrict_kernelIifLi16ELb1ELb0ELc67ELc85EKPKfKPfEviT_T0_PT6_S5_lS8_S5_lS6_PT7_S5_li.num_agpr, 0
	.set _ZL41rocblas_syrkx_herkx_small_restrict_kernelIifLi16ELb1ELb0ELc67ELc85EKPKfKPfEviT_T0_PT6_S5_lS8_S5_lS6_PT7_S5_li.numbered_sgpr, 15
	.set _ZL41rocblas_syrkx_herkx_small_restrict_kernelIifLi16ELb1ELb0ELc67ELc85EKPKfKPfEviT_T0_PT6_S5_lS8_S5_lS6_PT7_S5_li.num_named_barrier, 0
	.set _ZL41rocblas_syrkx_herkx_small_restrict_kernelIifLi16ELb1ELb0ELc67ELc85EKPKfKPfEviT_T0_PT6_S5_lS8_S5_lS6_PT7_S5_li.private_seg_size, 0
	.set _ZL41rocblas_syrkx_herkx_small_restrict_kernelIifLi16ELb1ELb0ELc67ELc85EKPKfKPfEviT_T0_PT6_S5_lS8_S5_lS6_PT7_S5_li.uses_vcc, 1
	.set _ZL41rocblas_syrkx_herkx_small_restrict_kernelIifLi16ELb1ELb0ELc67ELc85EKPKfKPfEviT_T0_PT6_S5_lS8_S5_lS6_PT7_S5_li.uses_flat_scratch, 0
	.set _ZL41rocblas_syrkx_herkx_small_restrict_kernelIifLi16ELb1ELb0ELc67ELc85EKPKfKPfEviT_T0_PT6_S5_lS8_S5_lS6_PT7_S5_li.has_dyn_sized_stack, 0
	.set _ZL41rocblas_syrkx_herkx_small_restrict_kernelIifLi16ELb1ELb0ELc67ELc85EKPKfKPfEviT_T0_PT6_S5_lS8_S5_lS6_PT7_S5_li.has_recursion, 0
	.set _ZL41rocblas_syrkx_herkx_small_restrict_kernelIifLi16ELb1ELb0ELc67ELc85EKPKfKPfEviT_T0_PT6_S5_lS8_S5_lS6_PT7_S5_li.has_indirect_call, 0
	.section	.AMDGPU.csdata,"",@progbits
; Kernel info:
; codeLenInByte = 620
; TotalNumSgprs: 19
; NumVgprs: 21
; ScratchSize: 0
; MemoryBound: 0
; FloatMode: 240
; IeeeMode: 1
; LDSByteSize: 2048 bytes/workgroup (compile time only)
; SGPRBlocks: 2
; VGPRBlocks: 5
; NumSGPRsForWavesPerEU: 19
; NumVGPRsForWavesPerEU: 21
; Occupancy: 10
; WaveLimiterHint : 1
; COMPUTE_PGM_RSRC2:SCRATCH_EN: 0
; COMPUTE_PGM_RSRC2:USER_SGPR: 6
; COMPUTE_PGM_RSRC2:TRAP_HANDLER: 0
; COMPUTE_PGM_RSRC2:TGID_X_EN: 1
; COMPUTE_PGM_RSRC2:TGID_Y_EN: 1
; COMPUTE_PGM_RSRC2:TGID_Z_EN: 1
; COMPUTE_PGM_RSRC2:TIDIG_COMP_CNT: 1
	.section	.text._ZL41rocblas_syrkx_herkx_small_restrict_kernelIifLi16ELb1ELb0ELc78ELc85EKPKfKPfEviT_T0_PT6_S5_lS8_S5_lS6_PT7_S5_li,"axG",@progbits,_ZL41rocblas_syrkx_herkx_small_restrict_kernelIifLi16ELb1ELb0ELc78ELc85EKPKfKPfEviT_T0_PT6_S5_lS8_S5_lS6_PT7_S5_li,comdat
	.globl	_ZL41rocblas_syrkx_herkx_small_restrict_kernelIifLi16ELb1ELb0ELc78ELc85EKPKfKPfEviT_T0_PT6_S5_lS8_S5_lS6_PT7_S5_li ; -- Begin function _ZL41rocblas_syrkx_herkx_small_restrict_kernelIifLi16ELb1ELb0ELc78ELc85EKPKfKPfEviT_T0_PT6_S5_lS8_S5_lS6_PT7_S5_li
	.p2align	8
	.type	_ZL41rocblas_syrkx_herkx_small_restrict_kernelIifLi16ELb1ELb0ELc78ELc85EKPKfKPfEviT_T0_PT6_S5_lS8_S5_lS6_PT7_S5_li,@function
_ZL41rocblas_syrkx_herkx_small_restrict_kernelIifLi16ELb1ELb0ELc78ELc85EKPKfKPfEviT_T0_PT6_S5_lS8_S5_lS6_PT7_S5_li: ; @_ZL41rocblas_syrkx_herkx_small_restrict_kernelIifLi16ELb1ELb0ELc78ELc85EKPKfKPfEviT_T0_PT6_S5_lS8_S5_lS6_PT7_S5_li
; %bb.0:
	s_load_dwordx2 s[2:3], s[4:5], 0x48
	s_load_dwordx2 s[0:1], s[4:5], 0x4
	s_mov_b32 s9, 0
	s_lshl_b64 s[10:11], s[8:9], 3
	v_lshl_add_u32 v2, s6, 4, v0
	s_waitcnt lgkmcnt(0)
	s_add_u32 s2, s2, s10
	s_addc_u32 s3, s3, s11
	s_load_dwordx2 s[2:3], s[2:3], 0x0
	v_lshl_add_u32 v4, s7, 4, v1
	s_cmp_lt_i32 s0, 1
	v_ashrrev_i32_e32 v3, 31, v2
	s_cbranch_scc1 .LBB505_6
; %bb.1:
	s_load_dword s12, s[4:5], 0x18
	s_load_dword s6, s[4:5], 0x30
	s_load_dwordx2 s[14:15], s[4:5], 0x28
	s_load_dwordx2 s[16:17], s[4:5], 0x10
	v_lshlrev_b32_e32 v6, 6, v1
	s_waitcnt lgkmcnt(0)
	s_ashr_i32 s13, s12, 31
	s_ashr_i32 s7, s6, 31
	s_add_u32 s14, s14, s10
	s_addc_u32 s15, s15, s11
	s_add_u32 s10, s16, s10
	s_addc_u32 s11, s17, s11
	v_mad_i64_i32 v[11:12], s[16:17], s6, v0, 0
	v_lshlrev_b32_e32 v7, 2, v0
	v_ashrrev_i32_e32 v5, 31, v4
	v_add_u32_e32 v8, v7, v6
	v_add_u32_e32 v9, 0x400, v6
	v_lshlrev_b64 v[11:12], 2, v[11:12]
	v_lshlrev_b64 v[5:6], 2, v[4:5]
	s_load_dwordx2 s[14:15], s[14:15], 0x0
	v_add_co_u32_e32 v0, vcc, v11, v5
	v_addc_co_u32_e32 v11, vcc, v12, v6, vcc
	v_mad_i64_i32 v[5:6], s[16:17], s12, v1, 0
	s_load_dwordx2 s[10:11], s[10:11], 0x0
	s_waitcnt lgkmcnt(0)
	v_mov_b32_e32 v12, s15
	v_add_co_u32_e32 v0, vcc, s14, v0
	v_addc_co_u32_e32 v1, vcc, v12, v11, vcc
	v_lshlrev_b64 v[5:6], 2, v[5:6]
	v_lshlrev_b64 v[11:12], 2, v[2:3]
	s_lshl_b64 s[6:7], s[6:7], 6
	v_add_co_u32_e32 v5, vcc, v5, v11
	v_addc_co_u32_e32 v6, vcc, v6, v12, vcc
	v_mov_b32_e32 v11, s11
	v_add_co_u32_e32 v5, vcc, s10, v5
	v_add_u32_e32 v10, v9, v7
	v_addc_co_u32_e32 v6, vcc, v11, v6, vcc
	s_lshl_b64 s[10:11], s[12:13], 6
	v_mov_b32_e32 v11, 0
	v_mov_b32_e32 v12, s7
.LBB505_2:                              ; =>This Inner Loop Header: Depth=1
	flat_load_dword v13, v[5:6]
	v_mov_b32_e32 v14, s11
	v_add_co_u32_e32 v5, vcc, s10, v5
	v_addc_co_u32_e32 v6, vcc, v6, v14, vcc
	s_add_i32 s9, s9, 16
	s_cmp_lt_i32 s9, s0
	s_waitcnt vmcnt(0) lgkmcnt(0)
	ds_write_b32 v8, v13
	flat_load_dword v13, v[0:1]
	v_add_co_u32_e32 v0, vcc, s6, v0
	v_addc_co_u32_e32 v1, vcc, v1, v12, vcc
	s_waitcnt vmcnt(0) lgkmcnt(0)
	ds_write_b32 v10, v13
	s_waitcnt lgkmcnt(0)
	s_barrier
	ds_read2_b32 v[21:22], v7 offset1:16
	ds_read_b128 v[13:16], v9
	ds_read_b128 v[17:20], v9 offset:16
	s_waitcnt lgkmcnt(1)
	v_fmac_f32_e32 v11, v21, v13
	v_fmac_f32_e32 v11, v22, v14
	ds_read2_b32 v[13:14], v7 offset0:32 offset1:48
	s_waitcnt lgkmcnt(0)
	v_fmac_f32_e32 v11, v13, v15
	v_fmac_f32_e32 v11, v14, v16
	ds_read2_b32 v[13:14], v7 offset0:64 offset1:80
	ds_read2_b32 v[15:16], v7 offset0:96 offset1:112
	;; [unrolled: 1-line block ×3, first 2 shown]
	s_waitcnt lgkmcnt(2)
	v_fmac_f32_e32 v11, v13, v17
	v_fmac_f32_e32 v11, v14, v18
	s_waitcnt lgkmcnt(1)
	v_fmac_f32_e32 v11, v15, v19
	v_fmac_f32_e32 v11, v16, v20
	ds_read_b128 v[13:16], v9 offset:32
	ds_read_b128 v[17:20], v9 offset:48
	s_waitcnt lgkmcnt(1)
	v_fmac_f32_e32 v11, v21, v13
	v_fmac_f32_e32 v11, v22, v14
	ds_read2_b32 v[13:14], v7 offset0:160 offset1:176
	s_waitcnt lgkmcnt(0)
	v_fmac_f32_e32 v11, v13, v15
	v_fmac_f32_e32 v11, v14, v16
	ds_read2_b32 v[13:14], v7 offset0:192 offset1:208
	ds_read2_b32 v[15:16], v7 offset0:224 offset1:240
	s_waitcnt lgkmcnt(0)
	s_barrier
	v_fmac_f32_e32 v11, v13, v17
	v_fmac_f32_e32 v11, v14, v18
	;; [unrolled: 1-line block ×4, first 2 shown]
	s_cbranch_scc1 .LBB505_2
; %bb.3:
	v_cmp_le_i32_e32 vcc, v2, v4
	s_and_saveexec_b64 s[6:7], vcc
	s_cbranch_execz .LBB505_5
.LBB505_4:
	s_load_dword s0, s[4:5], 0x50
	s_waitcnt lgkmcnt(0)
	v_mov_b32_e32 v5, s3
	v_lshlrev_b64 v[2:3], 2, v[2:3]
	v_mad_i64_i32 v[0:1], s[4:5], s0, v4, 0
	v_mul_f32_e32 v4, s1, v11
	v_lshlrev_b64 v[0:1], 2, v[0:1]
	v_add_co_u32_e32 v0, vcc, s2, v0
	v_addc_co_u32_e32 v1, vcc, v5, v1, vcc
	v_add_co_u32_e32 v0, vcc, v0, v2
	v_addc_co_u32_e32 v1, vcc, v1, v3, vcc
	flat_store_dword v[0:1], v4
.LBB505_5:
	s_endpgm
.LBB505_6:
	v_mov_b32_e32 v11, 0
	v_cmp_le_i32_e32 vcc, v2, v4
	s_and_saveexec_b64 s[6:7], vcc
	s_cbranch_execnz .LBB505_4
	s_branch .LBB505_5
	.section	.rodata,"a",@progbits
	.p2align	6, 0x0
	.amdhsa_kernel _ZL41rocblas_syrkx_herkx_small_restrict_kernelIifLi16ELb1ELb0ELc78ELc85EKPKfKPfEviT_T0_PT6_S5_lS8_S5_lS6_PT7_S5_li
		.amdhsa_group_segment_fixed_size 2048
		.amdhsa_private_segment_fixed_size 0
		.amdhsa_kernarg_size 100
		.amdhsa_user_sgpr_count 6
		.amdhsa_user_sgpr_private_segment_buffer 1
		.amdhsa_user_sgpr_dispatch_ptr 0
		.amdhsa_user_sgpr_queue_ptr 0
		.amdhsa_user_sgpr_kernarg_segment_ptr 1
		.amdhsa_user_sgpr_dispatch_id 0
		.amdhsa_user_sgpr_flat_scratch_init 0
		.amdhsa_user_sgpr_private_segment_size 0
		.amdhsa_uses_dynamic_stack 0
		.amdhsa_system_sgpr_private_segment_wavefront_offset 0
		.amdhsa_system_sgpr_workgroup_id_x 1
		.amdhsa_system_sgpr_workgroup_id_y 1
		.amdhsa_system_sgpr_workgroup_id_z 1
		.amdhsa_system_sgpr_workgroup_info 0
		.amdhsa_system_vgpr_workitem_id 1
		.amdhsa_next_free_vgpr 23
		.amdhsa_next_free_sgpr 18
		.amdhsa_reserve_vcc 1
		.amdhsa_reserve_flat_scratch 0
		.amdhsa_float_round_mode_32 0
		.amdhsa_float_round_mode_16_64 0
		.amdhsa_float_denorm_mode_32 3
		.amdhsa_float_denorm_mode_16_64 3
		.amdhsa_dx10_clamp 1
		.amdhsa_ieee_mode 1
		.amdhsa_fp16_overflow 0
		.amdhsa_exception_fp_ieee_invalid_op 0
		.amdhsa_exception_fp_denorm_src 0
		.amdhsa_exception_fp_ieee_div_zero 0
		.amdhsa_exception_fp_ieee_overflow 0
		.amdhsa_exception_fp_ieee_underflow 0
		.amdhsa_exception_fp_ieee_inexact 0
		.amdhsa_exception_int_div_zero 0
	.end_amdhsa_kernel
	.section	.text._ZL41rocblas_syrkx_herkx_small_restrict_kernelIifLi16ELb1ELb0ELc78ELc85EKPKfKPfEviT_T0_PT6_S5_lS8_S5_lS6_PT7_S5_li,"axG",@progbits,_ZL41rocblas_syrkx_herkx_small_restrict_kernelIifLi16ELb1ELb0ELc78ELc85EKPKfKPfEviT_T0_PT6_S5_lS8_S5_lS6_PT7_S5_li,comdat
.Lfunc_end505:
	.size	_ZL41rocblas_syrkx_herkx_small_restrict_kernelIifLi16ELb1ELb0ELc78ELc85EKPKfKPfEviT_T0_PT6_S5_lS8_S5_lS6_PT7_S5_li, .Lfunc_end505-_ZL41rocblas_syrkx_herkx_small_restrict_kernelIifLi16ELb1ELb0ELc78ELc85EKPKfKPfEviT_T0_PT6_S5_lS8_S5_lS6_PT7_S5_li
                                        ; -- End function
	.set _ZL41rocblas_syrkx_herkx_small_restrict_kernelIifLi16ELb1ELb0ELc78ELc85EKPKfKPfEviT_T0_PT6_S5_lS8_S5_lS6_PT7_S5_li.num_vgpr, 23
	.set _ZL41rocblas_syrkx_herkx_small_restrict_kernelIifLi16ELb1ELb0ELc78ELc85EKPKfKPfEviT_T0_PT6_S5_lS8_S5_lS6_PT7_S5_li.num_agpr, 0
	.set _ZL41rocblas_syrkx_herkx_small_restrict_kernelIifLi16ELb1ELb0ELc78ELc85EKPKfKPfEviT_T0_PT6_S5_lS8_S5_lS6_PT7_S5_li.numbered_sgpr, 18
	.set _ZL41rocblas_syrkx_herkx_small_restrict_kernelIifLi16ELb1ELb0ELc78ELc85EKPKfKPfEviT_T0_PT6_S5_lS8_S5_lS6_PT7_S5_li.num_named_barrier, 0
	.set _ZL41rocblas_syrkx_herkx_small_restrict_kernelIifLi16ELb1ELb0ELc78ELc85EKPKfKPfEviT_T0_PT6_S5_lS8_S5_lS6_PT7_S5_li.private_seg_size, 0
	.set _ZL41rocblas_syrkx_herkx_small_restrict_kernelIifLi16ELb1ELb0ELc78ELc85EKPKfKPfEviT_T0_PT6_S5_lS8_S5_lS6_PT7_S5_li.uses_vcc, 1
	.set _ZL41rocblas_syrkx_herkx_small_restrict_kernelIifLi16ELb1ELb0ELc78ELc85EKPKfKPfEviT_T0_PT6_S5_lS8_S5_lS6_PT7_S5_li.uses_flat_scratch, 0
	.set _ZL41rocblas_syrkx_herkx_small_restrict_kernelIifLi16ELb1ELb0ELc78ELc85EKPKfKPfEviT_T0_PT6_S5_lS8_S5_lS6_PT7_S5_li.has_dyn_sized_stack, 0
	.set _ZL41rocblas_syrkx_herkx_small_restrict_kernelIifLi16ELb1ELb0ELc78ELc85EKPKfKPfEviT_T0_PT6_S5_lS8_S5_lS6_PT7_S5_li.has_recursion, 0
	.set _ZL41rocblas_syrkx_herkx_small_restrict_kernelIifLi16ELb1ELb0ELc78ELc85EKPKfKPfEviT_T0_PT6_S5_lS8_S5_lS6_PT7_S5_li.has_indirect_call, 0
	.section	.AMDGPU.csdata,"",@progbits
; Kernel info:
; codeLenInByte = 660
; TotalNumSgprs: 22
; NumVgprs: 23
; ScratchSize: 0
; MemoryBound: 0
; FloatMode: 240
; IeeeMode: 1
; LDSByteSize: 2048 bytes/workgroup (compile time only)
; SGPRBlocks: 2
; VGPRBlocks: 5
; NumSGPRsForWavesPerEU: 22
; NumVGPRsForWavesPerEU: 23
; Occupancy: 10
; WaveLimiterHint : 1
; COMPUTE_PGM_RSRC2:SCRATCH_EN: 0
; COMPUTE_PGM_RSRC2:USER_SGPR: 6
; COMPUTE_PGM_RSRC2:TRAP_HANDLER: 0
; COMPUTE_PGM_RSRC2:TGID_X_EN: 1
; COMPUTE_PGM_RSRC2:TGID_Y_EN: 1
; COMPUTE_PGM_RSRC2:TGID_Z_EN: 1
; COMPUTE_PGM_RSRC2:TIDIG_COMP_CNT: 1
	.section	.text._ZL41rocblas_syrkx_herkx_small_restrict_kernelIifLi16ELb0ELb0ELc84ELc76EKPKfKPfEviT_T0_PT6_S5_lS8_S5_lS6_PT7_S5_li,"axG",@progbits,_ZL41rocblas_syrkx_herkx_small_restrict_kernelIifLi16ELb0ELb0ELc84ELc76EKPKfKPfEviT_T0_PT6_S5_lS8_S5_lS6_PT7_S5_li,comdat
	.globl	_ZL41rocblas_syrkx_herkx_small_restrict_kernelIifLi16ELb0ELb0ELc84ELc76EKPKfKPfEviT_T0_PT6_S5_lS8_S5_lS6_PT7_S5_li ; -- Begin function _ZL41rocblas_syrkx_herkx_small_restrict_kernelIifLi16ELb0ELb0ELc84ELc76EKPKfKPfEviT_T0_PT6_S5_lS8_S5_lS6_PT7_S5_li
	.p2align	8
	.type	_ZL41rocblas_syrkx_herkx_small_restrict_kernelIifLi16ELb0ELb0ELc84ELc76EKPKfKPfEviT_T0_PT6_S5_lS8_S5_lS6_PT7_S5_li,@function
_ZL41rocblas_syrkx_herkx_small_restrict_kernelIifLi16ELb0ELb0ELc84ELc76EKPKfKPfEviT_T0_PT6_S5_lS8_S5_lS6_PT7_S5_li: ; @_ZL41rocblas_syrkx_herkx_small_restrict_kernelIifLi16ELb0ELb0ELc84ELc76EKPKfKPfEviT_T0_PT6_S5_lS8_S5_lS6_PT7_S5_li
; %bb.0:
	s_load_dwordx2 s[2:3], s[4:5], 0x48
	s_load_dwordx2 s[0:1], s[4:5], 0x4
	s_mov_b32 s9, 0
	s_lshl_b64 s[10:11], s[8:9], 3
	v_lshl_add_u32 v2, s6, 4, v0
	s_waitcnt lgkmcnt(0)
	s_add_u32 s2, s2, s10
	s_addc_u32 s3, s3, s11
	s_load_dwordx2 s[2:3], s[2:3], 0x0
	s_cmp_lt_i32 s0, 1
	v_lshl_add_u32 v5, s7, 4, v1
	s_cbranch_scc1 .LBB506_6
; %bb.1:
	s_load_dwordx2 s[6:7], s[4:5], 0x28
	s_load_dwordx2 s[12:13], s[4:5], 0x10
	s_load_dword s8, s[4:5], 0x18
	s_load_dword s14, s[4:5], 0x30
	v_lshlrev_b32_e32 v7, 2, v0
	s_waitcnt lgkmcnt(0)
	s_add_u32 s6, s6, s10
	s_addc_u32 s7, s7, s11
	s_add_u32 s10, s12, s10
	s_addc_u32 s11, s13, s11
	v_mad_i64_i32 v[3:4], s[12:13], s14, v5, 0
	s_load_dwordx2 s[6:7], s[6:7], 0x0
	v_mad_i64_i32 v[11:12], s[12:13], s8, v2, 0
	v_lshlrev_b64 v[3:4], 2, v[3:4]
	s_load_dwordx2 s[10:11], s[10:11], 0x0
	v_add_co_u32_e32 v0, vcc, v3, v7
	v_addc_co_u32_e32 v4, vcc, 0, v4, vcc
	s_waitcnt lgkmcnt(0)
	v_mov_b32_e32 v13, s7
	v_add_co_u32_e32 v3, vcc, s6, v0
	v_lshlrev_b64 v[11:12], 2, v[11:12]
	v_addc_co_u32_e32 v4, vcc, v13, v4, vcc
	v_lshlrev_b32_e32 v0, 2, v1
	v_add_co_u32_e32 v0, vcc, v11, v0
	v_lshlrev_b32_e32 v6, 6, v1
	v_addc_co_u32_e32 v1, vcc, 0, v12, vcc
	v_add_u32_e32 v9, 0x400, v6
	v_mov_b32_e32 v11, s11
	v_add_co_u32_e32 v0, vcc, s10, v0
	v_add_u32_e32 v8, v7, v6
	v_add_u32_e32 v10, v9, v7
	v_mov_b32_e32 v6, 0
	v_addc_co_u32_e32 v1, vcc, v11, v1, vcc
.LBB506_2:                              ; =>This Inner Loop Header: Depth=1
	flat_load_dword v11, v[0:1]
	v_add_co_u32_e32 v0, vcc, 64, v0
	v_addc_co_u32_e32 v1, vcc, 0, v1, vcc
	s_add_i32 s9, s9, 16
	s_cmp_lt_i32 s9, s0
	s_waitcnt vmcnt(0) lgkmcnt(0)
	ds_write_b32 v8, v11
	flat_load_dword v11, v[3:4]
	v_add_co_u32_e32 v3, vcc, 64, v3
	v_addc_co_u32_e32 v4, vcc, 0, v4, vcc
	s_waitcnt vmcnt(0) lgkmcnt(0)
	ds_write_b32 v10, v11
	s_waitcnt lgkmcnt(0)
	s_barrier
	ds_read2_b32 v[19:20], v7 offset1:16
	ds_read_b128 v[11:14], v9
	ds_read_b128 v[15:18], v9 offset:16
	s_waitcnt lgkmcnt(1)
	v_fmac_f32_e32 v6, v19, v11
	v_fmac_f32_e32 v6, v20, v12
	ds_read2_b32 v[11:12], v7 offset0:32 offset1:48
	s_waitcnt lgkmcnt(0)
	v_fmac_f32_e32 v6, v11, v13
	v_fmac_f32_e32 v6, v12, v14
	ds_read2_b32 v[11:12], v7 offset0:64 offset1:80
	ds_read2_b32 v[13:14], v7 offset0:96 offset1:112
	;; [unrolled: 1-line block ×3, first 2 shown]
	s_waitcnt lgkmcnt(2)
	v_fmac_f32_e32 v6, v11, v15
	v_fmac_f32_e32 v6, v12, v16
	s_waitcnt lgkmcnt(1)
	v_fmac_f32_e32 v6, v13, v17
	v_fmac_f32_e32 v6, v14, v18
	ds_read_b128 v[11:14], v9 offset:32
	ds_read_b128 v[15:18], v9 offset:48
	s_waitcnt lgkmcnt(1)
	v_fmac_f32_e32 v6, v19, v11
	v_fmac_f32_e32 v6, v20, v12
	ds_read2_b32 v[11:12], v7 offset0:160 offset1:176
	s_waitcnt lgkmcnt(0)
	v_fmac_f32_e32 v6, v11, v13
	v_fmac_f32_e32 v6, v12, v14
	ds_read2_b32 v[11:12], v7 offset0:192 offset1:208
	ds_read2_b32 v[13:14], v7 offset0:224 offset1:240
	s_waitcnt lgkmcnt(0)
	s_barrier
	v_fmac_f32_e32 v6, v11, v15
	v_fmac_f32_e32 v6, v12, v16
	;; [unrolled: 1-line block ×4, first 2 shown]
	s_cbranch_scc1 .LBB506_2
; %bb.3:
	v_cmp_le_i32_e32 vcc, v5, v2
	s_and_saveexec_b64 s[6:7], vcc
	s_cbranch_execz .LBB506_5
.LBB506_4:
	s_load_dword s0, s[4:5], 0x50
	v_ashrrev_i32_e32 v3, 31, v2
	s_waitcnt lgkmcnt(0)
	v_mov_b32_e32 v4, s3
	v_lshlrev_b64 v[2:3], 2, v[2:3]
	v_mad_i64_i32 v[0:1], s[6:7], s0, v5, 0
	s_load_dword s0, s[4:5], 0x40
	v_lshlrev_b64 v[0:1], 2, v[0:1]
	v_add_co_u32_e32 v0, vcc, s2, v0
	v_addc_co_u32_e32 v1, vcc, v4, v1, vcc
	v_add_co_u32_e32 v0, vcc, v0, v2
	v_addc_co_u32_e32 v1, vcc, v1, v3, vcc
	flat_load_dword v2, v[0:1]
	s_waitcnt vmcnt(0) lgkmcnt(0)
	v_mul_f32_e32 v2, s0, v2
	v_fmac_f32_e32 v2, s1, v6
	flat_store_dword v[0:1], v2
.LBB506_5:
	s_endpgm
.LBB506_6:
	v_mov_b32_e32 v6, 0
	v_cmp_le_i32_e32 vcc, v5, v2
	s_and_saveexec_b64 s[6:7], vcc
	s_cbranch_execnz .LBB506_4
	s_branch .LBB506_5
	.section	.rodata,"a",@progbits
	.p2align	6, 0x0
	.amdhsa_kernel _ZL41rocblas_syrkx_herkx_small_restrict_kernelIifLi16ELb0ELb0ELc84ELc76EKPKfKPfEviT_T0_PT6_S5_lS8_S5_lS6_PT7_S5_li
		.amdhsa_group_segment_fixed_size 2048
		.amdhsa_private_segment_fixed_size 0
		.amdhsa_kernarg_size 100
		.amdhsa_user_sgpr_count 6
		.amdhsa_user_sgpr_private_segment_buffer 1
		.amdhsa_user_sgpr_dispatch_ptr 0
		.amdhsa_user_sgpr_queue_ptr 0
		.amdhsa_user_sgpr_kernarg_segment_ptr 1
		.amdhsa_user_sgpr_dispatch_id 0
		.amdhsa_user_sgpr_flat_scratch_init 0
		.amdhsa_user_sgpr_private_segment_size 0
		.amdhsa_uses_dynamic_stack 0
		.amdhsa_system_sgpr_private_segment_wavefront_offset 0
		.amdhsa_system_sgpr_workgroup_id_x 1
		.amdhsa_system_sgpr_workgroup_id_y 1
		.amdhsa_system_sgpr_workgroup_id_z 1
		.amdhsa_system_sgpr_workgroup_info 0
		.amdhsa_system_vgpr_workitem_id 1
		.amdhsa_next_free_vgpr 21
		.amdhsa_next_free_sgpr 15
		.amdhsa_reserve_vcc 1
		.amdhsa_reserve_flat_scratch 0
		.amdhsa_float_round_mode_32 0
		.amdhsa_float_round_mode_16_64 0
		.amdhsa_float_denorm_mode_32 3
		.amdhsa_float_denorm_mode_16_64 3
		.amdhsa_dx10_clamp 1
		.amdhsa_ieee_mode 1
		.amdhsa_fp16_overflow 0
		.amdhsa_exception_fp_ieee_invalid_op 0
		.amdhsa_exception_fp_denorm_src 0
		.amdhsa_exception_fp_ieee_div_zero 0
		.amdhsa_exception_fp_ieee_overflow 0
		.amdhsa_exception_fp_ieee_underflow 0
		.amdhsa_exception_fp_ieee_inexact 0
		.amdhsa_exception_int_div_zero 0
	.end_amdhsa_kernel
	.section	.text._ZL41rocblas_syrkx_herkx_small_restrict_kernelIifLi16ELb0ELb0ELc84ELc76EKPKfKPfEviT_T0_PT6_S5_lS8_S5_lS6_PT7_S5_li,"axG",@progbits,_ZL41rocblas_syrkx_herkx_small_restrict_kernelIifLi16ELb0ELb0ELc84ELc76EKPKfKPfEviT_T0_PT6_S5_lS8_S5_lS6_PT7_S5_li,comdat
.Lfunc_end506:
	.size	_ZL41rocblas_syrkx_herkx_small_restrict_kernelIifLi16ELb0ELb0ELc84ELc76EKPKfKPfEviT_T0_PT6_S5_lS8_S5_lS6_PT7_S5_li, .Lfunc_end506-_ZL41rocblas_syrkx_herkx_small_restrict_kernelIifLi16ELb0ELb0ELc84ELc76EKPKfKPfEviT_T0_PT6_S5_lS8_S5_lS6_PT7_S5_li
                                        ; -- End function
	.set _ZL41rocblas_syrkx_herkx_small_restrict_kernelIifLi16ELb0ELb0ELc84ELc76EKPKfKPfEviT_T0_PT6_S5_lS8_S5_lS6_PT7_S5_li.num_vgpr, 21
	.set _ZL41rocblas_syrkx_herkx_small_restrict_kernelIifLi16ELb0ELb0ELc84ELc76EKPKfKPfEviT_T0_PT6_S5_lS8_S5_lS6_PT7_S5_li.num_agpr, 0
	.set _ZL41rocblas_syrkx_herkx_small_restrict_kernelIifLi16ELb0ELb0ELc84ELc76EKPKfKPfEviT_T0_PT6_S5_lS8_S5_lS6_PT7_S5_li.numbered_sgpr, 15
	.set _ZL41rocblas_syrkx_herkx_small_restrict_kernelIifLi16ELb0ELb0ELc84ELc76EKPKfKPfEviT_T0_PT6_S5_lS8_S5_lS6_PT7_S5_li.num_named_barrier, 0
	.set _ZL41rocblas_syrkx_herkx_small_restrict_kernelIifLi16ELb0ELb0ELc84ELc76EKPKfKPfEviT_T0_PT6_S5_lS8_S5_lS6_PT7_S5_li.private_seg_size, 0
	.set _ZL41rocblas_syrkx_herkx_small_restrict_kernelIifLi16ELb0ELb0ELc84ELc76EKPKfKPfEviT_T0_PT6_S5_lS8_S5_lS6_PT7_S5_li.uses_vcc, 1
	.set _ZL41rocblas_syrkx_herkx_small_restrict_kernelIifLi16ELb0ELb0ELc84ELc76EKPKfKPfEviT_T0_PT6_S5_lS8_S5_lS6_PT7_S5_li.uses_flat_scratch, 0
	.set _ZL41rocblas_syrkx_herkx_small_restrict_kernelIifLi16ELb0ELb0ELc84ELc76EKPKfKPfEviT_T0_PT6_S5_lS8_S5_lS6_PT7_S5_li.has_dyn_sized_stack, 0
	.set _ZL41rocblas_syrkx_herkx_small_restrict_kernelIifLi16ELb0ELb0ELc84ELc76EKPKfKPfEviT_T0_PT6_S5_lS8_S5_lS6_PT7_S5_li.has_recursion, 0
	.set _ZL41rocblas_syrkx_herkx_small_restrict_kernelIifLi16ELb0ELb0ELc84ELc76EKPKfKPfEviT_T0_PT6_S5_lS8_S5_lS6_PT7_S5_li.has_indirect_call, 0
	.section	.AMDGPU.csdata,"",@progbits
; Kernel info:
; codeLenInByte = 644
; TotalNumSgprs: 19
; NumVgprs: 21
; ScratchSize: 0
; MemoryBound: 0
; FloatMode: 240
; IeeeMode: 1
; LDSByteSize: 2048 bytes/workgroup (compile time only)
; SGPRBlocks: 2
; VGPRBlocks: 5
; NumSGPRsForWavesPerEU: 19
; NumVGPRsForWavesPerEU: 21
; Occupancy: 10
; WaveLimiterHint : 1
; COMPUTE_PGM_RSRC2:SCRATCH_EN: 0
; COMPUTE_PGM_RSRC2:USER_SGPR: 6
; COMPUTE_PGM_RSRC2:TRAP_HANDLER: 0
; COMPUTE_PGM_RSRC2:TGID_X_EN: 1
; COMPUTE_PGM_RSRC2:TGID_Y_EN: 1
; COMPUTE_PGM_RSRC2:TGID_Z_EN: 1
; COMPUTE_PGM_RSRC2:TIDIG_COMP_CNT: 1
	.section	.text._ZL41rocblas_syrkx_herkx_small_restrict_kernelIifLi16ELb0ELb0ELc67ELc76EKPKfKPfEviT_T0_PT6_S5_lS8_S5_lS6_PT7_S5_li,"axG",@progbits,_ZL41rocblas_syrkx_herkx_small_restrict_kernelIifLi16ELb0ELb0ELc67ELc76EKPKfKPfEviT_T0_PT6_S5_lS8_S5_lS6_PT7_S5_li,comdat
	.globl	_ZL41rocblas_syrkx_herkx_small_restrict_kernelIifLi16ELb0ELb0ELc67ELc76EKPKfKPfEviT_T0_PT6_S5_lS8_S5_lS6_PT7_S5_li ; -- Begin function _ZL41rocblas_syrkx_herkx_small_restrict_kernelIifLi16ELb0ELb0ELc67ELc76EKPKfKPfEviT_T0_PT6_S5_lS8_S5_lS6_PT7_S5_li
	.p2align	8
	.type	_ZL41rocblas_syrkx_herkx_small_restrict_kernelIifLi16ELb0ELb0ELc67ELc76EKPKfKPfEviT_T0_PT6_S5_lS8_S5_lS6_PT7_S5_li,@function
_ZL41rocblas_syrkx_herkx_small_restrict_kernelIifLi16ELb0ELb0ELc67ELc76EKPKfKPfEviT_T0_PT6_S5_lS8_S5_lS6_PT7_S5_li: ; @_ZL41rocblas_syrkx_herkx_small_restrict_kernelIifLi16ELb0ELb0ELc67ELc76EKPKfKPfEviT_T0_PT6_S5_lS8_S5_lS6_PT7_S5_li
; %bb.0:
	s_load_dwordx2 s[2:3], s[4:5], 0x48
	s_load_dwordx2 s[0:1], s[4:5], 0x4
	s_mov_b32 s9, 0
	s_lshl_b64 s[10:11], s[8:9], 3
	v_lshl_add_u32 v2, s6, 4, v0
	s_waitcnt lgkmcnt(0)
	s_add_u32 s2, s2, s10
	s_addc_u32 s3, s3, s11
	s_load_dwordx2 s[2:3], s[2:3], 0x0
	s_cmp_lt_i32 s0, 1
	v_lshl_add_u32 v5, s7, 4, v1
	s_cbranch_scc1 .LBB507_6
; %bb.1:
	s_load_dwordx2 s[6:7], s[4:5], 0x28
	s_load_dwordx2 s[12:13], s[4:5], 0x10
	s_load_dword s8, s[4:5], 0x18
	s_load_dword s14, s[4:5], 0x30
	v_lshlrev_b32_e32 v7, 2, v0
	s_waitcnt lgkmcnt(0)
	s_add_u32 s6, s6, s10
	s_addc_u32 s7, s7, s11
	s_add_u32 s10, s12, s10
	s_addc_u32 s11, s13, s11
	v_mad_i64_i32 v[3:4], s[12:13], s14, v5, 0
	s_load_dwordx2 s[6:7], s[6:7], 0x0
	v_mad_i64_i32 v[11:12], s[12:13], s8, v2, 0
	v_lshlrev_b64 v[3:4], 2, v[3:4]
	s_load_dwordx2 s[10:11], s[10:11], 0x0
	v_add_co_u32_e32 v0, vcc, v3, v7
	v_addc_co_u32_e32 v4, vcc, 0, v4, vcc
	s_waitcnt lgkmcnt(0)
	v_mov_b32_e32 v13, s7
	v_add_co_u32_e32 v3, vcc, s6, v0
	v_lshlrev_b64 v[11:12], 2, v[11:12]
	v_addc_co_u32_e32 v4, vcc, v13, v4, vcc
	v_lshlrev_b32_e32 v0, 2, v1
	v_add_co_u32_e32 v0, vcc, v11, v0
	v_lshlrev_b32_e32 v6, 6, v1
	v_addc_co_u32_e32 v1, vcc, 0, v12, vcc
	v_add_u32_e32 v9, 0x400, v6
	v_mov_b32_e32 v11, s11
	v_add_co_u32_e32 v0, vcc, s10, v0
	v_add_u32_e32 v8, v7, v6
	v_add_u32_e32 v10, v9, v7
	v_mov_b32_e32 v6, 0
	v_addc_co_u32_e32 v1, vcc, v11, v1, vcc
.LBB507_2:                              ; =>This Inner Loop Header: Depth=1
	flat_load_dword v11, v[0:1]
	v_add_co_u32_e32 v0, vcc, 64, v0
	v_addc_co_u32_e32 v1, vcc, 0, v1, vcc
	s_add_i32 s9, s9, 16
	s_cmp_lt_i32 s9, s0
	s_waitcnt vmcnt(0) lgkmcnt(0)
	ds_write_b32 v8, v11
	flat_load_dword v11, v[3:4]
	v_add_co_u32_e32 v3, vcc, 64, v3
	v_addc_co_u32_e32 v4, vcc, 0, v4, vcc
	s_waitcnt vmcnt(0) lgkmcnt(0)
	ds_write_b32 v10, v11
	s_waitcnt lgkmcnt(0)
	s_barrier
	ds_read2_b32 v[19:20], v7 offset1:16
	ds_read_b128 v[11:14], v9
	ds_read_b128 v[15:18], v9 offset:16
	s_waitcnt lgkmcnt(1)
	v_fmac_f32_e32 v6, v19, v11
	v_fmac_f32_e32 v6, v20, v12
	ds_read2_b32 v[11:12], v7 offset0:32 offset1:48
	s_waitcnt lgkmcnt(0)
	v_fmac_f32_e32 v6, v11, v13
	v_fmac_f32_e32 v6, v12, v14
	ds_read2_b32 v[11:12], v7 offset0:64 offset1:80
	ds_read2_b32 v[13:14], v7 offset0:96 offset1:112
	;; [unrolled: 1-line block ×3, first 2 shown]
	s_waitcnt lgkmcnt(2)
	v_fmac_f32_e32 v6, v11, v15
	v_fmac_f32_e32 v6, v12, v16
	s_waitcnt lgkmcnt(1)
	v_fmac_f32_e32 v6, v13, v17
	v_fmac_f32_e32 v6, v14, v18
	ds_read_b128 v[11:14], v9 offset:32
	ds_read_b128 v[15:18], v9 offset:48
	s_waitcnt lgkmcnt(1)
	v_fmac_f32_e32 v6, v19, v11
	v_fmac_f32_e32 v6, v20, v12
	ds_read2_b32 v[11:12], v7 offset0:160 offset1:176
	s_waitcnt lgkmcnt(0)
	v_fmac_f32_e32 v6, v11, v13
	v_fmac_f32_e32 v6, v12, v14
	ds_read2_b32 v[11:12], v7 offset0:192 offset1:208
	ds_read2_b32 v[13:14], v7 offset0:224 offset1:240
	s_waitcnt lgkmcnt(0)
	s_barrier
	v_fmac_f32_e32 v6, v11, v15
	v_fmac_f32_e32 v6, v12, v16
	;; [unrolled: 1-line block ×4, first 2 shown]
	s_cbranch_scc1 .LBB507_2
; %bb.3:
	v_cmp_le_i32_e32 vcc, v5, v2
	s_and_saveexec_b64 s[6:7], vcc
	s_cbranch_execz .LBB507_5
.LBB507_4:
	s_load_dword s0, s[4:5], 0x50
	v_ashrrev_i32_e32 v3, 31, v2
	s_waitcnt lgkmcnt(0)
	v_mov_b32_e32 v4, s3
	v_lshlrev_b64 v[2:3], 2, v[2:3]
	v_mad_i64_i32 v[0:1], s[6:7], s0, v5, 0
	s_load_dword s0, s[4:5], 0x40
	v_lshlrev_b64 v[0:1], 2, v[0:1]
	v_add_co_u32_e32 v0, vcc, s2, v0
	v_addc_co_u32_e32 v1, vcc, v4, v1, vcc
	v_add_co_u32_e32 v0, vcc, v0, v2
	v_addc_co_u32_e32 v1, vcc, v1, v3, vcc
	flat_load_dword v2, v[0:1]
	s_waitcnt vmcnt(0) lgkmcnt(0)
	v_mul_f32_e32 v2, s0, v2
	v_fmac_f32_e32 v2, s1, v6
	flat_store_dword v[0:1], v2
.LBB507_5:
	s_endpgm
.LBB507_6:
	v_mov_b32_e32 v6, 0
	v_cmp_le_i32_e32 vcc, v5, v2
	s_and_saveexec_b64 s[6:7], vcc
	s_cbranch_execnz .LBB507_4
	s_branch .LBB507_5
	.section	.rodata,"a",@progbits
	.p2align	6, 0x0
	.amdhsa_kernel _ZL41rocblas_syrkx_herkx_small_restrict_kernelIifLi16ELb0ELb0ELc67ELc76EKPKfKPfEviT_T0_PT6_S5_lS8_S5_lS6_PT7_S5_li
		.amdhsa_group_segment_fixed_size 2048
		.amdhsa_private_segment_fixed_size 0
		.amdhsa_kernarg_size 100
		.amdhsa_user_sgpr_count 6
		.amdhsa_user_sgpr_private_segment_buffer 1
		.amdhsa_user_sgpr_dispatch_ptr 0
		.amdhsa_user_sgpr_queue_ptr 0
		.amdhsa_user_sgpr_kernarg_segment_ptr 1
		.amdhsa_user_sgpr_dispatch_id 0
		.amdhsa_user_sgpr_flat_scratch_init 0
		.amdhsa_user_sgpr_private_segment_size 0
		.amdhsa_uses_dynamic_stack 0
		.amdhsa_system_sgpr_private_segment_wavefront_offset 0
		.amdhsa_system_sgpr_workgroup_id_x 1
		.amdhsa_system_sgpr_workgroup_id_y 1
		.amdhsa_system_sgpr_workgroup_id_z 1
		.amdhsa_system_sgpr_workgroup_info 0
		.amdhsa_system_vgpr_workitem_id 1
		.amdhsa_next_free_vgpr 21
		.amdhsa_next_free_sgpr 15
		.amdhsa_reserve_vcc 1
		.amdhsa_reserve_flat_scratch 0
		.amdhsa_float_round_mode_32 0
		.amdhsa_float_round_mode_16_64 0
		.amdhsa_float_denorm_mode_32 3
		.amdhsa_float_denorm_mode_16_64 3
		.amdhsa_dx10_clamp 1
		.amdhsa_ieee_mode 1
		.amdhsa_fp16_overflow 0
		.amdhsa_exception_fp_ieee_invalid_op 0
		.amdhsa_exception_fp_denorm_src 0
		.amdhsa_exception_fp_ieee_div_zero 0
		.amdhsa_exception_fp_ieee_overflow 0
		.amdhsa_exception_fp_ieee_underflow 0
		.amdhsa_exception_fp_ieee_inexact 0
		.amdhsa_exception_int_div_zero 0
	.end_amdhsa_kernel
	.section	.text._ZL41rocblas_syrkx_herkx_small_restrict_kernelIifLi16ELb0ELb0ELc67ELc76EKPKfKPfEviT_T0_PT6_S5_lS8_S5_lS6_PT7_S5_li,"axG",@progbits,_ZL41rocblas_syrkx_herkx_small_restrict_kernelIifLi16ELb0ELb0ELc67ELc76EKPKfKPfEviT_T0_PT6_S5_lS8_S5_lS6_PT7_S5_li,comdat
.Lfunc_end507:
	.size	_ZL41rocblas_syrkx_herkx_small_restrict_kernelIifLi16ELb0ELb0ELc67ELc76EKPKfKPfEviT_T0_PT6_S5_lS8_S5_lS6_PT7_S5_li, .Lfunc_end507-_ZL41rocblas_syrkx_herkx_small_restrict_kernelIifLi16ELb0ELb0ELc67ELc76EKPKfKPfEviT_T0_PT6_S5_lS8_S5_lS6_PT7_S5_li
                                        ; -- End function
	.set _ZL41rocblas_syrkx_herkx_small_restrict_kernelIifLi16ELb0ELb0ELc67ELc76EKPKfKPfEviT_T0_PT6_S5_lS8_S5_lS6_PT7_S5_li.num_vgpr, 21
	.set _ZL41rocblas_syrkx_herkx_small_restrict_kernelIifLi16ELb0ELb0ELc67ELc76EKPKfKPfEviT_T0_PT6_S5_lS8_S5_lS6_PT7_S5_li.num_agpr, 0
	.set _ZL41rocblas_syrkx_herkx_small_restrict_kernelIifLi16ELb0ELb0ELc67ELc76EKPKfKPfEviT_T0_PT6_S5_lS8_S5_lS6_PT7_S5_li.numbered_sgpr, 15
	.set _ZL41rocblas_syrkx_herkx_small_restrict_kernelIifLi16ELb0ELb0ELc67ELc76EKPKfKPfEviT_T0_PT6_S5_lS8_S5_lS6_PT7_S5_li.num_named_barrier, 0
	.set _ZL41rocblas_syrkx_herkx_small_restrict_kernelIifLi16ELb0ELb0ELc67ELc76EKPKfKPfEviT_T0_PT6_S5_lS8_S5_lS6_PT7_S5_li.private_seg_size, 0
	.set _ZL41rocblas_syrkx_herkx_small_restrict_kernelIifLi16ELb0ELb0ELc67ELc76EKPKfKPfEviT_T0_PT6_S5_lS8_S5_lS6_PT7_S5_li.uses_vcc, 1
	.set _ZL41rocblas_syrkx_herkx_small_restrict_kernelIifLi16ELb0ELb0ELc67ELc76EKPKfKPfEviT_T0_PT6_S5_lS8_S5_lS6_PT7_S5_li.uses_flat_scratch, 0
	.set _ZL41rocblas_syrkx_herkx_small_restrict_kernelIifLi16ELb0ELb0ELc67ELc76EKPKfKPfEviT_T0_PT6_S5_lS8_S5_lS6_PT7_S5_li.has_dyn_sized_stack, 0
	.set _ZL41rocblas_syrkx_herkx_small_restrict_kernelIifLi16ELb0ELb0ELc67ELc76EKPKfKPfEviT_T0_PT6_S5_lS8_S5_lS6_PT7_S5_li.has_recursion, 0
	.set _ZL41rocblas_syrkx_herkx_small_restrict_kernelIifLi16ELb0ELb0ELc67ELc76EKPKfKPfEviT_T0_PT6_S5_lS8_S5_lS6_PT7_S5_li.has_indirect_call, 0
	.section	.AMDGPU.csdata,"",@progbits
; Kernel info:
; codeLenInByte = 644
; TotalNumSgprs: 19
; NumVgprs: 21
; ScratchSize: 0
; MemoryBound: 0
; FloatMode: 240
; IeeeMode: 1
; LDSByteSize: 2048 bytes/workgroup (compile time only)
; SGPRBlocks: 2
; VGPRBlocks: 5
; NumSGPRsForWavesPerEU: 19
; NumVGPRsForWavesPerEU: 21
; Occupancy: 10
; WaveLimiterHint : 1
; COMPUTE_PGM_RSRC2:SCRATCH_EN: 0
; COMPUTE_PGM_RSRC2:USER_SGPR: 6
; COMPUTE_PGM_RSRC2:TRAP_HANDLER: 0
; COMPUTE_PGM_RSRC2:TGID_X_EN: 1
; COMPUTE_PGM_RSRC2:TGID_Y_EN: 1
; COMPUTE_PGM_RSRC2:TGID_Z_EN: 1
; COMPUTE_PGM_RSRC2:TIDIG_COMP_CNT: 1
	.section	.text._ZL41rocblas_syrkx_herkx_small_restrict_kernelIifLi16ELb0ELb0ELc78ELc76EKPKfKPfEviT_T0_PT6_S5_lS8_S5_lS6_PT7_S5_li,"axG",@progbits,_ZL41rocblas_syrkx_herkx_small_restrict_kernelIifLi16ELb0ELb0ELc78ELc76EKPKfKPfEviT_T0_PT6_S5_lS8_S5_lS6_PT7_S5_li,comdat
	.globl	_ZL41rocblas_syrkx_herkx_small_restrict_kernelIifLi16ELb0ELb0ELc78ELc76EKPKfKPfEviT_T0_PT6_S5_lS8_S5_lS6_PT7_S5_li ; -- Begin function _ZL41rocblas_syrkx_herkx_small_restrict_kernelIifLi16ELb0ELb0ELc78ELc76EKPKfKPfEviT_T0_PT6_S5_lS8_S5_lS6_PT7_S5_li
	.p2align	8
	.type	_ZL41rocblas_syrkx_herkx_small_restrict_kernelIifLi16ELb0ELb0ELc78ELc76EKPKfKPfEviT_T0_PT6_S5_lS8_S5_lS6_PT7_S5_li,@function
_ZL41rocblas_syrkx_herkx_small_restrict_kernelIifLi16ELb0ELb0ELc78ELc76EKPKfKPfEviT_T0_PT6_S5_lS8_S5_lS6_PT7_S5_li: ; @_ZL41rocblas_syrkx_herkx_small_restrict_kernelIifLi16ELb0ELb0ELc78ELc76EKPKfKPfEviT_T0_PT6_S5_lS8_S5_lS6_PT7_S5_li
; %bb.0:
	s_load_dwordx2 s[2:3], s[4:5], 0x48
	s_load_dwordx2 s[0:1], s[4:5], 0x4
	s_mov_b32 s9, 0
	s_lshl_b64 s[10:11], s[8:9], 3
	v_lshl_add_u32 v2, s6, 4, v0
	s_waitcnt lgkmcnt(0)
	s_add_u32 s2, s2, s10
	s_addc_u32 s3, s3, s11
	s_load_dwordx2 s[2:3], s[2:3], 0x0
	v_lshl_add_u32 v4, s7, 4, v1
	s_cmp_lt_i32 s0, 1
	v_ashrrev_i32_e32 v3, 31, v2
	s_cbranch_scc1 .LBB508_6
; %bb.1:
	s_load_dword s12, s[4:5], 0x18
	s_load_dword s6, s[4:5], 0x30
	s_load_dwordx2 s[14:15], s[4:5], 0x28
	s_load_dwordx2 s[16:17], s[4:5], 0x10
	v_lshlrev_b32_e32 v6, 6, v1
	s_waitcnt lgkmcnt(0)
	s_ashr_i32 s13, s12, 31
	s_ashr_i32 s7, s6, 31
	s_add_u32 s14, s14, s10
	s_addc_u32 s15, s15, s11
	s_add_u32 s10, s16, s10
	s_addc_u32 s11, s17, s11
	v_mad_i64_i32 v[12:13], s[16:17], s6, v0, 0
	v_lshlrev_b32_e32 v7, 2, v0
	v_ashrrev_i32_e32 v5, 31, v4
	v_add_u32_e32 v9, v7, v6
	v_add_u32_e32 v10, 0x400, v6
	v_lshlrev_b64 v[12:13], 2, v[12:13]
	v_lshlrev_b64 v[5:6], 2, v[4:5]
	s_load_dwordx2 s[14:15], s[14:15], 0x0
	v_add_co_u32_e32 v0, vcc, v12, v5
	v_addc_co_u32_e32 v8, vcc, v13, v6, vcc
	v_mad_i64_i32 v[5:6], s[16:17], s12, v1, 0
	s_load_dwordx2 s[10:11], s[10:11], 0x0
	s_waitcnt lgkmcnt(0)
	v_mov_b32_e32 v12, s15
	v_add_co_u32_e32 v0, vcc, s14, v0
	v_addc_co_u32_e32 v1, vcc, v12, v8, vcc
	v_lshlrev_b64 v[5:6], 2, v[5:6]
	v_lshlrev_b64 v[12:13], 2, v[2:3]
	s_lshl_b64 s[6:7], s[6:7], 6
	v_add_co_u32_e32 v5, vcc, v5, v12
	v_addc_co_u32_e32 v6, vcc, v6, v13, vcc
	v_mov_b32_e32 v8, s11
	v_add_co_u32_e32 v5, vcc, s10, v5
	v_add_u32_e32 v11, v10, v7
	v_addc_co_u32_e32 v6, vcc, v8, v6, vcc
	s_lshl_b64 s[10:11], s[12:13], 6
	v_mov_b32_e32 v8, 0
	v_mov_b32_e32 v12, s7
.LBB508_2:                              ; =>This Inner Loop Header: Depth=1
	flat_load_dword v13, v[5:6]
	v_mov_b32_e32 v14, s11
	v_add_co_u32_e32 v5, vcc, s10, v5
	v_addc_co_u32_e32 v6, vcc, v6, v14, vcc
	s_add_i32 s9, s9, 16
	s_cmp_lt_i32 s9, s0
	s_waitcnt vmcnt(0) lgkmcnt(0)
	ds_write_b32 v9, v13
	flat_load_dword v13, v[0:1]
	v_add_co_u32_e32 v0, vcc, s6, v0
	v_addc_co_u32_e32 v1, vcc, v1, v12, vcc
	s_waitcnt vmcnt(0) lgkmcnt(0)
	ds_write_b32 v11, v13
	s_waitcnt lgkmcnt(0)
	s_barrier
	ds_read2_b32 v[21:22], v7 offset1:16
	ds_read_b128 v[13:16], v10
	ds_read_b128 v[17:20], v10 offset:16
	s_waitcnt lgkmcnt(1)
	v_fmac_f32_e32 v8, v21, v13
	v_fmac_f32_e32 v8, v22, v14
	ds_read2_b32 v[13:14], v7 offset0:32 offset1:48
	s_waitcnt lgkmcnt(0)
	v_fmac_f32_e32 v8, v13, v15
	v_fmac_f32_e32 v8, v14, v16
	ds_read2_b32 v[13:14], v7 offset0:64 offset1:80
	ds_read2_b32 v[15:16], v7 offset0:96 offset1:112
	;; [unrolled: 1-line block ×3, first 2 shown]
	s_waitcnt lgkmcnt(2)
	v_fmac_f32_e32 v8, v13, v17
	v_fmac_f32_e32 v8, v14, v18
	s_waitcnt lgkmcnt(1)
	v_fmac_f32_e32 v8, v15, v19
	v_fmac_f32_e32 v8, v16, v20
	ds_read_b128 v[13:16], v10 offset:32
	ds_read_b128 v[17:20], v10 offset:48
	s_waitcnt lgkmcnt(1)
	v_fmac_f32_e32 v8, v21, v13
	v_fmac_f32_e32 v8, v22, v14
	ds_read2_b32 v[13:14], v7 offset0:160 offset1:176
	s_waitcnt lgkmcnt(0)
	v_fmac_f32_e32 v8, v13, v15
	v_fmac_f32_e32 v8, v14, v16
	ds_read2_b32 v[13:14], v7 offset0:192 offset1:208
	ds_read2_b32 v[15:16], v7 offset0:224 offset1:240
	s_waitcnt lgkmcnt(0)
	s_barrier
	v_fmac_f32_e32 v8, v13, v17
	v_fmac_f32_e32 v8, v14, v18
	;; [unrolled: 1-line block ×4, first 2 shown]
	s_cbranch_scc1 .LBB508_2
; %bb.3:
	v_cmp_le_i32_e32 vcc, v4, v2
	s_and_saveexec_b64 s[6:7], vcc
	s_cbranch_execz .LBB508_5
.LBB508_4:
	s_load_dword s0, s[4:5], 0x50
	v_lshlrev_b64 v[2:3], 2, v[2:3]
	s_waitcnt lgkmcnt(0)
	v_mad_i64_i32 v[0:1], s[6:7], s0, v4, 0
	v_mov_b32_e32 v4, s3
	s_load_dword s0, s[4:5], 0x40
	v_lshlrev_b64 v[0:1], 2, v[0:1]
	v_add_co_u32_e32 v0, vcc, s2, v0
	v_addc_co_u32_e32 v1, vcc, v4, v1, vcc
	v_add_co_u32_e32 v0, vcc, v0, v2
	v_addc_co_u32_e32 v1, vcc, v1, v3, vcc
	flat_load_dword v2, v[0:1]
	s_waitcnt vmcnt(0) lgkmcnt(0)
	v_mul_f32_e32 v2, s0, v2
	v_fmac_f32_e32 v2, s1, v8
	flat_store_dword v[0:1], v2
.LBB508_5:
	s_endpgm
.LBB508_6:
	v_mov_b32_e32 v8, 0
	v_cmp_le_i32_e32 vcc, v4, v2
	s_and_saveexec_b64 s[6:7], vcc
	s_cbranch_execnz .LBB508_4
	s_branch .LBB508_5
	.section	.rodata,"a",@progbits
	.p2align	6, 0x0
	.amdhsa_kernel _ZL41rocblas_syrkx_herkx_small_restrict_kernelIifLi16ELb0ELb0ELc78ELc76EKPKfKPfEviT_T0_PT6_S5_lS8_S5_lS6_PT7_S5_li
		.amdhsa_group_segment_fixed_size 2048
		.amdhsa_private_segment_fixed_size 0
		.amdhsa_kernarg_size 100
		.amdhsa_user_sgpr_count 6
		.amdhsa_user_sgpr_private_segment_buffer 1
		.amdhsa_user_sgpr_dispatch_ptr 0
		.amdhsa_user_sgpr_queue_ptr 0
		.amdhsa_user_sgpr_kernarg_segment_ptr 1
		.amdhsa_user_sgpr_dispatch_id 0
		.amdhsa_user_sgpr_flat_scratch_init 0
		.amdhsa_user_sgpr_private_segment_size 0
		.amdhsa_uses_dynamic_stack 0
		.amdhsa_system_sgpr_private_segment_wavefront_offset 0
		.amdhsa_system_sgpr_workgroup_id_x 1
		.amdhsa_system_sgpr_workgroup_id_y 1
		.amdhsa_system_sgpr_workgroup_id_z 1
		.amdhsa_system_sgpr_workgroup_info 0
		.amdhsa_system_vgpr_workitem_id 1
		.amdhsa_next_free_vgpr 23
		.amdhsa_next_free_sgpr 18
		.amdhsa_reserve_vcc 1
		.amdhsa_reserve_flat_scratch 0
		.amdhsa_float_round_mode_32 0
		.amdhsa_float_round_mode_16_64 0
		.amdhsa_float_denorm_mode_32 3
		.amdhsa_float_denorm_mode_16_64 3
		.amdhsa_dx10_clamp 1
		.amdhsa_ieee_mode 1
		.amdhsa_fp16_overflow 0
		.amdhsa_exception_fp_ieee_invalid_op 0
		.amdhsa_exception_fp_denorm_src 0
		.amdhsa_exception_fp_ieee_div_zero 0
		.amdhsa_exception_fp_ieee_overflow 0
		.amdhsa_exception_fp_ieee_underflow 0
		.amdhsa_exception_fp_ieee_inexact 0
		.amdhsa_exception_int_div_zero 0
	.end_amdhsa_kernel
	.section	.text._ZL41rocblas_syrkx_herkx_small_restrict_kernelIifLi16ELb0ELb0ELc78ELc76EKPKfKPfEviT_T0_PT6_S5_lS8_S5_lS6_PT7_S5_li,"axG",@progbits,_ZL41rocblas_syrkx_herkx_small_restrict_kernelIifLi16ELb0ELb0ELc78ELc76EKPKfKPfEviT_T0_PT6_S5_lS8_S5_lS6_PT7_S5_li,comdat
.Lfunc_end508:
	.size	_ZL41rocblas_syrkx_herkx_small_restrict_kernelIifLi16ELb0ELb0ELc78ELc76EKPKfKPfEviT_T0_PT6_S5_lS8_S5_lS6_PT7_S5_li, .Lfunc_end508-_ZL41rocblas_syrkx_herkx_small_restrict_kernelIifLi16ELb0ELb0ELc78ELc76EKPKfKPfEviT_T0_PT6_S5_lS8_S5_lS6_PT7_S5_li
                                        ; -- End function
	.set _ZL41rocblas_syrkx_herkx_small_restrict_kernelIifLi16ELb0ELb0ELc78ELc76EKPKfKPfEviT_T0_PT6_S5_lS8_S5_lS6_PT7_S5_li.num_vgpr, 23
	.set _ZL41rocblas_syrkx_herkx_small_restrict_kernelIifLi16ELb0ELb0ELc78ELc76EKPKfKPfEviT_T0_PT6_S5_lS8_S5_lS6_PT7_S5_li.num_agpr, 0
	.set _ZL41rocblas_syrkx_herkx_small_restrict_kernelIifLi16ELb0ELb0ELc78ELc76EKPKfKPfEviT_T0_PT6_S5_lS8_S5_lS6_PT7_S5_li.numbered_sgpr, 18
	.set _ZL41rocblas_syrkx_herkx_small_restrict_kernelIifLi16ELb0ELb0ELc78ELc76EKPKfKPfEviT_T0_PT6_S5_lS8_S5_lS6_PT7_S5_li.num_named_barrier, 0
	.set _ZL41rocblas_syrkx_herkx_small_restrict_kernelIifLi16ELb0ELb0ELc78ELc76EKPKfKPfEviT_T0_PT6_S5_lS8_S5_lS6_PT7_S5_li.private_seg_size, 0
	.set _ZL41rocblas_syrkx_herkx_small_restrict_kernelIifLi16ELb0ELb0ELc78ELc76EKPKfKPfEviT_T0_PT6_S5_lS8_S5_lS6_PT7_S5_li.uses_vcc, 1
	.set _ZL41rocblas_syrkx_herkx_small_restrict_kernelIifLi16ELb0ELb0ELc78ELc76EKPKfKPfEviT_T0_PT6_S5_lS8_S5_lS6_PT7_S5_li.uses_flat_scratch, 0
	.set _ZL41rocblas_syrkx_herkx_small_restrict_kernelIifLi16ELb0ELb0ELc78ELc76EKPKfKPfEviT_T0_PT6_S5_lS8_S5_lS6_PT7_S5_li.has_dyn_sized_stack, 0
	.set _ZL41rocblas_syrkx_herkx_small_restrict_kernelIifLi16ELb0ELb0ELc78ELc76EKPKfKPfEviT_T0_PT6_S5_lS8_S5_lS6_PT7_S5_li.has_recursion, 0
	.set _ZL41rocblas_syrkx_herkx_small_restrict_kernelIifLi16ELb0ELb0ELc78ELc76EKPKfKPfEviT_T0_PT6_S5_lS8_S5_lS6_PT7_S5_li.has_indirect_call, 0
	.section	.AMDGPU.csdata,"",@progbits
; Kernel info:
; codeLenInByte = 684
; TotalNumSgprs: 22
; NumVgprs: 23
; ScratchSize: 0
; MemoryBound: 0
; FloatMode: 240
; IeeeMode: 1
; LDSByteSize: 2048 bytes/workgroup (compile time only)
; SGPRBlocks: 2
; VGPRBlocks: 5
; NumSGPRsForWavesPerEU: 22
; NumVGPRsForWavesPerEU: 23
; Occupancy: 10
; WaveLimiterHint : 1
; COMPUTE_PGM_RSRC2:SCRATCH_EN: 0
; COMPUTE_PGM_RSRC2:USER_SGPR: 6
; COMPUTE_PGM_RSRC2:TRAP_HANDLER: 0
; COMPUTE_PGM_RSRC2:TGID_X_EN: 1
; COMPUTE_PGM_RSRC2:TGID_Y_EN: 1
; COMPUTE_PGM_RSRC2:TGID_Z_EN: 1
; COMPUTE_PGM_RSRC2:TIDIG_COMP_CNT: 1
	.section	.text._ZL41rocblas_syrkx_herkx_small_restrict_kernelIifLi16ELb0ELb0ELc84ELc85EKPKfKPfEviT_T0_PT6_S5_lS8_S5_lS6_PT7_S5_li,"axG",@progbits,_ZL41rocblas_syrkx_herkx_small_restrict_kernelIifLi16ELb0ELb0ELc84ELc85EKPKfKPfEviT_T0_PT6_S5_lS8_S5_lS6_PT7_S5_li,comdat
	.globl	_ZL41rocblas_syrkx_herkx_small_restrict_kernelIifLi16ELb0ELb0ELc84ELc85EKPKfKPfEviT_T0_PT6_S5_lS8_S5_lS6_PT7_S5_li ; -- Begin function _ZL41rocblas_syrkx_herkx_small_restrict_kernelIifLi16ELb0ELb0ELc84ELc85EKPKfKPfEviT_T0_PT6_S5_lS8_S5_lS6_PT7_S5_li
	.p2align	8
	.type	_ZL41rocblas_syrkx_herkx_small_restrict_kernelIifLi16ELb0ELb0ELc84ELc85EKPKfKPfEviT_T0_PT6_S5_lS8_S5_lS6_PT7_S5_li,@function
_ZL41rocblas_syrkx_herkx_small_restrict_kernelIifLi16ELb0ELb0ELc84ELc85EKPKfKPfEviT_T0_PT6_S5_lS8_S5_lS6_PT7_S5_li: ; @_ZL41rocblas_syrkx_herkx_small_restrict_kernelIifLi16ELb0ELb0ELc84ELc85EKPKfKPfEviT_T0_PT6_S5_lS8_S5_lS6_PT7_S5_li
; %bb.0:
	s_load_dwordx2 s[2:3], s[4:5], 0x48
	s_load_dwordx2 s[0:1], s[4:5], 0x4
	s_mov_b32 s9, 0
	s_lshl_b64 s[10:11], s[8:9], 3
	v_lshl_add_u32 v2, s6, 4, v0
	s_waitcnt lgkmcnt(0)
	s_add_u32 s2, s2, s10
	s_addc_u32 s3, s3, s11
	s_load_dwordx2 s[2:3], s[2:3], 0x0
	s_cmp_lt_i32 s0, 1
	v_lshl_add_u32 v5, s7, 4, v1
	s_cbranch_scc1 .LBB509_6
; %bb.1:
	s_load_dwordx2 s[6:7], s[4:5], 0x28
	s_load_dwordx2 s[12:13], s[4:5], 0x10
	s_load_dword s8, s[4:5], 0x18
	s_load_dword s14, s[4:5], 0x30
	v_lshlrev_b32_e32 v7, 2, v0
	s_waitcnt lgkmcnt(0)
	s_add_u32 s6, s6, s10
	s_addc_u32 s7, s7, s11
	s_add_u32 s10, s12, s10
	s_addc_u32 s11, s13, s11
	v_mad_i64_i32 v[3:4], s[12:13], s14, v5, 0
	s_load_dwordx2 s[6:7], s[6:7], 0x0
	v_mad_i64_i32 v[11:12], s[12:13], s8, v2, 0
	v_lshlrev_b64 v[3:4], 2, v[3:4]
	s_load_dwordx2 s[10:11], s[10:11], 0x0
	v_add_co_u32_e32 v0, vcc, v3, v7
	v_addc_co_u32_e32 v4, vcc, 0, v4, vcc
	s_waitcnt lgkmcnt(0)
	v_mov_b32_e32 v13, s7
	v_add_co_u32_e32 v3, vcc, s6, v0
	v_lshlrev_b64 v[11:12], 2, v[11:12]
	v_addc_co_u32_e32 v4, vcc, v13, v4, vcc
	v_lshlrev_b32_e32 v0, 2, v1
	v_add_co_u32_e32 v0, vcc, v11, v0
	v_lshlrev_b32_e32 v6, 6, v1
	v_addc_co_u32_e32 v1, vcc, 0, v12, vcc
	v_add_u32_e32 v9, 0x400, v6
	v_mov_b32_e32 v11, s11
	v_add_co_u32_e32 v0, vcc, s10, v0
	v_add_u32_e32 v8, v7, v6
	v_add_u32_e32 v10, v9, v7
	v_mov_b32_e32 v6, 0
	v_addc_co_u32_e32 v1, vcc, v11, v1, vcc
.LBB509_2:                              ; =>This Inner Loop Header: Depth=1
	flat_load_dword v11, v[0:1]
	v_add_co_u32_e32 v0, vcc, 64, v0
	v_addc_co_u32_e32 v1, vcc, 0, v1, vcc
	s_add_i32 s9, s9, 16
	s_cmp_lt_i32 s9, s0
	s_waitcnt vmcnt(0) lgkmcnt(0)
	ds_write_b32 v8, v11
	flat_load_dword v11, v[3:4]
	v_add_co_u32_e32 v3, vcc, 64, v3
	v_addc_co_u32_e32 v4, vcc, 0, v4, vcc
	s_waitcnt vmcnt(0) lgkmcnt(0)
	ds_write_b32 v10, v11
	s_waitcnt lgkmcnt(0)
	s_barrier
	ds_read2_b32 v[19:20], v7 offset1:16
	ds_read_b128 v[11:14], v9
	ds_read_b128 v[15:18], v9 offset:16
	s_waitcnt lgkmcnt(1)
	v_fmac_f32_e32 v6, v19, v11
	v_fmac_f32_e32 v6, v20, v12
	ds_read2_b32 v[11:12], v7 offset0:32 offset1:48
	s_waitcnt lgkmcnt(0)
	v_fmac_f32_e32 v6, v11, v13
	v_fmac_f32_e32 v6, v12, v14
	ds_read2_b32 v[11:12], v7 offset0:64 offset1:80
	ds_read2_b32 v[13:14], v7 offset0:96 offset1:112
	;; [unrolled: 1-line block ×3, first 2 shown]
	s_waitcnt lgkmcnt(2)
	v_fmac_f32_e32 v6, v11, v15
	v_fmac_f32_e32 v6, v12, v16
	s_waitcnt lgkmcnt(1)
	v_fmac_f32_e32 v6, v13, v17
	v_fmac_f32_e32 v6, v14, v18
	ds_read_b128 v[11:14], v9 offset:32
	ds_read_b128 v[15:18], v9 offset:48
	s_waitcnt lgkmcnt(1)
	v_fmac_f32_e32 v6, v19, v11
	v_fmac_f32_e32 v6, v20, v12
	ds_read2_b32 v[11:12], v7 offset0:160 offset1:176
	s_waitcnt lgkmcnt(0)
	v_fmac_f32_e32 v6, v11, v13
	v_fmac_f32_e32 v6, v12, v14
	ds_read2_b32 v[11:12], v7 offset0:192 offset1:208
	ds_read2_b32 v[13:14], v7 offset0:224 offset1:240
	s_waitcnt lgkmcnt(0)
	s_barrier
	v_fmac_f32_e32 v6, v11, v15
	v_fmac_f32_e32 v6, v12, v16
	;; [unrolled: 1-line block ×4, first 2 shown]
	s_cbranch_scc1 .LBB509_2
; %bb.3:
	v_cmp_le_i32_e32 vcc, v2, v5
	s_and_saveexec_b64 s[6:7], vcc
	s_cbranch_execz .LBB509_5
.LBB509_4:
	s_load_dword s0, s[4:5], 0x50
	v_ashrrev_i32_e32 v3, 31, v2
	s_waitcnt lgkmcnt(0)
	v_mov_b32_e32 v4, s3
	v_lshlrev_b64 v[2:3], 2, v[2:3]
	v_mad_i64_i32 v[0:1], s[6:7], s0, v5, 0
	s_load_dword s0, s[4:5], 0x40
	v_lshlrev_b64 v[0:1], 2, v[0:1]
	v_add_co_u32_e32 v0, vcc, s2, v0
	v_addc_co_u32_e32 v1, vcc, v4, v1, vcc
	v_add_co_u32_e32 v0, vcc, v0, v2
	v_addc_co_u32_e32 v1, vcc, v1, v3, vcc
	flat_load_dword v2, v[0:1]
	s_waitcnt vmcnt(0) lgkmcnt(0)
	v_mul_f32_e32 v2, s0, v2
	v_fmac_f32_e32 v2, s1, v6
	flat_store_dword v[0:1], v2
.LBB509_5:
	s_endpgm
.LBB509_6:
	v_mov_b32_e32 v6, 0
	v_cmp_le_i32_e32 vcc, v2, v5
	s_and_saveexec_b64 s[6:7], vcc
	s_cbranch_execnz .LBB509_4
	s_branch .LBB509_5
	.section	.rodata,"a",@progbits
	.p2align	6, 0x0
	.amdhsa_kernel _ZL41rocblas_syrkx_herkx_small_restrict_kernelIifLi16ELb0ELb0ELc84ELc85EKPKfKPfEviT_T0_PT6_S5_lS8_S5_lS6_PT7_S5_li
		.amdhsa_group_segment_fixed_size 2048
		.amdhsa_private_segment_fixed_size 0
		.amdhsa_kernarg_size 100
		.amdhsa_user_sgpr_count 6
		.amdhsa_user_sgpr_private_segment_buffer 1
		.amdhsa_user_sgpr_dispatch_ptr 0
		.amdhsa_user_sgpr_queue_ptr 0
		.amdhsa_user_sgpr_kernarg_segment_ptr 1
		.amdhsa_user_sgpr_dispatch_id 0
		.amdhsa_user_sgpr_flat_scratch_init 0
		.amdhsa_user_sgpr_private_segment_size 0
		.amdhsa_uses_dynamic_stack 0
		.amdhsa_system_sgpr_private_segment_wavefront_offset 0
		.amdhsa_system_sgpr_workgroup_id_x 1
		.amdhsa_system_sgpr_workgroup_id_y 1
		.amdhsa_system_sgpr_workgroup_id_z 1
		.amdhsa_system_sgpr_workgroup_info 0
		.amdhsa_system_vgpr_workitem_id 1
		.amdhsa_next_free_vgpr 21
		.amdhsa_next_free_sgpr 15
		.amdhsa_reserve_vcc 1
		.amdhsa_reserve_flat_scratch 0
		.amdhsa_float_round_mode_32 0
		.amdhsa_float_round_mode_16_64 0
		.amdhsa_float_denorm_mode_32 3
		.amdhsa_float_denorm_mode_16_64 3
		.amdhsa_dx10_clamp 1
		.amdhsa_ieee_mode 1
		.amdhsa_fp16_overflow 0
		.amdhsa_exception_fp_ieee_invalid_op 0
		.amdhsa_exception_fp_denorm_src 0
		.amdhsa_exception_fp_ieee_div_zero 0
		.amdhsa_exception_fp_ieee_overflow 0
		.amdhsa_exception_fp_ieee_underflow 0
		.amdhsa_exception_fp_ieee_inexact 0
		.amdhsa_exception_int_div_zero 0
	.end_amdhsa_kernel
	.section	.text._ZL41rocblas_syrkx_herkx_small_restrict_kernelIifLi16ELb0ELb0ELc84ELc85EKPKfKPfEviT_T0_PT6_S5_lS8_S5_lS6_PT7_S5_li,"axG",@progbits,_ZL41rocblas_syrkx_herkx_small_restrict_kernelIifLi16ELb0ELb0ELc84ELc85EKPKfKPfEviT_T0_PT6_S5_lS8_S5_lS6_PT7_S5_li,comdat
.Lfunc_end509:
	.size	_ZL41rocblas_syrkx_herkx_small_restrict_kernelIifLi16ELb0ELb0ELc84ELc85EKPKfKPfEviT_T0_PT6_S5_lS8_S5_lS6_PT7_S5_li, .Lfunc_end509-_ZL41rocblas_syrkx_herkx_small_restrict_kernelIifLi16ELb0ELb0ELc84ELc85EKPKfKPfEviT_T0_PT6_S5_lS8_S5_lS6_PT7_S5_li
                                        ; -- End function
	.set _ZL41rocblas_syrkx_herkx_small_restrict_kernelIifLi16ELb0ELb0ELc84ELc85EKPKfKPfEviT_T0_PT6_S5_lS8_S5_lS6_PT7_S5_li.num_vgpr, 21
	.set _ZL41rocblas_syrkx_herkx_small_restrict_kernelIifLi16ELb0ELb0ELc84ELc85EKPKfKPfEviT_T0_PT6_S5_lS8_S5_lS6_PT7_S5_li.num_agpr, 0
	.set _ZL41rocblas_syrkx_herkx_small_restrict_kernelIifLi16ELb0ELb0ELc84ELc85EKPKfKPfEviT_T0_PT6_S5_lS8_S5_lS6_PT7_S5_li.numbered_sgpr, 15
	.set _ZL41rocblas_syrkx_herkx_small_restrict_kernelIifLi16ELb0ELb0ELc84ELc85EKPKfKPfEviT_T0_PT6_S5_lS8_S5_lS6_PT7_S5_li.num_named_barrier, 0
	.set _ZL41rocblas_syrkx_herkx_small_restrict_kernelIifLi16ELb0ELb0ELc84ELc85EKPKfKPfEviT_T0_PT6_S5_lS8_S5_lS6_PT7_S5_li.private_seg_size, 0
	.set _ZL41rocblas_syrkx_herkx_small_restrict_kernelIifLi16ELb0ELb0ELc84ELc85EKPKfKPfEviT_T0_PT6_S5_lS8_S5_lS6_PT7_S5_li.uses_vcc, 1
	.set _ZL41rocblas_syrkx_herkx_small_restrict_kernelIifLi16ELb0ELb0ELc84ELc85EKPKfKPfEviT_T0_PT6_S5_lS8_S5_lS6_PT7_S5_li.uses_flat_scratch, 0
	.set _ZL41rocblas_syrkx_herkx_small_restrict_kernelIifLi16ELb0ELb0ELc84ELc85EKPKfKPfEviT_T0_PT6_S5_lS8_S5_lS6_PT7_S5_li.has_dyn_sized_stack, 0
	.set _ZL41rocblas_syrkx_herkx_small_restrict_kernelIifLi16ELb0ELb0ELc84ELc85EKPKfKPfEviT_T0_PT6_S5_lS8_S5_lS6_PT7_S5_li.has_recursion, 0
	.set _ZL41rocblas_syrkx_herkx_small_restrict_kernelIifLi16ELb0ELb0ELc84ELc85EKPKfKPfEviT_T0_PT6_S5_lS8_S5_lS6_PT7_S5_li.has_indirect_call, 0
	.section	.AMDGPU.csdata,"",@progbits
; Kernel info:
; codeLenInByte = 644
; TotalNumSgprs: 19
; NumVgprs: 21
; ScratchSize: 0
; MemoryBound: 0
; FloatMode: 240
; IeeeMode: 1
; LDSByteSize: 2048 bytes/workgroup (compile time only)
; SGPRBlocks: 2
; VGPRBlocks: 5
; NumSGPRsForWavesPerEU: 19
; NumVGPRsForWavesPerEU: 21
; Occupancy: 10
; WaveLimiterHint : 1
; COMPUTE_PGM_RSRC2:SCRATCH_EN: 0
; COMPUTE_PGM_RSRC2:USER_SGPR: 6
; COMPUTE_PGM_RSRC2:TRAP_HANDLER: 0
; COMPUTE_PGM_RSRC2:TGID_X_EN: 1
; COMPUTE_PGM_RSRC2:TGID_Y_EN: 1
; COMPUTE_PGM_RSRC2:TGID_Z_EN: 1
; COMPUTE_PGM_RSRC2:TIDIG_COMP_CNT: 1
	.section	.text._ZL41rocblas_syrkx_herkx_small_restrict_kernelIifLi16ELb0ELb0ELc67ELc85EKPKfKPfEviT_T0_PT6_S5_lS8_S5_lS6_PT7_S5_li,"axG",@progbits,_ZL41rocblas_syrkx_herkx_small_restrict_kernelIifLi16ELb0ELb0ELc67ELc85EKPKfKPfEviT_T0_PT6_S5_lS8_S5_lS6_PT7_S5_li,comdat
	.globl	_ZL41rocblas_syrkx_herkx_small_restrict_kernelIifLi16ELb0ELb0ELc67ELc85EKPKfKPfEviT_T0_PT6_S5_lS8_S5_lS6_PT7_S5_li ; -- Begin function _ZL41rocblas_syrkx_herkx_small_restrict_kernelIifLi16ELb0ELb0ELc67ELc85EKPKfKPfEviT_T0_PT6_S5_lS8_S5_lS6_PT7_S5_li
	.p2align	8
	.type	_ZL41rocblas_syrkx_herkx_small_restrict_kernelIifLi16ELb0ELb0ELc67ELc85EKPKfKPfEviT_T0_PT6_S5_lS8_S5_lS6_PT7_S5_li,@function
_ZL41rocblas_syrkx_herkx_small_restrict_kernelIifLi16ELb0ELb0ELc67ELc85EKPKfKPfEviT_T0_PT6_S5_lS8_S5_lS6_PT7_S5_li: ; @_ZL41rocblas_syrkx_herkx_small_restrict_kernelIifLi16ELb0ELb0ELc67ELc85EKPKfKPfEviT_T0_PT6_S5_lS8_S5_lS6_PT7_S5_li
; %bb.0:
	s_load_dwordx2 s[2:3], s[4:5], 0x48
	s_load_dwordx2 s[0:1], s[4:5], 0x4
	s_mov_b32 s9, 0
	s_lshl_b64 s[10:11], s[8:9], 3
	v_lshl_add_u32 v2, s6, 4, v0
	s_waitcnt lgkmcnt(0)
	s_add_u32 s2, s2, s10
	s_addc_u32 s3, s3, s11
	s_load_dwordx2 s[2:3], s[2:3], 0x0
	s_cmp_lt_i32 s0, 1
	v_lshl_add_u32 v5, s7, 4, v1
	s_cbranch_scc1 .LBB510_6
; %bb.1:
	s_load_dwordx2 s[6:7], s[4:5], 0x28
	s_load_dwordx2 s[12:13], s[4:5], 0x10
	s_load_dword s8, s[4:5], 0x18
	s_load_dword s14, s[4:5], 0x30
	v_lshlrev_b32_e32 v7, 2, v0
	s_waitcnt lgkmcnt(0)
	s_add_u32 s6, s6, s10
	s_addc_u32 s7, s7, s11
	s_add_u32 s10, s12, s10
	s_addc_u32 s11, s13, s11
	v_mad_i64_i32 v[3:4], s[12:13], s14, v5, 0
	s_load_dwordx2 s[6:7], s[6:7], 0x0
	v_mad_i64_i32 v[11:12], s[12:13], s8, v2, 0
	v_lshlrev_b64 v[3:4], 2, v[3:4]
	s_load_dwordx2 s[10:11], s[10:11], 0x0
	v_add_co_u32_e32 v0, vcc, v3, v7
	v_addc_co_u32_e32 v4, vcc, 0, v4, vcc
	s_waitcnt lgkmcnt(0)
	v_mov_b32_e32 v13, s7
	v_add_co_u32_e32 v3, vcc, s6, v0
	v_lshlrev_b64 v[11:12], 2, v[11:12]
	v_addc_co_u32_e32 v4, vcc, v13, v4, vcc
	v_lshlrev_b32_e32 v0, 2, v1
	v_add_co_u32_e32 v0, vcc, v11, v0
	v_lshlrev_b32_e32 v6, 6, v1
	v_addc_co_u32_e32 v1, vcc, 0, v12, vcc
	v_add_u32_e32 v9, 0x400, v6
	v_mov_b32_e32 v11, s11
	v_add_co_u32_e32 v0, vcc, s10, v0
	v_add_u32_e32 v8, v7, v6
	v_add_u32_e32 v10, v9, v7
	v_mov_b32_e32 v6, 0
	v_addc_co_u32_e32 v1, vcc, v11, v1, vcc
.LBB510_2:                              ; =>This Inner Loop Header: Depth=1
	flat_load_dword v11, v[0:1]
	v_add_co_u32_e32 v0, vcc, 64, v0
	v_addc_co_u32_e32 v1, vcc, 0, v1, vcc
	s_add_i32 s9, s9, 16
	s_cmp_lt_i32 s9, s0
	s_waitcnt vmcnt(0) lgkmcnt(0)
	ds_write_b32 v8, v11
	flat_load_dword v11, v[3:4]
	v_add_co_u32_e32 v3, vcc, 64, v3
	v_addc_co_u32_e32 v4, vcc, 0, v4, vcc
	s_waitcnt vmcnt(0) lgkmcnt(0)
	ds_write_b32 v10, v11
	s_waitcnt lgkmcnt(0)
	s_barrier
	ds_read2_b32 v[19:20], v7 offset1:16
	ds_read_b128 v[11:14], v9
	ds_read_b128 v[15:18], v9 offset:16
	s_waitcnt lgkmcnt(1)
	v_fmac_f32_e32 v6, v19, v11
	v_fmac_f32_e32 v6, v20, v12
	ds_read2_b32 v[11:12], v7 offset0:32 offset1:48
	s_waitcnt lgkmcnt(0)
	v_fmac_f32_e32 v6, v11, v13
	v_fmac_f32_e32 v6, v12, v14
	ds_read2_b32 v[11:12], v7 offset0:64 offset1:80
	ds_read2_b32 v[13:14], v7 offset0:96 offset1:112
	;; [unrolled: 1-line block ×3, first 2 shown]
	s_waitcnt lgkmcnt(2)
	v_fmac_f32_e32 v6, v11, v15
	v_fmac_f32_e32 v6, v12, v16
	s_waitcnt lgkmcnt(1)
	v_fmac_f32_e32 v6, v13, v17
	v_fmac_f32_e32 v6, v14, v18
	ds_read_b128 v[11:14], v9 offset:32
	ds_read_b128 v[15:18], v9 offset:48
	s_waitcnt lgkmcnt(1)
	v_fmac_f32_e32 v6, v19, v11
	v_fmac_f32_e32 v6, v20, v12
	ds_read2_b32 v[11:12], v7 offset0:160 offset1:176
	s_waitcnt lgkmcnt(0)
	v_fmac_f32_e32 v6, v11, v13
	v_fmac_f32_e32 v6, v12, v14
	ds_read2_b32 v[11:12], v7 offset0:192 offset1:208
	ds_read2_b32 v[13:14], v7 offset0:224 offset1:240
	s_waitcnt lgkmcnt(0)
	s_barrier
	v_fmac_f32_e32 v6, v11, v15
	v_fmac_f32_e32 v6, v12, v16
	;; [unrolled: 1-line block ×4, first 2 shown]
	s_cbranch_scc1 .LBB510_2
; %bb.3:
	v_cmp_le_i32_e32 vcc, v2, v5
	s_and_saveexec_b64 s[6:7], vcc
	s_cbranch_execz .LBB510_5
.LBB510_4:
	s_load_dword s0, s[4:5], 0x50
	v_ashrrev_i32_e32 v3, 31, v2
	s_waitcnt lgkmcnt(0)
	v_mov_b32_e32 v4, s3
	v_lshlrev_b64 v[2:3], 2, v[2:3]
	v_mad_i64_i32 v[0:1], s[6:7], s0, v5, 0
	s_load_dword s0, s[4:5], 0x40
	v_lshlrev_b64 v[0:1], 2, v[0:1]
	v_add_co_u32_e32 v0, vcc, s2, v0
	v_addc_co_u32_e32 v1, vcc, v4, v1, vcc
	v_add_co_u32_e32 v0, vcc, v0, v2
	v_addc_co_u32_e32 v1, vcc, v1, v3, vcc
	flat_load_dword v2, v[0:1]
	s_waitcnt vmcnt(0) lgkmcnt(0)
	v_mul_f32_e32 v2, s0, v2
	v_fmac_f32_e32 v2, s1, v6
	flat_store_dword v[0:1], v2
.LBB510_5:
	s_endpgm
.LBB510_6:
	v_mov_b32_e32 v6, 0
	v_cmp_le_i32_e32 vcc, v2, v5
	s_and_saveexec_b64 s[6:7], vcc
	s_cbranch_execnz .LBB510_4
	s_branch .LBB510_5
	.section	.rodata,"a",@progbits
	.p2align	6, 0x0
	.amdhsa_kernel _ZL41rocblas_syrkx_herkx_small_restrict_kernelIifLi16ELb0ELb0ELc67ELc85EKPKfKPfEviT_T0_PT6_S5_lS8_S5_lS6_PT7_S5_li
		.amdhsa_group_segment_fixed_size 2048
		.amdhsa_private_segment_fixed_size 0
		.amdhsa_kernarg_size 100
		.amdhsa_user_sgpr_count 6
		.amdhsa_user_sgpr_private_segment_buffer 1
		.amdhsa_user_sgpr_dispatch_ptr 0
		.amdhsa_user_sgpr_queue_ptr 0
		.amdhsa_user_sgpr_kernarg_segment_ptr 1
		.amdhsa_user_sgpr_dispatch_id 0
		.amdhsa_user_sgpr_flat_scratch_init 0
		.amdhsa_user_sgpr_private_segment_size 0
		.amdhsa_uses_dynamic_stack 0
		.amdhsa_system_sgpr_private_segment_wavefront_offset 0
		.amdhsa_system_sgpr_workgroup_id_x 1
		.amdhsa_system_sgpr_workgroup_id_y 1
		.amdhsa_system_sgpr_workgroup_id_z 1
		.amdhsa_system_sgpr_workgroup_info 0
		.amdhsa_system_vgpr_workitem_id 1
		.amdhsa_next_free_vgpr 21
		.amdhsa_next_free_sgpr 15
		.amdhsa_reserve_vcc 1
		.amdhsa_reserve_flat_scratch 0
		.amdhsa_float_round_mode_32 0
		.amdhsa_float_round_mode_16_64 0
		.amdhsa_float_denorm_mode_32 3
		.amdhsa_float_denorm_mode_16_64 3
		.amdhsa_dx10_clamp 1
		.amdhsa_ieee_mode 1
		.amdhsa_fp16_overflow 0
		.amdhsa_exception_fp_ieee_invalid_op 0
		.amdhsa_exception_fp_denorm_src 0
		.amdhsa_exception_fp_ieee_div_zero 0
		.amdhsa_exception_fp_ieee_overflow 0
		.amdhsa_exception_fp_ieee_underflow 0
		.amdhsa_exception_fp_ieee_inexact 0
		.amdhsa_exception_int_div_zero 0
	.end_amdhsa_kernel
	.section	.text._ZL41rocblas_syrkx_herkx_small_restrict_kernelIifLi16ELb0ELb0ELc67ELc85EKPKfKPfEviT_T0_PT6_S5_lS8_S5_lS6_PT7_S5_li,"axG",@progbits,_ZL41rocblas_syrkx_herkx_small_restrict_kernelIifLi16ELb0ELb0ELc67ELc85EKPKfKPfEviT_T0_PT6_S5_lS8_S5_lS6_PT7_S5_li,comdat
.Lfunc_end510:
	.size	_ZL41rocblas_syrkx_herkx_small_restrict_kernelIifLi16ELb0ELb0ELc67ELc85EKPKfKPfEviT_T0_PT6_S5_lS8_S5_lS6_PT7_S5_li, .Lfunc_end510-_ZL41rocblas_syrkx_herkx_small_restrict_kernelIifLi16ELb0ELb0ELc67ELc85EKPKfKPfEviT_T0_PT6_S5_lS8_S5_lS6_PT7_S5_li
                                        ; -- End function
	.set _ZL41rocblas_syrkx_herkx_small_restrict_kernelIifLi16ELb0ELb0ELc67ELc85EKPKfKPfEviT_T0_PT6_S5_lS8_S5_lS6_PT7_S5_li.num_vgpr, 21
	.set _ZL41rocblas_syrkx_herkx_small_restrict_kernelIifLi16ELb0ELb0ELc67ELc85EKPKfKPfEviT_T0_PT6_S5_lS8_S5_lS6_PT7_S5_li.num_agpr, 0
	.set _ZL41rocblas_syrkx_herkx_small_restrict_kernelIifLi16ELb0ELb0ELc67ELc85EKPKfKPfEviT_T0_PT6_S5_lS8_S5_lS6_PT7_S5_li.numbered_sgpr, 15
	.set _ZL41rocblas_syrkx_herkx_small_restrict_kernelIifLi16ELb0ELb0ELc67ELc85EKPKfKPfEviT_T0_PT6_S5_lS8_S5_lS6_PT7_S5_li.num_named_barrier, 0
	.set _ZL41rocblas_syrkx_herkx_small_restrict_kernelIifLi16ELb0ELb0ELc67ELc85EKPKfKPfEviT_T0_PT6_S5_lS8_S5_lS6_PT7_S5_li.private_seg_size, 0
	.set _ZL41rocblas_syrkx_herkx_small_restrict_kernelIifLi16ELb0ELb0ELc67ELc85EKPKfKPfEviT_T0_PT6_S5_lS8_S5_lS6_PT7_S5_li.uses_vcc, 1
	.set _ZL41rocblas_syrkx_herkx_small_restrict_kernelIifLi16ELb0ELb0ELc67ELc85EKPKfKPfEviT_T0_PT6_S5_lS8_S5_lS6_PT7_S5_li.uses_flat_scratch, 0
	.set _ZL41rocblas_syrkx_herkx_small_restrict_kernelIifLi16ELb0ELb0ELc67ELc85EKPKfKPfEviT_T0_PT6_S5_lS8_S5_lS6_PT7_S5_li.has_dyn_sized_stack, 0
	.set _ZL41rocblas_syrkx_herkx_small_restrict_kernelIifLi16ELb0ELb0ELc67ELc85EKPKfKPfEviT_T0_PT6_S5_lS8_S5_lS6_PT7_S5_li.has_recursion, 0
	.set _ZL41rocblas_syrkx_herkx_small_restrict_kernelIifLi16ELb0ELb0ELc67ELc85EKPKfKPfEviT_T0_PT6_S5_lS8_S5_lS6_PT7_S5_li.has_indirect_call, 0
	.section	.AMDGPU.csdata,"",@progbits
; Kernel info:
; codeLenInByte = 644
; TotalNumSgprs: 19
; NumVgprs: 21
; ScratchSize: 0
; MemoryBound: 0
; FloatMode: 240
; IeeeMode: 1
; LDSByteSize: 2048 bytes/workgroup (compile time only)
; SGPRBlocks: 2
; VGPRBlocks: 5
; NumSGPRsForWavesPerEU: 19
; NumVGPRsForWavesPerEU: 21
; Occupancy: 10
; WaveLimiterHint : 1
; COMPUTE_PGM_RSRC2:SCRATCH_EN: 0
; COMPUTE_PGM_RSRC2:USER_SGPR: 6
; COMPUTE_PGM_RSRC2:TRAP_HANDLER: 0
; COMPUTE_PGM_RSRC2:TGID_X_EN: 1
; COMPUTE_PGM_RSRC2:TGID_Y_EN: 1
; COMPUTE_PGM_RSRC2:TGID_Z_EN: 1
; COMPUTE_PGM_RSRC2:TIDIG_COMP_CNT: 1
	.section	.text._ZL41rocblas_syrkx_herkx_small_restrict_kernelIifLi16ELb0ELb0ELc78ELc85EKPKfKPfEviT_T0_PT6_S5_lS8_S5_lS6_PT7_S5_li,"axG",@progbits,_ZL41rocblas_syrkx_herkx_small_restrict_kernelIifLi16ELb0ELb0ELc78ELc85EKPKfKPfEviT_T0_PT6_S5_lS8_S5_lS6_PT7_S5_li,comdat
	.globl	_ZL41rocblas_syrkx_herkx_small_restrict_kernelIifLi16ELb0ELb0ELc78ELc85EKPKfKPfEviT_T0_PT6_S5_lS8_S5_lS6_PT7_S5_li ; -- Begin function _ZL41rocblas_syrkx_herkx_small_restrict_kernelIifLi16ELb0ELb0ELc78ELc85EKPKfKPfEviT_T0_PT6_S5_lS8_S5_lS6_PT7_S5_li
	.p2align	8
	.type	_ZL41rocblas_syrkx_herkx_small_restrict_kernelIifLi16ELb0ELb0ELc78ELc85EKPKfKPfEviT_T0_PT6_S5_lS8_S5_lS6_PT7_S5_li,@function
_ZL41rocblas_syrkx_herkx_small_restrict_kernelIifLi16ELb0ELb0ELc78ELc85EKPKfKPfEviT_T0_PT6_S5_lS8_S5_lS6_PT7_S5_li: ; @_ZL41rocblas_syrkx_herkx_small_restrict_kernelIifLi16ELb0ELb0ELc78ELc85EKPKfKPfEviT_T0_PT6_S5_lS8_S5_lS6_PT7_S5_li
; %bb.0:
	s_load_dwordx2 s[2:3], s[4:5], 0x48
	s_load_dwordx2 s[0:1], s[4:5], 0x4
	s_mov_b32 s9, 0
	s_lshl_b64 s[10:11], s[8:9], 3
	v_lshl_add_u32 v2, s6, 4, v0
	s_waitcnt lgkmcnt(0)
	s_add_u32 s2, s2, s10
	s_addc_u32 s3, s3, s11
	s_load_dwordx2 s[2:3], s[2:3], 0x0
	v_lshl_add_u32 v4, s7, 4, v1
	s_cmp_lt_i32 s0, 1
	v_ashrrev_i32_e32 v3, 31, v2
	s_cbranch_scc1 .LBB511_6
; %bb.1:
	s_load_dword s12, s[4:5], 0x18
	s_load_dword s6, s[4:5], 0x30
	s_load_dwordx2 s[14:15], s[4:5], 0x28
	s_load_dwordx2 s[16:17], s[4:5], 0x10
	v_lshlrev_b32_e32 v6, 6, v1
	s_waitcnt lgkmcnt(0)
	s_ashr_i32 s13, s12, 31
	s_ashr_i32 s7, s6, 31
	s_add_u32 s14, s14, s10
	s_addc_u32 s15, s15, s11
	s_add_u32 s10, s16, s10
	s_addc_u32 s11, s17, s11
	v_mad_i64_i32 v[12:13], s[16:17], s6, v0, 0
	v_lshlrev_b32_e32 v7, 2, v0
	v_ashrrev_i32_e32 v5, 31, v4
	v_add_u32_e32 v9, v7, v6
	v_add_u32_e32 v10, 0x400, v6
	v_lshlrev_b64 v[12:13], 2, v[12:13]
	v_lshlrev_b64 v[5:6], 2, v[4:5]
	s_load_dwordx2 s[14:15], s[14:15], 0x0
	v_add_co_u32_e32 v0, vcc, v12, v5
	v_addc_co_u32_e32 v8, vcc, v13, v6, vcc
	v_mad_i64_i32 v[5:6], s[16:17], s12, v1, 0
	s_load_dwordx2 s[10:11], s[10:11], 0x0
	s_waitcnt lgkmcnt(0)
	v_mov_b32_e32 v12, s15
	v_add_co_u32_e32 v0, vcc, s14, v0
	v_addc_co_u32_e32 v1, vcc, v12, v8, vcc
	v_lshlrev_b64 v[5:6], 2, v[5:6]
	v_lshlrev_b64 v[12:13], 2, v[2:3]
	s_lshl_b64 s[6:7], s[6:7], 6
	v_add_co_u32_e32 v5, vcc, v5, v12
	v_addc_co_u32_e32 v6, vcc, v6, v13, vcc
	v_mov_b32_e32 v8, s11
	v_add_co_u32_e32 v5, vcc, s10, v5
	v_add_u32_e32 v11, v10, v7
	v_addc_co_u32_e32 v6, vcc, v8, v6, vcc
	s_lshl_b64 s[10:11], s[12:13], 6
	v_mov_b32_e32 v8, 0
	v_mov_b32_e32 v12, s7
.LBB511_2:                              ; =>This Inner Loop Header: Depth=1
	flat_load_dword v13, v[5:6]
	v_mov_b32_e32 v14, s11
	v_add_co_u32_e32 v5, vcc, s10, v5
	v_addc_co_u32_e32 v6, vcc, v6, v14, vcc
	s_add_i32 s9, s9, 16
	s_cmp_lt_i32 s9, s0
	s_waitcnt vmcnt(0) lgkmcnt(0)
	ds_write_b32 v9, v13
	flat_load_dword v13, v[0:1]
	v_add_co_u32_e32 v0, vcc, s6, v0
	v_addc_co_u32_e32 v1, vcc, v1, v12, vcc
	s_waitcnt vmcnt(0) lgkmcnt(0)
	ds_write_b32 v11, v13
	s_waitcnt lgkmcnt(0)
	s_barrier
	ds_read2_b32 v[21:22], v7 offset1:16
	ds_read_b128 v[13:16], v10
	ds_read_b128 v[17:20], v10 offset:16
	s_waitcnt lgkmcnt(1)
	v_fmac_f32_e32 v8, v21, v13
	v_fmac_f32_e32 v8, v22, v14
	ds_read2_b32 v[13:14], v7 offset0:32 offset1:48
	s_waitcnt lgkmcnt(0)
	v_fmac_f32_e32 v8, v13, v15
	v_fmac_f32_e32 v8, v14, v16
	ds_read2_b32 v[13:14], v7 offset0:64 offset1:80
	ds_read2_b32 v[15:16], v7 offset0:96 offset1:112
	;; [unrolled: 1-line block ×3, first 2 shown]
	s_waitcnt lgkmcnt(2)
	v_fmac_f32_e32 v8, v13, v17
	v_fmac_f32_e32 v8, v14, v18
	s_waitcnt lgkmcnt(1)
	v_fmac_f32_e32 v8, v15, v19
	v_fmac_f32_e32 v8, v16, v20
	ds_read_b128 v[13:16], v10 offset:32
	ds_read_b128 v[17:20], v10 offset:48
	s_waitcnt lgkmcnt(1)
	v_fmac_f32_e32 v8, v21, v13
	v_fmac_f32_e32 v8, v22, v14
	ds_read2_b32 v[13:14], v7 offset0:160 offset1:176
	s_waitcnt lgkmcnt(0)
	v_fmac_f32_e32 v8, v13, v15
	v_fmac_f32_e32 v8, v14, v16
	ds_read2_b32 v[13:14], v7 offset0:192 offset1:208
	ds_read2_b32 v[15:16], v7 offset0:224 offset1:240
	s_waitcnt lgkmcnt(0)
	s_barrier
	v_fmac_f32_e32 v8, v13, v17
	v_fmac_f32_e32 v8, v14, v18
	;; [unrolled: 1-line block ×4, first 2 shown]
	s_cbranch_scc1 .LBB511_2
; %bb.3:
	v_cmp_le_i32_e32 vcc, v2, v4
	s_and_saveexec_b64 s[6:7], vcc
	s_cbranch_execz .LBB511_5
.LBB511_4:
	s_load_dword s0, s[4:5], 0x50
	v_lshlrev_b64 v[2:3], 2, v[2:3]
	s_waitcnt lgkmcnt(0)
	v_mad_i64_i32 v[0:1], s[6:7], s0, v4, 0
	v_mov_b32_e32 v4, s3
	s_load_dword s0, s[4:5], 0x40
	v_lshlrev_b64 v[0:1], 2, v[0:1]
	v_add_co_u32_e32 v0, vcc, s2, v0
	v_addc_co_u32_e32 v1, vcc, v4, v1, vcc
	v_add_co_u32_e32 v0, vcc, v0, v2
	v_addc_co_u32_e32 v1, vcc, v1, v3, vcc
	flat_load_dword v2, v[0:1]
	s_waitcnt vmcnt(0) lgkmcnt(0)
	v_mul_f32_e32 v2, s0, v2
	v_fmac_f32_e32 v2, s1, v8
	flat_store_dword v[0:1], v2
.LBB511_5:
	s_endpgm
.LBB511_6:
	v_mov_b32_e32 v8, 0
	v_cmp_le_i32_e32 vcc, v2, v4
	s_and_saveexec_b64 s[6:7], vcc
	s_cbranch_execnz .LBB511_4
	s_branch .LBB511_5
	.section	.rodata,"a",@progbits
	.p2align	6, 0x0
	.amdhsa_kernel _ZL41rocblas_syrkx_herkx_small_restrict_kernelIifLi16ELb0ELb0ELc78ELc85EKPKfKPfEviT_T0_PT6_S5_lS8_S5_lS6_PT7_S5_li
		.amdhsa_group_segment_fixed_size 2048
		.amdhsa_private_segment_fixed_size 0
		.amdhsa_kernarg_size 100
		.amdhsa_user_sgpr_count 6
		.amdhsa_user_sgpr_private_segment_buffer 1
		.amdhsa_user_sgpr_dispatch_ptr 0
		.amdhsa_user_sgpr_queue_ptr 0
		.amdhsa_user_sgpr_kernarg_segment_ptr 1
		.amdhsa_user_sgpr_dispatch_id 0
		.amdhsa_user_sgpr_flat_scratch_init 0
		.amdhsa_user_sgpr_private_segment_size 0
		.amdhsa_uses_dynamic_stack 0
		.amdhsa_system_sgpr_private_segment_wavefront_offset 0
		.amdhsa_system_sgpr_workgroup_id_x 1
		.amdhsa_system_sgpr_workgroup_id_y 1
		.amdhsa_system_sgpr_workgroup_id_z 1
		.amdhsa_system_sgpr_workgroup_info 0
		.amdhsa_system_vgpr_workitem_id 1
		.amdhsa_next_free_vgpr 23
		.amdhsa_next_free_sgpr 18
		.amdhsa_reserve_vcc 1
		.amdhsa_reserve_flat_scratch 0
		.amdhsa_float_round_mode_32 0
		.amdhsa_float_round_mode_16_64 0
		.amdhsa_float_denorm_mode_32 3
		.amdhsa_float_denorm_mode_16_64 3
		.amdhsa_dx10_clamp 1
		.amdhsa_ieee_mode 1
		.amdhsa_fp16_overflow 0
		.amdhsa_exception_fp_ieee_invalid_op 0
		.amdhsa_exception_fp_denorm_src 0
		.amdhsa_exception_fp_ieee_div_zero 0
		.amdhsa_exception_fp_ieee_overflow 0
		.amdhsa_exception_fp_ieee_underflow 0
		.amdhsa_exception_fp_ieee_inexact 0
		.amdhsa_exception_int_div_zero 0
	.end_amdhsa_kernel
	.section	.text._ZL41rocblas_syrkx_herkx_small_restrict_kernelIifLi16ELb0ELb0ELc78ELc85EKPKfKPfEviT_T0_PT6_S5_lS8_S5_lS6_PT7_S5_li,"axG",@progbits,_ZL41rocblas_syrkx_herkx_small_restrict_kernelIifLi16ELb0ELb0ELc78ELc85EKPKfKPfEviT_T0_PT6_S5_lS8_S5_lS6_PT7_S5_li,comdat
.Lfunc_end511:
	.size	_ZL41rocblas_syrkx_herkx_small_restrict_kernelIifLi16ELb0ELb0ELc78ELc85EKPKfKPfEviT_T0_PT6_S5_lS8_S5_lS6_PT7_S5_li, .Lfunc_end511-_ZL41rocblas_syrkx_herkx_small_restrict_kernelIifLi16ELb0ELb0ELc78ELc85EKPKfKPfEviT_T0_PT6_S5_lS8_S5_lS6_PT7_S5_li
                                        ; -- End function
	.set _ZL41rocblas_syrkx_herkx_small_restrict_kernelIifLi16ELb0ELb0ELc78ELc85EKPKfKPfEviT_T0_PT6_S5_lS8_S5_lS6_PT7_S5_li.num_vgpr, 23
	.set _ZL41rocblas_syrkx_herkx_small_restrict_kernelIifLi16ELb0ELb0ELc78ELc85EKPKfKPfEviT_T0_PT6_S5_lS8_S5_lS6_PT7_S5_li.num_agpr, 0
	.set _ZL41rocblas_syrkx_herkx_small_restrict_kernelIifLi16ELb0ELb0ELc78ELc85EKPKfKPfEviT_T0_PT6_S5_lS8_S5_lS6_PT7_S5_li.numbered_sgpr, 18
	.set _ZL41rocblas_syrkx_herkx_small_restrict_kernelIifLi16ELb0ELb0ELc78ELc85EKPKfKPfEviT_T0_PT6_S5_lS8_S5_lS6_PT7_S5_li.num_named_barrier, 0
	.set _ZL41rocblas_syrkx_herkx_small_restrict_kernelIifLi16ELb0ELb0ELc78ELc85EKPKfKPfEviT_T0_PT6_S5_lS8_S5_lS6_PT7_S5_li.private_seg_size, 0
	.set _ZL41rocblas_syrkx_herkx_small_restrict_kernelIifLi16ELb0ELb0ELc78ELc85EKPKfKPfEviT_T0_PT6_S5_lS8_S5_lS6_PT7_S5_li.uses_vcc, 1
	.set _ZL41rocblas_syrkx_herkx_small_restrict_kernelIifLi16ELb0ELb0ELc78ELc85EKPKfKPfEviT_T0_PT6_S5_lS8_S5_lS6_PT7_S5_li.uses_flat_scratch, 0
	.set _ZL41rocblas_syrkx_herkx_small_restrict_kernelIifLi16ELb0ELb0ELc78ELc85EKPKfKPfEviT_T0_PT6_S5_lS8_S5_lS6_PT7_S5_li.has_dyn_sized_stack, 0
	.set _ZL41rocblas_syrkx_herkx_small_restrict_kernelIifLi16ELb0ELb0ELc78ELc85EKPKfKPfEviT_T0_PT6_S5_lS8_S5_lS6_PT7_S5_li.has_recursion, 0
	.set _ZL41rocblas_syrkx_herkx_small_restrict_kernelIifLi16ELb0ELb0ELc78ELc85EKPKfKPfEviT_T0_PT6_S5_lS8_S5_lS6_PT7_S5_li.has_indirect_call, 0
	.section	.AMDGPU.csdata,"",@progbits
; Kernel info:
; codeLenInByte = 684
; TotalNumSgprs: 22
; NumVgprs: 23
; ScratchSize: 0
; MemoryBound: 0
; FloatMode: 240
; IeeeMode: 1
; LDSByteSize: 2048 bytes/workgroup (compile time only)
; SGPRBlocks: 2
; VGPRBlocks: 5
; NumSGPRsForWavesPerEU: 22
; NumVGPRsForWavesPerEU: 23
; Occupancy: 10
; WaveLimiterHint : 1
; COMPUTE_PGM_RSRC2:SCRATCH_EN: 0
; COMPUTE_PGM_RSRC2:USER_SGPR: 6
; COMPUTE_PGM_RSRC2:TRAP_HANDLER: 0
; COMPUTE_PGM_RSRC2:TGID_X_EN: 1
; COMPUTE_PGM_RSRC2:TGID_Y_EN: 1
; COMPUTE_PGM_RSRC2:TGID_Z_EN: 1
; COMPUTE_PGM_RSRC2:TIDIG_COMP_CNT: 1
	.section	.text._ZL32rocblas_syrkx_herkx_small_kernelIifLi16ELb1ELb0ELc84ELc76EKPKfKPfEviT_T0_PT6_S5_lS8_S5_lS6_PT7_S5_li,"axG",@progbits,_ZL32rocblas_syrkx_herkx_small_kernelIifLi16ELb1ELb0ELc84ELc76EKPKfKPfEviT_T0_PT6_S5_lS8_S5_lS6_PT7_S5_li,comdat
	.globl	_ZL32rocblas_syrkx_herkx_small_kernelIifLi16ELb1ELb0ELc84ELc76EKPKfKPfEviT_T0_PT6_S5_lS8_S5_lS6_PT7_S5_li ; -- Begin function _ZL32rocblas_syrkx_herkx_small_kernelIifLi16ELb1ELb0ELc84ELc76EKPKfKPfEviT_T0_PT6_S5_lS8_S5_lS6_PT7_S5_li
	.p2align	8
	.type	_ZL32rocblas_syrkx_herkx_small_kernelIifLi16ELb1ELb0ELc84ELc76EKPKfKPfEviT_T0_PT6_S5_lS8_S5_lS6_PT7_S5_li,@function
_ZL32rocblas_syrkx_herkx_small_kernelIifLi16ELb1ELb0ELc84ELc76EKPKfKPfEviT_T0_PT6_S5_lS8_S5_lS6_PT7_S5_li: ; @_ZL32rocblas_syrkx_herkx_small_kernelIifLi16ELb1ELb0ELc84ELc76EKPKfKPfEviT_T0_PT6_S5_lS8_S5_lS6_PT7_S5_li
; %bb.0:
	s_load_dwordx2 s[2:3], s[4:5], 0x48
	s_load_dwordx4 s[12:15], s[4:5], 0x0
	s_mov_b32 s9, 0
	s_lshl_b64 s[0:1], s[8:9], 3
	v_lshl_add_u32 v2, s6, 4, v0
	s_waitcnt lgkmcnt(0)
	s_add_u32 s2, s2, s0
	s_addc_u32 s3, s3, s1
	s_load_dwordx2 s[10:11], s[2:3], 0x0
	v_lshl_add_u32 v7, s7, 4, v1
	s_cmp_lt_i32 s13, 1
	v_cmp_gt_i32_e32 vcc, s12, v2
	s_cbranch_scc1 .LBB512_7
; %bb.1:
	s_load_dwordx2 s[2:3], s[4:5], 0x28
	s_load_dwordx2 s[6:7], s[4:5], 0x10
	s_load_dword s8, s[4:5], 0x18
	s_load_dword s15, s[4:5], 0x30
	v_lshlrev_b32_e32 v9, 2, v0
	s_waitcnt lgkmcnt(0)
	s_add_u32 s2, s2, s0
	s_addc_u32 s3, s3, s1
	s_add_u32 s0, s6, s0
	s_addc_u32 s1, s7, s1
	s_load_dwordx2 s[6:7], s[0:1], 0x0
	v_mad_i64_i32 v[3:4], s[0:1], s15, v7, 0
	s_load_dwordx2 s[16:17], s[2:3], 0x0
	v_lshlrev_b32_e32 v5, 6, v1
	v_lshlrev_b64 v[3:4], 2, v[3:4]
	v_add_u32_e32 v10, v9, v5
	v_add_co_u32_e64 v3, s[2:3], v3, v9
	v_add_u32_e32 v11, 0x400, v5
	v_addc_co_u32_e64 v4, s[2:3], 0, v4, s[2:3]
	v_mad_i64_i32 v[5:6], s[2:3], s8, v2, 0
	s_waitcnt lgkmcnt(0)
	v_mov_b32_e32 v13, s17
	v_add_co_u32_e64 v3, s[2:3], s16, v3
	v_lshlrev_b64 v[5:6], 2, v[5:6]
	v_addc_co_u32_e64 v4, s[2:3], v13, v4, s[2:3]
	v_lshlrev_b32_e32 v13, 2, v1
	v_add_co_u32_e64 v5, s[2:3], v5, v13
	v_addc_co_u32_e64 v6, s[2:3], 0, v6, s[2:3]
	v_mov_b32_e32 v13, s7
	v_add_co_u32_e64 v5, s[2:3], s6, v5
	v_cmp_gt_i32_e64 s[0:1], s12, v7
	v_add_u32_e32 v12, v11, v9
	v_mov_b32_e32 v8, 0
	v_addc_co_u32_e64 v6, s[2:3], v13, v6, s[2:3]
	s_branch .LBB512_3
.LBB512_2:                              ;   in Loop: Header=BB512_3 Depth=1
	s_or_b64 exec, exec, s[2:3]
	s_waitcnt vmcnt(0) lgkmcnt(0)
	ds_write_b32 v12, v13
	s_waitcnt lgkmcnt(0)
	s_barrier
	ds_read2_b32 v[21:22], v9 offset1:16
	ds_read_b128 v[13:16], v11
	ds_read2_b32 v[23:24], v9 offset0:32 offset1:48
	ds_read_b128 v[17:20], v11 offset:16
	v_add_co_u32_e64 v3, s[2:3], 64, v3
	s_waitcnt lgkmcnt(2)
	v_fmac_f32_e32 v8, v21, v13
	v_fmac_f32_e32 v8, v22, v14
	ds_read2_b32 v[21:22], v9 offset0:64 offset1:80
	s_waitcnt lgkmcnt(2)
	v_fmac_f32_e32 v8, v23, v15
	v_fmac_f32_e32 v8, v24, v16
	ds_read2_b32 v[23:24], v9 offset0:96 offset1:112
	ds_read_b128 v[13:16], v11 offset:32
	v_addc_co_u32_e64 v4, s[2:3], 0, v4, s[2:3]
	s_waitcnt lgkmcnt(2)
	v_fmac_f32_e32 v8, v21, v17
	v_fmac_f32_e32 v8, v22, v18
	ds_read2_b32 v[21:22], v9 offset0:128 offset1:144
	s_waitcnt lgkmcnt(2)
	v_fmac_f32_e32 v8, v23, v19
	v_fmac_f32_e32 v8, v24, v20
	ds_read2_b32 v[23:24], v9 offset0:160 offset1:176
	ds_read_b128 v[17:20], v11 offset:48
	s_add_i32 s9, s9, 16
	s_waitcnt lgkmcnt(2)
	v_fmac_f32_e32 v8, v21, v13
	v_fmac_f32_e32 v8, v22, v14
	ds_read2_b32 v[13:14], v9 offset0:192 offset1:208
	s_waitcnt lgkmcnt(2)
	v_fmac_f32_e32 v8, v23, v15
	v_fmac_f32_e32 v8, v24, v16
	ds_read2_b32 v[15:16], v9 offset0:224 offset1:240
	v_add_co_u32_e64 v5, s[2:3], 64, v5
	s_waitcnt lgkmcnt(1)
	v_fmac_f32_e32 v8, v13, v17
	v_fmac_f32_e32 v8, v14, v18
	s_waitcnt lgkmcnt(0)
	v_fmac_f32_e32 v8, v15, v19
	v_fmac_f32_e32 v8, v16, v20
	s_cmp_ge_i32 s9, s13
	v_addc_co_u32_e64 v6, s[2:3], 0, v6, s[2:3]
	s_barrier
	s_cbranch_scc1 .LBB512_8
.LBB512_3:                              ; =>This Inner Loop Header: Depth=1
	v_add_u32_e32 v13, s9, v1
	v_cmp_gt_i32_e64 s[2:3], s13, v13
	s_and_b64 s[6:7], vcc, s[2:3]
	v_mov_b32_e32 v13, 0
	s_and_saveexec_b64 s[2:3], s[6:7]
	s_cbranch_execz .LBB512_5
; %bb.4:                                ;   in Loop: Header=BB512_3 Depth=1
	flat_load_dword v13, v[5:6]
.LBB512_5:                              ;   in Loop: Header=BB512_3 Depth=1
	s_or_b64 exec, exec, s[2:3]
	s_waitcnt vmcnt(0) lgkmcnt(0)
	ds_write_b32 v10, v13
	v_add_u32_e32 v13, s9, v0
	v_cmp_gt_i32_e64 s[2:3], s13, v13
	s_and_b64 s[6:7], s[0:1], s[2:3]
	v_mov_b32_e32 v13, 0
	s_and_saveexec_b64 s[2:3], s[6:7]
	s_cbranch_execz .LBB512_2
; %bb.6:                                ;   in Loop: Header=BB512_3 Depth=1
	flat_load_dword v13, v[3:4]
	s_branch .LBB512_2
.LBB512_7:
	v_mov_b32_e32 v8, 0
.LBB512_8:
	v_cmp_le_i32_e32 vcc, v7, v2
	v_cmp_gt_i32_e64 s[0:1], s12, v2
	s_and_b64 s[0:1], vcc, s[0:1]
	s_and_saveexec_b64 s[2:3], s[0:1]
	s_cbranch_execz .LBB512_10
; %bb.9:
	s_load_dword s0, s[4:5], 0x50
	v_ashrrev_i32_e32 v3, 31, v2
	s_waitcnt lgkmcnt(0)
	v_mov_b32_e32 v5, s11
	v_lshlrev_b64 v[2:3], 2, v[2:3]
	v_mul_f32_e32 v4, s14, v8
	v_mad_i64_i32 v[0:1], s[0:1], s0, v7, 0
	v_lshlrev_b64 v[0:1], 2, v[0:1]
	v_add_co_u32_e32 v0, vcc, s10, v0
	v_addc_co_u32_e32 v1, vcc, v5, v1, vcc
	v_add_co_u32_e32 v0, vcc, v0, v2
	v_addc_co_u32_e32 v1, vcc, v1, v3, vcc
	flat_store_dword v[0:1], v4
.LBB512_10:
	s_endpgm
	.section	.rodata,"a",@progbits
	.p2align	6, 0x0
	.amdhsa_kernel _ZL32rocblas_syrkx_herkx_small_kernelIifLi16ELb1ELb0ELc84ELc76EKPKfKPfEviT_T0_PT6_S5_lS8_S5_lS6_PT7_S5_li
		.amdhsa_group_segment_fixed_size 2048
		.amdhsa_private_segment_fixed_size 0
		.amdhsa_kernarg_size 100
		.amdhsa_user_sgpr_count 6
		.amdhsa_user_sgpr_private_segment_buffer 1
		.amdhsa_user_sgpr_dispatch_ptr 0
		.amdhsa_user_sgpr_queue_ptr 0
		.amdhsa_user_sgpr_kernarg_segment_ptr 1
		.amdhsa_user_sgpr_dispatch_id 0
		.amdhsa_user_sgpr_flat_scratch_init 0
		.amdhsa_user_sgpr_private_segment_size 0
		.amdhsa_uses_dynamic_stack 0
		.amdhsa_system_sgpr_private_segment_wavefront_offset 0
		.amdhsa_system_sgpr_workgroup_id_x 1
		.amdhsa_system_sgpr_workgroup_id_y 1
		.amdhsa_system_sgpr_workgroup_id_z 1
		.amdhsa_system_sgpr_workgroup_info 0
		.amdhsa_system_vgpr_workitem_id 1
		.amdhsa_next_free_vgpr 25
		.amdhsa_next_free_sgpr 18
		.amdhsa_reserve_vcc 1
		.amdhsa_reserve_flat_scratch 0
		.amdhsa_float_round_mode_32 0
		.amdhsa_float_round_mode_16_64 0
		.amdhsa_float_denorm_mode_32 3
		.amdhsa_float_denorm_mode_16_64 3
		.amdhsa_dx10_clamp 1
		.amdhsa_ieee_mode 1
		.amdhsa_fp16_overflow 0
		.amdhsa_exception_fp_ieee_invalid_op 0
		.amdhsa_exception_fp_denorm_src 0
		.amdhsa_exception_fp_ieee_div_zero 0
		.amdhsa_exception_fp_ieee_overflow 0
		.amdhsa_exception_fp_ieee_underflow 0
		.amdhsa_exception_fp_ieee_inexact 0
		.amdhsa_exception_int_div_zero 0
	.end_amdhsa_kernel
	.section	.text._ZL32rocblas_syrkx_herkx_small_kernelIifLi16ELb1ELb0ELc84ELc76EKPKfKPfEviT_T0_PT6_S5_lS8_S5_lS6_PT7_S5_li,"axG",@progbits,_ZL32rocblas_syrkx_herkx_small_kernelIifLi16ELb1ELb0ELc84ELc76EKPKfKPfEviT_T0_PT6_S5_lS8_S5_lS6_PT7_S5_li,comdat
.Lfunc_end512:
	.size	_ZL32rocblas_syrkx_herkx_small_kernelIifLi16ELb1ELb0ELc84ELc76EKPKfKPfEviT_T0_PT6_S5_lS8_S5_lS6_PT7_S5_li, .Lfunc_end512-_ZL32rocblas_syrkx_herkx_small_kernelIifLi16ELb1ELb0ELc84ELc76EKPKfKPfEviT_T0_PT6_S5_lS8_S5_lS6_PT7_S5_li
                                        ; -- End function
	.set _ZL32rocblas_syrkx_herkx_small_kernelIifLi16ELb1ELb0ELc84ELc76EKPKfKPfEviT_T0_PT6_S5_lS8_S5_lS6_PT7_S5_li.num_vgpr, 25
	.set _ZL32rocblas_syrkx_herkx_small_kernelIifLi16ELb1ELb0ELc84ELc76EKPKfKPfEviT_T0_PT6_S5_lS8_S5_lS6_PT7_S5_li.num_agpr, 0
	.set _ZL32rocblas_syrkx_herkx_small_kernelIifLi16ELb1ELb0ELc84ELc76EKPKfKPfEviT_T0_PT6_S5_lS8_S5_lS6_PT7_S5_li.numbered_sgpr, 18
	.set _ZL32rocblas_syrkx_herkx_small_kernelIifLi16ELb1ELb0ELc84ELc76EKPKfKPfEviT_T0_PT6_S5_lS8_S5_lS6_PT7_S5_li.num_named_barrier, 0
	.set _ZL32rocblas_syrkx_herkx_small_kernelIifLi16ELb1ELb0ELc84ELc76EKPKfKPfEviT_T0_PT6_S5_lS8_S5_lS6_PT7_S5_li.private_seg_size, 0
	.set _ZL32rocblas_syrkx_herkx_small_kernelIifLi16ELb1ELb0ELc84ELc76EKPKfKPfEviT_T0_PT6_S5_lS8_S5_lS6_PT7_S5_li.uses_vcc, 1
	.set _ZL32rocblas_syrkx_herkx_small_kernelIifLi16ELb1ELb0ELc84ELc76EKPKfKPfEviT_T0_PT6_S5_lS8_S5_lS6_PT7_S5_li.uses_flat_scratch, 0
	.set _ZL32rocblas_syrkx_herkx_small_kernelIifLi16ELb1ELb0ELc84ELc76EKPKfKPfEviT_T0_PT6_S5_lS8_S5_lS6_PT7_S5_li.has_dyn_sized_stack, 0
	.set _ZL32rocblas_syrkx_herkx_small_kernelIifLi16ELb1ELb0ELc84ELc76EKPKfKPfEviT_T0_PT6_S5_lS8_S5_lS6_PT7_S5_li.has_recursion, 0
	.set _ZL32rocblas_syrkx_herkx_small_kernelIifLi16ELb1ELb0ELc84ELc76EKPKfKPfEviT_T0_PT6_S5_lS8_S5_lS6_PT7_S5_li.has_indirect_call, 0
	.section	.AMDGPU.csdata,"",@progbits
; Kernel info:
; codeLenInByte = 752
; TotalNumSgprs: 22
; NumVgprs: 25
; ScratchSize: 0
; MemoryBound: 0
; FloatMode: 240
; IeeeMode: 1
; LDSByteSize: 2048 bytes/workgroup (compile time only)
; SGPRBlocks: 2
; VGPRBlocks: 6
; NumSGPRsForWavesPerEU: 22
; NumVGPRsForWavesPerEU: 25
; Occupancy: 9
; WaveLimiterHint : 1
; COMPUTE_PGM_RSRC2:SCRATCH_EN: 0
; COMPUTE_PGM_RSRC2:USER_SGPR: 6
; COMPUTE_PGM_RSRC2:TRAP_HANDLER: 0
; COMPUTE_PGM_RSRC2:TGID_X_EN: 1
; COMPUTE_PGM_RSRC2:TGID_Y_EN: 1
; COMPUTE_PGM_RSRC2:TGID_Z_EN: 1
; COMPUTE_PGM_RSRC2:TIDIG_COMP_CNT: 1
	.section	.text._ZL32rocblas_syrkx_herkx_small_kernelIifLi16ELb1ELb0ELc67ELc76EKPKfKPfEviT_T0_PT6_S5_lS8_S5_lS6_PT7_S5_li,"axG",@progbits,_ZL32rocblas_syrkx_herkx_small_kernelIifLi16ELb1ELb0ELc67ELc76EKPKfKPfEviT_T0_PT6_S5_lS8_S5_lS6_PT7_S5_li,comdat
	.globl	_ZL32rocblas_syrkx_herkx_small_kernelIifLi16ELb1ELb0ELc67ELc76EKPKfKPfEviT_T0_PT6_S5_lS8_S5_lS6_PT7_S5_li ; -- Begin function _ZL32rocblas_syrkx_herkx_small_kernelIifLi16ELb1ELb0ELc67ELc76EKPKfKPfEviT_T0_PT6_S5_lS8_S5_lS6_PT7_S5_li
	.p2align	8
	.type	_ZL32rocblas_syrkx_herkx_small_kernelIifLi16ELb1ELb0ELc67ELc76EKPKfKPfEviT_T0_PT6_S5_lS8_S5_lS6_PT7_S5_li,@function
_ZL32rocblas_syrkx_herkx_small_kernelIifLi16ELb1ELb0ELc67ELc76EKPKfKPfEviT_T0_PT6_S5_lS8_S5_lS6_PT7_S5_li: ; @_ZL32rocblas_syrkx_herkx_small_kernelIifLi16ELb1ELb0ELc67ELc76EKPKfKPfEviT_T0_PT6_S5_lS8_S5_lS6_PT7_S5_li
; %bb.0:
	s_load_dwordx2 s[2:3], s[4:5], 0x48
	s_load_dwordx4 s[12:15], s[4:5], 0x0
	s_mov_b32 s9, 0
	s_lshl_b64 s[0:1], s[8:9], 3
	v_lshl_add_u32 v2, s6, 4, v0
	s_waitcnt lgkmcnt(0)
	s_add_u32 s2, s2, s0
	s_addc_u32 s3, s3, s1
	s_load_dwordx2 s[10:11], s[2:3], 0x0
	v_lshl_add_u32 v7, s7, 4, v1
	s_cmp_lt_i32 s13, 1
	v_cmp_gt_i32_e32 vcc, s12, v2
	s_cbranch_scc1 .LBB513_7
; %bb.1:
	s_load_dwordx2 s[2:3], s[4:5], 0x28
	s_load_dwordx2 s[6:7], s[4:5], 0x10
	s_load_dword s8, s[4:5], 0x18
	s_load_dword s15, s[4:5], 0x30
	v_lshlrev_b32_e32 v9, 2, v0
	s_waitcnt lgkmcnt(0)
	s_add_u32 s2, s2, s0
	s_addc_u32 s3, s3, s1
	s_add_u32 s0, s6, s0
	s_addc_u32 s1, s7, s1
	s_load_dwordx2 s[6:7], s[0:1], 0x0
	v_mad_i64_i32 v[3:4], s[0:1], s15, v7, 0
	s_load_dwordx2 s[16:17], s[2:3], 0x0
	v_lshlrev_b32_e32 v5, 6, v1
	v_lshlrev_b64 v[3:4], 2, v[3:4]
	v_add_u32_e32 v10, v9, v5
	v_add_co_u32_e64 v3, s[2:3], v3, v9
	v_add_u32_e32 v11, 0x400, v5
	v_addc_co_u32_e64 v4, s[2:3], 0, v4, s[2:3]
	v_mad_i64_i32 v[5:6], s[2:3], s8, v2, 0
	s_waitcnt lgkmcnt(0)
	v_mov_b32_e32 v13, s17
	v_add_co_u32_e64 v3, s[2:3], s16, v3
	v_lshlrev_b64 v[5:6], 2, v[5:6]
	v_addc_co_u32_e64 v4, s[2:3], v13, v4, s[2:3]
	v_lshlrev_b32_e32 v13, 2, v1
	v_add_co_u32_e64 v5, s[2:3], v5, v13
	v_addc_co_u32_e64 v6, s[2:3], 0, v6, s[2:3]
	v_mov_b32_e32 v13, s7
	v_add_co_u32_e64 v5, s[2:3], s6, v5
	v_cmp_gt_i32_e64 s[0:1], s12, v7
	v_add_u32_e32 v12, v11, v9
	v_mov_b32_e32 v8, 0
	v_addc_co_u32_e64 v6, s[2:3], v13, v6, s[2:3]
	s_branch .LBB513_3
.LBB513_2:                              ;   in Loop: Header=BB513_3 Depth=1
	s_or_b64 exec, exec, s[2:3]
	s_waitcnt vmcnt(0) lgkmcnt(0)
	ds_write_b32 v12, v13
	s_waitcnt lgkmcnt(0)
	s_barrier
	ds_read2_b32 v[21:22], v9 offset1:16
	ds_read_b128 v[13:16], v11
	ds_read2_b32 v[23:24], v9 offset0:32 offset1:48
	ds_read_b128 v[17:20], v11 offset:16
	v_add_co_u32_e64 v3, s[2:3], 64, v3
	s_waitcnt lgkmcnt(2)
	v_fmac_f32_e32 v8, v21, v13
	v_fmac_f32_e32 v8, v22, v14
	ds_read2_b32 v[21:22], v9 offset0:64 offset1:80
	s_waitcnt lgkmcnt(2)
	v_fmac_f32_e32 v8, v23, v15
	v_fmac_f32_e32 v8, v24, v16
	ds_read2_b32 v[23:24], v9 offset0:96 offset1:112
	ds_read_b128 v[13:16], v11 offset:32
	v_addc_co_u32_e64 v4, s[2:3], 0, v4, s[2:3]
	s_waitcnt lgkmcnt(2)
	v_fmac_f32_e32 v8, v21, v17
	v_fmac_f32_e32 v8, v22, v18
	ds_read2_b32 v[21:22], v9 offset0:128 offset1:144
	s_waitcnt lgkmcnt(2)
	v_fmac_f32_e32 v8, v23, v19
	v_fmac_f32_e32 v8, v24, v20
	ds_read2_b32 v[23:24], v9 offset0:160 offset1:176
	ds_read_b128 v[17:20], v11 offset:48
	s_add_i32 s9, s9, 16
	s_waitcnt lgkmcnt(2)
	v_fmac_f32_e32 v8, v21, v13
	v_fmac_f32_e32 v8, v22, v14
	ds_read2_b32 v[13:14], v9 offset0:192 offset1:208
	s_waitcnt lgkmcnt(2)
	v_fmac_f32_e32 v8, v23, v15
	v_fmac_f32_e32 v8, v24, v16
	ds_read2_b32 v[15:16], v9 offset0:224 offset1:240
	v_add_co_u32_e64 v5, s[2:3], 64, v5
	s_waitcnt lgkmcnt(1)
	v_fmac_f32_e32 v8, v13, v17
	v_fmac_f32_e32 v8, v14, v18
	s_waitcnt lgkmcnt(0)
	v_fmac_f32_e32 v8, v15, v19
	v_fmac_f32_e32 v8, v16, v20
	s_cmp_ge_i32 s9, s13
	v_addc_co_u32_e64 v6, s[2:3], 0, v6, s[2:3]
	s_barrier
	s_cbranch_scc1 .LBB513_8
.LBB513_3:                              ; =>This Inner Loop Header: Depth=1
	v_add_u32_e32 v13, s9, v1
	v_cmp_gt_i32_e64 s[2:3], s13, v13
	s_and_b64 s[6:7], vcc, s[2:3]
	v_mov_b32_e32 v13, 0
	s_and_saveexec_b64 s[2:3], s[6:7]
	s_cbranch_execz .LBB513_5
; %bb.4:                                ;   in Loop: Header=BB513_3 Depth=1
	flat_load_dword v13, v[5:6]
.LBB513_5:                              ;   in Loop: Header=BB513_3 Depth=1
	s_or_b64 exec, exec, s[2:3]
	s_waitcnt vmcnt(0) lgkmcnt(0)
	ds_write_b32 v10, v13
	v_add_u32_e32 v13, s9, v0
	v_cmp_gt_i32_e64 s[2:3], s13, v13
	s_and_b64 s[6:7], s[0:1], s[2:3]
	v_mov_b32_e32 v13, 0
	s_and_saveexec_b64 s[2:3], s[6:7]
	s_cbranch_execz .LBB513_2
; %bb.6:                                ;   in Loop: Header=BB513_3 Depth=1
	flat_load_dword v13, v[3:4]
	s_branch .LBB513_2
.LBB513_7:
	v_mov_b32_e32 v8, 0
.LBB513_8:
	v_cmp_le_i32_e32 vcc, v7, v2
	v_cmp_gt_i32_e64 s[0:1], s12, v2
	s_and_b64 s[0:1], vcc, s[0:1]
	s_and_saveexec_b64 s[2:3], s[0:1]
	s_cbranch_execz .LBB513_10
; %bb.9:
	s_load_dword s0, s[4:5], 0x50
	v_ashrrev_i32_e32 v3, 31, v2
	s_waitcnt lgkmcnt(0)
	v_mov_b32_e32 v5, s11
	v_lshlrev_b64 v[2:3], 2, v[2:3]
	v_mul_f32_e32 v4, s14, v8
	v_mad_i64_i32 v[0:1], s[0:1], s0, v7, 0
	v_lshlrev_b64 v[0:1], 2, v[0:1]
	v_add_co_u32_e32 v0, vcc, s10, v0
	v_addc_co_u32_e32 v1, vcc, v5, v1, vcc
	v_add_co_u32_e32 v0, vcc, v0, v2
	v_addc_co_u32_e32 v1, vcc, v1, v3, vcc
	flat_store_dword v[0:1], v4
.LBB513_10:
	s_endpgm
	.section	.rodata,"a",@progbits
	.p2align	6, 0x0
	.amdhsa_kernel _ZL32rocblas_syrkx_herkx_small_kernelIifLi16ELb1ELb0ELc67ELc76EKPKfKPfEviT_T0_PT6_S5_lS8_S5_lS6_PT7_S5_li
		.amdhsa_group_segment_fixed_size 2048
		.amdhsa_private_segment_fixed_size 0
		.amdhsa_kernarg_size 100
		.amdhsa_user_sgpr_count 6
		.amdhsa_user_sgpr_private_segment_buffer 1
		.amdhsa_user_sgpr_dispatch_ptr 0
		.amdhsa_user_sgpr_queue_ptr 0
		.amdhsa_user_sgpr_kernarg_segment_ptr 1
		.amdhsa_user_sgpr_dispatch_id 0
		.amdhsa_user_sgpr_flat_scratch_init 0
		.amdhsa_user_sgpr_private_segment_size 0
		.amdhsa_uses_dynamic_stack 0
		.amdhsa_system_sgpr_private_segment_wavefront_offset 0
		.amdhsa_system_sgpr_workgroup_id_x 1
		.amdhsa_system_sgpr_workgroup_id_y 1
		.amdhsa_system_sgpr_workgroup_id_z 1
		.amdhsa_system_sgpr_workgroup_info 0
		.amdhsa_system_vgpr_workitem_id 1
		.amdhsa_next_free_vgpr 25
		.amdhsa_next_free_sgpr 18
		.amdhsa_reserve_vcc 1
		.amdhsa_reserve_flat_scratch 0
		.amdhsa_float_round_mode_32 0
		.amdhsa_float_round_mode_16_64 0
		.amdhsa_float_denorm_mode_32 3
		.amdhsa_float_denorm_mode_16_64 3
		.amdhsa_dx10_clamp 1
		.amdhsa_ieee_mode 1
		.amdhsa_fp16_overflow 0
		.amdhsa_exception_fp_ieee_invalid_op 0
		.amdhsa_exception_fp_denorm_src 0
		.amdhsa_exception_fp_ieee_div_zero 0
		.amdhsa_exception_fp_ieee_overflow 0
		.amdhsa_exception_fp_ieee_underflow 0
		.amdhsa_exception_fp_ieee_inexact 0
		.amdhsa_exception_int_div_zero 0
	.end_amdhsa_kernel
	.section	.text._ZL32rocblas_syrkx_herkx_small_kernelIifLi16ELb1ELb0ELc67ELc76EKPKfKPfEviT_T0_PT6_S5_lS8_S5_lS6_PT7_S5_li,"axG",@progbits,_ZL32rocblas_syrkx_herkx_small_kernelIifLi16ELb1ELb0ELc67ELc76EKPKfKPfEviT_T0_PT6_S5_lS8_S5_lS6_PT7_S5_li,comdat
.Lfunc_end513:
	.size	_ZL32rocblas_syrkx_herkx_small_kernelIifLi16ELb1ELb0ELc67ELc76EKPKfKPfEviT_T0_PT6_S5_lS8_S5_lS6_PT7_S5_li, .Lfunc_end513-_ZL32rocblas_syrkx_herkx_small_kernelIifLi16ELb1ELb0ELc67ELc76EKPKfKPfEviT_T0_PT6_S5_lS8_S5_lS6_PT7_S5_li
                                        ; -- End function
	.set _ZL32rocblas_syrkx_herkx_small_kernelIifLi16ELb1ELb0ELc67ELc76EKPKfKPfEviT_T0_PT6_S5_lS8_S5_lS6_PT7_S5_li.num_vgpr, 25
	.set _ZL32rocblas_syrkx_herkx_small_kernelIifLi16ELb1ELb0ELc67ELc76EKPKfKPfEviT_T0_PT6_S5_lS8_S5_lS6_PT7_S5_li.num_agpr, 0
	.set _ZL32rocblas_syrkx_herkx_small_kernelIifLi16ELb1ELb0ELc67ELc76EKPKfKPfEviT_T0_PT6_S5_lS8_S5_lS6_PT7_S5_li.numbered_sgpr, 18
	.set _ZL32rocblas_syrkx_herkx_small_kernelIifLi16ELb1ELb0ELc67ELc76EKPKfKPfEviT_T0_PT6_S5_lS8_S5_lS6_PT7_S5_li.num_named_barrier, 0
	.set _ZL32rocblas_syrkx_herkx_small_kernelIifLi16ELb1ELb0ELc67ELc76EKPKfKPfEviT_T0_PT6_S5_lS8_S5_lS6_PT7_S5_li.private_seg_size, 0
	.set _ZL32rocblas_syrkx_herkx_small_kernelIifLi16ELb1ELb0ELc67ELc76EKPKfKPfEviT_T0_PT6_S5_lS8_S5_lS6_PT7_S5_li.uses_vcc, 1
	.set _ZL32rocblas_syrkx_herkx_small_kernelIifLi16ELb1ELb0ELc67ELc76EKPKfKPfEviT_T0_PT6_S5_lS8_S5_lS6_PT7_S5_li.uses_flat_scratch, 0
	.set _ZL32rocblas_syrkx_herkx_small_kernelIifLi16ELb1ELb0ELc67ELc76EKPKfKPfEviT_T0_PT6_S5_lS8_S5_lS6_PT7_S5_li.has_dyn_sized_stack, 0
	.set _ZL32rocblas_syrkx_herkx_small_kernelIifLi16ELb1ELb0ELc67ELc76EKPKfKPfEviT_T0_PT6_S5_lS8_S5_lS6_PT7_S5_li.has_recursion, 0
	.set _ZL32rocblas_syrkx_herkx_small_kernelIifLi16ELb1ELb0ELc67ELc76EKPKfKPfEviT_T0_PT6_S5_lS8_S5_lS6_PT7_S5_li.has_indirect_call, 0
	.section	.AMDGPU.csdata,"",@progbits
; Kernel info:
; codeLenInByte = 752
; TotalNumSgprs: 22
; NumVgprs: 25
; ScratchSize: 0
; MemoryBound: 0
; FloatMode: 240
; IeeeMode: 1
; LDSByteSize: 2048 bytes/workgroup (compile time only)
; SGPRBlocks: 2
; VGPRBlocks: 6
; NumSGPRsForWavesPerEU: 22
; NumVGPRsForWavesPerEU: 25
; Occupancy: 9
; WaveLimiterHint : 1
; COMPUTE_PGM_RSRC2:SCRATCH_EN: 0
; COMPUTE_PGM_RSRC2:USER_SGPR: 6
; COMPUTE_PGM_RSRC2:TRAP_HANDLER: 0
; COMPUTE_PGM_RSRC2:TGID_X_EN: 1
; COMPUTE_PGM_RSRC2:TGID_Y_EN: 1
; COMPUTE_PGM_RSRC2:TGID_Z_EN: 1
; COMPUTE_PGM_RSRC2:TIDIG_COMP_CNT: 1
	.section	.text._ZL32rocblas_syrkx_herkx_small_kernelIifLi16ELb1ELb0ELc78ELc76EKPKfKPfEviT_T0_PT6_S5_lS8_S5_lS6_PT7_S5_li,"axG",@progbits,_ZL32rocblas_syrkx_herkx_small_kernelIifLi16ELb1ELb0ELc78ELc76EKPKfKPfEviT_T0_PT6_S5_lS8_S5_lS6_PT7_S5_li,comdat
	.globl	_ZL32rocblas_syrkx_herkx_small_kernelIifLi16ELb1ELb0ELc78ELc76EKPKfKPfEviT_T0_PT6_S5_lS8_S5_lS6_PT7_S5_li ; -- Begin function _ZL32rocblas_syrkx_herkx_small_kernelIifLi16ELb1ELb0ELc78ELc76EKPKfKPfEviT_T0_PT6_S5_lS8_S5_lS6_PT7_S5_li
	.p2align	8
	.type	_ZL32rocblas_syrkx_herkx_small_kernelIifLi16ELb1ELb0ELc78ELc76EKPKfKPfEviT_T0_PT6_S5_lS8_S5_lS6_PT7_S5_li,@function
_ZL32rocblas_syrkx_herkx_small_kernelIifLi16ELb1ELb0ELc78ELc76EKPKfKPfEviT_T0_PT6_S5_lS8_S5_lS6_PT7_S5_li: ; @_ZL32rocblas_syrkx_herkx_small_kernelIifLi16ELb1ELb0ELc78ELc76EKPKfKPfEviT_T0_PT6_S5_lS8_S5_lS6_PT7_S5_li
; %bb.0:
	s_load_dwordx2 s[2:3], s[4:5], 0x48
	s_load_dwordx4 s[12:15], s[4:5], 0x0
	s_mov_b32 s9, 0
	s_lshl_b64 s[0:1], s[8:9], 3
	v_lshl_add_u32 v2, s6, 4, v0
	s_waitcnt lgkmcnt(0)
	s_add_u32 s2, s2, s0
	s_addc_u32 s3, s3, s1
	s_load_dwordx2 s[10:11], s[2:3], 0x0
	v_lshl_add_u32 v4, s7, 4, v1
	s_cmp_lt_i32 s13, 1
	v_cmp_gt_i32_e32 vcc, s12, v2
	v_ashrrev_i32_e32 v3, 31, v2
	s_cbranch_scc1 .LBB514_7
; %bb.1:
	s_load_dword s16, s[4:5], 0x18
	s_load_dword s6, s[4:5], 0x30
	s_load_dwordx2 s[2:3], s[4:5], 0x28
	s_load_dwordx2 s[18:19], s[4:5], 0x10
	v_lshlrev_b32_e32 v5, 6, v1
	s_waitcnt lgkmcnt(0)
	s_ashr_i32 s17, s16, 31
	s_ashr_i32 s7, s6, 31
	s_add_u32 s2, s2, s0
	s_addc_u32 s3, s3, s1
	s_load_dwordx2 s[20:21], s[2:3], 0x0
	v_mad_i64_i32 v[6:7], s[2:3], s6, v0, 0
	v_lshlrev_b32_e32 v9, 2, v0
	v_add_u32_e32 v10, v9, v5
	v_add_u32_e32 v11, 0x400, v5
	v_ashrrev_i32_e32 v5, 31, v4
	v_lshlrev_b64 v[6:7], 2, v[6:7]
	v_lshlrev_b64 v[13:14], 2, v[4:5]
	s_add_u32 s0, s18, s0
	v_add_co_u32_e64 v5, s[2:3], v6, v13
	v_addc_co_u32_e64 v6, s[2:3], v7, v14, s[2:3]
	v_mad_i64_i32 v[7:8], s[2:3], s16, v1, 0
	s_addc_u32 s1, s19, s1
	s_load_dwordx2 s[18:19], s[0:1], 0x0
	s_waitcnt lgkmcnt(0)
	v_mov_b32_e32 v13, s21
	v_add_co_u32_e64 v5, s[2:3], s20, v5
	v_addc_co_u32_e64 v6, s[2:3], v13, v6, s[2:3]
	v_lshlrev_b64 v[7:8], 2, v[7:8]
	v_lshlrev_b64 v[13:14], 2, v[2:3]
	v_cmp_gt_i32_e64 s[0:1], s12, v4
	v_add_co_u32_e64 v7, s[2:3], v7, v13
	v_addc_co_u32_e64 v8, s[2:3], v8, v14, s[2:3]
	v_mov_b32_e32 v13, s19
	v_add_co_u32_e64 v7, s[2:3], s18, v7
	v_add_u32_e32 v12, v11, v9
	s_lshl_b64 s[6:7], s[6:7], 6
	v_addc_co_u32_e64 v8, s[2:3], v13, v8, s[2:3]
	s_lshl_b64 s[16:17], s[16:17], 6
	v_mov_b32_e32 v13, 0
	s_branch .LBB514_3
.LBB514_2:                              ;   in Loop: Header=BB514_3 Depth=1
	s_or_b64 exec, exec, s[2:3]
	s_waitcnt vmcnt(0) lgkmcnt(0)
	ds_write_b32 v12, v14
	s_waitcnt lgkmcnt(0)
	s_barrier
	ds_read2_b32 v[22:23], v9 offset1:16
	ds_read_b128 v[14:17], v11
	ds_read2_b32 v[24:25], v9 offset0:32 offset1:48
	ds_read_b128 v[18:21], v11 offset:16
	v_add_co_u32_e64 v5, s[2:3], s6, v5
	s_waitcnt lgkmcnt(2)
	v_fmac_f32_e32 v13, v22, v14
	v_fmac_f32_e32 v13, v23, v15
	ds_read2_b32 v[22:23], v9 offset0:64 offset1:80
	s_waitcnt lgkmcnt(2)
	v_fmac_f32_e32 v13, v24, v16
	v_fmac_f32_e32 v13, v25, v17
	ds_read2_b32 v[24:25], v9 offset0:96 offset1:112
	ds_read_b128 v[14:17], v11 offset:32
	s_add_i32 s9, s9, 16
	s_waitcnt lgkmcnt(2)
	v_fmac_f32_e32 v13, v22, v18
	v_fmac_f32_e32 v13, v23, v19
	ds_read2_b32 v[22:23], v9 offset0:128 offset1:144
	s_waitcnt lgkmcnt(2)
	v_fmac_f32_e32 v13, v24, v20
	v_fmac_f32_e32 v13, v25, v21
	ds_read2_b32 v[24:25], v9 offset0:160 offset1:176
	ds_read_b128 v[18:21], v11 offset:48
	s_cmp_ge_i32 s9, s13
	s_waitcnt lgkmcnt(2)
	v_fmac_f32_e32 v13, v22, v14
	v_fmac_f32_e32 v13, v23, v15
	ds_read2_b32 v[14:15], v9 offset0:192 offset1:208
	s_waitcnt lgkmcnt(2)
	v_fmac_f32_e32 v13, v24, v16
	v_fmac_f32_e32 v13, v25, v17
	ds_read2_b32 v[16:17], v9 offset0:224 offset1:240
	s_waitcnt lgkmcnt(0)
	v_fmac_f32_e32 v13, v14, v18
	v_mov_b32_e32 v14, s7
	v_fmac_f32_e32 v13, v15, v19
	v_addc_co_u32_e64 v6, s[2:3], v6, v14, s[2:3]
	v_fmac_f32_e32 v13, v16, v20
	v_mov_b32_e32 v14, s17
	v_add_co_u32_e64 v7, s[2:3], s16, v7
	v_fmac_f32_e32 v13, v17, v21
	v_addc_co_u32_e64 v8, s[2:3], v8, v14, s[2:3]
	s_barrier
	s_cbranch_scc1 .LBB514_8
.LBB514_3:                              ; =>This Inner Loop Header: Depth=1
	v_add_u32_e32 v14, s9, v1
	v_cmp_gt_i32_e64 s[2:3], s13, v14
	s_and_b64 s[18:19], vcc, s[2:3]
	v_mov_b32_e32 v14, 0
	s_and_saveexec_b64 s[2:3], s[18:19]
	s_cbranch_execz .LBB514_5
; %bb.4:                                ;   in Loop: Header=BB514_3 Depth=1
	flat_load_dword v14, v[7:8]
.LBB514_5:                              ;   in Loop: Header=BB514_3 Depth=1
	s_or_b64 exec, exec, s[2:3]
	s_waitcnt vmcnt(0) lgkmcnt(0)
	ds_write_b32 v10, v14
	v_add_u32_e32 v14, s9, v0
	v_cmp_gt_i32_e64 s[2:3], s13, v14
	s_and_b64 s[18:19], s[0:1], s[2:3]
	v_mov_b32_e32 v14, 0
	s_and_saveexec_b64 s[2:3], s[18:19]
	s_cbranch_execz .LBB514_2
; %bb.6:                                ;   in Loop: Header=BB514_3 Depth=1
	flat_load_dword v14, v[5:6]
	s_branch .LBB514_2
.LBB514_7:
	v_mov_b32_e32 v13, 0
.LBB514_8:
	v_cmp_le_i32_e32 vcc, v4, v2
	v_cmp_gt_i32_e64 s[0:1], s12, v2
	s_and_b64 s[0:1], vcc, s[0:1]
	s_and_saveexec_b64 s[2:3], s[0:1]
	s_cbranch_execz .LBB514_10
; %bb.9:
	s_load_dword s0, s[4:5], 0x50
	s_waitcnt lgkmcnt(0)
	v_mov_b32_e32 v5, s11
	v_lshlrev_b64 v[2:3], 2, v[2:3]
	v_mad_i64_i32 v[0:1], s[0:1], s0, v4, 0
	v_mul_f32_e32 v4, s14, v13
	v_lshlrev_b64 v[0:1], 2, v[0:1]
	v_add_co_u32_e32 v0, vcc, s10, v0
	v_addc_co_u32_e32 v1, vcc, v5, v1, vcc
	v_add_co_u32_e32 v0, vcc, v0, v2
	v_addc_co_u32_e32 v1, vcc, v1, v3, vcc
	flat_store_dword v[0:1], v4
.LBB514_10:
	s_endpgm
	.section	.rodata,"a",@progbits
	.p2align	6, 0x0
	.amdhsa_kernel _ZL32rocblas_syrkx_herkx_small_kernelIifLi16ELb1ELb0ELc78ELc76EKPKfKPfEviT_T0_PT6_S5_lS8_S5_lS6_PT7_S5_li
		.amdhsa_group_segment_fixed_size 2048
		.amdhsa_private_segment_fixed_size 0
		.amdhsa_kernarg_size 100
		.amdhsa_user_sgpr_count 6
		.amdhsa_user_sgpr_private_segment_buffer 1
		.amdhsa_user_sgpr_dispatch_ptr 0
		.amdhsa_user_sgpr_queue_ptr 0
		.amdhsa_user_sgpr_kernarg_segment_ptr 1
		.amdhsa_user_sgpr_dispatch_id 0
		.amdhsa_user_sgpr_flat_scratch_init 0
		.amdhsa_user_sgpr_private_segment_size 0
		.amdhsa_uses_dynamic_stack 0
		.amdhsa_system_sgpr_private_segment_wavefront_offset 0
		.amdhsa_system_sgpr_workgroup_id_x 1
		.amdhsa_system_sgpr_workgroup_id_y 1
		.amdhsa_system_sgpr_workgroup_id_z 1
		.amdhsa_system_sgpr_workgroup_info 0
		.amdhsa_system_vgpr_workitem_id 1
		.amdhsa_next_free_vgpr 26
		.amdhsa_next_free_sgpr 22
		.amdhsa_reserve_vcc 1
		.amdhsa_reserve_flat_scratch 0
		.amdhsa_float_round_mode_32 0
		.amdhsa_float_round_mode_16_64 0
		.amdhsa_float_denorm_mode_32 3
		.amdhsa_float_denorm_mode_16_64 3
		.amdhsa_dx10_clamp 1
		.amdhsa_ieee_mode 1
		.amdhsa_fp16_overflow 0
		.amdhsa_exception_fp_ieee_invalid_op 0
		.amdhsa_exception_fp_denorm_src 0
		.amdhsa_exception_fp_ieee_div_zero 0
		.amdhsa_exception_fp_ieee_overflow 0
		.amdhsa_exception_fp_ieee_underflow 0
		.amdhsa_exception_fp_ieee_inexact 0
		.amdhsa_exception_int_div_zero 0
	.end_amdhsa_kernel
	.section	.text._ZL32rocblas_syrkx_herkx_small_kernelIifLi16ELb1ELb0ELc78ELc76EKPKfKPfEviT_T0_PT6_S5_lS8_S5_lS6_PT7_S5_li,"axG",@progbits,_ZL32rocblas_syrkx_herkx_small_kernelIifLi16ELb1ELb0ELc78ELc76EKPKfKPfEviT_T0_PT6_S5_lS8_S5_lS6_PT7_S5_li,comdat
.Lfunc_end514:
	.size	_ZL32rocblas_syrkx_herkx_small_kernelIifLi16ELb1ELb0ELc78ELc76EKPKfKPfEviT_T0_PT6_S5_lS8_S5_lS6_PT7_S5_li, .Lfunc_end514-_ZL32rocblas_syrkx_herkx_small_kernelIifLi16ELb1ELb0ELc78ELc76EKPKfKPfEviT_T0_PT6_S5_lS8_S5_lS6_PT7_S5_li
                                        ; -- End function
	.set _ZL32rocblas_syrkx_herkx_small_kernelIifLi16ELb1ELb0ELc78ELc76EKPKfKPfEviT_T0_PT6_S5_lS8_S5_lS6_PT7_S5_li.num_vgpr, 26
	.set _ZL32rocblas_syrkx_herkx_small_kernelIifLi16ELb1ELb0ELc78ELc76EKPKfKPfEviT_T0_PT6_S5_lS8_S5_lS6_PT7_S5_li.num_agpr, 0
	.set _ZL32rocblas_syrkx_herkx_small_kernelIifLi16ELb1ELb0ELc78ELc76EKPKfKPfEviT_T0_PT6_S5_lS8_S5_lS6_PT7_S5_li.numbered_sgpr, 22
	.set _ZL32rocblas_syrkx_herkx_small_kernelIifLi16ELb1ELb0ELc78ELc76EKPKfKPfEviT_T0_PT6_S5_lS8_S5_lS6_PT7_S5_li.num_named_barrier, 0
	.set _ZL32rocblas_syrkx_herkx_small_kernelIifLi16ELb1ELb0ELc78ELc76EKPKfKPfEviT_T0_PT6_S5_lS8_S5_lS6_PT7_S5_li.private_seg_size, 0
	.set _ZL32rocblas_syrkx_herkx_small_kernelIifLi16ELb1ELb0ELc78ELc76EKPKfKPfEviT_T0_PT6_S5_lS8_S5_lS6_PT7_S5_li.uses_vcc, 1
	.set _ZL32rocblas_syrkx_herkx_small_kernelIifLi16ELb1ELb0ELc78ELc76EKPKfKPfEviT_T0_PT6_S5_lS8_S5_lS6_PT7_S5_li.uses_flat_scratch, 0
	.set _ZL32rocblas_syrkx_herkx_small_kernelIifLi16ELb1ELb0ELc78ELc76EKPKfKPfEviT_T0_PT6_S5_lS8_S5_lS6_PT7_S5_li.has_dyn_sized_stack, 0
	.set _ZL32rocblas_syrkx_herkx_small_kernelIifLi16ELb1ELb0ELc78ELc76EKPKfKPfEviT_T0_PT6_S5_lS8_S5_lS6_PT7_S5_li.has_recursion, 0
	.set _ZL32rocblas_syrkx_herkx_small_kernelIifLi16ELb1ELb0ELc78ELc76EKPKfKPfEviT_T0_PT6_S5_lS8_S5_lS6_PT7_S5_li.has_indirect_call, 0
	.section	.AMDGPU.csdata,"",@progbits
; Kernel info:
; codeLenInByte = 788
; TotalNumSgprs: 26
; NumVgprs: 26
; ScratchSize: 0
; MemoryBound: 0
; FloatMode: 240
; IeeeMode: 1
; LDSByteSize: 2048 bytes/workgroup (compile time only)
; SGPRBlocks: 3
; VGPRBlocks: 6
; NumSGPRsForWavesPerEU: 26
; NumVGPRsForWavesPerEU: 26
; Occupancy: 9
; WaveLimiterHint : 1
; COMPUTE_PGM_RSRC2:SCRATCH_EN: 0
; COMPUTE_PGM_RSRC2:USER_SGPR: 6
; COMPUTE_PGM_RSRC2:TRAP_HANDLER: 0
; COMPUTE_PGM_RSRC2:TGID_X_EN: 1
; COMPUTE_PGM_RSRC2:TGID_Y_EN: 1
; COMPUTE_PGM_RSRC2:TGID_Z_EN: 1
; COMPUTE_PGM_RSRC2:TIDIG_COMP_CNT: 1
	.section	.text._ZL32rocblas_syrkx_herkx_small_kernelIifLi16ELb1ELb0ELc84ELc85EKPKfKPfEviT_T0_PT6_S5_lS8_S5_lS6_PT7_S5_li,"axG",@progbits,_ZL32rocblas_syrkx_herkx_small_kernelIifLi16ELb1ELb0ELc84ELc85EKPKfKPfEviT_T0_PT6_S5_lS8_S5_lS6_PT7_S5_li,comdat
	.globl	_ZL32rocblas_syrkx_herkx_small_kernelIifLi16ELb1ELb0ELc84ELc85EKPKfKPfEviT_T0_PT6_S5_lS8_S5_lS6_PT7_S5_li ; -- Begin function _ZL32rocblas_syrkx_herkx_small_kernelIifLi16ELb1ELb0ELc84ELc85EKPKfKPfEviT_T0_PT6_S5_lS8_S5_lS6_PT7_S5_li
	.p2align	8
	.type	_ZL32rocblas_syrkx_herkx_small_kernelIifLi16ELb1ELb0ELc84ELc85EKPKfKPfEviT_T0_PT6_S5_lS8_S5_lS6_PT7_S5_li,@function
_ZL32rocblas_syrkx_herkx_small_kernelIifLi16ELb1ELb0ELc84ELc85EKPKfKPfEviT_T0_PT6_S5_lS8_S5_lS6_PT7_S5_li: ; @_ZL32rocblas_syrkx_herkx_small_kernelIifLi16ELb1ELb0ELc84ELc85EKPKfKPfEviT_T0_PT6_S5_lS8_S5_lS6_PT7_S5_li
; %bb.0:
	s_load_dwordx2 s[2:3], s[4:5], 0x48
	s_load_dwordx4 s[12:15], s[4:5], 0x0
	s_mov_b32 s9, 0
	s_lshl_b64 s[0:1], s[8:9], 3
	v_lshl_add_u32 v7, s7, 4, v1
	s_waitcnt lgkmcnt(0)
	s_add_u32 s2, s2, s0
	s_addc_u32 s3, s3, s1
	s_load_dwordx2 s[10:11], s[2:3], 0x0
	v_lshl_add_u32 v2, s6, 4, v0
	s_cmp_lt_i32 s13, 1
	v_cmp_gt_i32_e32 vcc, s12, v7
	s_cbranch_scc1 .LBB515_7
; %bb.1:
	s_load_dwordx2 s[2:3], s[4:5], 0x28
	s_load_dwordx2 s[6:7], s[4:5], 0x10
	s_load_dword s8, s[4:5], 0x18
	s_load_dword s15, s[4:5], 0x30
	v_lshlrev_b32_e32 v9, 2, v0
	s_waitcnt lgkmcnt(0)
	s_add_u32 s2, s2, s0
	s_addc_u32 s3, s3, s1
	s_load_dwordx2 s[16:17], s[2:3], 0x0
	v_mad_i64_i32 v[3:4], s[2:3], s15, v7, 0
	v_lshlrev_b32_e32 v5, 6, v1
	v_add_u32_e32 v10, v9, v5
	v_lshlrev_b64 v[3:4], 2, v[3:4]
	v_add_u32_e32 v11, 0x400, v5
	v_add_co_u32_e64 v3, s[2:3], v3, v9
	v_addc_co_u32_e64 v4, s[2:3], 0, v4, s[2:3]
	v_mad_i64_i32 v[5:6], s[2:3], s8, v2, 0
	s_add_u32 s0, s6, s0
	s_addc_u32 s1, s7, s1
	s_load_dwordx2 s[6:7], s[0:1], 0x0
	s_waitcnt lgkmcnt(0)
	v_mov_b32_e32 v13, s17
	v_add_co_u32_e64 v3, s[2:3], s16, v3
	v_lshlrev_b64 v[5:6], 2, v[5:6]
	v_addc_co_u32_e64 v4, s[2:3], v13, v4, s[2:3]
	v_lshlrev_b32_e32 v13, 2, v1
	v_add_co_u32_e64 v5, s[2:3], v5, v13
	v_addc_co_u32_e64 v6, s[2:3], 0, v6, s[2:3]
	v_mov_b32_e32 v13, s7
	v_add_co_u32_e64 v5, s[2:3], s6, v5
	v_cmp_gt_i32_e64 s[0:1], s12, v2
	v_add_u32_e32 v12, v11, v9
	v_mov_b32_e32 v8, 0
	v_addc_co_u32_e64 v6, s[2:3], v13, v6, s[2:3]
	s_branch .LBB515_3
.LBB515_2:                              ;   in Loop: Header=BB515_3 Depth=1
	s_or_b64 exec, exec, s[2:3]
	s_waitcnt vmcnt(0) lgkmcnt(0)
	ds_write_b32 v12, v13
	s_waitcnt lgkmcnt(0)
	s_barrier
	ds_read2_b32 v[21:22], v9 offset1:16
	ds_read_b128 v[13:16], v11
	ds_read2_b32 v[23:24], v9 offset0:32 offset1:48
	ds_read_b128 v[17:20], v11 offset:16
	v_add_co_u32_e64 v3, s[2:3], 64, v3
	s_waitcnt lgkmcnt(2)
	v_fmac_f32_e32 v8, v21, v13
	v_fmac_f32_e32 v8, v22, v14
	ds_read2_b32 v[21:22], v9 offset0:64 offset1:80
	s_waitcnt lgkmcnt(2)
	v_fmac_f32_e32 v8, v23, v15
	v_fmac_f32_e32 v8, v24, v16
	ds_read2_b32 v[23:24], v9 offset0:96 offset1:112
	ds_read_b128 v[13:16], v11 offset:32
	v_addc_co_u32_e64 v4, s[2:3], 0, v4, s[2:3]
	s_waitcnt lgkmcnt(2)
	v_fmac_f32_e32 v8, v21, v17
	v_fmac_f32_e32 v8, v22, v18
	ds_read2_b32 v[21:22], v9 offset0:128 offset1:144
	s_waitcnt lgkmcnt(2)
	v_fmac_f32_e32 v8, v23, v19
	v_fmac_f32_e32 v8, v24, v20
	ds_read2_b32 v[23:24], v9 offset0:160 offset1:176
	ds_read_b128 v[17:20], v11 offset:48
	s_add_i32 s9, s9, 16
	s_waitcnt lgkmcnt(2)
	v_fmac_f32_e32 v8, v21, v13
	v_fmac_f32_e32 v8, v22, v14
	ds_read2_b32 v[13:14], v9 offset0:192 offset1:208
	s_waitcnt lgkmcnt(2)
	v_fmac_f32_e32 v8, v23, v15
	v_fmac_f32_e32 v8, v24, v16
	ds_read2_b32 v[15:16], v9 offset0:224 offset1:240
	v_add_co_u32_e64 v5, s[2:3], 64, v5
	s_waitcnt lgkmcnt(1)
	v_fmac_f32_e32 v8, v13, v17
	v_fmac_f32_e32 v8, v14, v18
	s_waitcnt lgkmcnt(0)
	v_fmac_f32_e32 v8, v15, v19
	v_fmac_f32_e32 v8, v16, v20
	s_cmp_ge_i32 s9, s13
	v_addc_co_u32_e64 v6, s[2:3], 0, v6, s[2:3]
	s_barrier
	s_cbranch_scc1 .LBB515_8
.LBB515_3:                              ; =>This Inner Loop Header: Depth=1
	v_add_u32_e32 v13, s9, v1
	v_cmp_gt_i32_e64 s[2:3], s13, v13
	s_and_b64 s[6:7], s[0:1], s[2:3]
	v_mov_b32_e32 v13, 0
	s_and_saveexec_b64 s[2:3], s[6:7]
	s_cbranch_execz .LBB515_5
; %bb.4:                                ;   in Loop: Header=BB515_3 Depth=1
	flat_load_dword v13, v[5:6]
.LBB515_5:                              ;   in Loop: Header=BB515_3 Depth=1
	s_or_b64 exec, exec, s[2:3]
	s_waitcnt vmcnt(0) lgkmcnt(0)
	ds_write_b32 v10, v13
	v_add_u32_e32 v13, s9, v0
	v_cmp_gt_i32_e64 s[2:3], s13, v13
	s_and_b64 s[6:7], vcc, s[2:3]
	v_mov_b32_e32 v13, 0
	s_and_saveexec_b64 s[2:3], s[6:7]
	s_cbranch_execz .LBB515_2
; %bb.6:                                ;   in Loop: Header=BB515_3 Depth=1
	flat_load_dword v13, v[3:4]
	s_branch .LBB515_2
.LBB515_7:
	v_mov_b32_e32 v8, 0
.LBB515_8:
	v_cmp_le_i32_e32 vcc, v2, v7
	v_cmp_gt_i32_e64 s[0:1], s12, v7
	s_and_b64 s[0:1], vcc, s[0:1]
	s_and_saveexec_b64 s[2:3], s[0:1]
	s_cbranch_execz .LBB515_10
; %bb.9:
	s_load_dword s0, s[4:5], 0x50
	v_ashrrev_i32_e32 v3, 31, v2
	s_waitcnt lgkmcnt(0)
	v_mov_b32_e32 v5, s11
	v_lshlrev_b64 v[2:3], 2, v[2:3]
	v_mul_f32_e32 v4, s14, v8
	v_mad_i64_i32 v[0:1], s[0:1], s0, v7, 0
	v_lshlrev_b64 v[0:1], 2, v[0:1]
	v_add_co_u32_e32 v0, vcc, s10, v0
	v_addc_co_u32_e32 v1, vcc, v5, v1, vcc
	v_add_co_u32_e32 v0, vcc, v0, v2
	v_addc_co_u32_e32 v1, vcc, v1, v3, vcc
	flat_store_dword v[0:1], v4
.LBB515_10:
	s_endpgm
	.section	.rodata,"a",@progbits
	.p2align	6, 0x0
	.amdhsa_kernel _ZL32rocblas_syrkx_herkx_small_kernelIifLi16ELb1ELb0ELc84ELc85EKPKfKPfEviT_T0_PT6_S5_lS8_S5_lS6_PT7_S5_li
		.amdhsa_group_segment_fixed_size 2048
		.amdhsa_private_segment_fixed_size 0
		.amdhsa_kernarg_size 100
		.amdhsa_user_sgpr_count 6
		.amdhsa_user_sgpr_private_segment_buffer 1
		.amdhsa_user_sgpr_dispatch_ptr 0
		.amdhsa_user_sgpr_queue_ptr 0
		.amdhsa_user_sgpr_kernarg_segment_ptr 1
		.amdhsa_user_sgpr_dispatch_id 0
		.amdhsa_user_sgpr_flat_scratch_init 0
		.amdhsa_user_sgpr_private_segment_size 0
		.amdhsa_uses_dynamic_stack 0
		.amdhsa_system_sgpr_private_segment_wavefront_offset 0
		.amdhsa_system_sgpr_workgroup_id_x 1
		.amdhsa_system_sgpr_workgroup_id_y 1
		.amdhsa_system_sgpr_workgroup_id_z 1
		.amdhsa_system_sgpr_workgroup_info 0
		.amdhsa_system_vgpr_workitem_id 1
		.amdhsa_next_free_vgpr 25
		.amdhsa_next_free_sgpr 18
		.amdhsa_reserve_vcc 1
		.amdhsa_reserve_flat_scratch 0
		.amdhsa_float_round_mode_32 0
		.amdhsa_float_round_mode_16_64 0
		.amdhsa_float_denorm_mode_32 3
		.amdhsa_float_denorm_mode_16_64 3
		.amdhsa_dx10_clamp 1
		.amdhsa_ieee_mode 1
		.amdhsa_fp16_overflow 0
		.amdhsa_exception_fp_ieee_invalid_op 0
		.amdhsa_exception_fp_denorm_src 0
		.amdhsa_exception_fp_ieee_div_zero 0
		.amdhsa_exception_fp_ieee_overflow 0
		.amdhsa_exception_fp_ieee_underflow 0
		.amdhsa_exception_fp_ieee_inexact 0
		.amdhsa_exception_int_div_zero 0
	.end_amdhsa_kernel
	.section	.text._ZL32rocblas_syrkx_herkx_small_kernelIifLi16ELb1ELb0ELc84ELc85EKPKfKPfEviT_T0_PT6_S5_lS8_S5_lS6_PT7_S5_li,"axG",@progbits,_ZL32rocblas_syrkx_herkx_small_kernelIifLi16ELb1ELb0ELc84ELc85EKPKfKPfEviT_T0_PT6_S5_lS8_S5_lS6_PT7_S5_li,comdat
.Lfunc_end515:
	.size	_ZL32rocblas_syrkx_herkx_small_kernelIifLi16ELb1ELb0ELc84ELc85EKPKfKPfEviT_T0_PT6_S5_lS8_S5_lS6_PT7_S5_li, .Lfunc_end515-_ZL32rocblas_syrkx_herkx_small_kernelIifLi16ELb1ELb0ELc84ELc85EKPKfKPfEviT_T0_PT6_S5_lS8_S5_lS6_PT7_S5_li
                                        ; -- End function
	.set _ZL32rocblas_syrkx_herkx_small_kernelIifLi16ELb1ELb0ELc84ELc85EKPKfKPfEviT_T0_PT6_S5_lS8_S5_lS6_PT7_S5_li.num_vgpr, 25
	.set _ZL32rocblas_syrkx_herkx_small_kernelIifLi16ELb1ELb0ELc84ELc85EKPKfKPfEviT_T0_PT6_S5_lS8_S5_lS6_PT7_S5_li.num_agpr, 0
	.set _ZL32rocblas_syrkx_herkx_small_kernelIifLi16ELb1ELb0ELc84ELc85EKPKfKPfEviT_T0_PT6_S5_lS8_S5_lS6_PT7_S5_li.numbered_sgpr, 18
	.set _ZL32rocblas_syrkx_herkx_small_kernelIifLi16ELb1ELb0ELc84ELc85EKPKfKPfEviT_T0_PT6_S5_lS8_S5_lS6_PT7_S5_li.num_named_barrier, 0
	.set _ZL32rocblas_syrkx_herkx_small_kernelIifLi16ELb1ELb0ELc84ELc85EKPKfKPfEviT_T0_PT6_S5_lS8_S5_lS6_PT7_S5_li.private_seg_size, 0
	.set _ZL32rocblas_syrkx_herkx_small_kernelIifLi16ELb1ELb0ELc84ELc85EKPKfKPfEviT_T0_PT6_S5_lS8_S5_lS6_PT7_S5_li.uses_vcc, 1
	.set _ZL32rocblas_syrkx_herkx_small_kernelIifLi16ELb1ELb0ELc84ELc85EKPKfKPfEviT_T0_PT6_S5_lS8_S5_lS6_PT7_S5_li.uses_flat_scratch, 0
	.set _ZL32rocblas_syrkx_herkx_small_kernelIifLi16ELb1ELb0ELc84ELc85EKPKfKPfEviT_T0_PT6_S5_lS8_S5_lS6_PT7_S5_li.has_dyn_sized_stack, 0
	.set _ZL32rocblas_syrkx_herkx_small_kernelIifLi16ELb1ELb0ELc84ELc85EKPKfKPfEviT_T0_PT6_S5_lS8_S5_lS6_PT7_S5_li.has_recursion, 0
	.set _ZL32rocblas_syrkx_herkx_small_kernelIifLi16ELb1ELb0ELc84ELc85EKPKfKPfEviT_T0_PT6_S5_lS8_S5_lS6_PT7_S5_li.has_indirect_call, 0
	.section	.AMDGPU.csdata,"",@progbits
; Kernel info:
; codeLenInByte = 752
; TotalNumSgprs: 22
; NumVgprs: 25
; ScratchSize: 0
; MemoryBound: 0
; FloatMode: 240
; IeeeMode: 1
; LDSByteSize: 2048 bytes/workgroup (compile time only)
; SGPRBlocks: 2
; VGPRBlocks: 6
; NumSGPRsForWavesPerEU: 22
; NumVGPRsForWavesPerEU: 25
; Occupancy: 9
; WaveLimiterHint : 1
; COMPUTE_PGM_RSRC2:SCRATCH_EN: 0
; COMPUTE_PGM_RSRC2:USER_SGPR: 6
; COMPUTE_PGM_RSRC2:TRAP_HANDLER: 0
; COMPUTE_PGM_RSRC2:TGID_X_EN: 1
; COMPUTE_PGM_RSRC2:TGID_Y_EN: 1
; COMPUTE_PGM_RSRC2:TGID_Z_EN: 1
; COMPUTE_PGM_RSRC2:TIDIG_COMP_CNT: 1
	.section	.text._ZL32rocblas_syrkx_herkx_small_kernelIifLi16ELb1ELb0ELc67ELc85EKPKfKPfEviT_T0_PT6_S5_lS8_S5_lS6_PT7_S5_li,"axG",@progbits,_ZL32rocblas_syrkx_herkx_small_kernelIifLi16ELb1ELb0ELc67ELc85EKPKfKPfEviT_T0_PT6_S5_lS8_S5_lS6_PT7_S5_li,comdat
	.globl	_ZL32rocblas_syrkx_herkx_small_kernelIifLi16ELb1ELb0ELc67ELc85EKPKfKPfEviT_T0_PT6_S5_lS8_S5_lS6_PT7_S5_li ; -- Begin function _ZL32rocblas_syrkx_herkx_small_kernelIifLi16ELb1ELb0ELc67ELc85EKPKfKPfEviT_T0_PT6_S5_lS8_S5_lS6_PT7_S5_li
	.p2align	8
	.type	_ZL32rocblas_syrkx_herkx_small_kernelIifLi16ELb1ELb0ELc67ELc85EKPKfKPfEviT_T0_PT6_S5_lS8_S5_lS6_PT7_S5_li,@function
_ZL32rocblas_syrkx_herkx_small_kernelIifLi16ELb1ELb0ELc67ELc85EKPKfKPfEviT_T0_PT6_S5_lS8_S5_lS6_PT7_S5_li: ; @_ZL32rocblas_syrkx_herkx_small_kernelIifLi16ELb1ELb0ELc67ELc85EKPKfKPfEviT_T0_PT6_S5_lS8_S5_lS6_PT7_S5_li
; %bb.0:
	s_load_dwordx2 s[2:3], s[4:5], 0x48
	s_load_dwordx4 s[12:15], s[4:5], 0x0
	s_mov_b32 s9, 0
	s_lshl_b64 s[0:1], s[8:9], 3
	v_lshl_add_u32 v7, s7, 4, v1
	s_waitcnt lgkmcnt(0)
	s_add_u32 s2, s2, s0
	s_addc_u32 s3, s3, s1
	s_load_dwordx2 s[10:11], s[2:3], 0x0
	v_lshl_add_u32 v2, s6, 4, v0
	s_cmp_lt_i32 s13, 1
	v_cmp_gt_i32_e32 vcc, s12, v7
	s_cbranch_scc1 .LBB516_7
; %bb.1:
	s_load_dwordx2 s[2:3], s[4:5], 0x28
	s_load_dwordx2 s[6:7], s[4:5], 0x10
	s_load_dword s8, s[4:5], 0x18
	s_load_dword s15, s[4:5], 0x30
	v_lshlrev_b32_e32 v9, 2, v0
	s_waitcnt lgkmcnt(0)
	s_add_u32 s2, s2, s0
	s_addc_u32 s3, s3, s1
	s_load_dwordx2 s[16:17], s[2:3], 0x0
	v_mad_i64_i32 v[3:4], s[2:3], s15, v7, 0
	v_lshlrev_b32_e32 v5, 6, v1
	v_add_u32_e32 v10, v9, v5
	v_lshlrev_b64 v[3:4], 2, v[3:4]
	v_add_u32_e32 v11, 0x400, v5
	v_add_co_u32_e64 v3, s[2:3], v3, v9
	v_addc_co_u32_e64 v4, s[2:3], 0, v4, s[2:3]
	v_mad_i64_i32 v[5:6], s[2:3], s8, v2, 0
	s_add_u32 s0, s6, s0
	s_addc_u32 s1, s7, s1
	s_load_dwordx2 s[6:7], s[0:1], 0x0
	s_waitcnt lgkmcnt(0)
	v_mov_b32_e32 v13, s17
	v_add_co_u32_e64 v3, s[2:3], s16, v3
	v_lshlrev_b64 v[5:6], 2, v[5:6]
	v_addc_co_u32_e64 v4, s[2:3], v13, v4, s[2:3]
	v_lshlrev_b32_e32 v13, 2, v1
	v_add_co_u32_e64 v5, s[2:3], v5, v13
	v_addc_co_u32_e64 v6, s[2:3], 0, v6, s[2:3]
	v_mov_b32_e32 v13, s7
	v_add_co_u32_e64 v5, s[2:3], s6, v5
	v_cmp_gt_i32_e64 s[0:1], s12, v2
	v_add_u32_e32 v12, v11, v9
	v_mov_b32_e32 v8, 0
	v_addc_co_u32_e64 v6, s[2:3], v13, v6, s[2:3]
	s_branch .LBB516_3
.LBB516_2:                              ;   in Loop: Header=BB516_3 Depth=1
	s_or_b64 exec, exec, s[2:3]
	s_waitcnt vmcnt(0) lgkmcnt(0)
	ds_write_b32 v12, v13
	s_waitcnt lgkmcnt(0)
	s_barrier
	ds_read2_b32 v[21:22], v9 offset1:16
	ds_read_b128 v[13:16], v11
	ds_read2_b32 v[23:24], v9 offset0:32 offset1:48
	ds_read_b128 v[17:20], v11 offset:16
	v_add_co_u32_e64 v3, s[2:3], 64, v3
	s_waitcnt lgkmcnt(2)
	v_fmac_f32_e32 v8, v21, v13
	v_fmac_f32_e32 v8, v22, v14
	ds_read2_b32 v[21:22], v9 offset0:64 offset1:80
	s_waitcnt lgkmcnt(2)
	v_fmac_f32_e32 v8, v23, v15
	v_fmac_f32_e32 v8, v24, v16
	ds_read2_b32 v[23:24], v9 offset0:96 offset1:112
	ds_read_b128 v[13:16], v11 offset:32
	v_addc_co_u32_e64 v4, s[2:3], 0, v4, s[2:3]
	s_waitcnt lgkmcnt(2)
	v_fmac_f32_e32 v8, v21, v17
	v_fmac_f32_e32 v8, v22, v18
	ds_read2_b32 v[21:22], v9 offset0:128 offset1:144
	s_waitcnt lgkmcnt(2)
	v_fmac_f32_e32 v8, v23, v19
	v_fmac_f32_e32 v8, v24, v20
	ds_read2_b32 v[23:24], v9 offset0:160 offset1:176
	ds_read_b128 v[17:20], v11 offset:48
	s_add_i32 s9, s9, 16
	s_waitcnt lgkmcnt(2)
	v_fmac_f32_e32 v8, v21, v13
	v_fmac_f32_e32 v8, v22, v14
	ds_read2_b32 v[13:14], v9 offset0:192 offset1:208
	s_waitcnt lgkmcnt(2)
	v_fmac_f32_e32 v8, v23, v15
	v_fmac_f32_e32 v8, v24, v16
	ds_read2_b32 v[15:16], v9 offset0:224 offset1:240
	v_add_co_u32_e64 v5, s[2:3], 64, v5
	s_waitcnt lgkmcnt(1)
	v_fmac_f32_e32 v8, v13, v17
	v_fmac_f32_e32 v8, v14, v18
	s_waitcnt lgkmcnt(0)
	v_fmac_f32_e32 v8, v15, v19
	v_fmac_f32_e32 v8, v16, v20
	s_cmp_ge_i32 s9, s13
	v_addc_co_u32_e64 v6, s[2:3], 0, v6, s[2:3]
	s_barrier
	s_cbranch_scc1 .LBB516_8
.LBB516_3:                              ; =>This Inner Loop Header: Depth=1
	v_add_u32_e32 v13, s9, v1
	v_cmp_gt_i32_e64 s[2:3], s13, v13
	s_and_b64 s[6:7], s[0:1], s[2:3]
	v_mov_b32_e32 v13, 0
	s_and_saveexec_b64 s[2:3], s[6:7]
	s_cbranch_execz .LBB516_5
; %bb.4:                                ;   in Loop: Header=BB516_3 Depth=1
	flat_load_dword v13, v[5:6]
.LBB516_5:                              ;   in Loop: Header=BB516_3 Depth=1
	s_or_b64 exec, exec, s[2:3]
	s_waitcnt vmcnt(0) lgkmcnt(0)
	ds_write_b32 v10, v13
	v_add_u32_e32 v13, s9, v0
	v_cmp_gt_i32_e64 s[2:3], s13, v13
	s_and_b64 s[6:7], vcc, s[2:3]
	v_mov_b32_e32 v13, 0
	s_and_saveexec_b64 s[2:3], s[6:7]
	s_cbranch_execz .LBB516_2
; %bb.6:                                ;   in Loop: Header=BB516_3 Depth=1
	flat_load_dword v13, v[3:4]
	s_branch .LBB516_2
.LBB516_7:
	v_mov_b32_e32 v8, 0
.LBB516_8:
	v_cmp_le_i32_e32 vcc, v2, v7
	v_cmp_gt_i32_e64 s[0:1], s12, v7
	s_and_b64 s[0:1], vcc, s[0:1]
	s_and_saveexec_b64 s[2:3], s[0:1]
	s_cbranch_execz .LBB516_10
; %bb.9:
	s_load_dword s0, s[4:5], 0x50
	v_ashrrev_i32_e32 v3, 31, v2
	s_waitcnt lgkmcnt(0)
	v_mov_b32_e32 v5, s11
	v_lshlrev_b64 v[2:3], 2, v[2:3]
	v_mul_f32_e32 v4, s14, v8
	v_mad_i64_i32 v[0:1], s[0:1], s0, v7, 0
	v_lshlrev_b64 v[0:1], 2, v[0:1]
	v_add_co_u32_e32 v0, vcc, s10, v0
	v_addc_co_u32_e32 v1, vcc, v5, v1, vcc
	v_add_co_u32_e32 v0, vcc, v0, v2
	v_addc_co_u32_e32 v1, vcc, v1, v3, vcc
	flat_store_dword v[0:1], v4
.LBB516_10:
	s_endpgm
	.section	.rodata,"a",@progbits
	.p2align	6, 0x0
	.amdhsa_kernel _ZL32rocblas_syrkx_herkx_small_kernelIifLi16ELb1ELb0ELc67ELc85EKPKfKPfEviT_T0_PT6_S5_lS8_S5_lS6_PT7_S5_li
		.amdhsa_group_segment_fixed_size 2048
		.amdhsa_private_segment_fixed_size 0
		.amdhsa_kernarg_size 100
		.amdhsa_user_sgpr_count 6
		.amdhsa_user_sgpr_private_segment_buffer 1
		.amdhsa_user_sgpr_dispatch_ptr 0
		.amdhsa_user_sgpr_queue_ptr 0
		.amdhsa_user_sgpr_kernarg_segment_ptr 1
		.amdhsa_user_sgpr_dispatch_id 0
		.amdhsa_user_sgpr_flat_scratch_init 0
		.amdhsa_user_sgpr_private_segment_size 0
		.amdhsa_uses_dynamic_stack 0
		.amdhsa_system_sgpr_private_segment_wavefront_offset 0
		.amdhsa_system_sgpr_workgroup_id_x 1
		.amdhsa_system_sgpr_workgroup_id_y 1
		.amdhsa_system_sgpr_workgroup_id_z 1
		.amdhsa_system_sgpr_workgroup_info 0
		.amdhsa_system_vgpr_workitem_id 1
		.amdhsa_next_free_vgpr 25
		.amdhsa_next_free_sgpr 18
		.amdhsa_reserve_vcc 1
		.amdhsa_reserve_flat_scratch 0
		.amdhsa_float_round_mode_32 0
		.amdhsa_float_round_mode_16_64 0
		.amdhsa_float_denorm_mode_32 3
		.amdhsa_float_denorm_mode_16_64 3
		.amdhsa_dx10_clamp 1
		.amdhsa_ieee_mode 1
		.amdhsa_fp16_overflow 0
		.amdhsa_exception_fp_ieee_invalid_op 0
		.amdhsa_exception_fp_denorm_src 0
		.amdhsa_exception_fp_ieee_div_zero 0
		.amdhsa_exception_fp_ieee_overflow 0
		.amdhsa_exception_fp_ieee_underflow 0
		.amdhsa_exception_fp_ieee_inexact 0
		.amdhsa_exception_int_div_zero 0
	.end_amdhsa_kernel
	.section	.text._ZL32rocblas_syrkx_herkx_small_kernelIifLi16ELb1ELb0ELc67ELc85EKPKfKPfEviT_T0_PT6_S5_lS8_S5_lS6_PT7_S5_li,"axG",@progbits,_ZL32rocblas_syrkx_herkx_small_kernelIifLi16ELb1ELb0ELc67ELc85EKPKfKPfEviT_T0_PT6_S5_lS8_S5_lS6_PT7_S5_li,comdat
.Lfunc_end516:
	.size	_ZL32rocblas_syrkx_herkx_small_kernelIifLi16ELb1ELb0ELc67ELc85EKPKfKPfEviT_T0_PT6_S5_lS8_S5_lS6_PT7_S5_li, .Lfunc_end516-_ZL32rocblas_syrkx_herkx_small_kernelIifLi16ELb1ELb0ELc67ELc85EKPKfKPfEviT_T0_PT6_S5_lS8_S5_lS6_PT7_S5_li
                                        ; -- End function
	.set _ZL32rocblas_syrkx_herkx_small_kernelIifLi16ELb1ELb0ELc67ELc85EKPKfKPfEviT_T0_PT6_S5_lS8_S5_lS6_PT7_S5_li.num_vgpr, 25
	.set _ZL32rocblas_syrkx_herkx_small_kernelIifLi16ELb1ELb0ELc67ELc85EKPKfKPfEviT_T0_PT6_S5_lS8_S5_lS6_PT7_S5_li.num_agpr, 0
	.set _ZL32rocblas_syrkx_herkx_small_kernelIifLi16ELb1ELb0ELc67ELc85EKPKfKPfEviT_T0_PT6_S5_lS8_S5_lS6_PT7_S5_li.numbered_sgpr, 18
	.set _ZL32rocblas_syrkx_herkx_small_kernelIifLi16ELb1ELb0ELc67ELc85EKPKfKPfEviT_T0_PT6_S5_lS8_S5_lS6_PT7_S5_li.num_named_barrier, 0
	.set _ZL32rocblas_syrkx_herkx_small_kernelIifLi16ELb1ELb0ELc67ELc85EKPKfKPfEviT_T0_PT6_S5_lS8_S5_lS6_PT7_S5_li.private_seg_size, 0
	.set _ZL32rocblas_syrkx_herkx_small_kernelIifLi16ELb1ELb0ELc67ELc85EKPKfKPfEviT_T0_PT6_S5_lS8_S5_lS6_PT7_S5_li.uses_vcc, 1
	.set _ZL32rocblas_syrkx_herkx_small_kernelIifLi16ELb1ELb0ELc67ELc85EKPKfKPfEviT_T0_PT6_S5_lS8_S5_lS6_PT7_S5_li.uses_flat_scratch, 0
	.set _ZL32rocblas_syrkx_herkx_small_kernelIifLi16ELb1ELb0ELc67ELc85EKPKfKPfEviT_T0_PT6_S5_lS8_S5_lS6_PT7_S5_li.has_dyn_sized_stack, 0
	.set _ZL32rocblas_syrkx_herkx_small_kernelIifLi16ELb1ELb0ELc67ELc85EKPKfKPfEviT_T0_PT6_S5_lS8_S5_lS6_PT7_S5_li.has_recursion, 0
	.set _ZL32rocblas_syrkx_herkx_small_kernelIifLi16ELb1ELb0ELc67ELc85EKPKfKPfEviT_T0_PT6_S5_lS8_S5_lS6_PT7_S5_li.has_indirect_call, 0
	.section	.AMDGPU.csdata,"",@progbits
; Kernel info:
; codeLenInByte = 752
; TotalNumSgprs: 22
; NumVgprs: 25
; ScratchSize: 0
; MemoryBound: 0
; FloatMode: 240
; IeeeMode: 1
; LDSByteSize: 2048 bytes/workgroup (compile time only)
; SGPRBlocks: 2
; VGPRBlocks: 6
; NumSGPRsForWavesPerEU: 22
; NumVGPRsForWavesPerEU: 25
; Occupancy: 9
; WaveLimiterHint : 1
; COMPUTE_PGM_RSRC2:SCRATCH_EN: 0
; COMPUTE_PGM_RSRC2:USER_SGPR: 6
; COMPUTE_PGM_RSRC2:TRAP_HANDLER: 0
; COMPUTE_PGM_RSRC2:TGID_X_EN: 1
; COMPUTE_PGM_RSRC2:TGID_Y_EN: 1
; COMPUTE_PGM_RSRC2:TGID_Z_EN: 1
; COMPUTE_PGM_RSRC2:TIDIG_COMP_CNT: 1
	.section	.text._ZL32rocblas_syrkx_herkx_small_kernelIifLi16ELb1ELb0ELc78ELc85EKPKfKPfEviT_T0_PT6_S5_lS8_S5_lS6_PT7_S5_li,"axG",@progbits,_ZL32rocblas_syrkx_herkx_small_kernelIifLi16ELb1ELb0ELc78ELc85EKPKfKPfEviT_T0_PT6_S5_lS8_S5_lS6_PT7_S5_li,comdat
	.globl	_ZL32rocblas_syrkx_herkx_small_kernelIifLi16ELb1ELb0ELc78ELc85EKPKfKPfEviT_T0_PT6_S5_lS8_S5_lS6_PT7_S5_li ; -- Begin function _ZL32rocblas_syrkx_herkx_small_kernelIifLi16ELb1ELb0ELc78ELc85EKPKfKPfEviT_T0_PT6_S5_lS8_S5_lS6_PT7_S5_li
	.p2align	8
	.type	_ZL32rocblas_syrkx_herkx_small_kernelIifLi16ELb1ELb0ELc78ELc85EKPKfKPfEviT_T0_PT6_S5_lS8_S5_lS6_PT7_S5_li,@function
_ZL32rocblas_syrkx_herkx_small_kernelIifLi16ELb1ELb0ELc78ELc85EKPKfKPfEviT_T0_PT6_S5_lS8_S5_lS6_PT7_S5_li: ; @_ZL32rocblas_syrkx_herkx_small_kernelIifLi16ELb1ELb0ELc78ELc85EKPKfKPfEviT_T0_PT6_S5_lS8_S5_lS6_PT7_S5_li
; %bb.0:
	s_load_dwordx2 s[2:3], s[4:5], 0x48
	s_load_dwordx4 s[12:15], s[4:5], 0x0
	s_mov_b32 s9, 0
	s_lshl_b64 s[0:1], s[8:9], 3
	v_lshl_add_u32 v2, s6, 4, v0
	s_waitcnt lgkmcnt(0)
	s_add_u32 s2, s2, s0
	s_addc_u32 s3, s3, s1
	s_load_dwordx2 s[10:11], s[2:3], 0x0
	v_lshl_add_u32 v4, s7, 4, v1
	s_cmp_lt_i32 s13, 1
	v_ashrrev_i32_e32 v3, 31, v2
	v_cmp_gt_i32_e32 vcc, s12, v4
	s_cbranch_scc1 .LBB517_7
; %bb.1:
	s_load_dword s16, s[4:5], 0x18
	s_load_dword s6, s[4:5], 0x30
	s_load_dwordx2 s[2:3], s[4:5], 0x28
	s_load_dwordx2 s[18:19], s[4:5], 0x10
	v_lshlrev_b32_e32 v5, 6, v1
	s_waitcnt lgkmcnt(0)
	s_ashr_i32 s17, s16, 31
	s_ashr_i32 s7, s6, 31
	s_add_u32 s2, s2, s0
	s_addc_u32 s3, s3, s1
	s_load_dwordx2 s[20:21], s[2:3], 0x0
	v_mad_i64_i32 v[6:7], s[2:3], s6, v0, 0
	v_lshlrev_b32_e32 v9, 2, v0
	v_add_u32_e32 v10, v9, v5
	v_add_u32_e32 v11, 0x400, v5
	v_ashrrev_i32_e32 v5, 31, v4
	v_lshlrev_b64 v[6:7], 2, v[6:7]
	v_lshlrev_b64 v[13:14], 2, v[4:5]
	s_add_u32 s0, s18, s0
	v_add_co_u32_e64 v5, s[2:3], v6, v13
	v_addc_co_u32_e64 v6, s[2:3], v7, v14, s[2:3]
	v_mad_i64_i32 v[7:8], s[2:3], s16, v1, 0
	s_addc_u32 s1, s19, s1
	s_load_dwordx2 s[18:19], s[0:1], 0x0
	s_waitcnt lgkmcnt(0)
	v_mov_b32_e32 v13, s21
	v_add_co_u32_e64 v5, s[2:3], s20, v5
	v_addc_co_u32_e64 v6, s[2:3], v13, v6, s[2:3]
	v_lshlrev_b64 v[7:8], 2, v[7:8]
	v_lshlrev_b64 v[13:14], 2, v[2:3]
	v_cmp_gt_i32_e64 s[0:1], s12, v2
	v_add_co_u32_e64 v7, s[2:3], v7, v13
	v_addc_co_u32_e64 v8, s[2:3], v8, v14, s[2:3]
	v_mov_b32_e32 v13, s19
	v_add_co_u32_e64 v7, s[2:3], s18, v7
	v_add_u32_e32 v12, v11, v9
	s_lshl_b64 s[6:7], s[6:7], 6
	v_addc_co_u32_e64 v8, s[2:3], v13, v8, s[2:3]
	s_lshl_b64 s[16:17], s[16:17], 6
	v_mov_b32_e32 v13, 0
	s_branch .LBB517_3
.LBB517_2:                              ;   in Loop: Header=BB517_3 Depth=1
	s_or_b64 exec, exec, s[2:3]
	s_waitcnt vmcnt(0) lgkmcnt(0)
	ds_write_b32 v12, v14
	s_waitcnt lgkmcnt(0)
	s_barrier
	ds_read2_b32 v[22:23], v9 offset1:16
	ds_read_b128 v[14:17], v11
	ds_read2_b32 v[24:25], v9 offset0:32 offset1:48
	ds_read_b128 v[18:21], v11 offset:16
	v_add_co_u32_e64 v5, s[2:3], s6, v5
	s_waitcnt lgkmcnt(2)
	v_fmac_f32_e32 v13, v22, v14
	v_fmac_f32_e32 v13, v23, v15
	ds_read2_b32 v[22:23], v9 offset0:64 offset1:80
	s_waitcnt lgkmcnt(2)
	v_fmac_f32_e32 v13, v24, v16
	v_fmac_f32_e32 v13, v25, v17
	ds_read2_b32 v[24:25], v9 offset0:96 offset1:112
	ds_read_b128 v[14:17], v11 offset:32
	s_add_i32 s9, s9, 16
	s_waitcnt lgkmcnt(2)
	v_fmac_f32_e32 v13, v22, v18
	v_fmac_f32_e32 v13, v23, v19
	ds_read2_b32 v[22:23], v9 offset0:128 offset1:144
	s_waitcnt lgkmcnt(2)
	v_fmac_f32_e32 v13, v24, v20
	v_fmac_f32_e32 v13, v25, v21
	ds_read2_b32 v[24:25], v9 offset0:160 offset1:176
	ds_read_b128 v[18:21], v11 offset:48
	s_cmp_ge_i32 s9, s13
	s_waitcnt lgkmcnt(2)
	v_fmac_f32_e32 v13, v22, v14
	v_fmac_f32_e32 v13, v23, v15
	ds_read2_b32 v[14:15], v9 offset0:192 offset1:208
	s_waitcnt lgkmcnt(2)
	v_fmac_f32_e32 v13, v24, v16
	v_fmac_f32_e32 v13, v25, v17
	ds_read2_b32 v[16:17], v9 offset0:224 offset1:240
	s_waitcnt lgkmcnt(0)
	v_fmac_f32_e32 v13, v14, v18
	v_mov_b32_e32 v14, s7
	v_fmac_f32_e32 v13, v15, v19
	v_addc_co_u32_e64 v6, s[2:3], v6, v14, s[2:3]
	v_fmac_f32_e32 v13, v16, v20
	v_mov_b32_e32 v14, s17
	v_add_co_u32_e64 v7, s[2:3], s16, v7
	v_fmac_f32_e32 v13, v17, v21
	v_addc_co_u32_e64 v8, s[2:3], v8, v14, s[2:3]
	s_barrier
	s_cbranch_scc1 .LBB517_8
.LBB517_3:                              ; =>This Inner Loop Header: Depth=1
	v_add_u32_e32 v14, s9, v1
	v_cmp_gt_i32_e64 s[2:3], s13, v14
	s_and_b64 s[18:19], s[0:1], s[2:3]
	v_mov_b32_e32 v14, 0
	s_and_saveexec_b64 s[2:3], s[18:19]
	s_cbranch_execz .LBB517_5
; %bb.4:                                ;   in Loop: Header=BB517_3 Depth=1
	flat_load_dword v14, v[7:8]
.LBB517_5:                              ;   in Loop: Header=BB517_3 Depth=1
	s_or_b64 exec, exec, s[2:3]
	s_waitcnt vmcnt(0) lgkmcnt(0)
	ds_write_b32 v10, v14
	v_add_u32_e32 v14, s9, v0
	v_cmp_gt_i32_e64 s[2:3], s13, v14
	s_and_b64 s[18:19], vcc, s[2:3]
	v_mov_b32_e32 v14, 0
	s_and_saveexec_b64 s[2:3], s[18:19]
	s_cbranch_execz .LBB517_2
; %bb.6:                                ;   in Loop: Header=BB517_3 Depth=1
	flat_load_dword v14, v[5:6]
	s_branch .LBB517_2
.LBB517_7:
	v_mov_b32_e32 v13, 0
.LBB517_8:
	v_cmp_le_i32_e32 vcc, v2, v4
	v_cmp_gt_i32_e64 s[0:1], s12, v4
	s_and_b64 s[0:1], vcc, s[0:1]
	s_and_saveexec_b64 s[2:3], s[0:1]
	s_cbranch_execz .LBB517_10
; %bb.9:
	s_load_dword s0, s[4:5], 0x50
	s_waitcnt lgkmcnt(0)
	v_mov_b32_e32 v5, s11
	v_lshlrev_b64 v[2:3], 2, v[2:3]
	v_mad_i64_i32 v[0:1], s[0:1], s0, v4, 0
	v_mul_f32_e32 v4, s14, v13
	v_lshlrev_b64 v[0:1], 2, v[0:1]
	v_add_co_u32_e32 v0, vcc, s10, v0
	v_addc_co_u32_e32 v1, vcc, v5, v1, vcc
	v_add_co_u32_e32 v0, vcc, v0, v2
	v_addc_co_u32_e32 v1, vcc, v1, v3, vcc
	flat_store_dword v[0:1], v4
.LBB517_10:
	s_endpgm
	.section	.rodata,"a",@progbits
	.p2align	6, 0x0
	.amdhsa_kernel _ZL32rocblas_syrkx_herkx_small_kernelIifLi16ELb1ELb0ELc78ELc85EKPKfKPfEviT_T0_PT6_S5_lS8_S5_lS6_PT7_S5_li
		.amdhsa_group_segment_fixed_size 2048
		.amdhsa_private_segment_fixed_size 0
		.amdhsa_kernarg_size 100
		.amdhsa_user_sgpr_count 6
		.amdhsa_user_sgpr_private_segment_buffer 1
		.amdhsa_user_sgpr_dispatch_ptr 0
		.amdhsa_user_sgpr_queue_ptr 0
		.amdhsa_user_sgpr_kernarg_segment_ptr 1
		.amdhsa_user_sgpr_dispatch_id 0
		.amdhsa_user_sgpr_flat_scratch_init 0
		.amdhsa_user_sgpr_private_segment_size 0
		.amdhsa_uses_dynamic_stack 0
		.amdhsa_system_sgpr_private_segment_wavefront_offset 0
		.amdhsa_system_sgpr_workgroup_id_x 1
		.amdhsa_system_sgpr_workgroup_id_y 1
		.amdhsa_system_sgpr_workgroup_id_z 1
		.amdhsa_system_sgpr_workgroup_info 0
		.amdhsa_system_vgpr_workitem_id 1
		.amdhsa_next_free_vgpr 26
		.amdhsa_next_free_sgpr 22
		.amdhsa_reserve_vcc 1
		.amdhsa_reserve_flat_scratch 0
		.amdhsa_float_round_mode_32 0
		.amdhsa_float_round_mode_16_64 0
		.amdhsa_float_denorm_mode_32 3
		.amdhsa_float_denorm_mode_16_64 3
		.amdhsa_dx10_clamp 1
		.amdhsa_ieee_mode 1
		.amdhsa_fp16_overflow 0
		.amdhsa_exception_fp_ieee_invalid_op 0
		.amdhsa_exception_fp_denorm_src 0
		.amdhsa_exception_fp_ieee_div_zero 0
		.amdhsa_exception_fp_ieee_overflow 0
		.amdhsa_exception_fp_ieee_underflow 0
		.amdhsa_exception_fp_ieee_inexact 0
		.amdhsa_exception_int_div_zero 0
	.end_amdhsa_kernel
	.section	.text._ZL32rocblas_syrkx_herkx_small_kernelIifLi16ELb1ELb0ELc78ELc85EKPKfKPfEviT_T0_PT6_S5_lS8_S5_lS6_PT7_S5_li,"axG",@progbits,_ZL32rocblas_syrkx_herkx_small_kernelIifLi16ELb1ELb0ELc78ELc85EKPKfKPfEviT_T0_PT6_S5_lS8_S5_lS6_PT7_S5_li,comdat
.Lfunc_end517:
	.size	_ZL32rocblas_syrkx_herkx_small_kernelIifLi16ELb1ELb0ELc78ELc85EKPKfKPfEviT_T0_PT6_S5_lS8_S5_lS6_PT7_S5_li, .Lfunc_end517-_ZL32rocblas_syrkx_herkx_small_kernelIifLi16ELb1ELb0ELc78ELc85EKPKfKPfEviT_T0_PT6_S5_lS8_S5_lS6_PT7_S5_li
                                        ; -- End function
	.set _ZL32rocblas_syrkx_herkx_small_kernelIifLi16ELb1ELb0ELc78ELc85EKPKfKPfEviT_T0_PT6_S5_lS8_S5_lS6_PT7_S5_li.num_vgpr, 26
	.set _ZL32rocblas_syrkx_herkx_small_kernelIifLi16ELb1ELb0ELc78ELc85EKPKfKPfEviT_T0_PT6_S5_lS8_S5_lS6_PT7_S5_li.num_agpr, 0
	.set _ZL32rocblas_syrkx_herkx_small_kernelIifLi16ELb1ELb0ELc78ELc85EKPKfKPfEviT_T0_PT6_S5_lS8_S5_lS6_PT7_S5_li.numbered_sgpr, 22
	.set _ZL32rocblas_syrkx_herkx_small_kernelIifLi16ELb1ELb0ELc78ELc85EKPKfKPfEviT_T0_PT6_S5_lS8_S5_lS6_PT7_S5_li.num_named_barrier, 0
	.set _ZL32rocblas_syrkx_herkx_small_kernelIifLi16ELb1ELb0ELc78ELc85EKPKfKPfEviT_T0_PT6_S5_lS8_S5_lS6_PT7_S5_li.private_seg_size, 0
	.set _ZL32rocblas_syrkx_herkx_small_kernelIifLi16ELb1ELb0ELc78ELc85EKPKfKPfEviT_T0_PT6_S5_lS8_S5_lS6_PT7_S5_li.uses_vcc, 1
	.set _ZL32rocblas_syrkx_herkx_small_kernelIifLi16ELb1ELb0ELc78ELc85EKPKfKPfEviT_T0_PT6_S5_lS8_S5_lS6_PT7_S5_li.uses_flat_scratch, 0
	.set _ZL32rocblas_syrkx_herkx_small_kernelIifLi16ELb1ELb0ELc78ELc85EKPKfKPfEviT_T0_PT6_S5_lS8_S5_lS6_PT7_S5_li.has_dyn_sized_stack, 0
	.set _ZL32rocblas_syrkx_herkx_small_kernelIifLi16ELb1ELb0ELc78ELc85EKPKfKPfEviT_T0_PT6_S5_lS8_S5_lS6_PT7_S5_li.has_recursion, 0
	.set _ZL32rocblas_syrkx_herkx_small_kernelIifLi16ELb1ELb0ELc78ELc85EKPKfKPfEviT_T0_PT6_S5_lS8_S5_lS6_PT7_S5_li.has_indirect_call, 0
	.section	.AMDGPU.csdata,"",@progbits
; Kernel info:
; codeLenInByte = 788
; TotalNumSgprs: 26
; NumVgprs: 26
; ScratchSize: 0
; MemoryBound: 0
; FloatMode: 240
; IeeeMode: 1
; LDSByteSize: 2048 bytes/workgroup (compile time only)
; SGPRBlocks: 3
; VGPRBlocks: 6
; NumSGPRsForWavesPerEU: 26
; NumVGPRsForWavesPerEU: 26
; Occupancy: 9
; WaveLimiterHint : 1
; COMPUTE_PGM_RSRC2:SCRATCH_EN: 0
; COMPUTE_PGM_RSRC2:USER_SGPR: 6
; COMPUTE_PGM_RSRC2:TRAP_HANDLER: 0
; COMPUTE_PGM_RSRC2:TGID_X_EN: 1
; COMPUTE_PGM_RSRC2:TGID_Y_EN: 1
; COMPUTE_PGM_RSRC2:TGID_Z_EN: 1
; COMPUTE_PGM_RSRC2:TIDIG_COMP_CNT: 1
	.section	.text._ZL32rocblas_syrkx_herkx_small_kernelIifLi16ELb0ELb0ELc84ELc76EKPKfKPfEviT_T0_PT6_S5_lS8_S5_lS6_PT7_S5_li,"axG",@progbits,_ZL32rocblas_syrkx_herkx_small_kernelIifLi16ELb0ELb0ELc84ELc76EKPKfKPfEviT_T0_PT6_S5_lS8_S5_lS6_PT7_S5_li,comdat
	.globl	_ZL32rocblas_syrkx_herkx_small_kernelIifLi16ELb0ELb0ELc84ELc76EKPKfKPfEviT_T0_PT6_S5_lS8_S5_lS6_PT7_S5_li ; -- Begin function _ZL32rocblas_syrkx_herkx_small_kernelIifLi16ELb0ELb0ELc84ELc76EKPKfKPfEviT_T0_PT6_S5_lS8_S5_lS6_PT7_S5_li
	.p2align	8
	.type	_ZL32rocblas_syrkx_herkx_small_kernelIifLi16ELb0ELb0ELc84ELc76EKPKfKPfEviT_T0_PT6_S5_lS8_S5_lS6_PT7_S5_li,@function
_ZL32rocblas_syrkx_herkx_small_kernelIifLi16ELb0ELb0ELc84ELc76EKPKfKPfEviT_T0_PT6_S5_lS8_S5_lS6_PT7_S5_li: ; @_ZL32rocblas_syrkx_herkx_small_kernelIifLi16ELb0ELb0ELc84ELc76EKPKfKPfEviT_T0_PT6_S5_lS8_S5_lS6_PT7_S5_li
; %bb.0:
	s_load_dwordx2 s[2:3], s[4:5], 0x48
	s_load_dwordx4 s[12:15], s[4:5], 0x0
	s_mov_b32 s9, 0
	s_lshl_b64 s[0:1], s[8:9], 3
	v_lshl_add_u32 v2, s6, 4, v0
	s_waitcnt lgkmcnt(0)
	s_add_u32 s2, s2, s0
	s_addc_u32 s3, s3, s1
	s_load_dwordx2 s[10:11], s[2:3], 0x0
	v_lshl_add_u32 v7, s7, 4, v1
	s_cmp_lt_i32 s13, 1
	v_cmp_gt_i32_e32 vcc, s12, v2
	s_cbranch_scc1 .LBB518_7
; %bb.1:
	s_load_dwordx2 s[2:3], s[4:5], 0x28
	s_load_dwordx2 s[6:7], s[4:5], 0x10
	s_load_dword s8, s[4:5], 0x18
	s_load_dword s15, s[4:5], 0x30
	v_lshlrev_b32_e32 v9, 2, v0
	s_waitcnt lgkmcnt(0)
	s_add_u32 s2, s2, s0
	s_addc_u32 s3, s3, s1
	s_add_u32 s0, s6, s0
	s_addc_u32 s1, s7, s1
	s_load_dwordx2 s[6:7], s[0:1], 0x0
	v_mad_i64_i32 v[3:4], s[0:1], s15, v7, 0
	s_load_dwordx2 s[16:17], s[2:3], 0x0
	v_lshlrev_b32_e32 v5, 6, v1
	v_lshlrev_b64 v[3:4], 2, v[3:4]
	v_add_u32_e32 v10, v9, v5
	v_add_co_u32_e64 v3, s[2:3], v3, v9
	v_add_u32_e32 v11, 0x400, v5
	v_addc_co_u32_e64 v4, s[2:3], 0, v4, s[2:3]
	v_mad_i64_i32 v[5:6], s[2:3], s8, v2, 0
	s_waitcnt lgkmcnt(0)
	v_mov_b32_e32 v13, s17
	v_add_co_u32_e64 v3, s[2:3], s16, v3
	v_lshlrev_b64 v[5:6], 2, v[5:6]
	v_addc_co_u32_e64 v4, s[2:3], v13, v4, s[2:3]
	v_lshlrev_b32_e32 v13, 2, v1
	v_add_co_u32_e64 v5, s[2:3], v5, v13
	v_addc_co_u32_e64 v6, s[2:3], 0, v6, s[2:3]
	v_mov_b32_e32 v13, s7
	v_add_co_u32_e64 v5, s[2:3], s6, v5
	v_cmp_gt_i32_e64 s[0:1], s12, v7
	v_add_u32_e32 v12, v11, v9
	v_mov_b32_e32 v8, 0
	v_addc_co_u32_e64 v6, s[2:3], v13, v6, s[2:3]
	s_branch .LBB518_3
.LBB518_2:                              ;   in Loop: Header=BB518_3 Depth=1
	s_or_b64 exec, exec, s[2:3]
	s_waitcnt vmcnt(0) lgkmcnt(0)
	ds_write_b32 v12, v13
	s_waitcnt lgkmcnt(0)
	s_barrier
	ds_read2_b32 v[21:22], v9 offset1:16
	ds_read_b128 v[13:16], v11
	ds_read2_b32 v[23:24], v9 offset0:32 offset1:48
	ds_read_b128 v[17:20], v11 offset:16
	v_add_co_u32_e64 v3, s[2:3], 64, v3
	s_waitcnt lgkmcnt(2)
	v_fmac_f32_e32 v8, v21, v13
	v_fmac_f32_e32 v8, v22, v14
	ds_read2_b32 v[21:22], v9 offset0:64 offset1:80
	s_waitcnt lgkmcnt(2)
	v_fmac_f32_e32 v8, v23, v15
	v_fmac_f32_e32 v8, v24, v16
	ds_read2_b32 v[23:24], v9 offset0:96 offset1:112
	ds_read_b128 v[13:16], v11 offset:32
	v_addc_co_u32_e64 v4, s[2:3], 0, v4, s[2:3]
	s_waitcnt lgkmcnt(2)
	v_fmac_f32_e32 v8, v21, v17
	v_fmac_f32_e32 v8, v22, v18
	ds_read2_b32 v[21:22], v9 offset0:128 offset1:144
	s_waitcnt lgkmcnt(2)
	v_fmac_f32_e32 v8, v23, v19
	v_fmac_f32_e32 v8, v24, v20
	ds_read2_b32 v[23:24], v9 offset0:160 offset1:176
	ds_read_b128 v[17:20], v11 offset:48
	s_add_i32 s9, s9, 16
	s_waitcnt lgkmcnt(2)
	v_fmac_f32_e32 v8, v21, v13
	v_fmac_f32_e32 v8, v22, v14
	ds_read2_b32 v[13:14], v9 offset0:192 offset1:208
	s_waitcnt lgkmcnt(2)
	v_fmac_f32_e32 v8, v23, v15
	v_fmac_f32_e32 v8, v24, v16
	ds_read2_b32 v[15:16], v9 offset0:224 offset1:240
	v_add_co_u32_e64 v5, s[2:3], 64, v5
	s_waitcnt lgkmcnt(1)
	v_fmac_f32_e32 v8, v13, v17
	v_fmac_f32_e32 v8, v14, v18
	s_waitcnt lgkmcnt(0)
	v_fmac_f32_e32 v8, v15, v19
	v_fmac_f32_e32 v8, v16, v20
	s_cmp_ge_i32 s9, s13
	v_addc_co_u32_e64 v6, s[2:3], 0, v6, s[2:3]
	s_barrier
	s_cbranch_scc1 .LBB518_8
.LBB518_3:                              ; =>This Inner Loop Header: Depth=1
	v_add_u32_e32 v13, s9, v1
	v_cmp_gt_i32_e64 s[2:3], s13, v13
	s_and_b64 s[6:7], vcc, s[2:3]
	v_mov_b32_e32 v13, 0
	s_and_saveexec_b64 s[2:3], s[6:7]
	s_cbranch_execz .LBB518_5
; %bb.4:                                ;   in Loop: Header=BB518_3 Depth=1
	flat_load_dword v13, v[5:6]
.LBB518_5:                              ;   in Loop: Header=BB518_3 Depth=1
	s_or_b64 exec, exec, s[2:3]
	s_waitcnt vmcnt(0) lgkmcnt(0)
	ds_write_b32 v10, v13
	v_add_u32_e32 v13, s9, v0
	v_cmp_gt_i32_e64 s[2:3], s13, v13
	s_and_b64 s[6:7], s[0:1], s[2:3]
	v_mov_b32_e32 v13, 0
	s_and_saveexec_b64 s[2:3], s[6:7]
	s_cbranch_execz .LBB518_2
; %bb.6:                                ;   in Loop: Header=BB518_3 Depth=1
	flat_load_dword v13, v[3:4]
	s_branch .LBB518_2
.LBB518_7:
	v_mov_b32_e32 v8, 0
.LBB518_8:
	v_cmp_le_i32_e32 vcc, v7, v2
	v_cmp_gt_i32_e64 s[0:1], s12, v2
	s_and_b64 s[0:1], vcc, s[0:1]
	s_and_saveexec_b64 s[2:3], s[0:1]
	s_cbranch_execz .LBB518_10
; %bb.9:
	s_load_dword s0, s[4:5], 0x50
	v_ashrrev_i32_e32 v3, 31, v2
	s_waitcnt lgkmcnt(0)
	v_mov_b32_e32 v4, s11
	v_lshlrev_b64 v[2:3], 2, v[2:3]
	v_mad_i64_i32 v[0:1], s[0:1], s0, v7, 0
	s_load_dword s0, s[4:5], 0x40
	v_lshlrev_b64 v[0:1], 2, v[0:1]
	v_add_co_u32_e32 v0, vcc, s10, v0
	v_addc_co_u32_e32 v1, vcc, v4, v1, vcc
	v_add_co_u32_e32 v0, vcc, v0, v2
	v_addc_co_u32_e32 v1, vcc, v1, v3, vcc
	flat_load_dword v2, v[0:1]
	s_waitcnt vmcnt(0) lgkmcnt(0)
	v_mul_f32_e32 v2, s0, v2
	v_fmac_f32_e32 v2, s14, v8
	flat_store_dword v[0:1], v2
.LBB518_10:
	s_endpgm
	.section	.rodata,"a",@progbits
	.p2align	6, 0x0
	.amdhsa_kernel _ZL32rocblas_syrkx_herkx_small_kernelIifLi16ELb0ELb0ELc84ELc76EKPKfKPfEviT_T0_PT6_S5_lS8_S5_lS6_PT7_S5_li
		.amdhsa_group_segment_fixed_size 2048
		.amdhsa_private_segment_fixed_size 0
		.amdhsa_kernarg_size 100
		.amdhsa_user_sgpr_count 6
		.amdhsa_user_sgpr_private_segment_buffer 1
		.amdhsa_user_sgpr_dispatch_ptr 0
		.amdhsa_user_sgpr_queue_ptr 0
		.amdhsa_user_sgpr_kernarg_segment_ptr 1
		.amdhsa_user_sgpr_dispatch_id 0
		.amdhsa_user_sgpr_flat_scratch_init 0
		.amdhsa_user_sgpr_private_segment_size 0
		.amdhsa_uses_dynamic_stack 0
		.amdhsa_system_sgpr_private_segment_wavefront_offset 0
		.amdhsa_system_sgpr_workgroup_id_x 1
		.amdhsa_system_sgpr_workgroup_id_y 1
		.amdhsa_system_sgpr_workgroup_id_z 1
		.amdhsa_system_sgpr_workgroup_info 0
		.amdhsa_system_vgpr_workitem_id 1
		.amdhsa_next_free_vgpr 25
		.amdhsa_next_free_sgpr 18
		.amdhsa_reserve_vcc 1
		.amdhsa_reserve_flat_scratch 0
		.amdhsa_float_round_mode_32 0
		.amdhsa_float_round_mode_16_64 0
		.amdhsa_float_denorm_mode_32 3
		.amdhsa_float_denorm_mode_16_64 3
		.amdhsa_dx10_clamp 1
		.amdhsa_ieee_mode 1
		.amdhsa_fp16_overflow 0
		.amdhsa_exception_fp_ieee_invalid_op 0
		.amdhsa_exception_fp_denorm_src 0
		.amdhsa_exception_fp_ieee_div_zero 0
		.amdhsa_exception_fp_ieee_overflow 0
		.amdhsa_exception_fp_ieee_underflow 0
		.amdhsa_exception_fp_ieee_inexact 0
		.amdhsa_exception_int_div_zero 0
	.end_amdhsa_kernel
	.section	.text._ZL32rocblas_syrkx_herkx_small_kernelIifLi16ELb0ELb0ELc84ELc76EKPKfKPfEviT_T0_PT6_S5_lS8_S5_lS6_PT7_S5_li,"axG",@progbits,_ZL32rocblas_syrkx_herkx_small_kernelIifLi16ELb0ELb0ELc84ELc76EKPKfKPfEviT_T0_PT6_S5_lS8_S5_lS6_PT7_S5_li,comdat
.Lfunc_end518:
	.size	_ZL32rocblas_syrkx_herkx_small_kernelIifLi16ELb0ELb0ELc84ELc76EKPKfKPfEviT_T0_PT6_S5_lS8_S5_lS6_PT7_S5_li, .Lfunc_end518-_ZL32rocblas_syrkx_herkx_small_kernelIifLi16ELb0ELb0ELc84ELc76EKPKfKPfEviT_T0_PT6_S5_lS8_S5_lS6_PT7_S5_li
                                        ; -- End function
	.set _ZL32rocblas_syrkx_herkx_small_kernelIifLi16ELb0ELb0ELc84ELc76EKPKfKPfEviT_T0_PT6_S5_lS8_S5_lS6_PT7_S5_li.num_vgpr, 25
	.set _ZL32rocblas_syrkx_herkx_small_kernelIifLi16ELb0ELb0ELc84ELc76EKPKfKPfEviT_T0_PT6_S5_lS8_S5_lS6_PT7_S5_li.num_agpr, 0
	.set _ZL32rocblas_syrkx_herkx_small_kernelIifLi16ELb0ELb0ELc84ELc76EKPKfKPfEviT_T0_PT6_S5_lS8_S5_lS6_PT7_S5_li.numbered_sgpr, 18
	.set _ZL32rocblas_syrkx_herkx_small_kernelIifLi16ELb0ELb0ELc84ELc76EKPKfKPfEviT_T0_PT6_S5_lS8_S5_lS6_PT7_S5_li.num_named_barrier, 0
	.set _ZL32rocblas_syrkx_herkx_small_kernelIifLi16ELb0ELb0ELc84ELc76EKPKfKPfEviT_T0_PT6_S5_lS8_S5_lS6_PT7_S5_li.private_seg_size, 0
	.set _ZL32rocblas_syrkx_herkx_small_kernelIifLi16ELb0ELb0ELc84ELc76EKPKfKPfEviT_T0_PT6_S5_lS8_S5_lS6_PT7_S5_li.uses_vcc, 1
	.set _ZL32rocblas_syrkx_herkx_small_kernelIifLi16ELb0ELb0ELc84ELc76EKPKfKPfEviT_T0_PT6_S5_lS8_S5_lS6_PT7_S5_li.uses_flat_scratch, 0
	.set _ZL32rocblas_syrkx_herkx_small_kernelIifLi16ELb0ELb0ELc84ELc76EKPKfKPfEviT_T0_PT6_S5_lS8_S5_lS6_PT7_S5_li.has_dyn_sized_stack, 0
	.set _ZL32rocblas_syrkx_herkx_small_kernelIifLi16ELb0ELb0ELc84ELc76EKPKfKPfEviT_T0_PT6_S5_lS8_S5_lS6_PT7_S5_li.has_recursion, 0
	.set _ZL32rocblas_syrkx_herkx_small_kernelIifLi16ELb0ELb0ELc84ELc76EKPKfKPfEviT_T0_PT6_S5_lS8_S5_lS6_PT7_S5_li.has_indirect_call, 0
	.section	.AMDGPU.csdata,"",@progbits
; Kernel info:
; codeLenInByte = 776
; TotalNumSgprs: 22
; NumVgprs: 25
; ScratchSize: 0
; MemoryBound: 0
; FloatMode: 240
; IeeeMode: 1
; LDSByteSize: 2048 bytes/workgroup (compile time only)
; SGPRBlocks: 2
; VGPRBlocks: 6
; NumSGPRsForWavesPerEU: 22
; NumVGPRsForWavesPerEU: 25
; Occupancy: 9
; WaveLimiterHint : 1
; COMPUTE_PGM_RSRC2:SCRATCH_EN: 0
; COMPUTE_PGM_RSRC2:USER_SGPR: 6
; COMPUTE_PGM_RSRC2:TRAP_HANDLER: 0
; COMPUTE_PGM_RSRC2:TGID_X_EN: 1
; COMPUTE_PGM_RSRC2:TGID_Y_EN: 1
; COMPUTE_PGM_RSRC2:TGID_Z_EN: 1
; COMPUTE_PGM_RSRC2:TIDIG_COMP_CNT: 1
	.section	.text._ZL32rocblas_syrkx_herkx_small_kernelIifLi16ELb0ELb0ELc67ELc76EKPKfKPfEviT_T0_PT6_S5_lS8_S5_lS6_PT7_S5_li,"axG",@progbits,_ZL32rocblas_syrkx_herkx_small_kernelIifLi16ELb0ELb0ELc67ELc76EKPKfKPfEviT_T0_PT6_S5_lS8_S5_lS6_PT7_S5_li,comdat
	.globl	_ZL32rocblas_syrkx_herkx_small_kernelIifLi16ELb0ELb0ELc67ELc76EKPKfKPfEviT_T0_PT6_S5_lS8_S5_lS6_PT7_S5_li ; -- Begin function _ZL32rocblas_syrkx_herkx_small_kernelIifLi16ELb0ELb0ELc67ELc76EKPKfKPfEviT_T0_PT6_S5_lS8_S5_lS6_PT7_S5_li
	.p2align	8
	.type	_ZL32rocblas_syrkx_herkx_small_kernelIifLi16ELb0ELb0ELc67ELc76EKPKfKPfEviT_T0_PT6_S5_lS8_S5_lS6_PT7_S5_li,@function
_ZL32rocblas_syrkx_herkx_small_kernelIifLi16ELb0ELb0ELc67ELc76EKPKfKPfEviT_T0_PT6_S5_lS8_S5_lS6_PT7_S5_li: ; @_ZL32rocblas_syrkx_herkx_small_kernelIifLi16ELb0ELb0ELc67ELc76EKPKfKPfEviT_T0_PT6_S5_lS8_S5_lS6_PT7_S5_li
; %bb.0:
	s_load_dwordx2 s[2:3], s[4:5], 0x48
	s_load_dwordx4 s[12:15], s[4:5], 0x0
	s_mov_b32 s9, 0
	s_lshl_b64 s[0:1], s[8:9], 3
	v_lshl_add_u32 v2, s6, 4, v0
	s_waitcnt lgkmcnt(0)
	s_add_u32 s2, s2, s0
	s_addc_u32 s3, s3, s1
	s_load_dwordx2 s[10:11], s[2:3], 0x0
	v_lshl_add_u32 v7, s7, 4, v1
	s_cmp_lt_i32 s13, 1
	v_cmp_gt_i32_e32 vcc, s12, v2
	s_cbranch_scc1 .LBB519_7
; %bb.1:
	s_load_dwordx2 s[2:3], s[4:5], 0x28
	s_load_dwordx2 s[6:7], s[4:5], 0x10
	s_load_dword s8, s[4:5], 0x18
	s_load_dword s15, s[4:5], 0x30
	v_lshlrev_b32_e32 v9, 2, v0
	s_waitcnt lgkmcnt(0)
	s_add_u32 s2, s2, s0
	s_addc_u32 s3, s3, s1
	s_add_u32 s0, s6, s0
	s_addc_u32 s1, s7, s1
	s_load_dwordx2 s[6:7], s[0:1], 0x0
	v_mad_i64_i32 v[3:4], s[0:1], s15, v7, 0
	s_load_dwordx2 s[16:17], s[2:3], 0x0
	v_lshlrev_b32_e32 v5, 6, v1
	v_lshlrev_b64 v[3:4], 2, v[3:4]
	v_add_u32_e32 v10, v9, v5
	v_add_co_u32_e64 v3, s[2:3], v3, v9
	v_add_u32_e32 v11, 0x400, v5
	v_addc_co_u32_e64 v4, s[2:3], 0, v4, s[2:3]
	v_mad_i64_i32 v[5:6], s[2:3], s8, v2, 0
	s_waitcnt lgkmcnt(0)
	v_mov_b32_e32 v13, s17
	v_add_co_u32_e64 v3, s[2:3], s16, v3
	v_lshlrev_b64 v[5:6], 2, v[5:6]
	v_addc_co_u32_e64 v4, s[2:3], v13, v4, s[2:3]
	v_lshlrev_b32_e32 v13, 2, v1
	v_add_co_u32_e64 v5, s[2:3], v5, v13
	v_addc_co_u32_e64 v6, s[2:3], 0, v6, s[2:3]
	v_mov_b32_e32 v13, s7
	v_add_co_u32_e64 v5, s[2:3], s6, v5
	v_cmp_gt_i32_e64 s[0:1], s12, v7
	v_add_u32_e32 v12, v11, v9
	v_mov_b32_e32 v8, 0
	v_addc_co_u32_e64 v6, s[2:3], v13, v6, s[2:3]
	s_branch .LBB519_3
.LBB519_2:                              ;   in Loop: Header=BB519_3 Depth=1
	s_or_b64 exec, exec, s[2:3]
	s_waitcnt vmcnt(0) lgkmcnt(0)
	ds_write_b32 v12, v13
	s_waitcnt lgkmcnt(0)
	s_barrier
	ds_read2_b32 v[21:22], v9 offset1:16
	ds_read_b128 v[13:16], v11
	ds_read2_b32 v[23:24], v9 offset0:32 offset1:48
	ds_read_b128 v[17:20], v11 offset:16
	v_add_co_u32_e64 v3, s[2:3], 64, v3
	s_waitcnt lgkmcnt(2)
	v_fmac_f32_e32 v8, v21, v13
	v_fmac_f32_e32 v8, v22, v14
	ds_read2_b32 v[21:22], v9 offset0:64 offset1:80
	s_waitcnt lgkmcnt(2)
	v_fmac_f32_e32 v8, v23, v15
	v_fmac_f32_e32 v8, v24, v16
	ds_read2_b32 v[23:24], v9 offset0:96 offset1:112
	ds_read_b128 v[13:16], v11 offset:32
	v_addc_co_u32_e64 v4, s[2:3], 0, v4, s[2:3]
	s_waitcnt lgkmcnt(2)
	v_fmac_f32_e32 v8, v21, v17
	v_fmac_f32_e32 v8, v22, v18
	ds_read2_b32 v[21:22], v9 offset0:128 offset1:144
	s_waitcnt lgkmcnt(2)
	v_fmac_f32_e32 v8, v23, v19
	v_fmac_f32_e32 v8, v24, v20
	ds_read2_b32 v[23:24], v9 offset0:160 offset1:176
	ds_read_b128 v[17:20], v11 offset:48
	s_add_i32 s9, s9, 16
	s_waitcnt lgkmcnt(2)
	v_fmac_f32_e32 v8, v21, v13
	v_fmac_f32_e32 v8, v22, v14
	ds_read2_b32 v[13:14], v9 offset0:192 offset1:208
	s_waitcnt lgkmcnt(2)
	v_fmac_f32_e32 v8, v23, v15
	v_fmac_f32_e32 v8, v24, v16
	ds_read2_b32 v[15:16], v9 offset0:224 offset1:240
	v_add_co_u32_e64 v5, s[2:3], 64, v5
	s_waitcnt lgkmcnt(1)
	v_fmac_f32_e32 v8, v13, v17
	v_fmac_f32_e32 v8, v14, v18
	s_waitcnt lgkmcnt(0)
	v_fmac_f32_e32 v8, v15, v19
	v_fmac_f32_e32 v8, v16, v20
	s_cmp_ge_i32 s9, s13
	v_addc_co_u32_e64 v6, s[2:3], 0, v6, s[2:3]
	s_barrier
	s_cbranch_scc1 .LBB519_8
.LBB519_3:                              ; =>This Inner Loop Header: Depth=1
	v_add_u32_e32 v13, s9, v1
	v_cmp_gt_i32_e64 s[2:3], s13, v13
	s_and_b64 s[6:7], vcc, s[2:3]
	v_mov_b32_e32 v13, 0
	s_and_saveexec_b64 s[2:3], s[6:7]
	s_cbranch_execz .LBB519_5
; %bb.4:                                ;   in Loop: Header=BB519_3 Depth=1
	flat_load_dword v13, v[5:6]
.LBB519_5:                              ;   in Loop: Header=BB519_3 Depth=1
	s_or_b64 exec, exec, s[2:3]
	s_waitcnt vmcnt(0) lgkmcnt(0)
	ds_write_b32 v10, v13
	v_add_u32_e32 v13, s9, v0
	v_cmp_gt_i32_e64 s[2:3], s13, v13
	s_and_b64 s[6:7], s[0:1], s[2:3]
	v_mov_b32_e32 v13, 0
	s_and_saveexec_b64 s[2:3], s[6:7]
	s_cbranch_execz .LBB519_2
; %bb.6:                                ;   in Loop: Header=BB519_3 Depth=1
	flat_load_dword v13, v[3:4]
	s_branch .LBB519_2
.LBB519_7:
	v_mov_b32_e32 v8, 0
.LBB519_8:
	v_cmp_le_i32_e32 vcc, v7, v2
	v_cmp_gt_i32_e64 s[0:1], s12, v2
	s_and_b64 s[0:1], vcc, s[0:1]
	s_and_saveexec_b64 s[2:3], s[0:1]
	s_cbranch_execz .LBB519_10
; %bb.9:
	s_load_dword s0, s[4:5], 0x50
	v_ashrrev_i32_e32 v3, 31, v2
	s_waitcnt lgkmcnt(0)
	v_mov_b32_e32 v4, s11
	v_lshlrev_b64 v[2:3], 2, v[2:3]
	v_mad_i64_i32 v[0:1], s[0:1], s0, v7, 0
	s_load_dword s0, s[4:5], 0x40
	v_lshlrev_b64 v[0:1], 2, v[0:1]
	v_add_co_u32_e32 v0, vcc, s10, v0
	v_addc_co_u32_e32 v1, vcc, v4, v1, vcc
	v_add_co_u32_e32 v0, vcc, v0, v2
	v_addc_co_u32_e32 v1, vcc, v1, v3, vcc
	flat_load_dword v2, v[0:1]
	s_waitcnt vmcnt(0) lgkmcnt(0)
	v_mul_f32_e32 v2, s0, v2
	v_fmac_f32_e32 v2, s14, v8
	flat_store_dword v[0:1], v2
.LBB519_10:
	s_endpgm
	.section	.rodata,"a",@progbits
	.p2align	6, 0x0
	.amdhsa_kernel _ZL32rocblas_syrkx_herkx_small_kernelIifLi16ELb0ELb0ELc67ELc76EKPKfKPfEviT_T0_PT6_S5_lS8_S5_lS6_PT7_S5_li
		.amdhsa_group_segment_fixed_size 2048
		.amdhsa_private_segment_fixed_size 0
		.amdhsa_kernarg_size 100
		.amdhsa_user_sgpr_count 6
		.amdhsa_user_sgpr_private_segment_buffer 1
		.amdhsa_user_sgpr_dispatch_ptr 0
		.amdhsa_user_sgpr_queue_ptr 0
		.amdhsa_user_sgpr_kernarg_segment_ptr 1
		.amdhsa_user_sgpr_dispatch_id 0
		.amdhsa_user_sgpr_flat_scratch_init 0
		.amdhsa_user_sgpr_private_segment_size 0
		.amdhsa_uses_dynamic_stack 0
		.amdhsa_system_sgpr_private_segment_wavefront_offset 0
		.amdhsa_system_sgpr_workgroup_id_x 1
		.amdhsa_system_sgpr_workgroup_id_y 1
		.amdhsa_system_sgpr_workgroup_id_z 1
		.amdhsa_system_sgpr_workgroup_info 0
		.amdhsa_system_vgpr_workitem_id 1
		.amdhsa_next_free_vgpr 25
		.amdhsa_next_free_sgpr 18
		.amdhsa_reserve_vcc 1
		.amdhsa_reserve_flat_scratch 0
		.amdhsa_float_round_mode_32 0
		.amdhsa_float_round_mode_16_64 0
		.amdhsa_float_denorm_mode_32 3
		.amdhsa_float_denorm_mode_16_64 3
		.amdhsa_dx10_clamp 1
		.amdhsa_ieee_mode 1
		.amdhsa_fp16_overflow 0
		.amdhsa_exception_fp_ieee_invalid_op 0
		.amdhsa_exception_fp_denorm_src 0
		.amdhsa_exception_fp_ieee_div_zero 0
		.amdhsa_exception_fp_ieee_overflow 0
		.amdhsa_exception_fp_ieee_underflow 0
		.amdhsa_exception_fp_ieee_inexact 0
		.amdhsa_exception_int_div_zero 0
	.end_amdhsa_kernel
	.section	.text._ZL32rocblas_syrkx_herkx_small_kernelIifLi16ELb0ELb0ELc67ELc76EKPKfKPfEviT_T0_PT6_S5_lS8_S5_lS6_PT7_S5_li,"axG",@progbits,_ZL32rocblas_syrkx_herkx_small_kernelIifLi16ELb0ELb0ELc67ELc76EKPKfKPfEviT_T0_PT6_S5_lS8_S5_lS6_PT7_S5_li,comdat
.Lfunc_end519:
	.size	_ZL32rocblas_syrkx_herkx_small_kernelIifLi16ELb0ELb0ELc67ELc76EKPKfKPfEviT_T0_PT6_S5_lS8_S5_lS6_PT7_S5_li, .Lfunc_end519-_ZL32rocblas_syrkx_herkx_small_kernelIifLi16ELb0ELb0ELc67ELc76EKPKfKPfEviT_T0_PT6_S5_lS8_S5_lS6_PT7_S5_li
                                        ; -- End function
	.set _ZL32rocblas_syrkx_herkx_small_kernelIifLi16ELb0ELb0ELc67ELc76EKPKfKPfEviT_T0_PT6_S5_lS8_S5_lS6_PT7_S5_li.num_vgpr, 25
	.set _ZL32rocblas_syrkx_herkx_small_kernelIifLi16ELb0ELb0ELc67ELc76EKPKfKPfEviT_T0_PT6_S5_lS8_S5_lS6_PT7_S5_li.num_agpr, 0
	.set _ZL32rocblas_syrkx_herkx_small_kernelIifLi16ELb0ELb0ELc67ELc76EKPKfKPfEviT_T0_PT6_S5_lS8_S5_lS6_PT7_S5_li.numbered_sgpr, 18
	.set _ZL32rocblas_syrkx_herkx_small_kernelIifLi16ELb0ELb0ELc67ELc76EKPKfKPfEviT_T0_PT6_S5_lS8_S5_lS6_PT7_S5_li.num_named_barrier, 0
	.set _ZL32rocblas_syrkx_herkx_small_kernelIifLi16ELb0ELb0ELc67ELc76EKPKfKPfEviT_T0_PT6_S5_lS8_S5_lS6_PT7_S5_li.private_seg_size, 0
	.set _ZL32rocblas_syrkx_herkx_small_kernelIifLi16ELb0ELb0ELc67ELc76EKPKfKPfEviT_T0_PT6_S5_lS8_S5_lS6_PT7_S5_li.uses_vcc, 1
	.set _ZL32rocblas_syrkx_herkx_small_kernelIifLi16ELb0ELb0ELc67ELc76EKPKfKPfEviT_T0_PT6_S5_lS8_S5_lS6_PT7_S5_li.uses_flat_scratch, 0
	.set _ZL32rocblas_syrkx_herkx_small_kernelIifLi16ELb0ELb0ELc67ELc76EKPKfKPfEviT_T0_PT6_S5_lS8_S5_lS6_PT7_S5_li.has_dyn_sized_stack, 0
	.set _ZL32rocblas_syrkx_herkx_small_kernelIifLi16ELb0ELb0ELc67ELc76EKPKfKPfEviT_T0_PT6_S5_lS8_S5_lS6_PT7_S5_li.has_recursion, 0
	.set _ZL32rocblas_syrkx_herkx_small_kernelIifLi16ELb0ELb0ELc67ELc76EKPKfKPfEviT_T0_PT6_S5_lS8_S5_lS6_PT7_S5_li.has_indirect_call, 0
	.section	.AMDGPU.csdata,"",@progbits
; Kernel info:
; codeLenInByte = 776
; TotalNumSgprs: 22
; NumVgprs: 25
; ScratchSize: 0
; MemoryBound: 0
; FloatMode: 240
; IeeeMode: 1
; LDSByteSize: 2048 bytes/workgroup (compile time only)
; SGPRBlocks: 2
; VGPRBlocks: 6
; NumSGPRsForWavesPerEU: 22
; NumVGPRsForWavesPerEU: 25
; Occupancy: 9
; WaveLimiterHint : 1
; COMPUTE_PGM_RSRC2:SCRATCH_EN: 0
; COMPUTE_PGM_RSRC2:USER_SGPR: 6
; COMPUTE_PGM_RSRC2:TRAP_HANDLER: 0
; COMPUTE_PGM_RSRC2:TGID_X_EN: 1
; COMPUTE_PGM_RSRC2:TGID_Y_EN: 1
; COMPUTE_PGM_RSRC2:TGID_Z_EN: 1
; COMPUTE_PGM_RSRC2:TIDIG_COMP_CNT: 1
	.section	.text._ZL32rocblas_syrkx_herkx_small_kernelIifLi16ELb0ELb0ELc78ELc76EKPKfKPfEviT_T0_PT6_S5_lS8_S5_lS6_PT7_S5_li,"axG",@progbits,_ZL32rocblas_syrkx_herkx_small_kernelIifLi16ELb0ELb0ELc78ELc76EKPKfKPfEviT_T0_PT6_S5_lS8_S5_lS6_PT7_S5_li,comdat
	.globl	_ZL32rocblas_syrkx_herkx_small_kernelIifLi16ELb0ELb0ELc78ELc76EKPKfKPfEviT_T0_PT6_S5_lS8_S5_lS6_PT7_S5_li ; -- Begin function _ZL32rocblas_syrkx_herkx_small_kernelIifLi16ELb0ELb0ELc78ELc76EKPKfKPfEviT_T0_PT6_S5_lS8_S5_lS6_PT7_S5_li
	.p2align	8
	.type	_ZL32rocblas_syrkx_herkx_small_kernelIifLi16ELb0ELb0ELc78ELc76EKPKfKPfEviT_T0_PT6_S5_lS8_S5_lS6_PT7_S5_li,@function
_ZL32rocblas_syrkx_herkx_small_kernelIifLi16ELb0ELb0ELc78ELc76EKPKfKPfEviT_T0_PT6_S5_lS8_S5_lS6_PT7_S5_li: ; @_ZL32rocblas_syrkx_herkx_small_kernelIifLi16ELb0ELb0ELc78ELc76EKPKfKPfEviT_T0_PT6_S5_lS8_S5_lS6_PT7_S5_li
; %bb.0:
	s_load_dwordx2 s[2:3], s[4:5], 0x48
	s_load_dwordx4 s[12:15], s[4:5], 0x0
	s_mov_b32 s9, 0
	s_lshl_b64 s[0:1], s[8:9], 3
	v_lshl_add_u32 v2, s6, 4, v0
	s_waitcnt lgkmcnt(0)
	s_add_u32 s2, s2, s0
	s_addc_u32 s3, s3, s1
	s_load_dwordx2 s[10:11], s[2:3], 0x0
	v_lshl_add_u32 v4, s7, 4, v1
	s_cmp_lt_i32 s13, 1
	v_cmp_gt_i32_e32 vcc, s12, v2
	v_ashrrev_i32_e32 v3, 31, v2
	s_cbranch_scc1 .LBB520_7
; %bb.1:
	s_load_dword s16, s[4:5], 0x18
	s_load_dword s6, s[4:5], 0x30
	s_load_dwordx2 s[2:3], s[4:5], 0x28
	s_load_dwordx2 s[18:19], s[4:5], 0x10
	v_lshlrev_b32_e32 v5, 6, v1
	s_waitcnt lgkmcnt(0)
	s_ashr_i32 s17, s16, 31
	s_ashr_i32 s7, s6, 31
	s_add_u32 s2, s2, s0
	s_addc_u32 s3, s3, s1
	s_load_dwordx2 s[20:21], s[2:3], 0x0
	v_mad_i64_i32 v[6:7], s[2:3], s6, v0, 0
	v_lshlrev_b32_e32 v9, 2, v0
	v_add_u32_e32 v10, v9, v5
	v_add_u32_e32 v12, 0x400, v5
	v_ashrrev_i32_e32 v5, 31, v4
	v_lshlrev_b64 v[6:7], 2, v[6:7]
	v_lshlrev_b64 v[14:15], 2, v[4:5]
	s_add_u32 s0, s18, s0
	v_add_co_u32_e64 v5, s[2:3], v6, v14
	v_addc_co_u32_e64 v6, s[2:3], v7, v15, s[2:3]
	v_mad_i64_i32 v[7:8], s[2:3], s16, v1, 0
	s_addc_u32 s1, s19, s1
	s_load_dwordx2 s[18:19], s[0:1], 0x0
	s_waitcnt lgkmcnt(0)
	v_mov_b32_e32 v11, s21
	v_add_co_u32_e64 v5, s[2:3], s20, v5
	v_lshlrev_b64 v[7:8], 2, v[7:8]
	v_lshlrev_b64 v[14:15], 2, v[2:3]
	v_addc_co_u32_e64 v6, s[2:3], v11, v6, s[2:3]
	v_add_co_u32_e64 v7, s[2:3], v7, v14
	v_addc_co_u32_e64 v8, s[2:3], v8, v15, s[2:3]
	v_mov_b32_e32 v11, s19
	v_add_co_u32_e64 v7, s[2:3], s18, v7
	v_cmp_gt_i32_e64 s[0:1], s12, v4
	v_add_u32_e32 v13, v12, v9
	s_lshl_b64 s[6:7], s[6:7], 6
	v_addc_co_u32_e64 v8, s[2:3], v11, v8, s[2:3]
	s_lshl_b64 s[16:17], s[16:17], 6
	v_mov_b32_e32 v11, 0
	s_branch .LBB520_3
.LBB520_2:                              ;   in Loop: Header=BB520_3 Depth=1
	s_or_b64 exec, exec, s[2:3]
	s_waitcnt vmcnt(0) lgkmcnt(0)
	ds_write_b32 v13, v14
	s_waitcnt lgkmcnt(0)
	s_barrier
	ds_read2_b32 v[22:23], v9 offset1:16
	ds_read_b128 v[14:17], v12
	ds_read2_b32 v[24:25], v9 offset0:32 offset1:48
	ds_read_b128 v[18:21], v12 offset:16
	v_add_co_u32_e64 v5, s[2:3], s6, v5
	s_waitcnt lgkmcnt(2)
	v_fmac_f32_e32 v11, v22, v14
	v_fmac_f32_e32 v11, v23, v15
	ds_read2_b32 v[22:23], v9 offset0:64 offset1:80
	s_waitcnt lgkmcnt(2)
	v_fmac_f32_e32 v11, v24, v16
	v_fmac_f32_e32 v11, v25, v17
	ds_read2_b32 v[24:25], v9 offset0:96 offset1:112
	ds_read_b128 v[14:17], v12 offset:32
	s_add_i32 s9, s9, 16
	s_waitcnt lgkmcnt(2)
	v_fmac_f32_e32 v11, v22, v18
	v_fmac_f32_e32 v11, v23, v19
	ds_read2_b32 v[22:23], v9 offset0:128 offset1:144
	s_waitcnt lgkmcnt(2)
	v_fmac_f32_e32 v11, v24, v20
	v_fmac_f32_e32 v11, v25, v21
	ds_read2_b32 v[24:25], v9 offset0:160 offset1:176
	ds_read_b128 v[18:21], v12 offset:48
	s_cmp_ge_i32 s9, s13
	s_waitcnt lgkmcnt(2)
	v_fmac_f32_e32 v11, v22, v14
	v_fmac_f32_e32 v11, v23, v15
	ds_read2_b32 v[14:15], v9 offset0:192 offset1:208
	s_waitcnt lgkmcnt(2)
	v_fmac_f32_e32 v11, v24, v16
	v_fmac_f32_e32 v11, v25, v17
	ds_read2_b32 v[16:17], v9 offset0:224 offset1:240
	s_waitcnt lgkmcnt(0)
	v_fmac_f32_e32 v11, v14, v18
	v_mov_b32_e32 v14, s7
	v_fmac_f32_e32 v11, v15, v19
	v_addc_co_u32_e64 v6, s[2:3], v6, v14, s[2:3]
	v_fmac_f32_e32 v11, v16, v20
	v_mov_b32_e32 v14, s17
	v_add_co_u32_e64 v7, s[2:3], s16, v7
	v_fmac_f32_e32 v11, v17, v21
	v_addc_co_u32_e64 v8, s[2:3], v8, v14, s[2:3]
	s_barrier
	s_cbranch_scc1 .LBB520_8
.LBB520_3:                              ; =>This Inner Loop Header: Depth=1
	v_add_u32_e32 v14, s9, v1
	v_cmp_gt_i32_e64 s[2:3], s13, v14
	s_and_b64 s[18:19], vcc, s[2:3]
	v_mov_b32_e32 v14, 0
	s_and_saveexec_b64 s[2:3], s[18:19]
	s_cbranch_execz .LBB520_5
; %bb.4:                                ;   in Loop: Header=BB520_3 Depth=1
	flat_load_dword v14, v[7:8]
.LBB520_5:                              ;   in Loop: Header=BB520_3 Depth=1
	s_or_b64 exec, exec, s[2:3]
	s_waitcnt vmcnt(0) lgkmcnt(0)
	ds_write_b32 v10, v14
	v_add_u32_e32 v14, s9, v0
	v_cmp_gt_i32_e64 s[2:3], s13, v14
	s_and_b64 s[18:19], s[0:1], s[2:3]
	v_mov_b32_e32 v14, 0
	s_and_saveexec_b64 s[2:3], s[18:19]
	s_cbranch_execz .LBB520_2
; %bb.6:                                ;   in Loop: Header=BB520_3 Depth=1
	flat_load_dword v14, v[5:6]
	s_branch .LBB520_2
.LBB520_7:
	v_mov_b32_e32 v11, 0
.LBB520_8:
	v_cmp_le_i32_e32 vcc, v4, v2
	v_cmp_gt_i32_e64 s[0:1], s12, v2
	s_and_b64 s[0:1], vcc, s[0:1]
	s_and_saveexec_b64 s[2:3], s[0:1]
	s_cbranch_execz .LBB520_10
; %bb.9:
	s_load_dword s0, s[4:5], 0x50
	v_lshlrev_b64 v[2:3], 2, v[2:3]
	s_waitcnt lgkmcnt(0)
	v_mad_i64_i32 v[0:1], s[0:1], s0, v4, 0
	v_mov_b32_e32 v4, s11
	s_load_dword s0, s[4:5], 0x40
	v_lshlrev_b64 v[0:1], 2, v[0:1]
	v_add_co_u32_e32 v0, vcc, s10, v0
	v_addc_co_u32_e32 v1, vcc, v4, v1, vcc
	v_add_co_u32_e32 v0, vcc, v0, v2
	v_addc_co_u32_e32 v1, vcc, v1, v3, vcc
	flat_load_dword v2, v[0:1]
	s_waitcnt vmcnt(0) lgkmcnt(0)
	v_mul_f32_e32 v2, s0, v2
	v_fmac_f32_e32 v2, s14, v11
	flat_store_dword v[0:1], v2
.LBB520_10:
	s_endpgm
	.section	.rodata,"a",@progbits
	.p2align	6, 0x0
	.amdhsa_kernel _ZL32rocblas_syrkx_herkx_small_kernelIifLi16ELb0ELb0ELc78ELc76EKPKfKPfEviT_T0_PT6_S5_lS8_S5_lS6_PT7_S5_li
		.amdhsa_group_segment_fixed_size 2048
		.amdhsa_private_segment_fixed_size 0
		.amdhsa_kernarg_size 100
		.amdhsa_user_sgpr_count 6
		.amdhsa_user_sgpr_private_segment_buffer 1
		.amdhsa_user_sgpr_dispatch_ptr 0
		.amdhsa_user_sgpr_queue_ptr 0
		.amdhsa_user_sgpr_kernarg_segment_ptr 1
		.amdhsa_user_sgpr_dispatch_id 0
		.amdhsa_user_sgpr_flat_scratch_init 0
		.amdhsa_user_sgpr_private_segment_size 0
		.amdhsa_uses_dynamic_stack 0
		.amdhsa_system_sgpr_private_segment_wavefront_offset 0
		.amdhsa_system_sgpr_workgroup_id_x 1
		.amdhsa_system_sgpr_workgroup_id_y 1
		.amdhsa_system_sgpr_workgroup_id_z 1
		.amdhsa_system_sgpr_workgroup_info 0
		.amdhsa_system_vgpr_workitem_id 1
		.amdhsa_next_free_vgpr 26
		.amdhsa_next_free_sgpr 22
		.amdhsa_reserve_vcc 1
		.amdhsa_reserve_flat_scratch 0
		.amdhsa_float_round_mode_32 0
		.amdhsa_float_round_mode_16_64 0
		.amdhsa_float_denorm_mode_32 3
		.amdhsa_float_denorm_mode_16_64 3
		.amdhsa_dx10_clamp 1
		.amdhsa_ieee_mode 1
		.amdhsa_fp16_overflow 0
		.amdhsa_exception_fp_ieee_invalid_op 0
		.amdhsa_exception_fp_denorm_src 0
		.amdhsa_exception_fp_ieee_div_zero 0
		.amdhsa_exception_fp_ieee_overflow 0
		.amdhsa_exception_fp_ieee_underflow 0
		.amdhsa_exception_fp_ieee_inexact 0
		.amdhsa_exception_int_div_zero 0
	.end_amdhsa_kernel
	.section	.text._ZL32rocblas_syrkx_herkx_small_kernelIifLi16ELb0ELb0ELc78ELc76EKPKfKPfEviT_T0_PT6_S5_lS8_S5_lS6_PT7_S5_li,"axG",@progbits,_ZL32rocblas_syrkx_herkx_small_kernelIifLi16ELb0ELb0ELc78ELc76EKPKfKPfEviT_T0_PT6_S5_lS8_S5_lS6_PT7_S5_li,comdat
.Lfunc_end520:
	.size	_ZL32rocblas_syrkx_herkx_small_kernelIifLi16ELb0ELb0ELc78ELc76EKPKfKPfEviT_T0_PT6_S5_lS8_S5_lS6_PT7_S5_li, .Lfunc_end520-_ZL32rocblas_syrkx_herkx_small_kernelIifLi16ELb0ELb0ELc78ELc76EKPKfKPfEviT_T0_PT6_S5_lS8_S5_lS6_PT7_S5_li
                                        ; -- End function
	.set _ZL32rocblas_syrkx_herkx_small_kernelIifLi16ELb0ELb0ELc78ELc76EKPKfKPfEviT_T0_PT6_S5_lS8_S5_lS6_PT7_S5_li.num_vgpr, 26
	.set _ZL32rocblas_syrkx_herkx_small_kernelIifLi16ELb0ELb0ELc78ELc76EKPKfKPfEviT_T0_PT6_S5_lS8_S5_lS6_PT7_S5_li.num_agpr, 0
	.set _ZL32rocblas_syrkx_herkx_small_kernelIifLi16ELb0ELb0ELc78ELc76EKPKfKPfEviT_T0_PT6_S5_lS8_S5_lS6_PT7_S5_li.numbered_sgpr, 22
	.set _ZL32rocblas_syrkx_herkx_small_kernelIifLi16ELb0ELb0ELc78ELc76EKPKfKPfEviT_T0_PT6_S5_lS8_S5_lS6_PT7_S5_li.num_named_barrier, 0
	.set _ZL32rocblas_syrkx_herkx_small_kernelIifLi16ELb0ELb0ELc78ELc76EKPKfKPfEviT_T0_PT6_S5_lS8_S5_lS6_PT7_S5_li.private_seg_size, 0
	.set _ZL32rocblas_syrkx_herkx_small_kernelIifLi16ELb0ELb0ELc78ELc76EKPKfKPfEviT_T0_PT6_S5_lS8_S5_lS6_PT7_S5_li.uses_vcc, 1
	.set _ZL32rocblas_syrkx_herkx_small_kernelIifLi16ELb0ELb0ELc78ELc76EKPKfKPfEviT_T0_PT6_S5_lS8_S5_lS6_PT7_S5_li.uses_flat_scratch, 0
	.set _ZL32rocblas_syrkx_herkx_small_kernelIifLi16ELb0ELb0ELc78ELc76EKPKfKPfEviT_T0_PT6_S5_lS8_S5_lS6_PT7_S5_li.has_dyn_sized_stack, 0
	.set _ZL32rocblas_syrkx_herkx_small_kernelIifLi16ELb0ELb0ELc78ELc76EKPKfKPfEviT_T0_PT6_S5_lS8_S5_lS6_PT7_S5_li.has_recursion, 0
	.set _ZL32rocblas_syrkx_herkx_small_kernelIifLi16ELb0ELb0ELc78ELc76EKPKfKPfEviT_T0_PT6_S5_lS8_S5_lS6_PT7_S5_li.has_indirect_call, 0
	.section	.AMDGPU.csdata,"",@progbits
; Kernel info:
; codeLenInByte = 812
; TotalNumSgprs: 26
; NumVgprs: 26
; ScratchSize: 0
; MemoryBound: 0
; FloatMode: 240
; IeeeMode: 1
; LDSByteSize: 2048 bytes/workgroup (compile time only)
; SGPRBlocks: 3
; VGPRBlocks: 6
; NumSGPRsForWavesPerEU: 26
; NumVGPRsForWavesPerEU: 26
; Occupancy: 9
; WaveLimiterHint : 1
; COMPUTE_PGM_RSRC2:SCRATCH_EN: 0
; COMPUTE_PGM_RSRC2:USER_SGPR: 6
; COMPUTE_PGM_RSRC2:TRAP_HANDLER: 0
; COMPUTE_PGM_RSRC2:TGID_X_EN: 1
; COMPUTE_PGM_RSRC2:TGID_Y_EN: 1
; COMPUTE_PGM_RSRC2:TGID_Z_EN: 1
; COMPUTE_PGM_RSRC2:TIDIG_COMP_CNT: 1
	.section	.text._ZL32rocblas_syrkx_herkx_small_kernelIifLi16ELb0ELb0ELc84ELc85EKPKfKPfEviT_T0_PT6_S5_lS8_S5_lS6_PT7_S5_li,"axG",@progbits,_ZL32rocblas_syrkx_herkx_small_kernelIifLi16ELb0ELb0ELc84ELc85EKPKfKPfEviT_T0_PT6_S5_lS8_S5_lS6_PT7_S5_li,comdat
	.globl	_ZL32rocblas_syrkx_herkx_small_kernelIifLi16ELb0ELb0ELc84ELc85EKPKfKPfEviT_T0_PT6_S5_lS8_S5_lS6_PT7_S5_li ; -- Begin function _ZL32rocblas_syrkx_herkx_small_kernelIifLi16ELb0ELb0ELc84ELc85EKPKfKPfEviT_T0_PT6_S5_lS8_S5_lS6_PT7_S5_li
	.p2align	8
	.type	_ZL32rocblas_syrkx_herkx_small_kernelIifLi16ELb0ELb0ELc84ELc85EKPKfKPfEviT_T0_PT6_S5_lS8_S5_lS6_PT7_S5_li,@function
_ZL32rocblas_syrkx_herkx_small_kernelIifLi16ELb0ELb0ELc84ELc85EKPKfKPfEviT_T0_PT6_S5_lS8_S5_lS6_PT7_S5_li: ; @_ZL32rocblas_syrkx_herkx_small_kernelIifLi16ELb0ELb0ELc84ELc85EKPKfKPfEviT_T0_PT6_S5_lS8_S5_lS6_PT7_S5_li
; %bb.0:
	s_load_dwordx2 s[2:3], s[4:5], 0x48
	s_load_dwordx4 s[12:15], s[4:5], 0x0
	s_mov_b32 s9, 0
	s_lshl_b64 s[0:1], s[8:9], 3
	v_lshl_add_u32 v7, s7, 4, v1
	s_waitcnt lgkmcnt(0)
	s_add_u32 s2, s2, s0
	s_addc_u32 s3, s3, s1
	s_load_dwordx2 s[10:11], s[2:3], 0x0
	v_lshl_add_u32 v2, s6, 4, v0
	s_cmp_lt_i32 s13, 1
	v_cmp_gt_i32_e32 vcc, s12, v7
	s_cbranch_scc1 .LBB521_7
; %bb.1:
	s_load_dwordx2 s[2:3], s[4:5], 0x28
	s_load_dwordx2 s[6:7], s[4:5], 0x10
	s_load_dword s8, s[4:5], 0x18
	s_load_dword s15, s[4:5], 0x30
	v_lshlrev_b32_e32 v9, 2, v0
	s_waitcnt lgkmcnt(0)
	s_add_u32 s2, s2, s0
	s_addc_u32 s3, s3, s1
	s_load_dwordx2 s[16:17], s[2:3], 0x0
	v_mad_i64_i32 v[3:4], s[2:3], s15, v7, 0
	v_lshlrev_b32_e32 v5, 6, v1
	v_add_u32_e32 v10, v9, v5
	v_lshlrev_b64 v[3:4], 2, v[3:4]
	v_add_u32_e32 v11, 0x400, v5
	v_add_co_u32_e64 v3, s[2:3], v3, v9
	v_addc_co_u32_e64 v4, s[2:3], 0, v4, s[2:3]
	v_mad_i64_i32 v[5:6], s[2:3], s8, v2, 0
	s_add_u32 s0, s6, s0
	s_addc_u32 s1, s7, s1
	s_load_dwordx2 s[6:7], s[0:1], 0x0
	s_waitcnt lgkmcnt(0)
	v_mov_b32_e32 v13, s17
	v_add_co_u32_e64 v3, s[2:3], s16, v3
	v_lshlrev_b64 v[5:6], 2, v[5:6]
	v_addc_co_u32_e64 v4, s[2:3], v13, v4, s[2:3]
	v_lshlrev_b32_e32 v13, 2, v1
	v_add_co_u32_e64 v5, s[2:3], v5, v13
	v_addc_co_u32_e64 v6, s[2:3], 0, v6, s[2:3]
	v_mov_b32_e32 v13, s7
	v_add_co_u32_e64 v5, s[2:3], s6, v5
	v_cmp_gt_i32_e64 s[0:1], s12, v2
	v_add_u32_e32 v12, v11, v9
	v_mov_b32_e32 v8, 0
	v_addc_co_u32_e64 v6, s[2:3], v13, v6, s[2:3]
	s_branch .LBB521_3
.LBB521_2:                              ;   in Loop: Header=BB521_3 Depth=1
	s_or_b64 exec, exec, s[2:3]
	s_waitcnt vmcnt(0) lgkmcnt(0)
	ds_write_b32 v12, v13
	s_waitcnt lgkmcnt(0)
	s_barrier
	ds_read2_b32 v[21:22], v9 offset1:16
	ds_read_b128 v[13:16], v11
	ds_read2_b32 v[23:24], v9 offset0:32 offset1:48
	ds_read_b128 v[17:20], v11 offset:16
	v_add_co_u32_e64 v3, s[2:3], 64, v3
	s_waitcnt lgkmcnt(2)
	v_fmac_f32_e32 v8, v21, v13
	v_fmac_f32_e32 v8, v22, v14
	ds_read2_b32 v[21:22], v9 offset0:64 offset1:80
	s_waitcnt lgkmcnt(2)
	v_fmac_f32_e32 v8, v23, v15
	v_fmac_f32_e32 v8, v24, v16
	ds_read2_b32 v[23:24], v9 offset0:96 offset1:112
	ds_read_b128 v[13:16], v11 offset:32
	v_addc_co_u32_e64 v4, s[2:3], 0, v4, s[2:3]
	s_waitcnt lgkmcnt(2)
	v_fmac_f32_e32 v8, v21, v17
	v_fmac_f32_e32 v8, v22, v18
	ds_read2_b32 v[21:22], v9 offset0:128 offset1:144
	s_waitcnt lgkmcnt(2)
	v_fmac_f32_e32 v8, v23, v19
	v_fmac_f32_e32 v8, v24, v20
	ds_read2_b32 v[23:24], v9 offset0:160 offset1:176
	ds_read_b128 v[17:20], v11 offset:48
	s_add_i32 s9, s9, 16
	s_waitcnt lgkmcnt(2)
	v_fmac_f32_e32 v8, v21, v13
	v_fmac_f32_e32 v8, v22, v14
	ds_read2_b32 v[13:14], v9 offset0:192 offset1:208
	s_waitcnt lgkmcnt(2)
	v_fmac_f32_e32 v8, v23, v15
	v_fmac_f32_e32 v8, v24, v16
	ds_read2_b32 v[15:16], v9 offset0:224 offset1:240
	v_add_co_u32_e64 v5, s[2:3], 64, v5
	s_waitcnt lgkmcnt(1)
	v_fmac_f32_e32 v8, v13, v17
	v_fmac_f32_e32 v8, v14, v18
	s_waitcnt lgkmcnt(0)
	v_fmac_f32_e32 v8, v15, v19
	v_fmac_f32_e32 v8, v16, v20
	s_cmp_ge_i32 s9, s13
	v_addc_co_u32_e64 v6, s[2:3], 0, v6, s[2:3]
	s_barrier
	s_cbranch_scc1 .LBB521_8
.LBB521_3:                              ; =>This Inner Loop Header: Depth=1
	v_add_u32_e32 v13, s9, v1
	v_cmp_gt_i32_e64 s[2:3], s13, v13
	s_and_b64 s[6:7], s[0:1], s[2:3]
	v_mov_b32_e32 v13, 0
	s_and_saveexec_b64 s[2:3], s[6:7]
	s_cbranch_execz .LBB521_5
; %bb.4:                                ;   in Loop: Header=BB521_3 Depth=1
	flat_load_dword v13, v[5:6]
.LBB521_5:                              ;   in Loop: Header=BB521_3 Depth=1
	s_or_b64 exec, exec, s[2:3]
	s_waitcnt vmcnt(0) lgkmcnt(0)
	ds_write_b32 v10, v13
	v_add_u32_e32 v13, s9, v0
	v_cmp_gt_i32_e64 s[2:3], s13, v13
	s_and_b64 s[6:7], vcc, s[2:3]
	v_mov_b32_e32 v13, 0
	s_and_saveexec_b64 s[2:3], s[6:7]
	s_cbranch_execz .LBB521_2
; %bb.6:                                ;   in Loop: Header=BB521_3 Depth=1
	flat_load_dword v13, v[3:4]
	s_branch .LBB521_2
.LBB521_7:
	v_mov_b32_e32 v8, 0
.LBB521_8:
	v_cmp_le_i32_e32 vcc, v2, v7
	v_cmp_gt_i32_e64 s[0:1], s12, v7
	s_and_b64 s[0:1], vcc, s[0:1]
	s_and_saveexec_b64 s[2:3], s[0:1]
	s_cbranch_execz .LBB521_10
; %bb.9:
	s_load_dword s0, s[4:5], 0x50
	v_ashrrev_i32_e32 v3, 31, v2
	s_waitcnt lgkmcnt(0)
	v_mov_b32_e32 v4, s11
	v_lshlrev_b64 v[2:3], 2, v[2:3]
	v_mad_i64_i32 v[0:1], s[0:1], s0, v7, 0
	s_load_dword s0, s[4:5], 0x40
	v_lshlrev_b64 v[0:1], 2, v[0:1]
	v_add_co_u32_e32 v0, vcc, s10, v0
	v_addc_co_u32_e32 v1, vcc, v4, v1, vcc
	v_add_co_u32_e32 v0, vcc, v0, v2
	v_addc_co_u32_e32 v1, vcc, v1, v3, vcc
	flat_load_dword v2, v[0:1]
	s_waitcnt vmcnt(0) lgkmcnt(0)
	v_mul_f32_e32 v2, s0, v2
	v_fmac_f32_e32 v2, s14, v8
	flat_store_dword v[0:1], v2
.LBB521_10:
	s_endpgm
	.section	.rodata,"a",@progbits
	.p2align	6, 0x0
	.amdhsa_kernel _ZL32rocblas_syrkx_herkx_small_kernelIifLi16ELb0ELb0ELc84ELc85EKPKfKPfEviT_T0_PT6_S5_lS8_S5_lS6_PT7_S5_li
		.amdhsa_group_segment_fixed_size 2048
		.amdhsa_private_segment_fixed_size 0
		.amdhsa_kernarg_size 100
		.amdhsa_user_sgpr_count 6
		.amdhsa_user_sgpr_private_segment_buffer 1
		.amdhsa_user_sgpr_dispatch_ptr 0
		.amdhsa_user_sgpr_queue_ptr 0
		.amdhsa_user_sgpr_kernarg_segment_ptr 1
		.amdhsa_user_sgpr_dispatch_id 0
		.amdhsa_user_sgpr_flat_scratch_init 0
		.amdhsa_user_sgpr_private_segment_size 0
		.amdhsa_uses_dynamic_stack 0
		.amdhsa_system_sgpr_private_segment_wavefront_offset 0
		.amdhsa_system_sgpr_workgroup_id_x 1
		.amdhsa_system_sgpr_workgroup_id_y 1
		.amdhsa_system_sgpr_workgroup_id_z 1
		.amdhsa_system_sgpr_workgroup_info 0
		.amdhsa_system_vgpr_workitem_id 1
		.amdhsa_next_free_vgpr 25
		.amdhsa_next_free_sgpr 18
		.amdhsa_reserve_vcc 1
		.amdhsa_reserve_flat_scratch 0
		.amdhsa_float_round_mode_32 0
		.amdhsa_float_round_mode_16_64 0
		.amdhsa_float_denorm_mode_32 3
		.amdhsa_float_denorm_mode_16_64 3
		.amdhsa_dx10_clamp 1
		.amdhsa_ieee_mode 1
		.amdhsa_fp16_overflow 0
		.amdhsa_exception_fp_ieee_invalid_op 0
		.amdhsa_exception_fp_denorm_src 0
		.amdhsa_exception_fp_ieee_div_zero 0
		.amdhsa_exception_fp_ieee_overflow 0
		.amdhsa_exception_fp_ieee_underflow 0
		.amdhsa_exception_fp_ieee_inexact 0
		.amdhsa_exception_int_div_zero 0
	.end_amdhsa_kernel
	.section	.text._ZL32rocblas_syrkx_herkx_small_kernelIifLi16ELb0ELb0ELc84ELc85EKPKfKPfEviT_T0_PT6_S5_lS8_S5_lS6_PT7_S5_li,"axG",@progbits,_ZL32rocblas_syrkx_herkx_small_kernelIifLi16ELb0ELb0ELc84ELc85EKPKfKPfEviT_T0_PT6_S5_lS8_S5_lS6_PT7_S5_li,comdat
.Lfunc_end521:
	.size	_ZL32rocblas_syrkx_herkx_small_kernelIifLi16ELb0ELb0ELc84ELc85EKPKfKPfEviT_T0_PT6_S5_lS8_S5_lS6_PT7_S5_li, .Lfunc_end521-_ZL32rocblas_syrkx_herkx_small_kernelIifLi16ELb0ELb0ELc84ELc85EKPKfKPfEviT_T0_PT6_S5_lS8_S5_lS6_PT7_S5_li
                                        ; -- End function
	.set _ZL32rocblas_syrkx_herkx_small_kernelIifLi16ELb0ELb0ELc84ELc85EKPKfKPfEviT_T0_PT6_S5_lS8_S5_lS6_PT7_S5_li.num_vgpr, 25
	.set _ZL32rocblas_syrkx_herkx_small_kernelIifLi16ELb0ELb0ELc84ELc85EKPKfKPfEviT_T0_PT6_S5_lS8_S5_lS6_PT7_S5_li.num_agpr, 0
	.set _ZL32rocblas_syrkx_herkx_small_kernelIifLi16ELb0ELb0ELc84ELc85EKPKfKPfEviT_T0_PT6_S5_lS8_S5_lS6_PT7_S5_li.numbered_sgpr, 18
	.set _ZL32rocblas_syrkx_herkx_small_kernelIifLi16ELb0ELb0ELc84ELc85EKPKfKPfEviT_T0_PT6_S5_lS8_S5_lS6_PT7_S5_li.num_named_barrier, 0
	.set _ZL32rocblas_syrkx_herkx_small_kernelIifLi16ELb0ELb0ELc84ELc85EKPKfKPfEviT_T0_PT6_S5_lS8_S5_lS6_PT7_S5_li.private_seg_size, 0
	.set _ZL32rocblas_syrkx_herkx_small_kernelIifLi16ELb0ELb0ELc84ELc85EKPKfKPfEviT_T0_PT6_S5_lS8_S5_lS6_PT7_S5_li.uses_vcc, 1
	.set _ZL32rocblas_syrkx_herkx_small_kernelIifLi16ELb0ELb0ELc84ELc85EKPKfKPfEviT_T0_PT6_S5_lS8_S5_lS6_PT7_S5_li.uses_flat_scratch, 0
	.set _ZL32rocblas_syrkx_herkx_small_kernelIifLi16ELb0ELb0ELc84ELc85EKPKfKPfEviT_T0_PT6_S5_lS8_S5_lS6_PT7_S5_li.has_dyn_sized_stack, 0
	.set _ZL32rocblas_syrkx_herkx_small_kernelIifLi16ELb0ELb0ELc84ELc85EKPKfKPfEviT_T0_PT6_S5_lS8_S5_lS6_PT7_S5_li.has_recursion, 0
	.set _ZL32rocblas_syrkx_herkx_small_kernelIifLi16ELb0ELb0ELc84ELc85EKPKfKPfEviT_T0_PT6_S5_lS8_S5_lS6_PT7_S5_li.has_indirect_call, 0
	.section	.AMDGPU.csdata,"",@progbits
; Kernel info:
; codeLenInByte = 776
; TotalNumSgprs: 22
; NumVgprs: 25
; ScratchSize: 0
; MemoryBound: 0
; FloatMode: 240
; IeeeMode: 1
; LDSByteSize: 2048 bytes/workgroup (compile time only)
; SGPRBlocks: 2
; VGPRBlocks: 6
; NumSGPRsForWavesPerEU: 22
; NumVGPRsForWavesPerEU: 25
; Occupancy: 9
; WaveLimiterHint : 1
; COMPUTE_PGM_RSRC2:SCRATCH_EN: 0
; COMPUTE_PGM_RSRC2:USER_SGPR: 6
; COMPUTE_PGM_RSRC2:TRAP_HANDLER: 0
; COMPUTE_PGM_RSRC2:TGID_X_EN: 1
; COMPUTE_PGM_RSRC2:TGID_Y_EN: 1
; COMPUTE_PGM_RSRC2:TGID_Z_EN: 1
; COMPUTE_PGM_RSRC2:TIDIG_COMP_CNT: 1
	.section	.text._ZL32rocblas_syrkx_herkx_small_kernelIifLi16ELb0ELb0ELc67ELc85EKPKfKPfEviT_T0_PT6_S5_lS8_S5_lS6_PT7_S5_li,"axG",@progbits,_ZL32rocblas_syrkx_herkx_small_kernelIifLi16ELb0ELb0ELc67ELc85EKPKfKPfEviT_T0_PT6_S5_lS8_S5_lS6_PT7_S5_li,comdat
	.globl	_ZL32rocblas_syrkx_herkx_small_kernelIifLi16ELb0ELb0ELc67ELc85EKPKfKPfEviT_T0_PT6_S5_lS8_S5_lS6_PT7_S5_li ; -- Begin function _ZL32rocblas_syrkx_herkx_small_kernelIifLi16ELb0ELb0ELc67ELc85EKPKfKPfEviT_T0_PT6_S5_lS8_S5_lS6_PT7_S5_li
	.p2align	8
	.type	_ZL32rocblas_syrkx_herkx_small_kernelIifLi16ELb0ELb0ELc67ELc85EKPKfKPfEviT_T0_PT6_S5_lS8_S5_lS6_PT7_S5_li,@function
_ZL32rocblas_syrkx_herkx_small_kernelIifLi16ELb0ELb0ELc67ELc85EKPKfKPfEviT_T0_PT6_S5_lS8_S5_lS6_PT7_S5_li: ; @_ZL32rocblas_syrkx_herkx_small_kernelIifLi16ELb0ELb0ELc67ELc85EKPKfKPfEviT_T0_PT6_S5_lS8_S5_lS6_PT7_S5_li
; %bb.0:
	s_load_dwordx2 s[2:3], s[4:5], 0x48
	s_load_dwordx4 s[12:15], s[4:5], 0x0
	s_mov_b32 s9, 0
	s_lshl_b64 s[0:1], s[8:9], 3
	v_lshl_add_u32 v7, s7, 4, v1
	s_waitcnt lgkmcnt(0)
	s_add_u32 s2, s2, s0
	s_addc_u32 s3, s3, s1
	s_load_dwordx2 s[10:11], s[2:3], 0x0
	v_lshl_add_u32 v2, s6, 4, v0
	s_cmp_lt_i32 s13, 1
	v_cmp_gt_i32_e32 vcc, s12, v7
	s_cbranch_scc1 .LBB522_7
; %bb.1:
	s_load_dwordx2 s[2:3], s[4:5], 0x28
	s_load_dwordx2 s[6:7], s[4:5], 0x10
	s_load_dword s8, s[4:5], 0x18
	s_load_dword s15, s[4:5], 0x30
	v_lshlrev_b32_e32 v9, 2, v0
	s_waitcnt lgkmcnt(0)
	s_add_u32 s2, s2, s0
	s_addc_u32 s3, s3, s1
	s_load_dwordx2 s[16:17], s[2:3], 0x0
	v_mad_i64_i32 v[3:4], s[2:3], s15, v7, 0
	v_lshlrev_b32_e32 v5, 6, v1
	v_add_u32_e32 v10, v9, v5
	v_lshlrev_b64 v[3:4], 2, v[3:4]
	v_add_u32_e32 v11, 0x400, v5
	v_add_co_u32_e64 v3, s[2:3], v3, v9
	v_addc_co_u32_e64 v4, s[2:3], 0, v4, s[2:3]
	v_mad_i64_i32 v[5:6], s[2:3], s8, v2, 0
	s_add_u32 s0, s6, s0
	s_addc_u32 s1, s7, s1
	s_load_dwordx2 s[6:7], s[0:1], 0x0
	s_waitcnt lgkmcnt(0)
	v_mov_b32_e32 v13, s17
	v_add_co_u32_e64 v3, s[2:3], s16, v3
	v_lshlrev_b64 v[5:6], 2, v[5:6]
	v_addc_co_u32_e64 v4, s[2:3], v13, v4, s[2:3]
	v_lshlrev_b32_e32 v13, 2, v1
	v_add_co_u32_e64 v5, s[2:3], v5, v13
	v_addc_co_u32_e64 v6, s[2:3], 0, v6, s[2:3]
	v_mov_b32_e32 v13, s7
	v_add_co_u32_e64 v5, s[2:3], s6, v5
	v_cmp_gt_i32_e64 s[0:1], s12, v2
	v_add_u32_e32 v12, v11, v9
	v_mov_b32_e32 v8, 0
	v_addc_co_u32_e64 v6, s[2:3], v13, v6, s[2:3]
	s_branch .LBB522_3
.LBB522_2:                              ;   in Loop: Header=BB522_3 Depth=1
	s_or_b64 exec, exec, s[2:3]
	s_waitcnt vmcnt(0) lgkmcnt(0)
	ds_write_b32 v12, v13
	s_waitcnt lgkmcnt(0)
	s_barrier
	ds_read2_b32 v[21:22], v9 offset1:16
	ds_read_b128 v[13:16], v11
	ds_read2_b32 v[23:24], v9 offset0:32 offset1:48
	ds_read_b128 v[17:20], v11 offset:16
	v_add_co_u32_e64 v3, s[2:3], 64, v3
	s_waitcnt lgkmcnt(2)
	v_fmac_f32_e32 v8, v21, v13
	v_fmac_f32_e32 v8, v22, v14
	ds_read2_b32 v[21:22], v9 offset0:64 offset1:80
	s_waitcnt lgkmcnt(2)
	v_fmac_f32_e32 v8, v23, v15
	v_fmac_f32_e32 v8, v24, v16
	ds_read2_b32 v[23:24], v9 offset0:96 offset1:112
	ds_read_b128 v[13:16], v11 offset:32
	v_addc_co_u32_e64 v4, s[2:3], 0, v4, s[2:3]
	s_waitcnt lgkmcnt(2)
	v_fmac_f32_e32 v8, v21, v17
	v_fmac_f32_e32 v8, v22, v18
	ds_read2_b32 v[21:22], v9 offset0:128 offset1:144
	s_waitcnt lgkmcnt(2)
	v_fmac_f32_e32 v8, v23, v19
	v_fmac_f32_e32 v8, v24, v20
	ds_read2_b32 v[23:24], v9 offset0:160 offset1:176
	ds_read_b128 v[17:20], v11 offset:48
	s_add_i32 s9, s9, 16
	s_waitcnt lgkmcnt(2)
	v_fmac_f32_e32 v8, v21, v13
	v_fmac_f32_e32 v8, v22, v14
	ds_read2_b32 v[13:14], v9 offset0:192 offset1:208
	s_waitcnt lgkmcnt(2)
	v_fmac_f32_e32 v8, v23, v15
	v_fmac_f32_e32 v8, v24, v16
	ds_read2_b32 v[15:16], v9 offset0:224 offset1:240
	v_add_co_u32_e64 v5, s[2:3], 64, v5
	s_waitcnt lgkmcnt(1)
	v_fmac_f32_e32 v8, v13, v17
	v_fmac_f32_e32 v8, v14, v18
	s_waitcnt lgkmcnt(0)
	v_fmac_f32_e32 v8, v15, v19
	v_fmac_f32_e32 v8, v16, v20
	s_cmp_ge_i32 s9, s13
	v_addc_co_u32_e64 v6, s[2:3], 0, v6, s[2:3]
	s_barrier
	s_cbranch_scc1 .LBB522_8
.LBB522_3:                              ; =>This Inner Loop Header: Depth=1
	v_add_u32_e32 v13, s9, v1
	v_cmp_gt_i32_e64 s[2:3], s13, v13
	s_and_b64 s[6:7], s[0:1], s[2:3]
	v_mov_b32_e32 v13, 0
	s_and_saveexec_b64 s[2:3], s[6:7]
	s_cbranch_execz .LBB522_5
; %bb.4:                                ;   in Loop: Header=BB522_3 Depth=1
	flat_load_dword v13, v[5:6]
.LBB522_5:                              ;   in Loop: Header=BB522_3 Depth=1
	s_or_b64 exec, exec, s[2:3]
	s_waitcnt vmcnt(0) lgkmcnt(0)
	ds_write_b32 v10, v13
	v_add_u32_e32 v13, s9, v0
	v_cmp_gt_i32_e64 s[2:3], s13, v13
	s_and_b64 s[6:7], vcc, s[2:3]
	v_mov_b32_e32 v13, 0
	s_and_saveexec_b64 s[2:3], s[6:7]
	s_cbranch_execz .LBB522_2
; %bb.6:                                ;   in Loop: Header=BB522_3 Depth=1
	flat_load_dword v13, v[3:4]
	s_branch .LBB522_2
.LBB522_7:
	v_mov_b32_e32 v8, 0
.LBB522_8:
	v_cmp_le_i32_e32 vcc, v2, v7
	v_cmp_gt_i32_e64 s[0:1], s12, v7
	s_and_b64 s[0:1], vcc, s[0:1]
	s_and_saveexec_b64 s[2:3], s[0:1]
	s_cbranch_execz .LBB522_10
; %bb.9:
	s_load_dword s0, s[4:5], 0x50
	v_ashrrev_i32_e32 v3, 31, v2
	s_waitcnt lgkmcnt(0)
	v_mov_b32_e32 v4, s11
	v_lshlrev_b64 v[2:3], 2, v[2:3]
	v_mad_i64_i32 v[0:1], s[0:1], s0, v7, 0
	s_load_dword s0, s[4:5], 0x40
	v_lshlrev_b64 v[0:1], 2, v[0:1]
	v_add_co_u32_e32 v0, vcc, s10, v0
	v_addc_co_u32_e32 v1, vcc, v4, v1, vcc
	v_add_co_u32_e32 v0, vcc, v0, v2
	v_addc_co_u32_e32 v1, vcc, v1, v3, vcc
	flat_load_dword v2, v[0:1]
	s_waitcnt vmcnt(0) lgkmcnt(0)
	v_mul_f32_e32 v2, s0, v2
	v_fmac_f32_e32 v2, s14, v8
	flat_store_dword v[0:1], v2
.LBB522_10:
	s_endpgm
	.section	.rodata,"a",@progbits
	.p2align	6, 0x0
	.amdhsa_kernel _ZL32rocblas_syrkx_herkx_small_kernelIifLi16ELb0ELb0ELc67ELc85EKPKfKPfEviT_T0_PT6_S5_lS8_S5_lS6_PT7_S5_li
		.amdhsa_group_segment_fixed_size 2048
		.amdhsa_private_segment_fixed_size 0
		.amdhsa_kernarg_size 100
		.amdhsa_user_sgpr_count 6
		.amdhsa_user_sgpr_private_segment_buffer 1
		.amdhsa_user_sgpr_dispatch_ptr 0
		.amdhsa_user_sgpr_queue_ptr 0
		.amdhsa_user_sgpr_kernarg_segment_ptr 1
		.amdhsa_user_sgpr_dispatch_id 0
		.amdhsa_user_sgpr_flat_scratch_init 0
		.amdhsa_user_sgpr_private_segment_size 0
		.amdhsa_uses_dynamic_stack 0
		.amdhsa_system_sgpr_private_segment_wavefront_offset 0
		.amdhsa_system_sgpr_workgroup_id_x 1
		.amdhsa_system_sgpr_workgroup_id_y 1
		.amdhsa_system_sgpr_workgroup_id_z 1
		.amdhsa_system_sgpr_workgroup_info 0
		.amdhsa_system_vgpr_workitem_id 1
		.amdhsa_next_free_vgpr 25
		.amdhsa_next_free_sgpr 18
		.amdhsa_reserve_vcc 1
		.amdhsa_reserve_flat_scratch 0
		.amdhsa_float_round_mode_32 0
		.amdhsa_float_round_mode_16_64 0
		.amdhsa_float_denorm_mode_32 3
		.amdhsa_float_denorm_mode_16_64 3
		.amdhsa_dx10_clamp 1
		.amdhsa_ieee_mode 1
		.amdhsa_fp16_overflow 0
		.amdhsa_exception_fp_ieee_invalid_op 0
		.amdhsa_exception_fp_denorm_src 0
		.amdhsa_exception_fp_ieee_div_zero 0
		.amdhsa_exception_fp_ieee_overflow 0
		.amdhsa_exception_fp_ieee_underflow 0
		.amdhsa_exception_fp_ieee_inexact 0
		.amdhsa_exception_int_div_zero 0
	.end_amdhsa_kernel
	.section	.text._ZL32rocblas_syrkx_herkx_small_kernelIifLi16ELb0ELb0ELc67ELc85EKPKfKPfEviT_T0_PT6_S5_lS8_S5_lS6_PT7_S5_li,"axG",@progbits,_ZL32rocblas_syrkx_herkx_small_kernelIifLi16ELb0ELb0ELc67ELc85EKPKfKPfEviT_T0_PT6_S5_lS8_S5_lS6_PT7_S5_li,comdat
.Lfunc_end522:
	.size	_ZL32rocblas_syrkx_herkx_small_kernelIifLi16ELb0ELb0ELc67ELc85EKPKfKPfEviT_T0_PT6_S5_lS8_S5_lS6_PT7_S5_li, .Lfunc_end522-_ZL32rocblas_syrkx_herkx_small_kernelIifLi16ELb0ELb0ELc67ELc85EKPKfKPfEviT_T0_PT6_S5_lS8_S5_lS6_PT7_S5_li
                                        ; -- End function
	.set _ZL32rocblas_syrkx_herkx_small_kernelIifLi16ELb0ELb0ELc67ELc85EKPKfKPfEviT_T0_PT6_S5_lS8_S5_lS6_PT7_S5_li.num_vgpr, 25
	.set _ZL32rocblas_syrkx_herkx_small_kernelIifLi16ELb0ELb0ELc67ELc85EKPKfKPfEviT_T0_PT6_S5_lS8_S5_lS6_PT7_S5_li.num_agpr, 0
	.set _ZL32rocblas_syrkx_herkx_small_kernelIifLi16ELb0ELb0ELc67ELc85EKPKfKPfEviT_T0_PT6_S5_lS8_S5_lS6_PT7_S5_li.numbered_sgpr, 18
	.set _ZL32rocblas_syrkx_herkx_small_kernelIifLi16ELb0ELb0ELc67ELc85EKPKfKPfEviT_T0_PT6_S5_lS8_S5_lS6_PT7_S5_li.num_named_barrier, 0
	.set _ZL32rocblas_syrkx_herkx_small_kernelIifLi16ELb0ELb0ELc67ELc85EKPKfKPfEviT_T0_PT6_S5_lS8_S5_lS6_PT7_S5_li.private_seg_size, 0
	.set _ZL32rocblas_syrkx_herkx_small_kernelIifLi16ELb0ELb0ELc67ELc85EKPKfKPfEviT_T0_PT6_S5_lS8_S5_lS6_PT7_S5_li.uses_vcc, 1
	.set _ZL32rocblas_syrkx_herkx_small_kernelIifLi16ELb0ELb0ELc67ELc85EKPKfKPfEviT_T0_PT6_S5_lS8_S5_lS6_PT7_S5_li.uses_flat_scratch, 0
	.set _ZL32rocblas_syrkx_herkx_small_kernelIifLi16ELb0ELb0ELc67ELc85EKPKfKPfEviT_T0_PT6_S5_lS8_S5_lS6_PT7_S5_li.has_dyn_sized_stack, 0
	.set _ZL32rocblas_syrkx_herkx_small_kernelIifLi16ELb0ELb0ELc67ELc85EKPKfKPfEviT_T0_PT6_S5_lS8_S5_lS6_PT7_S5_li.has_recursion, 0
	.set _ZL32rocblas_syrkx_herkx_small_kernelIifLi16ELb0ELb0ELc67ELc85EKPKfKPfEviT_T0_PT6_S5_lS8_S5_lS6_PT7_S5_li.has_indirect_call, 0
	.section	.AMDGPU.csdata,"",@progbits
; Kernel info:
; codeLenInByte = 776
; TotalNumSgprs: 22
; NumVgprs: 25
; ScratchSize: 0
; MemoryBound: 0
; FloatMode: 240
; IeeeMode: 1
; LDSByteSize: 2048 bytes/workgroup (compile time only)
; SGPRBlocks: 2
; VGPRBlocks: 6
; NumSGPRsForWavesPerEU: 22
; NumVGPRsForWavesPerEU: 25
; Occupancy: 9
; WaveLimiterHint : 1
; COMPUTE_PGM_RSRC2:SCRATCH_EN: 0
; COMPUTE_PGM_RSRC2:USER_SGPR: 6
; COMPUTE_PGM_RSRC2:TRAP_HANDLER: 0
; COMPUTE_PGM_RSRC2:TGID_X_EN: 1
; COMPUTE_PGM_RSRC2:TGID_Y_EN: 1
; COMPUTE_PGM_RSRC2:TGID_Z_EN: 1
; COMPUTE_PGM_RSRC2:TIDIG_COMP_CNT: 1
	.section	.text._ZL32rocblas_syrkx_herkx_small_kernelIifLi16ELb0ELb0ELc78ELc85EKPKfKPfEviT_T0_PT6_S5_lS8_S5_lS6_PT7_S5_li,"axG",@progbits,_ZL32rocblas_syrkx_herkx_small_kernelIifLi16ELb0ELb0ELc78ELc85EKPKfKPfEviT_T0_PT6_S5_lS8_S5_lS6_PT7_S5_li,comdat
	.globl	_ZL32rocblas_syrkx_herkx_small_kernelIifLi16ELb0ELb0ELc78ELc85EKPKfKPfEviT_T0_PT6_S5_lS8_S5_lS6_PT7_S5_li ; -- Begin function _ZL32rocblas_syrkx_herkx_small_kernelIifLi16ELb0ELb0ELc78ELc85EKPKfKPfEviT_T0_PT6_S5_lS8_S5_lS6_PT7_S5_li
	.p2align	8
	.type	_ZL32rocblas_syrkx_herkx_small_kernelIifLi16ELb0ELb0ELc78ELc85EKPKfKPfEviT_T0_PT6_S5_lS8_S5_lS6_PT7_S5_li,@function
_ZL32rocblas_syrkx_herkx_small_kernelIifLi16ELb0ELb0ELc78ELc85EKPKfKPfEviT_T0_PT6_S5_lS8_S5_lS6_PT7_S5_li: ; @_ZL32rocblas_syrkx_herkx_small_kernelIifLi16ELb0ELb0ELc78ELc85EKPKfKPfEviT_T0_PT6_S5_lS8_S5_lS6_PT7_S5_li
; %bb.0:
	s_load_dwordx2 s[2:3], s[4:5], 0x48
	s_load_dwordx4 s[12:15], s[4:5], 0x0
	s_mov_b32 s9, 0
	s_lshl_b64 s[0:1], s[8:9], 3
	v_lshl_add_u32 v2, s6, 4, v0
	s_waitcnt lgkmcnt(0)
	s_add_u32 s2, s2, s0
	s_addc_u32 s3, s3, s1
	s_load_dwordx2 s[10:11], s[2:3], 0x0
	v_lshl_add_u32 v4, s7, 4, v1
	s_cmp_lt_i32 s13, 1
	v_ashrrev_i32_e32 v3, 31, v2
	v_cmp_gt_i32_e32 vcc, s12, v4
	s_cbranch_scc1 .LBB523_7
; %bb.1:
	s_load_dword s16, s[4:5], 0x18
	s_load_dword s6, s[4:5], 0x30
	s_load_dwordx2 s[2:3], s[4:5], 0x28
	s_load_dwordx2 s[18:19], s[4:5], 0x10
	v_lshlrev_b32_e32 v5, 6, v1
	s_waitcnt lgkmcnt(0)
	s_ashr_i32 s17, s16, 31
	s_ashr_i32 s7, s6, 31
	s_add_u32 s2, s2, s0
	s_addc_u32 s3, s3, s1
	s_load_dwordx2 s[20:21], s[2:3], 0x0
	v_mad_i64_i32 v[6:7], s[2:3], s6, v0, 0
	v_lshlrev_b32_e32 v9, 2, v0
	v_add_u32_e32 v11, v9, v5
	v_add_u32_e32 v12, 0x400, v5
	v_ashrrev_i32_e32 v5, 31, v4
	v_lshlrev_b64 v[6:7], 2, v[6:7]
	v_lshlrev_b64 v[14:15], 2, v[4:5]
	s_add_u32 s0, s18, s0
	v_add_co_u32_e64 v5, s[2:3], v6, v14
	v_addc_co_u32_e64 v6, s[2:3], v7, v15, s[2:3]
	v_mad_i64_i32 v[7:8], s[2:3], s16, v1, 0
	s_addc_u32 s1, s19, s1
	s_load_dwordx2 s[18:19], s[0:1], 0x0
	s_waitcnt lgkmcnt(0)
	v_mov_b32_e32 v10, s21
	v_add_co_u32_e64 v5, s[2:3], s20, v5
	v_lshlrev_b64 v[7:8], 2, v[7:8]
	v_lshlrev_b64 v[14:15], 2, v[2:3]
	v_addc_co_u32_e64 v6, s[2:3], v10, v6, s[2:3]
	v_add_co_u32_e64 v7, s[2:3], v7, v14
	v_addc_co_u32_e64 v8, s[2:3], v8, v15, s[2:3]
	v_mov_b32_e32 v10, s19
	v_add_co_u32_e64 v7, s[2:3], s18, v7
	v_cmp_gt_i32_e64 s[0:1], s12, v2
	v_add_u32_e32 v13, v12, v9
	s_lshl_b64 s[6:7], s[6:7], 6
	v_addc_co_u32_e64 v8, s[2:3], v10, v8, s[2:3]
	s_lshl_b64 s[16:17], s[16:17], 6
	v_mov_b32_e32 v10, 0
	s_branch .LBB523_3
.LBB523_2:                              ;   in Loop: Header=BB523_3 Depth=1
	s_or_b64 exec, exec, s[2:3]
	s_waitcnt vmcnt(0) lgkmcnt(0)
	ds_write_b32 v13, v14
	s_waitcnt lgkmcnt(0)
	s_barrier
	ds_read2_b32 v[22:23], v9 offset1:16
	ds_read_b128 v[14:17], v12
	ds_read2_b32 v[24:25], v9 offset0:32 offset1:48
	ds_read_b128 v[18:21], v12 offset:16
	v_add_co_u32_e64 v5, s[2:3], s6, v5
	s_waitcnt lgkmcnt(2)
	v_fmac_f32_e32 v10, v22, v14
	v_fmac_f32_e32 v10, v23, v15
	ds_read2_b32 v[22:23], v9 offset0:64 offset1:80
	s_waitcnt lgkmcnt(2)
	v_fmac_f32_e32 v10, v24, v16
	v_fmac_f32_e32 v10, v25, v17
	ds_read2_b32 v[24:25], v9 offset0:96 offset1:112
	ds_read_b128 v[14:17], v12 offset:32
	s_add_i32 s9, s9, 16
	s_waitcnt lgkmcnt(2)
	v_fmac_f32_e32 v10, v22, v18
	v_fmac_f32_e32 v10, v23, v19
	ds_read2_b32 v[22:23], v9 offset0:128 offset1:144
	s_waitcnt lgkmcnt(2)
	v_fmac_f32_e32 v10, v24, v20
	v_fmac_f32_e32 v10, v25, v21
	ds_read2_b32 v[24:25], v9 offset0:160 offset1:176
	ds_read_b128 v[18:21], v12 offset:48
	s_cmp_ge_i32 s9, s13
	s_waitcnt lgkmcnt(2)
	v_fmac_f32_e32 v10, v22, v14
	v_fmac_f32_e32 v10, v23, v15
	ds_read2_b32 v[14:15], v9 offset0:192 offset1:208
	s_waitcnt lgkmcnt(2)
	v_fmac_f32_e32 v10, v24, v16
	v_fmac_f32_e32 v10, v25, v17
	ds_read2_b32 v[16:17], v9 offset0:224 offset1:240
	s_waitcnt lgkmcnt(0)
	v_fmac_f32_e32 v10, v14, v18
	v_mov_b32_e32 v14, s7
	v_fmac_f32_e32 v10, v15, v19
	v_addc_co_u32_e64 v6, s[2:3], v6, v14, s[2:3]
	v_fmac_f32_e32 v10, v16, v20
	v_mov_b32_e32 v14, s17
	v_add_co_u32_e64 v7, s[2:3], s16, v7
	v_fmac_f32_e32 v10, v17, v21
	v_addc_co_u32_e64 v8, s[2:3], v8, v14, s[2:3]
	s_barrier
	s_cbranch_scc1 .LBB523_8
.LBB523_3:                              ; =>This Inner Loop Header: Depth=1
	v_add_u32_e32 v14, s9, v1
	v_cmp_gt_i32_e64 s[2:3], s13, v14
	s_and_b64 s[18:19], s[0:1], s[2:3]
	v_mov_b32_e32 v14, 0
	s_and_saveexec_b64 s[2:3], s[18:19]
	s_cbranch_execz .LBB523_5
; %bb.4:                                ;   in Loop: Header=BB523_3 Depth=1
	flat_load_dword v14, v[7:8]
.LBB523_5:                              ;   in Loop: Header=BB523_3 Depth=1
	s_or_b64 exec, exec, s[2:3]
	s_waitcnt vmcnt(0) lgkmcnt(0)
	ds_write_b32 v11, v14
	v_add_u32_e32 v14, s9, v0
	v_cmp_gt_i32_e64 s[2:3], s13, v14
	s_and_b64 s[18:19], vcc, s[2:3]
	v_mov_b32_e32 v14, 0
	s_and_saveexec_b64 s[2:3], s[18:19]
	s_cbranch_execz .LBB523_2
; %bb.6:                                ;   in Loop: Header=BB523_3 Depth=1
	flat_load_dword v14, v[5:6]
	s_branch .LBB523_2
.LBB523_7:
	v_mov_b32_e32 v10, 0
.LBB523_8:
	v_cmp_le_i32_e32 vcc, v2, v4
	v_cmp_gt_i32_e64 s[0:1], s12, v4
	s_and_b64 s[0:1], vcc, s[0:1]
	s_and_saveexec_b64 s[2:3], s[0:1]
	s_cbranch_execz .LBB523_10
; %bb.9:
	s_load_dword s0, s[4:5], 0x50
	v_lshlrev_b64 v[2:3], 2, v[2:3]
	s_waitcnt lgkmcnt(0)
	v_mad_i64_i32 v[0:1], s[0:1], s0, v4, 0
	v_mov_b32_e32 v4, s11
	s_load_dword s0, s[4:5], 0x40
	v_lshlrev_b64 v[0:1], 2, v[0:1]
	v_add_co_u32_e32 v0, vcc, s10, v0
	v_addc_co_u32_e32 v1, vcc, v4, v1, vcc
	v_add_co_u32_e32 v0, vcc, v0, v2
	v_addc_co_u32_e32 v1, vcc, v1, v3, vcc
	flat_load_dword v2, v[0:1]
	s_waitcnt vmcnt(0) lgkmcnt(0)
	v_mul_f32_e32 v2, s0, v2
	v_fmac_f32_e32 v2, s14, v10
	flat_store_dword v[0:1], v2
.LBB523_10:
	s_endpgm
	.section	.rodata,"a",@progbits
	.p2align	6, 0x0
	.amdhsa_kernel _ZL32rocblas_syrkx_herkx_small_kernelIifLi16ELb0ELb0ELc78ELc85EKPKfKPfEviT_T0_PT6_S5_lS8_S5_lS6_PT7_S5_li
		.amdhsa_group_segment_fixed_size 2048
		.amdhsa_private_segment_fixed_size 0
		.amdhsa_kernarg_size 100
		.amdhsa_user_sgpr_count 6
		.amdhsa_user_sgpr_private_segment_buffer 1
		.amdhsa_user_sgpr_dispatch_ptr 0
		.amdhsa_user_sgpr_queue_ptr 0
		.amdhsa_user_sgpr_kernarg_segment_ptr 1
		.amdhsa_user_sgpr_dispatch_id 0
		.amdhsa_user_sgpr_flat_scratch_init 0
		.amdhsa_user_sgpr_private_segment_size 0
		.amdhsa_uses_dynamic_stack 0
		.amdhsa_system_sgpr_private_segment_wavefront_offset 0
		.amdhsa_system_sgpr_workgroup_id_x 1
		.amdhsa_system_sgpr_workgroup_id_y 1
		.amdhsa_system_sgpr_workgroup_id_z 1
		.amdhsa_system_sgpr_workgroup_info 0
		.amdhsa_system_vgpr_workitem_id 1
		.amdhsa_next_free_vgpr 26
		.amdhsa_next_free_sgpr 22
		.amdhsa_reserve_vcc 1
		.amdhsa_reserve_flat_scratch 0
		.amdhsa_float_round_mode_32 0
		.amdhsa_float_round_mode_16_64 0
		.amdhsa_float_denorm_mode_32 3
		.amdhsa_float_denorm_mode_16_64 3
		.amdhsa_dx10_clamp 1
		.amdhsa_ieee_mode 1
		.amdhsa_fp16_overflow 0
		.amdhsa_exception_fp_ieee_invalid_op 0
		.amdhsa_exception_fp_denorm_src 0
		.amdhsa_exception_fp_ieee_div_zero 0
		.amdhsa_exception_fp_ieee_overflow 0
		.amdhsa_exception_fp_ieee_underflow 0
		.amdhsa_exception_fp_ieee_inexact 0
		.amdhsa_exception_int_div_zero 0
	.end_amdhsa_kernel
	.section	.text._ZL32rocblas_syrkx_herkx_small_kernelIifLi16ELb0ELb0ELc78ELc85EKPKfKPfEviT_T0_PT6_S5_lS8_S5_lS6_PT7_S5_li,"axG",@progbits,_ZL32rocblas_syrkx_herkx_small_kernelIifLi16ELb0ELb0ELc78ELc85EKPKfKPfEviT_T0_PT6_S5_lS8_S5_lS6_PT7_S5_li,comdat
.Lfunc_end523:
	.size	_ZL32rocblas_syrkx_herkx_small_kernelIifLi16ELb0ELb0ELc78ELc85EKPKfKPfEviT_T0_PT6_S5_lS8_S5_lS6_PT7_S5_li, .Lfunc_end523-_ZL32rocblas_syrkx_herkx_small_kernelIifLi16ELb0ELb0ELc78ELc85EKPKfKPfEviT_T0_PT6_S5_lS8_S5_lS6_PT7_S5_li
                                        ; -- End function
	.set _ZL32rocblas_syrkx_herkx_small_kernelIifLi16ELb0ELb0ELc78ELc85EKPKfKPfEviT_T0_PT6_S5_lS8_S5_lS6_PT7_S5_li.num_vgpr, 26
	.set _ZL32rocblas_syrkx_herkx_small_kernelIifLi16ELb0ELb0ELc78ELc85EKPKfKPfEviT_T0_PT6_S5_lS8_S5_lS6_PT7_S5_li.num_agpr, 0
	.set _ZL32rocblas_syrkx_herkx_small_kernelIifLi16ELb0ELb0ELc78ELc85EKPKfKPfEviT_T0_PT6_S5_lS8_S5_lS6_PT7_S5_li.numbered_sgpr, 22
	.set _ZL32rocblas_syrkx_herkx_small_kernelIifLi16ELb0ELb0ELc78ELc85EKPKfKPfEviT_T0_PT6_S5_lS8_S5_lS6_PT7_S5_li.num_named_barrier, 0
	.set _ZL32rocblas_syrkx_herkx_small_kernelIifLi16ELb0ELb0ELc78ELc85EKPKfKPfEviT_T0_PT6_S5_lS8_S5_lS6_PT7_S5_li.private_seg_size, 0
	.set _ZL32rocblas_syrkx_herkx_small_kernelIifLi16ELb0ELb0ELc78ELc85EKPKfKPfEviT_T0_PT6_S5_lS8_S5_lS6_PT7_S5_li.uses_vcc, 1
	.set _ZL32rocblas_syrkx_herkx_small_kernelIifLi16ELb0ELb0ELc78ELc85EKPKfKPfEviT_T0_PT6_S5_lS8_S5_lS6_PT7_S5_li.uses_flat_scratch, 0
	.set _ZL32rocblas_syrkx_herkx_small_kernelIifLi16ELb0ELb0ELc78ELc85EKPKfKPfEviT_T0_PT6_S5_lS8_S5_lS6_PT7_S5_li.has_dyn_sized_stack, 0
	.set _ZL32rocblas_syrkx_herkx_small_kernelIifLi16ELb0ELb0ELc78ELc85EKPKfKPfEviT_T0_PT6_S5_lS8_S5_lS6_PT7_S5_li.has_recursion, 0
	.set _ZL32rocblas_syrkx_herkx_small_kernelIifLi16ELb0ELb0ELc78ELc85EKPKfKPfEviT_T0_PT6_S5_lS8_S5_lS6_PT7_S5_li.has_indirect_call, 0
	.section	.AMDGPU.csdata,"",@progbits
; Kernel info:
; codeLenInByte = 812
; TotalNumSgprs: 26
; NumVgprs: 26
; ScratchSize: 0
; MemoryBound: 0
; FloatMode: 240
; IeeeMode: 1
; LDSByteSize: 2048 bytes/workgroup (compile time only)
; SGPRBlocks: 3
; VGPRBlocks: 6
; NumSGPRsForWavesPerEU: 26
; NumVGPRsForWavesPerEU: 26
; Occupancy: 9
; WaveLimiterHint : 1
; COMPUTE_PGM_RSRC2:SCRATCH_EN: 0
; COMPUTE_PGM_RSRC2:USER_SGPR: 6
; COMPUTE_PGM_RSRC2:TRAP_HANDLER: 0
; COMPUTE_PGM_RSRC2:TGID_X_EN: 1
; COMPUTE_PGM_RSRC2:TGID_Y_EN: 1
; COMPUTE_PGM_RSRC2:TGID_Z_EN: 1
; COMPUTE_PGM_RSRC2:TIDIG_COMP_CNT: 1
	.section	.text._ZL34rocblas_syrkx_herkx_general_kernelIifLi16ELi32ELi8ELb1ELb0ELc84ELc76EKPKfKPfEviT_T0_PT8_S5_lS8_S5_lS6_PT9_S5_li,"axG",@progbits,_ZL34rocblas_syrkx_herkx_general_kernelIifLi16ELi32ELi8ELb1ELb0ELc84ELc76EKPKfKPfEviT_T0_PT8_S5_lS8_S5_lS6_PT9_S5_li,comdat
	.globl	_ZL34rocblas_syrkx_herkx_general_kernelIifLi16ELi32ELi8ELb1ELb0ELc84ELc76EKPKfKPfEviT_T0_PT8_S5_lS8_S5_lS6_PT9_S5_li ; -- Begin function _ZL34rocblas_syrkx_herkx_general_kernelIifLi16ELi32ELi8ELb1ELb0ELc84ELc76EKPKfKPfEviT_T0_PT8_S5_lS8_S5_lS6_PT9_S5_li
	.p2align	8
	.type	_ZL34rocblas_syrkx_herkx_general_kernelIifLi16ELi32ELi8ELb1ELb0ELc84ELc76EKPKfKPfEviT_T0_PT8_S5_lS8_S5_lS6_PT9_S5_li,@function
_ZL34rocblas_syrkx_herkx_general_kernelIifLi16ELi32ELi8ELb1ELb0ELc84ELc76EKPKfKPfEviT_T0_PT8_S5_lS8_S5_lS6_PT9_S5_li: ; @_ZL34rocblas_syrkx_herkx_general_kernelIifLi16ELi32ELi8ELb1ELb0ELc84ELc76EKPKfKPfEviT_T0_PT8_S5_lS8_S5_lS6_PT9_S5_li
; %bb.0:
	s_load_dwordx2 s[2:3], s[4:5], 0x48
	s_load_dwordx4 s[12:15], s[4:5], 0x0
	s_mov_b32 s9, 0
	s_lshl_b64 s[0:1], s[8:9], 3
	s_waitcnt lgkmcnt(0)
	s_add_u32 s2, s2, s0
	s_addc_u32 s3, s3, s1
	s_load_dwordx2 s[10:11], s[2:3], 0x0
	s_lshl_b32 s6, s6, 5
	s_lshl_b32 s7, s7, 5
	s_cmp_lt_i32 s13, 1
	s_cbranch_scc1 .LBB524_7
; %bb.1:
	s_load_dwordx2 s[2:3], s[4:5], 0x10
	s_load_dword s8, s[4:5], 0x18
	s_load_dwordx2 s[16:17], s[4:5], 0x28
	s_load_dword s15, s[4:5], 0x30
	v_lshl_add_u32 v2, v1, 4, v0
	v_and_b32_e32 v9, 7, v0
	v_lshrrev_b32_e32 v10, 5, v2
	v_lshrrev_b32_e32 v3, 3, v2
	v_and_b32_e32 v2, 31, v2
	s_waitcnt lgkmcnt(0)
	s_add_u32 s16, s16, s0
	v_or_b32_e32 v5, s6, v2
	s_addc_u32 s17, s17, s1
	v_lshlrev_b32_e32 v7, 2, v9
	v_add_u32_e32 v4, s7, v3
	s_add_u32 s0, s2, s0
	v_cmp_gt_i32_e32 vcc, s12, v5
	v_lshlrev_b32_e32 v5, 2, v2
	v_lshl_or_b32 v3, v3, 5, v7
	v_add_u32_e32 v2, s6, v2
	s_addc_u32 s1, s3, s1
	v_add_u32_e32 v13, 0x400, v3
	v_mad_i64_i32 v[2:3], s[2:3], s8, v2, 0
	v_lshl_or_b32 v11, v10, 7, v5
	v_mov_b32_e32 v5, 0x400
	v_lshlrev_b64 v[2:3], 2, v[2:3]
	v_lshl_add_u32 v15, v1, 5, v5
	v_lshlrev_b32_e32 v5, 2, v10
	s_load_dwordx2 s[18:19], s[0:1], 0x0
	v_add_co_u32_e64 v2, s[2:3], v2, v5
	v_cmp_gt_i32_e64 s[0:1], s12, v4
	v_addc_co_u32_e64 v3, s[2:3], 0, v3, s[2:3]
	v_mad_i64_i32 v[4:5], s[2:3], s15, v4, 0
	s_load_dwordx2 s[16:17], s[16:17], 0x0
	s_waitcnt lgkmcnt(0)
	v_mov_b32_e32 v8, s19
	v_add_co_u32_e64 v2, s[2:3], s18, v2
	v_lshlrev_b64 v[4:5], 2, v[4:5]
	v_addc_co_u32_e64 v3, s[2:3], v8, v3, s[2:3]
	v_add_co_u32_e64 v4, s[2:3], v4, v7
	v_addc_co_u32_e64 v5, s[2:3], 0, v5, s[2:3]
	v_mov_b32_e32 v7, s17
	v_add_co_u32_e64 v4, s[2:3], s16, v4
	v_lshlrev_b32_e32 v14, 2, v0
	v_mov_b32_e32 v6, 0
	v_addc_co_u32_e64 v5, s[2:3], v7, v5, s[2:3]
	v_mov_b32_e32 v7, 0
	v_mov_b32_e32 v8, 0
	;; [unrolled: 1-line block ×3, first 2 shown]
	s_branch .LBB524_3
.LBB524_2:                              ;   in Loop: Header=BB524_3 Depth=1
	s_or_b64 exec, exec, s[2:3]
	s_waitcnt vmcnt(0) lgkmcnt(0)
	ds_write_b32 v13, v16
	s_waitcnt lgkmcnt(0)
	s_barrier
	ds_read2_b32 v[28:29], v14 offset1:16
	ds_read_b128 v[16:19], v15
	ds_read2_b32 v[30:31], v14 offset0:32 offset1:48
	ds_read2_b32 v[32:33], v14 offset0:64 offset1:80
	ds_read_b128 v[20:23], v15 offset:16
	ds_read2_b32 v[34:35], v14 offset0:96 offset1:112
	s_waitcnt lgkmcnt(4)
	v_fmac_f32_e32 v12, v28, v16
	v_fmac_f32_e32 v8, v29, v16
	s_waitcnt lgkmcnt(3)
	v_fmac_f32_e32 v12, v30, v17
	v_fmac_f32_e32 v8, v31, v17
	;; [unrolled: 3-line block ×4, first 2 shown]
	ds_read_b128 v[16:19], v15 offset:512
	ds_read_b128 v[24:27], v15 offset:528
	v_add_co_u32_e64 v2, s[2:3], 32, v2
	v_addc_co_u32_e64 v3, s[2:3], 0, v3, s[2:3]
	s_waitcnt lgkmcnt(1)
	v_fmac_f32_e32 v7, v28, v16
	v_fmac_f32_e32 v6, v29, v16
	;; [unrolled: 1-line block ×4, first 2 shown]
	ds_read2_b32 v[16:17], v14 offset0:128 offset1:144
	v_fmac_f32_e32 v7, v32, v18
	v_fmac_f32_e32 v6, v33, v18
	;; [unrolled: 1-line block ×4, first 2 shown]
	ds_read2_b32 v[18:19], v14 offset0:160 offset1:176
	ds_read2_b32 v[28:29], v14 offset0:192 offset1:208
	;; [unrolled: 1-line block ×3, first 2 shown]
	s_waitcnt lgkmcnt(3)
	v_fmac_f32_e32 v12, v16, v20
	v_fmac_f32_e32 v8, v17, v20
	v_fmac_f32_e32 v7, v16, v24
	v_fmac_f32_e32 v6, v17, v24
	s_waitcnt lgkmcnt(2)
	v_fmac_f32_e32 v12, v18, v21
	v_fmac_f32_e32 v8, v19, v21
	v_fmac_f32_e32 v7, v18, v25
	v_fmac_f32_e32 v6, v19, v25
	;; [unrolled: 5-line block ×3, first 2 shown]
	s_add_i32 s9, s9, 8
	v_add_co_u32_e64 v4, s[2:3], 32, v4
	s_waitcnt lgkmcnt(0)
	v_fmac_f32_e32 v12, v30, v23
	v_fmac_f32_e32 v8, v31, v23
	;; [unrolled: 1-line block ×4, first 2 shown]
	s_cmp_ge_i32 s9, s13
	v_addc_co_u32_e64 v5, s[2:3], 0, v5, s[2:3]
	s_barrier
	s_cbranch_scc1 .LBB524_8
.LBB524_3:                              ; =>This Inner Loop Header: Depth=1
	v_add_u32_e32 v16, s9, v10
	v_cmp_gt_i32_e64 s[2:3], s13, v16
	s_and_b64 s[16:17], vcc, s[2:3]
	v_mov_b32_e32 v16, 0
	s_and_saveexec_b64 s[2:3], s[16:17]
	s_cbranch_execz .LBB524_5
; %bb.4:                                ;   in Loop: Header=BB524_3 Depth=1
	flat_load_dword v16, v[2:3]
.LBB524_5:                              ;   in Loop: Header=BB524_3 Depth=1
	s_or_b64 exec, exec, s[2:3]
	s_waitcnt vmcnt(0) lgkmcnt(0)
	ds_write_b32 v11, v16
	v_add_u32_e32 v16, s9, v9
	v_cmp_gt_i32_e64 s[2:3], s13, v16
	s_and_b64 s[16:17], s[2:3], s[0:1]
	v_mov_b32_e32 v16, 0
	s_and_saveexec_b64 s[2:3], s[16:17]
	s_cbranch_execz .LBB524_2
; %bb.6:                                ;   in Loop: Header=BB524_3 Depth=1
	flat_load_dword v16, v[4:5]
	s_branch .LBB524_2
.LBB524_7:
	v_mov_b32_e32 v12, 0
	v_mov_b32_e32 v8, 0
	;; [unrolled: 1-line block ×4, first 2 shown]
.LBB524_8:
	s_load_dword s8, s[4:5], 0x50
	v_add_u32_e32 v4, s7, v1
	s_waitcnt lgkmcnt(0)
	v_mov_b32_e32 v3, s11
	v_add_u32_e32 v0, s6, v0
	v_mad_i64_i32 v[1:2], s[0:1], v4, s8, 0
	v_cmp_le_i32_e64 s[0:1], v4, v0
	v_lshlrev_b64 v[1:2], 2, v[1:2]
	v_add_co_u32_e32 v5, vcc, s10, v1
	v_addc_co_u32_e32 v9, vcc, v3, v2, vcc
	v_cmp_gt_i32_e32 vcc, s12, v0
	s_and_b64 s[0:1], s[0:1], vcc
	s_and_saveexec_b64 s[2:3], s[0:1]
	s_cbranch_execz .LBB524_10
; %bb.9:
	v_ashrrev_i32_e32 v1, 31, v0
	v_lshlrev_b64 v[1:2], 2, v[0:1]
	v_mul_f32_e32 v3, s14, v12
	v_add_co_u32_e64 v1, s[0:1], v5, v1
	v_addc_co_u32_e64 v2, s[0:1], v9, v2, s[0:1]
	flat_store_dword v[1:2], v3
.LBB524_10:
	s_or_b64 exec, exec, s[2:3]
	v_add_u32_e32 v2, 16, v0
	v_cmp_le_i32_e64 s[2:3], v4, v2
	v_cmp_gt_i32_e64 s[0:1], s12, v2
	s_and_b64 s[2:3], s[2:3], s[0:1]
	s_and_saveexec_b64 s[4:5], s[2:3]
	s_cbranch_execz .LBB524_12
; %bb.11:
	v_ashrrev_i32_e32 v3, 31, v2
	v_lshlrev_b64 v[10:11], 2, v[2:3]
	v_mul_f32_e32 v1, s14, v8
	v_add_co_u32_e64 v8, s[2:3], v5, v10
	v_addc_co_u32_e64 v9, s[2:3], v9, v11, s[2:3]
	flat_store_dword v[8:9], v1
.LBB524_12:
	s_or_b64 exec, exec, s[4:5]
	v_add_u32_e32 v3, 16, v4
	v_mad_i64_i32 v[4:5], s[2:3], v3, s8, 0
	v_mov_b32_e32 v1, s11
	v_lshlrev_b64 v[4:5], 2, v[4:5]
	v_add_co_u32_e64 v4, s[2:3], s10, v4
	v_addc_co_u32_e64 v5, s[2:3], v1, v5, s[2:3]
	v_cmp_le_i32_e64 s[2:3], v3, v0
	s_and_b64 s[4:5], s[2:3], vcc
	s_and_saveexec_b64 s[2:3], s[4:5]
	s_cbranch_execz .LBB524_14
; %bb.13:
	v_ashrrev_i32_e32 v1, 31, v0
	v_lshlrev_b64 v[0:1], 2, v[0:1]
	v_mul_f32_e32 v7, s14, v7
	v_add_co_u32_e32 v0, vcc, v4, v0
	v_addc_co_u32_e32 v1, vcc, v5, v1, vcc
	flat_store_dword v[0:1], v7
.LBB524_14:
	s_or_b64 exec, exec, s[2:3]
	v_cmp_le_i32_e32 vcc, v3, v2
	s_and_b64 s[0:1], vcc, s[0:1]
	s_and_saveexec_b64 s[2:3], s[0:1]
	s_cbranch_execz .LBB524_16
; %bb.15:
	v_ashrrev_i32_e32 v3, 31, v2
	v_lshlrev_b64 v[0:1], 2, v[2:3]
	v_mul_f32_e32 v6, s14, v6
	v_add_co_u32_e32 v0, vcc, v4, v0
	v_addc_co_u32_e32 v1, vcc, v5, v1, vcc
	flat_store_dword v[0:1], v6
.LBB524_16:
	s_endpgm
	.section	.rodata,"a",@progbits
	.p2align	6, 0x0
	.amdhsa_kernel _ZL34rocblas_syrkx_herkx_general_kernelIifLi16ELi32ELi8ELb1ELb0ELc84ELc76EKPKfKPfEviT_T0_PT8_S5_lS8_S5_lS6_PT9_S5_li
		.amdhsa_group_segment_fixed_size 2048
		.amdhsa_private_segment_fixed_size 0
		.amdhsa_kernarg_size 100
		.amdhsa_user_sgpr_count 6
		.amdhsa_user_sgpr_private_segment_buffer 1
		.amdhsa_user_sgpr_dispatch_ptr 0
		.amdhsa_user_sgpr_queue_ptr 0
		.amdhsa_user_sgpr_kernarg_segment_ptr 1
		.amdhsa_user_sgpr_dispatch_id 0
		.amdhsa_user_sgpr_flat_scratch_init 0
		.amdhsa_user_sgpr_private_segment_size 0
		.amdhsa_uses_dynamic_stack 0
		.amdhsa_system_sgpr_private_segment_wavefront_offset 0
		.amdhsa_system_sgpr_workgroup_id_x 1
		.amdhsa_system_sgpr_workgroup_id_y 1
		.amdhsa_system_sgpr_workgroup_id_z 1
		.amdhsa_system_sgpr_workgroup_info 0
		.amdhsa_system_vgpr_workitem_id 1
		.amdhsa_next_free_vgpr 36
		.amdhsa_next_free_sgpr 20
		.amdhsa_reserve_vcc 1
		.amdhsa_reserve_flat_scratch 0
		.amdhsa_float_round_mode_32 0
		.amdhsa_float_round_mode_16_64 0
		.amdhsa_float_denorm_mode_32 3
		.amdhsa_float_denorm_mode_16_64 3
		.amdhsa_dx10_clamp 1
		.amdhsa_ieee_mode 1
		.amdhsa_fp16_overflow 0
		.amdhsa_exception_fp_ieee_invalid_op 0
		.amdhsa_exception_fp_denorm_src 0
		.amdhsa_exception_fp_ieee_div_zero 0
		.amdhsa_exception_fp_ieee_overflow 0
		.amdhsa_exception_fp_ieee_underflow 0
		.amdhsa_exception_fp_ieee_inexact 0
		.amdhsa_exception_int_div_zero 0
	.end_amdhsa_kernel
	.section	.text._ZL34rocblas_syrkx_herkx_general_kernelIifLi16ELi32ELi8ELb1ELb0ELc84ELc76EKPKfKPfEviT_T0_PT8_S5_lS8_S5_lS6_PT9_S5_li,"axG",@progbits,_ZL34rocblas_syrkx_herkx_general_kernelIifLi16ELi32ELi8ELb1ELb0ELc84ELc76EKPKfKPfEviT_T0_PT8_S5_lS8_S5_lS6_PT9_S5_li,comdat
.Lfunc_end524:
	.size	_ZL34rocblas_syrkx_herkx_general_kernelIifLi16ELi32ELi8ELb1ELb0ELc84ELc76EKPKfKPfEviT_T0_PT8_S5_lS8_S5_lS6_PT9_S5_li, .Lfunc_end524-_ZL34rocblas_syrkx_herkx_general_kernelIifLi16ELi32ELi8ELb1ELb0ELc84ELc76EKPKfKPfEviT_T0_PT8_S5_lS8_S5_lS6_PT9_S5_li
                                        ; -- End function
	.set _ZL34rocblas_syrkx_herkx_general_kernelIifLi16ELi32ELi8ELb1ELb0ELc84ELc76EKPKfKPfEviT_T0_PT8_S5_lS8_S5_lS6_PT9_S5_li.num_vgpr, 36
	.set _ZL34rocblas_syrkx_herkx_general_kernelIifLi16ELi32ELi8ELb1ELb0ELc84ELc76EKPKfKPfEviT_T0_PT8_S5_lS8_S5_lS6_PT9_S5_li.num_agpr, 0
	.set _ZL34rocblas_syrkx_herkx_general_kernelIifLi16ELi32ELi8ELb1ELb0ELc84ELc76EKPKfKPfEviT_T0_PT8_S5_lS8_S5_lS6_PT9_S5_li.numbered_sgpr, 20
	.set _ZL34rocblas_syrkx_herkx_general_kernelIifLi16ELi32ELi8ELb1ELb0ELc84ELc76EKPKfKPfEviT_T0_PT8_S5_lS8_S5_lS6_PT9_S5_li.num_named_barrier, 0
	.set _ZL34rocblas_syrkx_herkx_general_kernelIifLi16ELi32ELi8ELb1ELb0ELc84ELc76EKPKfKPfEviT_T0_PT8_S5_lS8_S5_lS6_PT9_S5_li.private_seg_size, 0
	.set _ZL34rocblas_syrkx_herkx_general_kernelIifLi16ELi32ELi8ELb1ELb0ELc84ELc76EKPKfKPfEviT_T0_PT8_S5_lS8_S5_lS6_PT9_S5_li.uses_vcc, 1
	.set _ZL34rocblas_syrkx_herkx_general_kernelIifLi16ELi32ELi8ELb1ELb0ELc84ELc76EKPKfKPfEviT_T0_PT8_S5_lS8_S5_lS6_PT9_S5_li.uses_flat_scratch, 0
	.set _ZL34rocblas_syrkx_herkx_general_kernelIifLi16ELi32ELi8ELb1ELb0ELc84ELc76EKPKfKPfEviT_T0_PT8_S5_lS8_S5_lS6_PT9_S5_li.has_dyn_sized_stack, 0
	.set _ZL34rocblas_syrkx_herkx_general_kernelIifLi16ELi32ELi8ELb1ELb0ELc84ELc76EKPKfKPfEviT_T0_PT8_S5_lS8_S5_lS6_PT9_S5_li.has_recursion, 0
	.set _ZL34rocblas_syrkx_herkx_general_kernelIifLi16ELi32ELi8ELb1ELb0ELc84ELc76EKPKfKPfEviT_T0_PT8_S5_lS8_S5_lS6_PT9_S5_li.has_indirect_call, 0
	.section	.AMDGPU.csdata,"",@progbits
; Kernel info:
; codeLenInByte = 1140
; TotalNumSgprs: 24
; NumVgprs: 36
; ScratchSize: 0
; MemoryBound: 0
; FloatMode: 240
; IeeeMode: 1
; LDSByteSize: 2048 bytes/workgroup (compile time only)
; SGPRBlocks: 2
; VGPRBlocks: 8
; NumSGPRsForWavesPerEU: 24
; NumVGPRsForWavesPerEU: 36
; Occupancy: 7
; WaveLimiterHint : 1
; COMPUTE_PGM_RSRC2:SCRATCH_EN: 0
; COMPUTE_PGM_RSRC2:USER_SGPR: 6
; COMPUTE_PGM_RSRC2:TRAP_HANDLER: 0
; COMPUTE_PGM_RSRC2:TGID_X_EN: 1
; COMPUTE_PGM_RSRC2:TGID_Y_EN: 1
; COMPUTE_PGM_RSRC2:TGID_Z_EN: 1
; COMPUTE_PGM_RSRC2:TIDIG_COMP_CNT: 1
	.section	.text._ZL34rocblas_syrkx_herkx_general_kernelIifLi16ELi32ELi8ELb1ELb0ELc67ELc76EKPKfKPfEviT_T0_PT8_S5_lS8_S5_lS6_PT9_S5_li,"axG",@progbits,_ZL34rocblas_syrkx_herkx_general_kernelIifLi16ELi32ELi8ELb1ELb0ELc67ELc76EKPKfKPfEviT_T0_PT8_S5_lS8_S5_lS6_PT9_S5_li,comdat
	.globl	_ZL34rocblas_syrkx_herkx_general_kernelIifLi16ELi32ELi8ELb1ELb0ELc67ELc76EKPKfKPfEviT_T0_PT8_S5_lS8_S5_lS6_PT9_S5_li ; -- Begin function _ZL34rocblas_syrkx_herkx_general_kernelIifLi16ELi32ELi8ELb1ELb0ELc67ELc76EKPKfKPfEviT_T0_PT8_S5_lS8_S5_lS6_PT9_S5_li
	.p2align	8
	.type	_ZL34rocblas_syrkx_herkx_general_kernelIifLi16ELi32ELi8ELb1ELb0ELc67ELc76EKPKfKPfEviT_T0_PT8_S5_lS8_S5_lS6_PT9_S5_li,@function
_ZL34rocblas_syrkx_herkx_general_kernelIifLi16ELi32ELi8ELb1ELb0ELc67ELc76EKPKfKPfEviT_T0_PT8_S5_lS8_S5_lS6_PT9_S5_li: ; @_ZL34rocblas_syrkx_herkx_general_kernelIifLi16ELi32ELi8ELb1ELb0ELc67ELc76EKPKfKPfEviT_T0_PT8_S5_lS8_S5_lS6_PT9_S5_li
; %bb.0:
	s_load_dwordx2 s[2:3], s[4:5], 0x48
	s_load_dwordx4 s[12:15], s[4:5], 0x0
	s_mov_b32 s9, 0
	s_lshl_b64 s[0:1], s[8:9], 3
	s_waitcnt lgkmcnt(0)
	s_add_u32 s2, s2, s0
	s_addc_u32 s3, s3, s1
	s_load_dwordx2 s[10:11], s[2:3], 0x0
	s_lshl_b32 s6, s6, 5
	s_lshl_b32 s7, s7, 5
	s_cmp_lt_i32 s13, 1
	s_cbranch_scc1 .LBB525_7
; %bb.1:
	s_load_dwordx2 s[2:3], s[4:5], 0x10
	s_load_dword s8, s[4:5], 0x18
	s_load_dwordx2 s[16:17], s[4:5], 0x28
	s_load_dword s15, s[4:5], 0x30
	v_lshl_add_u32 v2, v1, 4, v0
	v_and_b32_e32 v9, 7, v0
	v_lshrrev_b32_e32 v10, 5, v2
	v_lshrrev_b32_e32 v3, 3, v2
	v_and_b32_e32 v2, 31, v2
	s_waitcnt lgkmcnt(0)
	s_add_u32 s16, s16, s0
	v_or_b32_e32 v5, s6, v2
	s_addc_u32 s17, s17, s1
	v_lshlrev_b32_e32 v7, 2, v9
	v_add_u32_e32 v4, s7, v3
	s_add_u32 s0, s2, s0
	v_cmp_gt_i32_e32 vcc, s12, v5
	v_lshlrev_b32_e32 v5, 2, v2
	v_lshl_or_b32 v3, v3, 5, v7
	v_add_u32_e32 v2, s6, v2
	s_addc_u32 s1, s3, s1
	v_add_u32_e32 v13, 0x400, v3
	v_mad_i64_i32 v[2:3], s[2:3], s8, v2, 0
	v_lshl_or_b32 v11, v10, 7, v5
	v_mov_b32_e32 v5, 0x400
	v_lshlrev_b64 v[2:3], 2, v[2:3]
	v_lshl_add_u32 v15, v1, 5, v5
	v_lshlrev_b32_e32 v5, 2, v10
	s_load_dwordx2 s[18:19], s[0:1], 0x0
	v_add_co_u32_e64 v2, s[2:3], v2, v5
	v_cmp_gt_i32_e64 s[0:1], s12, v4
	v_addc_co_u32_e64 v3, s[2:3], 0, v3, s[2:3]
	v_mad_i64_i32 v[4:5], s[2:3], s15, v4, 0
	s_load_dwordx2 s[16:17], s[16:17], 0x0
	s_waitcnt lgkmcnt(0)
	v_mov_b32_e32 v8, s19
	v_add_co_u32_e64 v2, s[2:3], s18, v2
	v_lshlrev_b64 v[4:5], 2, v[4:5]
	v_addc_co_u32_e64 v3, s[2:3], v8, v3, s[2:3]
	v_add_co_u32_e64 v4, s[2:3], v4, v7
	v_addc_co_u32_e64 v5, s[2:3], 0, v5, s[2:3]
	v_mov_b32_e32 v7, s17
	v_add_co_u32_e64 v4, s[2:3], s16, v4
	v_lshlrev_b32_e32 v14, 2, v0
	v_mov_b32_e32 v6, 0
	v_addc_co_u32_e64 v5, s[2:3], v7, v5, s[2:3]
	v_mov_b32_e32 v7, 0
	v_mov_b32_e32 v8, 0
	;; [unrolled: 1-line block ×3, first 2 shown]
	s_branch .LBB525_3
.LBB525_2:                              ;   in Loop: Header=BB525_3 Depth=1
	s_or_b64 exec, exec, s[2:3]
	s_waitcnt vmcnt(0) lgkmcnt(0)
	ds_write_b32 v13, v16
	s_waitcnt lgkmcnt(0)
	s_barrier
	ds_read2_b32 v[28:29], v14 offset1:16
	ds_read_b128 v[16:19], v15
	ds_read2_b32 v[30:31], v14 offset0:32 offset1:48
	ds_read2_b32 v[32:33], v14 offset0:64 offset1:80
	ds_read_b128 v[20:23], v15 offset:16
	ds_read2_b32 v[34:35], v14 offset0:96 offset1:112
	s_waitcnt lgkmcnt(4)
	v_fmac_f32_e32 v12, v28, v16
	v_fmac_f32_e32 v8, v29, v16
	s_waitcnt lgkmcnt(3)
	v_fmac_f32_e32 v12, v30, v17
	v_fmac_f32_e32 v8, v31, v17
	;; [unrolled: 3-line block ×4, first 2 shown]
	ds_read_b128 v[16:19], v15 offset:512
	ds_read_b128 v[24:27], v15 offset:528
	v_add_co_u32_e64 v2, s[2:3], 32, v2
	v_addc_co_u32_e64 v3, s[2:3], 0, v3, s[2:3]
	s_waitcnt lgkmcnt(1)
	v_fmac_f32_e32 v7, v28, v16
	v_fmac_f32_e32 v6, v29, v16
	;; [unrolled: 1-line block ×4, first 2 shown]
	ds_read2_b32 v[16:17], v14 offset0:128 offset1:144
	v_fmac_f32_e32 v7, v32, v18
	v_fmac_f32_e32 v6, v33, v18
	;; [unrolled: 1-line block ×4, first 2 shown]
	ds_read2_b32 v[18:19], v14 offset0:160 offset1:176
	ds_read2_b32 v[28:29], v14 offset0:192 offset1:208
	;; [unrolled: 1-line block ×3, first 2 shown]
	s_waitcnt lgkmcnt(3)
	v_fmac_f32_e32 v12, v16, v20
	v_fmac_f32_e32 v8, v17, v20
	v_fmac_f32_e32 v7, v16, v24
	v_fmac_f32_e32 v6, v17, v24
	s_waitcnt lgkmcnt(2)
	v_fmac_f32_e32 v12, v18, v21
	v_fmac_f32_e32 v8, v19, v21
	v_fmac_f32_e32 v7, v18, v25
	v_fmac_f32_e32 v6, v19, v25
	;; [unrolled: 5-line block ×3, first 2 shown]
	s_add_i32 s9, s9, 8
	v_add_co_u32_e64 v4, s[2:3], 32, v4
	s_waitcnt lgkmcnt(0)
	v_fmac_f32_e32 v12, v30, v23
	v_fmac_f32_e32 v8, v31, v23
	;; [unrolled: 1-line block ×4, first 2 shown]
	s_cmp_ge_i32 s9, s13
	v_addc_co_u32_e64 v5, s[2:3], 0, v5, s[2:3]
	s_barrier
	s_cbranch_scc1 .LBB525_8
.LBB525_3:                              ; =>This Inner Loop Header: Depth=1
	v_add_u32_e32 v16, s9, v10
	v_cmp_gt_i32_e64 s[2:3], s13, v16
	s_and_b64 s[16:17], vcc, s[2:3]
	v_mov_b32_e32 v16, 0
	s_and_saveexec_b64 s[2:3], s[16:17]
	s_cbranch_execz .LBB525_5
; %bb.4:                                ;   in Loop: Header=BB525_3 Depth=1
	flat_load_dword v16, v[2:3]
.LBB525_5:                              ;   in Loop: Header=BB525_3 Depth=1
	s_or_b64 exec, exec, s[2:3]
	s_waitcnt vmcnt(0) lgkmcnt(0)
	ds_write_b32 v11, v16
	v_add_u32_e32 v16, s9, v9
	v_cmp_gt_i32_e64 s[2:3], s13, v16
	s_and_b64 s[16:17], s[2:3], s[0:1]
	v_mov_b32_e32 v16, 0
	s_and_saveexec_b64 s[2:3], s[16:17]
	s_cbranch_execz .LBB525_2
; %bb.6:                                ;   in Loop: Header=BB525_3 Depth=1
	flat_load_dword v16, v[4:5]
	s_branch .LBB525_2
.LBB525_7:
	v_mov_b32_e32 v12, 0
	v_mov_b32_e32 v8, 0
	v_mov_b32_e32 v7, 0
	v_mov_b32_e32 v6, 0
.LBB525_8:
	s_load_dword s8, s[4:5], 0x50
	v_add_u32_e32 v4, s7, v1
	s_waitcnt lgkmcnt(0)
	v_mov_b32_e32 v3, s11
	v_add_u32_e32 v0, s6, v0
	v_mad_i64_i32 v[1:2], s[0:1], v4, s8, 0
	v_cmp_le_i32_e64 s[0:1], v4, v0
	v_lshlrev_b64 v[1:2], 2, v[1:2]
	v_add_co_u32_e32 v5, vcc, s10, v1
	v_addc_co_u32_e32 v9, vcc, v3, v2, vcc
	v_cmp_gt_i32_e32 vcc, s12, v0
	s_and_b64 s[0:1], s[0:1], vcc
	s_and_saveexec_b64 s[2:3], s[0:1]
	s_cbranch_execz .LBB525_10
; %bb.9:
	v_ashrrev_i32_e32 v1, 31, v0
	v_lshlrev_b64 v[1:2], 2, v[0:1]
	v_mul_f32_e32 v3, s14, v12
	v_add_co_u32_e64 v1, s[0:1], v5, v1
	v_addc_co_u32_e64 v2, s[0:1], v9, v2, s[0:1]
	flat_store_dword v[1:2], v3
.LBB525_10:
	s_or_b64 exec, exec, s[2:3]
	v_add_u32_e32 v2, 16, v0
	v_cmp_le_i32_e64 s[2:3], v4, v2
	v_cmp_gt_i32_e64 s[0:1], s12, v2
	s_and_b64 s[2:3], s[2:3], s[0:1]
	s_and_saveexec_b64 s[4:5], s[2:3]
	s_cbranch_execz .LBB525_12
; %bb.11:
	v_ashrrev_i32_e32 v3, 31, v2
	v_lshlrev_b64 v[10:11], 2, v[2:3]
	v_mul_f32_e32 v1, s14, v8
	v_add_co_u32_e64 v8, s[2:3], v5, v10
	v_addc_co_u32_e64 v9, s[2:3], v9, v11, s[2:3]
	flat_store_dword v[8:9], v1
.LBB525_12:
	s_or_b64 exec, exec, s[4:5]
	v_add_u32_e32 v3, 16, v4
	v_mad_i64_i32 v[4:5], s[2:3], v3, s8, 0
	v_mov_b32_e32 v1, s11
	v_lshlrev_b64 v[4:5], 2, v[4:5]
	v_add_co_u32_e64 v4, s[2:3], s10, v4
	v_addc_co_u32_e64 v5, s[2:3], v1, v5, s[2:3]
	v_cmp_le_i32_e64 s[2:3], v3, v0
	s_and_b64 s[4:5], s[2:3], vcc
	s_and_saveexec_b64 s[2:3], s[4:5]
	s_cbranch_execz .LBB525_14
; %bb.13:
	v_ashrrev_i32_e32 v1, 31, v0
	v_lshlrev_b64 v[0:1], 2, v[0:1]
	v_mul_f32_e32 v7, s14, v7
	v_add_co_u32_e32 v0, vcc, v4, v0
	v_addc_co_u32_e32 v1, vcc, v5, v1, vcc
	flat_store_dword v[0:1], v7
.LBB525_14:
	s_or_b64 exec, exec, s[2:3]
	v_cmp_le_i32_e32 vcc, v3, v2
	s_and_b64 s[0:1], vcc, s[0:1]
	s_and_saveexec_b64 s[2:3], s[0:1]
	s_cbranch_execz .LBB525_16
; %bb.15:
	v_ashrrev_i32_e32 v3, 31, v2
	v_lshlrev_b64 v[0:1], 2, v[2:3]
	v_mul_f32_e32 v6, s14, v6
	v_add_co_u32_e32 v0, vcc, v4, v0
	v_addc_co_u32_e32 v1, vcc, v5, v1, vcc
	flat_store_dword v[0:1], v6
.LBB525_16:
	s_endpgm
	.section	.rodata,"a",@progbits
	.p2align	6, 0x0
	.amdhsa_kernel _ZL34rocblas_syrkx_herkx_general_kernelIifLi16ELi32ELi8ELb1ELb0ELc67ELc76EKPKfKPfEviT_T0_PT8_S5_lS8_S5_lS6_PT9_S5_li
		.amdhsa_group_segment_fixed_size 2048
		.amdhsa_private_segment_fixed_size 0
		.amdhsa_kernarg_size 100
		.amdhsa_user_sgpr_count 6
		.amdhsa_user_sgpr_private_segment_buffer 1
		.amdhsa_user_sgpr_dispatch_ptr 0
		.amdhsa_user_sgpr_queue_ptr 0
		.amdhsa_user_sgpr_kernarg_segment_ptr 1
		.amdhsa_user_sgpr_dispatch_id 0
		.amdhsa_user_sgpr_flat_scratch_init 0
		.amdhsa_user_sgpr_private_segment_size 0
		.amdhsa_uses_dynamic_stack 0
		.amdhsa_system_sgpr_private_segment_wavefront_offset 0
		.amdhsa_system_sgpr_workgroup_id_x 1
		.amdhsa_system_sgpr_workgroup_id_y 1
		.amdhsa_system_sgpr_workgroup_id_z 1
		.amdhsa_system_sgpr_workgroup_info 0
		.amdhsa_system_vgpr_workitem_id 1
		.amdhsa_next_free_vgpr 36
		.amdhsa_next_free_sgpr 20
		.amdhsa_reserve_vcc 1
		.amdhsa_reserve_flat_scratch 0
		.amdhsa_float_round_mode_32 0
		.amdhsa_float_round_mode_16_64 0
		.amdhsa_float_denorm_mode_32 3
		.amdhsa_float_denorm_mode_16_64 3
		.amdhsa_dx10_clamp 1
		.amdhsa_ieee_mode 1
		.amdhsa_fp16_overflow 0
		.amdhsa_exception_fp_ieee_invalid_op 0
		.amdhsa_exception_fp_denorm_src 0
		.amdhsa_exception_fp_ieee_div_zero 0
		.amdhsa_exception_fp_ieee_overflow 0
		.amdhsa_exception_fp_ieee_underflow 0
		.amdhsa_exception_fp_ieee_inexact 0
		.amdhsa_exception_int_div_zero 0
	.end_amdhsa_kernel
	.section	.text._ZL34rocblas_syrkx_herkx_general_kernelIifLi16ELi32ELi8ELb1ELb0ELc67ELc76EKPKfKPfEviT_T0_PT8_S5_lS8_S5_lS6_PT9_S5_li,"axG",@progbits,_ZL34rocblas_syrkx_herkx_general_kernelIifLi16ELi32ELi8ELb1ELb0ELc67ELc76EKPKfKPfEviT_T0_PT8_S5_lS8_S5_lS6_PT9_S5_li,comdat
.Lfunc_end525:
	.size	_ZL34rocblas_syrkx_herkx_general_kernelIifLi16ELi32ELi8ELb1ELb0ELc67ELc76EKPKfKPfEviT_T0_PT8_S5_lS8_S5_lS6_PT9_S5_li, .Lfunc_end525-_ZL34rocblas_syrkx_herkx_general_kernelIifLi16ELi32ELi8ELb1ELb0ELc67ELc76EKPKfKPfEviT_T0_PT8_S5_lS8_S5_lS6_PT9_S5_li
                                        ; -- End function
	.set _ZL34rocblas_syrkx_herkx_general_kernelIifLi16ELi32ELi8ELb1ELb0ELc67ELc76EKPKfKPfEviT_T0_PT8_S5_lS8_S5_lS6_PT9_S5_li.num_vgpr, 36
	.set _ZL34rocblas_syrkx_herkx_general_kernelIifLi16ELi32ELi8ELb1ELb0ELc67ELc76EKPKfKPfEviT_T0_PT8_S5_lS8_S5_lS6_PT9_S5_li.num_agpr, 0
	.set _ZL34rocblas_syrkx_herkx_general_kernelIifLi16ELi32ELi8ELb1ELb0ELc67ELc76EKPKfKPfEviT_T0_PT8_S5_lS8_S5_lS6_PT9_S5_li.numbered_sgpr, 20
	.set _ZL34rocblas_syrkx_herkx_general_kernelIifLi16ELi32ELi8ELb1ELb0ELc67ELc76EKPKfKPfEviT_T0_PT8_S5_lS8_S5_lS6_PT9_S5_li.num_named_barrier, 0
	.set _ZL34rocblas_syrkx_herkx_general_kernelIifLi16ELi32ELi8ELb1ELb0ELc67ELc76EKPKfKPfEviT_T0_PT8_S5_lS8_S5_lS6_PT9_S5_li.private_seg_size, 0
	.set _ZL34rocblas_syrkx_herkx_general_kernelIifLi16ELi32ELi8ELb1ELb0ELc67ELc76EKPKfKPfEviT_T0_PT8_S5_lS8_S5_lS6_PT9_S5_li.uses_vcc, 1
	.set _ZL34rocblas_syrkx_herkx_general_kernelIifLi16ELi32ELi8ELb1ELb0ELc67ELc76EKPKfKPfEviT_T0_PT8_S5_lS8_S5_lS6_PT9_S5_li.uses_flat_scratch, 0
	.set _ZL34rocblas_syrkx_herkx_general_kernelIifLi16ELi32ELi8ELb1ELb0ELc67ELc76EKPKfKPfEviT_T0_PT8_S5_lS8_S5_lS6_PT9_S5_li.has_dyn_sized_stack, 0
	.set _ZL34rocblas_syrkx_herkx_general_kernelIifLi16ELi32ELi8ELb1ELb0ELc67ELc76EKPKfKPfEviT_T0_PT8_S5_lS8_S5_lS6_PT9_S5_li.has_recursion, 0
	.set _ZL34rocblas_syrkx_herkx_general_kernelIifLi16ELi32ELi8ELb1ELb0ELc67ELc76EKPKfKPfEviT_T0_PT8_S5_lS8_S5_lS6_PT9_S5_li.has_indirect_call, 0
	.section	.AMDGPU.csdata,"",@progbits
; Kernel info:
; codeLenInByte = 1140
; TotalNumSgprs: 24
; NumVgprs: 36
; ScratchSize: 0
; MemoryBound: 0
; FloatMode: 240
; IeeeMode: 1
; LDSByteSize: 2048 bytes/workgroup (compile time only)
; SGPRBlocks: 2
; VGPRBlocks: 8
; NumSGPRsForWavesPerEU: 24
; NumVGPRsForWavesPerEU: 36
; Occupancy: 7
; WaveLimiterHint : 1
; COMPUTE_PGM_RSRC2:SCRATCH_EN: 0
; COMPUTE_PGM_RSRC2:USER_SGPR: 6
; COMPUTE_PGM_RSRC2:TRAP_HANDLER: 0
; COMPUTE_PGM_RSRC2:TGID_X_EN: 1
; COMPUTE_PGM_RSRC2:TGID_Y_EN: 1
; COMPUTE_PGM_RSRC2:TGID_Z_EN: 1
; COMPUTE_PGM_RSRC2:TIDIG_COMP_CNT: 1
	.section	.text._ZL34rocblas_syrkx_herkx_general_kernelIifLi16ELi32ELi8ELb1ELb0ELc78ELc76EKPKfKPfEviT_T0_PT8_S5_lS8_S5_lS6_PT9_S5_li,"axG",@progbits,_ZL34rocblas_syrkx_herkx_general_kernelIifLi16ELi32ELi8ELb1ELb0ELc78ELc76EKPKfKPfEviT_T0_PT8_S5_lS8_S5_lS6_PT9_S5_li,comdat
	.globl	_ZL34rocblas_syrkx_herkx_general_kernelIifLi16ELi32ELi8ELb1ELb0ELc78ELc76EKPKfKPfEviT_T0_PT8_S5_lS8_S5_lS6_PT9_S5_li ; -- Begin function _ZL34rocblas_syrkx_herkx_general_kernelIifLi16ELi32ELi8ELb1ELb0ELc78ELc76EKPKfKPfEviT_T0_PT8_S5_lS8_S5_lS6_PT9_S5_li
	.p2align	8
	.type	_ZL34rocblas_syrkx_herkx_general_kernelIifLi16ELi32ELi8ELb1ELb0ELc78ELc76EKPKfKPfEviT_T0_PT8_S5_lS8_S5_lS6_PT9_S5_li,@function
_ZL34rocblas_syrkx_herkx_general_kernelIifLi16ELi32ELi8ELb1ELb0ELc78ELc76EKPKfKPfEviT_T0_PT8_S5_lS8_S5_lS6_PT9_S5_li: ; @_ZL34rocblas_syrkx_herkx_general_kernelIifLi16ELi32ELi8ELb1ELb0ELc78ELc76EKPKfKPfEviT_T0_PT8_S5_lS8_S5_lS6_PT9_S5_li
; %bb.0:
	s_load_dwordx2 s[2:3], s[4:5], 0x48
	s_load_dwordx4 s[12:15], s[4:5], 0x0
	s_mov_b32 s9, 0
	s_lshl_b64 s[0:1], s[8:9], 3
	s_waitcnt lgkmcnt(0)
	s_add_u32 s2, s2, s0
	s_addc_u32 s3, s3, s1
	s_load_dwordx2 s[10:11], s[2:3], 0x0
	s_lshl_b32 s8, s6, 5
	s_lshl_b32 s15, s7, 5
	s_cmp_lt_i32 s13, 1
	s_cbranch_scc1 .LBB526_7
; %bb.1:
	s_load_dword s6, s[4:5], 0x18
	s_load_dword s16, s[4:5], 0x30
	s_load_dwordx2 s[2:3], s[4:5], 0x10
	s_load_dwordx2 s[18:19], s[4:5], 0x28
	v_lshl_add_u32 v2, v1, 4, v0
	v_and_b32_e32 v6, 31, v2
	s_waitcnt lgkmcnt(0)
	s_ashr_i32 s7, s6, 31
	s_ashr_i32 s17, s16, 31
	v_lshrrev_b32_e32 v9, 5, v2
	v_lshrrev_b32_e32 v3, 3, v2
	v_or_b32_e32 v2, s8, v6
	v_and_b32_e32 v8, 7, v0
	s_add_u32 s18, s18, s0
	v_cmp_gt_i32_e32 vcc, s12, v2
	v_lshlrev_b32_e32 v2, 2, v6
	s_addc_u32 s19, s19, s1
	v_lshl_or_b32 v11, v9, 7, v2
	v_lshlrev_b32_e32 v2, 2, v8
	s_add_u32 s0, s2, s0
	v_lshl_or_b32 v2, v3, 5, v2
	v_add_u32_e32 v4, s15, v3
	s_addc_u32 s1, s3, s1
	v_add_u32_e32 v12, 0x400, v2
	v_mad_i64_i32 v[2:3], s[2:3], v9, s6, 0
	v_mov_b32_e32 v7, 0x400
	v_add_u32_e32 v6, s8, v6
	v_lshl_add_u32 v15, v1, 5, v7
	v_ashrrev_i32_e32 v7, 31, v6
	v_lshlrev_b64 v[2:3], 2, v[2:3]
	v_lshlrev_b64 v[6:7], 2, v[6:7]
	s_load_dwordx2 s[20:21], s[0:1], 0x0
	v_add_co_u32_e64 v2, s[2:3], v2, v6
	v_addc_co_u32_e64 v3, s[2:3], v3, v7, s[2:3]
	v_mad_i64_i32 v[6:7], s[2:3], s16, v8, 0
	s_load_dwordx2 s[18:19], s[18:19], 0x0
	v_ashrrev_i32_e32 v5, 31, v4
	v_cmp_gt_i32_e64 s[0:1], s12, v4
	s_waitcnt lgkmcnt(0)
	v_mov_b32_e32 v10, s21
	v_add_co_u32_e64 v2, s[2:3], s20, v2
	v_lshlrev_b64 v[6:7], 2, v[6:7]
	v_lshlrev_b64 v[4:5], 2, v[4:5]
	v_addc_co_u32_e64 v3, s[2:3], v10, v3, s[2:3]
	v_add_co_u32_e64 v4, s[2:3], v6, v4
	v_addc_co_u32_e64 v5, s[2:3], v7, v5, s[2:3]
	v_mov_b32_e32 v6, s19
	v_add_co_u32_e64 v4, s[2:3], s18, v4
	v_lshlrev_b32_e32 v14, 2, v0
	s_lshl_b64 s[6:7], s[6:7], 5
	v_addc_co_u32_e64 v5, s[2:3], v6, v5, s[2:3]
	s_lshl_b64 s[16:17], s[16:17], 5
	v_mov_b32_e32 v6, 0
	v_mov_b32_e32 v7, 0
	v_mov_b32_e32 v10, 0
	v_mov_b32_e32 v13, 0
	s_branch .LBB526_3
.LBB526_2:                              ;   in Loop: Header=BB526_3 Depth=1
	s_or_b64 exec, exec, s[2:3]
	s_waitcnt vmcnt(0) lgkmcnt(0)
	ds_write_b32 v12, v16
	s_waitcnt lgkmcnt(0)
	s_barrier
	ds_read2_b32 v[28:29], v14 offset1:16
	ds_read_b128 v[16:19], v15
	ds_read2_b32 v[30:31], v14 offset0:32 offset1:48
	ds_read2_b32 v[32:33], v14 offset0:64 offset1:80
	ds_read_b128 v[20:23], v15 offset:16
	ds_read2_b32 v[34:35], v14 offset0:96 offset1:112
	s_waitcnt lgkmcnt(4)
	v_fmac_f32_e32 v13, v28, v16
	v_fmac_f32_e32 v10, v29, v16
	s_waitcnt lgkmcnt(3)
	v_fmac_f32_e32 v13, v30, v17
	v_fmac_f32_e32 v10, v31, v17
	;; [unrolled: 3-line block ×4, first 2 shown]
	ds_read_b128 v[16:19], v15 offset:512
	ds_read_b128 v[24:27], v15 offset:528
	v_add_co_u32_e64 v2, s[2:3], s6, v2
	s_add_i32 s9, s9, 8
	s_waitcnt lgkmcnt(1)
	v_fmac_f32_e32 v7, v28, v16
	v_fmac_f32_e32 v6, v29, v16
	;; [unrolled: 1-line block ×4, first 2 shown]
	ds_read2_b32 v[16:17], v14 offset0:128 offset1:144
	v_fmac_f32_e32 v7, v32, v18
	v_fmac_f32_e32 v6, v33, v18
	;; [unrolled: 1-line block ×4, first 2 shown]
	ds_read2_b32 v[18:19], v14 offset0:160 offset1:176
	ds_read2_b32 v[28:29], v14 offset0:192 offset1:208
	;; [unrolled: 1-line block ×3, first 2 shown]
	s_waitcnt lgkmcnt(3)
	v_fmac_f32_e32 v13, v16, v20
	v_fmac_f32_e32 v10, v17, v20
	;; [unrolled: 1-line block ×4, first 2 shown]
	v_mov_b32_e32 v16, s7
	s_waitcnt lgkmcnt(2)
	v_fmac_f32_e32 v13, v18, v21
	v_fmac_f32_e32 v10, v19, v21
	;; [unrolled: 1-line block ×4, first 2 shown]
	v_addc_co_u32_e64 v3, s[2:3], v3, v16, s[2:3]
	s_waitcnt lgkmcnt(1)
	v_fmac_f32_e32 v13, v28, v22
	v_fmac_f32_e32 v10, v29, v22
	;; [unrolled: 1-line block ×4, first 2 shown]
	v_mov_b32_e32 v16, s17
	v_add_co_u32_e64 v4, s[2:3], s16, v4
	s_waitcnt lgkmcnt(0)
	v_fmac_f32_e32 v13, v30, v23
	v_fmac_f32_e32 v10, v31, v23
	;; [unrolled: 1-line block ×4, first 2 shown]
	s_cmp_ge_i32 s9, s13
	v_addc_co_u32_e64 v5, s[2:3], v5, v16, s[2:3]
	s_barrier
	s_cbranch_scc1 .LBB526_8
.LBB526_3:                              ; =>This Inner Loop Header: Depth=1
	v_add_u32_e32 v16, s9, v9
	v_cmp_gt_i32_e64 s[2:3], s13, v16
	s_and_b64 s[18:19], vcc, s[2:3]
	v_mov_b32_e32 v16, 0
	s_and_saveexec_b64 s[2:3], s[18:19]
	s_cbranch_execz .LBB526_5
; %bb.4:                                ;   in Loop: Header=BB526_3 Depth=1
	flat_load_dword v16, v[2:3]
.LBB526_5:                              ;   in Loop: Header=BB526_3 Depth=1
	s_or_b64 exec, exec, s[2:3]
	s_waitcnt vmcnt(0) lgkmcnt(0)
	ds_write_b32 v11, v16
	v_add_u32_e32 v16, s9, v8
	v_cmp_gt_i32_e64 s[2:3], s13, v16
	s_and_b64 s[18:19], s[2:3], s[0:1]
	v_mov_b32_e32 v16, 0
	s_and_saveexec_b64 s[2:3], s[18:19]
	s_cbranch_execz .LBB526_2
; %bb.6:                                ;   in Loop: Header=BB526_3 Depth=1
	flat_load_dword v16, v[4:5]
	s_branch .LBB526_2
.LBB526_7:
	v_mov_b32_e32 v13, 0
	v_mov_b32_e32 v10, 0
	;; [unrolled: 1-line block ×4, first 2 shown]
.LBB526_8:
	s_load_dword s6, s[4:5], 0x50
	v_add_u32_e32 v4, s15, v1
	s_waitcnt lgkmcnt(0)
	v_mov_b32_e32 v3, s11
	v_add_u32_e32 v0, s8, v0
	v_mad_i64_i32 v[1:2], s[0:1], v4, s6, 0
	v_cmp_le_i32_e64 s[0:1], v4, v0
	v_lshlrev_b64 v[1:2], 2, v[1:2]
	v_add_co_u32_e32 v5, vcc, s10, v1
	v_addc_co_u32_e32 v8, vcc, v3, v2, vcc
	v_cmp_gt_i32_e32 vcc, s12, v0
	s_and_b64 s[0:1], s[0:1], vcc
	s_and_saveexec_b64 s[2:3], s[0:1]
	s_cbranch_execz .LBB526_10
; %bb.9:
	v_ashrrev_i32_e32 v1, 31, v0
	v_lshlrev_b64 v[1:2], 2, v[0:1]
	v_mul_f32_e32 v3, s14, v13
	v_add_co_u32_e64 v1, s[0:1], v5, v1
	v_addc_co_u32_e64 v2, s[0:1], v8, v2, s[0:1]
	flat_store_dword v[1:2], v3
.LBB526_10:
	s_or_b64 exec, exec, s[2:3]
	v_add_u32_e32 v2, 16, v0
	v_cmp_le_i32_e64 s[2:3], v4, v2
	v_cmp_gt_i32_e64 s[0:1], s12, v2
	s_and_b64 s[2:3], s[2:3], s[0:1]
	s_and_saveexec_b64 s[4:5], s[2:3]
	s_cbranch_execz .LBB526_12
; %bb.11:
	v_ashrrev_i32_e32 v3, 31, v2
	v_mul_f32_e32 v1, s14, v10
	v_lshlrev_b64 v[9:10], 2, v[2:3]
	v_add_co_u32_e64 v9, s[2:3], v5, v9
	v_addc_co_u32_e64 v10, s[2:3], v8, v10, s[2:3]
	flat_store_dword v[9:10], v1
.LBB526_12:
	s_or_b64 exec, exec, s[4:5]
	v_add_u32_e32 v3, 16, v4
	v_mad_i64_i32 v[4:5], s[2:3], v3, s6, 0
	v_mov_b32_e32 v1, s11
	v_lshlrev_b64 v[4:5], 2, v[4:5]
	v_add_co_u32_e64 v4, s[2:3], s10, v4
	v_addc_co_u32_e64 v5, s[2:3], v1, v5, s[2:3]
	v_cmp_le_i32_e64 s[2:3], v3, v0
	s_and_b64 s[4:5], s[2:3], vcc
	s_and_saveexec_b64 s[2:3], s[4:5]
	s_cbranch_execz .LBB526_14
; %bb.13:
	v_ashrrev_i32_e32 v1, 31, v0
	v_lshlrev_b64 v[0:1], 2, v[0:1]
	v_mul_f32_e32 v7, s14, v7
	v_add_co_u32_e32 v0, vcc, v4, v0
	v_addc_co_u32_e32 v1, vcc, v5, v1, vcc
	flat_store_dword v[0:1], v7
.LBB526_14:
	s_or_b64 exec, exec, s[2:3]
	v_cmp_le_i32_e32 vcc, v3, v2
	s_and_b64 s[0:1], vcc, s[0:1]
	s_and_saveexec_b64 s[2:3], s[0:1]
	s_cbranch_execz .LBB526_16
; %bb.15:
	v_ashrrev_i32_e32 v3, 31, v2
	v_lshlrev_b64 v[0:1], 2, v[2:3]
	v_mul_f32_e32 v6, s14, v6
	v_add_co_u32_e32 v0, vcc, v4, v0
	v_addc_co_u32_e32 v1, vcc, v5, v1, vcc
	flat_store_dword v[0:1], v6
.LBB526_16:
	s_endpgm
	.section	.rodata,"a",@progbits
	.p2align	6, 0x0
	.amdhsa_kernel _ZL34rocblas_syrkx_herkx_general_kernelIifLi16ELi32ELi8ELb1ELb0ELc78ELc76EKPKfKPfEviT_T0_PT8_S5_lS8_S5_lS6_PT9_S5_li
		.amdhsa_group_segment_fixed_size 2048
		.amdhsa_private_segment_fixed_size 0
		.amdhsa_kernarg_size 100
		.amdhsa_user_sgpr_count 6
		.amdhsa_user_sgpr_private_segment_buffer 1
		.amdhsa_user_sgpr_dispatch_ptr 0
		.amdhsa_user_sgpr_queue_ptr 0
		.amdhsa_user_sgpr_kernarg_segment_ptr 1
		.amdhsa_user_sgpr_dispatch_id 0
		.amdhsa_user_sgpr_flat_scratch_init 0
		.amdhsa_user_sgpr_private_segment_size 0
		.amdhsa_uses_dynamic_stack 0
		.amdhsa_system_sgpr_private_segment_wavefront_offset 0
		.amdhsa_system_sgpr_workgroup_id_x 1
		.amdhsa_system_sgpr_workgroup_id_y 1
		.amdhsa_system_sgpr_workgroup_id_z 1
		.amdhsa_system_sgpr_workgroup_info 0
		.amdhsa_system_vgpr_workitem_id 1
		.amdhsa_next_free_vgpr 36
		.amdhsa_next_free_sgpr 22
		.amdhsa_reserve_vcc 1
		.amdhsa_reserve_flat_scratch 0
		.amdhsa_float_round_mode_32 0
		.amdhsa_float_round_mode_16_64 0
		.amdhsa_float_denorm_mode_32 3
		.amdhsa_float_denorm_mode_16_64 3
		.amdhsa_dx10_clamp 1
		.amdhsa_ieee_mode 1
		.amdhsa_fp16_overflow 0
		.amdhsa_exception_fp_ieee_invalid_op 0
		.amdhsa_exception_fp_denorm_src 0
		.amdhsa_exception_fp_ieee_div_zero 0
		.amdhsa_exception_fp_ieee_overflow 0
		.amdhsa_exception_fp_ieee_underflow 0
		.amdhsa_exception_fp_ieee_inexact 0
		.amdhsa_exception_int_div_zero 0
	.end_amdhsa_kernel
	.section	.text._ZL34rocblas_syrkx_herkx_general_kernelIifLi16ELi32ELi8ELb1ELb0ELc78ELc76EKPKfKPfEviT_T0_PT8_S5_lS8_S5_lS6_PT9_S5_li,"axG",@progbits,_ZL34rocblas_syrkx_herkx_general_kernelIifLi16ELi32ELi8ELb1ELb0ELc78ELc76EKPKfKPfEviT_T0_PT8_S5_lS8_S5_lS6_PT9_S5_li,comdat
.Lfunc_end526:
	.size	_ZL34rocblas_syrkx_herkx_general_kernelIifLi16ELi32ELi8ELb1ELb0ELc78ELc76EKPKfKPfEviT_T0_PT8_S5_lS8_S5_lS6_PT9_S5_li, .Lfunc_end526-_ZL34rocblas_syrkx_herkx_general_kernelIifLi16ELi32ELi8ELb1ELb0ELc78ELc76EKPKfKPfEviT_T0_PT8_S5_lS8_S5_lS6_PT9_S5_li
                                        ; -- End function
	.set _ZL34rocblas_syrkx_herkx_general_kernelIifLi16ELi32ELi8ELb1ELb0ELc78ELc76EKPKfKPfEviT_T0_PT8_S5_lS8_S5_lS6_PT9_S5_li.num_vgpr, 36
	.set _ZL34rocblas_syrkx_herkx_general_kernelIifLi16ELi32ELi8ELb1ELb0ELc78ELc76EKPKfKPfEviT_T0_PT8_S5_lS8_S5_lS6_PT9_S5_li.num_agpr, 0
	.set _ZL34rocblas_syrkx_herkx_general_kernelIifLi16ELi32ELi8ELb1ELb0ELc78ELc76EKPKfKPfEviT_T0_PT8_S5_lS8_S5_lS6_PT9_S5_li.numbered_sgpr, 22
	.set _ZL34rocblas_syrkx_herkx_general_kernelIifLi16ELi32ELi8ELb1ELb0ELc78ELc76EKPKfKPfEviT_T0_PT8_S5_lS8_S5_lS6_PT9_S5_li.num_named_barrier, 0
	.set _ZL34rocblas_syrkx_herkx_general_kernelIifLi16ELi32ELi8ELb1ELb0ELc78ELc76EKPKfKPfEviT_T0_PT8_S5_lS8_S5_lS6_PT9_S5_li.private_seg_size, 0
	.set _ZL34rocblas_syrkx_herkx_general_kernelIifLi16ELi32ELi8ELb1ELb0ELc78ELc76EKPKfKPfEviT_T0_PT8_S5_lS8_S5_lS6_PT9_S5_li.uses_vcc, 1
	.set _ZL34rocblas_syrkx_herkx_general_kernelIifLi16ELi32ELi8ELb1ELb0ELc78ELc76EKPKfKPfEviT_T0_PT8_S5_lS8_S5_lS6_PT9_S5_li.uses_flat_scratch, 0
	.set _ZL34rocblas_syrkx_herkx_general_kernelIifLi16ELi32ELi8ELb1ELb0ELc78ELc76EKPKfKPfEviT_T0_PT8_S5_lS8_S5_lS6_PT9_S5_li.has_dyn_sized_stack, 0
	.set _ZL34rocblas_syrkx_herkx_general_kernelIifLi16ELi32ELi8ELb1ELb0ELc78ELc76EKPKfKPfEviT_T0_PT8_S5_lS8_S5_lS6_PT9_S5_li.has_recursion, 0
	.set _ZL34rocblas_syrkx_herkx_general_kernelIifLi16ELi32ELi8ELb1ELb0ELc78ELc76EKPKfKPfEviT_T0_PT8_S5_lS8_S5_lS6_PT9_S5_li.has_indirect_call, 0
	.section	.AMDGPU.csdata,"",@progbits
; Kernel info:
; codeLenInByte = 1184
; TotalNumSgprs: 26
; NumVgprs: 36
; ScratchSize: 0
; MemoryBound: 0
; FloatMode: 240
; IeeeMode: 1
; LDSByteSize: 2048 bytes/workgroup (compile time only)
; SGPRBlocks: 3
; VGPRBlocks: 8
; NumSGPRsForWavesPerEU: 26
; NumVGPRsForWavesPerEU: 36
; Occupancy: 7
; WaveLimiterHint : 1
; COMPUTE_PGM_RSRC2:SCRATCH_EN: 0
; COMPUTE_PGM_RSRC2:USER_SGPR: 6
; COMPUTE_PGM_RSRC2:TRAP_HANDLER: 0
; COMPUTE_PGM_RSRC2:TGID_X_EN: 1
; COMPUTE_PGM_RSRC2:TGID_Y_EN: 1
; COMPUTE_PGM_RSRC2:TGID_Z_EN: 1
; COMPUTE_PGM_RSRC2:TIDIG_COMP_CNT: 1
	.section	.text._ZL34rocblas_syrkx_herkx_general_kernelIifLi16ELi32ELi8ELb1ELb0ELc84ELc85EKPKfKPfEviT_T0_PT8_S5_lS8_S5_lS6_PT9_S5_li,"axG",@progbits,_ZL34rocblas_syrkx_herkx_general_kernelIifLi16ELi32ELi8ELb1ELb0ELc84ELc85EKPKfKPfEviT_T0_PT8_S5_lS8_S5_lS6_PT9_S5_li,comdat
	.globl	_ZL34rocblas_syrkx_herkx_general_kernelIifLi16ELi32ELi8ELb1ELb0ELc84ELc85EKPKfKPfEviT_T0_PT8_S5_lS8_S5_lS6_PT9_S5_li ; -- Begin function _ZL34rocblas_syrkx_herkx_general_kernelIifLi16ELi32ELi8ELb1ELb0ELc84ELc85EKPKfKPfEviT_T0_PT8_S5_lS8_S5_lS6_PT9_S5_li
	.p2align	8
	.type	_ZL34rocblas_syrkx_herkx_general_kernelIifLi16ELi32ELi8ELb1ELb0ELc84ELc85EKPKfKPfEviT_T0_PT8_S5_lS8_S5_lS6_PT9_S5_li,@function
_ZL34rocblas_syrkx_herkx_general_kernelIifLi16ELi32ELi8ELb1ELb0ELc84ELc85EKPKfKPfEviT_T0_PT8_S5_lS8_S5_lS6_PT9_S5_li: ; @_ZL34rocblas_syrkx_herkx_general_kernelIifLi16ELi32ELi8ELb1ELb0ELc84ELc85EKPKfKPfEviT_T0_PT8_S5_lS8_S5_lS6_PT9_S5_li
; %bb.0:
	s_load_dwordx2 s[2:3], s[4:5], 0x48
	s_load_dwordx4 s[12:15], s[4:5], 0x0
	s_mov_b32 s9, 0
	s_lshl_b64 s[0:1], s[8:9], 3
	s_waitcnt lgkmcnt(0)
	s_add_u32 s2, s2, s0
	s_addc_u32 s3, s3, s1
	s_load_dwordx2 s[10:11], s[2:3], 0x0
	s_lshl_b32 s6, s6, 5
	s_lshl_b32 s7, s7, 5
	s_cmp_lt_i32 s13, 1
	s_cbranch_scc1 .LBB527_7
; %bb.1:
	s_load_dwordx2 s[2:3], s[4:5], 0x10
	s_load_dword s8, s[4:5], 0x18
	s_load_dwordx2 s[16:17], s[4:5], 0x28
	s_load_dword s15, s[4:5], 0x30
	v_lshl_add_u32 v2, v1, 4, v0
	v_and_b32_e32 v9, 7, v0
	v_lshrrev_b32_e32 v10, 5, v2
	v_lshrrev_b32_e32 v3, 3, v2
	v_and_b32_e32 v2, 31, v2
	s_waitcnt lgkmcnt(0)
	s_add_u32 s16, s16, s0
	v_or_b32_e32 v5, s6, v2
	s_addc_u32 s17, s17, s1
	v_lshlrev_b32_e32 v7, 2, v9
	v_add_u32_e32 v4, s7, v3
	s_add_u32 s0, s2, s0
	v_cmp_gt_i32_e32 vcc, s12, v5
	v_lshlrev_b32_e32 v5, 2, v2
	v_lshl_or_b32 v3, v3, 5, v7
	v_add_u32_e32 v2, s6, v2
	s_addc_u32 s1, s3, s1
	v_add_u32_e32 v13, 0x400, v3
	v_mad_i64_i32 v[2:3], s[2:3], s8, v2, 0
	v_lshl_or_b32 v11, v10, 7, v5
	v_mov_b32_e32 v5, 0x400
	v_lshlrev_b64 v[2:3], 2, v[2:3]
	v_lshl_add_u32 v15, v1, 5, v5
	v_lshlrev_b32_e32 v5, 2, v10
	s_load_dwordx2 s[18:19], s[0:1], 0x0
	v_add_co_u32_e64 v2, s[2:3], v2, v5
	v_cmp_gt_i32_e64 s[0:1], s12, v4
	v_addc_co_u32_e64 v3, s[2:3], 0, v3, s[2:3]
	v_mad_i64_i32 v[4:5], s[2:3], s15, v4, 0
	s_load_dwordx2 s[16:17], s[16:17], 0x0
	s_waitcnt lgkmcnt(0)
	v_mov_b32_e32 v8, s19
	v_add_co_u32_e64 v2, s[2:3], s18, v2
	v_lshlrev_b64 v[4:5], 2, v[4:5]
	v_addc_co_u32_e64 v3, s[2:3], v8, v3, s[2:3]
	v_add_co_u32_e64 v4, s[2:3], v4, v7
	v_addc_co_u32_e64 v5, s[2:3], 0, v5, s[2:3]
	v_mov_b32_e32 v7, s17
	v_add_co_u32_e64 v4, s[2:3], s16, v4
	v_lshlrev_b32_e32 v14, 2, v0
	v_mov_b32_e32 v6, 0
	v_addc_co_u32_e64 v5, s[2:3], v7, v5, s[2:3]
	v_mov_b32_e32 v7, 0
	v_mov_b32_e32 v8, 0
	;; [unrolled: 1-line block ×3, first 2 shown]
	s_branch .LBB527_3
.LBB527_2:                              ;   in Loop: Header=BB527_3 Depth=1
	s_or_b64 exec, exec, s[2:3]
	s_waitcnt vmcnt(0) lgkmcnt(0)
	ds_write_b32 v13, v16
	s_waitcnt lgkmcnt(0)
	s_barrier
	ds_read2_b32 v[28:29], v14 offset1:16
	ds_read_b128 v[16:19], v15
	ds_read2_b32 v[30:31], v14 offset0:32 offset1:48
	ds_read2_b32 v[32:33], v14 offset0:64 offset1:80
	ds_read_b128 v[20:23], v15 offset:16
	ds_read2_b32 v[34:35], v14 offset0:96 offset1:112
	s_waitcnt lgkmcnt(4)
	v_fmac_f32_e32 v12, v28, v16
	v_fmac_f32_e32 v8, v29, v16
	s_waitcnt lgkmcnt(3)
	v_fmac_f32_e32 v12, v30, v17
	v_fmac_f32_e32 v8, v31, v17
	;; [unrolled: 3-line block ×4, first 2 shown]
	ds_read_b128 v[16:19], v15 offset:512
	ds_read_b128 v[24:27], v15 offset:528
	v_add_co_u32_e64 v2, s[2:3], 32, v2
	v_addc_co_u32_e64 v3, s[2:3], 0, v3, s[2:3]
	s_waitcnt lgkmcnt(1)
	v_fmac_f32_e32 v7, v28, v16
	v_fmac_f32_e32 v6, v29, v16
	;; [unrolled: 1-line block ×4, first 2 shown]
	ds_read2_b32 v[16:17], v14 offset0:128 offset1:144
	v_fmac_f32_e32 v7, v32, v18
	v_fmac_f32_e32 v6, v33, v18
	;; [unrolled: 1-line block ×4, first 2 shown]
	ds_read2_b32 v[18:19], v14 offset0:160 offset1:176
	ds_read2_b32 v[28:29], v14 offset0:192 offset1:208
	;; [unrolled: 1-line block ×3, first 2 shown]
	s_waitcnt lgkmcnt(3)
	v_fmac_f32_e32 v12, v16, v20
	v_fmac_f32_e32 v8, v17, v20
	v_fmac_f32_e32 v7, v16, v24
	v_fmac_f32_e32 v6, v17, v24
	s_waitcnt lgkmcnt(2)
	v_fmac_f32_e32 v12, v18, v21
	v_fmac_f32_e32 v8, v19, v21
	v_fmac_f32_e32 v7, v18, v25
	v_fmac_f32_e32 v6, v19, v25
	;; [unrolled: 5-line block ×3, first 2 shown]
	s_add_i32 s9, s9, 8
	v_add_co_u32_e64 v4, s[2:3], 32, v4
	s_waitcnt lgkmcnt(0)
	v_fmac_f32_e32 v12, v30, v23
	v_fmac_f32_e32 v8, v31, v23
	;; [unrolled: 1-line block ×4, first 2 shown]
	s_cmp_ge_i32 s9, s13
	v_addc_co_u32_e64 v5, s[2:3], 0, v5, s[2:3]
	s_barrier
	s_cbranch_scc1 .LBB527_8
.LBB527_3:                              ; =>This Inner Loop Header: Depth=1
	v_add_u32_e32 v16, s9, v10
	v_cmp_gt_i32_e64 s[2:3], s13, v16
	s_and_b64 s[16:17], vcc, s[2:3]
	v_mov_b32_e32 v16, 0
	s_and_saveexec_b64 s[2:3], s[16:17]
	s_cbranch_execz .LBB527_5
; %bb.4:                                ;   in Loop: Header=BB527_3 Depth=1
	flat_load_dword v16, v[2:3]
.LBB527_5:                              ;   in Loop: Header=BB527_3 Depth=1
	s_or_b64 exec, exec, s[2:3]
	s_waitcnt vmcnt(0) lgkmcnt(0)
	ds_write_b32 v11, v16
	v_add_u32_e32 v16, s9, v9
	v_cmp_gt_i32_e64 s[2:3], s13, v16
	s_and_b64 s[16:17], s[2:3], s[0:1]
	v_mov_b32_e32 v16, 0
	s_and_saveexec_b64 s[2:3], s[16:17]
	s_cbranch_execz .LBB527_2
; %bb.6:                                ;   in Loop: Header=BB527_3 Depth=1
	flat_load_dword v16, v[4:5]
	s_branch .LBB527_2
.LBB527_7:
	v_mov_b32_e32 v12, 0
	v_mov_b32_e32 v8, 0
	;; [unrolled: 1-line block ×4, first 2 shown]
.LBB527_8:
	s_load_dword s4, s[4:5], 0x50
	v_add_u32_e32 v4, s7, v1
	s_waitcnt lgkmcnt(0)
	v_mov_b32_e32 v3, s11
	v_add_u32_e32 v0, s6, v0
	v_cmp_gt_i32_e32 vcc, s12, v4
	v_mad_i64_i32 v[1:2], s[0:1], v4, s4, 0
	v_lshlrev_b64 v[1:2], 2, v[1:2]
	v_add_co_u32_e64 v5, s[0:1], s10, v1
	v_addc_co_u32_e64 v9, s[0:1], v3, v2, s[0:1]
	v_cmp_le_i32_e64 s[0:1], v0, v4
	s_and_b64 s[0:1], vcc, s[0:1]
	s_and_saveexec_b64 s[2:3], s[0:1]
	s_cbranch_execz .LBB527_10
; %bb.9:
	v_ashrrev_i32_e32 v1, 31, v0
	v_lshlrev_b64 v[1:2], 2, v[0:1]
	v_mul_f32_e32 v3, s14, v12
	v_add_co_u32_e64 v1, s[0:1], v5, v1
	v_addc_co_u32_e64 v2, s[0:1], v9, v2, s[0:1]
	flat_store_dword v[1:2], v3
.LBB527_10:
	s_or_b64 exec, exec, s[2:3]
	v_add_u32_e32 v2, 16, v0
	v_cmp_le_i32_e64 s[0:1], v2, v4
	s_and_b64 s[2:3], vcc, s[0:1]
	s_and_saveexec_b64 s[0:1], s[2:3]
	s_cbranch_execz .LBB527_12
; %bb.11:
	v_ashrrev_i32_e32 v3, 31, v2
	v_lshlrev_b64 v[10:11], 2, v[2:3]
	v_mul_f32_e32 v1, s14, v8
	v_add_co_u32_e32 v8, vcc, v5, v10
	v_addc_co_u32_e32 v9, vcc, v9, v11, vcc
	flat_store_dword v[8:9], v1
.LBB527_12:
	s_or_b64 exec, exec, s[0:1]
	v_add_u32_e32 v3, 16, v4
	v_mad_i64_i32 v[4:5], s[0:1], v3, s4, 0
	v_mov_b32_e32 v1, s11
	v_cmp_gt_i32_e32 vcc, s12, v3
	v_lshlrev_b64 v[4:5], 2, v[4:5]
	v_add_co_u32_e64 v4, s[0:1], s10, v4
	v_addc_co_u32_e64 v5, s[0:1], v1, v5, s[0:1]
	v_cmp_le_i32_e64 s[0:1], v0, v3
	s_and_b64 s[0:1], vcc, s[0:1]
	s_and_saveexec_b64 s[2:3], s[0:1]
	s_cbranch_execz .LBB527_14
; %bb.13:
	v_ashrrev_i32_e32 v1, 31, v0
	v_lshlrev_b64 v[0:1], 2, v[0:1]
	v_mul_f32_e32 v7, s14, v7
	v_add_co_u32_e64 v0, s[0:1], v4, v0
	v_addc_co_u32_e64 v1, s[0:1], v5, v1, s[0:1]
	flat_store_dword v[0:1], v7
.LBB527_14:
	s_or_b64 exec, exec, s[2:3]
	v_cmp_le_i32_e64 s[0:1], v2, v3
	s_and_b64 s[0:1], vcc, s[0:1]
	s_and_saveexec_b64 s[2:3], s[0:1]
	s_cbranch_execz .LBB527_16
; %bb.15:
	v_ashrrev_i32_e32 v3, 31, v2
	v_lshlrev_b64 v[0:1], 2, v[2:3]
	v_mul_f32_e32 v6, s14, v6
	v_add_co_u32_e32 v0, vcc, v4, v0
	v_addc_co_u32_e32 v1, vcc, v5, v1, vcc
	flat_store_dword v[0:1], v6
.LBB527_16:
	s_endpgm
	.section	.rodata,"a",@progbits
	.p2align	6, 0x0
	.amdhsa_kernel _ZL34rocblas_syrkx_herkx_general_kernelIifLi16ELi32ELi8ELb1ELb0ELc84ELc85EKPKfKPfEviT_T0_PT8_S5_lS8_S5_lS6_PT9_S5_li
		.amdhsa_group_segment_fixed_size 2048
		.amdhsa_private_segment_fixed_size 0
		.amdhsa_kernarg_size 100
		.amdhsa_user_sgpr_count 6
		.amdhsa_user_sgpr_private_segment_buffer 1
		.amdhsa_user_sgpr_dispatch_ptr 0
		.amdhsa_user_sgpr_queue_ptr 0
		.amdhsa_user_sgpr_kernarg_segment_ptr 1
		.amdhsa_user_sgpr_dispatch_id 0
		.amdhsa_user_sgpr_flat_scratch_init 0
		.amdhsa_user_sgpr_private_segment_size 0
		.amdhsa_uses_dynamic_stack 0
		.amdhsa_system_sgpr_private_segment_wavefront_offset 0
		.amdhsa_system_sgpr_workgroup_id_x 1
		.amdhsa_system_sgpr_workgroup_id_y 1
		.amdhsa_system_sgpr_workgroup_id_z 1
		.amdhsa_system_sgpr_workgroup_info 0
		.amdhsa_system_vgpr_workitem_id 1
		.amdhsa_next_free_vgpr 36
		.amdhsa_next_free_sgpr 20
		.amdhsa_reserve_vcc 1
		.amdhsa_reserve_flat_scratch 0
		.amdhsa_float_round_mode_32 0
		.amdhsa_float_round_mode_16_64 0
		.amdhsa_float_denorm_mode_32 3
		.amdhsa_float_denorm_mode_16_64 3
		.amdhsa_dx10_clamp 1
		.amdhsa_ieee_mode 1
		.amdhsa_fp16_overflow 0
		.amdhsa_exception_fp_ieee_invalid_op 0
		.amdhsa_exception_fp_denorm_src 0
		.amdhsa_exception_fp_ieee_div_zero 0
		.amdhsa_exception_fp_ieee_overflow 0
		.amdhsa_exception_fp_ieee_underflow 0
		.amdhsa_exception_fp_ieee_inexact 0
		.amdhsa_exception_int_div_zero 0
	.end_amdhsa_kernel
	.section	.text._ZL34rocblas_syrkx_herkx_general_kernelIifLi16ELi32ELi8ELb1ELb0ELc84ELc85EKPKfKPfEviT_T0_PT8_S5_lS8_S5_lS6_PT9_S5_li,"axG",@progbits,_ZL34rocblas_syrkx_herkx_general_kernelIifLi16ELi32ELi8ELb1ELb0ELc84ELc85EKPKfKPfEviT_T0_PT8_S5_lS8_S5_lS6_PT9_S5_li,comdat
.Lfunc_end527:
	.size	_ZL34rocblas_syrkx_herkx_general_kernelIifLi16ELi32ELi8ELb1ELb0ELc84ELc85EKPKfKPfEviT_T0_PT8_S5_lS8_S5_lS6_PT9_S5_li, .Lfunc_end527-_ZL34rocblas_syrkx_herkx_general_kernelIifLi16ELi32ELi8ELb1ELb0ELc84ELc85EKPKfKPfEviT_T0_PT8_S5_lS8_S5_lS6_PT9_S5_li
                                        ; -- End function
	.set _ZL34rocblas_syrkx_herkx_general_kernelIifLi16ELi32ELi8ELb1ELb0ELc84ELc85EKPKfKPfEviT_T0_PT8_S5_lS8_S5_lS6_PT9_S5_li.num_vgpr, 36
	.set _ZL34rocblas_syrkx_herkx_general_kernelIifLi16ELi32ELi8ELb1ELb0ELc84ELc85EKPKfKPfEviT_T0_PT8_S5_lS8_S5_lS6_PT9_S5_li.num_agpr, 0
	.set _ZL34rocblas_syrkx_herkx_general_kernelIifLi16ELi32ELi8ELb1ELb0ELc84ELc85EKPKfKPfEviT_T0_PT8_S5_lS8_S5_lS6_PT9_S5_li.numbered_sgpr, 20
	.set _ZL34rocblas_syrkx_herkx_general_kernelIifLi16ELi32ELi8ELb1ELb0ELc84ELc85EKPKfKPfEviT_T0_PT8_S5_lS8_S5_lS6_PT9_S5_li.num_named_barrier, 0
	.set _ZL34rocblas_syrkx_herkx_general_kernelIifLi16ELi32ELi8ELb1ELb0ELc84ELc85EKPKfKPfEviT_T0_PT8_S5_lS8_S5_lS6_PT9_S5_li.private_seg_size, 0
	.set _ZL34rocblas_syrkx_herkx_general_kernelIifLi16ELi32ELi8ELb1ELb0ELc84ELc85EKPKfKPfEviT_T0_PT8_S5_lS8_S5_lS6_PT9_S5_li.uses_vcc, 1
	.set _ZL34rocblas_syrkx_herkx_general_kernelIifLi16ELi32ELi8ELb1ELb0ELc84ELc85EKPKfKPfEviT_T0_PT8_S5_lS8_S5_lS6_PT9_S5_li.uses_flat_scratch, 0
	.set _ZL34rocblas_syrkx_herkx_general_kernelIifLi16ELi32ELi8ELb1ELb0ELc84ELc85EKPKfKPfEviT_T0_PT8_S5_lS8_S5_lS6_PT9_S5_li.has_dyn_sized_stack, 0
	.set _ZL34rocblas_syrkx_herkx_general_kernelIifLi16ELi32ELi8ELb1ELb0ELc84ELc85EKPKfKPfEviT_T0_PT8_S5_lS8_S5_lS6_PT9_S5_li.has_recursion, 0
	.set _ZL34rocblas_syrkx_herkx_general_kernelIifLi16ELi32ELi8ELb1ELb0ELc84ELc85EKPKfKPfEviT_T0_PT8_S5_lS8_S5_lS6_PT9_S5_li.has_indirect_call, 0
	.section	.AMDGPU.csdata,"",@progbits
; Kernel info:
; codeLenInByte = 1148
; TotalNumSgprs: 24
; NumVgprs: 36
; ScratchSize: 0
; MemoryBound: 0
; FloatMode: 240
; IeeeMode: 1
; LDSByteSize: 2048 bytes/workgroup (compile time only)
; SGPRBlocks: 2
; VGPRBlocks: 8
; NumSGPRsForWavesPerEU: 24
; NumVGPRsForWavesPerEU: 36
; Occupancy: 7
; WaveLimiterHint : 1
; COMPUTE_PGM_RSRC2:SCRATCH_EN: 0
; COMPUTE_PGM_RSRC2:USER_SGPR: 6
; COMPUTE_PGM_RSRC2:TRAP_HANDLER: 0
; COMPUTE_PGM_RSRC2:TGID_X_EN: 1
; COMPUTE_PGM_RSRC2:TGID_Y_EN: 1
; COMPUTE_PGM_RSRC2:TGID_Z_EN: 1
; COMPUTE_PGM_RSRC2:TIDIG_COMP_CNT: 1
	.section	.text._ZL34rocblas_syrkx_herkx_general_kernelIifLi16ELi32ELi8ELb1ELb0ELc67ELc85EKPKfKPfEviT_T0_PT8_S5_lS8_S5_lS6_PT9_S5_li,"axG",@progbits,_ZL34rocblas_syrkx_herkx_general_kernelIifLi16ELi32ELi8ELb1ELb0ELc67ELc85EKPKfKPfEviT_T0_PT8_S5_lS8_S5_lS6_PT9_S5_li,comdat
	.globl	_ZL34rocblas_syrkx_herkx_general_kernelIifLi16ELi32ELi8ELb1ELb0ELc67ELc85EKPKfKPfEviT_T0_PT8_S5_lS8_S5_lS6_PT9_S5_li ; -- Begin function _ZL34rocblas_syrkx_herkx_general_kernelIifLi16ELi32ELi8ELb1ELb0ELc67ELc85EKPKfKPfEviT_T0_PT8_S5_lS8_S5_lS6_PT9_S5_li
	.p2align	8
	.type	_ZL34rocblas_syrkx_herkx_general_kernelIifLi16ELi32ELi8ELb1ELb0ELc67ELc85EKPKfKPfEviT_T0_PT8_S5_lS8_S5_lS6_PT9_S5_li,@function
_ZL34rocblas_syrkx_herkx_general_kernelIifLi16ELi32ELi8ELb1ELb0ELc67ELc85EKPKfKPfEviT_T0_PT8_S5_lS8_S5_lS6_PT9_S5_li: ; @_ZL34rocblas_syrkx_herkx_general_kernelIifLi16ELi32ELi8ELb1ELb0ELc67ELc85EKPKfKPfEviT_T0_PT8_S5_lS8_S5_lS6_PT9_S5_li
; %bb.0:
	s_load_dwordx2 s[2:3], s[4:5], 0x48
	s_load_dwordx4 s[12:15], s[4:5], 0x0
	s_mov_b32 s9, 0
	s_lshl_b64 s[0:1], s[8:9], 3
	s_waitcnt lgkmcnt(0)
	s_add_u32 s2, s2, s0
	s_addc_u32 s3, s3, s1
	s_load_dwordx2 s[10:11], s[2:3], 0x0
	s_lshl_b32 s6, s6, 5
	s_lshl_b32 s7, s7, 5
	s_cmp_lt_i32 s13, 1
	s_cbranch_scc1 .LBB528_7
; %bb.1:
	s_load_dwordx2 s[2:3], s[4:5], 0x10
	s_load_dword s8, s[4:5], 0x18
	s_load_dwordx2 s[16:17], s[4:5], 0x28
	s_load_dword s15, s[4:5], 0x30
	v_lshl_add_u32 v2, v1, 4, v0
	v_and_b32_e32 v9, 7, v0
	v_lshrrev_b32_e32 v10, 5, v2
	v_lshrrev_b32_e32 v3, 3, v2
	v_and_b32_e32 v2, 31, v2
	s_waitcnt lgkmcnt(0)
	s_add_u32 s16, s16, s0
	v_or_b32_e32 v5, s6, v2
	s_addc_u32 s17, s17, s1
	v_lshlrev_b32_e32 v7, 2, v9
	v_add_u32_e32 v4, s7, v3
	s_add_u32 s0, s2, s0
	v_cmp_gt_i32_e32 vcc, s12, v5
	v_lshlrev_b32_e32 v5, 2, v2
	v_lshl_or_b32 v3, v3, 5, v7
	v_add_u32_e32 v2, s6, v2
	s_addc_u32 s1, s3, s1
	v_add_u32_e32 v13, 0x400, v3
	v_mad_i64_i32 v[2:3], s[2:3], s8, v2, 0
	v_lshl_or_b32 v11, v10, 7, v5
	v_mov_b32_e32 v5, 0x400
	v_lshlrev_b64 v[2:3], 2, v[2:3]
	v_lshl_add_u32 v15, v1, 5, v5
	v_lshlrev_b32_e32 v5, 2, v10
	s_load_dwordx2 s[18:19], s[0:1], 0x0
	v_add_co_u32_e64 v2, s[2:3], v2, v5
	v_cmp_gt_i32_e64 s[0:1], s12, v4
	v_addc_co_u32_e64 v3, s[2:3], 0, v3, s[2:3]
	v_mad_i64_i32 v[4:5], s[2:3], s15, v4, 0
	s_load_dwordx2 s[16:17], s[16:17], 0x0
	s_waitcnt lgkmcnt(0)
	v_mov_b32_e32 v8, s19
	v_add_co_u32_e64 v2, s[2:3], s18, v2
	v_lshlrev_b64 v[4:5], 2, v[4:5]
	v_addc_co_u32_e64 v3, s[2:3], v8, v3, s[2:3]
	v_add_co_u32_e64 v4, s[2:3], v4, v7
	v_addc_co_u32_e64 v5, s[2:3], 0, v5, s[2:3]
	v_mov_b32_e32 v7, s17
	v_add_co_u32_e64 v4, s[2:3], s16, v4
	v_lshlrev_b32_e32 v14, 2, v0
	v_mov_b32_e32 v6, 0
	v_addc_co_u32_e64 v5, s[2:3], v7, v5, s[2:3]
	v_mov_b32_e32 v7, 0
	v_mov_b32_e32 v8, 0
	;; [unrolled: 1-line block ×3, first 2 shown]
	s_branch .LBB528_3
.LBB528_2:                              ;   in Loop: Header=BB528_3 Depth=1
	s_or_b64 exec, exec, s[2:3]
	s_waitcnt vmcnt(0) lgkmcnt(0)
	ds_write_b32 v13, v16
	s_waitcnt lgkmcnt(0)
	s_barrier
	ds_read2_b32 v[28:29], v14 offset1:16
	ds_read_b128 v[16:19], v15
	ds_read2_b32 v[30:31], v14 offset0:32 offset1:48
	ds_read2_b32 v[32:33], v14 offset0:64 offset1:80
	ds_read_b128 v[20:23], v15 offset:16
	ds_read2_b32 v[34:35], v14 offset0:96 offset1:112
	s_waitcnt lgkmcnt(4)
	v_fmac_f32_e32 v12, v28, v16
	v_fmac_f32_e32 v8, v29, v16
	s_waitcnt lgkmcnt(3)
	v_fmac_f32_e32 v12, v30, v17
	v_fmac_f32_e32 v8, v31, v17
	;; [unrolled: 3-line block ×4, first 2 shown]
	ds_read_b128 v[16:19], v15 offset:512
	ds_read_b128 v[24:27], v15 offset:528
	v_add_co_u32_e64 v2, s[2:3], 32, v2
	v_addc_co_u32_e64 v3, s[2:3], 0, v3, s[2:3]
	s_waitcnt lgkmcnt(1)
	v_fmac_f32_e32 v7, v28, v16
	v_fmac_f32_e32 v6, v29, v16
	;; [unrolled: 1-line block ×4, first 2 shown]
	ds_read2_b32 v[16:17], v14 offset0:128 offset1:144
	v_fmac_f32_e32 v7, v32, v18
	v_fmac_f32_e32 v6, v33, v18
	;; [unrolled: 1-line block ×4, first 2 shown]
	ds_read2_b32 v[18:19], v14 offset0:160 offset1:176
	ds_read2_b32 v[28:29], v14 offset0:192 offset1:208
	ds_read2_b32 v[30:31], v14 offset0:224 offset1:240
	s_waitcnt lgkmcnt(3)
	v_fmac_f32_e32 v12, v16, v20
	v_fmac_f32_e32 v8, v17, v20
	v_fmac_f32_e32 v7, v16, v24
	v_fmac_f32_e32 v6, v17, v24
	s_waitcnt lgkmcnt(2)
	v_fmac_f32_e32 v12, v18, v21
	v_fmac_f32_e32 v8, v19, v21
	v_fmac_f32_e32 v7, v18, v25
	v_fmac_f32_e32 v6, v19, v25
	;; [unrolled: 5-line block ×3, first 2 shown]
	s_add_i32 s9, s9, 8
	v_add_co_u32_e64 v4, s[2:3], 32, v4
	s_waitcnt lgkmcnt(0)
	v_fmac_f32_e32 v12, v30, v23
	v_fmac_f32_e32 v8, v31, v23
	;; [unrolled: 1-line block ×4, first 2 shown]
	s_cmp_ge_i32 s9, s13
	v_addc_co_u32_e64 v5, s[2:3], 0, v5, s[2:3]
	s_barrier
	s_cbranch_scc1 .LBB528_8
.LBB528_3:                              ; =>This Inner Loop Header: Depth=1
	v_add_u32_e32 v16, s9, v10
	v_cmp_gt_i32_e64 s[2:3], s13, v16
	s_and_b64 s[16:17], vcc, s[2:3]
	v_mov_b32_e32 v16, 0
	s_and_saveexec_b64 s[2:3], s[16:17]
	s_cbranch_execz .LBB528_5
; %bb.4:                                ;   in Loop: Header=BB528_3 Depth=1
	flat_load_dword v16, v[2:3]
.LBB528_5:                              ;   in Loop: Header=BB528_3 Depth=1
	s_or_b64 exec, exec, s[2:3]
	s_waitcnt vmcnt(0) lgkmcnt(0)
	ds_write_b32 v11, v16
	v_add_u32_e32 v16, s9, v9
	v_cmp_gt_i32_e64 s[2:3], s13, v16
	s_and_b64 s[16:17], s[2:3], s[0:1]
	v_mov_b32_e32 v16, 0
	s_and_saveexec_b64 s[2:3], s[16:17]
	s_cbranch_execz .LBB528_2
; %bb.6:                                ;   in Loop: Header=BB528_3 Depth=1
	flat_load_dword v16, v[4:5]
	s_branch .LBB528_2
.LBB528_7:
	v_mov_b32_e32 v12, 0
	v_mov_b32_e32 v8, 0
	;; [unrolled: 1-line block ×4, first 2 shown]
.LBB528_8:
	s_load_dword s4, s[4:5], 0x50
	v_add_u32_e32 v4, s7, v1
	s_waitcnt lgkmcnt(0)
	v_mov_b32_e32 v3, s11
	v_add_u32_e32 v0, s6, v0
	v_cmp_gt_i32_e32 vcc, s12, v4
	v_mad_i64_i32 v[1:2], s[0:1], v4, s4, 0
	v_lshlrev_b64 v[1:2], 2, v[1:2]
	v_add_co_u32_e64 v5, s[0:1], s10, v1
	v_addc_co_u32_e64 v9, s[0:1], v3, v2, s[0:1]
	v_cmp_le_i32_e64 s[0:1], v0, v4
	s_and_b64 s[0:1], vcc, s[0:1]
	s_and_saveexec_b64 s[2:3], s[0:1]
	s_cbranch_execz .LBB528_10
; %bb.9:
	v_ashrrev_i32_e32 v1, 31, v0
	v_lshlrev_b64 v[1:2], 2, v[0:1]
	v_mul_f32_e32 v3, s14, v12
	v_add_co_u32_e64 v1, s[0:1], v5, v1
	v_addc_co_u32_e64 v2, s[0:1], v9, v2, s[0:1]
	flat_store_dword v[1:2], v3
.LBB528_10:
	s_or_b64 exec, exec, s[2:3]
	v_add_u32_e32 v2, 16, v0
	v_cmp_le_i32_e64 s[0:1], v2, v4
	s_and_b64 s[2:3], vcc, s[0:1]
	s_and_saveexec_b64 s[0:1], s[2:3]
	s_cbranch_execz .LBB528_12
; %bb.11:
	v_ashrrev_i32_e32 v3, 31, v2
	v_lshlrev_b64 v[10:11], 2, v[2:3]
	v_mul_f32_e32 v1, s14, v8
	v_add_co_u32_e32 v8, vcc, v5, v10
	v_addc_co_u32_e32 v9, vcc, v9, v11, vcc
	flat_store_dword v[8:9], v1
.LBB528_12:
	s_or_b64 exec, exec, s[0:1]
	v_add_u32_e32 v3, 16, v4
	v_mad_i64_i32 v[4:5], s[0:1], v3, s4, 0
	v_mov_b32_e32 v1, s11
	v_cmp_gt_i32_e32 vcc, s12, v3
	v_lshlrev_b64 v[4:5], 2, v[4:5]
	v_add_co_u32_e64 v4, s[0:1], s10, v4
	v_addc_co_u32_e64 v5, s[0:1], v1, v5, s[0:1]
	v_cmp_le_i32_e64 s[0:1], v0, v3
	s_and_b64 s[0:1], vcc, s[0:1]
	s_and_saveexec_b64 s[2:3], s[0:1]
	s_cbranch_execz .LBB528_14
; %bb.13:
	v_ashrrev_i32_e32 v1, 31, v0
	v_lshlrev_b64 v[0:1], 2, v[0:1]
	v_mul_f32_e32 v7, s14, v7
	v_add_co_u32_e64 v0, s[0:1], v4, v0
	v_addc_co_u32_e64 v1, s[0:1], v5, v1, s[0:1]
	flat_store_dword v[0:1], v7
.LBB528_14:
	s_or_b64 exec, exec, s[2:3]
	v_cmp_le_i32_e64 s[0:1], v2, v3
	s_and_b64 s[0:1], vcc, s[0:1]
	s_and_saveexec_b64 s[2:3], s[0:1]
	s_cbranch_execz .LBB528_16
; %bb.15:
	v_ashrrev_i32_e32 v3, 31, v2
	v_lshlrev_b64 v[0:1], 2, v[2:3]
	v_mul_f32_e32 v6, s14, v6
	v_add_co_u32_e32 v0, vcc, v4, v0
	v_addc_co_u32_e32 v1, vcc, v5, v1, vcc
	flat_store_dword v[0:1], v6
.LBB528_16:
	s_endpgm
	.section	.rodata,"a",@progbits
	.p2align	6, 0x0
	.amdhsa_kernel _ZL34rocblas_syrkx_herkx_general_kernelIifLi16ELi32ELi8ELb1ELb0ELc67ELc85EKPKfKPfEviT_T0_PT8_S5_lS8_S5_lS6_PT9_S5_li
		.amdhsa_group_segment_fixed_size 2048
		.amdhsa_private_segment_fixed_size 0
		.amdhsa_kernarg_size 100
		.amdhsa_user_sgpr_count 6
		.amdhsa_user_sgpr_private_segment_buffer 1
		.amdhsa_user_sgpr_dispatch_ptr 0
		.amdhsa_user_sgpr_queue_ptr 0
		.amdhsa_user_sgpr_kernarg_segment_ptr 1
		.amdhsa_user_sgpr_dispatch_id 0
		.amdhsa_user_sgpr_flat_scratch_init 0
		.amdhsa_user_sgpr_private_segment_size 0
		.amdhsa_uses_dynamic_stack 0
		.amdhsa_system_sgpr_private_segment_wavefront_offset 0
		.amdhsa_system_sgpr_workgroup_id_x 1
		.amdhsa_system_sgpr_workgroup_id_y 1
		.amdhsa_system_sgpr_workgroup_id_z 1
		.amdhsa_system_sgpr_workgroup_info 0
		.amdhsa_system_vgpr_workitem_id 1
		.amdhsa_next_free_vgpr 36
		.amdhsa_next_free_sgpr 20
		.amdhsa_reserve_vcc 1
		.amdhsa_reserve_flat_scratch 0
		.amdhsa_float_round_mode_32 0
		.amdhsa_float_round_mode_16_64 0
		.amdhsa_float_denorm_mode_32 3
		.amdhsa_float_denorm_mode_16_64 3
		.amdhsa_dx10_clamp 1
		.amdhsa_ieee_mode 1
		.amdhsa_fp16_overflow 0
		.amdhsa_exception_fp_ieee_invalid_op 0
		.amdhsa_exception_fp_denorm_src 0
		.amdhsa_exception_fp_ieee_div_zero 0
		.amdhsa_exception_fp_ieee_overflow 0
		.amdhsa_exception_fp_ieee_underflow 0
		.amdhsa_exception_fp_ieee_inexact 0
		.amdhsa_exception_int_div_zero 0
	.end_amdhsa_kernel
	.section	.text._ZL34rocblas_syrkx_herkx_general_kernelIifLi16ELi32ELi8ELb1ELb0ELc67ELc85EKPKfKPfEviT_T0_PT8_S5_lS8_S5_lS6_PT9_S5_li,"axG",@progbits,_ZL34rocblas_syrkx_herkx_general_kernelIifLi16ELi32ELi8ELb1ELb0ELc67ELc85EKPKfKPfEviT_T0_PT8_S5_lS8_S5_lS6_PT9_S5_li,comdat
.Lfunc_end528:
	.size	_ZL34rocblas_syrkx_herkx_general_kernelIifLi16ELi32ELi8ELb1ELb0ELc67ELc85EKPKfKPfEviT_T0_PT8_S5_lS8_S5_lS6_PT9_S5_li, .Lfunc_end528-_ZL34rocblas_syrkx_herkx_general_kernelIifLi16ELi32ELi8ELb1ELb0ELc67ELc85EKPKfKPfEviT_T0_PT8_S5_lS8_S5_lS6_PT9_S5_li
                                        ; -- End function
	.set _ZL34rocblas_syrkx_herkx_general_kernelIifLi16ELi32ELi8ELb1ELb0ELc67ELc85EKPKfKPfEviT_T0_PT8_S5_lS8_S5_lS6_PT9_S5_li.num_vgpr, 36
	.set _ZL34rocblas_syrkx_herkx_general_kernelIifLi16ELi32ELi8ELb1ELb0ELc67ELc85EKPKfKPfEviT_T0_PT8_S5_lS8_S5_lS6_PT9_S5_li.num_agpr, 0
	.set _ZL34rocblas_syrkx_herkx_general_kernelIifLi16ELi32ELi8ELb1ELb0ELc67ELc85EKPKfKPfEviT_T0_PT8_S5_lS8_S5_lS6_PT9_S5_li.numbered_sgpr, 20
	.set _ZL34rocblas_syrkx_herkx_general_kernelIifLi16ELi32ELi8ELb1ELb0ELc67ELc85EKPKfKPfEviT_T0_PT8_S5_lS8_S5_lS6_PT9_S5_li.num_named_barrier, 0
	.set _ZL34rocblas_syrkx_herkx_general_kernelIifLi16ELi32ELi8ELb1ELb0ELc67ELc85EKPKfKPfEviT_T0_PT8_S5_lS8_S5_lS6_PT9_S5_li.private_seg_size, 0
	.set _ZL34rocblas_syrkx_herkx_general_kernelIifLi16ELi32ELi8ELb1ELb0ELc67ELc85EKPKfKPfEviT_T0_PT8_S5_lS8_S5_lS6_PT9_S5_li.uses_vcc, 1
	.set _ZL34rocblas_syrkx_herkx_general_kernelIifLi16ELi32ELi8ELb1ELb0ELc67ELc85EKPKfKPfEviT_T0_PT8_S5_lS8_S5_lS6_PT9_S5_li.uses_flat_scratch, 0
	.set _ZL34rocblas_syrkx_herkx_general_kernelIifLi16ELi32ELi8ELb1ELb0ELc67ELc85EKPKfKPfEviT_T0_PT8_S5_lS8_S5_lS6_PT9_S5_li.has_dyn_sized_stack, 0
	.set _ZL34rocblas_syrkx_herkx_general_kernelIifLi16ELi32ELi8ELb1ELb0ELc67ELc85EKPKfKPfEviT_T0_PT8_S5_lS8_S5_lS6_PT9_S5_li.has_recursion, 0
	.set _ZL34rocblas_syrkx_herkx_general_kernelIifLi16ELi32ELi8ELb1ELb0ELc67ELc85EKPKfKPfEviT_T0_PT8_S5_lS8_S5_lS6_PT9_S5_li.has_indirect_call, 0
	.section	.AMDGPU.csdata,"",@progbits
; Kernel info:
; codeLenInByte = 1148
; TotalNumSgprs: 24
; NumVgprs: 36
; ScratchSize: 0
; MemoryBound: 0
; FloatMode: 240
; IeeeMode: 1
; LDSByteSize: 2048 bytes/workgroup (compile time only)
; SGPRBlocks: 2
; VGPRBlocks: 8
; NumSGPRsForWavesPerEU: 24
; NumVGPRsForWavesPerEU: 36
; Occupancy: 7
; WaveLimiterHint : 1
; COMPUTE_PGM_RSRC2:SCRATCH_EN: 0
; COMPUTE_PGM_RSRC2:USER_SGPR: 6
; COMPUTE_PGM_RSRC2:TRAP_HANDLER: 0
; COMPUTE_PGM_RSRC2:TGID_X_EN: 1
; COMPUTE_PGM_RSRC2:TGID_Y_EN: 1
; COMPUTE_PGM_RSRC2:TGID_Z_EN: 1
; COMPUTE_PGM_RSRC2:TIDIG_COMP_CNT: 1
	.section	.text._ZL34rocblas_syrkx_herkx_general_kernelIifLi16ELi32ELi8ELb1ELb0ELc78ELc85EKPKfKPfEviT_T0_PT8_S5_lS8_S5_lS6_PT9_S5_li,"axG",@progbits,_ZL34rocblas_syrkx_herkx_general_kernelIifLi16ELi32ELi8ELb1ELb0ELc78ELc85EKPKfKPfEviT_T0_PT8_S5_lS8_S5_lS6_PT9_S5_li,comdat
	.globl	_ZL34rocblas_syrkx_herkx_general_kernelIifLi16ELi32ELi8ELb1ELb0ELc78ELc85EKPKfKPfEviT_T0_PT8_S5_lS8_S5_lS6_PT9_S5_li ; -- Begin function _ZL34rocblas_syrkx_herkx_general_kernelIifLi16ELi32ELi8ELb1ELb0ELc78ELc85EKPKfKPfEviT_T0_PT8_S5_lS8_S5_lS6_PT9_S5_li
	.p2align	8
	.type	_ZL34rocblas_syrkx_herkx_general_kernelIifLi16ELi32ELi8ELb1ELb0ELc78ELc85EKPKfKPfEviT_T0_PT8_S5_lS8_S5_lS6_PT9_S5_li,@function
_ZL34rocblas_syrkx_herkx_general_kernelIifLi16ELi32ELi8ELb1ELb0ELc78ELc85EKPKfKPfEviT_T0_PT8_S5_lS8_S5_lS6_PT9_S5_li: ; @_ZL34rocblas_syrkx_herkx_general_kernelIifLi16ELi32ELi8ELb1ELb0ELc78ELc85EKPKfKPfEviT_T0_PT8_S5_lS8_S5_lS6_PT9_S5_li
; %bb.0:
	s_load_dwordx2 s[2:3], s[4:5], 0x48
	s_load_dwordx4 s[12:15], s[4:5], 0x0
	s_mov_b32 s9, 0
	s_lshl_b64 s[0:1], s[8:9], 3
	s_waitcnt lgkmcnt(0)
	s_add_u32 s2, s2, s0
	s_addc_u32 s3, s3, s1
	s_load_dwordx2 s[10:11], s[2:3], 0x0
	s_lshl_b32 s8, s6, 5
	s_lshl_b32 s15, s7, 5
	s_cmp_lt_i32 s13, 1
	s_cbranch_scc1 .LBB529_7
; %bb.1:
	s_load_dword s6, s[4:5], 0x18
	s_load_dword s16, s[4:5], 0x30
	s_load_dwordx2 s[2:3], s[4:5], 0x10
	s_load_dwordx2 s[18:19], s[4:5], 0x28
	v_lshl_add_u32 v2, v1, 4, v0
	v_and_b32_e32 v6, 31, v2
	s_waitcnt lgkmcnt(0)
	s_ashr_i32 s7, s6, 31
	s_ashr_i32 s17, s16, 31
	v_lshrrev_b32_e32 v9, 5, v2
	v_lshrrev_b32_e32 v3, 3, v2
	v_or_b32_e32 v2, s8, v6
	v_and_b32_e32 v8, 7, v0
	s_add_u32 s18, s18, s0
	v_cmp_gt_i32_e32 vcc, s12, v2
	v_lshlrev_b32_e32 v2, 2, v6
	s_addc_u32 s19, s19, s1
	v_lshl_or_b32 v11, v9, 7, v2
	v_lshlrev_b32_e32 v2, 2, v8
	s_add_u32 s0, s2, s0
	v_lshl_or_b32 v2, v3, 5, v2
	v_add_u32_e32 v4, s15, v3
	s_addc_u32 s1, s3, s1
	v_add_u32_e32 v12, 0x400, v2
	v_mad_i64_i32 v[2:3], s[2:3], v9, s6, 0
	v_mov_b32_e32 v7, 0x400
	v_add_u32_e32 v6, s8, v6
	v_lshl_add_u32 v15, v1, 5, v7
	v_ashrrev_i32_e32 v7, 31, v6
	v_lshlrev_b64 v[2:3], 2, v[2:3]
	v_lshlrev_b64 v[6:7], 2, v[6:7]
	s_load_dwordx2 s[20:21], s[0:1], 0x0
	v_add_co_u32_e64 v2, s[2:3], v2, v6
	v_addc_co_u32_e64 v3, s[2:3], v3, v7, s[2:3]
	v_mad_i64_i32 v[6:7], s[2:3], s16, v8, 0
	s_load_dwordx2 s[18:19], s[18:19], 0x0
	v_ashrrev_i32_e32 v5, 31, v4
	v_cmp_gt_i32_e64 s[0:1], s12, v4
	s_waitcnt lgkmcnt(0)
	v_mov_b32_e32 v10, s21
	v_add_co_u32_e64 v2, s[2:3], s20, v2
	v_lshlrev_b64 v[6:7], 2, v[6:7]
	v_lshlrev_b64 v[4:5], 2, v[4:5]
	v_addc_co_u32_e64 v3, s[2:3], v10, v3, s[2:3]
	v_add_co_u32_e64 v4, s[2:3], v6, v4
	v_addc_co_u32_e64 v5, s[2:3], v7, v5, s[2:3]
	v_mov_b32_e32 v6, s19
	v_add_co_u32_e64 v4, s[2:3], s18, v4
	v_lshlrev_b32_e32 v14, 2, v0
	s_lshl_b64 s[6:7], s[6:7], 5
	v_addc_co_u32_e64 v5, s[2:3], v6, v5, s[2:3]
	s_lshl_b64 s[16:17], s[16:17], 5
	v_mov_b32_e32 v6, 0
	v_mov_b32_e32 v7, 0
	;; [unrolled: 1-line block ×4, first 2 shown]
	s_branch .LBB529_3
.LBB529_2:                              ;   in Loop: Header=BB529_3 Depth=1
	s_or_b64 exec, exec, s[2:3]
	s_waitcnt vmcnt(0) lgkmcnt(0)
	ds_write_b32 v12, v16
	s_waitcnt lgkmcnt(0)
	s_barrier
	ds_read2_b32 v[28:29], v14 offset1:16
	ds_read_b128 v[16:19], v15
	ds_read2_b32 v[30:31], v14 offset0:32 offset1:48
	ds_read2_b32 v[32:33], v14 offset0:64 offset1:80
	ds_read_b128 v[20:23], v15 offset:16
	ds_read2_b32 v[34:35], v14 offset0:96 offset1:112
	s_waitcnt lgkmcnt(4)
	v_fmac_f32_e32 v13, v28, v16
	v_fmac_f32_e32 v10, v29, v16
	s_waitcnt lgkmcnt(3)
	v_fmac_f32_e32 v13, v30, v17
	v_fmac_f32_e32 v10, v31, v17
	;; [unrolled: 3-line block ×4, first 2 shown]
	ds_read_b128 v[16:19], v15 offset:512
	ds_read_b128 v[24:27], v15 offset:528
	v_add_co_u32_e64 v2, s[2:3], s6, v2
	s_add_i32 s9, s9, 8
	s_waitcnt lgkmcnt(1)
	v_fmac_f32_e32 v7, v28, v16
	v_fmac_f32_e32 v6, v29, v16
	;; [unrolled: 1-line block ×4, first 2 shown]
	ds_read2_b32 v[16:17], v14 offset0:128 offset1:144
	v_fmac_f32_e32 v7, v32, v18
	v_fmac_f32_e32 v6, v33, v18
	;; [unrolled: 1-line block ×4, first 2 shown]
	ds_read2_b32 v[18:19], v14 offset0:160 offset1:176
	ds_read2_b32 v[28:29], v14 offset0:192 offset1:208
	;; [unrolled: 1-line block ×3, first 2 shown]
	s_waitcnt lgkmcnt(3)
	v_fmac_f32_e32 v13, v16, v20
	v_fmac_f32_e32 v10, v17, v20
	;; [unrolled: 1-line block ×4, first 2 shown]
	v_mov_b32_e32 v16, s7
	s_waitcnt lgkmcnt(2)
	v_fmac_f32_e32 v13, v18, v21
	v_fmac_f32_e32 v10, v19, v21
	;; [unrolled: 1-line block ×4, first 2 shown]
	v_addc_co_u32_e64 v3, s[2:3], v3, v16, s[2:3]
	s_waitcnt lgkmcnt(1)
	v_fmac_f32_e32 v13, v28, v22
	v_fmac_f32_e32 v10, v29, v22
	;; [unrolled: 1-line block ×4, first 2 shown]
	v_mov_b32_e32 v16, s17
	v_add_co_u32_e64 v4, s[2:3], s16, v4
	s_waitcnt lgkmcnt(0)
	v_fmac_f32_e32 v13, v30, v23
	v_fmac_f32_e32 v10, v31, v23
	;; [unrolled: 1-line block ×4, first 2 shown]
	s_cmp_ge_i32 s9, s13
	v_addc_co_u32_e64 v5, s[2:3], v5, v16, s[2:3]
	s_barrier
	s_cbranch_scc1 .LBB529_8
.LBB529_3:                              ; =>This Inner Loop Header: Depth=1
	v_add_u32_e32 v16, s9, v9
	v_cmp_gt_i32_e64 s[2:3], s13, v16
	s_and_b64 s[18:19], vcc, s[2:3]
	v_mov_b32_e32 v16, 0
	s_and_saveexec_b64 s[2:3], s[18:19]
	s_cbranch_execz .LBB529_5
; %bb.4:                                ;   in Loop: Header=BB529_3 Depth=1
	flat_load_dword v16, v[2:3]
.LBB529_5:                              ;   in Loop: Header=BB529_3 Depth=1
	s_or_b64 exec, exec, s[2:3]
	s_waitcnt vmcnt(0) lgkmcnt(0)
	ds_write_b32 v11, v16
	v_add_u32_e32 v16, s9, v8
	v_cmp_gt_i32_e64 s[2:3], s13, v16
	s_and_b64 s[18:19], s[2:3], s[0:1]
	v_mov_b32_e32 v16, 0
	s_and_saveexec_b64 s[2:3], s[18:19]
	s_cbranch_execz .LBB529_2
; %bb.6:                                ;   in Loop: Header=BB529_3 Depth=1
	flat_load_dword v16, v[4:5]
	s_branch .LBB529_2
.LBB529_7:
	v_mov_b32_e32 v13, 0
	v_mov_b32_e32 v10, 0
	;; [unrolled: 1-line block ×4, first 2 shown]
.LBB529_8:
	s_load_dword s4, s[4:5], 0x50
	v_add_u32_e32 v4, s15, v1
	s_waitcnt lgkmcnt(0)
	v_mov_b32_e32 v3, s11
	v_add_u32_e32 v0, s8, v0
	v_cmp_gt_i32_e32 vcc, s12, v4
	v_mad_i64_i32 v[1:2], s[0:1], v4, s4, 0
	v_lshlrev_b64 v[1:2], 2, v[1:2]
	v_add_co_u32_e64 v5, s[0:1], s10, v1
	v_addc_co_u32_e64 v8, s[0:1], v3, v2, s[0:1]
	v_cmp_le_i32_e64 s[0:1], v0, v4
	s_and_b64 s[0:1], vcc, s[0:1]
	s_and_saveexec_b64 s[2:3], s[0:1]
	s_cbranch_execz .LBB529_10
; %bb.9:
	v_ashrrev_i32_e32 v1, 31, v0
	v_lshlrev_b64 v[1:2], 2, v[0:1]
	v_mul_f32_e32 v3, s14, v13
	v_add_co_u32_e64 v1, s[0:1], v5, v1
	v_addc_co_u32_e64 v2, s[0:1], v8, v2, s[0:1]
	flat_store_dword v[1:2], v3
.LBB529_10:
	s_or_b64 exec, exec, s[2:3]
	v_add_u32_e32 v2, 16, v0
	v_cmp_le_i32_e64 s[0:1], v2, v4
	s_and_b64 s[2:3], vcc, s[0:1]
	s_and_saveexec_b64 s[0:1], s[2:3]
	s_cbranch_execz .LBB529_12
; %bb.11:
	v_ashrrev_i32_e32 v3, 31, v2
	v_mul_f32_e32 v1, s14, v10
	v_lshlrev_b64 v[9:10], 2, v[2:3]
	v_add_co_u32_e32 v9, vcc, v5, v9
	v_addc_co_u32_e32 v10, vcc, v8, v10, vcc
	flat_store_dword v[9:10], v1
.LBB529_12:
	s_or_b64 exec, exec, s[0:1]
	v_add_u32_e32 v3, 16, v4
	v_mad_i64_i32 v[4:5], s[0:1], v3, s4, 0
	v_mov_b32_e32 v1, s11
	v_cmp_gt_i32_e32 vcc, s12, v3
	v_lshlrev_b64 v[4:5], 2, v[4:5]
	v_add_co_u32_e64 v4, s[0:1], s10, v4
	v_addc_co_u32_e64 v5, s[0:1], v1, v5, s[0:1]
	v_cmp_le_i32_e64 s[0:1], v0, v3
	s_and_b64 s[0:1], vcc, s[0:1]
	s_and_saveexec_b64 s[2:3], s[0:1]
	s_cbranch_execz .LBB529_14
; %bb.13:
	v_ashrrev_i32_e32 v1, 31, v0
	v_lshlrev_b64 v[0:1], 2, v[0:1]
	v_mul_f32_e32 v7, s14, v7
	v_add_co_u32_e64 v0, s[0:1], v4, v0
	v_addc_co_u32_e64 v1, s[0:1], v5, v1, s[0:1]
	flat_store_dword v[0:1], v7
.LBB529_14:
	s_or_b64 exec, exec, s[2:3]
	v_cmp_le_i32_e64 s[0:1], v2, v3
	s_and_b64 s[0:1], vcc, s[0:1]
	s_and_saveexec_b64 s[2:3], s[0:1]
	s_cbranch_execz .LBB529_16
; %bb.15:
	v_ashrrev_i32_e32 v3, 31, v2
	v_lshlrev_b64 v[0:1], 2, v[2:3]
	v_mul_f32_e32 v6, s14, v6
	v_add_co_u32_e32 v0, vcc, v4, v0
	v_addc_co_u32_e32 v1, vcc, v5, v1, vcc
	flat_store_dword v[0:1], v6
.LBB529_16:
	s_endpgm
	.section	.rodata,"a",@progbits
	.p2align	6, 0x0
	.amdhsa_kernel _ZL34rocblas_syrkx_herkx_general_kernelIifLi16ELi32ELi8ELb1ELb0ELc78ELc85EKPKfKPfEviT_T0_PT8_S5_lS8_S5_lS6_PT9_S5_li
		.amdhsa_group_segment_fixed_size 2048
		.amdhsa_private_segment_fixed_size 0
		.amdhsa_kernarg_size 100
		.amdhsa_user_sgpr_count 6
		.amdhsa_user_sgpr_private_segment_buffer 1
		.amdhsa_user_sgpr_dispatch_ptr 0
		.amdhsa_user_sgpr_queue_ptr 0
		.amdhsa_user_sgpr_kernarg_segment_ptr 1
		.amdhsa_user_sgpr_dispatch_id 0
		.amdhsa_user_sgpr_flat_scratch_init 0
		.amdhsa_user_sgpr_private_segment_size 0
		.amdhsa_uses_dynamic_stack 0
		.amdhsa_system_sgpr_private_segment_wavefront_offset 0
		.amdhsa_system_sgpr_workgroup_id_x 1
		.amdhsa_system_sgpr_workgroup_id_y 1
		.amdhsa_system_sgpr_workgroup_id_z 1
		.amdhsa_system_sgpr_workgroup_info 0
		.amdhsa_system_vgpr_workitem_id 1
		.amdhsa_next_free_vgpr 36
		.amdhsa_next_free_sgpr 22
		.amdhsa_reserve_vcc 1
		.amdhsa_reserve_flat_scratch 0
		.amdhsa_float_round_mode_32 0
		.amdhsa_float_round_mode_16_64 0
		.amdhsa_float_denorm_mode_32 3
		.amdhsa_float_denorm_mode_16_64 3
		.amdhsa_dx10_clamp 1
		.amdhsa_ieee_mode 1
		.amdhsa_fp16_overflow 0
		.amdhsa_exception_fp_ieee_invalid_op 0
		.amdhsa_exception_fp_denorm_src 0
		.amdhsa_exception_fp_ieee_div_zero 0
		.amdhsa_exception_fp_ieee_overflow 0
		.amdhsa_exception_fp_ieee_underflow 0
		.amdhsa_exception_fp_ieee_inexact 0
		.amdhsa_exception_int_div_zero 0
	.end_amdhsa_kernel
	.section	.text._ZL34rocblas_syrkx_herkx_general_kernelIifLi16ELi32ELi8ELb1ELb0ELc78ELc85EKPKfKPfEviT_T0_PT8_S5_lS8_S5_lS6_PT9_S5_li,"axG",@progbits,_ZL34rocblas_syrkx_herkx_general_kernelIifLi16ELi32ELi8ELb1ELb0ELc78ELc85EKPKfKPfEviT_T0_PT8_S5_lS8_S5_lS6_PT9_S5_li,comdat
.Lfunc_end529:
	.size	_ZL34rocblas_syrkx_herkx_general_kernelIifLi16ELi32ELi8ELb1ELb0ELc78ELc85EKPKfKPfEviT_T0_PT8_S5_lS8_S5_lS6_PT9_S5_li, .Lfunc_end529-_ZL34rocblas_syrkx_herkx_general_kernelIifLi16ELi32ELi8ELb1ELb0ELc78ELc85EKPKfKPfEviT_T0_PT8_S5_lS8_S5_lS6_PT9_S5_li
                                        ; -- End function
	.set _ZL34rocblas_syrkx_herkx_general_kernelIifLi16ELi32ELi8ELb1ELb0ELc78ELc85EKPKfKPfEviT_T0_PT8_S5_lS8_S5_lS6_PT9_S5_li.num_vgpr, 36
	.set _ZL34rocblas_syrkx_herkx_general_kernelIifLi16ELi32ELi8ELb1ELb0ELc78ELc85EKPKfKPfEviT_T0_PT8_S5_lS8_S5_lS6_PT9_S5_li.num_agpr, 0
	.set _ZL34rocblas_syrkx_herkx_general_kernelIifLi16ELi32ELi8ELb1ELb0ELc78ELc85EKPKfKPfEviT_T0_PT8_S5_lS8_S5_lS6_PT9_S5_li.numbered_sgpr, 22
	.set _ZL34rocblas_syrkx_herkx_general_kernelIifLi16ELi32ELi8ELb1ELb0ELc78ELc85EKPKfKPfEviT_T0_PT8_S5_lS8_S5_lS6_PT9_S5_li.num_named_barrier, 0
	.set _ZL34rocblas_syrkx_herkx_general_kernelIifLi16ELi32ELi8ELb1ELb0ELc78ELc85EKPKfKPfEviT_T0_PT8_S5_lS8_S5_lS6_PT9_S5_li.private_seg_size, 0
	.set _ZL34rocblas_syrkx_herkx_general_kernelIifLi16ELi32ELi8ELb1ELb0ELc78ELc85EKPKfKPfEviT_T0_PT8_S5_lS8_S5_lS6_PT9_S5_li.uses_vcc, 1
	.set _ZL34rocblas_syrkx_herkx_general_kernelIifLi16ELi32ELi8ELb1ELb0ELc78ELc85EKPKfKPfEviT_T0_PT8_S5_lS8_S5_lS6_PT9_S5_li.uses_flat_scratch, 0
	.set _ZL34rocblas_syrkx_herkx_general_kernelIifLi16ELi32ELi8ELb1ELb0ELc78ELc85EKPKfKPfEviT_T0_PT8_S5_lS8_S5_lS6_PT9_S5_li.has_dyn_sized_stack, 0
	.set _ZL34rocblas_syrkx_herkx_general_kernelIifLi16ELi32ELi8ELb1ELb0ELc78ELc85EKPKfKPfEviT_T0_PT8_S5_lS8_S5_lS6_PT9_S5_li.has_recursion, 0
	.set _ZL34rocblas_syrkx_herkx_general_kernelIifLi16ELi32ELi8ELb1ELb0ELc78ELc85EKPKfKPfEviT_T0_PT8_S5_lS8_S5_lS6_PT9_S5_li.has_indirect_call, 0
	.section	.AMDGPU.csdata,"",@progbits
; Kernel info:
; codeLenInByte = 1192
; TotalNumSgprs: 26
; NumVgprs: 36
; ScratchSize: 0
; MemoryBound: 0
; FloatMode: 240
; IeeeMode: 1
; LDSByteSize: 2048 bytes/workgroup (compile time only)
; SGPRBlocks: 3
; VGPRBlocks: 8
; NumSGPRsForWavesPerEU: 26
; NumVGPRsForWavesPerEU: 36
; Occupancy: 7
; WaveLimiterHint : 1
; COMPUTE_PGM_RSRC2:SCRATCH_EN: 0
; COMPUTE_PGM_RSRC2:USER_SGPR: 6
; COMPUTE_PGM_RSRC2:TRAP_HANDLER: 0
; COMPUTE_PGM_RSRC2:TGID_X_EN: 1
; COMPUTE_PGM_RSRC2:TGID_Y_EN: 1
; COMPUTE_PGM_RSRC2:TGID_Z_EN: 1
; COMPUTE_PGM_RSRC2:TIDIG_COMP_CNT: 1
	.section	.text._ZL34rocblas_syrkx_herkx_general_kernelIifLi16ELi32ELi8ELb0ELb0ELc84ELc76EKPKfKPfEviT_T0_PT8_S5_lS8_S5_lS6_PT9_S5_li,"axG",@progbits,_ZL34rocblas_syrkx_herkx_general_kernelIifLi16ELi32ELi8ELb0ELb0ELc84ELc76EKPKfKPfEviT_T0_PT8_S5_lS8_S5_lS6_PT9_S5_li,comdat
	.globl	_ZL34rocblas_syrkx_herkx_general_kernelIifLi16ELi32ELi8ELb0ELb0ELc84ELc76EKPKfKPfEviT_T0_PT8_S5_lS8_S5_lS6_PT9_S5_li ; -- Begin function _ZL34rocblas_syrkx_herkx_general_kernelIifLi16ELi32ELi8ELb0ELb0ELc84ELc76EKPKfKPfEviT_T0_PT8_S5_lS8_S5_lS6_PT9_S5_li
	.p2align	8
	.type	_ZL34rocblas_syrkx_herkx_general_kernelIifLi16ELi32ELi8ELb0ELb0ELc84ELc76EKPKfKPfEviT_T0_PT8_S5_lS8_S5_lS6_PT9_S5_li,@function
_ZL34rocblas_syrkx_herkx_general_kernelIifLi16ELi32ELi8ELb0ELb0ELc84ELc76EKPKfKPfEviT_T0_PT8_S5_lS8_S5_lS6_PT9_S5_li: ; @_ZL34rocblas_syrkx_herkx_general_kernelIifLi16ELi32ELi8ELb0ELb0ELc84ELc76EKPKfKPfEviT_T0_PT8_S5_lS8_S5_lS6_PT9_S5_li
; %bb.0:
	s_load_dwordx2 s[2:3], s[4:5], 0x48
	s_load_dwordx4 s[12:15], s[4:5], 0x0
	s_mov_b32 s9, 0
	s_lshl_b64 s[0:1], s[8:9], 3
	s_waitcnt lgkmcnt(0)
	s_add_u32 s2, s2, s0
	s_addc_u32 s3, s3, s1
	s_load_dwordx2 s[10:11], s[2:3], 0x0
	s_lshl_b32 s6, s6, 5
	s_lshl_b32 s7, s7, 5
	s_cmp_lt_i32 s13, 1
	s_cbranch_scc1 .LBB530_7
; %bb.1:
	s_load_dwordx2 s[2:3], s[4:5], 0x10
	s_load_dword s8, s[4:5], 0x18
	s_load_dwordx2 s[16:17], s[4:5], 0x28
	s_load_dword s15, s[4:5], 0x30
	v_lshl_add_u32 v2, v1, 4, v0
	v_and_b32_e32 v9, 7, v0
	v_lshrrev_b32_e32 v10, 5, v2
	v_lshrrev_b32_e32 v3, 3, v2
	v_and_b32_e32 v2, 31, v2
	s_waitcnt lgkmcnt(0)
	s_add_u32 s16, s16, s0
	v_or_b32_e32 v5, s6, v2
	s_addc_u32 s17, s17, s1
	v_lshlrev_b32_e32 v7, 2, v9
	v_add_u32_e32 v4, s7, v3
	s_add_u32 s0, s2, s0
	v_cmp_gt_i32_e32 vcc, s12, v5
	v_lshlrev_b32_e32 v5, 2, v2
	v_lshl_or_b32 v3, v3, 5, v7
	v_add_u32_e32 v2, s6, v2
	s_addc_u32 s1, s3, s1
	v_add_u32_e32 v13, 0x400, v3
	v_mad_i64_i32 v[2:3], s[2:3], s8, v2, 0
	v_lshl_or_b32 v12, v10, 7, v5
	v_mov_b32_e32 v5, 0x400
	v_lshlrev_b64 v[2:3], 2, v[2:3]
	v_lshl_add_u32 v15, v1, 5, v5
	v_lshlrev_b32_e32 v5, 2, v10
	s_load_dwordx2 s[18:19], s[0:1], 0x0
	v_add_co_u32_e64 v2, s[2:3], v2, v5
	v_cmp_gt_i32_e64 s[0:1], s12, v4
	v_addc_co_u32_e64 v3, s[2:3], 0, v3, s[2:3]
	v_mad_i64_i32 v[4:5], s[2:3], s15, v4, 0
	s_load_dwordx2 s[16:17], s[16:17], 0x0
	s_waitcnt lgkmcnt(0)
	v_mov_b32_e32 v8, s19
	v_add_co_u32_e64 v2, s[2:3], s18, v2
	v_lshlrev_b64 v[4:5], 2, v[4:5]
	v_addc_co_u32_e64 v3, s[2:3], v8, v3, s[2:3]
	v_add_co_u32_e64 v4, s[2:3], v4, v7
	v_addc_co_u32_e64 v5, s[2:3], 0, v5, s[2:3]
	v_mov_b32_e32 v7, s17
	v_add_co_u32_e64 v4, s[2:3], s16, v4
	v_lshlrev_b32_e32 v14, 2, v0
	v_mov_b32_e32 v6, 0
	v_addc_co_u32_e64 v5, s[2:3], v7, v5, s[2:3]
	v_mov_b32_e32 v7, 0
	v_mov_b32_e32 v8, 0
	;; [unrolled: 1-line block ×3, first 2 shown]
	s_branch .LBB530_3
.LBB530_2:                              ;   in Loop: Header=BB530_3 Depth=1
	s_or_b64 exec, exec, s[2:3]
	s_waitcnt vmcnt(0) lgkmcnt(0)
	ds_write_b32 v13, v16
	s_waitcnt lgkmcnt(0)
	s_barrier
	ds_read2_b32 v[28:29], v14 offset1:16
	ds_read_b128 v[16:19], v15
	ds_read2_b32 v[30:31], v14 offset0:32 offset1:48
	ds_read2_b32 v[32:33], v14 offset0:64 offset1:80
	ds_read_b128 v[20:23], v15 offset:16
	ds_read2_b32 v[34:35], v14 offset0:96 offset1:112
	s_waitcnt lgkmcnt(4)
	v_fmac_f32_e32 v11, v28, v16
	v_fmac_f32_e32 v8, v29, v16
	s_waitcnt lgkmcnt(3)
	v_fmac_f32_e32 v11, v30, v17
	v_fmac_f32_e32 v8, v31, v17
	;; [unrolled: 3-line block ×4, first 2 shown]
	ds_read_b128 v[16:19], v15 offset:512
	ds_read_b128 v[24:27], v15 offset:528
	v_add_co_u32_e64 v2, s[2:3], 32, v2
	v_addc_co_u32_e64 v3, s[2:3], 0, v3, s[2:3]
	s_waitcnt lgkmcnt(1)
	v_fmac_f32_e32 v7, v28, v16
	v_fmac_f32_e32 v6, v29, v16
	;; [unrolled: 1-line block ×4, first 2 shown]
	ds_read2_b32 v[16:17], v14 offset0:128 offset1:144
	v_fmac_f32_e32 v7, v32, v18
	v_fmac_f32_e32 v6, v33, v18
	;; [unrolled: 1-line block ×4, first 2 shown]
	ds_read2_b32 v[18:19], v14 offset0:160 offset1:176
	ds_read2_b32 v[28:29], v14 offset0:192 offset1:208
	;; [unrolled: 1-line block ×3, first 2 shown]
	s_waitcnt lgkmcnt(3)
	v_fmac_f32_e32 v11, v16, v20
	v_fmac_f32_e32 v8, v17, v20
	v_fmac_f32_e32 v7, v16, v24
	v_fmac_f32_e32 v6, v17, v24
	s_waitcnt lgkmcnt(2)
	v_fmac_f32_e32 v11, v18, v21
	v_fmac_f32_e32 v8, v19, v21
	v_fmac_f32_e32 v7, v18, v25
	v_fmac_f32_e32 v6, v19, v25
	;; [unrolled: 5-line block ×3, first 2 shown]
	s_add_i32 s9, s9, 8
	v_add_co_u32_e64 v4, s[2:3], 32, v4
	s_waitcnt lgkmcnt(0)
	v_fmac_f32_e32 v11, v30, v23
	v_fmac_f32_e32 v8, v31, v23
	;; [unrolled: 1-line block ×4, first 2 shown]
	s_cmp_ge_i32 s9, s13
	v_addc_co_u32_e64 v5, s[2:3], 0, v5, s[2:3]
	s_barrier
	s_cbranch_scc1 .LBB530_8
.LBB530_3:                              ; =>This Inner Loop Header: Depth=1
	v_add_u32_e32 v16, s9, v10
	v_cmp_gt_i32_e64 s[2:3], s13, v16
	s_and_b64 s[16:17], vcc, s[2:3]
	v_mov_b32_e32 v16, 0
	s_and_saveexec_b64 s[2:3], s[16:17]
	s_cbranch_execz .LBB530_5
; %bb.4:                                ;   in Loop: Header=BB530_3 Depth=1
	flat_load_dword v16, v[2:3]
.LBB530_5:                              ;   in Loop: Header=BB530_3 Depth=1
	s_or_b64 exec, exec, s[2:3]
	s_waitcnt vmcnt(0) lgkmcnt(0)
	ds_write_b32 v12, v16
	v_add_u32_e32 v16, s9, v9
	v_cmp_gt_i32_e64 s[2:3], s13, v16
	s_and_b64 s[16:17], s[2:3], s[0:1]
	v_mov_b32_e32 v16, 0
	s_and_saveexec_b64 s[2:3], s[16:17]
	s_cbranch_execz .LBB530_2
; %bb.6:                                ;   in Loop: Header=BB530_3 Depth=1
	flat_load_dword v16, v[4:5]
	s_branch .LBB530_2
.LBB530_7:
	v_mov_b32_e32 v11, 0
	v_mov_b32_e32 v8, 0
	v_mov_b32_e32 v7, 0
	v_mov_b32_e32 v6, 0
.LBB530_8:
	s_load_dword s8, s[4:5], 0x50
	v_add_u32_e32 v4, s7, v1
	s_load_dword s7, s[4:5], 0x40
	s_waitcnt lgkmcnt(0)
	v_mov_b32_e32 v3, s11
	v_add_u32_e32 v0, s6, v0
	v_mad_i64_i32 v[1:2], s[0:1], v4, s8, 0
	v_cmp_le_i32_e64 s[0:1], v4, v0
	v_lshlrev_b64 v[1:2], 2, v[1:2]
	v_add_co_u32_e32 v5, vcc, s10, v1
	v_addc_co_u32_e32 v9, vcc, v3, v2, vcc
	v_cmp_gt_i32_e32 vcc, s12, v0
	s_and_b64 s[0:1], s[0:1], vcc
	s_and_saveexec_b64 s[2:3], s[0:1]
	s_cbranch_execz .LBB530_10
; %bb.9:
	v_ashrrev_i32_e32 v1, 31, v0
	v_lshlrev_b64 v[1:2], 2, v[0:1]
	v_add_co_u32_e64 v1, s[0:1], v5, v1
	v_addc_co_u32_e64 v2, s[0:1], v9, v2, s[0:1]
	flat_load_dword v3, v[1:2]
	s_waitcnt vmcnt(0) lgkmcnt(0)
	v_mul_f32_e32 v3, s7, v3
	v_fmac_f32_e32 v3, s14, v11
	flat_store_dword v[1:2], v3
.LBB530_10:
	s_or_b64 exec, exec, s[2:3]
	v_add_u32_e32 v2, 16, v0
	v_cmp_le_i32_e64 s[2:3], v4, v2
	v_cmp_gt_i32_e64 s[0:1], s12, v2
	s_and_b64 s[2:3], s[2:3], s[0:1]
	s_and_saveexec_b64 s[4:5], s[2:3]
	s_cbranch_execz .LBB530_12
; %bb.11:
	v_ashrrev_i32_e32 v3, 31, v2
	v_lshlrev_b64 v[10:11], 2, v[2:3]
	v_add_co_u32_e64 v10, s[2:3], v5, v10
	v_addc_co_u32_e64 v11, s[2:3], v9, v11, s[2:3]
	flat_load_dword v1, v[10:11]
	s_waitcnt vmcnt(0) lgkmcnt(0)
	v_mul_f32_e32 v1, s7, v1
	v_fmac_f32_e32 v1, s14, v8
	flat_store_dword v[10:11], v1
.LBB530_12:
	s_or_b64 exec, exec, s[4:5]
	v_add_u32_e32 v3, 16, v4
	v_mad_i64_i32 v[4:5], s[2:3], v3, s8, 0
	v_mov_b32_e32 v1, s11
	v_lshlrev_b64 v[4:5], 2, v[4:5]
	v_add_co_u32_e64 v4, s[2:3], s10, v4
	v_addc_co_u32_e64 v5, s[2:3], v1, v5, s[2:3]
	v_cmp_le_i32_e64 s[2:3], v3, v0
	s_and_b64 s[4:5], s[2:3], vcc
	s_and_saveexec_b64 s[2:3], s[4:5]
	s_cbranch_execz .LBB530_14
; %bb.13:
	v_ashrrev_i32_e32 v1, 31, v0
	v_lshlrev_b64 v[0:1], 2, v[0:1]
	v_add_co_u32_e32 v0, vcc, v4, v0
	v_addc_co_u32_e32 v1, vcc, v5, v1, vcc
	flat_load_dword v8, v[0:1]
	s_waitcnt vmcnt(0) lgkmcnt(0)
	v_mul_f32_e32 v8, s7, v8
	v_fmac_f32_e32 v8, s14, v7
	flat_store_dword v[0:1], v8
.LBB530_14:
	s_or_b64 exec, exec, s[2:3]
	v_cmp_le_i32_e32 vcc, v3, v2
	s_and_b64 s[0:1], vcc, s[0:1]
	s_and_saveexec_b64 s[2:3], s[0:1]
	s_cbranch_execz .LBB530_16
; %bb.15:
	v_ashrrev_i32_e32 v3, 31, v2
	v_lshlrev_b64 v[0:1], 2, v[2:3]
	v_add_co_u32_e32 v0, vcc, v4, v0
	v_addc_co_u32_e32 v1, vcc, v5, v1, vcc
	flat_load_dword v2, v[0:1]
	s_waitcnt vmcnt(0) lgkmcnt(0)
	v_mul_f32_e32 v2, s7, v2
	v_fmac_f32_e32 v2, s14, v6
	flat_store_dword v[0:1], v2
.LBB530_16:
	s_endpgm
	.section	.rodata,"a",@progbits
	.p2align	6, 0x0
	.amdhsa_kernel _ZL34rocblas_syrkx_herkx_general_kernelIifLi16ELi32ELi8ELb0ELb0ELc84ELc76EKPKfKPfEviT_T0_PT8_S5_lS8_S5_lS6_PT9_S5_li
		.amdhsa_group_segment_fixed_size 2048
		.amdhsa_private_segment_fixed_size 0
		.amdhsa_kernarg_size 100
		.amdhsa_user_sgpr_count 6
		.amdhsa_user_sgpr_private_segment_buffer 1
		.amdhsa_user_sgpr_dispatch_ptr 0
		.amdhsa_user_sgpr_queue_ptr 0
		.amdhsa_user_sgpr_kernarg_segment_ptr 1
		.amdhsa_user_sgpr_dispatch_id 0
		.amdhsa_user_sgpr_flat_scratch_init 0
		.amdhsa_user_sgpr_private_segment_size 0
		.amdhsa_uses_dynamic_stack 0
		.amdhsa_system_sgpr_private_segment_wavefront_offset 0
		.amdhsa_system_sgpr_workgroup_id_x 1
		.amdhsa_system_sgpr_workgroup_id_y 1
		.amdhsa_system_sgpr_workgroup_id_z 1
		.amdhsa_system_sgpr_workgroup_info 0
		.amdhsa_system_vgpr_workitem_id 1
		.amdhsa_next_free_vgpr 36
		.amdhsa_next_free_sgpr 20
		.amdhsa_reserve_vcc 1
		.amdhsa_reserve_flat_scratch 0
		.amdhsa_float_round_mode_32 0
		.amdhsa_float_round_mode_16_64 0
		.amdhsa_float_denorm_mode_32 3
		.amdhsa_float_denorm_mode_16_64 3
		.amdhsa_dx10_clamp 1
		.amdhsa_ieee_mode 1
		.amdhsa_fp16_overflow 0
		.amdhsa_exception_fp_ieee_invalid_op 0
		.amdhsa_exception_fp_denorm_src 0
		.amdhsa_exception_fp_ieee_div_zero 0
		.amdhsa_exception_fp_ieee_overflow 0
		.amdhsa_exception_fp_ieee_underflow 0
		.amdhsa_exception_fp_ieee_inexact 0
		.amdhsa_exception_int_div_zero 0
	.end_amdhsa_kernel
	.section	.text._ZL34rocblas_syrkx_herkx_general_kernelIifLi16ELi32ELi8ELb0ELb0ELc84ELc76EKPKfKPfEviT_T0_PT8_S5_lS8_S5_lS6_PT9_S5_li,"axG",@progbits,_ZL34rocblas_syrkx_herkx_general_kernelIifLi16ELi32ELi8ELb0ELb0ELc84ELc76EKPKfKPfEviT_T0_PT8_S5_lS8_S5_lS6_PT9_S5_li,comdat
.Lfunc_end530:
	.size	_ZL34rocblas_syrkx_herkx_general_kernelIifLi16ELi32ELi8ELb0ELb0ELc84ELc76EKPKfKPfEviT_T0_PT8_S5_lS8_S5_lS6_PT9_S5_li, .Lfunc_end530-_ZL34rocblas_syrkx_herkx_general_kernelIifLi16ELi32ELi8ELb0ELb0ELc84ELc76EKPKfKPfEviT_T0_PT8_S5_lS8_S5_lS6_PT9_S5_li
                                        ; -- End function
	.set _ZL34rocblas_syrkx_herkx_general_kernelIifLi16ELi32ELi8ELb0ELb0ELc84ELc76EKPKfKPfEviT_T0_PT8_S5_lS8_S5_lS6_PT9_S5_li.num_vgpr, 36
	.set _ZL34rocblas_syrkx_herkx_general_kernelIifLi16ELi32ELi8ELb0ELb0ELc84ELc76EKPKfKPfEviT_T0_PT8_S5_lS8_S5_lS6_PT9_S5_li.num_agpr, 0
	.set _ZL34rocblas_syrkx_herkx_general_kernelIifLi16ELi32ELi8ELb0ELb0ELc84ELc76EKPKfKPfEviT_T0_PT8_S5_lS8_S5_lS6_PT9_S5_li.numbered_sgpr, 20
	.set _ZL34rocblas_syrkx_herkx_general_kernelIifLi16ELi32ELi8ELb0ELb0ELc84ELc76EKPKfKPfEviT_T0_PT8_S5_lS8_S5_lS6_PT9_S5_li.num_named_barrier, 0
	.set _ZL34rocblas_syrkx_herkx_general_kernelIifLi16ELi32ELi8ELb0ELb0ELc84ELc76EKPKfKPfEviT_T0_PT8_S5_lS8_S5_lS6_PT9_S5_li.private_seg_size, 0
	.set _ZL34rocblas_syrkx_herkx_general_kernelIifLi16ELi32ELi8ELb0ELb0ELc84ELc76EKPKfKPfEviT_T0_PT8_S5_lS8_S5_lS6_PT9_S5_li.uses_vcc, 1
	.set _ZL34rocblas_syrkx_herkx_general_kernelIifLi16ELi32ELi8ELb0ELb0ELc84ELc76EKPKfKPfEviT_T0_PT8_S5_lS8_S5_lS6_PT9_S5_li.uses_flat_scratch, 0
	.set _ZL34rocblas_syrkx_herkx_general_kernelIifLi16ELi32ELi8ELb0ELb0ELc84ELc76EKPKfKPfEviT_T0_PT8_S5_lS8_S5_lS6_PT9_S5_li.has_dyn_sized_stack, 0
	.set _ZL34rocblas_syrkx_herkx_general_kernelIifLi16ELi32ELi8ELb0ELb0ELc84ELc76EKPKfKPfEviT_T0_PT8_S5_lS8_S5_lS6_PT9_S5_li.has_recursion, 0
	.set _ZL34rocblas_syrkx_herkx_general_kernelIifLi16ELi32ELi8ELb0ELb0ELc84ELc76EKPKfKPfEviT_T0_PT8_S5_lS8_S5_lS6_PT9_S5_li.has_indirect_call, 0
	.section	.AMDGPU.csdata,"",@progbits
; Kernel info:
; codeLenInByte = 1212
; TotalNumSgprs: 24
; NumVgprs: 36
; ScratchSize: 0
; MemoryBound: 0
; FloatMode: 240
; IeeeMode: 1
; LDSByteSize: 2048 bytes/workgroup (compile time only)
; SGPRBlocks: 2
; VGPRBlocks: 8
; NumSGPRsForWavesPerEU: 24
; NumVGPRsForWavesPerEU: 36
; Occupancy: 7
; WaveLimiterHint : 1
; COMPUTE_PGM_RSRC2:SCRATCH_EN: 0
; COMPUTE_PGM_RSRC2:USER_SGPR: 6
; COMPUTE_PGM_RSRC2:TRAP_HANDLER: 0
; COMPUTE_PGM_RSRC2:TGID_X_EN: 1
; COMPUTE_PGM_RSRC2:TGID_Y_EN: 1
; COMPUTE_PGM_RSRC2:TGID_Z_EN: 1
; COMPUTE_PGM_RSRC2:TIDIG_COMP_CNT: 1
	.section	.text._ZL34rocblas_syrkx_herkx_general_kernelIifLi16ELi32ELi8ELb0ELb0ELc67ELc76EKPKfKPfEviT_T0_PT8_S5_lS8_S5_lS6_PT9_S5_li,"axG",@progbits,_ZL34rocblas_syrkx_herkx_general_kernelIifLi16ELi32ELi8ELb0ELb0ELc67ELc76EKPKfKPfEviT_T0_PT8_S5_lS8_S5_lS6_PT9_S5_li,comdat
	.globl	_ZL34rocblas_syrkx_herkx_general_kernelIifLi16ELi32ELi8ELb0ELb0ELc67ELc76EKPKfKPfEviT_T0_PT8_S5_lS8_S5_lS6_PT9_S5_li ; -- Begin function _ZL34rocblas_syrkx_herkx_general_kernelIifLi16ELi32ELi8ELb0ELb0ELc67ELc76EKPKfKPfEviT_T0_PT8_S5_lS8_S5_lS6_PT9_S5_li
	.p2align	8
	.type	_ZL34rocblas_syrkx_herkx_general_kernelIifLi16ELi32ELi8ELb0ELb0ELc67ELc76EKPKfKPfEviT_T0_PT8_S5_lS8_S5_lS6_PT9_S5_li,@function
_ZL34rocblas_syrkx_herkx_general_kernelIifLi16ELi32ELi8ELb0ELb0ELc67ELc76EKPKfKPfEviT_T0_PT8_S5_lS8_S5_lS6_PT9_S5_li: ; @_ZL34rocblas_syrkx_herkx_general_kernelIifLi16ELi32ELi8ELb0ELb0ELc67ELc76EKPKfKPfEviT_T0_PT8_S5_lS8_S5_lS6_PT9_S5_li
; %bb.0:
	s_load_dwordx2 s[2:3], s[4:5], 0x48
	s_load_dwordx4 s[12:15], s[4:5], 0x0
	s_mov_b32 s9, 0
	s_lshl_b64 s[0:1], s[8:9], 3
	s_waitcnt lgkmcnt(0)
	s_add_u32 s2, s2, s0
	s_addc_u32 s3, s3, s1
	s_load_dwordx2 s[10:11], s[2:3], 0x0
	s_lshl_b32 s6, s6, 5
	s_lshl_b32 s7, s7, 5
	s_cmp_lt_i32 s13, 1
	s_cbranch_scc1 .LBB531_7
; %bb.1:
	s_load_dwordx2 s[2:3], s[4:5], 0x10
	s_load_dword s8, s[4:5], 0x18
	s_load_dwordx2 s[16:17], s[4:5], 0x28
	s_load_dword s15, s[4:5], 0x30
	v_lshl_add_u32 v2, v1, 4, v0
	v_and_b32_e32 v9, 7, v0
	v_lshrrev_b32_e32 v10, 5, v2
	v_lshrrev_b32_e32 v3, 3, v2
	v_and_b32_e32 v2, 31, v2
	s_waitcnt lgkmcnt(0)
	s_add_u32 s16, s16, s0
	v_or_b32_e32 v5, s6, v2
	s_addc_u32 s17, s17, s1
	v_lshlrev_b32_e32 v7, 2, v9
	v_add_u32_e32 v4, s7, v3
	s_add_u32 s0, s2, s0
	v_cmp_gt_i32_e32 vcc, s12, v5
	v_lshlrev_b32_e32 v5, 2, v2
	v_lshl_or_b32 v3, v3, 5, v7
	v_add_u32_e32 v2, s6, v2
	s_addc_u32 s1, s3, s1
	v_add_u32_e32 v13, 0x400, v3
	v_mad_i64_i32 v[2:3], s[2:3], s8, v2, 0
	v_lshl_or_b32 v12, v10, 7, v5
	v_mov_b32_e32 v5, 0x400
	v_lshlrev_b64 v[2:3], 2, v[2:3]
	v_lshl_add_u32 v15, v1, 5, v5
	v_lshlrev_b32_e32 v5, 2, v10
	s_load_dwordx2 s[18:19], s[0:1], 0x0
	v_add_co_u32_e64 v2, s[2:3], v2, v5
	v_cmp_gt_i32_e64 s[0:1], s12, v4
	v_addc_co_u32_e64 v3, s[2:3], 0, v3, s[2:3]
	v_mad_i64_i32 v[4:5], s[2:3], s15, v4, 0
	s_load_dwordx2 s[16:17], s[16:17], 0x0
	s_waitcnt lgkmcnt(0)
	v_mov_b32_e32 v8, s19
	v_add_co_u32_e64 v2, s[2:3], s18, v2
	v_lshlrev_b64 v[4:5], 2, v[4:5]
	v_addc_co_u32_e64 v3, s[2:3], v8, v3, s[2:3]
	v_add_co_u32_e64 v4, s[2:3], v4, v7
	v_addc_co_u32_e64 v5, s[2:3], 0, v5, s[2:3]
	v_mov_b32_e32 v7, s17
	v_add_co_u32_e64 v4, s[2:3], s16, v4
	v_lshlrev_b32_e32 v14, 2, v0
	v_mov_b32_e32 v6, 0
	v_addc_co_u32_e64 v5, s[2:3], v7, v5, s[2:3]
	v_mov_b32_e32 v7, 0
	v_mov_b32_e32 v8, 0
	;; [unrolled: 1-line block ×3, first 2 shown]
	s_branch .LBB531_3
.LBB531_2:                              ;   in Loop: Header=BB531_3 Depth=1
	s_or_b64 exec, exec, s[2:3]
	s_waitcnt vmcnt(0) lgkmcnt(0)
	ds_write_b32 v13, v16
	s_waitcnt lgkmcnt(0)
	s_barrier
	ds_read2_b32 v[28:29], v14 offset1:16
	ds_read_b128 v[16:19], v15
	ds_read2_b32 v[30:31], v14 offset0:32 offset1:48
	ds_read2_b32 v[32:33], v14 offset0:64 offset1:80
	ds_read_b128 v[20:23], v15 offset:16
	ds_read2_b32 v[34:35], v14 offset0:96 offset1:112
	s_waitcnt lgkmcnt(4)
	v_fmac_f32_e32 v11, v28, v16
	v_fmac_f32_e32 v8, v29, v16
	s_waitcnt lgkmcnt(3)
	v_fmac_f32_e32 v11, v30, v17
	v_fmac_f32_e32 v8, v31, v17
	;; [unrolled: 3-line block ×4, first 2 shown]
	ds_read_b128 v[16:19], v15 offset:512
	ds_read_b128 v[24:27], v15 offset:528
	v_add_co_u32_e64 v2, s[2:3], 32, v2
	v_addc_co_u32_e64 v3, s[2:3], 0, v3, s[2:3]
	s_waitcnt lgkmcnt(1)
	v_fmac_f32_e32 v7, v28, v16
	v_fmac_f32_e32 v6, v29, v16
	;; [unrolled: 1-line block ×4, first 2 shown]
	ds_read2_b32 v[16:17], v14 offset0:128 offset1:144
	v_fmac_f32_e32 v7, v32, v18
	v_fmac_f32_e32 v6, v33, v18
	;; [unrolled: 1-line block ×4, first 2 shown]
	ds_read2_b32 v[18:19], v14 offset0:160 offset1:176
	ds_read2_b32 v[28:29], v14 offset0:192 offset1:208
	;; [unrolled: 1-line block ×3, first 2 shown]
	s_waitcnt lgkmcnt(3)
	v_fmac_f32_e32 v11, v16, v20
	v_fmac_f32_e32 v8, v17, v20
	v_fmac_f32_e32 v7, v16, v24
	v_fmac_f32_e32 v6, v17, v24
	s_waitcnt lgkmcnt(2)
	v_fmac_f32_e32 v11, v18, v21
	v_fmac_f32_e32 v8, v19, v21
	v_fmac_f32_e32 v7, v18, v25
	v_fmac_f32_e32 v6, v19, v25
	;; [unrolled: 5-line block ×3, first 2 shown]
	s_add_i32 s9, s9, 8
	v_add_co_u32_e64 v4, s[2:3], 32, v4
	s_waitcnt lgkmcnt(0)
	v_fmac_f32_e32 v11, v30, v23
	v_fmac_f32_e32 v8, v31, v23
	;; [unrolled: 1-line block ×4, first 2 shown]
	s_cmp_ge_i32 s9, s13
	v_addc_co_u32_e64 v5, s[2:3], 0, v5, s[2:3]
	s_barrier
	s_cbranch_scc1 .LBB531_8
.LBB531_3:                              ; =>This Inner Loop Header: Depth=1
	v_add_u32_e32 v16, s9, v10
	v_cmp_gt_i32_e64 s[2:3], s13, v16
	s_and_b64 s[16:17], vcc, s[2:3]
	v_mov_b32_e32 v16, 0
	s_and_saveexec_b64 s[2:3], s[16:17]
	s_cbranch_execz .LBB531_5
; %bb.4:                                ;   in Loop: Header=BB531_3 Depth=1
	flat_load_dword v16, v[2:3]
.LBB531_5:                              ;   in Loop: Header=BB531_3 Depth=1
	s_or_b64 exec, exec, s[2:3]
	s_waitcnt vmcnt(0) lgkmcnt(0)
	ds_write_b32 v12, v16
	v_add_u32_e32 v16, s9, v9
	v_cmp_gt_i32_e64 s[2:3], s13, v16
	s_and_b64 s[16:17], s[2:3], s[0:1]
	v_mov_b32_e32 v16, 0
	s_and_saveexec_b64 s[2:3], s[16:17]
	s_cbranch_execz .LBB531_2
; %bb.6:                                ;   in Loop: Header=BB531_3 Depth=1
	flat_load_dword v16, v[4:5]
	s_branch .LBB531_2
.LBB531_7:
	v_mov_b32_e32 v11, 0
	v_mov_b32_e32 v8, 0
	;; [unrolled: 1-line block ×4, first 2 shown]
.LBB531_8:
	s_load_dword s8, s[4:5], 0x50
	v_add_u32_e32 v4, s7, v1
	s_load_dword s7, s[4:5], 0x40
	s_waitcnt lgkmcnt(0)
	v_mov_b32_e32 v3, s11
	v_add_u32_e32 v0, s6, v0
	v_mad_i64_i32 v[1:2], s[0:1], v4, s8, 0
	v_cmp_le_i32_e64 s[0:1], v4, v0
	v_lshlrev_b64 v[1:2], 2, v[1:2]
	v_add_co_u32_e32 v5, vcc, s10, v1
	v_addc_co_u32_e32 v9, vcc, v3, v2, vcc
	v_cmp_gt_i32_e32 vcc, s12, v0
	s_and_b64 s[0:1], s[0:1], vcc
	s_and_saveexec_b64 s[2:3], s[0:1]
	s_cbranch_execz .LBB531_10
; %bb.9:
	v_ashrrev_i32_e32 v1, 31, v0
	v_lshlrev_b64 v[1:2], 2, v[0:1]
	v_add_co_u32_e64 v1, s[0:1], v5, v1
	v_addc_co_u32_e64 v2, s[0:1], v9, v2, s[0:1]
	flat_load_dword v3, v[1:2]
	s_waitcnt vmcnt(0) lgkmcnt(0)
	v_mul_f32_e32 v3, s7, v3
	v_fmac_f32_e32 v3, s14, v11
	flat_store_dword v[1:2], v3
.LBB531_10:
	s_or_b64 exec, exec, s[2:3]
	v_add_u32_e32 v2, 16, v0
	v_cmp_le_i32_e64 s[2:3], v4, v2
	v_cmp_gt_i32_e64 s[0:1], s12, v2
	s_and_b64 s[2:3], s[2:3], s[0:1]
	s_and_saveexec_b64 s[4:5], s[2:3]
	s_cbranch_execz .LBB531_12
; %bb.11:
	v_ashrrev_i32_e32 v3, 31, v2
	v_lshlrev_b64 v[10:11], 2, v[2:3]
	v_add_co_u32_e64 v10, s[2:3], v5, v10
	v_addc_co_u32_e64 v11, s[2:3], v9, v11, s[2:3]
	flat_load_dword v1, v[10:11]
	s_waitcnt vmcnt(0) lgkmcnt(0)
	v_mul_f32_e32 v1, s7, v1
	v_fmac_f32_e32 v1, s14, v8
	flat_store_dword v[10:11], v1
.LBB531_12:
	s_or_b64 exec, exec, s[4:5]
	v_add_u32_e32 v3, 16, v4
	v_mad_i64_i32 v[4:5], s[2:3], v3, s8, 0
	v_mov_b32_e32 v1, s11
	v_lshlrev_b64 v[4:5], 2, v[4:5]
	v_add_co_u32_e64 v4, s[2:3], s10, v4
	v_addc_co_u32_e64 v5, s[2:3], v1, v5, s[2:3]
	v_cmp_le_i32_e64 s[2:3], v3, v0
	s_and_b64 s[4:5], s[2:3], vcc
	s_and_saveexec_b64 s[2:3], s[4:5]
	s_cbranch_execz .LBB531_14
; %bb.13:
	v_ashrrev_i32_e32 v1, 31, v0
	v_lshlrev_b64 v[0:1], 2, v[0:1]
	v_add_co_u32_e32 v0, vcc, v4, v0
	v_addc_co_u32_e32 v1, vcc, v5, v1, vcc
	flat_load_dword v8, v[0:1]
	s_waitcnt vmcnt(0) lgkmcnt(0)
	v_mul_f32_e32 v8, s7, v8
	v_fmac_f32_e32 v8, s14, v7
	flat_store_dword v[0:1], v8
.LBB531_14:
	s_or_b64 exec, exec, s[2:3]
	v_cmp_le_i32_e32 vcc, v3, v2
	s_and_b64 s[0:1], vcc, s[0:1]
	s_and_saveexec_b64 s[2:3], s[0:1]
	s_cbranch_execz .LBB531_16
; %bb.15:
	v_ashrrev_i32_e32 v3, 31, v2
	v_lshlrev_b64 v[0:1], 2, v[2:3]
	v_add_co_u32_e32 v0, vcc, v4, v0
	v_addc_co_u32_e32 v1, vcc, v5, v1, vcc
	flat_load_dword v2, v[0:1]
	s_waitcnt vmcnt(0) lgkmcnt(0)
	v_mul_f32_e32 v2, s7, v2
	v_fmac_f32_e32 v2, s14, v6
	flat_store_dword v[0:1], v2
.LBB531_16:
	s_endpgm
	.section	.rodata,"a",@progbits
	.p2align	6, 0x0
	.amdhsa_kernel _ZL34rocblas_syrkx_herkx_general_kernelIifLi16ELi32ELi8ELb0ELb0ELc67ELc76EKPKfKPfEviT_T0_PT8_S5_lS8_S5_lS6_PT9_S5_li
		.amdhsa_group_segment_fixed_size 2048
		.amdhsa_private_segment_fixed_size 0
		.amdhsa_kernarg_size 100
		.amdhsa_user_sgpr_count 6
		.amdhsa_user_sgpr_private_segment_buffer 1
		.amdhsa_user_sgpr_dispatch_ptr 0
		.amdhsa_user_sgpr_queue_ptr 0
		.amdhsa_user_sgpr_kernarg_segment_ptr 1
		.amdhsa_user_sgpr_dispatch_id 0
		.amdhsa_user_sgpr_flat_scratch_init 0
		.amdhsa_user_sgpr_private_segment_size 0
		.amdhsa_uses_dynamic_stack 0
		.amdhsa_system_sgpr_private_segment_wavefront_offset 0
		.amdhsa_system_sgpr_workgroup_id_x 1
		.amdhsa_system_sgpr_workgroup_id_y 1
		.amdhsa_system_sgpr_workgroup_id_z 1
		.amdhsa_system_sgpr_workgroup_info 0
		.amdhsa_system_vgpr_workitem_id 1
		.amdhsa_next_free_vgpr 36
		.amdhsa_next_free_sgpr 20
		.amdhsa_reserve_vcc 1
		.amdhsa_reserve_flat_scratch 0
		.amdhsa_float_round_mode_32 0
		.amdhsa_float_round_mode_16_64 0
		.amdhsa_float_denorm_mode_32 3
		.amdhsa_float_denorm_mode_16_64 3
		.amdhsa_dx10_clamp 1
		.amdhsa_ieee_mode 1
		.amdhsa_fp16_overflow 0
		.amdhsa_exception_fp_ieee_invalid_op 0
		.amdhsa_exception_fp_denorm_src 0
		.amdhsa_exception_fp_ieee_div_zero 0
		.amdhsa_exception_fp_ieee_overflow 0
		.amdhsa_exception_fp_ieee_underflow 0
		.amdhsa_exception_fp_ieee_inexact 0
		.amdhsa_exception_int_div_zero 0
	.end_amdhsa_kernel
	.section	.text._ZL34rocblas_syrkx_herkx_general_kernelIifLi16ELi32ELi8ELb0ELb0ELc67ELc76EKPKfKPfEviT_T0_PT8_S5_lS8_S5_lS6_PT9_S5_li,"axG",@progbits,_ZL34rocblas_syrkx_herkx_general_kernelIifLi16ELi32ELi8ELb0ELb0ELc67ELc76EKPKfKPfEviT_T0_PT8_S5_lS8_S5_lS6_PT9_S5_li,comdat
.Lfunc_end531:
	.size	_ZL34rocblas_syrkx_herkx_general_kernelIifLi16ELi32ELi8ELb0ELb0ELc67ELc76EKPKfKPfEviT_T0_PT8_S5_lS8_S5_lS6_PT9_S5_li, .Lfunc_end531-_ZL34rocblas_syrkx_herkx_general_kernelIifLi16ELi32ELi8ELb0ELb0ELc67ELc76EKPKfKPfEviT_T0_PT8_S5_lS8_S5_lS6_PT9_S5_li
                                        ; -- End function
	.set _ZL34rocblas_syrkx_herkx_general_kernelIifLi16ELi32ELi8ELb0ELb0ELc67ELc76EKPKfKPfEviT_T0_PT8_S5_lS8_S5_lS6_PT9_S5_li.num_vgpr, 36
	.set _ZL34rocblas_syrkx_herkx_general_kernelIifLi16ELi32ELi8ELb0ELb0ELc67ELc76EKPKfKPfEviT_T0_PT8_S5_lS8_S5_lS6_PT9_S5_li.num_agpr, 0
	.set _ZL34rocblas_syrkx_herkx_general_kernelIifLi16ELi32ELi8ELb0ELb0ELc67ELc76EKPKfKPfEviT_T0_PT8_S5_lS8_S5_lS6_PT9_S5_li.numbered_sgpr, 20
	.set _ZL34rocblas_syrkx_herkx_general_kernelIifLi16ELi32ELi8ELb0ELb0ELc67ELc76EKPKfKPfEviT_T0_PT8_S5_lS8_S5_lS6_PT9_S5_li.num_named_barrier, 0
	.set _ZL34rocblas_syrkx_herkx_general_kernelIifLi16ELi32ELi8ELb0ELb0ELc67ELc76EKPKfKPfEviT_T0_PT8_S5_lS8_S5_lS6_PT9_S5_li.private_seg_size, 0
	.set _ZL34rocblas_syrkx_herkx_general_kernelIifLi16ELi32ELi8ELb0ELb0ELc67ELc76EKPKfKPfEviT_T0_PT8_S5_lS8_S5_lS6_PT9_S5_li.uses_vcc, 1
	.set _ZL34rocblas_syrkx_herkx_general_kernelIifLi16ELi32ELi8ELb0ELb0ELc67ELc76EKPKfKPfEviT_T0_PT8_S5_lS8_S5_lS6_PT9_S5_li.uses_flat_scratch, 0
	.set _ZL34rocblas_syrkx_herkx_general_kernelIifLi16ELi32ELi8ELb0ELb0ELc67ELc76EKPKfKPfEviT_T0_PT8_S5_lS8_S5_lS6_PT9_S5_li.has_dyn_sized_stack, 0
	.set _ZL34rocblas_syrkx_herkx_general_kernelIifLi16ELi32ELi8ELb0ELb0ELc67ELc76EKPKfKPfEviT_T0_PT8_S5_lS8_S5_lS6_PT9_S5_li.has_recursion, 0
	.set _ZL34rocblas_syrkx_herkx_general_kernelIifLi16ELi32ELi8ELb0ELb0ELc67ELc76EKPKfKPfEviT_T0_PT8_S5_lS8_S5_lS6_PT9_S5_li.has_indirect_call, 0
	.section	.AMDGPU.csdata,"",@progbits
; Kernel info:
; codeLenInByte = 1212
; TotalNumSgprs: 24
; NumVgprs: 36
; ScratchSize: 0
; MemoryBound: 0
; FloatMode: 240
; IeeeMode: 1
; LDSByteSize: 2048 bytes/workgroup (compile time only)
; SGPRBlocks: 2
; VGPRBlocks: 8
; NumSGPRsForWavesPerEU: 24
; NumVGPRsForWavesPerEU: 36
; Occupancy: 7
; WaveLimiterHint : 1
; COMPUTE_PGM_RSRC2:SCRATCH_EN: 0
; COMPUTE_PGM_RSRC2:USER_SGPR: 6
; COMPUTE_PGM_RSRC2:TRAP_HANDLER: 0
; COMPUTE_PGM_RSRC2:TGID_X_EN: 1
; COMPUTE_PGM_RSRC2:TGID_Y_EN: 1
; COMPUTE_PGM_RSRC2:TGID_Z_EN: 1
; COMPUTE_PGM_RSRC2:TIDIG_COMP_CNT: 1
	.section	.text._ZL34rocblas_syrkx_herkx_general_kernelIifLi16ELi32ELi8ELb0ELb0ELc78ELc76EKPKfKPfEviT_T0_PT8_S5_lS8_S5_lS6_PT9_S5_li,"axG",@progbits,_ZL34rocblas_syrkx_herkx_general_kernelIifLi16ELi32ELi8ELb0ELb0ELc78ELc76EKPKfKPfEviT_T0_PT8_S5_lS8_S5_lS6_PT9_S5_li,comdat
	.globl	_ZL34rocblas_syrkx_herkx_general_kernelIifLi16ELi32ELi8ELb0ELb0ELc78ELc76EKPKfKPfEviT_T0_PT8_S5_lS8_S5_lS6_PT9_S5_li ; -- Begin function _ZL34rocblas_syrkx_herkx_general_kernelIifLi16ELi32ELi8ELb0ELb0ELc78ELc76EKPKfKPfEviT_T0_PT8_S5_lS8_S5_lS6_PT9_S5_li
	.p2align	8
	.type	_ZL34rocblas_syrkx_herkx_general_kernelIifLi16ELi32ELi8ELb0ELb0ELc78ELc76EKPKfKPfEviT_T0_PT8_S5_lS8_S5_lS6_PT9_S5_li,@function
_ZL34rocblas_syrkx_herkx_general_kernelIifLi16ELi32ELi8ELb0ELb0ELc78ELc76EKPKfKPfEviT_T0_PT8_S5_lS8_S5_lS6_PT9_S5_li: ; @_ZL34rocblas_syrkx_herkx_general_kernelIifLi16ELi32ELi8ELb0ELb0ELc78ELc76EKPKfKPfEviT_T0_PT8_S5_lS8_S5_lS6_PT9_S5_li
; %bb.0:
	s_load_dwordx2 s[2:3], s[4:5], 0x48
	s_load_dwordx4 s[12:15], s[4:5], 0x0
	s_mov_b32 s9, 0
	s_lshl_b64 s[0:1], s[8:9], 3
	s_waitcnt lgkmcnt(0)
	s_add_u32 s2, s2, s0
	s_addc_u32 s3, s3, s1
	s_load_dwordx2 s[10:11], s[2:3], 0x0
	s_lshl_b32 s8, s6, 5
	s_lshl_b32 s15, s7, 5
	s_cmp_lt_i32 s13, 1
	s_cbranch_scc1 .LBB532_7
; %bb.1:
	s_load_dword s6, s[4:5], 0x18
	s_load_dword s16, s[4:5], 0x30
	s_load_dwordx2 s[2:3], s[4:5], 0x10
	s_load_dwordx2 s[18:19], s[4:5], 0x28
	v_lshl_add_u32 v2, v1, 4, v0
	v_and_b32_e32 v6, 31, v2
	s_waitcnt lgkmcnt(0)
	s_ashr_i32 s7, s6, 31
	s_ashr_i32 s17, s16, 31
	v_lshrrev_b32_e32 v10, 5, v2
	v_lshrrev_b32_e32 v3, 3, v2
	v_or_b32_e32 v2, s8, v6
	v_and_b32_e32 v9, 7, v0
	s_add_u32 s18, s18, s0
	v_cmp_gt_i32_e32 vcc, s12, v2
	v_lshlrev_b32_e32 v2, 2, v6
	s_addc_u32 s19, s19, s1
	v_lshl_or_b32 v12, v10, 7, v2
	v_lshlrev_b32_e32 v2, 2, v9
	s_add_u32 s0, s2, s0
	v_lshl_or_b32 v2, v3, 5, v2
	v_add_u32_e32 v4, s15, v3
	s_addc_u32 s1, s3, s1
	v_add_u32_e32 v13, 0x400, v2
	v_mad_i64_i32 v[2:3], s[2:3], v10, s6, 0
	v_mov_b32_e32 v7, 0x400
	v_add_u32_e32 v6, s8, v6
	v_lshl_add_u32 v15, v1, 5, v7
	v_ashrrev_i32_e32 v7, 31, v6
	v_lshlrev_b64 v[2:3], 2, v[2:3]
	v_lshlrev_b64 v[6:7], 2, v[6:7]
	s_load_dwordx2 s[20:21], s[0:1], 0x0
	v_add_co_u32_e64 v2, s[2:3], v2, v6
	v_addc_co_u32_e64 v3, s[2:3], v3, v7, s[2:3]
	v_mad_i64_i32 v[6:7], s[2:3], s16, v9, 0
	s_load_dwordx2 s[18:19], s[18:19], 0x0
	v_ashrrev_i32_e32 v5, 31, v4
	v_cmp_gt_i32_e64 s[0:1], s12, v4
	s_waitcnt lgkmcnt(0)
	v_mov_b32_e32 v8, s21
	v_add_co_u32_e64 v2, s[2:3], s20, v2
	v_lshlrev_b64 v[6:7], 2, v[6:7]
	v_lshlrev_b64 v[4:5], 2, v[4:5]
	v_addc_co_u32_e64 v3, s[2:3], v8, v3, s[2:3]
	v_add_co_u32_e64 v4, s[2:3], v6, v4
	v_addc_co_u32_e64 v5, s[2:3], v7, v5, s[2:3]
	v_mov_b32_e32 v6, s19
	v_add_co_u32_e64 v4, s[2:3], s18, v4
	v_lshlrev_b32_e32 v14, 2, v0
	s_lshl_b64 s[6:7], s[6:7], 5
	v_addc_co_u32_e64 v5, s[2:3], v6, v5, s[2:3]
	s_lshl_b64 s[16:17], s[16:17], 5
	v_mov_b32_e32 v6, 0
	v_mov_b32_e32 v7, 0
	;; [unrolled: 1-line block ×4, first 2 shown]
	s_branch .LBB532_3
.LBB532_2:                              ;   in Loop: Header=BB532_3 Depth=1
	s_or_b64 exec, exec, s[2:3]
	s_waitcnt vmcnt(0) lgkmcnt(0)
	ds_write_b32 v13, v16
	s_waitcnt lgkmcnt(0)
	s_barrier
	ds_read2_b32 v[28:29], v14 offset1:16
	ds_read_b128 v[16:19], v15
	ds_read2_b32 v[30:31], v14 offset0:32 offset1:48
	ds_read2_b32 v[32:33], v14 offset0:64 offset1:80
	ds_read_b128 v[20:23], v15 offset:16
	ds_read2_b32 v[34:35], v14 offset0:96 offset1:112
	s_waitcnt lgkmcnt(4)
	v_fmac_f32_e32 v11, v28, v16
	v_fmac_f32_e32 v8, v29, v16
	s_waitcnt lgkmcnt(3)
	v_fmac_f32_e32 v11, v30, v17
	v_fmac_f32_e32 v8, v31, v17
	;; [unrolled: 3-line block ×4, first 2 shown]
	ds_read_b128 v[16:19], v15 offset:512
	ds_read_b128 v[24:27], v15 offset:528
	v_add_co_u32_e64 v2, s[2:3], s6, v2
	s_add_i32 s9, s9, 8
	s_waitcnt lgkmcnt(1)
	v_fmac_f32_e32 v7, v28, v16
	v_fmac_f32_e32 v6, v29, v16
	;; [unrolled: 1-line block ×4, first 2 shown]
	ds_read2_b32 v[16:17], v14 offset0:128 offset1:144
	v_fmac_f32_e32 v7, v32, v18
	v_fmac_f32_e32 v6, v33, v18
	;; [unrolled: 1-line block ×4, first 2 shown]
	ds_read2_b32 v[18:19], v14 offset0:160 offset1:176
	ds_read2_b32 v[28:29], v14 offset0:192 offset1:208
	;; [unrolled: 1-line block ×3, first 2 shown]
	s_waitcnt lgkmcnt(3)
	v_fmac_f32_e32 v11, v16, v20
	v_fmac_f32_e32 v8, v17, v20
	;; [unrolled: 1-line block ×4, first 2 shown]
	v_mov_b32_e32 v16, s7
	s_waitcnt lgkmcnt(2)
	v_fmac_f32_e32 v11, v18, v21
	v_fmac_f32_e32 v8, v19, v21
	;; [unrolled: 1-line block ×4, first 2 shown]
	v_addc_co_u32_e64 v3, s[2:3], v3, v16, s[2:3]
	s_waitcnt lgkmcnt(1)
	v_fmac_f32_e32 v11, v28, v22
	v_fmac_f32_e32 v8, v29, v22
	;; [unrolled: 1-line block ×4, first 2 shown]
	v_mov_b32_e32 v16, s17
	v_add_co_u32_e64 v4, s[2:3], s16, v4
	s_waitcnt lgkmcnt(0)
	v_fmac_f32_e32 v11, v30, v23
	v_fmac_f32_e32 v8, v31, v23
	;; [unrolled: 1-line block ×4, first 2 shown]
	s_cmp_ge_i32 s9, s13
	v_addc_co_u32_e64 v5, s[2:3], v5, v16, s[2:3]
	s_barrier
	s_cbranch_scc1 .LBB532_8
.LBB532_3:                              ; =>This Inner Loop Header: Depth=1
	v_add_u32_e32 v16, s9, v10
	v_cmp_gt_i32_e64 s[2:3], s13, v16
	s_and_b64 s[18:19], vcc, s[2:3]
	v_mov_b32_e32 v16, 0
	s_and_saveexec_b64 s[2:3], s[18:19]
	s_cbranch_execz .LBB532_5
; %bb.4:                                ;   in Loop: Header=BB532_3 Depth=1
	flat_load_dword v16, v[2:3]
.LBB532_5:                              ;   in Loop: Header=BB532_3 Depth=1
	s_or_b64 exec, exec, s[2:3]
	s_waitcnt vmcnt(0) lgkmcnt(0)
	ds_write_b32 v12, v16
	v_add_u32_e32 v16, s9, v9
	v_cmp_gt_i32_e64 s[2:3], s13, v16
	s_and_b64 s[18:19], s[2:3], s[0:1]
	v_mov_b32_e32 v16, 0
	s_and_saveexec_b64 s[2:3], s[18:19]
	s_cbranch_execz .LBB532_2
; %bb.6:                                ;   in Loop: Header=BB532_3 Depth=1
	flat_load_dword v16, v[4:5]
	s_branch .LBB532_2
.LBB532_7:
	v_mov_b32_e32 v11, 0
	v_mov_b32_e32 v8, 0
	;; [unrolled: 1-line block ×4, first 2 shown]
.LBB532_8:
	s_load_dword s7, s[4:5], 0x50
	s_load_dword s6, s[4:5], 0x40
	v_add_u32_e32 v4, s15, v1
	s_waitcnt lgkmcnt(0)
	v_mov_b32_e32 v3, s11
	v_add_u32_e32 v0, s8, v0
	v_mad_i64_i32 v[1:2], s[0:1], v4, s7, 0
	v_cmp_le_i32_e64 s[0:1], v4, v0
	v_lshlrev_b64 v[1:2], 2, v[1:2]
	v_add_co_u32_e32 v5, vcc, s10, v1
	v_addc_co_u32_e32 v9, vcc, v3, v2, vcc
	v_cmp_gt_i32_e32 vcc, s12, v0
	s_and_b64 s[0:1], s[0:1], vcc
	s_and_saveexec_b64 s[2:3], s[0:1]
	s_cbranch_execz .LBB532_10
; %bb.9:
	v_ashrrev_i32_e32 v1, 31, v0
	v_lshlrev_b64 v[1:2], 2, v[0:1]
	v_add_co_u32_e64 v1, s[0:1], v5, v1
	v_addc_co_u32_e64 v2, s[0:1], v9, v2, s[0:1]
	flat_load_dword v3, v[1:2]
	s_waitcnt vmcnt(0) lgkmcnt(0)
	v_mul_f32_e32 v3, s6, v3
	v_fmac_f32_e32 v3, s14, v11
	flat_store_dword v[1:2], v3
.LBB532_10:
	s_or_b64 exec, exec, s[2:3]
	v_add_u32_e32 v2, 16, v0
	v_cmp_le_i32_e64 s[2:3], v4, v2
	v_cmp_gt_i32_e64 s[0:1], s12, v2
	s_and_b64 s[2:3], s[2:3], s[0:1]
	s_and_saveexec_b64 s[4:5], s[2:3]
	s_cbranch_execz .LBB532_12
; %bb.11:
	v_ashrrev_i32_e32 v3, 31, v2
	v_lshlrev_b64 v[10:11], 2, v[2:3]
	v_add_co_u32_e64 v10, s[2:3], v5, v10
	v_addc_co_u32_e64 v11, s[2:3], v9, v11, s[2:3]
	flat_load_dword v1, v[10:11]
	s_waitcnt vmcnt(0) lgkmcnt(0)
	v_mul_f32_e32 v1, s6, v1
	v_fmac_f32_e32 v1, s14, v8
	flat_store_dword v[10:11], v1
.LBB532_12:
	s_or_b64 exec, exec, s[4:5]
	v_add_u32_e32 v3, 16, v4
	v_mad_i64_i32 v[4:5], s[2:3], v3, s7, 0
	v_mov_b32_e32 v1, s11
	v_lshlrev_b64 v[4:5], 2, v[4:5]
	v_add_co_u32_e64 v4, s[2:3], s10, v4
	v_addc_co_u32_e64 v5, s[2:3], v1, v5, s[2:3]
	v_cmp_le_i32_e64 s[2:3], v3, v0
	s_and_b64 s[4:5], s[2:3], vcc
	s_and_saveexec_b64 s[2:3], s[4:5]
	s_cbranch_execz .LBB532_14
; %bb.13:
	v_ashrrev_i32_e32 v1, 31, v0
	v_lshlrev_b64 v[0:1], 2, v[0:1]
	v_add_co_u32_e32 v0, vcc, v4, v0
	v_addc_co_u32_e32 v1, vcc, v5, v1, vcc
	flat_load_dword v8, v[0:1]
	s_waitcnt vmcnt(0) lgkmcnt(0)
	v_mul_f32_e32 v8, s6, v8
	v_fmac_f32_e32 v8, s14, v7
	flat_store_dword v[0:1], v8
.LBB532_14:
	s_or_b64 exec, exec, s[2:3]
	v_cmp_le_i32_e32 vcc, v3, v2
	s_and_b64 s[0:1], vcc, s[0:1]
	s_and_saveexec_b64 s[2:3], s[0:1]
	s_cbranch_execz .LBB532_16
; %bb.15:
	v_ashrrev_i32_e32 v3, 31, v2
	v_lshlrev_b64 v[0:1], 2, v[2:3]
	v_add_co_u32_e32 v0, vcc, v4, v0
	v_addc_co_u32_e32 v1, vcc, v5, v1, vcc
	flat_load_dword v2, v[0:1]
	s_waitcnt vmcnt(0) lgkmcnt(0)
	v_mul_f32_e32 v2, s6, v2
	v_fmac_f32_e32 v2, s14, v6
	flat_store_dword v[0:1], v2
.LBB532_16:
	s_endpgm
	.section	.rodata,"a",@progbits
	.p2align	6, 0x0
	.amdhsa_kernel _ZL34rocblas_syrkx_herkx_general_kernelIifLi16ELi32ELi8ELb0ELb0ELc78ELc76EKPKfKPfEviT_T0_PT8_S5_lS8_S5_lS6_PT9_S5_li
		.amdhsa_group_segment_fixed_size 2048
		.amdhsa_private_segment_fixed_size 0
		.amdhsa_kernarg_size 100
		.amdhsa_user_sgpr_count 6
		.amdhsa_user_sgpr_private_segment_buffer 1
		.amdhsa_user_sgpr_dispatch_ptr 0
		.amdhsa_user_sgpr_queue_ptr 0
		.amdhsa_user_sgpr_kernarg_segment_ptr 1
		.amdhsa_user_sgpr_dispatch_id 0
		.amdhsa_user_sgpr_flat_scratch_init 0
		.amdhsa_user_sgpr_private_segment_size 0
		.amdhsa_uses_dynamic_stack 0
		.amdhsa_system_sgpr_private_segment_wavefront_offset 0
		.amdhsa_system_sgpr_workgroup_id_x 1
		.amdhsa_system_sgpr_workgroup_id_y 1
		.amdhsa_system_sgpr_workgroup_id_z 1
		.amdhsa_system_sgpr_workgroup_info 0
		.amdhsa_system_vgpr_workitem_id 1
		.amdhsa_next_free_vgpr 36
		.amdhsa_next_free_sgpr 22
		.amdhsa_reserve_vcc 1
		.amdhsa_reserve_flat_scratch 0
		.amdhsa_float_round_mode_32 0
		.amdhsa_float_round_mode_16_64 0
		.amdhsa_float_denorm_mode_32 3
		.amdhsa_float_denorm_mode_16_64 3
		.amdhsa_dx10_clamp 1
		.amdhsa_ieee_mode 1
		.amdhsa_fp16_overflow 0
		.amdhsa_exception_fp_ieee_invalid_op 0
		.amdhsa_exception_fp_denorm_src 0
		.amdhsa_exception_fp_ieee_div_zero 0
		.amdhsa_exception_fp_ieee_overflow 0
		.amdhsa_exception_fp_ieee_underflow 0
		.amdhsa_exception_fp_ieee_inexact 0
		.amdhsa_exception_int_div_zero 0
	.end_amdhsa_kernel
	.section	.text._ZL34rocblas_syrkx_herkx_general_kernelIifLi16ELi32ELi8ELb0ELb0ELc78ELc76EKPKfKPfEviT_T0_PT8_S5_lS8_S5_lS6_PT9_S5_li,"axG",@progbits,_ZL34rocblas_syrkx_herkx_general_kernelIifLi16ELi32ELi8ELb0ELb0ELc78ELc76EKPKfKPfEviT_T0_PT8_S5_lS8_S5_lS6_PT9_S5_li,comdat
.Lfunc_end532:
	.size	_ZL34rocblas_syrkx_herkx_general_kernelIifLi16ELi32ELi8ELb0ELb0ELc78ELc76EKPKfKPfEviT_T0_PT8_S5_lS8_S5_lS6_PT9_S5_li, .Lfunc_end532-_ZL34rocblas_syrkx_herkx_general_kernelIifLi16ELi32ELi8ELb0ELb0ELc78ELc76EKPKfKPfEviT_T0_PT8_S5_lS8_S5_lS6_PT9_S5_li
                                        ; -- End function
	.set _ZL34rocblas_syrkx_herkx_general_kernelIifLi16ELi32ELi8ELb0ELb0ELc78ELc76EKPKfKPfEviT_T0_PT8_S5_lS8_S5_lS6_PT9_S5_li.num_vgpr, 36
	.set _ZL34rocblas_syrkx_herkx_general_kernelIifLi16ELi32ELi8ELb0ELb0ELc78ELc76EKPKfKPfEviT_T0_PT8_S5_lS8_S5_lS6_PT9_S5_li.num_agpr, 0
	.set _ZL34rocblas_syrkx_herkx_general_kernelIifLi16ELi32ELi8ELb0ELb0ELc78ELc76EKPKfKPfEviT_T0_PT8_S5_lS8_S5_lS6_PT9_S5_li.numbered_sgpr, 22
	.set _ZL34rocblas_syrkx_herkx_general_kernelIifLi16ELi32ELi8ELb0ELb0ELc78ELc76EKPKfKPfEviT_T0_PT8_S5_lS8_S5_lS6_PT9_S5_li.num_named_barrier, 0
	.set _ZL34rocblas_syrkx_herkx_general_kernelIifLi16ELi32ELi8ELb0ELb0ELc78ELc76EKPKfKPfEviT_T0_PT8_S5_lS8_S5_lS6_PT9_S5_li.private_seg_size, 0
	.set _ZL34rocblas_syrkx_herkx_general_kernelIifLi16ELi32ELi8ELb0ELb0ELc78ELc76EKPKfKPfEviT_T0_PT8_S5_lS8_S5_lS6_PT9_S5_li.uses_vcc, 1
	.set _ZL34rocblas_syrkx_herkx_general_kernelIifLi16ELi32ELi8ELb0ELb0ELc78ELc76EKPKfKPfEviT_T0_PT8_S5_lS8_S5_lS6_PT9_S5_li.uses_flat_scratch, 0
	.set _ZL34rocblas_syrkx_herkx_general_kernelIifLi16ELi32ELi8ELb0ELb0ELc78ELc76EKPKfKPfEviT_T0_PT8_S5_lS8_S5_lS6_PT9_S5_li.has_dyn_sized_stack, 0
	.set _ZL34rocblas_syrkx_herkx_general_kernelIifLi16ELi32ELi8ELb0ELb0ELc78ELc76EKPKfKPfEviT_T0_PT8_S5_lS8_S5_lS6_PT9_S5_li.has_recursion, 0
	.set _ZL34rocblas_syrkx_herkx_general_kernelIifLi16ELi32ELi8ELb0ELb0ELc78ELc76EKPKfKPfEviT_T0_PT8_S5_lS8_S5_lS6_PT9_S5_li.has_indirect_call, 0
	.section	.AMDGPU.csdata,"",@progbits
; Kernel info:
; codeLenInByte = 1256
; TotalNumSgprs: 26
; NumVgprs: 36
; ScratchSize: 0
; MemoryBound: 0
; FloatMode: 240
; IeeeMode: 1
; LDSByteSize: 2048 bytes/workgroup (compile time only)
; SGPRBlocks: 3
; VGPRBlocks: 8
; NumSGPRsForWavesPerEU: 26
; NumVGPRsForWavesPerEU: 36
; Occupancy: 7
; WaveLimiterHint : 1
; COMPUTE_PGM_RSRC2:SCRATCH_EN: 0
; COMPUTE_PGM_RSRC2:USER_SGPR: 6
; COMPUTE_PGM_RSRC2:TRAP_HANDLER: 0
; COMPUTE_PGM_RSRC2:TGID_X_EN: 1
; COMPUTE_PGM_RSRC2:TGID_Y_EN: 1
; COMPUTE_PGM_RSRC2:TGID_Z_EN: 1
; COMPUTE_PGM_RSRC2:TIDIG_COMP_CNT: 1
	.section	.text._ZL34rocblas_syrkx_herkx_general_kernelIifLi16ELi32ELi8ELb0ELb0ELc84ELc85EKPKfKPfEviT_T0_PT8_S5_lS8_S5_lS6_PT9_S5_li,"axG",@progbits,_ZL34rocblas_syrkx_herkx_general_kernelIifLi16ELi32ELi8ELb0ELb0ELc84ELc85EKPKfKPfEviT_T0_PT8_S5_lS8_S5_lS6_PT9_S5_li,comdat
	.globl	_ZL34rocblas_syrkx_herkx_general_kernelIifLi16ELi32ELi8ELb0ELb0ELc84ELc85EKPKfKPfEviT_T0_PT8_S5_lS8_S5_lS6_PT9_S5_li ; -- Begin function _ZL34rocblas_syrkx_herkx_general_kernelIifLi16ELi32ELi8ELb0ELb0ELc84ELc85EKPKfKPfEviT_T0_PT8_S5_lS8_S5_lS6_PT9_S5_li
	.p2align	8
	.type	_ZL34rocblas_syrkx_herkx_general_kernelIifLi16ELi32ELi8ELb0ELb0ELc84ELc85EKPKfKPfEviT_T0_PT8_S5_lS8_S5_lS6_PT9_S5_li,@function
_ZL34rocblas_syrkx_herkx_general_kernelIifLi16ELi32ELi8ELb0ELb0ELc84ELc85EKPKfKPfEviT_T0_PT8_S5_lS8_S5_lS6_PT9_S5_li: ; @_ZL34rocblas_syrkx_herkx_general_kernelIifLi16ELi32ELi8ELb0ELb0ELc84ELc85EKPKfKPfEviT_T0_PT8_S5_lS8_S5_lS6_PT9_S5_li
; %bb.0:
	s_load_dwordx2 s[2:3], s[4:5], 0x48
	s_load_dwordx4 s[12:15], s[4:5], 0x0
	s_mov_b32 s9, 0
	s_lshl_b64 s[0:1], s[8:9], 3
	s_waitcnt lgkmcnt(0)
	s_add_u32 s2, s2, s0
	s_addc_u32 s3, s3, s1
	s_load_dwordx2 s[10:11], s[2:3], 0x0
	s_lshl_b32 s6, s6, 5
	s_lshl_b32 s7, s7, 5
	s_cmp_lt_i32 s13, 1
	s_cbranch_scc1 .LBB533_7
; %bb.1:
	s_load_dwordx2 s[2:3], s[4:5], 0x10
	s_load_dword s8, s[4:5], 0x18
	s_load_dwordx2 s[16:17], s[4:5], 0x28
	s_load_dword s15, s[4:5], 0x30
	v_lshl_add_u32 v2, v1, 4, v0
	v_and_b32_e32 v9, 7, v0
	v_lshrrev_b32_e32 v10, 5, v2
	v_lshrrev_b32_e32 v3, 3, v2
	v_and_b32_e32 v2, 31, v2
	s_waitcnt lgkmcnt(0)
	s_add_u32 s16, s16, s0
	v_or_b32_e32 v5, s6, v2
	s_addc_u32 s17, s17, s1
	v_lshlrev_b32_e32 v7, 2, v9
	v_add_u32_e32 v4, s7, v3
	s_add_u32 s0, s2, s0
	v_cmp_gt_i32_e32 vcc, s12, v5
	v_lshlrev_b32_e32 v5, 2, v2
	v_lshl_or_b32 v3, v3, 5, v7
	v_add_u32_e32 v2, s6, v2
	s_addc_u32 s1, s3, s1
	v_add_u32_e32 v13, 0x400, v3
	v_mad_i64_i32 v[2:3], s[2:3], s8, v2, 0
	v_lshl_or_b32 v12, v10, 7, v5
	v_mov_b32_e32 v5, 0x400
	v_lshlrev_b64 v[2:3], 2, v[2:3]
	v_lshl_add_u32 v15, v1, 5, v5
	v_lshlrev_b32_e32 v5, 2, v10
	s_load_dwordx2 s[18:19], s[0:1], 0x0
	v_add_co_u32_e64 v2, s[2:3], v2, v5
	v_cmp_gt_i32_e64 s[0:1], s12, v4
	v_addc_co_u32_e64 v3, s[2:3], 0, v3, s[2:3]
	v_mad_i64_i32 v[4:5], s[2:3], s15, v4, 0
	s_load_dwordx2 s[16:17], s[16:17], 0x0
	s_waitcnt lgkmcnt(0)
	v_mov_b32_e32 v8, s19
	v_add_co_u32_e64 v2, s[2:3], s18, v2
	v_lshlrev_b64 v[4:5], 2, v[4:5]
	v_addc_co_u32_e64 v3, s[2:3], v8, v3, s[2:3]
	v_add_co_u32_e64 v4, s[2:3], v4, v7
	v_addc_co_u32_e64 v5, s[2:3], 0, v5, s[2:3]
	v_mov_b32_e32 v7, s17
	v_add_co_u32_e64 v4, s[2:3], s16, v4
	v_lshlrev_b32_e32 v14, 2, v0
	v_mov_b32_e32 v6, 0
	v_addc_co_u32_e64 v5, s[2:3], v7, v5, s[2:3]
	v_mov_b32_e32 v7, 0
	v_mov_b32_e32 v8, 0
	;; [unrolled: 1-line block ×3, first 2 shown]
	s_branch .LBB533_3
.LBB533_2:                              ;   in Loop: Header=BB533_3 Depth=1
	s_or_b64 exec, exec, s[2:3]
	s_waitcnt vmcnt(0) lgkmcnt(0)
	ds_write_b32 v13, v16
	s_waitcnt lgkmcnt(0)
	s_barrier
	ds_read2_b32 v[28:29], v14 offset1:16
	ds_read_b128 v[16:19], v15
	ds_read2_b32 v[30:31], v14 offset0:32 offset1:48
	ds_read2_b32 v[32:33], v14 offset0:64 offset1:80
	ds_read_b128 v[20:23], v15 offset:16
	ds_read2_b32 v[34:35], v14 offset0:96 offset1:112
	s_waitcnt lgkmcnt(4)
	v_fmac_f32_e32 v11, v28, v16
	v_fmac_f32_e32 v8, v29, v16
	s_waitcnt lgkmcnt(3)
	v_fmac_f32_e32 v11, v30, v17
	v_fmac_f32_e32 v8, v31, v17
	;; [unrolled: 3-line block ×4, first 2 shown]
	ds_read_b128 v[16:19], v15 offset:512
	ds_read_b128 v[24:27], v15 offset:528
	v_add_co_u32_e64 v2, s[2:3], 32, v2
	v_addc_co_u32_e64 v3, s[2:3], 0, v3, s[2:3]
	s_waitcnt lgkmcnt(1)
	v_fmac_f32_e32 v7, v28, v16
	v_fmac_f32_e32 v6, v29, v16
	;; [unrolled: 1-line block ×4, first 2 shown]
	ds_read2_b32 v[16:17], v14 offset0:128 offset1:144
	v_fmac_f32_e32 v7, v32, v18
	v_fmac_f32_e32 v6, v33, v18
	;; [unrolled: 1-line block ×4, first 2 shown]
	ds_read2_b32 v[18:19], v14 offset0:160 offset1:176
	ds_read2_b32 v[28:29], v14 offset0:192 offset1:208
	;; [unrolled: 1-line block ×3, first 2 shown]
	s_waitcnt lgkmcnt(3)
	v_fmac_f32_e32 v11, v16, v20
	v_fmac_f32_e32 v8, v17, v20
	v_fmac_f32_e32 v7, v16, v24
	v_fmac_f32_e32 v6, v17, v24
	s_waitcnt lgkmcnt(2)
	v_fmac_f32_e32 v11, v18, v21
	v_fmac_f32_e32 v8, v19, v21
	v_fmac_f32_e32 v7, v18, v25
	v_fmac_f32_e32 v6, v19, v25
	;; [unrolled: 5-line block ×3, first 2 shown]
	s_add_i32 s9, s9, 8
	v_add_co_u32_e64 v4, s[2:3], 32, v4
	s_waitcnt lgkmcnt(0)
	v_fmac_f32_e32 v11, v30, v23
	v_fmac_f32_e32 v8, v31, v23
	v_fmac_f32_e32 v7, v30, v27
	v_fmac_f32_e32 v6, v31, v27
	s_cmp_ge_i32 s9, s13
	v_addc_co_u32_e64 v5, s[2:3], 0, v5, s[2:3]
	s_barrier
	s_cbranch_scc1 .LBB533_8
.LBB533_3:                              ; =>This Inner Loop Header: Depth=1
	v_add_u32_e32 v16, s9, v10
	v_cmp_gt_i32_e64 s[2:3], s13, v16
	s_and_b64 s[16:17], vcc, s[2:3]
	v_mov_b32_e32 v16, 0
	s_and_saveexec_b64 s[2:3], s[16:17]
	s_cbranch_execz .LBB533_5
; %bb.4:                                ;   in Loop: Header=BB533_3 Depth=1
	flat_load_dword v16, v[2:3]
.LBB533_5:                              ;   in Loop: Header=BB533_3 Depth=1
	s_or_b64 exec, exec, s[2:3]
	s_waitcnt vmcnt(0) lgkmcnt(0)
	ds_write_b32 v12, v16
	v_add_u32_e32 v16, s9, v9
	v_cmp_gt_i32_e64 s[2:3], s13, v16
	s_and_b64 s[16:17], s[2:3], s[0:1]
	v_mov_b32_e32 v16, 0
	s_and_saveexec_b64 s[2:3], s[16:17]
	s_cbranch_execz .LBB533_2
; %bb.6:                                ;   in Loop: Header=BB533_3 Depth=1
	flat_load_dword v16, v[4:5]
	s_branch .LBB533_2
.LBB533_7:
	v_mov_b32_e32 v11, 0
	v_mov_b32_e32 v8, 0
	;; [unrolled: 1-line block ×4, first 2 shown]
.LBB533_8:
	s_load_dword s9, s[4:5], 0x50
	s_load_dword s8, s[4:5], 0x40
	v_add_u32_e32 v4, s7, v1
	s_waitcnt lgkmcnt(0)
	v_mov_b32_e32 v3, s11
	v_add_u32_e32 v0, s6, v0
	v_mad_i64_i32 v[1:2], s[0:1], v4, s9, 0
	v_cmp_gt_i32_e32 vcc, s12, v4
	v_lshlrev_b64 v[1:2], 2, v[1:2]
	v_add_co_u32_e64 v5, s[0:1], s10, v1
	v_addc_co_u32_e64 v9, s[0:1], v3, v2, s[0:1]
	v_cmp_le_i32_e64 s[0:1], v0, v4
	s_and_b64 s[0:1], vcc, s[0:1]
	s_and_saveexec_b64 s[2:3], s[0:1]
	s_cbranch_execz .LBB533_10
; %bb.9:
	v_ashrrev_i32_e32 v1, 31, v0
	v_lshlrev_b64 v[1:2], 2, v[0:1]
	v_add_co_u32_e64 v1, s[0:1], v5, v1
	v_addc_co_u32_e64 v2, s[0:1], v9, v2, s[0:1]
	flat_load_dword v3, v[1:2]
	s_waitcnt vmcnt(0) lgkmcnt(0)
	v_mul_f32_e32 v3, s8, v3
	v_fmac_f32_e32 v3, s14, v11
	flat_store_dword v[1:2], v3
.LBB533_10:
	s_or_b64 exec, exec, s[2:3]
	v_add_u32_e32 v2, 16, v0
	v_cmp_le_i32_e64 s[0:1], v2, v4
	s_and_b64 s[2:3], vcc, s[0:1]
	s_and_saveexec_b64 s[0:1], s[2:3]
	s_cbranch_execz .LBB533_12
; %bb.11:
	v_ashrrev_i32_e32 v3, 31, v2
	v_lshlrev_b64 v[10:11], 2, v[2:3]
	v_add_co_u32_e32 v10, vcc, v5, v10
	v_addc_co_u32_e32 v11, vcc, v9, v11, vcc
	flat_load_dword v1, v[10:11]
	s_waitcnt vmcnt(0) lgkmcnt(0)
	v_mul_f32_e32 v1, s8, v1
	v_fmac_f32_e32 v1, s14, v8
	flat_store_dword v[10:11], v1
.LBB533_12:
	s_or_b64 exec, exec, s[0:1]
	v_add_u32_e32 v3, 16, v4
	v_mad_i64_i32 v[4:5], s[0:1], v3, s9, 0
	v_mov_b32_e32 v1, s11
	v_cmp_gt_i32_e32 vcc, s12, v3
	v_lshlrev_b64 v[4:5], 2, v[4:5]
	v_add_co_u32_e64 v4, s[0:1], s10, v4
	v_addc_co_u32_e64 v5, s[0:1], v1, v5, s[0:1]
	v_cmp_le_i32_e64 s[0:1], v0, v3
	s_and_b64 s[0:1], vcc, s[0:1]
	s_and_saveexec_b64 s[2:3], s[0:1]
	s_cbranch_execz .LBB533_14
; %bb.13:
	v_ashrrev_i32_e32 v1, 31, v0
	v_lshlrev_b64 v[0:1], 2, v[0:1]
	v_add_co_u32_e64 v0, s[0:1], v4, v0
	v_addc_co_u32_e64 v1, s[0:1], v5, v1, s[0:1]
	flat_load_dword v8, v[0:1]
	s_waitcnt vmcnt(0) lgkmcnt(0)
	v_mul_f32_e32 v8, s8, v8
	v_fmac_f32_e32 v8, s14, v7
	flat_store_dword v[0:1], v8
.LBB533_14:
	s_or_b64 exec, exec, s[2:3]
	v_cmp_le_i32_e64 s[0:1], v2, v3
	s_and_b64 s[0:1], vcc, s[0:1]
	s_and_saveexec_b64 s[2:3], s[0:1]
	s_cbranch_execz .LBB533_16
; %bb.15:
	v_ashrrev_i32_e32 v3, 31, v2
	v_lshlrev_b64 v[0:1], 2, v[2:3]
	v_add_co_u32_e32 v0, vcc, v4, v0
	v_addc_co_u32_e32 v1, vcc, v5, v1, vcc
	flat_load_dword v2, v[0:1]
	s_waitcnt vmcnt(0) lgkmcnt(0)
	v_mul_f32_e32 v2, s8, v2
	v_fmac_f32_e32 v2, s14, v6
	flat_store_dword v[0:1], v2
.LBB533_16:
	s_endpgm
	.section	.rodata,"a",@progbits
	.p2align	6, 0x0
	.amdhsa_kernel _ZL34rocblas_syrkx_herkx_general_kernelIifLi16ELi32ELi8ELb0ELb0ELc84ELc85EKPKfKPfEviT_T0_PT8_S5_lS8_S5_lS6_PT9_S5_li
		.amdhsa_group_segment_fixed_size 2048
		.amdhsa_private_segment_fixed_size 0
		.amdhsa_kernarg_size 100
		.amdhsa_user_sgpr_count 6
		.amdhsa_user_sgpr_private_segment_buffer 1
		.amdhsa_user_sgpr_dispatch_ptr 0
		.amdhsa_user_sgpr_queue_ptr 0
		.amdhsa_user_sgpr_kernarg_segment_ptr 1
		.amdhsa_user_sgpr_dispatch_id 0
		.amdhsa_user_sgpr_flat_scratch_init 0
		.amdhsa_user_sgpr_private_segment_size 0
		.amdhsa_uses_dynamic_stack 0
		.amdhsa_system_sgpr_private_segment_wavefront_offset 0
		.amdhsa_system_sgpr_workgroup_id_x 1
		.amdhsa_system_sgpr_workgroup_id_y 1
		.amdhsa_system_sgpr_workgroup_id_z 1
		.amdhsa_system_sgpr_workgroup_info 0
		.amdhsa_system_vgpr_workitem_id 1
		.amdhsa_next_free_vgpr 36
		.amdhsa_next_free_sgpr 20
		.amdhsa_reserve_vcc 1
		.amdhsa_reserve_flat_scratch 0
		.amdhsa_float_round_mode_32 0
		.amdhsa_float_round_mode_16_64 0
		.amdhsa_float_denorm_mode_32 3
		.amdhsa_float_denorm_mode_16_64 3
		.amdhsa_dx10_clamp 1
		.amdhsa_ieee_mode 1
		.amdhsa_fp16_overflow 0
		.amdhsa_exception_fp_ieee_invalid_op 0
		.amdhsa_exception_fp_denorm_src 0
		.amdhsa_exception_fp_ieee_div_zero 0
		.amdhsa_exception_fp_ieee_overflow 0
		.amdhsa_exception_fp_ieee_underflow 0
		.amdhsa_exception_fp_ieee_inexact 0
		.amdhsa_exception_int_div_zero 0
	.end_amdhsa_kernel
	.section	.text._ZL34rocblas_syrkx_herkx_general_kernelIifLi16ELi32ELi8ELb0ELb0ELc84ELc85EKPKfKPfEviT_T0_PT8_S5_lS8_S5_lS6_PT9_S5_li,"axG",@progbits,_ZL34rocblas_syrkx_herkx_general_kernelIifLi16ELi32ELi8ELb0ELb0ELc84ELc85EKPKfKPfEviT_T0_PT8_S5_lS8_S5_lS6_PT9_S5_li,comdat
.Lfunc_end533:
	.size	_ZL34rocblas_syrkx_herkx_general_kernelIifLi16ELi32ELi8ELb0ELb0ELc84ELc85EKPKfKPfEviT_T0_PT8_S5_lS8_S5_lS6_PT9_S5_li, .Lfunc_end533-_ZL34rocblas_syrkx_herkx_general_kernelIifLi16ELi32ELi8ELb0ELb0ELc84ELc85EKPKfKPfEviT_T0_PT8_S5_lS8_S5_lS6_PT9_S5_li
                                        ; -- End function
	.set _ZL34rocblas_syrkx_herkx_general_kernelIifLi16ELi32ELi8ELb0ELb0ELc84ELc85EKPKfKPfEviT_T0_PT8_S5_lS8_S5_lS6_PT9_S5_li.num_vgpr, 36
	.set _ZL34rocblas_syrkx_herkx_general_kernelIifLi16ELi32ELi8ELb0ELb0ELc84ELc85EKPKfKPfEviT_T0_PT8_S5_lS8_S5_lS6_PT9_S5_li.num_agpr, 0
	.set _ZL34rocblas_syrkx_herkx_general_kernelIifLi16ELi32ELi8ELb0ELb0ELc84ELc85EKPKfKPfEviT_T0_PT8_S5_lS8_S5_lS6_PT9_S5_li.numbered_sgpr, 20
	.set _ZL34rocblas_syrkx_herkx_general_kernelIifLi16ELi32ELi8ELb0ELb0ELc84ELc85EKPKfKPfEviT_T0_PT8_S5_lS8_S5_lS6_PT9_S5_li.num_named_barrier, 0
	.set _ZL34rocblas_syrkx_herkx_general_kernelIifLi16ELi32ELi8ELb0ELb0ELc84ELc85EKPKfKPfEviT_T0_PT8_S5_lS8_S5_lS6_PT9_S5_li.private_seg_size, 0
	.set _ZL34rocblas_syrkx_herkx_general_kernelIifLi16ELi32ELi8ELb0ELb0ELc84ELc85EKPKfKPfEviT_T0_PT8_S5_lS8_S5_lS6_PT9_S5_li.uses_vcc, 1
	.set _ZL34rocblas_syrkx_herkx_general_kernelIifLi16ELi32ELi8ELb0ELb0ELc84ELc85EKPKfKPfEviT_T0_PT8_S5_lS8_S5_lS6_PT9_S5_li.uses_flat_scratch, 0
	.set _ZL34rocblas_syrkx_herkx_general_kernelIifLi16ELi32ELi8ELb0ELb0ELc84ELc85EKPKfKPfEviT_T0_PT8_S5_lS8_S5_lS6_PT9_S5_li.has_dyn_sized_stack, 0
	.set _ZL34rocblas_syrkx_herkx_general_kernelIifLi16ELi32ELi8ELb0ELb0ELc84ELc85EKPKfKPfEviT_T0_PT8_S5_lS8_S5_lS6_PT9_S5_li.has_recursion, 0
	.set _ZL34rocblas_syrkx_herkx_general_kernelIifLi16ELi32ELi8ELb0ELb0ELc84ELc85EKPKfKPfEviT_T0_PT8_S5_lS8_S5_lS6_PT9_S5_li.has_indirect_call, 0
	.section	.AMDGPU.csdata,"",@progbits
; Kernel info:
; codeLenInByte = 1220
; TotalNumSgprs: 24
; NumVgprs: 36
; ScratchSize: 0
; MemoryBound: 0
; FloatMode: 240
; IeeeMode: 1
; LDSByteSize: 2048 bytes/workgroup (compile time only)
; SGPRBlocks: 2
; VGPRBlocks: 8
; NumSGPRsForWavesPerEU: 24
; NumVGPRsForWavesPerEU: 36
; Occupancy: 7
; WaveLimiterHint : 1
; COMPUTE_PGM_RSRC2:SCRATCH_EN: 0
; COMPUTE_PGM_RSRC2:USER_SGPR: 6
; COMPUTE_PGM_RSRC2:TRAP_HANDLER: 0
; COMPUTE_PGM_RSRC2:TGID_X_EN: 1
; COMPUTE_PGM_RSRC2:TGID_Y_EN: 1
; COMPUTE_PGM_RSRC2:TGID_Z_EN: 1
; COMPUTE_PGM_RSRC2:TIDIG_COMP_CNT: 1
	.section	.text._ZL34rocblas_syrkx_herkx_general_kernelIifLi16ELi32ELi8ELb0ELb0ELc67ELc85EKPKfKPfEviT_T0_PT8_S5_lS8_S5_lS6_PT9_S5_li,"axG",@progbits,_ZL34rocblas_syrkx_herkx_general_kernelIifLi16ELi32ELi8ELb0ELb0ELc67ELc85EKPKfKPfEviT_T0_PT8_S5_lS8_S5_lS6_PT9_S5_li,comdat
	.globl	_ZL34rocblas_syrkx_herkx_general_kernelIifLi16ELi32ELi8ELb0ELb0ELc67ELc85EKPKfKPfEviT_T0_PT8_S5_lS8_S5_lS6_PT9_S5_li ; -- Begin function _ZL34rocblas_syrkx_herkx_general_kernelIifLi16ELi32ELi8ELb0ELb0ELc67ELc85EKPKfKPfEviT_T0_PT8_S5_lS8_S5_lS6_PT9_S5_li
	.p2align	8
	.type	_ZL34rocblas_syrkx_herkx_general_kernelIifLi16ELi32ELi8ELb0ELb0ELc67ELc85EKPKfKPfEviT_T0_PT8_S5_lS8_S5_lS6_PT9_S5_li,@function
_ZL34rocblas_syrkx_herkx_general_kernelIifLi16ELi32ELi8ELb0ELb0ELc67ELc85EKPKfKPfEviT_T0_PT8_S5_lS8_S5_lS6_PT9_S5_li: ; @_ZL34rocblas_syrkx_herkx_general_kernelIifLi16ELi32ELi8ELb0ELb0ELc67ELc85EKPKfKPfEviT_T0_PT8_S5_lS8_S5_lS6_PT9_S5_li
; %bb.0:
	s_load_dwordx2 s[2:3], s[4:5], 0x48
	s_load_dwordx4 s[12:15], s[4:5], 0x0
	s_mov_b32 s9, 0
	s_lshl_b64 s[0:1], s[8:9], 3
	s_waitcnt lgkmcnt(0)
	s_add_u32 s2, s2, s0
	s_addc_u32 s3, s3, s1
	s_load_dwordx2 s[10:11], s[2:3], 0x0
	s_lshl_b32 s6, s6, 5
	s_lshl_b32 s7, s7, 5
	s_cmp_lt_i32 s13, 1
	s_cbranch_scc1 .LBB534_7
; %bb.1:
	s_load_dwordx2 s[2:3], s[4:5], 0x10
	s_load_dword s8, s[4:5], 0x18
	s_load_dwordx2 s[16:17], s[4:5], 0x28
	s_load_dword s15, s[4:5], 0x30
	v_lshl_add_u32 v2, v1, 4, v0
	v_and_b32_e32 v9, 7, v0
	v_lshrrev_b32_e32 v10, 5, v2
	v_lshrrev_b32_e32 v3, 3, v2
	v_and_b32_e32 v2, 31, v2
	s_waitcnt lgkmcnt(0)
	s_add_u32 s16, s16, s0
	v_or_b32_e32 v5, s6, v2
	s_addc_u32 s17, s17, s1
	v_lshlrev_b32_e32 v7, 2, v9
	v_add_u32_e32 v4, s7, v3
	s_add_u32 s0, s2, s0
	v_cmp_gt_i32_e32 vcc, s12, v5
	v_lshlrev_b32_e32 v5, 2, v2
	v_lshl_or_b32 v3, v3, 5, v7
	v_add_u32_e32 v2, s6, v2
	s_addc_u32 s1, s3, s1
	v_add_u32_e32 v13, 0x400, v3
	v_mad_i64_i32 v[2:3], s[2:3], s8, v2, 0
	v_lshl_or_b32 v12, v10, 7, v5
	v_mov_b32_e32 v5, 0x400
	v_lshlrev_b64 v[2:3], 2, v[2:3]
	v_lshl_add_u32 v15, v1, 5, v5
	v_lshlrev_b32_e32 v5, 2, v10
	s_load_dwordx2 s[18:19], s[0:1], 0x0
	v_add_co_u32_e64 v2, s[2:3], v2, v5
	v_cmp_gt_i32_e64 s[0:1], s12, v4
	v_addc_co_u32_e64 v3, s[2:3], 0, v3, s[2:3]
	v_mad_i64_i32 v[4:5], s[2:3], s15, v4, 0
	s_load_dwordx2 s[16:17], s[16:17], 0x0
	s_waitcnt lgkmcnt(0)
	v_mov_b32_e32 v8, s19
	v_add_co_u32_e64 v2, s[2:3], s18, v2
	v_lshlrev_b64 v[4:5], 2, v[4:5]
	v_addc_co_u32_e64 v3, s[2:3], v8, v3, s[2:3]
	v_add_co_u32_e64 v4, s[2:3], v4, v7
	v_addc_co_u32_e64 v5, s[2:3], 0, v5, s[2:3]
	v_mov_b32_e32 v7, s17
	v_add_co_u32_e64 v4, s[2:3], s16, v4
	v_lshlrev_b32_e32 v14, 2, v0
	v_mov_b32_e32 v6, 0
	v_addc_co_u32_e64 v5, s[2:3], v7, v5, s[2:3]
	v_mov_b32_e32 v7, 0
	v_mov_b32_e32 v8, 0
	;; [unrolled: 1-line block ×3, first 2 shown]
	s_branch .LBB534_3
.LBB534_2:                              ;   in Loop: Header=BB534_3 Depth=1
	s_or_b64 exec, exec, s[2:3]
	s_waitcnt vmcnt(0) lgkmcnt(0)
	ds_write_b32 v13, v16
	s_waitcnt lgkmcnt(0)
	s_barrier
	ds_read2_b32 v[28:29], v14 offset1:16
	ds_read_b128 v[16:19], v15
	ds_read2_b32 v[30:31], v14 offset0:32 offset1:48
	ds_read2_b32 v[32:33], v14 offset0:64 offset1:80
	ds_read_b128 v[20:23], v15 offset:16
	ds_read2_b32 v[34:35], v14 offset0:96 offset1:112
	s_waitcnt lgkmcnt(4)
	v_fmac_f32_e32 v11, v28, v16
	v_fmac_f32_e32 v8, v29, v16
	s_waitcnt lgkmcnt(3)
	v_fmac_f32_e32 v11, v30, v17
	v_fmac_f32_e32 v8, v31, v17
	;; [unrolled: 3-line block ×4, first 2 shown]
	ds_read_b128 v[16:19], v15 offset:512
	ds_read_b128 v[24:27], v15 offset:528
	v_add_co_u32_e64 v2, s[2:3], 32, v2
	v_addc_co_u32_e64 v3, s[2:3], 0, v3, s[2:3]
	s_waitcnt lgkmcnt(1)
	v_fmac_f32_e32 v7, v28, v16
	v_fmac_f32_e32 v6, v29, v16
	;; [unrolled: 1-line block ×4, first 2 shown]
	ds_read2_b32 v[16:17], v14 offset0:128 offset1:144
	v_fmac_f32_e32 v7, v32, v18
	v_fmac_f32_e32 v6, v33, v18
	;; [unrolled: 1-line block ×4, first 2 shown]
	ds_read2_b32 v[18:19], v14 offset0:160 offset1:176
	ds_read2_b32 v[28:29], v14 offset0:192 offset1:208
	ds_read2_b32 v[30:31], v14 offset0:224 offset1:240
	s_waitcnt lgkmcnt(3)
	v_fmac_f32_e32 v11, v16, v20
	v_fmac_f32_e32 v8, v17, v20
	v_fmac_f32_e32 v7, v16, v24
	v_fmac_f32_e32 v6, v17, v24
	s_waitcnt lgkmcnt(2)
	v_fmac_f32_e32 v11, v18, v21
	v_fmac_f32_e32 v8, v19, v21
	v_fmac_f32_e32 v7, v18, v25
	v_fmac_f32_e32 v6, v19, v25
	s_waitcnt lgkmcnt(1)
	v_fmac_f32_e32 v11, v28, v22
	v_fmac_f32_e32 v8, v29, v22
	v_fmac_f32_e32 v7, v28, v26
	v_fmac_f32_e32 v6, v29, v26
	s_add_i32 s9, s9, 8
	v_add_co_u32_e64 v4, s[2:3], 32, v4
	s_waitcnt lgkmcnt(0)
	v_fmac_f32_e32 v11, v30, v23
	v_fmac_f32_e32 v8, v31, v23
	;; [unrolled: 1-line block ×4, first 2 shown]
	s_cmp_ge_i32 s9, s13
	v_addc_co_u32_e64 v5, s[2:3], 0, v5, s[2:3]
	s_barrier
	s_cbranch_scc1 .LBB534_8
.LBB534_3:                              ; =>This Inner Loop Header: Depth=1
	v_add_u32_e32 v16, s9, v10
	v_cmp_gt_i32_e64 s[2:3], s13, v16
	s_and_b64 s[16:17], vcc, s[2:3]
	v_mov_b32_e32 v16, 0
	s_and_saveexec_b64 s[2:3], s[16:17]
	s_cbranch_execz .LBB534_5
; %bb.4:                                ;   in Loop: Header=BB534_3 Depth=1
	flat_load_dword v16, v[2:3]
.LBB534_5:                              ;   in Loop: Header=BB534_3 Depth=1
	s_or_b64 exec, exec, s[2:3]
	s_waitcnt vmcnt(0) lgkmcnt(0)
	ds_write_b32 v12, v16
	v_add_u32_e32 v16, s9, v9
	v_cmp_gt_i32_e64 s[2:3], s13, v16
	s_and_b64 s[16:17], s[2:3], s[0:1]
	v_mov_b32_e32 v16, 0
	s_and_saveexec_b64 s[2:3], s[16:17]
	s_cbranch_execz .LBB534_2
; %bb.6:                                ;   in Loop: Header=BB534_3 Depth=1
	flat_load_dword v16, v[4:5]
	s_branch .LBB534_2
.LBB534_7:
	v_mov_b32_e32 v11, 0
	v_mov_b32_e32 v8, 0
	;; [unrolled: 1-line block ×4, first 2 shown]
.LBB534_8:
	s_load_dword s9, s[4:5], 0x50
	s_load_dword s8, s[4:5], 0x40
	v_add_u32_e32 v4, s7, v1
	s_waitcnt lgkmcnt(0)
	v_mov_b32_e32 v3, s11
	v_add_u32_e32 v0, s6, v0
	v_mad_i64_i32 v[1:2], s[0:1], v4, s9, 0
	v_cmp_gt_i32_e32 vcc, s12, v4
	v_lshlrev_b64 v[1:2], 2, v[1:2]
	v_add_co_u32_e64 v5, s[0:1], s10, v1
	v_addc_co_u32_e64 v9, s[0:1], v3, v2, s[0:1]
	v_cmp_le_i32_e64 s[0:1], v0, v4
	s_and_b64 s[0:1], vcc, s[0:1]
	s_and_saveexec_b64 s[2:3], s[0:1]
	s_cbranch_execz .LBB534_10
; %bb.9:
	v_ashrrev_i32_e32 v1, 31, v0
	v_lshlrev_b64 v[1:2], 2, v[0:1]
	v_add_co_u32_e64 v1, s[0:1], v5, v1
	v_addc_co_u32_e64 v2, s[0:1], v9, v2, s[0:1]
	flat_load_dword v3, v[1:2]
	s_waitcnt vmcnt(0) lgkmcnt(0)
	v_mul_f32_e32 v3, s8, v3
	v_fmac_f32_e32 v3, s14, v11
	flat_store_dword v[1:2], v3
.LBB534_10:
	s_or_b64 exec, exec, s[2:3]
	v_add_u32_e32 v2, 16, v0
	v_cmp_le_i32_e64 s[0:1], v2, v4
	s_and_b64 s[2:3], vcc, s[0:1]
	s_and_saveexec_b64 s[0:1], s[2:3]
	s_cbranch_execz .LBB534_12
; %bb.11:
	v_ashrrev_i32_e32 v3, 31, v2
	v_lshlrev_b64 v[10:11], 2, v[2:3]
	v_add_co_u32_e32 v10, vcc, v5, v10
	v_addc_co_u32_e32 v11, vcc, v9, v11, vcc
	flat_load_dword v1, v[10:11]
	s_waitcnt vmcnt(0) lgkmcnt(0)
	v_mul_f32_e32 v1, s8, v1
	v_fmac_f32_e32 v1, s14, v8
	flat_store_dword v[10:11], v1
.LBB534_12:
	s_or_b64 exec, exec, s[0:1]
	v_add_u32_e32 v3, 16, v4
	v_mad_i64_i32 v[4:5], s[0:1], v3, s9, 0
	v_mov_b32_e32 v1, s11
	v_cmp_gt_i32_e32 vcc, s12, v3
	v_lshlrev_b64 v[4:5], 2, v[4:5]
	v_add_co_u32_e64 v4, s[0:1], s10, v4
	v_addc_co_u32_e64 v5, s[0:1], v1, v5, s[0:1]
	v_cmp_le_i32_e64 s[0:1], v0, v3
	s_and_b64 s[0:1], vcc, s[0:1]
	s_and_saveexec_b64 s[2:3], s[0:1]
	s_cbranch_execz .LBB534_14
; %bb.13:
	v_ashrrev_i32_e32 v1, 31, v0
	v_lshlrev_b64 v[0:1], 2, v[0:1]
	v_add_co_u32_e64 v0, s[0:1], v4, v0
	v_addc_co_u32_e64 v1, s[0:1], v5, v1, s[0:1]
	flat_load_dword v8, v[0:1]
	s_waitcnt vmcnt(0) lgkmcnt(0)
	v_mul_f32_e32 v8, s8, v8
	v_fmac_f32_e32 v8, s14, v7
	flat_store_dword v[0:1], v8
.LBB534_14:
	s_or_b64 exec, exec, s[2:3]
	v_cmp_le_i32_e64 s[0:1], v2, v3
	s_and_b64 s[0:1], vcc, s[0:1]
	s_and_saveexec_b64 s[2:3], s[0:1]
	s_cbranch_execz .LBB534_16
; %bb.15:
	v_ashrrev_i32_e32 v3, 31, v2
	v_lshlrev_b64 v[0:1], 2, v[2:3]
	v_add_co_u32_e32 v0, vcc, v4, v0
	v_addc_co_u32_e32 v1, vcc, v5, v1, vcc
	flat_load_dword v2, v[0:1]
	s_waitcnt vmcnt(0) lgkmcnt(0)
	v_mul_f32_e32 v2, s8, v2
	v_fmac_f32_e32 v2, s14, v6
	flat_store_dword v[0:1], v2
.LBB534_16:
	s_endpgm
	.section	.rodata,"a",@progbits
	.p2align	6, 0x0
	.amdhsa_kernel _ZL34rocblas_syrkx_herkx_general_kernelIifLi16ELi32ELi8ELb0ELb0ELc67ELc85EKPKfKPfEviT_T0_PT8_S5_lS8_S5_lS6_PT9_S5_li
		.amdhsa_group_segment_fixed_size 2048
		.amdhsa_private_segment_fixed_size 0
		.amdhsa_kernarg_size 100
		.amdhsa_user_sgpr_count 6
		.amdhsa_user_sgpr_private_segment_buffer 1
		.amdhsa_user_sgpr_dispatch_ptr 0
		.amdhsa_user_sgpr_queue_ptr 0
		.amdhsa_user_sgpr_kernarg_segment_ptr 1
		.amdhsa_user_sgpr_dispatch_id 0
		.amdhsa_user_sgpr_flat_scratch_init 0
		.amdhsa_user_sgpr_private_segment_size 0
		.amdhsa_uses_dynamic_stack 0
		.amdhsa_system_sgpr_private_segment_wavefront_offset 0
		.amdhsa_system_sgpr_workgroup_id_x 1
		.amdhsa_system_sgpr_workgroup_id_y 1
		.amdhsa_system_sgpr_workgroup_id_z 1
		.amdhsa_system_sgpr_workgroup_info 0
		.amdhsa_system_vgpr_workitem_id 1
		.amdhsa_next_free_vgpr 36
		.amdhsa_next_free_sgpr 20
		.amdhsa_reserve_vcc 1
		.amdhsa_reserve_flat_scratch 0
		.amdhsa_float_round_mode_32 0
		.amdhsa_float_round_mode_16_64 0
		.amdhsa_float_denorm_mode_32 3
		.amdhsa_float_denorm_mode_16_64 3
		.amdhsa_dx10_clamp 1
		.amdhsa_ieee_mode 1
		.amdhsa_fp16_overflow 0
		.amdhsa_exception_fp_ieee_invalid_op 0
		.amdhsa_exception_fp_denorm_src 0
		.amdhsa_exception_fp_ieee_div_zero 0
		.amdhsa_exception_fp_ieee_overflow 0
		.amdhsa_exception_fp_ieee_underflow 0
		.amdhsa_exception_fp_ieee_inexact 0
		.amdhsa_exception_int_div_zero 0
	.end_amdhsa_kernel
	.section	.text._ZL34rocblas_syrkx_herkx_general_kernelIifLi16ELi32ELi8ELb0ELb0ELc67ELc85EKPKfKPfEviT_T0_PT8_S5_lS8_S5_lS6_PT9_S5_li,"axG",@progbits,_ZL34rocblas_syrkx_herkx_general_kernelIifLi16ELi32ELi8ELb0ELb0ELc67ELc85EKPKfKPfEviT_T0_PT8_S5_lS8_S5_lS6_PT9_S5_li,comdat
.Lfunc_end534:
	.size	_ZL34rocblas_syrkx_herkx_general_kernelIifLi16ELi32ELi8ELb0ELb0ELc67ELc85EKPKfKPfEviT_T0_PT8_S5_lS8_S5_lS6_PT9_S5_li, .Lfunc_end534-_ZL34rocblas_syrkx_herkx_general_kernelIifLi16ELi32ELi8ELb0ELb0ELc67ELc85EKPKfKPfEviT_T0_PT8_S5_lS8_S5_lS6_PT9_S5_li
                                        ; -- End function
	.set _ZL34rocblas_syrkx_herkx_general_kernelIifLi16ELi32ELi8ELb0ELb0ELc67ELc85EKPKfKPfEviT_T0_PT8_S5_lS8_S5_lS6_PT9_S5_li.num_vgpr, 36
	.set _ZL34rocblas_syrkx_herkx_general_kernelIifLi16ELi32ELi8ELb0ELb0ELc67ELc85EKPKfKPfEviT_T0_PT8_S5_lS8_S5_lS6_PT9_S5_li.num_agpr, 0
	.set _ZL34rocblas_syrkx_herkx_general_kernelIifLi16ELi32ELi8ELb0ELb0ELc67ELc85EKPKfKPfEviT_T0_PT8_S5_lS8_S5_lS6_PT9_S5_li.numbered_sgpr, 20
	.set _ZL34rocblas_syrkx_herkx_general_kernelIifLi16ELi32ELi8ELb0ELb0ELc67ELc85EKPKfKPfEviT_T0_PT8_S5_lS8_S5_lS6_PT9_S5_li.num_named_barrier, 0
	.set _ZL34rocblas_syrkx_herkx_general_kernelIifLi16ELi32ELi8ELb0ELb0ELc67ELc85EKPKfKPfEviT_T0_PT8_S5_lS8_S5_lS6_PT9_S5_li.private_seg_size, 0
	.set _ZL34rocblas_syrkx_herkx_general_kernelIifLi16ELi32ELi8ELb0ELb0ELc67ELc85EKPKfKPfEviT_T0_PT8_S5_lS8_S5_lS6_PT9_S5_li.uses_vcc, 1
	.set _ZL34rocblas_syrkx_herkx_general_kernelIifLi16ELi32ELi8ELb0ELb0ELc67ELc85EKPKfKPfEviT_T0_PT8_S5_lS8_S5_lS6_PT9_S5_li.uses_flat_scratch, 0
	.set _ZL34rocblas_syrkx_herkx_general_kernelIifLi16ELi32ELi8ELb0ELb0ELc67ELc85EKPKfKPfEviT_T0_PT8_S5_lS8_S5_lS6_PT9_S5_li.has_dyn_sized_stack, 0
	.set _ZL34rocblas_syrkx_herkx_general_kernelIifLi16ELi32ELi8ELb0ELb0ELc67ELc85EKPKfKPfEviT_T0_PT8_S5_lS8_S5_lS6_PT9_S5_li.has_recursion, 0
	.set _ZL34rocblas_syrkx_herkx_general_kernelIifLi16ELi32ELi8ELb0ELb0ELc67ELc85EKPKfKPfEviT_T0_PT8_S5_lS8_S5_lS6_PT9_S5_li.has_indirect_call, 0
	.section	.AMDGPU.csdata,"",@progbits
; Kernel info:
; codeLenInByte = 1220
; TotalNumSgprs: 24
; NumVgprs: 36
; ScratchSize: 0
; MemoryBound: 0
; FloatMode: 240
; IeeeMode: 1
; LDSByteSize: 2048 bytes/workgroup (compile time only)
; SGPRBlocks: 2
; VGPRBlocks: 8
; NumSGPRsForWavesPerEU: 24
; NumVGPRsForWavesPerEU: 36
; Occupancy: 7
; WaveLimiterHint : 1
; COMPUTE_PGM_RSRC2:SCRATCH_EN: 0
; COMPUTE_PGM_RSRC2:USER_SGPR: 6
; COMPUTE_PGM_RSRC2:TRAP_HANDLER: 0
; COMPUTE_PGM_RSRC2:TGID_X_EN: 1
; COMPUTE_PGM_RSRC2:TGID_Y_EN: 1
; COMPUTE_PGM_RSRC2:TGID_Z_EN: 1
; COMPUTE_PGM_RSRC2:TIDIG_COMP_CNT: 1
	.section	.text._ZL34rocblas_syrkx_herkx_general_kernelIifLi16ELi32ELi8ELb0ELb0ELc78ELc85EKPKfKPfEviT_T0_PT8_S5_lS8_S5_lS6_PT9_S5_li,"axG",@progbits,_ZL34rocblas_syrkx_herkx_general_kernelIifLi16ELi32ELi8ELb0ELb0ELc78ELc85EKPKfKPfEviT_T0_PT8_S5_lS8_S5_lS6_PT9_S5_li,comdat
	.globl	_ZL34rocblas_syrkx_herkx_general_kernelIifLi16ELi32ELi8ELb0ELb0ELc78ELc85EKPKfKPfEviT_T0_PT8_S5_lS8_S5_lS6_PT9_S5_li ; -- Begin function _ZL34rocblas_syrkx_herkx_general_kernelIifLi16ELi32ELi8ELb0ELb0ELc78ELc85EKPKfKPfEviT_T0_PT8_S5_lS8_S5_lS6_PT9_S5_li
	.p2align	8
	.type	_ZL34rocblas_syrkx_herkx_general_kernelIifLi16ELi32ELi8ELb0ELb0ELc78ELc85EKPKfKPfEviT_T0_PT8_S5_lS8_S5_lS6_PT9_S5_li,@function
_ZL34rocblas_syrkx_herkx_general_kernelIifLi16ELi32ELi8ELb0ELb0ELc78ELc85EKPKfKPfEviT_T0_PT8_S5_lS8_S5_lS6_PT9_S5_li: ; @_ZL34rocblas_syrkx_herkx_general_kernelIifLi16ELi32ELi8ELb0ELb0ELc78ELc85EKPKfKPfEviT_T0_PT8_S5_lS8_S5_lS6_PT9_S5_li
; %bb.0:
	s_load_dwordx2 s[2:3], s[4:5], 0x48
	s_load_dwordx4 s[12:15], s[4:5], 0x0
	s_mov_b32 s9, 0
	s_lshl_b64 s[0:1], s[8:9], 3
	s_waitcnt lgkmcnt(0)
	s_add_u32 s2, s2, s0
	s_addc_u32 s3, s3, s1
	s_load_dwordx2 s[10:11], s[2:3], 0x0
	s_lshl_b32 s8, s6, 5
	s_lshl_b32 s15, s7, 5
	s_cmp_lt_i32 s13, 1
	s_cbranch_scc1 .LBB535_7
; %bb.1:
	s_load_dword s6, s[4:5], 0x18
	s_load_dword s16, s[4:5], 0x30
	s_load_dwordx2 s[2:3], s[4:5], 0x10
	s_load_dwordx2 s[18:19], s[4:5], 0x28
	v_lshl_add_u32 v2, v1, 4, v0
	v_and_b32_e32 v6, 31, v2
	s_waitcnt lgkmcnt(0)
	s_ashr_i32 s7, s6, 31
	s_ashr_i32 s17, s16, 31
	v_lshrrev_b32_e32 v10, 5, v2
	v_lshrrev_b32_e32 v3, 3, v2
	v_or_b32_e32 v2, s8, v6
	v_and_b32_e32 v9, 7, v0
	s_add_u32 s18, s18, s0
	v_cmp_gt_i32_e32 vcc, s12, v2
	v_lshlrev_b32_e32 v2, 2, v6
	s_addc_u32 s19, s19, s1
	v_lshl_or_b32 v12, v10, 7, v2
	v_lshlrev_b32_e32 v2, 2, v9
	s_add_u32 s0, s2, s0
	v_lshl_or_b32 v2, v3, 5, v2
	v_add_u32_e32 v4, s15, v3
	s_addc_u32 s1, s3, s1
	v_add_u32_e32 v13, 0x400, v2
	v_mad_i64_i32 v[2:3], s[2:3], v10, s6, 0
	v_mov_b32_e32 v7, 0x400
	v_add_u32_e32 v6, s8, v6
	v_lshl_add_u32 v15, v1, 5, v7
	v_ashrrev_i32_e32 v7, 31, v6
	v_lshlrev_b64 v[2:3], 2, v[2:3]
	v_lshlrev_b64 v[6:7], 2, v[6:7]
	s_load_dwordx2 s[20:21], s[0:1], 0x0
	v_add_co_u32_e64 v2, s[2:3], v2, v6
	v_addc_co_u32_e64 v3, s[2:3], v3, v7, s[2:3]
	v_mad_i64_i32 v[6:7], s[2:3], s16, v9, 0
	s_load_dwordx2 s[18:19], s[18:19], 0x0
	v_ashrrev_i32_e32 v5, 31, v4
	v_cmp_gt_i32_e64 s[0:1], s12, v4
	s_waitcnt lgkmcnt(0)
	v_mov_b32_e32 v8, s21
	v_add_co_u32_e64 v2, s[2:3], s20, v2
	v_lshlrev_b64 v[6:7], 2, v[6:7]
	v_lshlrev_b64 v[4:5], 2, v[4:5]
	v_addc_co_u32_e64 v3, s[2:3], v8, v3, s[2:3]
	v_add_co_u32_e64 v4, s[2:3], v6, v4
	v_addc_co_u32_e64 v5, s[2:3], v7, v5, s[2:3]
	v_mov_b32_e32 v6, s19
	v_add_co_u32_e64 v4, s[2:3], s18, v4
	v_lshlrev_b32_e32 v14, 2, v0
	s_lshl_b64 s[6:7], s[6:7], 5
	v_addc_co_u32_e64 v5, s[2:3], v6, v5, s[2:3]
	s_lshl_b64 s[16:17], s[16:17], 5
	v_mov_b32_e32 v6, 0
	v_mov_b32_e32 v7, 0
	;; [unrolled: 1-line block ×4, first 2 shown]
	s_branch .LBB535_3
.LBB535_2:                              ;   in Loop: Header=BB535_3 Depth=1
	s_or_b64 exec, exec, s[2:3]
	s_waitcnt vmcnt(0) lgkmcnt(0)
	ds_write_b32 v13, v16
	s_waitcnt lgkmcnt(0)
	s_barrier
	ds_read2_b32 v[28:29], v14 offset1:16
	ds_read_b128 v[16:19], v15
	ds_read2_b32 v[30:31], v14 offset0:32 offset1:48
	ds_read2_b32 v[32:33], v14 offset0:64 offset1:80
	ds_read_b128 v[20:23], v15 offset:16
	ds_read2_b32 v[34:35], v14 offset0:96 offset1:112
	s_waitcnt lgkmcnt(4)
	v_fmac_f32_e32 v11, v28, v16
	v_fmac_f32_e32 v8, v29, v16
	s_waitcnt lgkmcnt(3)
	v_fmac_f32_e32 v11, v30, v17
	v_fmac_f32_e32 v8, v31, v17
	s_waitcnt lgkmcnt(2)
	v_fmac_f32_e32 v11, v32, v18
	v_fmac_f32_e32 v8, v33, v18
	s_waitcnt lgkmcnt(0)
	v_fmac_f32_e32 v11, v34, v19
	v_fmac_f32_e32 v8, v35, v19
	ds_read_b128 v[16:19], v15 offset:512
	ds_read_b128 v[24:27], v15 offset:528
	v_add_co_u32_e64 v2, s[2:3], s6, v2
	s_add_i32 s9, s9, 8
	s_waitcnt lgkmcnt(1)
	v_fmac_f32_e32 v7, v28, v16
	v_fmac_f32_e32 v6, v29, v16
	;; [unrolled: 1-line block ×4, first 2 shown]
	ds_read2_b32 v[16:17], v14 offset0:128 offset1:144
	v_fmac_f32_e32 v7, v32, v18
	v_fmac_f32_e32 v6, v33, v18
	;; [unrolled: 1-line block ×4, first 2 shown]
	ds_read2_b32 v[18:19], v14 offset0:160 offset1:176
	ds_read2_b32 v[28:29], v14 offset0:192 offset1:208
	;; [unrolled: 1-line block ×3, first 2 shown]
	s_waitcnt lgkmcnt(3)
	v_fmac_f32_e32 v11, v16, v20
	v_fmac_f32_e32 v8, v17, v20
	;; [unrolled: 1-line block ×4, first 2 shown]
	v_mov_b32_e32 v16, s7
	s_waitcnt lgkmcnt(2)
	v_fmac_f32_e32 v11, v18, v21
	v_fmac_f32_e32 v8, v19, v21
	;; [unrolled: 1-line block ×4, first 2 shown]
	v_addc_co_u32_e64 v3, s[2:3], v3, v16, s[2:3]
	s_waitcnt lgkmcnt(1)
	v_fmac_f32_e32 v11, v28, v22
	v_fmac_f32_e32 v8, v29, v22
	;; [unrolled: 1-line block ×4, first 2 shown]
	v_mov_b32_e32 v16, s17
	v_add_co_u32_e64 v4, s[2:3], s16, v4
	s_waitcnt lgkmcnt(0)
	v_fmac_f32_e32 v11, v30, v23
	v_fmac_f32_e32 v8, v31, v23
	;; [unrolled: 1-line block ×4, first 2 shown]
	s_cmp_ge_i32 s9, s13
	v_addc_co_u32_e64 v5, s[2:3], v5, v16, s[2:3]
	s_barrier
	s_cbranch_scc1 .LBB535_8
.LBB535_3:                              ; =>This Inner Loop Header: Depth=1
	v_add_u32_e32 v16, s9, v10
	v_cmp_gt_i32_e64 s[2:3], s13, v16
	s_and_b64 s[18:19], vcc, s[2:3]
	v_mov_b32_e32 v16, 0
	s_and_saveexec_b64 s[2:3], s[18:19]
	s_cbranch_execz .LBB535_5
; %bb.4:                                ;   in Loop: Header=BB535_3 Depth=1
	flat_load_dword v16, v[2:3]
.LBB535_5:                              ;   in Loop: Header=BB535_3 Depth=1
	s_or_b64 exec, exec, s[2:3]
	s_waitcnt vmcnt(0) lgkmcnt(0)
	ds_write_b32 v12, v16
	v_add_u32_e32 v16, s9, v9
	v_cmp_gt_i32_e64 s[2:3], s13, v16
	s_and_b64 s[18:19], s[2:3], s[0:1]
	v_mov_b32_e32 v16, 0
	s_and_saveexec_b64 s[2:3], s[18:19]
	s_cbranch_execz .LBB535_2
; %bb.6:                                ;   in Loop: Header=BB535_3 Depth=1
	flat_load_dword v16, v[4:5]
	s_branch .LBB535_2
.LBB535_7:
	v_mov_b32_e32 v11, 0
	v_mov_b32_e32 v8, 0
	;; [unrolled: 1-line block ×4, first 2 shown]
.LBB535_8:
	s_load_dword s7, s[4:5], 0x50
	s_load_dword s6, s[4:5], 0x40
	v_add_u32_e32 v4, s15, v1
	s_waitcnt lgkmcnt(0)
	v_mov_b32_e32 v3, s11
	v_add_u32_e32 v0, s8, v0
	v_mad_i64_i32 v[1:2], s[0:1], v4, s7, 0
	v_cmp_gt_i32_e32 vcc, s12, v4
	v_lshlrev_b64 v[1:2], 2, v[1:2]
	v_add_co_u32_e64 v5, s[0:1], s10, v1
	v_addc_co_u32_e64 v9, s[0:1], v3, v2, s[0:1]
	v_cmp_le_i32_e64 s[0:1], v0, v4
	s_and_b64 s[0:1], vcc, s[0:1]
	s_and_saveexec_b64 s[2:3], s[0:1]
	s_cbranch_execz .LBB535_10
; %bb.9:
	v_ashrrev_i32_e32 v1, 31, v0
	v_lshlrev_b64 v[1:2], 2, v[0:1]
	v_add_co_u32_e64 v1, s[0:1], v5, v1
	v_addc_co_u32_e64 v2, s[0:1], v9, v2, s[0:1]
	flat_load_dword v3, v[1:2]
	s_waitcnt vmcnt(0) lgkmcnt(0)
	v_mul_f32_e32 v3, s6, v3
	v_fmac_f32_e32 v3, s14, v11
	flat_store_dword v[1:2], v3
.LBB535_10:
	s_or_b64 exec, exec, s[2:3]
	v_add_u32_e32 v2, 16, v0
	v_cmp_le_i32_e64 s[0:1], v2, v4
	s_and_b64 s[2:3], vcc, s[0:1]
	s_and_saveexec_b64 s[0:1], s[2:3]
	s_cbranch_execz .LBB535_12
; %bb.11:
	v_ashrrev_i32_e32 v3, 31, v2
	v_lshlrev_b64 v[10:11], 2, v[2:3]
	v_add_co_u32_e32 v10, vcc, v5, v10
	v_addc_co_u32_e32 v11, vcc, v9, v11, vcc
	flat_load_dword v1, v[10:11]
	s_waitcnt vmcnt(0) lgkmcnt(0)
	v_mul_f32_e32 v1, s6, v1
	v_fmac_f32_e32 v1, s14, v8
	flat_store_dword v[10:11], v1
.LBB535_12:
	s_or_b64 exec, exec, s[0:1]
	v_add_u32_e32 v3, 16, v4
	v_mad_i64_i32 v[4:5], s[0:1], v3, s7, 0
	v_mov_b32_e32 v1, s11
	v_cmp_gt_i32_e32 vcc, s12, v3
	v_lshlrev_b64 v[4:5], 2, v[4:5]
	v_add_co_u32_e64 v4, s[0:1], s10, v4
	v_addc_co_u32_e64 v5, s[0:1], v1, v5, s[0:1]
	v_cmp_le_i32_e64 s[0:1], v0, v3
	s_and_b64 s[0:1], vcc, s[0:1]
	s_and_saveexec_b64 s[2:3], s[0:1]
	s_cbranch_execz .LBB535_14
; %bb.13:
	v_ashrrev_i32_e32 v1, 31, v0
	v_lshlrev_b64 v[0:1], 2, v[0:1]
	v_add_co_u32_e64 v0, s[0:1], v4, v0
	v_addc_co_u32_e64 v1, s[0:1], v5, v1, s[0:1]
	flat_load_dword v8, v[0:1]
	s_waitcnt vmcnt(0) lgkmcnt(0)
	v_mul_f32_e32 v8, s6, v8
	v_fmac_f32_e32 v8, s14, v7
	flat_store_dword v[0:1], v8
.LBB535_14:
	s_or_b64 exec, exec, s[2:3]
	v_cmp_le_i32_e64 s[0:1], v2, v3
	s_and_b64 s[0:1], vcc, s[0:1]
	s_and_saveexec_b64 s[2:3], s[0:1]
	s_cbranch_execz .LBB535_16
; %bb.15:
	v_ashrrev_i32_e32 v3, 31, v2
	v_lshlrev_b64 v[0:1], 2, v[2:3]
	v_add_co_u32_e32 v0, vcc, v4, v0
	v_addc_co_u32_e32 v1, vcc, v5, v1, vcc
	flat_load_dword v2, v[0:1]
	s_waitcnt vmcnt(0) lgkmcnt(0)
	v_mul_f32_e32 v2, s6, v2
	v_fmac_f32_e32 v2, s14, v6
	flat_store_dword v[0:1], v2
.LBB535_16:
	s_endpgm
	.section	.rodata,"a",@progbits
	.p2align	6, 0x0
	.amdhsa_kernel _ZL34rocblas_syrkx_herkx_general_kernelIifLi16ELi32ELi8ELb0ELb0ELc78ELc85EKPKfKPfEviT_T0_PT8_S5_lS8_S5_lS6_PT9_S5_li
		.amdhsa_group_segment_fixed_size 2048
		.amdhsa_private_segment_fixed_size 0
		.amdhsa_kernarg_size 100
		.amdhsa_user_sgpr_count 6
		.amdhsa_user_sgpr_private_segment_buffer 1
		.amdhsa_user_sgpr_dispatch_ptr 0
		.amdhsa_user_sgpr_queue_ptr 0
		.amdhsa_user_sgpr_kernarg_segment_ptr 1
		.amdhsa_user_sgpr_dispatch_id 0
		.amdhsa_user_sgpr_flat_scratch_init 0
		.amdhsa_user_sgpr_private_segment_size 0
		.amdhsa_uses_dynamic_stack 0
		.amdhsa_system_sgpr_private_segment_wavefront_offset 0
		.amdhsa_system_sgpr_workgroup_id_x 1
		.amdhsa_system_sgpr_workgroup_id_y 1
		.amdhsa_system_sgpr_workgroup_id_z 1
		.amdhsa_system_sgpr_workgroup_info 0
		.amdhsa_system_vgpr_workitem_id 1
		.amdhsa_next_free_vgpr 36
		.amdhsa_next_free_sgpr 22
		.amdhsa_reserve_vcc 1
		.amdhsa_reserve_flat_scratch 0
		.amdhsa_float_round_mode_32 0
		.amdhsa_float_round_mode_16_64 0
		.amdhsa_float_denorm_mode_32 3
		.amdhsa_float_denorm_mode_16_64 3
		.amdhsa_dx10_clamp 1
		.amdhsa_ieee_mode 1
		.amdhsa_fp16_overflow 0
		.amdhsa_exception_fp_ieee_invalid_op 0
		.amdhsa_exception_fp_denorm_src 0
		.amdhsa_exception_fp_ieee_div_zero 0
		.amdhsa_exception_fp_ieee_overflow 0
		.amdhsa_exception_fp_ieee_underflow 0
		.amdhsa_exception_fp_ieee_inexact 0
		.amdhsa_exception_int_div_zero 0
	.end_amdhsa_kernel
	.section	.text._ZL34rocblas_syrkx_herkx_general_kernelIifLi16ELi32ELi8ELb0ELb0ELc78ELc85EKPKfKPfEviT_T0_PT8_S5_lS8_S5_lS6_PT9_S5_li,"axG",@progbits,_ZL34rocblas_syrkx_herkx_general_kernelIifLi16ELi32ELi8ELb0ELb0ELc78ELc85EKPKfKPfEviT_T0_PT8_S5_lS8_S5_lS6_PT9_S5_li,comdat
.Lfunc_end535:
	.size	_ZL34rocblas_syrkx_herkx_general_kernelIifLi16ELi32ELi8ELb0ELb0ELc78ELc85EKPKfKPfEviT_T0_PT8_S5_lS8_S5_lS6_PT9_S5_li, .Lfunc_end535-_ZL34rocblas_syrkx_herkx_general_kernelIifLi16ELi32ELi8ELb0ELb0ELc78ELc85EKPKfKPfEviT_T0_PT8_S5_lS8_S5_lS6_PT9_S5_li
                                        ; -- End function
	.set _ZL34rocblas_syrkx_herkx_general_kernelIifLi16ELi32ELi8ELb0ELb0ELc78ELc85EKPKfKPfEviT_T0_PT8_S5_lS8_S5_lS6_PT9_S5_li.num_vgpr, 36
	.set _ZL34rocblas_syrkx_herkx_general_kernelIifLi16ELi32ELi8ELb0ELb0ELc78ELc85EKPKfKPfEviT_T0_PT8_S5_lS8_S5_lS6_PT9_S5_li.num_agpr, 0
	.set _ZL34rocblas_syrkx_herkx_general_kernelIifLi16ELi32ELi8ELb0ELb0ELc78ELc85EKPKfKPfEviT_T0_PT8_S5_lS8_S5_lS6_PT9_S5_li.numbered_sgpr, 22
	.set _ZL34rocblas_syrkx_herkx_general_kernelIifLi16ELi32ELi8ELb0ELb0ELc78ELc85EKPKfKPfEviT_T0_PT8_S5_lS8_S5_lS6_PT9_S5_li.num_named_barrier, 0
	.set _ZL34rocblas_syrkx_herkx_general_kernelIifLi16ELi32ELi8ELb0ELb0ELc78ELc85EKPKfKPfEviT_T0_PT8_S5_lS8_S5_lS6_PT9_S5_li.private_seg_size, 0
	.set _ZL34rocblas_syrkx_herkx_general_kernelIifLi16ELi32ELi8ELb0ELb0ELc78ELc85EKPKfKPfEviT_T0_PT8_S5_lS8_S5_lS6_PT9_S5_li.uses_vcc, 1
	.set _ZL34rocblas_syrkx_herkx_general_kernelIifLi16ELi32ELi8ELb0ELb0ELc78ELc85EKPKfKPfEviT_T0_PT8_S5_lS8_S5_lS6_PT9_S5_li.uses_flat_scratch, 0
	.set _ZL34rocblas_syrkx_herkx_general_kernelIifLi16ELi32ELi8ELb0ELb0ELc78ELc85EKPKfKPfEviT_T0_PT8_S5_lS8_S5_lS6_PT9_S5_li.has_dyn_sized_stack, 0
	.set _ZL34rocblas_syrkx_herkx_general_kernelIifLi16ELi32ELi8ELb0ELb0ELc78ELc85EKPKfKPfEviT_T0_PT8_S5_lS8_S5_lS6_PT9_S5_li.has_recursion, 0
	.set _ZL34rocblas_syrkx_herkx_general_kernelIifLi16ELi32ELi8ELb0ELb0ELc78ELc85EKPKfKPfEviT_T0_PT8_S5_lS8_S5_lS6_PT9_S5_li.has_indirect_call, 0
	.section	.AMDGPU.csdata,"",@progbits
; Kernel info:
; codeLenInByte = 1264
; TotalNumSgprs: 26
; NumVgprs: 36
; ScratchSize: 0
; MemoryBound: 0
; FloatMode: 240
; IeeeMode: 1
; LDSByteSize: 2048 bytes/workgroup (compile time only)
; SGPRBlocks: 3
; VGPRBlocks: 8
; NumSGPRsForWavesPerEU: 26
; NumVGPRsForWavesPerEU: 36
; Occupancy: 7
; WaveLimiterHint : 1
; COMPUTE_PGM_RSRC2:SCRATCH_EN: 0
; COMPUTE_PGM_RSRC2:USER_SGPR: 6
; COMPUTE_PGM_RSRC2:TRAP_HANDLER: 0
; COMPUTE_PGM_RSRC2:TGID_X_EN: 1
; COMPUTE_PGM_RSRC2:TGID_Y_EN: 1
; COMPUTE_PGM_RSRC2:TGID_Z_EN: 1
; COMPUTE_PGM_RSRC2:TIDIG_COMP_CNT: 1
	.section	.text._ZL26rocblas_syr2k_scale_kernelIiLi128ELi8ELb0EffPKPfEvbiT_T3_T4_T5_S3_li,"axG",@progbits,_ZL26rocblas_syr2k_scale_kernelIiLi128ELi8ELb0EffPKPfEvbiT_T3_T4_T5_S3_li,comdat
	.globl	_ZL26rocblas_syr2k_scale_kernelIiLi128ELi8ELb0EffPKPfEvbiT_T3_T4_T5_S3_li ; -- Begin function _ZL26rocblas_syr2k_scale_kernelIiLi128ELi8ELb0EffPKPfEvbiT_T3_T4_T5_S3_li
	.p2align	8
	.type	_ZL26rocblas_syr2k_scale_kernelIiLi128ELi8ELb0EffPKPfEvbiT_T3_T4_T5_S3_li,@function
_ZL26rocblas_syr2k_scale_kernelIiLi128ELi8ELb0EffPKPfEvbiT_T3_T4_T5_S3_li: ; @_ZL26rocblas_syr2k_scale_kernelIiLi128ELi8ELb0EffPKPfEvbiT_T3_T4_T5_S3_li
; %bb.0:
	s_load_dword s2, s[4:5], 0x10
	s_waitcnt lgkmcnt(0)
	v_cmp_eq_f32_e64 s[0:1], s2, 1.0
	s_and_b64 vcc, exec, s[0:1]
	s_cbranch_vccnz .LBB536_5
; %bb.1:
	s_load_dwordx2 s[0:1], s[4:5], 0x0
	s_load_dword s3, s[4:5], 0x44
	s_waitcnt lgkmcnt(0)
	s_bitcmp1_b32 s0, 0
	s_cselect_b64 vcc, -1, 0
	s_lshr_b32 s0, s3, 16
	s_and_b32 s3, s3, 0xffff
	s_mul_i32 s6, s6, s3
	s_mul_i32 s7, s7, s0
	v_add_u32_e32 v0, s6, v0
	v_add_u32_e32 v1, s7, v1
	v_cndmask_b32_e32 v2, v1, v0, vcc
	v_cndmask_b32_e32 v3, v0, v1, vcc
	v_max_u32_e32 v4, v0, v1
	v_cmp_gt_u32_e32 vcc, s1, v4
	v_cmp_le_i32_e64 s[0:1], v2, v3
	s_and_b64 s[0:1], vcc, s[0:1]
	s_and_saveexec_b64 s[6:7], s[0:1]
	s_cbranch_execz .LBB536_5
; %bb.2:
	s_load_dword s3, s[4:5], 0x20
	s_load_dwordx2 s[0:1], s[4:5], 0x18
	s_load_dwordx2 s[6:7], s[4:5], 0x28
	s_mov_b32 s9, 0
	s_lshl_b64 s[4:5], s[8:9], 3
	s_waitcnt lgkmcnt(0)
	s_ashr_i32 s10, s3, 31
	v_mad_u64_u32 v[2:3], s[8:9], v1, s3, 0
	s_add_u32 s0, s0, s4
	s_addc_u32 s1, s1, s5
	s_load_dwordx2 s[0:1], s[0:1], 0x0
	v_mad_u64_u32 v[3:4], s[4:5], v1, s10, v[3:4]
	s_lshl_b64 s[4:5], s[6:7], 2
	v_mov_b32_e32 v1, 0
	s_waitcnt lgkmcnt(0)
	s_add_u32 s0, s0, s4
	v_lshlrev_b64 v[2:3], 2, v[2:3]
	s_addc_u32 s1, s1, s5
	v_mov_b32_e32 v4, s1
	v_add_co_u32_e32 v5, vcc, s0, v2
	v_addc_co_u32_e32 v4, vcc, v4, v3, vcc
	v_lshlrev_b64 v[2:3], 2, v[0:1]
	v_cmp_eq_f32_e64 s[0:1], s2, 0
	v_add_co_u32_e32 v2, vcc, v5, v2
	v_addc_co_u32_e32 v3, vcc, v4, v3, vcc
	s_and_b64 vcc, exec, s[0:1]
	s_cbranch_vccnz .LBB536_4
; %bb.3:
	flat_load_dword v0, v[2:3]
	s_waitcnt vmcnt(0) lgkmcnt(0)
	v_mul_f32_e32 v1, s2, v0
.LBB536_4:
	flat_store_dword v[2:3], v1
.LBB536_5:
	s_endpgm
	.section	.rodata,"a",@progbits
	.p2align	6, 0x0
	.amdhsa_kernel _ZL26rocblas_syr2k_scale_kernelIiLi128ELi8ELb0EffPKPfEvbiT_T3_T4_T5_S3_li
		.amdhsa_group_segment_fixed_size 0
		.amdhsa_private_segment_fixed_size 0
		.amdhsa_kernarg_size 312
		.amdhsa_user_sgpr_count 6
		.amdhsa_user_sgpr_private_segment_buffer 1
		.amdhsa_user_sgpr_dispatch_ptr 0
		.amdhsa_user_sgpr_queue_ptr 0
		.amdhsa_user_sgpr_kernarg_segment_ptr 1
		.amdhsa_user_sgpr_dispatch_id 0
		.amdhsa_user_sgpr_flat_scratch_init 0
		.amdhsa_user_sgpr_private_segment_size 0
		.amdhsa_uses_dynamic_stack 0
		.amdhsa_system_sgpr_private_segment_wavefront_offset 0
		.amdhsa_system_sgpr_workgroup_id_x 1
		.amdhsa_system_sgpr_workgroup_id_y 1
		.amdhsa_system_sgpr_workgroup_id_z 1
		.amdhsa_system_sgpr_workgroup_info 0
		.amdhsa_system_vgpr_workitem_id 1
		.amdhsa_next_free_vgpr 6
		.amdhsa_next_free_sgpr 11
		.amdhsa_reserve_vcc 1
		.amdhsa_reserve_flat_scratch 0
		.amdhsa_float_round_mode_32 0
		.amdhsa_float_round_mode_16_64 0
		.amdhsa_float_denorm_mode_32 3
		.amdhsa_float_denorm_mode_16_64 3
		.amdhsa_dx10_clamp 1
		.amdhsa_ieee_mode 1
		.amdhsa_fp16_overflow 0
		.amdhsa_exception_fp_ieee_invalid_op 0
		.amdhsa_exception_fp_denorm_src 0
		.amdhsa_exception_fp_ieee_div_zero 0
		.amdhsa_exception_fp_ieee_overflow 0
		.amdhsa_exception_fp_ieee_underflow 0
		.amdhsa_exception_fp_ieee_inexact 0
		.amdhsa_exception_int_div_zero 0
	.end_amdhsa_kernel
	.section	.text._ZL26rocblas_syr2k_scale_kernelIiLi128ELi8ELb0EffPKPfEvbiT_T3_T4_T5_S3_li,"axG",@progbits,_ZL26rocblas_syr2k_scale_kernelIiLi128ELi8ELb0EffPKPfEvbiT_T3_T4_T5_S3_li,comdat
.Lfunc_end536:
	.size	_ZL26rocblas_syr2k_scale_kernelIiLi128ELi8ELb0EffPKPfEvbiT_T3_T4_T5_S3_li, .Lfunc_end536-_ZL26rocblas_syr2k_scale_kernelIiLi128ELi8ELb0EffPKPfEvbiT_T3_T4_T5_S3_li
                                        ; -- End function
	.set _ZL26rocblas_syr2k_scale_kernelIiLi128ELi8ELb0EffPKPfEvbiT_T3_T4_T5_S3_li.num_vgpr, 6
	.set _ZL26rocblas_syr2k_scale_kernelIiLi128ELi8ELb0EffPKPfEvbiT_T3_T4_T5_S3_li.num_agpr, 0
	.set _ZL26rocblas_syr2k_scale_kernelIiLi128ELi8ELb0EffPKPfEvbiT_T3_T4_T5_S3_li.numbered_sgpr, 11
	.set _ZL26rocblas_syr2k_scale_kernelIiLi128ELi8ELb0EffPKPfEvbiT_T3_T4_T5_S3_li.num_named_barrier, 0
	.set _ZL26rocblas_syr2k_scale_kernelIiLi128ELi8ELb0EffPKPfEvbiT_T3_T4_T5_S3_li.private_seg_size, 0
	.set _ZL26rocblas_syr2k_scale_kernelIiLi128ELi8ELb0EffPKPfEvbiT_T3_T4_T5_S3_li.uses_vcc, 1
	.set _ZL26rocblas_syr2k_scale_kernelIiLi128ELi8ELb0EffPKPfEvbiT_T3_T4_T5_S3_li.uses_flat_scratch, 0
	.set _ZL26rocblas_syr2k_scale_kernelIiLi128ELi8ELb0EffPKPfEvbiT_T3_T4_T5_S3_li.has_dyn_sized_stack, 0
	.set _ZL26rocblas_syr2k_scale_kernelIiLi128ELi8ELb0EffPKPfEvbiT_T3_T4_T5_S3_li.has_recursion, 0
	.set _ZL26rocblas_syr2k_scale_kernelIiLi128ELi8ELb0EffPKPfEvbiT_T3_T4_T5_S3_li.has_indirect_call, 0
	.section	.AMDGPU.csdata,"",@progbits
; Kernel info:
; codeLenInByte = 292
; TotalNumSgprs: 15
; NumVgprs: 6
; ScratchSize: 0
; MemoryBound: 0
; FloatMode: 240
; IeeeMode: 1
; LDSByteSize: 0 bytes/workgroup (compile time only)
; SGPRBlocks: 1
; VGPRBlocks: 1
; NumSGPRsForWavesPerEU: 15
; NumVGPRsForWavesPerEU: 6
; Occupancy: 10
; WaveLimiterHint : 1
; COMPUTE_PGM_RSRC2:SCRATCH_EN: 0
; COMPUTE_PGM_RSRC2:USER_SGPR: 6
; COMPUTE_PGM_RSRC2:TRAP_HANDLER: 0
; COMPUTE_PGM_RSRC2:TGID_X_EN: 1
; COMPUTE_PGM_RSRC2:TGID_Y_EN: 1
; COMPUTE_PGM_RSRC2:TGID_Z_EN: 1
; COMPUTE_PGM_RSRC2:TIDIG_COMP_CNT: 1
	.section	.text._ZL26rocblas_syr2k_her2k_kernelIiLb0ELb0ELb0ELi32EPKfPKS1_PKPfEvbiT_T4_T5_S7_lS9_S7_lT6_S7_li,"axG",@progbits,_ZL26rocblas_syr2k_her2k_kernelIiLb0ELb0ELb0ELi32EPKfPKS1_PKPfEvbiT_T4_T5_S7_lS9_S7_lT6_S7_li,comdat
	.globl	_ZL26rocblas_syr2k_her2k_kernelIiLb0ELb0ELb0ELi32EPKfPKS1_PKPfEvbiT_T4_T5_S7_lS9_S7_lT6_S7_li ; -- Begin function _ZL26rocblas_syr2k_her2k_kernelIiLb0ELb0ELb0ELi32EPKfPKS1_PKPfEvbiT_T4_T5_S7_lS9_S7_lT6_S7_li
	.p2align	8
	.type	_ZL26rocblas_syr2k_her2k_kernelIiLb0ELb0ELb0ELi32EPKfPKS1_PKPfEvbiT_T4_T5_S7_lS9_S7_lT6_S7_li,@function
_ZL26rocblas_syr2k_her2k_kernelIiLb0ELb0ELb0ELi32EPKfPKS1_PKPfEvbiT_T4_T5_S7_lS9_S7_lT6_S7_li: ; @_ZL26rocblas_syr2k_her2k_kernelIiLb0ELb0ELb0ELi32EPKfPKS1_PKPfEvbiT_T4_T5_S7_lS9_S7_lT6_S7_li
; %bb.0:
	s_load_dwordx4 s[0:3], s[4:5], 0x10
	s_waitcnt lgkmcnt(0)
	s_load_dword s10, s[0:1], 0x0
	s_waitcnt lgkmcnt(0)
	v_cmp_eq_f32_e64 s[0:1], s10, 0
	s_and_b64 vcc, exec, s[0:1]
	s_cbranch_vccnz .LBB537_11
; %bb.1:
	s_load_dwordx4 s[12:15], s[4:5], 0x0
	s_lshl_b32 s0, s7, 5
	s_lshl_b32 s1, s6, 5
	s_waitcnt lgkmcnt(0)
	s_and_b32 s6, 1, s12
	s_cmp_eq_u32 s6, 1
	s_cselect_b64 vcc, -1, 0
	s_and_b64 s[6:7], vcc, exec
	s_cselect_b32 s6, s1, s0
	s_cselect_b32 s7, s0, s1
	s_cmp_gt_i32 s6, s7
	s_cbranch_scc1 .LBB537_11
; %bb.2:
	s_cmp_lt_i32 s14, 1
	s_cbranch_scc1 .LBB537_11
; %bb.3:
	s_mov_b32 s9, 0
	s_load_dword s11, s[4:5], 0x20
	s_load_dwordx4 s[16:19], s[4:5], 0x28
	s_load_dword s12, s[4:5], 0x38
	s_load_dwordx4 s[20:23], s[4:5], 0x40
	s_load_dword s15, s[4:5], 0x50
	s_load_dwordx2 s[6:7], s[4:5], 0x58
	s_lshl_b64 s[4:5], s[8:9], 3
	s_add_u32 s2, s2, s4
	s_addc_u32 s3, s3, s5
	s_load_dwordx2 s[2:3], s[2:3], 0x0
	s_waitcnt lgkmcnt(0)
	s_add_u32 s18, s18, s4
	s_addc_u32 s19, s19, s5
	s_load_dwordx2 s[18:19], s[18:19], 0x0
	s_add_u32 s4, s22, s4
	v_add_u32_e32 v3, s1, v0
	s_addc_u32 s5, s23, s5
	s_lshl_b64 s[16:17], s[16:17], 2
	v_ashrrev_i32_e32 v4, 31, v3
	s_load_dwordx2 s[4:5], s[4:5], 0x0
	s_add_u32 s8, s2, s16
	v_lshlrev_b64 v[12:13], 2, v[3:4]
	s_addc_u32 s16, s3, s17
	v_add_u32_e32 v2, s0, v1
	s_lshl_b64 s[2:3], s[20:21], 2
	v_cndmask_b32_e32 v14, v3, v2, vcc
	v_cndmask_b32_e32 v15, v2, v3, vcc
	v_cmp_gt_i32_e32 vcc, s13, v3
	v_mov_b32_e32 v3, s16
	v_add_co_u32_e64 v4, s[0:1], s8, v12
	s_waitcnt lgkmcnt(0)
	s_add_u32 s17, s18, s2
	v_addc_co_u32_e64 v5, s[0:1], v3, v13, s[0:1]
	v_ashrrev_i32_e32 v3, 31, v2
	s_addc_u32 s18, s19, s3
	s_lshl_b64 s[2:3], s[6:7], 2
	v_lshlrev_b64 v[8:9], 2, v[2:3]
	s_add_u32 s6, s4, s2
	s_addc_u32 s7, s5, s3
	v_mov_b32_e32 v3, s18
	v_add_co_u32_e64 v8, s[2:3], s17, v8
	v_cmp_gt_i32_e64 s[0:1], s13, v2
	v_addc_co_u32_e64 v9, s[2:3], v3, v9, s[2:3]
	v_mad_i64_i32 v[2:3], s[2:3], s15, v2, 0
	v_cmp_le_i32_e64 s[2:3], v15, v14
	s_and_b64 s[4:5], s[0:1], vcc
	v_lshlrev_b64 v[2:3], 2, v[2:3]
	s_and_b64 s[4:5], s[4:5], s[2:3]
	v_mov_b32_e32 v14, s7
	v_add_co_u32_e64 v2, s[2:3], s6, v2
	v_lshlrev_b32_e32 v6, 7, v0
	v_lshlrev_b32_e32 v10, 2, v1
	v_addc_co_u32_e64 v3, s[2:3], v14, v3, s[2:3]
	v_add_u32_e32 v7, v6, v10
	v_or_b32_e32 v10, 0x1000, v10
	v_add_co_u32_e64 v2, s[2:3], v2, v12
	v_add_u32_e32 v11, v10, v6
	v_addc_co_u32_e64 v3, s[2:3], v3, v13, s[2:3]
	v_add_u32_e32 v12, 0x400, v10
	v_add_u32_e32 v13, 0x800, v10
	;; [unrolled: 1-line block ×3, first 2 shown]
	s_branch .LBB537_5
.LBB537_4:                              ;   in Loop: Header=BB537_5 Depth=1
	s_or_b64 exec, exec, s[2:3]
	s_add_i32 s9, s9, 32
	s_cmp_lt_i32 s9, s14
	s_waitcnt vmcnt(0) lgkmcnt(0)
	s_barrier
	s_cbranch_scc0 .LBB537_11
.LBB537_5:                              ; =>This Inner Loop Header: Depth=1
	v_add_u32_e32 v16, s9, v1
	v_cmp_gt_i32_e64 s[2:3], s14, v16
	s_and_b64 s[2:3], vcc, s[2:3]
	v_mov_b32_e32 v15, 0
	s_and_saveexec_b64 s[6:7], s[2:3]
	s_cbranch_execz .LBB537_7
; %bb.6:                                ;   in Loop: Header=BB537_5 Depth=1
	v_mad_i64_i32 v[15:16], s[2:3], v16, s11, 0
	v_lshlrev_b64 v[15:16], 2, v[15:16]
	v_add_co_u32_e64 v15, s[2:3], v4, v15
	v_addc_co_u32_e64 v16, s[2:3], v5, v16, s[2:3]
	flat_load_dword v15, v[15:16]
.LBB537_7:                              ;   in Loop: Header=BB537_5 Depth=1
	s_or_b64 exec, exec, s[6:7]
	v_add_u32_e32 v16, s9, v0
	v_cmp_gt_i32_e64 s[2:3], s14, v16
	s_waitcnt vmcnt(0) lgkmcnt(0)
	ds_write_b32 v7, v15
	s_and_b64 s[2:3], s[0:1], s[2:3]
	v_mov_b32_e32 v15, 0
	s_and_saveexec_b64 s[6:7], s[2:3]
	s_cbranch_execz .LBB537_9
; %bb.8:                                ;   in Loop: Header=BB537_5 Depth=1
	v_mad_i64_i32 v[15:16], s[2:3], v16, s12, 0
	v_lshlrev_b64 v[15:16], 2, v[15:16]
	v_add_co_u32_e64 v15, s[2:3], v8, v15
	v_addc_co_u32_e64 v16, s[2:3], v9, v16, s[2:3]
	flat_load_dword v15, v[15:16]
.LBB537_9:                              ;   in Loop: Header=BB537_5 Depth=1
	s_or_b64 exec, exec, s[6:7]
	s_waitcnt vmcnt(0) lgkmcnt(0)
	ds_write_b32 v11, v15
	s_waitcnt lgkmcnt(0)
	s_barrier
	s_and_saveexec_b64 s[2:3], s[4:5]
	s_cbranch_execz .LBB537_4
; %bb.10:                               ;   in Loop: Header=BB537_5 Depth=1
	flat_load_dword v27, v[2:3]
	ds_read_b128 v[15:18], v6
	ds_read2_b32 v[23:24], v10 offset1:32
	ds_read2_b32 v[25:26], v10 offset0:64 offset1:96
	ds_read_b128 v[19:22], v6 offset:16
	s_waitcnt lgkmcnt(0)
	v_fma_f32 v28, v15, v23, 0
	v_fmac_f32_e32 v28, v16, v24
	ds_read2_b32 v[23:24], v10 offset0:128 offset1:160
	v_fmac_f32_e32 v28, v17, v25
	v_fmac_f32_e32 v28, v18, v26
	ds_read2_b32 v[25:26], v10 offset0:192 offset1:224
	ds_read_b128 v[15:18], v6 offset:32
	s_waitcnt lgkmcnt(0)
	v_fmac_f32_e32 v28, v19, v23
	v_fmac_f32_e32 v28, v20, v24
	ds_read2_b32 v[23:24], v12 offset1:32
	v_fmac_f32_e32 v28, v21, v25
	v_fmac_f32_e32 v28, v22, v26
	ds_read_b128 v[19:22], v6 offset:48
	ds_read2_b32 v[25:26], v12 offset0:64 offset1:96
	s_waitcnt lgkmcnt(0)
	v_fmac_f32_e32 v28, v15, v23
	v_fmac_f32_e32 v28, v16, v24
	ds_read2_b32 v[15:16], v12 offset0:128 offset1:160
	v_fmac_f32_e32 v28, v17, v25
	v_fmac_f32_e32 v28, v18, v26
	ds_read2_b32 v[23:24], v12 offset0:192 offset1:224
	s_waitcnt lgkmcnt(0)
	v_fmac_f32_e32 v28, v19, v15
	v_fmac_f32_e32 v28, v20, v16
	ds_read_b128 v[15:18], v6 offset:64
	ds_read2_b32 v[25:26], v13 offset1:32
	v_fmac_f32_e32 v28, v21, v23
	v_fmac_f32_e32 v28, v22, v24
	ds_read2_b32 v[23:24], v13 offset0:64 offset1:96
	ds_read_b128 v[19:22], v6 offset:80
	s_waitcnt lgkmcnt(0)
	v_fmac_f32_e32 v28, v15, v25
	v_fmac_f32_e32 v28, v16, v26
	ds_read2_b32 v[15:16], v13 offset0:128 offset1:160
	v_fmac_f32_e32 v28, v17, v23
	v_fmac_f32_e32 v28, v18, v24
	ds_read2_b32 v[23:24], v13 offset0:192 offset1:224
	s_waitcnt lgkmcnt(0)
	v_fmac_f32_e32 v28, v19, v15
	v_fmac_f32_e32 v28, v20, v16
	ds_read_b128 v[15:18], v6 offset:96
	ds_read2_b32 v[25:26], v14 offset1:32
	v_fmac_f32_e32 v28, v21, v23
	v_fmac_f32_e32 v28, v22, v24
	ds_read2_b32 v[23:24], v14 offset0:64 offset1:96
	ds_read_b128 v[19:22], v6 offset:112
	s_waitcnt lgkmcnt(0)
	v_fmac_f32_e32 v28, v15, v25
	v_fmac_f32_e32 v28, v16, v26
	ds_read2_b32 v[15:16], v14 offset0:128 offset1:160
	v_fmac_f32_e32 v28, v17, v23
	v_fmac_f32_e32 v28, v18, v24
	ds_read2_b32 v[17:18], v14 offset0:192 offset1:224
	s_waitcnt lgkmcnt(0)
	v_fmac_f32_e32 v28, v19, v15
	v_fmac_f32_e32 v28, v20, v16
	;; [unrolled: 1-line block ×4, first 2 shown]
	s_waitcnt vmcnt(0)
	v_fmac_f32_e32 v27, s10, v28
	flat_store_dword v[2:3], v27
	s_branch .LBB537_4
.LBB537_11:
	s_endpgm
	.section	.rodata,"a",@progbits
	.p2align	6, 0x0
	.amdhsa_kernel _ZL26rocblas_syr2k_her2k_kernelIiLb0ELb0ELb0ELi32EPKfPKS1_PKPfEvbiT_T4_T5_S7_lS9_S7_lT6_S7_li
		.amdhsa_group_segment_fixed_size 8192
		.amdhsa_private_segment_fixed_size 0
		.amdhsa_kernarg_size 100
		.amdhsa_user_sgpr_count 6
		.amdhsa_user_sgpr_private_segment_buffer 1
		.amdhsa_user_sgpr_dispatch_ptr 0
		.amdhsa_user_sgpr_queue_ptr 0
		.amdhsa_user_sgpr_kernarg_segment_ptr 1
		.amdhsa_user_sgpr_dispatch_id 0
		.amdhsa_user_sgpr_flat_scratch_init 0
		.amdhsa_user_sgpr_private_segment_size 0
		.amdhsa_uses_dynamic_stack 0
		.amdhsa_system_sgpr_private_segment_wavefront_offset 0
		.amdhsa_system_sgpr_workgroup_id_x 1
		.amdhsa_system_sgpr_workgroup_id_y 1
		.amdhsa_system_sgpr_workgroup_id_z 1
		.amdhsa_system_sgpr_workgroup_info 0
		.amdhsa_system_vgpr_workitem_id 1
		.amdhsa_next_free_vgpr 29
		.amdhsa_next_free_sgpr 61
		.amdhsa_reserve_vcc 1
		.amdhsa_reserve_flat_scratch 0
		.amdhsa_float_round_mode_32 0
		.amdhsa_float_round_mode_16_64 0
		.amdhsa_float_denorm_mode_32 3
		.amdhsa_float_denorm_mode_16_64 3
		.amdhsa_dx10_clamp 1
		.amdhsa_ieee_mode 1
		.amdhsa_fp16_overflow 0
		.amdhsa_exception_fp_ieee_invalid_op 0
		.amdhsa_exception_fp_denorm_src 0
		.amdhsa_exception_fp_ieee_div_zero 0
		.amdhsa_exception_fp_ieee_overflow 0
		.amdhsa_exception_fp_ieee_underflow 0
		.amdhsa_exception_fp_ieee_inexact 0
		.amdhsa_exception_int_div_zero 0
	.end_amdhsa_kernel
	.section	.text._ZL26rocblas_syr2k_her2k_kernelIiLb0ELb0ELb0ELi32EPKfPKS1_PKPfEvbiT_T4_T5_S7_lS9_S7_lT6_S7_li,"axG",@progbits,_ZL26rocblas_syr2k_her2k_kernelIiLb0ELb0ELb0ELi32EPKfPKS1_PKPfEvbiT_T4_T5_S7_lS9_S7_lT6_S7_li,comdat
.Lfunc_end537:
	.size	_ZL26rocblas_syr2k_her2k_kernelIiLb0ELb0ELb0ELi32EPKfPKS1_PKPfEvbiT_T4_T5_S7_lS9_S7_lT6_S7_li, .Lfunc_end537-_ZL26rocblas_syr2k_her2k_kernelIiLb0ELb0ELb0ELi32EPKfPKS1_PKPfEvbiT_T4_T5_S7_lS9_S7_lT6_S7_li
                                        ; -- End function
	.set _ZL26rocblas_syr2k_her2k_kernelIiLb0ELb0ELb0ELi32EPKfPKS1_PKPfEvbiT_T4_T5_S7_lS9_S7_lT6_S7_li.num_vgpr, 29
	.set _ZL26rocblas_syr2k_her2k_kernelIiLb0ELb0ELb0ELi32EPKfPKS1_PKPfEvbiT_T4_T5_S7_lS9_S7_lT6_S7_li.num_agpr, 0
	.set _ZL26rocblas_syr2k_her2k_kernelIiLb0ELb0ELb0ELi32EPKfPKS1_PKPfEvbiT_T4_T5_S7_lS9_S7_lT6_S7_li.numbered_sgpr, 24
	.set _ZL26rocblas_syr2k_her2k_kernelIiLb0ELb0ELb0ELi32EPKfPKS1_PKPfEvbiT_T4_T5_S7_lS9_S7_lT6_S7_li.num_named_barrier, 0
	.set _ZL26rocblas_syr2k_her2k_kernelIiLb0ELb0ELb0ELi32EPKfPKS1_PKPfEvbiT_T4_T5_S7_lS9_S7_lT6_S7_li.private_seg_size, 0
	.set _ZL26rocblas_syr2k_her2k_kernelIiLb0ELb0ELb0ELi32EPKfPKS1_PKPfEvbiT_T4_T5_S7_lS9_S7_lT6_S7_li.uses_vcc, 1
	.set _ZL26rocblas_syr2k_her2k_kernelIiLb0ELb0ELb0ELi32EPKfPKS1_PKPfEvbiT_T4_T5_S7_lS9_S7_lT6_S7_li.uses_flat_scratch, 0
	.set _ZL26rocblas_syr2k_her2k_kernelIiLb0ELb0ELb0ELi32EPKfPKS1_PKPfEvbiT_T4_T5_S7_lS9_S7_lT6_S7_li.has_dyn_sized_stack, 0
	.set _ZL26rocblas_syr2k_her2k_kernelIiLb0ELb0ELb0ELi32EPKfPKS1_PKPfEvbiT_T4_T5_S7_lS9_S7_lT6_S7_li.has_recursion, 0
	.set _ZL26rocblas_syr2k_her2k_kernelIiLb0ELb0ELb0ELi32EPKfPKS1_PKPfEvbiT_T4_T5_S7_lS9_S7_lT6_S7_li.has_indirect_call, 0
	.section	.AMDGPU.csdata,"",@progbits
; Kernel info:
; codeLenInByte = 1056
; TotalNumSgprs: 28
; NumVgprs: 29
; ScratchSize: 0
; MemoryBound: 0
; FloatMode: 240
; IeeeMode: 1
; LDSByteSize: 8192 bytes/workgroup (compile time only)
; SGPRBlocks: 8
; VGPRBlocks: 7
; NumSGPRsForWavesPerEU: 65
; NumVGPRsForWavesPerEU: 29
; Occupancy: 8
; WaveLimiterHint : 1
; COMPUTE_PGM_RSRC2:SCRATCH_EN: 0
; COMPUTE_PGM_RSRC2:USER_SGPR: 6
; COMPUTE_PGM_RSRC2:TRAP_HANDLER: 0
; COMPUTE_PGM_RSRC2:TGID_X_EN: 1
; COMPUTE_PGM_RSRC2:TGID_Y_EN: 1
; COMPUTE_PGM_RSRC2:TGID_Z_EN: 1
; COMPUTE_PGM_RSRC2:TIDIG_COMP_CNT: 1
	.section	.text._ZL26rocblas_syr2k_her2k_kernelIiLb0ELb0ELb1ELi32EPKfPKS1_PKPfEvbiT_T4_T5_S7_lS9_S7_lT6_S7_li,"axG",@progbits,_ZL26rocblas_syr2k_her2k_kernelIiLb0ELb0ELb1ELi32EPKfPKS1_PKPfEvbiT_T4_T5_S7_lS9_S7_lT6_S7_li,comdat
	.globl	_ZL26rocblas_syr2k_her2k_kernelIiLb0ELb0ELb1ELi32EPKfPKS1_PKPfEvbiT_T4_T5_S7_lS9_S7_lT6_S7_li ; -- Begin function _ZL26rocblas_syr2k_her2k_kernelIiLb0ELb0ELb1ELi32EPKfPKS1_PKPfEvbiT_T4_T5_S7_lS9_S7_lT6_S7_li
	.p2align	8
	.type	_ZL26rocblas_syr2k_her2k_kernelIiLb0ELb0ELb1ELi32EPKfPKS1_PKPfEvbiT_T4_T5_S7_lS9_S7_lT6_S7_li,@function
_ZL26rocblas_syr2k_her2k_kernelIiLb0ELb0ELb1ELi32EPKfPKS1_PKPfEvbiT_T4_T5_S7_lS9_S7_lT6_S7_li: ; @_ZL26rocblas_syr2k_her2k_kernelIiLb0ELb0ELb1ELi32EPKfPKS1_PKPfEvbiT_T4_T5_S7_lS9_S7_lT6_S7_li
; %bb.0:
	s_load_dwordx4 s[0:3], s[4:5], 0x10
	s_waitcnt lgkmcnt(0)
	s_load_dword s10, s[0:1], 0x0
	s_waitcnt lgkmcnt(0)
	v_cmp_eq_f32_e64 s[0:1], s10, 0
	s_and_b64 vcc, exec, s[0:1]
	s_cbranch_vccnz .LBB538_11
; %bb.1:
	s_load_dwordx4 s[12:15], s[4:5], 0x0
	s_lshl_b32 s0, s7, 5
	s_lshl_b32 s1, s6, 5
	s_waitcnt lgkmcnt(0)
	s_and_b32 s6, 1, s12
	s_cmp_eq_u32 s6, 1
	s_cselect_b64 vcc, -1, 0
	s_and_b64 s[6:7], vcc, exec
	s_cselect_b32 s6, s1, s0
	s_cselect_b32 s7, s0, s1
	s_cmp_gt_i32 s6, s7
	s_cbranch_scc1 .LBB538_11
; %bb.2:
	s_cmp_lt_i32 s14, 1
	s_cbranch_scc1 .LBB538_11
; %bb.3:
	s_mov_b32 s9, 0
	s_load_dword s11, s[4:5], 0x20
	s_load_dwordx4 s[16:19], s[4:5], 0x28
	s_load_dword s12, s[4:5], 0x38
	s_load_dwordx4 s[20:23], s[4:5], 0x40
	s_load_dword s15, s[4:5], 0x50
	s_load_dwordx2 s[6:7], s[4:5], 0x58
	s_lshl_b64 s[4:5], s[8:9], 3
	s_add_u32 s2, s2, s4
	s_addc_u32 s3, s3, s5
	s_load_dwordx2 s[2:3], s[2:3], 0x0
	v_add_u32_e32 v2, s1, v0
	s_waitcnt lgkmcnt(0)
	s_add_u32 s18, s18, s4
	v_add_u32_e32 v14, s0, v1
	v_mad_i64_i32 v[4:5], s[0:1], s11, v2, 0
	s_addc_u32 s19, s19, s5
	s_add_u32 s4, s22, s4
	s_addc_u32 s5, s23, s5
	s_lshl_b64 s[16:17], s[16:17], 2
	s_add_u32 s8, s2, s16
	v_lshlrev_b64 v[4:5], 2, v[4:5]
	s_load_dwordx2 s[18:19], s[18:19], 0x0
	s_addc_u32 s16, s3, s17
	v_mov_b32_e32 v7, s16
	v_add_co_u32_e64 v6, s[0:1], s8, v4
	s_load_dwordx2 s[4:5], s[4:5], 0x0
	v_addc_co_u32_e64 v7, s[0:1], v7, v5, s[0:1]
	v_mad_i64_i32 v[4:5], s[0:1], s12, v14, 0
	s_lshl_b64 s[2:3], s[20:21], 2
	s_waitcnt lgkmcnt(0)
	s_add_u32 s17, s18, s2
	s_addc_u32 s18, s19, s3
	s_lshl_b64 s[2:3], s[6:7], 2
	v_lshlrev_b64 v[4:5], 2, v[4:5]
	s_add_u32 s6, s4, s2
	s_addc_u32 s7, s5, s3
	v_mov_b32_e32 v11, s18
	v_add_co_u32_e64 v10, s[2:3], s17, v4
	v_addc_co_u32_e64 v11, s[2:3], v11, v5, s[2:3]
	v_mad_i64_i32 v[4:5], s[2:3], s15, v14, 0
	v_cndmask_b32_e32 v15, v2, v14, vcc
	v_cndmask_b32_e32 v16, v14, v2, vcc
	v_cmp_gt_i32_e32 vcc, s13, v2
	v_cmp_gt_i32_e64 s[0:1], s13, v14
	v_lshlrev_b64 v[4:5], 2, v[4:5]
	v_ashrrev_i32_e32 v3, 31, v2
	v_cmp_le_i32_e64 s[2:3], v16, v15
	s_and_b64 s[4:5], s[0:1], vcc
	s_and_b64 s[4:5], s[4:5], s[2:3]
	v_mov_b32_e32 v14, s7
	v_add_co_u32_e64 v4, s[2:3], s6, v4
	v_lshlrev_b64 v[2:3], 2, v[2:3]
	v_lshlrev_b32_e32 v8, 7, v0
	v_lshlrev_b32_e32 v12, 2, v1
	v_addc_co_u32_e64 v5, s[2:3], v14, v5, s[2:3]
	v_add_u32_e32 v9, v8, v12
	v_or_b32_e32 v12, 0x1000, v12
	v_add_co_u32_e64 v2, s[2:3], v4, v2
	v_add_u32_e32 v13, v12, v8
	v_addc_co_u32_e64 v3, s[2:3], v5, v3, s[2:3]
	v_add_u32_e32 v14, 0x400, v12
	v_add_u32_e32 v15, 0x800, v12
	;; [unrolled: 1-line block ×3, first 2 shown]
	s_branch .LBB538_5
.LBB538_4:                              ;   in Loop: Header=BB538_5 Depth=1
	s_or_b64 exec, exec, s[2:3]
	s_add_i32 s9, s9, 32
	s_cmp_lt_i32 s9, s14
	s_waitcnt vmcnt(0) lgkmcnt(0)
	s_barrier
	s_cbranch_scc0 .LBB538_11
.LBB538_5:                              ; =>This Inner Loop Header: Depth=1
	v_add_u32_e32 v4, s9, v1
	v_cmp_gt_i32_e64 s[2:3], s14, v4
	s_and_b64 s[2:3], vcc, s[2:3]
	v_mov_b32_e32 v5, 0
	s_and_saveexec_b64 s[6:7], s[2:3]
	s_cbranch_execz .LBB538_7
; %bb.6:                                ;   in Loop: Header=BB538_5 Depth=1
	v_ashrrev_i32_e32 v5, 31, v4
	v_lshlrev_b64 v[4:5], 2, v[4:5]
	v_add_co_u32_e64 v4, s[2:3], v6, v4
	v_addc_co_u32_e64 v5, s[2:3], v7, v5, s[2:3]
	flat_load_dword v5, v[4:5]
.LBB538_7:                              ;   in Loop: Header=BB538_5 Depth=1
	s_or_b64 exec, exec, s[6:7]
	v_add_u32_e32 v4, s9, v0
	v_cmp_gt_i32_e64 s[2:3], s14, v4
	s_waitcnt vmcnt(0) lgkmcnt(0)
	ds_write_b32 v9, v5
	s_and_b64 s[2:3], s[0:1], s[2:3]
	v_mov_b32_e32 v5, 0
	s_and_saveexec_b64 s[6:7], s[2:3]
	s_cbranch_execz .LBB538_9
; %bb.8:                                ;   in Loop: Header=BB538_5 Depth=1
	v_ashrrev_i32_e32 v5, 31, v4
	v_lshlrev_b64 v[4:5], 2, v[4:5]
	v_add_co_u32_e64 v4, s[2:3], v10, v4
	v_addc_co_u32_e64 v5, s[2:3], v11, v5, s[2:3]
	flat_load_dword v5, v[4:5]
.LBB538_9:                              ;   in Loop: Header=BB538_5 Depth=1
	s_or_b64 exec, exec, s[6:7]
	s_waitcnt vmcnt(0) lgkmcnt(0)
	ds_write_b32 v13, v5
	s_waitcnt lgkmcnt(0)
	s_barrier
	s_and_saveexec_b64 s[2:3], s[4:5]
	s_cbranch_execz .LBB538_4
; %bb.10:                               ;   in Loop: Header=BB538_5 Depth=1
	flat_load_dword v27, v[2:3]
	ds_read_b128 v[17:20], v8
	ds_read2_b32 v[4:5], v12 offset1:32
	ds_read2_b32 v[25:26], v12 offset0:64 offset1:96
	ds_read_b128 v[21:24], v8 offset:16
	s_waitcnt lgkmcnt(0)
	v_fma_f32 v28, v17, v4, 0
	v_fmac_f32_e32 v28, v18, v5
	ds_read2_b32 v[4:5], v12 offset0:128 offset1:160
	v_fmac_f32_e32 v28, v19, v25
	v_fmac_f32_e32 v28, v20, v26
	ds_read2_b32 v[25:26], v12 offset0:192 offset1:224
	ds_read_b128 v[17:20], v8 offset:32
	s_waitcnt lgkmcnt(0)
	v_fmac_f32_e32 v28, v21, v4
	v_fmac_f32_e32 v28, v22, v5
	ds_read2_b32 v[4:5], v14 offset1:32
	v_fmac_f32_e32 v28, v23, v25
	v_fmac_f32_e32 v28, v24, v26
	ds_read_b128 v[21:24], v8 offset:48
	ds_read2_b32 v[25:26], v14 offset0:64 offset1:96
	s_waitcnt lgkmcnt(0)
	v_fmac_f32_e32 v28, v17, v4
	v_fmac_f32_e32 v28, v18, v5
	ds_read2_b32 v[4:5], v14 offset0:128 offset1:160
	v_fmac_f32_e32 v28, v19, v25
	v_fmac_f32_e32 v28, v20, v26
	ds_read2_b32 v[25:26], v14 offset0:192 offset1:224
	s_waitcnt lgkmcnt(0)
	v_fmac_f32_e32 v28, v21, v4
	v_fmac_f32_e32 v28, v22, v5
	ds_read_b128 v[17:20], v8 offset:64
	ds_read2_b32 v[4:5], v15 offset1:32
	v_fmac_f32_e32 v28, v23, v25
	v_fmac_f32_e32 v28, v24, v26
	ds_read2_b32 v[25:26], v15 offset0:64 offset1:96
	ds_read_b128 v[21:24], v8 offset:80
	s_waitcnt lgkmcnt(0)
	v_fmac_f32_e32 v28, v17, v4
	v_fmac_f32_e32 v28, v18, v5
	ds_read2_b32 v[4:5], v15 offset0:128 offset1:160
	v_fmac_f32_e32 v28, v19, v25
	v_fmac_f32_e32 v28, v20, v26
	ds_read2_b32 v[25:26], v15 offset0:192 offset1:224
	s_waitcnt lgkmcnt(0)
	v_fmac_f32_e32 v28, v21, v4
	v_fmac_f32_e32 v28, v22, v5
	ds_read_b128 v[17:20], v8 offset:96
	ds_read2_b32 v[4:5], v16 offset1:32
	v_fmac_f32_e32 v28, v23, v25
	v_fmac_f32_e32 v28, v24, v26
	ds_read2_b32 v[25:26], v16 offset0:64 offset1:96
	ds_read_b128 v[21:24], v8 offset:112
	s_waitcnt lgkmcnt(0)
	v_fmac_f32_e32 v28, v17, v4
	v_fmac_f32_e32 v28, v18, v5
	ds_read2_b32 v[4:5], v16 offset0:128 offset1:160
	ds_read2_b32 v[17:18], v16 offset0:192 offset1:224
	v_fmac_f32_e32 v28, v19, v25
	v_fmac_f32_e32 v28, v20, v26
	s_waitcnt lgkmcnt(0)
	v_fmac_f32_e32 v28, v21, v4
	v_fmac_f32_e32 v28, v22, v5
	;; [unrolled: 1-line block ×4, first 2 shown]
	s_waitcnt vmcnt(0)
	v_fmac_f32_e32 v27, s10, v28
	flat_store_dword v[2:3], v27
	s_branch .LBB538_4
.LBB538_11:
	s_endpgm
	.section	.rodata,"a",@progbits
	.p2align	6, 0x0
	.amdhsa_kernel _ZL26rocblas_syr2k_her2k_kernelIiLb0ELb0ELb1ELi32EPKfPKS1_PKPfEvbiT_T4_T5_S7_lS9_S7_lT6_S7_li
		.amdhsa_group_segment_fixed_size 8192
		.amdhsa_private_segment_fixed_size 0
		.amdhsa_kernarg_size 100
		.amdhsa_user_sgpr_count 6
		.amdhsa_user_sgpr_private_segment_buffer 1
		.amdhsa_user_sgpr_dispatch_ptr 0
		.amdhsa_user_sgpr_queue_ptr 0
		.amdhsa_user_sgpr_kernarg_segment_ptr 1
		.amdhsa_user_sgpr_dispatch_id 0
		.amdhsa_user_sgpr_flat_scratch_init 0
		.amdhsa_user_sgpr_private_segment_size 0
		.amdhsa_uses_dynamic_stack 0
		.amdhsa_system_sgpr_private_segment_wavefront_offset 0
		.amdhsa_system_sgpr_workgroup_id_x 1
		.amdhsa_system_sgpr_workgroup_id_y 1
		.amdhsa_system_sgpr_workgroup_id_z 1
		.amdhsa_system_sgpr_workgroup_info 0
		.amdhsa_system_vgpr_workitem_id 1
		.amdhsa_next_free_vgpr 29
		.amdhsa_next_free_sgpr 61
		.amdhsa_reserve_vcc 1
		.amdhsa_reserve_flat_scratch 0
		.amdhsa_float_round_mode_32 0
		.amdhsa_float_round_mode_16_64 0
		.amdhsa_float_denorm_mode_32 3
		.amdhsa_float_denorm_mode_16_64 3
		.amdhsa_dx10_clamp 1
		.amdhsa_ieee_mode 1
		.amdhsa_fp16_overflow 0
		.amdhsa_exception_fp_ieee_invalid_op 0
		.amdhsa_exception_fp_denorm_src 0
		.amdhsa_exception_fp_ieee_div_zero 0
		.amdhsa_exception_fp_ieee_overflow 0
		.amdhsa_exception_fp_ieee_underflow 0
		.amdhsa_exception_fp_ieee_inexact 0
		.amdhsa_exception_int_div_zero 0
	.end_amdhsa_kernel
	.section	.text._ZL26rocblas_syr2k_her2k_kernelIiLb0ELb0ELb1ELi32EPKfPKS1_PKPfEvbiT_T4_T5_S7_lS9_S7_lT6_S7_li,"axG",@progbits,_ZL26rocblas_syr2k_her2k_kernelIiLb0ELb0ELb1ELi32EPKfPKS1_PKPfEvbiT_T4_T5_S7_lS9_S7_lT6_S7_li,comdat
.Lfunc_end538:
	.size	_ZL26rocblas_syr2k_her2k_kernelIiLb0ELb0ELb1ELi32EPKfPKS1_PKPfEvbiT_T4_T5_S7_lS9_S7_lT6_S7_li, .Lfunc_end538-_ZL26rocblas_syr2k_her2k_kernelIiLb0ELb0ELb1ELi32EPKfPKS1_PKPfEvbiT_T4_T5_S7_lS9_S7_lT6_S7_li
                                        ; -- End function
	.set _ZL26rocblas_syr2k_her2k_kernelIiLb0ELb0ELb1ELi32EPKfPKS1_PKPfEvbiT_T4_T5_S7_lS9_S7_lT6_S7_li.num_vgpr, 29
	.set _ZL26rocblas_syr2k_her2k_kernelIiLb0ELb0ELb1ELi32EPKfPKS1_PKPfEvbiT_T4_T5_S7_lS9_S7_lT6_S7_li.num_agpr, 0
	.set _ZL26rocblas_syr2k_her2k_kernelIiLb0ELb0ELb1ELi32EPKfPKS1_PKPfEvbiT_T4_T5_S7_lS9_S7_lT6_S7_li.numbered_sgpr, 24
	.set _ZL26rocblas_syr2k_her2k_kernelIiLb0ELb0ELb1ELi32EPKfPKS1_PKPfEvbiT_T4_T5_S7_lS9_S7_lT6_S7_li.num_named_barrier, 0
	.set _ZL26rocblas_syr2k_her2k_kernelIiLb0ELb0ELb1ELi32EPKfPKS1_PKPfEvbiT_T4_T5_S7_lS9_S7_lT6_S7_li.private_seg_size, 0
	.set _ZL26rocblas_syr2k_her2k_kernelIiLb0ELb0ELb1ELi32EPKfPKS1_PKPfEvbiT_T4_T5_S7_lS9_S7_lT6_S7_li.uses_vcc, 1
	.set _ZL26rocblas_syr2k_her2k_kernelIiLb0ELb0ELb1ELi32EPKfPKS1_PKPfEvbiT_T4_T5_S7_lS9_S7_lT6_S7_li.uses_flat_scratch, 0
	.set _ZL26rocblas_syr2k_her2k_kernelIiLb0ELb0ELb1ELi32EPKfPKS1_PKPfEvbiT_T4_T5_S7_lS9_S7_lT6_S7_li.has_dyn_sized_stack, 0
	.set _ZL26rocblas_syr2k_her2k_kernelIiLb0ELb0ELb1ELi32EPKfPKS1_PKPfEvbiT_T4_T5_S7_lS9_S7_lT6_S7_li.has_recursion, 0
	.set _ZL26rocblas_syr2k_her2k_kernelIiLb0ELb0ELb1ELi32EPKfPKS1_PKPfEvbiT_T4_T5_S7_lS9_S7_lT6_S7_li.has_indirect_call, 0
	.section	.AMDGPU.csdata,"",@progbits
; Kernel info:
; codeLenInByte = 1068
; TotalNumSgprs: 28
; NumVgprs: 29
; ScratchSize: 0
; MemoryBound: 0
; FloatMode: 240
; IeeeMode: 1
; LDSByteSize: 8192 bytes/workgroup (compile time only)
; SGPRBlocks: 8
; VGPRBlocks: 7
; NumSGPRsForWavesPerEU: 65
; NumVGPRsForWavesPerEU: 29
; Occupancy: 8
; WaveLimiterHint : 1
; COMPUTE_PGM_RSRC2:SCRATCH_EN: 0
; COMPUTE_PGM_RSRC2:USER_SGPR: 6
; COMPUTE_PGM_RSRC2:TRAP_HANDLER: 0
; COMPUTE_PGM_RSRC2:TGID_X_EN: 1
; COMPUTE_PGM_RSRC2:TGID_Y_EN: 1
; COMPUTE_PGM_RSRC2:TGID_Z_EN: 1
; COMPUTE_PGM_RSRC2:TIDIG_COMP_CNT: 1
	.section	.text._ZL26rocblas_syr2k_her2k_kernelIiLb0ELb0ELb0ELi32EdPKPKdPKPdEvbiT_T4_T5_S7_lS9_S7_lT6_S7_li,"axG",@progbits,_ZL26rocblas_syr2k_her2k_kernelIiLb0ELb0ELb0ELi32EdPKPKdPKPdEvbiT_T4_T5_S7_lS9_S7_lT6_S7_li,comdat
	.globl	_ZL26rocblas_syr2k_her2k_kernelIiLb0ELb0ELb0ELi32EdPKPKdPKPdEvbiT_T4_T5_S7_lS9_S7_lT6_S7_li ; -- Begin function _ZL26rocblas_syr2k_her2k_kernelIiLb0ELb0ELb0ELi32EdPKPKdPKPdEvbiT_T4_T5_S7_lS9_S7_lT6_S7_li
	.p2align	8
	.type	_ZL26rocblas_syr2k_her2k_kernelIiLb0ELb0ELb0ELi32EdPKPKdPKPdEvbiT_T4_T5_S7_lS9_S7_lT6_S7_li,@function
_ZL26rocblas_syr2k_her2k_kernelIiLb0ELb0ELb0ELi32EdPKPKdPKPdEvbiT_T4_T5_S7_lS9_S7_lT6_S7_li: ; @_ZL26rocblas_syr2k_her2k_kernelIiLb0ELb0ELb0ELi32EdPKPKdPKPdEvbiT_T4_T5_S7_lS9_S7_lT6_S7_li
; %bb.0:
	s_load_dwordx4 s[12:15], s[4:5], 0x10
	s_waitcnt lgkmcnt(0)
	v_cmp_eq_f64_e64 s[0:1], s[12:13], 0
	s_and_b64 vcc, exec, s[0:1]
	s_cbranch_vccnz .LBB539_11
; %bb.1:
	s_load_dwordx4 s[16:19], s[4:5], 0x0
	s_lshl_b32 s0, s7, 5
	s_lshl_b32 s1, s6, 5
	s_waitcnt lgkmcnt(0)
	s_and_b32 s2, 1, s16
	s_cmp_eq_u32 s2, 1
	s_cselect_b64 vcc, -1, 0
	s_and_b64 s[2:3], vcc, exec
	s_cselect_b32 s2, s1, s0
	s_cselect_b32 s3, s0, s1
	s_cmp_gt_i32 s2, s3
	s_cbranch_scc1 .LBB539_11
; %bb.2:
	s_cmp_lt_i32 s18, 1
	s_cbranch_scc1 .LBB539_11
; %bb.3:
	s_mov_b32 s9, 0
	s_load_dword s10, s[4:5], 0x20
	s_load_dwordx4 s[20:23], s[4:5], 0x28
	s_load_dword s11, s[4:5], 0x38
	s_load_dwordx4 s[24:27], s[4:5], 0x40
	s_load_dword s16, s[4:5], 0x50
	s_load_dwordx2 s[2:3], s[4:5], 0x58
	s_lshl_b64 s[4:5], s[8:9], 3
	s_add_u32 s6, s14, s4
	s_addc_u32 s7, s15, s5
	s_load_dwordx2 s[6:7], s[6:7], 0x0
	s_waitcnt lgkmcnt(0)
	s_add_u32 s14, s22, s4
	s_addc_u32 s15, s23, s5
	s_load_dwordx2 s[14:15], s[14:15], 0x0
	s_add_u32 s4, s26, s4
	v_add_u32_e32 v3, s1, v0
	s_addc_u32 s5, s27, s5
	s_lshl_b64 s[20:21], s[20:21], 3
	v_ashrrev_i32_e32 v4, 31, v3
	s_load_dwordx2 s[4:5], s[4:5], 0x0
	s_add_u32 s8, s6, s20
	v_lshlrev_b64 v[4:5], 3, v[3:4]
	s_addc_u32 s19, s7, s21
	v_add_u32_e32 v2, s0, v1
	s_lshl_b64 s[6:7], s[24:25], 3
	v_cndmask_b32_e32 v16, v3, v2, vcc
	v_cndmask_b32_e32 v17, v2, v3, vcc
	v_cmp_gt_i32_e32 vcc, s17, v3
	v_mov_b32_e32 v3, s19
	v_add_co_u32_e64 v8, s[0:1], s8, v4
	s_waitcnt lgkmcnt(0)
	s_add_u32 s6, s14, s6
	v_addc_co_u32_e64 v9, s[0:1], v3, v5, s[0:1]
	v_ashrrev_i32_e32 v3, 31, v2
	s_addc_u32 s7, s15, s7
	s_lshl_b64 s[2:3], s[2:3], 3
	v_lshlrev_b64 v[6:7], 3, v[2:3]
	s_add_u32 s14, s4, s2
	s_addc_u32 s15, s5, s3
	v_mov_b32_e32 v3, s7
	v_add_co_u32_e64 v12, s[2:3], s6, v6
	v_cmp_gt_i32_e64 s[0:1], s17, v2
	v_addc_co_u32_e64 v13, s[2:3], v3, v7, s[2:3]
	v_mad_i64_i32 v[2:3], s[2:3], s16, v2, 0
	v_cmp_le_i32_e64 s[2:3], v17, v16
	s_and_b64 s[4:5], s[0:1], vcc
	v_lshlrev_b64 v[2:3], 3, v[2:3]
	s_and_b64 s[4:5], s[4:5], s[2:3]
	v_mov_b32_e32 v6, s15
	v_add_co_u32_e64 v2, s[2:3], s14, v2
	v_lshlrev_b32_e32 v10, 8, v0
	v_lshlrev_b32_e32 v14, 3, v1
	v_addc_co_u32_e64 v3, s[2:3], v6, v3, s[2:3]
	v_add_u32_e32 v11, v10, v14
	v_or_b32_e32 v14, 0x2000, v14
	v_add_co_u32_e64 v2, s[2:3], v2, v4
	v_add_u32_e32 v15, v14, v10
	v_addc_co_u32_e64 v3, s[2:3], v3, v5, s[2:3]
	v_add_u32_e32 v16, 0x800, v14
	v_add_u32_e32 v17, 0x1000, v14
	v_add_u32_e32 v18, 0x1800, v14
	s_branch .LBB539_5
.LBB539_4:                              ;   in Loop: Header=BB539_5 Depth=1
	s_or_b64 exec, exec, s[2:3]
	s_add_i32 s9, s9, 32
	s_cmp_lt_i32 s9, s18
	s_waitcnt vmcnt(0) lgkmcnt(0)
	s_barrier
	s_cbranch_scc0 .LBB539_11
.LBB539_5:                              ; =>This Inner Loop Header: Depth=1
	v_add_u32_e32 v19, s9, v1
	v_cmp_gt_i32_e64 s[2:3], s18, v19
	v_mov_b32_e32 v4, 0
	v_mov_b32_e32 v6, 0
	;; [unrolled: 1-line block ×4, first 2 shown]
	s_and_b64 s[2:3], vcc, s[2:3]
	s_and_saveexec_b64 s[6:7], s[2:3]
	s_cbranch_execz .LBB539_7
; %bb.6:                                ;   in Loop: Header=BB539_5 Depth=1
	v_mad_i64_i32 v[6:7], s[2:3], v19, s10, 0
	v_lshlrev_b64 v[6:7], 3, v[6:7]
	v_add_co_u32_e64 v6, s[2:3], v8, v6
	v_addc_co_u32_e64 v7, s[2:3], v9, v7, s[2:3]
	flat_load_dwordx2 v[6:7], v[6:7]
.LBB539_7:                              ;   in Loop: Header=BB539_5 Depth=1
	s_or_b64 exec, exec, s[6:7]
	s_waitcnt vmcnt(0) lgkmcnt(0)
	ds_write_b64 v11, v[6:7]
	v_add_u32_e32 v6, s9, v0
	v_cmp_gt_i32_e64 s[2:3], s18, v6
	s_and_b64 s[2:3], s[0:1], s[2:3]
	s_and_saveexec_b64 s[6:7], s[2:3]
	s_cbranch_execz .LBB539_9
; %bb.8:                                ;   in Loop: Header=BB539_5 Depth=1
	v_mad_i64_i32 v[4:5], s[2:3], v6, s11, 0
	v_lshlrev_b64 v[4:5], 3, v[4:5]
	v_add_co_u32_e64 v4, s[2:3], v12, v4
	v_addc_co_u32_e64 v5, s[2:3], v13, v5, s[2:3]
	flat_load_dwordx2 v[4:5], v[4:5]
.LBB539_9:                              ;   in Loop: Header=BB539_5 Depth=1
	s_or_b64 exec, exec, s[6:7]
	s_waitcnt vmcnt(0) lgkmcnt(0)
	ds_write_b64 v15, v[4:5]
	s_waitcnt lgkmcnt(0)
	s_barrier
	s_and_saveexec_b64 s[2:3], s[4:5]
	s_cbranch_execz .LBB539_4
; %bb.10:                               ;   in Loop: Header=BB539_5 Depth=1
	ds_read2_b64 v[4:7], v14 offset1:32
	ds_read_b128 v[19:22], v10
	s_waitcnt lgkmcnt(0)
	v_fma_f64 v[4:5], v[19:20], v[4:5], 0
	v_fma_f64 v[23:24], v[21:22], v[6:7], v[4:5]
	ds_read_b128 v[4:7], v10 offset:16
	ds_read2_b64 v[19:22], v14 offset0:64 offset1:96
	s_waitcnt lgkmcnt(0)
	v_fma_f64 v[4:5], v[4:5], v[19:20], v[23:24]
	v_fma_f64 v[23:24], v[6:7], v[21:22], v[4:5]
	ds_read2_b64 v[4:7], v14 offset0:128 offset1:160
	ds_read_b128 v[19:22], v10 offset:32
	s_waitcnt lgkmcnt(0)
	v_fma_f64 v[4:5], v[19:20], v[4:5], v[23:24]
	v_fma_f64 v[23:24], v[21:22], v[6:7], v[4:5]
	ds_read_b128 v[4:7], v10 offset:48
	ds_read2_b64 v[19:22], v14 offset0:192 offset1:224
	s_waitcnt lgkmcnt(0)
	v_fma_f64 v[4:5], v[4:5], v[19:20], v[23:24]
	v_fma_f64 v[23:24], v[6:7], v[21:22], v[4:5]
	ds_read2_b64 v[4:7], v16 offset1:32
	ds_read_b128 v[19:22], v10 offset:64
	s_waitcnt lgkmcnt(0)
	v_fma_f64 v[4:5], v[19:20], v[4:5], v[23:24]
	v_fma_f64 v[23:24], v[21:22], v[6:7], v[4:5]
	ds_read_b128 v[4:7], v10 offset:80
	ds_read2_b64 v[19:22], v16 offset0:64 offset1:96
	s_waitcnt lgkmcnt(0)
	v_fma_f64 v[4:5], v[4:5], v[19:20], v[23:24]
	v_fma_f64 v[23:24], v[6:7], v[21:22], v[4:5]
	ds_read2_b64 v[4:7], v16 offset0:128 offset1:160
	ds_read_b128 v[19:22], v10 offset:96
	s_waitcnt lgkmcnt(0)
	v_fma_f64 v[4:5], v[19:20], v[4:5], v[23:24]
	v_fma_f64 v[23:24], v[21:22], v[6:7], v[4:5]
	ds_read_b128 v[4:7], v10 offset:112
	ds_read2_b64 v[19:22], v16 offset0:192 offset1:224
	s_waitcnt lgkmcnt(0)
	v_fma_f64 v[4:5], v[4:5], v[19:20], v[23:24]
	v_fma_f64 v[23:24], v[6:7], v[21:22], v[4:5]
	ds_read2_b64 v[4:7], v17 offset1:32
	ds_read_b128 v[19:22], v10 offset:128
	s_waitcnt lgkmcnt(0)
	v_fma_f64 v[4:5], v[19:20], v[4:5], v[23:24]
	v_fma_f64 v[23:24], v[21:22], v[6:7], v[4:5]
	ds_read_b128 v[4:7], v10 offset:144
	ds_read2_b64 v[19:22], v17 offset0:64 offset1:96
	s_waitcnt lgkmcnt(0)
	v_fma_f64 v[4:5], v[4:5], v[19:20], v[23:24]
	v_fma_f64 v[23:24], v[6:7], v[21:22], v[4:5]
	ds_read2_b64 v[4:7], v17 offset0:128 offset1:160
	ds_read_b128 v[19:22], v10 offset:160
	s_waitcnt lgkmcnt(0)
	v_fma_f64 v[4:5], v[19:20], v[4:5], v[23:24]
	v_fma_f64 v[23:24], v[21:22], v[6:7], v[4:5]
	ds_read_b128 v[4:7], v10 offset:176
	ds_read2_b64 v[19:22], v17 offset0:192 offset1:224
	s_waitcnt lgkmcnt(0)
	v_fma_f64 v[4:5], v[4:5], v[19:20], v[23:24]
	flat_load_dwordx2 v[23:24], v[2:3]
	v_fma_f64 v[25:26], v[6:7], v[21:22], v[4:5]
	ds_read2_b64 v[4:7], v18 offset1:32
	ds_read_b128 v[19:22], v10 offset:192
	s_waitcnt lgkmcnt(0)
	v_fma_f64 v[4:5], v[19:20], v[4:5], v[25:26]
	v_fma_f64 v[25:26], v[21:22], v[6:7], v[4:5]
	ds_read_b128 v[4:7], v10 offset:208
	ds_read2_b64 v[19:22], v18 offset0:64 offset1:96
	s_waitcnt lgkmcnt(0)
	v_fma_f64 v[4:5], v[4:5], v[19:20], v[25:26]
	v_fma_f64 v[25:26], v[6:7], v[21:22], v[4:5]
	ds_read2_b64 v[4:7], v18 offset0:128 offset1:160
	ds_read_b128 v[19:22], v10 offset:224
	s_waitcnt lgkmcnt(0)
	v_fma_f64 v[4:5], v[19:20], v[4:5], v[25:26]
	v_fma_f64 v[25:26], v[21:22], v[6:7], v[4:5]
	ds_read_b128 v[4:7], v10 offset:240
	ds_read2_b64 v[19:22], v18 offset0:192 offset1:224
	s_waitcnt lgkmcnt(0)
	v_fma_f64 v[4:5], v[4:5], v[19:20], v[25:26]
	v_fma_f64 v[4:5], v[6:7], v[21:22], v[4:5]
	s_waitcnt vmcnt(0)
	v_fma_f64 v[4:5], s[12:13], v[4:5], v[23:24]
	flat_store_dwordx2 v[2:3], v[4:5]
	s_branch .LBB539_4
.LBB539_11:
	s_endpgm
	.section	.rodata,"a",@progbits
	.p2align	6, 0x0
	.amdhsa_kernel _ZL26rocblas_syr2k_her2k_kernelIiLb0ELb0ELb0ELi32EdPKPKdPKPdEvbiT_T4_T5_S7_lS9_S7_lT6_S7_li
		.amdhsa_group_segment_fixed_size 16384
		.amdhsa_private_segment_fixed_size 0
		.amdhsa_kernarg_size 100
		.amdhsa_user_sgpr_count 6
		.amdhsa_user_sgpr_private_segment_buffer 1
		.amdhsa_user_sgpr_dispatch_ptr 0
		.amdhsa_user_sgpr_queue_ptr 0
		.amdhsa_user_sgpr_kernarg_segment_ptr 1
		.amdhsa_user_sgpr_dispatch_id 0
		.amdhsa_user_sgpr_flat_scratch_init 0
		.amdhsa_user_sgpr_private_segment_size 0
		.amdhsa_uses_dynamic_stack 0
		.amdhsa_system_sgpr_private_segment_wavefront_offset 0
		.amdhsa_system_sgpr_workgroup_id_x 1
		.amdhsa_system_sgpr_workgroup_id_y 1
		.amdhsa_system_sgpr_workgroup_id_z 1
		.amdhsa_system_sgpr_workgroup_info 0
		.amdhsa_system_vgpr_workitem_id 1
		.amdhsa_next_free_vgpr 29
		.amdhsa_next_free_sgpr 61
		.amdhsa_reserve_vcc 1
		.amdhsa_reserve_flat_scratch 0
		.amdhsa_float_round_mode_32 0
		.amdhsa_float_round_mode_16_64 0
		.amdhsa_float_denorm_mode_32 3
		.amdhsa_float_denorm_mode_16_64 3
		.amdhsa_dx10_clamp 1
		.amdhsa_ieee_mode 1
		.amdhsa_fp16_overflow 0
		.amdhsa_exception_fp_ieee_invalid_op 0
		.amdhsa_exception_fp_denorm_src 0
		.amdhsa_exception_fp_ieee_div_zero 0
		.amdhsa_exception_fp_ieee_overflow 0
		.amdhsa_exception_fp_ieee_underflow 0
		.amdhsa_exception_fp_ieee_inexact 0
		.amdhsa_exception_int_div_zero 0
	.end_amdhsa_kernel
	.section	.text._ZL26rocblas_syr2k_her2k_kernelIiLb0ELb0ELb0ELi32EdPKPKdPKPdEvbiT_T4_T5_S7_lS9_S7_lT6_S7_li,"axG",@progbits,_ZL26rocblas_syr2k_her2k_kernelIiLb0ELb0ELb0ELi32EdPKPKdPKPdEvbiT_T4_T5_S7_lS9_S7_lT6_S7_li,comdat
.Lfunc_end539:
	.size	_ZL26rocblas_syr2k_her2k_kernelIiLb0ELb0ELb0ELi32EdPKPKdPKPdEvbiT_T4_T5_S7_lS9_S7_lT6_S7_li, .Lfunc_end539-_ZL26rocblas_syr2k_her2k_kernelIiLb0ELb0ELb0ELi32EdPKPKdPKPdEvbiT_T4_T5_S7_lS9_S7_lT6_S7_li
                                        ; -- End function
	.set _ZL26rocblas_syr2k_her2k_kernelIiLb0ELb0ELb0ELi32EdPKPKdPKPdEvbiT_T4_T5_S7_lS9_S7_lT6_S7_li.num_vgpr, 27
	.set _ZL26rocblas_syr2k_her2k_kernelIiLb0ELb0ELb0ELi32EdPKPKdPKPdEvbiT_T4_T5_S7_lS9_S7_lT6_S7_li.num_agpr, 0
	.set _ZL26rocblas_syr2k_her2k_kernelIiLb0ELb0ELb0ELi32EdPKPKdPKPdEvbiT_T4_T5_S7_lS9_S7_lT6_S7_li.numbered_sgpr, 28
	.set _ZL26rocblas_syr2k_her2k_kernelIiLb0ELb0ELb0ELi32EdPKPKdPKPdEvbiT_T4_T5_S7_lS9_S7_lT6_S7_li.num_named_barrier, 0
	.set _ZL26rocblas_syr2k_her2k_kernelIiLb0ELb0ELb0ELi32EdPKPKdPKPdEvbiT_T4_T5_S7_lS9_S7_lT6_S7_li.private_seg_size, 0
	.set _ZL26rocblas_syr2k_her2k_kernelIiLb0ELb0ELb0ELi32EdPKPKdPKPdEvbiT_T4_T5_S7_lS9_S7_lT6_S7_li.uses_vcc, 1
	.set _ZL26rocblas_syr2k_her2k_kernelIiLb0ELb0ELb0ELi32EdPKPKdPKPdEvbiT_T4_T5_S7_lS9_S7_lT6_S7_li.uses_flat_scratch, 0
	.set _ZL26rocblas_syr2k_her2k_kernelIiLb0ELb0ELb0ELi32EdPKPKdPKPdEvbiT_T4_T5_S7_lS9_S7_lT6_S7_li.has_dyn_sized_stack, 0
	.set _ZL26rocblas_syr2k_her2k_kernelIiLb0ELb0ELb0ELi32EdPKPKdPKPdEvbiT_T4_T5_S7_lS9_S7_lT6_S7_li.has_recursion, 0
	.set _ZL26rocblas_syr2k_her2k_kernelIiLb0ELb0ELb0ELi32EdPKPKdPKPdEvbiT_T4_T5_S7_lS9_S7_lT6_S7_li.has_indirect_call, 0
	.section	.AMDGPU.csdata,"",@progbits
; Kernel info:
; codeLenInByte = 1276
; TotalNumSgprs: 32
; NumVgprs: 27
; ScratchSize: 0
; MemoryBound: 0
; FloatMode: 240
; IeeeMode: 1
; LDSByteSize: 16384 bytes/workgroup (compile time only)
; SGPRBlocks: 8
; VGPRBlocks: 7
; NumSGPRsForWavesPerEU: 65
; NumVGPRsForWavesPerEU: 29
; Occupancy: 8
; WaveLimiterHint : 1
; COMPUTE_PGM_RSRC2:SCRATCH_EN: 0
; COMPUTE_PGM_RSRC2:USER_SGPR: 6
; COMPUTE_PGM_RSRC2:TRAP_HANDLER: 0
; COMPUTE_PGM_RSRC2:TGID_X_EN: 1
; COMPUTE_PGM_RSRC2:TGID_Y_EN: 1
; COMPUTE_PGM_RSRC2:TGID_Z_EN: 1
; COMPUTE_PGM_RSRC2:TIDIG_COMP_CNT: 1
	.section	.text._ZL26rocblas_syr2k_her2k_kernelIiLb0ELb0ELb1ELi32EdPKPKdPKPdEvbiT_T4_T5_S7_lS9_S7_lT6_S7_li,"axG",@progbits,_ZL26rocblas_syr2k_her2k_kernelIiLb0ELb0ELb1ELi32EdPKPKdPKPdEvbiT_T4_T5_S7_lS9_S7_lT6_S7_li,comdat
	.globl	_ZL26rocblas_syr2k_her2k_kernelIiLb0ELb0ELb1ELi32EdPKPKdPKPdEvbiT_T4_T5_S7_lS9_S7_lT6_S7_li ; -- Begin function _ZL26rocblas_syr2k_her2k_kernelIiLb0ELb0ELb1ELi32EdPKPKdPKPdEvbiT_T4_T5_S7_lS9_S7_lT6_S7_li
	.p2align	8
	.type	_ZL26rocblas_syr2k_her2k_kernelIiLb0ELb0ELb1ELi32EdPKPKdPKPdEvbiT_T4_T5_S7_lS9_S7_lT6_S7_li,@function
_ZL26rocblas_syr2k_her2k_kernelIiLb0ELb0ELb1ELi32EdPKPKdPKPdEvbiT_T4_T5_S7_lS9_S7_lT6_S7_li: ; @_ZL26rocblas_syr2k_her2k_kernelIiLb0ELb0ELb1ELi32EdPKPKdPKPdEvbiT_T4_T5_S7_lS9_S7_lT6_S7_li
; %bb.0:
	s_load_dwordx4 s[12:15], s[4:5], 0x10
	s_waitcnt lgkmcnt(0)
	v_cmp_eq_f64_e64 s[0:1], s[12:13], 0
	s_and_b64 vcc, exec, s[0:1]
	s_cbranch_vccnz .LBB540_11
; %bb.1:
	s_load_dwordx4 s[16:19], s[4:5], 0x0
	s_lshl_b32 s0, s7, 5
	s_lshl_b32 s1, s6, 5
	s_waitcnt lgkmcnt(0)
	s_and_b32 s2, 1, s16
	s_cmp_eq_u32 s2, 1
	s_cselect_b64 vcc, -1, 0
	s_and_b64 s[2:3], vcc, exec
	s_cselect_b32 s2, s1, s0
	s_cselect_b32 s3, s0, s1
	s_cmp_gt_i32 s2, s3
	s_cbranch_scc1 .LBB540_11
; %bb.2:
	s_cmp_lt_i32 s18, 1
	s_cbranch_scc1 .LBB540_11
; %bb.3:
	s_mov_b32 s9, 0
	s_load_dword s16, s[4:5], 0x20
	s_load_dwordx4 s[20:23], s[4:5], 0x28
	s_load_dword s19, s[4:5], 0x38
	s_load_dwordx4 s[24:27], s[4:5], 0x40
	s_load_dword s28, s[4:5], 0x50
	s_load_dwordx2 s[2:3], s[4:5], 0x58
	s_lshl_b64 s[4:5], s[8:9], 3
	s_add_u32 s6, s14, s4
	s_addc_u32 s7, s15, s5
	s_load_dwordx2 s[6:7], s[6:7], 0x0
	v_add_u32_e32 v2, s1, v0
	s_waitcnt lgkmcnt(0)
	s_add_u32 s10, s22, s4
	v_add_u32_e32 v6, s0, v1
	v_mad_i64_i32 v[4:5], s[0:1], s16, v2, 0
	s_addc_u32 s11, s23, s5
	s_add_u32 s4, s26, s4
	s_addc_u32 s5, s27, s5
	s_lshl_b64 s[14:15], s[20:21], 3
	s_add_u32 s8, s6, s14
	v_lshlrev_b64 v[4:5], 3, v[4:5]
	s_load_dwordx2 s[10:11], s[10:11], 0x0
	s_addc_u32 s14, s7, s15
	v_mov_b32_e32 v10, s14
	v_add_co_u32_e64 v9, s[0:1], s8, v4
	s_load_dwordx2 s[4:5], s[4:5], 0x0
	v_addc_co_u32_e64 v10, s[0:1], v10, v5, s[0:1]
	v_mad_i64_i32 v[4:5], s[0:1], s19, v6, 0
	s_lshl_b64 s[6:7], s[24:25], 3
	s_waitcnt lgkmcnt(0)
	s_add_u32 s6, s10, s6
	s_addc_u32 s7, s11, s7
	s_lshl_b64 s[2:3], s[2:3], 3
	v_lshlrev_b64 v[4:5], 3, v[4:5]
	s_add_u32 s10, s4, s2
	s_addc_u32 s11, s5, s3
	v_mov_b32_e32 v14, s7
	v_add_co_u32_e64 v13, s[2:3], s6, v4
	v_addc_co_u32_e64 v14, s[2:3], v14, v5, s[2:3]
	v_mad_i64_i32 v[4:5], s[2:3], s28, v6, 0
	v_cndmask_b32_e32 v7, v2, v6, vcc
	v_cndmask_b32_e32 v8, v6, v2, vcc
	v_cmp_gt_i32_e32 vcc, s17, v2
	v_cmp_gt_i32_e64 s[0:1], s17, v6
	v_lshlrev_b64 v[4:5], 3, v[4:5]
	v_ashrrev_i32_e32 v3, 31, v2
	v_cmp_le_i32_e64 s[2:3], v8, v7
	s_and_b64 s[4:5], s[0:1], vcc
	s_and_b64 s[4:5], s[4:5], s[2:3]
	v_mov_b32_e32 v6, s11
	v_add_co_u32_e64 v4, s[2:3], s10, v4
	v_lshlrev_b64 v[2:3], 3, v[2:3]
	v_lshlrev_b32_e32 v11, 8, v0
	v_lshlrev_b32_e32 v15, 3, v1
	v_addc_co_u32_e64 v5, s[2:3], v6, v5, s[2:3]
	v_add_u32_e32 v12, v11, v15
	v_or_b32_e32 v15, 0x2000, v15
	v_add_co_u32_e64 v2, s[2:3], v4, v2
	v_add_u32_e32 v16, v15, v11
	v_addc_co_u32_e64 v3, s[2:3], v5, v3, s[2:3]
	v_add_u32_e32 v17, 0x800, v15
	v_add_u32_e32 v18, 0x1000, v15
	;; [unrolled: 1-line block ×3, first 2 shown]
	s_branch .LBB540_5
.LBB540_4:                              ;   in Loop: Header=BB540_5 Depth=1
	s_or_b64 exec, exec, s[2:3]
	s_add_i32 s9, s9, 32
	s_cmp_lt_i32 s9, s18
	s_waitcnt vmcnt(0) lgkmcnt(0)
	s_barrier
	s_cbranch_scc0 .LBB540_11
.LBB540_5:                              ; =>This Inner Loop Header: Depth=1
	v_add_u32_e32 v6, s9, v1
	v_cmp_gt_i32_e64 s[2:3], s18, v6
	v_mov_b32_e32 v4, 0
	v_mov_b32_e32 v7, 0
	;; [unrolled: 1-line block ×4, first 2 shown]
	s_and_b64 s[2:3], vcc, s[2:3]
	s_and_saveexec_b64 s[6:7], s[2:3]
	s_cbranch_execz .LBB540_7
; %bb.6:                                ;   in Loop: Header=BB540_5 Depth=1
	v_ashrrev_i32_e32 v7, 31, v6
	v_lshlrev_b64 v[6:7], 3, v[6:7]
	v_add_co_u32_e64 v6, s[2:3], v9, v6
	v_addc_co_u32_e64 v7, s[2:3], v10, v7, s[2:3]
	flat_load_dwordx2 v[7:8], v[6:7]
.LBB540_7:                              ;   in Loop: Header=BB540_5 Depth=1
	s_or_b64 exec, exec, s[6:7]
	v_add_u32_e32 v6, s9, v0
	v_cmp_gt_i32_e64 s[2:3], s18, v6
	s_and_b64 s[2:3], s[0:1], s[2:3]
	s_waitcnt vmcnt(0) lgkmcnt(0)
	ds_write_b64 v12, v[7:8]
	s_and_saveexec_b64 s[6:7], s[2:3]
	s_cbranch_execz .LBB540_9
; %bb.8:                                ;   in Loop: Header=BB540_5 Depth=1
	v_ashrrev_i32_e32 v7, 31, v6
	v_lshlrev_b64 v[4:5], 3, v[6:7]
	v_add_co_u32_e64 v4, s[2:3], v13, v4
	v_addc_co_u32_e64 v5, s[2:3], v14, v5, s[2:3]
	flat_load_dwordx2 v[4:5], v[4:5]
.LBB540_9:                              ;   in Loop: Header=BB540_5 Depth=1
	s_or_b64 exec, exec, s[6:7]
	s_waitcnt vmcnt(0) lgkmcnt(0)
	ds_write_b64 v16, v[4:5]
	s_waitcnt lgkmcnt(0)
	s_barrier
	s_and_saveexec_b64 s[2:3], s[4:5]
	s_cbranch_execz .LBB540_4
; %bb.10:                               ;   in Loop: Header=BB540_5 Depth=1
	ds_read2_b64 v[4:7], v15 offset1:32
	ds_read_b128 v[20:23], v11
	s_waitcnt lgkmcnt(0)
	v_fma_f64 v[4:5], v[20:21], v[4:5], 0
	v_fma_f64 v[24:25], v[22:23], v[6:7], v[4:5]
	ds_read_b128 v[4:7], v11 offset:16
	ds_read2_b64 v[20:23], v15 offset0:64 offset1:96
	s_waitcnt lgkmcnt(0)
	v_fma_f64 v[4:5], v[4:5], v[20:21], v[24:25]
	v_fma_f64 v[24:25], v[6:7], v[22:23], v[4:5]
	ds_read2_b64 v[4:7], v15 offset0:128 offset1:160
	ds_read_b128 v[20:23], v11 offset:32
	s_waitcnt lgkmcnt(0)
	v_fma_f64 v[4:5], v[20:21], v[4:5], v[24:25]
	v_fma_f64 v[24:25], v[22:23], v[6:7], v[4:5]
	ds_read_b128 v[4:7], v11 offset:48
	ds_read2_b64 v[20:23], v15 offset0:192 offset1:224
	s_waitcnt lgkmcnt(0)
	v_fma_f64 v[4:5], v[4:5], v[20:21], v[24:25]
	v_fma_f64 v[24:25], v[6:7], v[22:23], v[4:5]
	ds_read2_b64 v[4:7], v17 offset1:32
	ds_read_b128 v[20:23], v11 offset:64
	s_waitcnt lgkmcnt(0)
	v_fma_f64 v[4:5], v[20:21], v[4:5], v[24:25]
	v_fma_f64 v[24:25], v[22:23], v[6:7], v[4:5]
	ds_read_b128 v[4:7], v11 offset:80
	ds_read2_b64 v[20:23], v17 offset0:64 offset1:96
	s_waitcnt lgkmcnt(0)
	v_fma_f64 v[4:5], v[4:5], v[20:21], v[24:25]
	v_fma_f64 v[24:25], v[6:7], v[22:23], v[4:5]
	ds_read2_b64 v[4:7], v17 offset0:128 offset1:160
	ds_read_b128 v[20:23], v11 offset:96
	s_waitcnt lgkmcnt(0)
	v_fma_f64 v[4:5], v[20:21], v[4:5], v[24:25]
	v_fma_f64 v[24:25], v[22:23], v[6:7], v[4:5]
	ds_read_b128 v[4:7], v11 offset:112
	ds_read2_b64 v[20:23], v17 offset0:192 offset1:224
	s_waitcnt lgkmcnt(0)
	v_fma_f64 v[4:5], v[4:5], v[20:21], v[24:25]
	v_fma_f64 v[24:25], v[6:7], v[22:23], v[4:5]
	ds_read2_b64 v[4:7], v18 offset1:32
	ds_read_b128 v[20:23], v11 offset:128
	s_waitcnt lgkmcnt(0)
	v_fma_f64 v[4:5], v[20:21], v[4:5], v[24:25]
	v_fma_f64 v[24:25], v[22:23], v[6:7], v[4:5]
	ds_read_b128 v[4:7], v11 offset:144
	ds_read2_b64 v[20:23], v18 offset0:64 offset1:96
	s_waitcnt lgkmcnt(0)
	v_fma_f64 v[4:5], v[4:5], v[20:21], v[24:25]
	v_fma_f64 v[24:25], v[6:7], v[22:23], v[4:5]
	ds_read2_b64 v[4:7], v18 offset0:128 offset1:160
	ds_read_b128 v[20:23], v11 offset:160
	s_waitcnt lgkmcnt(0)
	v_fma_f64 v[4:5], v[20:21], v[4:5], v[24:25]
	v_fma_f64 v[24:25], v[22:23], v[6:7], v[4:5]
	ds_read_b128 v[4:7], v11 offset:176
	ds_read2_b64 v[20:23], v18 offset0:192 offset1:224
	s_waitcnt lgkmcnt(0)
	v_fma_f64 v[4:5], v[4:5], v[20:21], v[24:25]
	flat_load_dwordx2 v[24:25], v[2:3]
	v_fma_f64 v[26:27], v[6:7], v[22:23], v[4:5]
	ds_read2_b64 v[4:7], v19 offset1:32
	ds_read_b128 v[20:23], v11 offset:192
	s_waitcnt lgkmcnt(0)
	v_fma_f64 v[4:5], v[20:21], v[4:5], v[26:27]
	v_fma_f64 v[26:27], v[22:23], v[6:7], v[4:5]
	ds_read_b128 v[4:7], v11 offset:208
	ds_read2_b64 v[20:23], v19 offset0:64 offset1:96
	s_waitcnt lgkmcnt(0)
	v_fma_f64 v[4:5], v[4:5], v[20:21], v[26:27]
	v_fma_f64 v[26:27], v[6:7], v[22:23], v[4:5]
	ds_read2_b64 v[4:7], v19 offset0:128 offset1:160
	ds_read_b128 v[20:23], v11 offset:224
	s_waitcnt lgkmcnt(0)
	v_fma_f64 v[4:5], v[20:21], v[4:5], v[26:27]
	v_fma_f64 v[26:27], v[22:23], v[6:7], v[4:5]
	ds_read_b128 v[4:7], v11 offset:240
	ds_read2_b64 v[20:23], v19 offset0:192 offset1:224
	s_waitcnt lgkmcnt(0)
	v_fma_f64 v[4:5], v[4:5], v[20:21], v[26:27]
	v_fma_f64 v[4:5], v[6:7], v[22:23], v[4:5]
	s_waitcnt vmcnt(0)
	v_fma_f64 v[4:5], s[12:13], v[4:5], v[24:25]
	flat_store_dwordx2 v[2:3], v[4:5]
	s_branch .LBB540_4
.LBB540_11:
	s_endpgm
	.section	.rodata,"a",@progbits
	.p2align	6, 0x0
	.amdhsa_kernel _ZL26rocblas_syr2k_her2k_kernelIiLb0ELb0ELb1ELi32EdPKPKdPKPdEvbiT_T4_T5_S7_lS9_S7_lT6_S7_li
		.amdhsa_group_segment_fixed_size 16384
		.amdhsa_private_segment_fixed_size 0
		.amdhsa_kernarg_size 100
		.amdhsa_user_sgpr_count 6
		.amdhsa_user_sgpr_private_segment_buffer 1
		.amdhsa_user_sgpr_dispatch_ptr 0
		.amdhsa_user_sgpr_queue_ptr 0
		.amdhsa_user_sgpr_kernarg_segment_ptr 1
		.amdhsa_user_sgpr_dispatch_id 0
		.amdhsa_user_sgpr_flat_scratch_init 0
		.amdhsa_user_sgpr_private_segment_size 0
		.amdhsa_uses_dynamic_stack 0
		.amdhsa_system_sgpr_private_segment_wavefront_offset 0
		.amdhsa_system_sgpr_workgroup_id_x 1
		.amdhsa_system_sgpr_workgroup_id_y 1
		.amdhsa_system_sgpr_workgroup_id_z 1
		.amdhsa_system_sgpr_workgroup_info 0
		.amdhsa_system_vgpr_workitem_id 1
		.amdhsa_next_free_vgpr 29
		.amdhsa_next_free_sgpr 61
		.amdhsa_reserve_vcc 1
		.amdhsa_reserve_flat_scratch 0
		.amdhsa_float_round_mode_32 0
		.amdhsa_float_round_mode_16_64 0
		.amdhsa_float_denorm_mode_32 3
		.amdhsa_float_denorm_mode_16_64 3
		.amdhsa_dx10_clamp 1
		.amdhsa_ieee_mode 1
		.amdhsa_fp16_overflow 0
		.amdhsa_exception_fp_ieee_invalid_op 0
		.amdhsa_exception_fp_denorm_src 0
		.amdhsa_exception_fp_ieee_div_zero 0
		.amdhsa_exception_fp_ieee_overflow 0
		.amdhsa_exception_fp_ieee_underflow 0
		.amdhsa_exception_fp_ieee_inexact 0
		.amdhsa_exception_int_div_zero 0
	.end_amdhsa_kernel
	.section	.text._ZL26rocblas_syr2k_her2k_kernelIiLb0ELb0ELb1ELi32EdPKPKdPKPdEvbiT_T4_T5_S7_lS9_S7_lT6_S7_li,"axG",@progbits,_ZL26rocblas_syr2k_her2k_kernelIiLb0ELb0ELb1ELi32EdPKPKdPKPdEvbiT_T4_T5_S7_lS9_S7_lT6_S7_li,comdat
.Lfunc_end540:
	.size	_ZL26rocblas_syr2k_her2k_kernelIiLb0ELb0ELb1ELi32EdPKPKdPKPdEvbiT_T4_T5_S7_lS9_S7_lT6_S7_li, .Lfunc_end540-_ZL26rocblas_syr2k_her2k_kernelIiLb0ELb0ELb1ELi32EdPKPKdPKPdEvbiT_T4_T5_S7_lS9_S7_lT6_S7_li
                                        ; -- End function
	.set _ZL26rocblas_syr2k_her2k_kernelIiLb0ELb0ELb1ELi32EdPKPKdPKPdEvbiT_T4_T5_S7_lS9_S7_lT6_S7_li.num_vgpr, 28
	.set _ZL26rocblas_syr2k_her2k_kernelIiLb0ELb0ELb1ELi32EdPKPKdPKPdEvbiT_T4_T5_S7_lS9_S7_lT6_S7_li.num_agpr, 0
	.set _ZL26rocblas_syr2k_her2k_kernelIiLb0ELb0ELb1ELi32EdPKPKdPKPdEvbiT_T4_T5_S7_lS9_S7_lT6_S7_li.numbered_sgpr, 29
	.set _ZL26rocblas_syr2k_her2k_kernelIiLb0ELb0ELb1ELi32EdPKPKdPKPdEvbiT_T4_T5_S7_lS9_S7_lT6_S7_li.num_named_barrier, 0
	.set _ZL26rocblas_syr2k_her2k_kernelIiLb0ELb0ELb1ELi32EdPKPKdPKPdEvbiT_T4_T5_S7_lS9_S7_lT6_S7_li.private_seg_size, 0
	.set _ZL26rocblas_syr2k_her2k_kernelIiLb0ELb0ELb1ELi32EdPKPKdPKPdEvbiT_T4_T5_S7_lS9_S7_lT6_S7_li.uses_vcc, 1
	.set _ZL26rocblas_syr2k_her2k_kernelIiLb0ELb0ELb1ELi32EdPKPKdPKPdEvbiT_T4_T5_S7_lS9_S7_lT6_S7_li.uses_flat_scratch, 0
	.set _ZL26rocblas_syr2k_her2k_kernelIiLb0ELb0ELb1ELi32EdPKPKdPKPdEvbiT_T4_T5_S7_lS9_S7_lT6_S7_li.has_dyn_sized_stack, 0
	.set _ZL26rocblas_syr2k_her2k_kernelIiLb0ELb0ELb1ELi32EdPKPKdPKPdEvbiT_T4_T5_S7_lS9_S7_lT6_S7_li.has_recursion, 0
	.set _ZL26rocblas_syr2k_her2k_kernelIiLb0ELb0ELb1ELi32EdPKPKdPKPdEvbiT_T4_T5_S7_lS9_S7_lT6_S7_li.has_indirect_call, 0
	.section	.AMDGPU.csdata,"",@progbits
; Kernel info:
; codeLenInByte = 1288
; TotalNumSgprs: 33
; NumVgprs: 28
; ScratchSize: 0
; MemoryBound: 0
; FloatMode: 240
; IeeeMode: 1
; LDSByteSize: 16384 bytes/workgroup (compile time only)
; SGPRBlocks: 8
; VGPRBlocks: 7
; NumSGPRsForWavesPerEU: 65
; NumVGPRsForWavesPerEU: 29
; Occupancy: 8
; WaveLimiterHint : 1
; COMPUTE_PGM_RSRC2:SCRATCH_EN: 0
; COMPUTE_PGM_RSRC2:USER_SGPR: 6
; COMPUTE_PGM_RSRC2:TRAP_HANDLER: 0
; COMPUTE_PGM_RSRC2:TGID_X_EN: 1
; COMPUTE_PGM_RSRC2:TGID_Y_EN: 1
; COMPUTE_PGM_RSRC2:TGID_Z_EN: 1
; COMPUTE_PGM_RSRC2:TIDIG_COMP_CNT: 1
	.section	.text._ZL37rocblas_syrkx_herkx_restricted_kernelIidLi16ELi32ELi8ELi1ELi1ELb0ELc84ELc76EKPKdKPdEviT_PT9_S5_lS7_S5_lPT10_S5_li,"axG",@progbits,_ZL37rocblas_syrkx_herkx_restricted_kernelIidLi16ELi32ELi8ELi1ELi1ELb0ELc84ELc76EKPKdKPdEviT_PT9_S5_lS7_S5_lPT10_S5_li,comdat
	.globl	_ZL37rocblas_syrkx_herkx_restricted_kernelIidLi16ELi32ELi8ELi1ELi1ELb0ELc84ELc76EKPKdKPdEviT_PT9_S5_lS7_S5_lPT10_S5_li ; -- Begin function _ZL37rocblas_syrkx_herkx_restricted_kernelIidLi16ELi32ELi8ELi1ELi1ELb0ELc84ELc76EKPKdKPdEviT_PT9_S5_lS7_S5_lPT10_S5_li
	.p2align	8
	.type	_ZL37rocblas_syrkx_herkx_restricted_kernelIidLi16ELi32ELi8ELi1ELi1ELb0ELc84ELc76EKPKdKPdEviT_PT9_S5_lS7_S5_lPT10_S5_li,@function
_ZL37rocblas_syrkx_herkx_restricted_kernelIidLi16ELi32ELi8ELi1ELi1ELb0ELc84ELc76EKPKdKPdEviT_PT9_S5_lS7_S5_lPT10_S5_li: ; @_ZL37rocblas_syrkx_herkx_restricted_kernelIidLi16ELi32ELi8ELi1ELi1ELb0ELc84ELc76EKPKdKPdEviT_PT9_S5_lS7_S5_lPT10_S5_li
; %bb.0:
	s_load_dwordx2 s[2:3], s[4:5], 0x38
	s_load_dwordx2 s[12:13], s[4:5], 0x0
	s_mov_b32 s9, 0
	s_lshl_b64 s[0:1], s[8:9], 3
	s_waitcnt lgkmcnt(0)
	s_add_u32 s2, s2, s0
	s_addc_u32 s3, s3, s1
	s_load_dwordx2 s[10:11], s[2:3], 0x0
	s_lshl_b32 s2, s6, 5
	s_lshl_b32 s3, s7, 5
	s_cmp_lt_i32 s13, 1
	s_cbranch_scc1 .LBB541_3
; %bb.1:
	s_load_dwordx2 s[6:7], s[4:5], 0x8
	s_load_dword s8, s[4:5], 0x10
	s_load_dwordx2 s[14:15], s[4:5], 0x20
	s_load_dword s16, s[4:5], 0x28
	v_lshl_add_u32 v4, v1, 4, v0
	s_waitcnt lgkmcnt(0)
	s_add_u32 s6, s6, s0
	s_addc_u32 s7, s7, s1
	v_lshrrev_b32_e32 v8, 3, v4
	s_add_u32 s0, s14, s0
	v_add_u32_e32 v5, s3, v8
	v_and_b32_e32 v2, 7, v0
	v_mov_b32_e32 v3, 0
	s_addc_u32 s1, s15, s1
	v_mad_i64_i32 v[6:7], s[14:15], s16, v5, v[2:3]
	v_and_b32_e32 v9, 31, v4
	v_lshlrev_b32_e32 v2, 3, v2
	v_lshrrev_b32_e32 v4, 5, v4
	v_mov_b32_e32 v5, v3
	v_lshlrev_b32_e32 v3, 3, v9
	v_lshl_or_b32 v8, v8, 6, v2
	v_add_u32_e32 v2, s2, v9
	v_lshl_or_b32 v14, v4, 8, v3
	v_mad_i64_i32 v[2:3], s[14:15], s8, v2, v[4:5]
	s_load_dwordx2 s[6:7], s[6:7], 0x0
	v_add_u32_e32 v15, 0x800, v8
	s_load_dwordx2 s[0:1], s[0:1], 0x0
	v_lshlrev_b64 v[2:3], 3, v[2:3]
	v_mov_b32_e32 v17, 0x800
	s_waitcnt lgkmcnt(0)
	v_mov_b32_e32 v5, s7
	v_add_co_u32_e32 v4, vcc, s6, v2
	v_addc_co_u32_e32 v5, vcc, v5, v3, vcc
	v_lshlrev_b64 v[2:3], 3, v[6:7]
	v_mov_b32_e32 v7, s1
	v_add_co_u32_e32 v6, vcc, s0, v2
	v_addc_co_u32_e32 v7, vcc, v7, v3, vcc
	v_mov_b32_e32 v2, 0
	v_mov_b32_e32 v8, 0
	;; [unrolled: 1-line block ×4, first 2 shown]
	v_lshlrev_b32_e32 v16, 3, v0
	v_mov_b32_e32 v3, 0
	v_mov_b32_e32 v9, 0
	;; [unrolled: 1-line block ×4, first 2 shown]
	v_lshl_add_u32 v17, v1, 6, v17
.LBB541_2:                              ; =>This Inner Loop Header: Depth=1
	flat_load_dwordx2 v[18:19], v[4:5]
	v_add_co_u32_e32 v4, vcc, 64, v4
	v_addc_co_u32_e32 v5, vcc, 0, v5, vcc
	s_add_i32 s9, s9, 8
	s_cmp_ge_i32 s9, s13
	s_waitcnt vmcnt(0) lgkmcnt(0)
	ds_write_b64 v14, v[18:19]
	flat_load_dwordx2 v[18:19], v[6:7]
	v_add_co_u32_e32 v6, vcc, 64, v6
	v_addc_co_u32_e32 v7, vcc, 0, v7, vcc
	s_waitcnt vmcnt(0) lgkmcnt(0)
	ds_write_b64 v15, v[18:19]
	s_waitcnt lgkmcnt(0)
	s_barrier
	ds_read2_b64 v[18:21], v16 offset1:16
	ds_read_b128 v[22:25], v17
	ds_read_b128 v[26:29], v17 offset:1024
	ds_read_b128 v[30:33], v17 offset:16
	s_waitcnt lgkmcnt(2)
	v_fma_f64 v[34:35], v[18:19], v[22:23], v[12:13]
	v_fma_f64 v[22:23], v[20:21], v[22:23], v[10:11]
	s_waitcnt lgkmcnt(1)
	v_fma_f64 v[8:9], v[18:19], v[26:27], v[8:9]
	v_fma_f64 v[2:3], v[20:21], v[26:27], v[2:3]
	ds_read2_b64 v[18:21], v16 offset0:32 offset1:48
	ds_read_b128 v[10:13], v17 offset:1040
	s_waitcnt lgkmcnt(1)
	v_fma_f64 v[26:27], v[18:19], v[24:25], v[34:35]
	v_fma_f64 v[34:35], v[20:21], v[24:25], v[22:23]
	;; [unrolled: 1-line block ×4, first 2 shown]
	ds_read2_b64 v[18:21], v16 offset0:64 offset1:80
	ds_read2_b64 v[22:25], v16 offset0:96 offset1:112
	s_waitcnt lgkmcnt(1)
	v_fma_f64 v[26:27], v[18:19], v[30:31], v[26:27]
	v_fma_f64 v[28:29], v[20:21], v[30:31], v[34:35]
	;; [unrolled: 1-line block ×4, first 2 shown]
	ds_read2_b64 v[8:11], v16 offset0:128 offset1:144
	ds_read_b128 v[18:21], v17 offset:32
	s_waitcnt lgkmcnt(2)
	v_fma_f64 v[34:35], v[22:23], v[32:33], v[26:27]
	v_fma_f64 v[32:33], v[24:25], v[32:33], v[28:29]
	;; [unrolled: 1-line block ×4, first 2 shown]
	ds_read_b128 v[22:25], v17 offset:1056
	ds_read_b128 v[26:29], v17 offset:48
	s_waitcnt lgkmcnt(2)
	v_fma_f64 v[12:13], v[8:9], v[18:19], v[34:35]
	v_fma_f64 v[18:19], v[10:11], v[18:19], v[32:33]
	s_waitcnt lgkmcnt(1)
	v_fma_f64 v[34:35], v[8:9], v[22:23], v[36:37]
	v_fma_f64 v[2:3], v[10:11], v[22:23], v[2:3]
	ds_read2_b64 v[8:11], v16 offset0:160 offset1:176
	ds_read_b128 v[30:33], v17 offset:1072
	s_waitcnt lgkmcnt(1)
	v_fma_f64 v[12:13], v[8:9], v[20:21], v[12:13]
	v_fma_f64 v[18:19], v[10:11], v[20:21], v[18:19]
	;; [unrolled: 1-line block ×4, first 2 shown]
	ds_read2_b64 v[8:11], v16 offset0:192 offset1:208
	s_waitcnt lgkmcnt(0)
	v_fma_f64 v[12:13], v[8:9], v[26:27], v[12:13]
	v_fma_f64 v[22:23], v[10:11], v[26:27], v[18:19]
	v_fma_f64 v[8:9], v[8:9], v[30:31], v[20:21]
	v_fma_f64 v[2:3], v[10:11], v[30:31], v[2:3]
	ds_read2_b64 v[18:21], v16 offset0:224 offset1:240
	s_waitcnt lgkmcnt(0)
	s_barrier
	v_fma_f64 v[12:13], v[18:19], v[28:29], v[12:13]
	v_fma_f64 v[10:11], v[20:21], v[28:29], v[22:23]
	;; [unrolled: 1-line block ×4, first 2 shown]
	s_cbranch_scc0 .LBB541_2
	s_branch .LBB541_4
.LBB541_3:
	v_mov_b32_e32 v12, 0
	v_mov_b32_e32 v10, 0
	;; [unrolled: 1-line block ×8, first 2 shown]
.LBB541_4:
	s_load_dword s6, s[4:5], 0x40
	v_add_u32_e32 v6, s3, v1
	s_waitcnt lgkmcnt(0)
	v_mov_b32_e32 v1, s11
	v_add_u32_e32 v0, s2, v0
	v_mad_i64_i32 v[4:5], s[0:1], v6, s6, 0
	v_cmp_le_i32_e64 s[0:1], v6, v0
	v_lshlrev_b64 v[4:5], 3, v[4:5]
	v_add_co_u32_e32 v7, vcc, s10, v4
	v_addc_co_u32_e32 v14, vcc, v1, v5, vcc
	v_cmp_gt_i32_e32 vcc, s12, v0
	s_and_b64 s[0:1], s[0:1], vcc
	s_and_saveexec_b64 s[2:3], s[0:1]
	s_cbranch_execz .LBB541_6
; %bb.5:
	v_ashrrev_i32_e32 v1, 31, v0
	v_lshlrev_b64 v[4:5], 3, v[0:1]
	v_add_co_u32_e64 v4, s[0:1], v7, v4
	v_addc_co_u32_e64 v5, s[0:1], v14, v5, s[0:1]
	flat_load_dwordx2 v[15:16], v[4:5]
	s_waitcnt vmcnt(0) lgkmcnt(0)
	v_add_f64 v[12:13], v[12:13], v[15:16]
	flat_store_dwordx2 v[4:5], v[12:13]
.LBB541_6:
	s_or_b64 exec, exec, s[2:3]
	v_add_u32_e32 v4, 16, v0
	v_cmp_le_i32_e64 s[2:3], v6, v4
	v_cmp_gt_i32_e64 s[0:1], s12, v4
	s_and_b64 s[2:3], s[2:3], s[0:1]
	s_and_saveexec_b64 s[4:5], s[2:3]
	s_cbranch_execz .LBB541_8
; %bb.7:
	v_ashrrev_i32_e32 v5, 31, v4
	v_lshlrev_b64 v[12:13], 3, v[4:5]
	v_add_co_u32_e64 v12, s[2:3], v7, v12
	v_addc_co_u32_e64 v13, s[2:3], v14, v13, s[2:3]
	flat_load_dwordx2 v[14:15], v[12:13]
	s_waitcnt vmcnt(0) lgkmcnt(0)
	v_add_f64 v[10:11], v[10:11], v[14:15]
	flat_store_dwordx2 v[12:13], v[10:11]
.LBB541_8:
	s_or_b64 exec, exec, s[4:5]
	v_add_u32_e32 v5, 16, v6
	v_mad_i64_i32 v[6:7], s[2:3], v5, s6, 0
	v_mov_b32_e32 v1, s11
	v_lshlrev_b64 v[6:7], 3, v[6:7]
	v_add_co_u32_e64 v6, s[2:3], s10, v6
	v_addc_co_u32_e64 v7, s[2:3], v1, v7, s[2:3]
	v_cmp_le_i32_e64 s[2:3], v5, v0
	s_and_b64 s[4:5], s[2:3], vcc
	s_and_saveexec_b64 s[2:3], s[4:5]
	s_cbranch_execz .LBB541_10
; %bb.9:
	v_ashrrev_i32_e32 v1, 31, v0
	v_lshlrev_b64 v[0:1], 3, v[0:1]
	v_add_co_u32_e32 v0, vcc, v6, v0
	v_addc_co_u32_e32 v1, vcc, v7, v1, vcc
	flat_load_dwordx2 v[10:11], v[0:1]
	s_waitcnt vmcnt(0) lgkmcnt(0)
	v_add_f64 v[8:9], v[8:9], v[10:11]
	flat_store_dwordx2 v[0:1], v[8:9]
.LBB541_10:
	s_or_b64 exec, exec, s[2:3]
	v_cmp_le_i32_e32 vcc, v5, v4
	s_and_b64 s[0:1], vcc, s[0:1]
	s_and_saveexec_b64 s[2:3], s[0:1]
	s_cbranch_execz .LBB541_12
; %bb.11:
	v_ashrrev_i32_e32 v5, 31, v4
	v_lshlrev_b64 v[0:1], 3, v[4:5]
	v_add_co_u32_e32 v0, vcc, v6, v0
	v_addc_co_u32_e32 v1, vcc, v7, v1, vcc
	flat_load_dwordx2 v[4:5], v[0:1]
	s_waitcnt vmcnt(0) lgkmcnt(0)
	v_add_f64 v[2:3], v[2:3], v[4:5]
	flat_store_dwordx2 v[0:1], v[2:3]
.LBB541_12:
	s_endpgm
	.section	.rodata,"a",@progbits
	.p2align	6, 0x0
	.amdhsa_kernel _ZL37rocblas_syrkx_herkx_restricted_kernelIidLi16ELi32ELi8ELi1ELi1ELb0ELc84ELc76EKPKdKPdEviT_PT9_S5_lS7_S5_lPT10_S5_li
		.amdhsa_group_segment_fixed_size 4096
		.amdhsa_private_segment_fixed_size 0
		.amdhsa_kernarg_size 84
		.amdhsa_user_sgpr_count 6
		.amdhsa_user_sgpr_private_segment_buffer 1
		.amdhsa_user_sgpr_dispatch_ptr 0
		.amdhsa_user_sgpr_queue_ptr 0
		.amdhsa_user_sgpr_kernarg_segment_ptr 1
		.amdhsa_user_sgpr_dispatch_id 0
		.amdhsa_user_sgpr_flat_scratch_init 0
		.amdhsa_user_sgpr_private_segment_size 0
		.amdhsa_uses_dynamic_stack 0
		.amdhsa_system_sgpr_private_segment_wavefront_offset 0
		.amdhsa_system_sgpr_workgroup_id_x 1
		.amdhsa_system_sgpr_workgroup_id_y 1
		.amdhsa_system_sgpr_workgroup_id_z 1
		.amdhsa_system_sgpr_workgroup_info 0
		.amdhsa_system_vgpr_workitem_id 1
		.amdhsa_next_free_vgpr 38
		.amdhsa_next_free_sgpr 17
		.amdhsa_reserve_vcc 1
		.amdhsa_reserve_flat_scratch 0
		.amdhsa_float_round_mode_32 0
		.amdhsa_float_round_mode_16_64 0
		.amdhsa_float_denorm_mode_32 3
		.amdhsa_float_denorm_mode_16_64 3
		.amdhsa_dx10_clamp 1
		.amdhsa_ieee_mode 1
		.amdhsa_fp16_overflow 0
		.amdhsa_exception_fp_ieee_invalid_op 0
		.amdhsa_exception_fp_denorm_src 0
		.amdhsa_exception_fp_ieee_div_zero 0
		.amdhsa_exception_fp_ieee_overflow 0
		.amdhsa_exception_fp_ieee_underflow 0
		.amdhsa_exception_fp_ieee_inexact 0
		.amdhsa_exception_int_div_zero 0
	.end_amdhsa_kernel
	.section	.text._ZL37rocblas_syrkx_herkx_restricted_kernelIidLi16ELi32ELi8ELi1ELi1ELb0ELc84ELc76EKPKdKPdEviT_PT9_S5_lS7_S5_lPT10_S5_li,"axG",@progbits,_ZL37rocblas_syrkx_herkx_restricted_kernelIidLi16ELi32ELi8ELi1ELi1ELb0ELc84ELc76EKPKdKPdEviT_PT9_S5_lS7_S5_lPT10_S5_li,comdat
.Lfunc_end541:
	.size	_ZL37rocblas_syrkx_herkx_restricted_kernelIidLi16ELi32ELi8ELi1ELi1ELb0ELc84ELc76EKPKdKPdEviT_PT9_S5_lS7_S5_lPT10_S5_li, .Lfunc_end541-_ZL37rocblas_syrkx_herkx_restricted_kernelIidLi16ELi32ELi8ELi1ELi1ELb0ELc84ELc76EKPKdKPdEviT_PT9_S5_lS7_S5_lPT10_S5_li
                                        ; -- End function
	.set _ZL37rocblas_syrkx_herkx_restricted_kernelIidLi16ELi32ELi8ELi1ELi1ELb0ELc84ELc76EKPKdKPdEviT_PT9_S5_lS7_S5_lPT10_S5_li.num_vgpr, 38
	.set _ZL37rocblas_syrkx_herkx_restricted_kernelIidLi16ELi32ELi8ELi1ELi1ELb0ELc84ELc76EKPKdKPdEviT_PT9_S5_lS7_S5_lPT10_S5_li.num_agpr, 0
	.set _ZL37rocblas_syrkx_herkx_restricted_kernelIidLi16ELi32ELi8ELi1ELi1ELb0ELc84ELc76EKPKdKPdEviT_PT9_S5_lS7_S5_lPT10_S5_li.numbered_sgpr, 17
	.set _ZL37rocblas_syrkx_herkx_restricted_kernelIidLi16ELi32ELi8ELi1ELi1ELb0ELc84ELc76EKPKdKPdEviT_PT9_S5_lS7_S5_lPT10_S5_li.num_named_barrier, 0
	.set _ZL37rocblas_syrkx_herkx_restricted_kernelIidLi16ELi32ELi8ELi1ELi1ELb0ELc84ELc76EKPKdKPdEviT_PT9_S5_lS7_S5_lPT10_S5_li.private_seg_size, 0
	.set _ZL37rocblas_syrkx_herkx_restricted_kernelIidLi16ELi32ELi8ELi1ELi1ELb0ELc84ELc76EKPKdKPdEviT_PT9_S5_lS7_S5_lPT10_S5_li.uses_vcc, 1
	.set _ZL37rocblas_syrkx_herkx_restricted_kernelIidLi16ELi32ELi8ELi1ELi1ELb0ELc84ELc76EKPKdKPdEviT_PT9_S5_lS7_S5_lPT10_S5_li.uses_flat_scratch, 0
	.set _ZL37rocblas_syrkx_herkx_restricted_kernelIidLi16ELi32ELi8ELi1ELi1ELb0ELc84ELc76EKPKdKPdEviT_PT9_S5_lS7_S5_lPT10_S5_li.has_dyn_sized_stack, 0
	.set _ZL37rocblas_syrkx_herkx_restricted_kernelIidLi16ELi32ELi8ELi1ELi1ELb0ELc84ELc76EKPKdKPdEviT_PT9_S5_lS7_S5_lPT10_S5_li.has_recursion, 0
	.set _ZL37rocblas_syrkx_herkx_restricted_kernelIidLi16ELi32ELi8ELi1ELi1ELb0ELc84ELc76EKPKdKPdEviT_PT9_S5_lS7_S5_lPT10_S5_li.has_indirect_call, 0
	.section	.AMDGPU.csdata,"",@progbits
; Kernel info:
; codeLenInByte = 1256
; TotalNumSgprs: 21
; NumVgprs: 38
; ScratchSize: 0
; MemoryBound: 0
; FloatMode: 240
; IeeeMode: 1
; LDSByteSize: 4096 bytes/workgroup (compile time only)
; SGPRBlocks: 2
; VGPRBlocks: 9
; NumSGPRsForWavesPerEU: 21
; NumVGPRsForWavesPerEU: 38
; Occupancy: 6
; WaveLimiterHint : 1
; COMPUTE_PGM_RSRC2:SCRATCH_EN: 0
; COMPUTE_PGM_RSRC2:USER_SGPR: 6
; COMPUTE_PGM_RSRC2:TRAP_HANDLER: 0
; COMPUTE_PGM_RSRC2:TGID_X_EN: 1
; COMPUTE_PGM_RSRC2:TGID_Y_EN: 1
; COMPUTE_PGM_RSRC2:TGID_Z_EN: 1
; COMPUTE_PGM_RSRC2:TIDIG_COMP_CNT: 1
	.section	.text._ZL37rocblas_syrkx_herkx_restricted_kernelIidLi16ELi32ELi8ELi1ELi1ELb0ELc67ELc76EKPKdKPdEviT_PT9_S5_lS7_S5_lPT10_S5_li,"axG",@progbits,_ZL37rocblas_syrkx_herkx_restricted_kernelIidLi16ELi32ELi8ELi1ELi1ELb0ELc67ELc76EKPKdKPdEviT_PT9_S5_lS7_S5_lPT10_S5_li,comdat
	.globl	_ZL37rocblas_syrkx_herkx_restricted_kernelIidLi16ELi32ELi8ELi1ELi1ELb0ELc67ELc76EKPKdKPdEviT_PT9_S5_lS7_S5_lPT10_S5_li ; -- Begin function _ZL37rocblas_syrkx_herkx_restricted_kernelIidLi16ELi32ELi8ELi1ELi1ELb0ELc67ELc76EKPKdKPdEviT_PT9_S5_lS7_S5_lPT10_S5_li
	.p2align	8
	.type	_ZL37rocblas_syrkx_herkx_restricted_kernelIidLi16ELi32ELi8ELi1ELi1ELb0ELc67ELc76EKPKdKPdEviT_PT9_S5_lS7_S5_lPT10_S5_li,@function
_ZL37rocblas_syrkx_herkx_restricted_kernelIidLi16ELi32ELi8ELi1ELi1ELb0ELc67ELc76EKPKdKPdEviT_PT9_S5_lS7_S5_lPT10_S5_li: ; @_ZL37rocblas_syrkx_herkx_restricted_kernelIidLi16ELi32ELi8ELi1ELi1ELb0ELc67ELc76EKPKdKPdEviT_PT9_S5_lS7_S5_lPT10_S5_li
; %bb.0:
	s_load_dwordx2 s[2:3], s[4:5], 0x38
	s_load_dwordx2 s[12:13], s[4:5], 0x0
	s_mov_b32 s9, 0
	s_lshl_b64 s[0:1], s[8:9], 3
	s_waitcnt lgkmcnt(0)
	s_add_u32 s2, s2, s0
	s_addc_u32 s3, s3, s1
	s_load_dwordx2 s[10:11], s[2:3], 0x0
	s_lshl_b32 s2, s6, 5
	s_lshl_b32 s3, s7, 5
	s_cmp_lt_i32 s13, 1
	s_cbranch_scc1 .LBB542_3
; %bb.1:
	s_load_dwordx2 s[6:7], s[4:5], 0x8
	s_load_dword s8, s[4:5], 0x10
	s_load_dwordx2 s[14:15], s[4:5], 0x20
	s_load_dword s16, s[4:5], 0x28
	v_lshl_add_u32 v4, v1, 4, v0
	s_waitcnt lgkmcnt(0)
	s_add_u32 s6, s6, s0
	s_addc_u32 s7, s7, s1
	v_lshrrev_b32_e32 v8, 3, v4
	s_add_u32 s0, s14, s0
	v_add_u32_e32 v5, s3, v8
	v_and_b32_e32 v2, 7, v0
	v_mov_b32_e32 v3, 0
	s_addc_u32 s1, s15, s1
	v_mad_i64_i32 v[6:7], s[14:15], s16, v5, v[2:3]
	v_and_b32_e32 v9, 31, v4
	v_lshlrev_b32_e32 v2, 3, v2
	v_lshrrev_b32_e32 v4, 5, v4
	v_mov_b32_e32 v5, v3
	v_lshlrev_b32_e32 v3, 3, v9
	v_lshl_or_b32 v8, v8, 6, v2
	v_add_u32_e32 v2, s2, v9
	v_lshl_or_b32 v14, v4, 8, v3
	v_mad_i64_i32 v[2:3], s[14:15], s8, v2, v[4:5]
	s_load_dwordx2 s[6:7], s[6:7], 0x0
	v_add_u32_e32 v15, 0x800, v8
	s_load_dwordx2 s[0:1], s[0:1], 0x0
	v_lshlrev_b64 v[2:3], 3, v[2:3]
	v_mov_b32_e32 v17, 0x800
	s_waitcnt lgkmcnt(0)
	v_mov_b32_e32 v5, s7
	v_add_co_u32_e32 v4, vcc, s6, v2
	v_addc_co_u32_e32 v5, vcc, v5, v3, vcc
	v_lshlrev_b64 v[2:3], 3, v[6:7]
	v_mov_b32_e32 v7, s1
	v_add_co_u32_e32 v6, vcc, s0, v2
	v_addc_co_u32_e32 v7, vcc, v7, v3, vcc
	v_mov_b32_e32 v2, 0
	v_mov_b32_e32 v8, 0
	;; [unrolled: 1-line block ×4, first 2 shown]
	v_lshlrev_b32_e32 v16, 3, v0
	v_mov_b32_e32 v3, 0
	v_mov_b32_e32 v9, 0
	;; [unrolled: 1-line block ×4, first 2 shown]
	v_lshl_add_u32 v17, v1, 6, v17
.LBB542_2:                              ; =>This Inner Loop Header: Depth=1
	flat_load_dwordx2 v[18:19], v[4:5]
	v_add_co_u32_e32 v4, vcc, 64, v4
	v_addc_co_u32_e32 v5, vcc, 0, v5, vcc
	s_add_i32 s9, s9, 8
	s_cmp_ge_i32 s9, s13
	s_waitcnt vmcnt(0) lgkmcnt(0)
	ds_write_b64 v14, v[18:19]
	flat_load_dwordx2 v[18:19], v[6:7]
	v_add_co_u32_e32 v6, vcc, 64, v6
	v_addc_co_u32_e32 v7, vcc, 0, v7, vcc
	s_waitcnt vmcnt(0) lgkmcnt(0)
	ds_write_b64 v15, v[18:19]
	s_waitcnt lgkmcnt(0)
	s_barrier
	ds_read2_b64 v[18:21], v16 offset1:16
	ds_read_b128 v[22:25], v17
	ds_read_b128 v[26:29], v17 offset:1024
	ds_read_b128 v[30:33], v17 offset:16
	s_waitcnt lgkmcnt(2)
	v_fma_f64 v[34:35], v[18:19], v[22:23], v[12:13]
	v_fma_f64 v[22:23], v[20:21], v[22:23], v[10:11]
	s_waitcnt lgkmcnt(1)
	v_fma_f64 v[8:9], v[18:19], v[26:27], v[8:9]
	v_fma_f64 v[2:3], v[20:21], v[26:27], v[2:3]
	ds_read2_b64 v[18:21], v16 offset0:32 offset1:48
	ds_read_b128 v[10:13], v17 offset:1040
	s_waitcnt lgkmcnt(1)
	v_fma_f64 v[26:27], v[18:19], v[24:25], v[34:35]
	v_fma_f64 v[34:35], v[20:21], v[24:25], v[22:23]
	;; [unrolled: 1-line block ×4, first 2 shown]
	ds_read2_b64 v[18:21], v16 offset0:64 offset1:80
	ds_read2_b64 v[22:25], v16 offset0:96 offset1:112
	s_waitcnt lgkmcnt(1)
	v_fma_f64 v[26:27], v[18:19], v[30:31], v[26:27]
	v_fma_f64 v[28:29], v[20:21], v[30:31], v[34:35]
	;; [unrolled: 1-line block ×4, first 2 shown]
	ds_read2_b64 v[8:11], v16 offset0:128 offset1:144
	ds_read_b128 v[18:21], v17 offset:32
	s_waitcnt lgkmcnt(2)
	v_fma_f64 v[34:35], v[22:23], v[32:33], v[26:27]
	v_fma_f64 v[32:33], v[24:25], v[32:33], v[28:29]
	;; [unrolled: 1-line block ×4, first 2 shown]
	ds_read_b128 v[22:25], v17 offset:1056
	ds_read_b128 v[26:29], v17 offset:48
	s_waitcnt lgkmcnt(2)
	v_fma_f64 v[12:13], v[8:9], v[18:19], v[34:35]
	v_fma_f64 v[18:19], v[10:11], v[18:19], v[32:33]
	s_waitcnt lgkmcnt(1)
	v_fma_f64 v[34:35], v[8:9], v[22:23], v[36:37]
	v_fma_f64 v[2:3], v[10:11], v[22:23], v[2:3]
	ds_read2_b64 v[8:11], v16 offset0:160 offset1:176
	ds_read_b128 v[30:33], v17 offset:1072
	s_waitcnt lgkmcnt(1)
	v_fma_f64 v[12:13], v[8:9], v[20:21], v[12:13]
	v_fma_f64 v[18:19], v[10:11], v[20:21], v[18:19]
	;; [unrolled: 1-line block ×4, first 2 shown]
	ds_read2_b64 v[8:11], v16 offset0:192 offset1:208
	s_waitcnt lgkmcnt(0)
	v_fma_f64 v[12:13], v[8:9], v[26:27], v[12:13]
	v_fma_f64 v[22:23], v[10:11], v[26:27], v[18:19]
	;; [unrolled: 1-line block ×4, first 2 shown]
	ds_read2_b64 v[18:21], v16 offset0:224 offset1:240
	s_waitcnt lgkmcnt(0)
	s_barrier
	v_fma_f64 v[12:13], v[18:19], v[28:29], v[12:13]
	v_fma_f64 v[10:11], v[20:21], v[28:29], v[22:23]
	;; [unrolled: 1-line block ×4, first 2 shown]
	s_cbranch_scc0 .LBB542_2
	s_branch .LBB542_4
.LBB542_3:
	v_mov_b32_e32 v12, 0
	v_mov_b32_e32 v10, 0
	v_mov_b32_e32 v8, 0
	v_mov_b32_e32 v2, 0
	v_mov_b32_e32 v13, 0
	v_mov_b32_e32 v11, 0
	v_mov_b32_e32 v9, 0
	v_mov_b32_e32 v3, 0
.LBB542_4:
	s_load_dword s6, s[4:5], 0x40
	v_add_u32_e32 v6, s3, v1
	s_waitcnt lgkmcnt(0)
	v_mov_b32_e32 v1, s11
	v_add_u32_e32 v0, s2, v0
	v_mad_i64_i32 v[4:5], s[0:1], v6, s6, 0
	v_cmp_le_i32_e64 s[0:1], v6, v0
	v_lshlrev_b64 v[4:5], 3, v[4:5]
	v_add_co_u32_e32 v7, vcc, s10, v4
	v_addc_co_u32_e32 v14, vcc, v1, v5, vcc
	v_cmp_gt_i32_e32 vcc, s12, v0
	s_and_b64 s[0:1], s[0:1], vcc
	s_and_saveexec_b64 s[2:3], s[0:1]
	s_cbranch_execz .LBB542_6
; %bb.5:
	v_ashrrev_i32_e32 v1, 31, v0
	v_lshlrev_b64 v[4:5], 3, v[0:1]
	v_add_co_u32_e64 v4, s[0:1], v7, v4
	v_addc_co_u32_e64 v5, s[0:1], v14, v5, s[0:1]
	flat_load_dwordx2 v[15:16], v[4:5]
	s_waitcnt vmcnt(0) lgkmcnt(0)
	v_add_f64 v[12:13], v[12:13], v[15:16]
	flat_store_dwordx2 v[4:5], v[12:13]
.LBB542_6:
	s_or_b64 exec, exec, s[2:3]
	v_add_u32_e32 v4, 16, v0
	v_cmp_le_i32_e64 s[2:3], v6, v4
	v_cmp_gt_i32_e64 s[0:1], s12, v4
	s_and_b64 s[2:3], s[2:3], s[0:1]
	s_and_saveexec_b64 s[4:5], s[2:3]
	s_cbranch_execz .LBB542_8
; %bb.7:
	v_ashrrev_i32_e32 v5, 31, v4
	v_lshlrev_b64 v[12:13], 3, v[4:5]
	v_add_co_u32_e64 v12, s[2:3], v7, v12
	v_addc_co_u32_e64 v13, s[2:3], v14, v13, s[2:3]
	flat_load_dwordx2 v[14:15], v[12:13]
	s_waitcnt vmcnt(0) lgkmcnt(0)
	v_add_f64 v[10:11], v[10:11], v[14:15]
	flat_store_dwordx2 v[12:13], v[10:11]
.LBB542_8:
	s_or_b64 exec, exec, s[4:5]
	v_add_u32_e32 v5, 16, v6
	v_mad_i64_i32 v[6:7], s[2:3], v5, s6, 0
	v_mov_b32_e32 v1, s11
	v_lshlrev_b64 v[6:7], 3, v[6:7]
	v_add_co_u32_e64 v6, s[2:3], s10, v6
	v_addc_co_u32_e64 v7, s[2:3], v1, v7, s[2:3]
	v_cmp_le_i32_e64 s[2:3], v5, v0
	s_and_b64 s[4:5], s[2:3], vcc
	s_and_saveexec_b64 s[2:3], s[4:5]
	s_cbranch_execz .LBB542_10
; %bb.9:
	v_ashrrev_i32_e32 v1, 31, v0
	v_lshlrev_b64 v[0:1], 3, v[0:1]
	v_add_co_u32_e32 v0, vcc, v6, v0
	v_addc_co_u32_e32 v1, vcc, v7, v1, vcc
	flat_load_dwordx2 v[10:11], v[0:1]
	s_waitcnt vmcnt(0) lgkmcnt(0)
	v_add_f64 v[8:9], v[8:9], v[10:11]
	flat_store_dwordx2 v[0:1], v[8:9]
.LBB542_10:
	s_or_b64 exec, exec, s[2:3]
	v_cmp_le_i32_e32 vcc, v5, v4
	s_and_b64 s[0:1], vcc, s[0:1]
	s_and_saveexec_b64 s[2:3], s[0:1]
	s_cbranch_execz .LBB542_12
; %bb.11:
	v_ashrrev_i32_e32 v5, 31, v4
	v_lshlrev_b64 v[0:1], 3, v[4:5]
	v_add_co_u32_e32 v0, vcc, v6, v0
	v_addc_co_u32_e32 v1, vcc, v7, v1, vcc
	flat_load_dwordx2 v[4:5], v[0:1]
	s_waitcnt vmcnt(0) lgkmcnt(0)
	v_add_f64 v[2:3], v[2:3], v[4:5]
	flat_store_dwordx2 v[0:1], v[2:3]
.LBB542_12:
	s_endpgm
	.section	.rodata,"a",@progbits
	.p2align	6, 0x0
	.amdhsa_kernel _ZL37rocblas_syrkx_herkx_restricted_kernelIidLi16ELi32ELi8ELi1ELi1ELb0ELc67ELc76EKPKdKPdEviT_PT9_S5_lS7_S5_lPT10_S5_li
		.amdhsa_group_segment_fixed_size 4096
		.amdhsa_private_segment_fixed_size 0
		.amdhsa_kernarg_size 84
		.amdhsa_user_sgpr_count 6
		.amdhsa_user_sgpr_private_segment_buffer 1
		.amdhsa_user_sgpr_dispatch_ptr 0
		.amdhsa_user_sgpr_queue_ptr 0
		.amdhsa_user_sgpr_kernarg_segment_ptr 1
		.amdhsa_user_sgpr_dispatch_id 0
		.amdhsa_user_sgpr_flat_scratch_init 0
		.amdhsa_user_sgpr_private_segment_size 0
		.amdhsa_uses_dynamic_stack 0
		.amdhsa_system_sgpr_private_segment_wavefront_offset 0
		.amdhsa_system_sgpr_workgroup_id_x 1
		.amdhsa_system_sgpr_workgroup_id_y 1
		.amdhsa_system_sgpr_workgroup_id_z 1
		.amdhsa_system_sgpr_workgroup_info 0
		.amdhsa_system_vgpr_workitem_id 1
		.amdhsa_next_free_vgpr 38
		.amdhsa_next_free_sgpr 17
		.amdhsa_reserve_vcc 1
		.amdhsa_reserve_flat_scratch 0
		.amdhsa_float_round_mode_32 0
		.amdhsa_float_round_mode_16_64 0
		.amdhsa_float_denorm_mode_32 3
		.amdhsa_float_denorm_mode_16_64 3
		.amdhsa_dx10_clamp 1
		.amdhsa_ieee_mode 1
		.amdhsa_fp16_overflow 0
		.amdhsa_exception_fp_ieee_invalid_op 0
		.amdhsa_exception_fp_denorm_src 0
		.amdhsa_exception_fp_ieee_div_zero 0
		.amdhsa_exception_fp_ieee_overflow 0
		.amdhsa_exception_fp_ieee_underflow 0
		.amdhsa_exception_fp_ieee_inexact 0
		.amdhsa_exception_int_div_zero 0
	.end_amdhsa_kernel
	.section	.text._ZL37rocblas_syrkx_herkx_restricted_kernelIidLi16ELi32ELi8ELi1ELi1ELb0ELc67ELc76EKPKdKPdEviT_PT9_S5_lS7_S5_lPT10_S5_li,"axG",@progbits,_ZL37rocblas_syrkx_herkx_restricted_kernelIidLi16ELi32ELi8ELi1ELi1ELb0ELc67ELc76EKPKdKPdEviT_PT9_S5_lS7_S5_lPT10_S5_li,comdat
.Lfunc_end542:
	.size	_ZL37rocblas_syrkx_herkx_restricted_kernelIidLi16ELi32ELi8ELi1ELi1ELb0ELc67ELc76EKPKdKPdEviT_PT9_S5_lS7_S5_lPT10_S5_li, .Lfunc_end542-_ZL37rocblas_syrkx_herkx_restricted_kernelIidLi16ELi32ELi8ELi1ELi1ELb0ELc67ELc76EKPKdKPdEviT_PT9_S5_lS7_S5_lPT10_S5_li
                                        ; -- End function
	.set _ZL37rocblas_syrkx_herkx_restricted_kernelIidLi16ELi32ELi8ELi1ELi1ELb0ELc67ELc76EKPKdKPdEviT_PT9_S5_lS7_S5_lPT10_S5_li.num_vgpr, 38
	.set _ZL37rocblas_syrkx_herkx_restricted_kernelIidLi16ELi32ELi8ELi1ELi1ELb0ELc67ELc76EKPKdKPdEviT_PT9_S5_lS7_S5_lPT10_S5_li.num_agpr, 0
	.set _ZL37rocblas_syrkx_herkx_restricted_kernelIidLi16ELi32ELi8ELi1ELi1ELb0ELc67ELc76EKPKdKPdEviT_PT9_S5_lS7_S5_lPT10_S5_li.numbered_sgpr, 17
	.set _ZL37rocblas_syrkx_herkx_restricted_kernelIidLi16ELi32ELi8ELi1ELi1ELb0ELc67ELc76EKPKdKPdEviT_PT9_S5_lS7_S5_lPT10_S5_li.num_named_barrier, 0
	.set _ZL37rocblas_syrkx_herkx_restricted_kernelIidLi16ELi32ELi8ELi1ELi1ELb0ELc67ELc76EKPKdKPdEviT_PT9_S5_lS7_S5_lPT10_S5_li.private_seg_size, 0
	.set _ZL37rocblas_syrkx_herkx_restricted_kernelIidLi16ELi32ELi8ELi1ELi1ELb0ELc67ELc76EKPKdKPdEviT_PT9_S5_lS7_S5_lPT10_S5_li.uses_vcc, 1
	.set _ZL37rocblas_syrkx_herkx_restricted_kernelIidLi16ELi32ELi8ELi1ELi1ELb0ELc67ELc76EKPKdKPdEviT_PT9_S5_lS7_S5_lPT10_S5_li.uses_flat_scratch, 0
	.set _ZL37rocblas_syrkx_herkx_restricted_kernelIidLi16ELi32ELi8ELi1ELi1ELb0ELc67ELc76EKPKdKPdEviT_PT9_S5_lS7_S5_lPT10_S5_li.has_dyn_sized_stack, 0
	.set _ZL37rocblas_syrkx_herkx_restricted_kernelIidLi16ELi32ELi8ELi1ELi1ELb0ELc67ELc76EKPKdKPdEviT_PT9_S5_lS7_S5_lPT10_S5_li.has_recursion, 0
	.set _ZL37rocblas_syrkx_herkx_restricted_kernelIidLi16ELi32ELi8ELi1ELi1ELb0ELc67ELc76EKPKdKPdEviT_PT9_S5_lS7_S5_lPT10_S5_li.has_indirect_call, 0
	.section	.AMDGPU.csdata,"",@progbits
; Kernel info:
; codeLenInByte = 1256
; TotalNumSgprs: 21
; NumVgprs: 38
; ScratchSize: 0
; MemoryBound: 0
; FloatMode: 240
; IeeeMode: 1
; LDSByteSize: 4096 bytes/workgroup (compile time only)
; SGPRBlocks: 2
; VGPRBlocks: 9
; NumSGPRsForWavesPerEU: 21
; NumVGPRsForWavesPerEU: 38
; Occupancy: 6
; WaveLimiterHint : 1
; COMPUTE_PGM_RSRC2:SCRATCH_EN: 0
; COMPUTE_PGM_RSRC2:USER_SGPR: 6
; COMPUTE_PGM_RSRC2:TRAP_HANDLER: 0
; COMPUTE_PGM_RSRC2:TGID_X_EN: 1
; COMPUTE_PGM_RSRC2:TGID_Y_EN: 1
; COMPUTE_PGM_RSRC2:TGID_Z_EN: 1
; COMPUTE_PGM_RSRC2:TIDIG_COMP_CNT: 1
	.section	.text._ZL37rocblas_syrkx_herkx_restricted_kernelIidLi16ELi32ELi8ELi1ELi1ELb0ELc78ELc76EKPKdKPdEviT_PT9_S5_lS7_S5_lPT10_S5_li,"axG",@progbits,_ZL37rocblas_syrkx_herkx_restricted_kernelIidLi16ELi32ELi8ELi1ELi1ELb0ELc78ELc76EKPKdKPdEviT_PT9_S5_lS7_S5_lPT10_S5_li,comdat
	.globl	_ZL37rocblas_syrkx_herkx_restricted_kernelIidLi16ELi32ELi8ELi1ELi1ELb0ELc78ELc76EKPKdKPdEviT_PT9_S5_lS7_S5_lPT10_S5_li ; -- Begin function _ZL37rocblas_syrkx_herkx_restricted_kernelIidLi16ELi32ELi8ELi1ELi1ELb0ELc78ELc76EKPKdKPdEviT_PT9_S5_lS7_S5_lPT10_S5_li
	.p2align	8
	.type	_ZL37rocblas_syrkx_herkx_restricted_kernelIidLi16ELi32ELi8ELi1ELi1ELb0ELc78ELc76EKPKdKPdEviT_PT9_S5_lS7_S5_lPT10_S5_li,@function
_ZL37rocblas_syrkx_herkx_restricted_kernelIidLi16ELi32ELi8ELi1ELi1ELb0ELc78ELc76EKPKdKPdEviT_PT9_S5_lS7_S5_lPT10_S5_li: ; @_ZL37rocblas_syrkx_herkx_restricted_kernelIidLi16ELi32ELi8ELi1ELi1ELb0ELc78ELc76EKPKdKPdEviT_PT9_S5_lS7_S5_lPT10_S5_li
; %bb.0:
	s_load_dwordx2 s[2:3], s[4:5], 0x38
	s_load_dwordx2 s[12:13], s[4:5], 0x0
	s_mov_b32 s9, 0
	s_lshl_b64 s[0:1], s[8:9], 3
	s_waitcnt lgkmcnt(0)
	s_add_u32 s2, s2, s0
	s_addc_u32 s3, s3, s1
	s_load_dwordx2 s[10:11], s[2:3], 0x0
	s_lshl_b32 s6, s6, 5
	s_lshl_b32 s7, s7, 5
	s_cmp_lt_i32 s13, 1
	s_cbranch_scc1 .LBB543_3
; %bb.1:
	s_load_dword s2, s[4:5], 0x10
	s_load_dword s14, s[4:5], 0x28
	s_load_dwordx2 s[16:17], s[4:5], 0x20
	s_load_dwordx2 s[18:19], s[4:5], 0x8
	v_lshl_add_u32 v5, v1, 4, v0
	s_waitcnt lgkmcnt(0)
	s_ashr_i32 s3, s2, 31
	s_ashr_i32 s15, s14, 31
	v_lshrrev_b32_e32 v6, 3, v5
	s_add_u32 s18, s18, s0
	s_addc_u32 s19, s19, s1
	s_add_u32 s0, s16, s0
	v_add_u32_e32 v2, s7, v6
	s_addc_u32 s1, s17, s1
	v_and_b32_e32 v4, 7, v0
	v_ashrrev_i32_e32 v3, 31, v2
	s_load_dwordx2 s[16:17], s[0:1], 0x0
	v_mad_i64_i32 v[2:3], s[0:1], s14, v4, v[2:3]
	v_lshlrev_b32_e32 v4, 3, v4
	v_lshrrev_b32_e32 v7, 5, v5
	v_and_b32_e32 v5, 31, v5
	v_lshl_or_b32 v4, v6, 6, v4
	v_add_u32_e32 v15, 0x800, v4
	v_add_u32_e32 v4, s6, v5
	v_lshlrev_b32_e32 v8, 3, v5
	v_ashrrev_i32_e32 v5, 31, v4
	v_mad_i64_i32 v[4:5], s[0:1], s2, v7, v[4:5]
	s_load_dwordx2 s[18:19], s[18:19], 0x0
	v_mov_b32_e32 v6, 0x800
	v_lshlrev_b64 v[4:5], 3, v[4:5]
	v_lshl_add_u32 v17, v1, 6, v6
	v_lshlrev_b64 v[2:3], 3, v[2:3]
	s_waitcnt lgkmcnt(0)
	v_mov_b32_e32 v6, s19
	v_add_co_u32_e32 v4, vcc, s18, v4
	v_addc_co_u32_e32 v5, vcc, v6, v5, vcc
	v_lshl_or_b32 v14, v7, 8, v8
	v_mov_b32_e32 v7, s17
	v_add_co_u32_e32 v6, vcc, s16, v2
	s_lshl_b64 s[0:1], s[2:3], 6
	v_addc_co_u32_e32 v7, vcc, v7, v3, vcc
	s_lshl_b64 s[2:3], s[14:15], 6
	v_mov_b32_e32 v2, 0
	v_mov_b32_e32 v8, 0
	;; [unrolled: 1-line block ×4, first 2 shown]
	v_lshlrev_b32_e32 v16, 3, v0
	v_mov_b32_e32 v3, 0
	v_mov_b32_e32 v18, s1
	;; [unrolled: 1-line block ×6, first 2 shown]
.LBB543_2:                              ; =>This Inner Loop Header: Depth=1
	flat_load_dwordx2 v[20:21], v[4:5]
	v_add_co_u32_e32 v4, vcc, s0, v4
	v_addc_co_u32_e32 v5, vcc, v5, v18, vcc
	s_add_i32 s9, s9, 8
	s_cmp_ge_i32 s9, s13
	s_waitcnt vmcnt(0) lgkmcnt(0)
	ds_write_b64 v14, v[20:21]
	flat_load_dwordx2 v[20:21], v[6:7]
	v_add_co_u32_e32 v6, vcc, s2, v6
	v_addc_co_u32_e32 v7, vcc, v7, v19, vcc
	s_waitcnt vmcnt(0) lgkmcnt(0)
	ds_write_b64 v15, v[20:21]
	s_waitcnt lgkmcnt(0)
	s_barrier
	ds_read2_b64 v[20:23], v16 offset1:16
	ds_read_b128 v[24:27], v17
	ds_read_b128 v[28:31], v17 offset:16
	s_waitcnt lgkmcnt(1)
	v_fma_f64 v[36:37], v[20:21], v[24:25], v[12:13]
	v_fma_f64 v[24:25], v[22:23], v[24:25], v[10:11]
	ds_read_b128 v[10:13], v17 offset:1024
	ds_read_b128 v[32:35], v17 offset:1040
	s_waitcnt lgkmcnt(1)
	v_fma_f64 v[20:21], v[20:21], v[10:11], v[8:9]
	v_fma_f64 v[2:3], v[22:23], v[10:11], v[2:3]
	ds_read2_b64 v[8:11], v16 offset0:32 offset1:48
	s_waitcnt lgkmcnt(0)
	v_fma_f64 v[22:23], v[8:9], v[26:27], v[36:37]
	v_fma_f64 v[24:25], v[10:11], v[26:27], v[24:25]
	v_fma_f64 v[20:21], v[8:9], v[12:13], v[20:21]
	v_fma_f64 v[2:3], v[10:11], v[12:13], v[2:3]
	ds_read2_b64 v[8:11], v16 offset0:64 offset1:80
	s_waitcnt lgkmcnt(0)
	v_fma_f64 v[12:13], v[8:9], v[28:29], v[22:23]
	v_fma_f64 v[22:23], v[10:11], v[28:29], v[24:25]
	;; [unrolled: 6-line block ×3, first 2 shown]
	ds_read2_b64 v[20:23], v16 offset0:128 offset1:144
	v_fma_f64 v[36:37], v[8:9], v[34:35], v[24:25]
	v_fma_f64 v[2:3], v[10:11], v[34:35], v[2:3]
	ds_read_b128 v[8:11], v17 offset:32
	ds_read_b128 v[24:27], v17 offset:48
	s_waitcnt lgkmcnt(1)
	v_fma_f64 v[12:13], v[20:21], v[8:9], v[12:13]
	v_fma_f64 v[8:9], v[22:23], v[8:9], v[28:29]
	ds_read_b128 v[28:31], v17 offset:1056
	ds_read_b128 v[32:35], v17 offset:1072
	s_waitcnt lgkmcnt(1)
	v_fma_f64 v[36:37], v[20:21], v[28:29], v[36:37]
	v_fma_f64 v[2:3], v[22:23], v[28:29], v[2:3]
	ds_read2_b64 v[20:23], v16 offset0:160 offset1:176
	s_waitcnt lgkmcnt(0)
	v_fma_f64 v[12:13], v[20:21], v[10:11], v[12:13]
	v_fma_f64 v[28:29], v[22:23], v[10:11], v[8:9]
	;; [unrolled: 1-line block ×4, first 2 shown]
	ds_read2_b64 v[8:11], v16 offset0:192 offset1:208
	s_waitcnt lgkmcnt(0)
	v_fma_f64 v[12:13], v[8:9], v[24:25], v[12:13]
	v_fma_f64 v[24:25], v[10:11], v[24:25], v[28:29]
	;; [unrolled: 1-line block ×4, first 2 shown]
	ds_read2_b64 v[20:23], v16 offset0:224 offset1:240
	s_waitcnt lgkmcnt(0)
	s_barrier
	v_fma_f64 v[12:13], v[20:21], v[26:27], v[12:13]
	v_fma_f64 v[10:11], v[22:23], v[26:27], v[24:25]
	;; [unrolled: 1-line block ×4, first 2 shown]
	s_cbranch_scc0 .LBB543_2
	s_branch .LBB543_4
.LBB543_3:
	v_mov_b32_e32 v12, 0
	v_mov_b32_e32 v10, 0
	;; [unrolled: 1-line block ×8, first 2 shown]
.LBB543_4:
	s_load_dword s8, s[4:5], 0x40
	v_add_u32_e32 v6, s7, v1
	s_waitcnt lgkmcnt(0)
	v_mov_b32_e32 v1, s11
	v_add_u32_e32 v0, s6, v0
	v_mad_i64_i32 v[4:5], s[0:1], v6, s8, 0
	v_cmp_le_i32_e64 s[0:1], v6, v0
	v_lshlrev_b64 v[4:5], 3, v[4:5]
	v_add_co_u32_e32 v7, vcc, s10, v4
	v_addc_co_u32_e32 v14, vcc, v1, v5, vcc
	v_cmp_gt_i32_e32 vcc, s12, v0
	s_and_b64 s[0:1], s[0:1], vcc
	s_and_saveexec_b64 s[2:3], s[0:1]
	s_cbranch_execz .LBB543_6
; %bb.5:
	v_ashrrev_i32_e32 v1, 31, v0
	v_lshlrev_b64 v[4:5], 3, v[0:1]
	v_add_co_u32_e64 v4, s[0:1], v7, v4
	v_addc_co_u32_e64 v5, s[0:1], v14, v5, s[0:1]
	flat_load_dwordx2 v[15:16], v[4:5]
	s_waitcnt vmcnt(0) lgkmcnt(0)
	v_add_f64 v[12:13], v[12:13], v[15:16]
	flat_store_dwordx2 v[4:5], v[12:13]
.LBB543_6:
	s_or_b64 exec, exec, s[2:3]
	v_add_u32_e32 v4, 16, v0
	v_cmp_le_i32_e64 s[2:3], v6, v4
	v_cmp_gt_i32_e64 s[0:1], s12, v4
	s_and_b64 s[2:3], s[2:3], s[0:1]
	s_and_saveexec_b64 s[4:5], s[2:3]
	s_cbranch_execz .LBB543_8
; %bb.7:
	v_ashrrev_i32_e32 v5, 31, v4
	v_lshlrev_b64 v[12:13], 3, v[4:5]
	v_add_co_u32_e64 v12, s[2:3], v7, v12
	v_addc_co_u32_e64 v13, s[2:3], v14, v13, s[2:3]
	flat_load_dwordx2 v[14:15], v[12:13]
	s_waitcnt vmcnt(0) lgkmcnt(0)
	v_add_f64 v[10:11], v[10:11], v[14:15]
	flat_store_dwordx2 v[12:13], v[10:11]
.LBB543_8:
	s_or_b64 exec, exec, s[4:5]
	v_add_u32_e32 v5, 16, v6
	v_mad_i64_i32 v[6:7], s[2:3], v5, s8, 0
	v_mov_b32_e32 v1, s11
	v_lshlrev_b64 v[6:7], 3, v[6:7]
	v_add_co_u32_e64 v6, s[2:3], s10, v6
	v_addc_co_u32_e64 v7, s[2:3], v1, v7, s[2:3]
	v_cmp_le_i32_e64 s[2:3], v5, v0
	s_and_b64 s[4:5], s[2:3], vcc
	s_and_saveexec_b64 s[2:3], s[4:5]
	s_cbranch_execz .LBB543_10
; %bb.9:
	v_ashrrev_i32_e32 v1, 31, v0
	v_lshlrev_b64 v[0:1], 3, v[0:1]
	v_add_co_u32_e32 v0, vcc, v6, v0
	v_addc_co_u32_e32 v1, vcc, v7, v1, vcc
	flat_load_dwordx2 v[10:11], v[0:1]
	s_waitcnt vmcnt(0) lgkmcnt(0)
	v_add_f64 v[8:9], v[8:9], v[10:11]
	flat_store_dwordx2 v[0:1], v[8:9]
.LBB543_10:
	s_or_b64 exec, exec, s[2:3]
	v_cmp_le_i32_e32 vcc, v5, v4
	s_and_b64 s[0:1], vcc, s[0:1]
	s_and_saveexec_b64 s[2:3], s[0:1]
	s_cbranch_execz .LBB543_12
; %bb.11:
	v_ashrrev_i32_e32 v5, 31, v4
	v_lshlrev_b64 v[0:1], 3, v[4:5]
	v_add_co_u32_e32 v0, vcc, v6, v0
	v_addc_co_u32_e32 v1, vcc, v7, v1, vcc
	flat_load_dwordx2 v[4:5], v[0:1]
	s_waitcnt vmcnt(0) lgkmcnt(0)
	v_add_f64 v[2:3], v[2:3], v[4:5]
	flat_store_dwordx2 v[0:1], v[2:3]
.LBB543_12:
	s_endpgm
	.section	.rodata,"a",@progbits
	.p2align	6, 0x0
	.amdhsa_kernel _ZL37rocblas_syrkx_herkx_restricted_kernelIidLi16ELi32ELi8ELi1ELi1ELb0ELc78ELc76EKPKdKPdEviT_PT9_S5_lS7_S5_lPT10_S5_li
		.amdhsa_group_segment_fixed_size 4096
		.amdhsa_private_segment_fixed_size 0
		.amdhsa_kernarg_size 84
		.amdhsa_user_sgpr_count 6
		.amdhsa_user_sgpr_private_segment_buffer 1
		.amdhsa_user_sgpr_dispatch_ptr 0
		.amdhsa_user_sgpr_queue_ptr 0
		.amdhsa_user_sgpr_kernarg_segment_ptr 1
		.amdhsa_user_sgpr_dispatch_id 0
		.amdhsa_user_sgpr_flat_scratch_init 0
		.amdhsa_user_sgpr_private_segment_size 0
		.amdhsa_uses_dynamic_stack 0
		.amdhsa_system_sgpr_private_segment_wavefront_offset 0
		.amdhsa_system_sgpr_workgroup_id_x 1
		.amdhsa_system_sgpr_workgroup_id_y 1
		.amdhsa_system_sgpr_workgroup_id_z 1
		.amdhsa_system_sgpr_workgroup_info 0
		.amdhsa_system_vgpr_workitem_id 1
		.amdhsa_next_free_vgpr 38
		.amdhsa_next_free_sgpr 20
		.amdhsa_reserve_vcc 1
		.amdhsa_reserve_flat_scratch 0
		.amdhsa_float_round_mode_32 0
		.amdhsa_float_round_mode_16_64 0
		.amdhsa_float_denorm_mode_32 3
		.amdhsa_float_denorm_mode_16_64 3
		.amdhsa_dx10_clamp 1
		.amdhsa_ieee_mode 1
		.amdhsa_fp16_overflow 0
		.amdhsa_exception_fp_ieee_invalid_op 0
		.amdhsa_exception_fp_denorm_src 0
		.amdhsa_exception_fp_ieee_div_zero 0
		.amdhsa_exception_fp_ieee_overflow 0
		.amdhsa_exception_fp_ieee_underflow 0
		.amdhsa_exception_fp_ieee_inexact 0
		.amdhsa_exception_int_div_zero 0
	.end_amdhsa_kernel
	.section	.text._ZL37rocblas_syrkx_herkx_restricted_kernelIidLi16ELi32ELi8ELi1ELi1ELb0ELc78ELc76EKPKdKPdEviT_PT9_S5_lS7_S5_lPT10_S5_li,"axG",@progbits,_ZL37rocblas_syrkx_herkx_restricted_kernelIidLi16ELi32ELi8ELi1ELi1ELb0ELc78ELc76EKPKdKPdEviT_PT9_S5_lS7_S5_lPT10_S5_li,comdat
.Lfunc_end543:
	.size	_ZL37rocblas_syrkx_herkx_restricted_kernelIidLi16ELi32ELi8ELi1ELi1ELb0ELc78ELc76EKPKdKPdEviT_PT9_S5_lS7_S5_lPT10_S5_li, .Lfunc_end543-_ZL37rocblas_syrkx_herkx_restricted_kernelIidLi16ELi32ELi8ELi1ELi1ELb0ELc78ELc76EKPKdKPdEviT_PT9_S5_lS7_S5_lPT10_S5_li
                                        ; -- End function
	.set _ZL37rocblas_syrkx_herkx_restricted_kernelIidLi16ELi32ELi8ELi1ELi1ELb0ELc78ELc76EKPKdKPdEviT_PT9_S5_lS7_S5_lPT10_S5_li.num_vgpr, 38
	.set _ZL37rocblas_syrkx_herkx_restricted_kernelIidLi16ELi32ELi8ELi1ELi1ELb0ELc78ELc76EKPKdKPdEviT_PT9_S5_lS7_S5_lPT10_S5_li.num_agpr, 0
	.set _ZL37rocblas_syrkx_herkx_restricted_kernelIidLi16ELi32ELi8ELi1ELi1ELb0ELc78ELc76EKPKdKPdEviT_PT9_S5_lS7_S5_lPT10_S5_li.numbered_sgpr, 20
	.set _ZL37rocblas_syrkx_herkx_restricted_kernelIidLi16ELi32ELi8ELi1ELi1ELb0ELc78ELc76EKPKdKPdEviT_PT9_S5_lS7_S5_lPT10_S5_li.num_named_barrier, 0
	.set _ZL37rocblas_syrkx_herkx_restricted_kernelIidLi16ELi32ELi8ELi1ELi1ELb0ELc78ELc76EKPKdKPdEviT_PT9_S5_lS7_S5_lPT10_S5_li.private_seg_size, 0
	.set _ZL37rocblas_syrkx_herkx_restricted_kernelIidLi16ELi32ELi8ELi1ELi1ELb0ELc78ELc76EKPKdKPdEviT_PT9_S5_lS7_S5_lPT10_S5_li.uses_vcc, 1
	.set _ZL37rocblas_syrkx_herkx_restricted_kernelIidLi16ELi32ELi8ELi1ELi1ELb0ELc78ELc76EKPKdKPdEviT_PT9_S5_lS7_S5_lPT10_S5_li.uses_flat_scratch, 0
	.set _ZL37rocblas_syrkx_herkx_restricted_kernelIidLi16ELi32ELi8ELi1ELi1ELb0ELc78ELc76EKPKdKPdEviT_PT9_S5_lS7_S5_lPT10_S5_li.has_dyn_sized_stack, 0
	.set _ZL37rocblas_syrkx_herkx_restricted_kernelIidLi16ELi32ELi8ELi1ELi1ELb0ELc78ELc76EKPKdKPdEviT_PT9_S5_lS7_S5_lPT10_S5_li.has_recursion, 0
	.set _ZL37rocblas_syrkx_herkx_restricted_kernelIidLi16ELi32ELi8ELi1ELi1ELb0ELc78ELc76EKPKdKPdEviT_PT9_S5_lS7_S5_lPT10_S5_li.has_indirect_call, 0
	.section	.AMDGPU.csdata,"",@progbits
; Kernel info:
; codeLenInByte = 1280
; TotalNumSgprs: 24
; NumVgprs: 38
; ScratchSize: 0
; MemoryBound: 0
; FloatMode: 240
; IeeeMode: 1
; LDSByteSize: 4096 bytes/workgroup (compile time only)
; SGPRBlocks: 2
; VGPRBlocks: 9
; NumSGPRsForWavesPerEU: 24
; NumVGPRsForWavesPerEU: 38
; Occupancy: 6
; WaveLimiterHint : 1
; COMPUTE_PGM_RSRC2:SCRATCH_EN: 0
; COMPUTE_PGM_RSRC2:USER_SGPR: 6
; COMPUTE_PGM_RSRC2:TRAP_HANDLER: 0
; COMPUTE_PGM_RSRC2:TGID_X_EN: 1
; COMPUTE_PGM_RSRC2:TGID_Y_EN: 1
; COMPUTE_PGM_RSRC2:TGID_Z_EN: 1
; COMPUTE_PGM_RSRC2:TIDIG_COMP_CNT: 1
	.section	.text._ZL37rocblas_syrkx_herkx_restricted_kernelIidLi16ELi32ELi8ELi1ELi1ELb0ELc84ELc85EKPKdKPdEviT_PT9_S5_lS7_S5_lPT10_S5_li,"axG",@progbits,_ZL37rocblas_syrkx_herkx_restricted_kernelIidLi16ELi32ELi8ELi1ELi1ELb0ELc84ELc85EKPKdKPdEviT_PT9_S5_lS7_S5_lPT10_S5_li,comdat
	.globl	_ZL37rocblas_syrkx_herkx_restricted_kernelIidLi16ELi32ELi8ELi1ELi1ELb0ELc84ELc85EKPKdKPdEviT_PT9_S5_lS7_S5_lPT10_S5_li ; -- Begin function _ZL37rocblas_syrkx_herkx_restricted_kernelIidLi16ELi32ELi8ELi1ELi1ELb0ELc84ELc85EKPKdKPdEviT_PT9_S5_lS7_S5_lPT10_S5_li
	.p2align	8
	.type	_ZL37rocblas_syrkx_herkx_restricted_kernelIidLi16ELi32ELi8ELi1ELi1ELb0ELc84ELc85EKPKdKPdEviT_PT9_S5_lS7_S5_lPT10_S5_li,@function
_ZL37rocblas_syrkx_herkx_restricted_kernelIidLi16ELi32ELi8ELi1ELi1ELb0ELc84ELc85EKPKdKPdEviT_PT9_S5_lS7_S5_lPT10_S5_li: ; @_ZL37rocblas_syrkx_herkx_restricted_kernelIidLi16ELi32ELi8ELi1ELi1ELb0ELc84ELc85EKPKdKPdEviT_PT9_S5_lS7_S5_lPT10_S5_li
; %bb.0:
	s_load_dwordx2 s[10:11], s[4:5], 0x38
	s_load_dwordx2 s[2:3], s[4:5], 0x0
	s_mov_b32 s9, 0
	s_lshl_b64 s[0:1], s[8:9], 3
	s_waitcnt lgkmcnt(0)
	s_add_u32 s10, s10, s0
	s_addc_u32 s11, s11, s1
	s_load_dwordx2 s[10:11], s[10:11], 0x0
	s_lshl_b32 s6, s6, 5
	s_lshl_b32 s7, s7, 5
	s_cmp_lt_i32 s3, 1
	s_cbranch_scc1 .LBB544_3
; %bb.1:
	s_load_dwordx2 s[12:13], s[4:5], 0x8
	s_load_dword s8, s[4:5], 0x10
	s_load_dwordx2 s[14:15], s[4:5], 0x20
	s_load_dword s16, s[4:5], 0x28
	v_lshl_add_u32 v4, v1, 4, v0
	s_waitcnt lgkmcnt(0)
	s_add_u32 s12, s12, s0
	s_addc_u32 s13, s13, s1
	v_lshrrev_b32_e32 v8, 3, v4
	s_add_u32 s0, s14, s0
	v_add_u32_e32 v5, s7, v8
	v_and_b32_e32 v2, 7, v0
	v_mov_b32_e32 v3, 0
	s_addc_u32 s1, s15, s1
	v_mad_i64_i32 v[6:7], s[14:15], s16, v5, v[2:3]
	v_and_b32_e32 v9, 31, v4
	v_lshlrev_b32_e32 v2, 3, v2
	v_lshrrev_b32_e32 v4, 5, v4
	v_mov_b32_e32 v5, v3
	v_lshlrev_b32_e32 v3, 3, v9
	v_lshl_or_b32 v8, v8, 6, v2
	v_add_u32_e32 v2, s6, v9
	v_lshl_or_b32 v14, v4, 8, v3
	v_mad_i64_i32 v[2:3], s[14:15], s8, v2, v[4:5]
	s_load_dwordx2 s[12:13], s[12:13], 0x0
	v_add_u32_e32 v15, 0x800, v8
	s_load_dwordx2 s[0:1], s[0:1], 0x0
	v_lshlrev_b64 v[2:3], 3, v[2:3]
	v_mov_b32_e32 v17, 0x800
	s_waitcnt lgkmcnt(0)
	v_mov_b32_e32 v5, s13
	v_add_co_u32_e32 v4, vcc, s12, v2
	v_addc_co_u32_e32 v5, vcc, v5, v3, vcc
	v_lshlrev_b64 v[2:3], 3, v[6:7]
	v_mov_b32_e32 v7, s1
	v_add_co_u32_e32 v6, vcc, s0, v2
	v_addc_co_u32_e32 v7, vcc, v7, v3, vcc
	v_mov_b32_e32 v2, 0
	v_mov_b32_e32 v8, 0
	;; [unrolled: 1-line block ×4, first 2 shown]
	v_lshlrev_b32_e32 v16, 3, v0
	v_mov_b32_e32 v3, 0
	v_mov_b32_e32 v9, 0
	v_mov_b32_e32 v11, 0
	v_mov_b32_e32 v13, 0
	v_lshl_add_u32 v17, v1, 6, v17
.LBB544_2:                              ; =>This Inner Loop Header: Depth=1
	flat_load_dwordx2 v[18:19], v[4:5]
	v_add_co_u32_e32 v4, vcc, 64, v4
	v_addc_co_u32_e32 v5, vcc, 0, v5, vcc
	s_add_i32 s9, s9, 8
	s_cmp_ge_i32 s9, s3
	s_waitcnt vmcnt(0) lgkmcnt(0)
	ds_write_b64 v14, v[18:19]
	flat_load_dwordx2 v[18:19], v[6:7]
	v_add_co_u32_e32 v6, vcc, 64, v6
	v_addc_co_u32_e32 v7, vcc, 0, v7, vcc
	s_waitcnt vmcnt(0) lgkmcnt(0)
	ds_write_b64 v15, v[18:19]
	s_waitcnt lgkmcnt(0)
	s_barrier
	ds_read2_b64 v[18:21], v16 offset1:16
	ds_read_b128 v[22:25], v17
	ds_read_b128 v[26:29], v17 offset:1024
	ds_read_b128 v[30:33], v17 offset:16
	s_waitcnt lgkmcnt(2)
	v_fma_f64 v[34:35], v[18:19], v[22:23], v[12:13]
	v_fma_f64 v[22:23], v[20:21], v[22:23], v[10:11]
	s_waitcnt lgkmcnt(1)
	v_fma_f64 v[8:9], v[18:19], v[26:27], v[8:9]
	v_fma_f64 v[2:3], v[20:21], v[26:27], v[2:3]
	ds_read2_b64 v[18:21], v16 offset0:32 offset1:48
	ds_read_b128 v[10:13], v17 offset:1040
	s_waitcnt lgkmcnt(1)
	v_fma_f64 v[26:27], v[18:19], v[24:25], v[34:35]
	v_fma_f64 v[34:35], v[20:21], v[24:25], v[22:23]
	;; [unrolled: 1-line block ×4, first 2 shown]
	ds_read2_b64 v[18:21], v16 offset0:64 offset1:80
	ds_read2_b64 v[22:25], v16 offset0:96 offset1:112
	s_waitcnt lgkmcnt(1)
	v_fma_f64 v[26:27], v[18:19], v[30:31], v[26:27]
	v_fma_f64 v[28:29], v[20:21], v[30:31], v[34:35]
	;; [unrolled: 1-line block ×4, first 2 shown]
	ds_read2_b64 v[8:11], v16 offset0:128 offset1:144
	ds_read_b128 v[18:21], v17 offset:32
	s_waitcnt lgkmcnt(2)
	v_fma_f64 v[34:35], v[22:23], v[32:33], v[26:27]
	v_fma_f64 v[32:33], v[24:25], v[32:33], v[28:29]
	;; [unrolled: 1-line block ×4, first 2 shown]
	ds_read_b128 v[22:25], v17 offset:1056
	ds_read_b128 v[26:29], v17 offset:48
	s_waitcnt lgkmcnt(2)
	v_fma_f64 v[12:13], v[8:9], v[18:19], v[34:35]
	v_fma_f64 v[18:19], v[10:11], v[18:19], v[32:33]
	s_waitcnt lgkmcnt(1)
	v_fma_f64 v[34:35], v[8:9], v[22:23], v[36:37]
	v_fma_f64 v[2:3], v[10:11], v[22:23], v[2:3]
	ds_read2_b64 v[8:11], v16 offset0:160 offset1:176
	ds_read_b128 v[30:33], v17 offset:1072
	s_waitcnt lgkmcnt(1)
	v_fma_f64 v[12:13], v[8:9], v[20:21], v[12:13]
	v_fma_f64 v[18:19], v[10:11], v[20:21], v[18:19]
	;; [unrolled: 1-line block ×4, first 2 shown]
	ds_read2_b64 v[8:11], v16 offset0:192 offset1:208
	s_waitcnt lgkmcnt(0)
	v_fma_f64 v[12:13], v[8:9], v[26:27], v[12:13]
	v_fma_f64 v[22:23], v[10:11], v[26:27], v[18:19]
	;; [unrolled: 1-line block ×4, first 2 shown]
	ds_read2_b64 v[18:21], v16 offset0:224 offset1:240
	s_waitcnt lgkmcnt(0)
	s_barrier
	v_fma_f64 v[12:13], v[18:19], v[28:29], v[12:13]
	v_fma_f64 v[10:11], v[20:21], v[28:29], v[22:23]
	;; [unrolled: 1-line block ×4, first 2 shown]
	s_cbranch_scc0 .LBB544_2
	s_branch .LBB544_4
.LBB544_3:
	v_mov_b32_e32 v12, 0
	v_mov_b32_e32 v10, 0
	;; [unrolled: 1-line block ×8, first 2 shown]
.LBB544_4:
	s_load_dword s3, s[4:5], 0x40
	v_add_u32_e32 v6, s7, v1
	s_waitcnt lgkmcnt(0)
	v_mov_b32_e32 v1, s11
	v_add_u32_e32 v0, s6, v0
	v_cmp_gt_i32_e32 vcc, s2, v6
	v_mad_i64_i32 v[4:5], s[0:1], v6, s3, 0
	v_lshlrev_b64 v[4:5], 3, v[4:5]
	v_add_co_u32_e64 v7, s[0:1], s10, v4
	v_addc_co_u32_e64 v14, s[0:1], v1, v5, s[0:1]
	v_cmp_le_i32_e64 s[0:1], v0, v6
	s_and_b64 s[0:1], vcc, s[0:1]
	s_and_saveexec_b64 s[4:5], s[0:1]
	s_cbranch_execz .LBB544_6
; %bb.5:
	v_ashrrev_i32_e32 v1, 31, v0
	v_lshlrev_b64 v[4:5], 3, v[0:1]
	v_add_co_u32_e64 v4, s[0:1], v7, v4
	v_addc_co_u32_e64 v5, s[0:1], v14, v5, s[0:1]
	flat_load_dwordx2 v[15:16], v[4:5]
	s_waitcnt vmcnt(0) lgkmcnt(0)
	v_add_f64 v[12:13], v[12:13], v[15:16]
	flat_store_dwordx2 v[4:5], v[12:13]
.LBB544_6:
	s_or_b64 exec, exec, s[4:5]
	v_add_u32_e32 v4, 16, v0
	v_cmp_le_i32_e64 s[0:1], v4, v6
	s_and_b64 s[4:5], vcc, s[0:1]
	s_and_saveexec_b64 s[0:1], s[4:5]
	s_cbranch_execz .LBB544_8
; %bb.7:
	v_ashrrev_i32_e32 v5, 31, v4
	v_lshlrev_b64 v[12:13], 3, v[4:5]
	v_add_co_u32_e32 v12, vcc, v7, v12
	v_addc_co_u32_e32 v13, vcc, v14, v13, vcc
	flat_load_dwordx2 v[14:15], v[12:13]
	s_waitcnt vmcnt(0) lgkmcnt(0)
	v_add_f64 v[10:11], v[10:11], v[14:15]
	flat_store_dwordx2 v[12:13], v[10:11]
.LBB544_8:
	s_or_b64 exec, exec, s[0:1]
	v_add_u32_e32 v5, 16, v6
	v_mad_i64_i32 v[6:7], s[0:1], v5, s3, 0
	v_mov_b32_e32 v1, s11
	v_cmp_gt_i32_e32 vcc, s2, v5
	v_lshlrev_b64 v[6:7], 3, v[6:7]
	v_add_co_u32_e64 v6, s[0:1], s10, v6
	v_addc_co_u32_e64 v7, s[0:1], v1, v7, s[0:1]
	v_cmp_le_i32_e64 s[0:1], v0, v5
	s_and_b64 s[0:1], vcc, s[0:1]
	s_and_saveexec_b64 s[2:3], s[0:1]
	s_cbranch_execz .LBB544_10
; %bb.9:
	v_ashrrev_i32_e32 v1, 31, v0
	v_lshlrev_b64 v[0:1], 3, v[0:1]
	v_add_co_u32_e64 v0, s[0:1], v6, v0
	v_addc_co_u32_e64 v1, s[0:1], v7, v1, s[0:1]
	flat_load_dwordx2 v[10:11], v[0:1]
	s_waitcnt vmcnt(0) lgkmcnt(0)
	v_add_f64 v[8:9], v[8:9], v[10:11]
	flat_store_dwordx2 v[0:1], v[8:9]
.LBB544_10:
	s_or_b64 exec, exec, s[2:3]
	v_cmp_le_i32_e64 s[0:1], v4, v5
	s_and_b64 s[0:1], vcc, s[0:1]
	s_and_saveexec_b64 s[2:3], s[0:1]
	s_cbranch_execz .LBB544_12
; %bb.11:
	v_ashrrev_i32_e32 v5, 31, v4
	v_lshlrev_b64 v[0:1], 3, v[4:5]
	v_add_co_u32_e32 v0, vcc, v6, v0
	v_addc_co_u32_e32 v1, vcc, v7, v1, vcc
	flat_load_dwordx2 v[4:5], v[0:1]
	s_waitcnt vmcnt(0) lgkmcnt(0)
	v_add_f64 v[2:3], v[2:3], v[4:5]
	flat_store_dwordx2 v[0:1], v[2:3]
.LBB544_12:
	s_endpgm
	.section	.rodata,"a",@progbits
	.p2align	6, 0x0
	.amdhsa_kernel _ZL37rocblas_syrkx_herkx_restricted_kernelIidLi16ELi32ELi8ELi1ELi1ELb0ELc84ELc85EKPKdKPdEviT_PT9_S5_lS7_S5_lPT10_S5_li
		.amdhsa_group_segment_fixed_size 4096
		.amdhsa_private_segment_fixed_size 0
		.amdhsa_kernarg_size 84
		.amdhsa_user_sgpr_count 6
		.amdhsa_user_sgpr_private_segment_buffer 1
		.amdhsa_user_sgpr_dispatch_ptr 0
		.amdhsa_user_sgpr_queue_ptr 0
		.amdhsa_user_sgpr_kernarg_segment_ptr 1
		.amdhsa_user_sgpr_dispatch_id 0
		.amdhsa_user_sgpr_flat_scratch_init 0
		.amdhsa_user_sgpr_private_segment_size 0
		.amdhsa_uses_dynamic_stack 0
		.amdhsa_system_sgpr_private_segment_wavefront_offset 0
		.amdhsa_system_sgpr_workgroup_id_x 1
		.amdhsa_system_sgpr_workgroup_id_y 1
		.amdhsa_system_sgpr_workgroup_id_z 1
		.amdhsa_system_sgpr_workgroup_info 0
		.amdhsa_system_vgpr_workitem_id 1
		.amdhsa_next_free_vgpr 38
		.amdhsa_next_free_sgpr 17
		.amdhsa_reserve_vcc 1
		.amdhsa_reserve_flat_scratch 0
		.amdhsa_float_round_mode_32 0
		.amdhsa_float_round_mode_16_64 0
		.amdhsa_float_denorm_mode_32 3
		.amdhsa_float_denorm_mode_16_64 3
		.amdhsa_dx10_clamp 1
		.amdhsa_ieee_mode 1
		.amdhsa_fp16_overflow 0
		.amdhsa_exception_fp_ieee_invalid_op 0
		.amdhsa_exception_fp_denorm_src 0
		.amdhsa_exception_fp_ieee_div_zero 0
		.amdhsa_exception_fp_ieee_overflow 0
		.amdhsa_exception_fp_ieee_underflow 0
		.amdhsa_exception_fp_ieee_inexact 0
		.amdhsa_exception_int_div_zero 0
	.end_amdhsa_kernel
	.section	.text._ZL37rocblas_syrkx_herkx_restricted_kernelIidLi16ELi32ELi8ELi1ELi1ELb0ELc84ELc85EKPKdKPdEviT_PT9_S5_lS7_S5_lPT10_S5_li,"axG",@progbits,_ZL37rocblas_syrkx_herkx_restricted_kernelIidLi16ELi32ELi8ELi1ELi1ELb0ELc84ELc85EKPKdKPdEviT_PT9_S5_lS7_S5_lPT10_S5_li,comdat
.Lfunc_end544:
	.size	_ZL37rocblas_syrkx_herkx_restricted_kernelIidLi16ELi32ELi8ELi1ELi1ELb0ELc84ELc85EKPKdKPdEviT_PT9_S5_lS7_S5_lPT10_S5_li, .Lfunc_end544-_ZL37rocblas_syrkx_herkx_restricted_kernelIidLi16ELi32ELi8ELi1ELi1ELb0ELc84ELc85EKPKdKPdEviT_PT9_S5_lS7_S5_lPT10_S5_li
                                        ; -- End function
	.set _ZL37rocblas_syrkx_herkx_restricted_kernelIidLi16ELi32ELi8ELi1ELi1ELb0ELc84ELc85EKPKdKPdEviT_PT9_S5_lS7_S5_lPT10_S5_li.num_vgpr, 38
	.set _ZL37rocblas_syrkx_herkx_restricted_kernelIidLi16ELi32ELi8ELi1ELi1ELb0ELc84ELc85EKPKdKPdEviT_PT9_S5_lS7_S5_lPT10_S5_li.num_agpr, 0
	.set _ZL37rocblas_syrkx_herkx_restricted_kernelIidLi16ELi32ELi8ELi1ELi1ELb0ELc84ELc85EKPKdKPdEviT_PT9_S5_lS7_S5_lPT10_S5_li.numbered_sgpr, 17
	.set _ZL37rocblas_syrkx_herkx_restricted_kernelIidLi16ELi32ELi8ELi1ELi1ELb0ELc84ELc85EKPKdKPdEviT_PT9_S5_lS7_S5_lPT10_S5_li.num_named_barrier, 0
	.set _ZL37rocblas_syrkx_herkx_restricted_kernelIidLi16ELi32ELi8ELi1ELi1ELb0ELc84ELc85EKPKdKPdEviT_PT9_S5_lS7_S5_lPT10_S5_li.private_seg_size, 0
	.set _ZL37rocblas_syrkx_herkx_restricted_kernelIidLi16ELi32ELi8ELi1ELi1ELb0ELc84ELc85EKPKdKPdEviT_PT9_S5_lS7_S5_lPT10_S5_li.uses_vcc, 1
	.set _ZL37rocblas_syrkx_herkx_restricted_kernelIidLi16ELi32ELi8ELi1ELi1ELb0ELc84ELc85EKPKdKPdEviT_PT9_S5_lS7_S5_lPT10_S5_li.uses_flat_scratch, 0
	.set _ZL37rocblas_syrkx_herkx_restricted_kernelIidLi16ELi32ELi8ELi1ELi1ELb0ELc84ELc85EKPKdKPdEviT_PT9_S5_lS7_S5_lPT10_S5_li.has_dyn_sized_stack, 0
	.set _ZL37rocblas_syrkx_herkx_restricted_kernelIidLi16ELi32ELi8ELi1ELi1ELb0ELc84ELc85EKPKdKPdEviT_PT9_S5_lS7_S5_lPT10_S5_li.has_recursion, 0
	.set _ZL37rocblas_syrkx_herkx_restricted_kernelIidLi16ELi32ELi8ELi1ELi1ELb0ELc84ELc85EKPKdKPdEviT_PT9_S5_lS7_S5_lPT10_S5_li.has_indirect_call, 0
	.section	.AMDGPU.csdata,"",@progbits
; Kernel info:
; codeLenInByte = 1264
; TotalNumSgprs: 21
; NumVgprs: 38
; ScratchSize: 0
; MemoryBound: 0
; FloatMode: 240
; IeeeMode: 1
; LDSByteSize: 4096 bytes/workgroup (compile time only)
; SGPRBlocks: 2
; VGPRBlocks: 9
; NumSGPRsForWavesPerEU: 21
; NumVGPRsForWavesPerEU: 38
; Occupancy: 6
; WaveLimiterHint : 1
; COMPUTE_PGM_RSRC2:SCRATCH_EN: 0
; COMPUTE_PGM_RSRC2:USER_SGPR: 6
; COMPUTE_PGM_RSRC2:TRAP_HANDLER: 0
; COMPUTE_PGM_RSRC2:TGID_X_EN: 1
; COMPUTE_PGM_RSRC2:TGID_Y_EN: 1
; COMPUTE_PGM_RSRC2:TGID_Z_EN: 1
; COMPUTE_PGM_RSRC2:TIDIG_COMP_CNT: 1
	.section	.text._ZL37rocblas_syrkx_herkx_restricted_kernelIidLi16ELi32ELi8ELi1ELi1ELb0ELc67ELc85EKPKdKPdEviT_PT9_S5_lS7_S5_lPT10_S5_li,"axG",@progbits,_ZL37rocblas_syrkx_herkx_restricted_kernelIidLi16ELi32ELi8ELi1ELi1ELb0ELc67ELc85EKPKdKPdEviT_PT9_S5_lS7_S5_lPT10_S5_li,comdat
	.globl	_ZL37rocblas_syrkx_herkx_restricted_kernelIidLi16ELi32ELi8ELi1ELi1ELb0ELc67ELc85EKPKdKPdEviT_PT9_S5_lS7_S5_lPT10_S5_li ; -- Begin function _ZL37rocblas_syrkx_herkx_restricted_kernelIidLi16ELi32ELi8ELi1ELi1ELb0ELc67ELc85EKPKdKPdEviT_PT9_S5_lS7_S5_lPT10_S5_li
	.p2align	8
	.type	_ZL37rocblas_syrkx_herkx_restricted_kernelIidLi16ELi32ELi8ELi1ELi1ELb0ELc67ELc85EKPKdKPdEviT_PT9_S5_lS7_S5_lPT10_S5_li,@function
_ZL37rocblas_syrkx_herkx_restricted_kernelIidLi16ELi32ELi8ELi1ELi1ELb0ELc67ELc85EKPKdKPdEviT_PT9_S5_lS7_S5_lPT10_S5_li: ; @_ZL37rocblas_syrkx_herkx_restricted_kernelIidLi16ELi32ELi8ELi1ELi1ELb0ELc67ELc85EKPKdKPdEviT_PT9_S5_lS7_S5_lPT10_S5_li
; %bb.0:
	s_load_dwordx2 s[10:11], s[4:5], 0x38
	s_load_dwordx2 s[2:3], s[4:5], 0x0
	s_mov_b32 s9, 0
	s_lshl_b64 s[0:1], s[8:9], 3
	s_waitcnt lgkmcnt(0)
	s_add_u32 s10, s10, s0
	s_addc_u32 s11, s11, s1
	s_load_dwordx2 s[10:11], s[10:11], 0x0
	s_lshl_b32 s6, s6, 5
	s_lshl_b32 s7, s7, 5
	s_cmp_lt_i32 s3, 1
	s_cbranch_scc1 .LBB545_3
; %bb.1:
	s_load_dwordx2 s[12:13], s[4:5], 0x8
	s_load_dword s8, s[4:5], 0x10
	s_load_dwordx2 s[14:15], s[4:5], 0x20
	s_load_dword s16, s[4:5], 0x28
	v_lshl_add_u32 v4, v1, 4, v0
	s_waitcnt lgkmcnt(0)
	s_add_u32 s12, s12, s0
	s_addc_u32 s13, s13, s1
	v_lshrrev_b32_e32 v8, 3, v4
	s_add_u32 s0, s14, s0
	v_add_u32_e32 v5, s7, v8
	v_and_b32_e32 v2, 7, v0
	v_mov_b32_e32 v3, 0
	s_addc_u32 s1, s15, s1
	v_mad_i64_i32 v[6:7], s[14:15], s16, v5, v[2:3]
	v_and_b32_e32 v9, 31, v4
	v_lshlrev_b32_e32 v2, 3, v2
	v_lshrrev_b32_e32 v4, 5, v4
	v_mov_b32_e32 v5, v3
	v_lshlrev_b32_e32 v3, 3, v9
	v_lshl_or_b32 v8, v8, 6, v2
	v_add_u32_e32 v2, s6, v9
	v_lshl_or_b32 v14, v4, 8, v3
	v_mad_i64_i32 v[2:3], s[14:15], s8, v2, v[4:5]
	s_load_dwordx2 s[12:13], s[12:13], 0x0
	v_add_u32_e32 v15, 0x800, v8
	s_load_dwordx2 s[0:1], s[0:1], 0x0
	v_lshlrev_b64 v[2:3], 3, v[2:3]
	v_mov_b32_e32 v17, 0x800
	s_waitcnt lgkmcnt(0)
	v_mov_b32_e32 v5, s13
	v_add_co_u32_e32 v4, vcc, s12, v2
	v_addc_co_u32_e32 v5, vcc, v5, v3, vcc
	v_lshlrev_b64 v[2:3], 3, v[6:7]
	v_mov_b32_e32 v7, s1
	v_add_co_u32_e32 v6, vcc, s0, v2
	v_addc_co_u32_e32 v7, vcc, v7, v3, vcc
	v_mov_b32_e32 v2, 0
	v_mov_b32_e32 v8, 0
	v_mov_b32_e32 v10, 0
	v_mov_b32_e32 v12, 0
	v_lshlrev_b32_e32 v16, 3, v0
	v_mov_b32_e32 v3, 0
	v_mov_b32_e32 v9, 0
	;; [unrolled: 1-line block ×4, first 2 shown]
	v_lshl_add_u32 v17, v1, 6, v17
.LBB545_2:                              ; =>This Inner Loop Header: Depth=1
	flat_load_dwordx2 v[18:19], v[4:5]
	v_add_co_u32_e32 v4, vcc, 64, v4
	v_addc_co_u32_e32 v5, vcc, 0, v5, vcc
	s_add_i32 s9, s9, 8
	s_cmp_ge_i32 s9, s3
	s_waitcnt vmcnt(0) lgkmcnt(0)
	ds_write_b64 v14, v[18:19]
	flat_load_dwordx2 v[18:19], v[6:7]
	v_add_co_u32_e32 v6, vcc, 64, v6
	v_addc_co_u32_e32 v7, vcc, 0, v7, vcc
	s_waitcnt vmcnt(0) lgkmcnt(0)
	ds_write_b64 v15, v[18:19]
	s_waitcnt lgkmcnt(0)
	s_barrier
	ds_read2_b64 v[18:21], v16 offset1:16
	ds_read_b128 v[22:25], v17
	ds_read_b128 v[26:29], v17 offset:1024
	ds_read_b128 v[30:33], v17 offset:16
	s_waitcnt lgkmcnt(2)
	v_fma_f64 v[34:35], v[18:19], v[22:23], v[12:13]
	v_fma_f64 v[22:23], v[20:21], v[22:23], v[10:11]
	s_waitcnt lgkmcnt(1)
	v_fma_f64 v[8:9], v[18:19], v[26:27], v[8:9]
	v_fma_f64 v[2:3], v[20:21], v[26:27], v[2:3]
	ds_read2_b64 v[18:21], v16 offset0:32 offset1:48
	ds_read_b128 v[10:13], v17 offset:1040
	s_waitcnt lgkmcnt(1)
	v_fma_f64 v[26:27], v[18:19], v[24:25], v[34:35]
	v_fma_f64 v[34:35], v[20:21], v[24:25], v[22:23]
	;; [unrolled: 1-line block ×4, first 2 shown]
	ds_read2_b64 v[18:21], v16 offset0:64 offset1:80
	ds_read2_b64 v[22:25], v16 offset0:96 offset1:112
	s_waitcnt lgkmcnt(1)
	v_fma_f64 v[26:27], v[18:19], v[30:31], v[26:27]
	v_fma_f64 v[28:29], v[20:21], v[30:31], v[34:35]
	;; [unrolled: 1-line block ×4, first 2 shown]
	ds_read2_b64 v[8:11], v16 offset0:128 offset1:144
	ds_read_b128 v[18:21], v17 offset:32
	s_waitcnt lgkmcnt(2)
	v_fma_f64 v[34:35], v[22:23], v[32:33], v[26:27]
	v_fma_f64 v[32:33], v[24:25], v[32:33], v[28:29]
	;; [unrolled: 1-line block ×4, first 2 shown]
	ds_read_b128 v[22:25], v17 offset:1056
	ds_read_b128 v[26:29], v17 offset:48
	s_waitcnt lgkmcnt(2)
	v_fma_f64 v[12:13], v[8:9], v[18:19], v[34:35]
	v_fma_f64 v[18:19], v[10:11], v[18:19], v[32:33]
	s_waitcnt lgkmcnt(1)
	v_fma_f64 v[34:35], v[8:9], v[22:23], v[36:37]
	v_fma_f64 v[2:3], v[10:11], v[22:23], v[2:3]
	ds_read2_b64 v[8:11], v16 offset0:160 offset1:176
	ds_read_b128 v[30:33], v17 offset:1072
	s_waitcnt lgkmcnt(1)
	v_fma_f64 v[12:13], v[8:9], v[20:21], v[12:13]
	v_fma_f64 v[18:19], v[10:11], v[20:21], v[18:19]
	;; [unrolled: 1-line block ×4, first 2 shown]
	ds_read2_b64 v[8:11], v16 offset0:192 offset1:208
	s_waitcnt lgkmcnt(0)
	v_fma_f64 v[12:13], v[8:9], v[26:27], v[12:13]
	v_fma_f64 v[22:23], v[10:11], v[26:27], v[18:19]
	;; [unrolled: 1-line block ×4, first 2 shown]
	ds_read2_b64 v[18:21], v16 offset0:224 offset1:240
	s_waitcnt lgkmcnt(0)
	s_barrier
	v_fma_f64 v[12:13], v[18:19], v[28:29], v[12:13]
	v_fma_f64 v[10:11], v[20:21], v[28:29], v[22:23]
	v_fma_f64 v[8:9], v[18:19], v[32:33], v[8:9]
	v_fma_f64 v[2:3], v[20:21], v[32:33], v[2:3]
	s_cbranch_scc0 .LBB545_2
	s_branch .LBB545_4
.LBB545_3:
	v_mov_b32_e32 v12, 0
	v_mov_b32_e32 v10, 0
	v_mov_b32_e32 v8, 0
	v_mov_b32_e32 v2, 0
	v_mov_b32_e32 v13, 0
	v_mov_b32_e32 v11, 0
	v_mov_b32_e32 v9, 0
	v_mov_b32_e32 v3, 0
.LBB545_4:
	s_load_dword s3, s[4:5], 0x40
	v_add_u32_e32 v6, s7, v1
	s_waitcnt lgkmcnt(0)
	v_mov_b32_e32 v1, s11
	v_add_u32_e32 v0, s6, v0
	v_cmp_gt_i32_e32 vcc, s2, v6
	v_mad_i64_i32 v[4:5], s[0:1], v6, s3, 0
	v_lshlrev_b64 v[4:5], 3, v[4:5]
	v_add_co_u32_e64 v7, s[0:1], s10, v4
	v_addc_co_u32_e64 v14, s[0:1], v1, v5, s[0:1]
	v_cmp_le_i32_e64 s[0:1], v0, v6
	s_and_b64 s[0:1], vcc, s[0:1]
	s_and_saveexec_b64 s[4:5], s[0:1]
	s_cbranch_execz .LBB545_6
; %bb.5:
	v_ashrrev_i32_e32 v1, 31, v0
	v_lshlrev_b64 v[4:5], 3, v[0:1]
	v_add_co_u32_e64 v4, s[0:1], v7, v4
	v_addc_co_u32_e64 v5, s[0:1], v14, v5, s[0:1]
	flat_load_dwordx2 v[15:16], v[4:5]
	s_waitcnt vmcnt(0) lgkmcnt(0)
	v_add_f64 v[12:13], v[12:13], v[15:16]
	flat_store_dwordx2 v[4:5], v[12:13]
.LBB545_6:
	s_or_b64 exec, exec, s[4:5]
	v_add_u32_e32 v4, 16, v0
	v_cmp_le_i32_e64 s[0:1], v4, v6
	s_and_b64 s[4:5], vcc, s[0:1]
	s_and_saveexec_b64 s[0:1], s[4:5]
	s_cbranch_execz .LBB545_8
; %bb.7:
	v_ashrrev_i32_e32 v5, 31, v4
	v_lshlrev_b64 v[12:13], 3, v[4:5]
	v_add_co_u32_e32 v12, vcc, v7, v12
	v_addc_co_u32_e32 v13, vcc, v14, v13, vcc
	flat_load_dwordx2 v[14:15], v[12:13]
	s_waitcnt vmcnt(0) lgkmcnt(0)
	v_add_f64 v[10:11], v[10:11], v[14:15]
	flat_store_dwordx2 v[12:13], v[10:11]
.LBB545_8:
	s_or_b64 exec, exec, s[0:1]
	v_add_u32_e32 v5, 16, v6
	v_mad_i64_i32 v[6:7], s[0:1], v5, s3, 0
	v_mov_b32_e32 v1, s11
	v_cmp_gt_i32_e32 vcc, s2, v5
	v_lshlrev_b64 v[6:7], 3, v[6:7]
	v_add_co_u32_e64 v6, s[0:1], s10, v6
	v_addc_co_u32_e64 v7, s[0:1], v1, v7, s[0:1]
	v_cmp_le_i32_e64 s[0:1], v0, v5
	s_and_b64 s[0:1], vcc, s[0:1]
	s_and_saveexec_b64 s[2:3], s[0:1]
	s_cbranch_execz .LBB545_10
; %bb.9:
	v_ashrrev_i32_e32 v1, 31, v0
	v_lshlrev_b64 v[0:1], 3, v[0:1]
	v_add_co_u32_e64 v0, s[0:1], v6, v0
	v_addc_co_u32_e64 v1, s[0:1], v7, v1, s[0:1]
	flat_load_dwordx2 v[10:11], v[0:1]
	s_waitcnt vmcnt(0) lgkmcnt(0)
	v_add_f64 v[8:9], v[8:9], v[10:11]
	flat_store_dwordx2 v[0:1], v[8:9]
.LBB545_10:
	s_or_b64 exec, exec, s[2:3]
	v_cmp_le_i32_e64 s[0:1], v4, v5
	s_and_b64 s[0:1], vcc, s[0:1]
	s_and_saveexec_b64 s[2:3], s[0:1]
	s_cbranch_execz .LBB545_12
; %bb.11:
	v_ashrrev_i32_e32 v5, 31, v4
	v_lshlrev_b64 v[0:1], 3, v[4:5]
	v_add_co_u32_e32 v0, vcc, v6, v0
	v_addc_co_u32_e32 v1, vcc, v7, v1, vcc
	flat_load_dwordx2 v[4:5], v[0:1]
	s_waitcnt vmcnt(0) lgkmcnt(0)
	v_add_f64 v[2:3], v[2:3], v[4:5]
	flat_store_dwordx2 v[0:1], v[2:3]
.LBB545_12:
	s_endpgm
	.section	.rodata,"a",@progbits
	.p2align	6, 0x0
	.amdhsa_kernel _ZL37rocblas_syrkx_herkx_restricted_kernelIidLi16ELi32ELi8ELi1ELi1ELb0ELc67ELc85EKPKdKPdEviT_PT9_S5_lS7_S5_lPT10_S5_li
		.amdhsa_group_segment_fixed_size 4096
		.amdhsa_private_segment_fixed_size 0
		.amdhsa_kernarg_size 84
		.amdhsa_user_sgpr_count 6
		.amdhsa_user_sgpr_private_segment_buffer 1
		.amdhsa_user_sgpr_dispatch_ptr 0
		.amdhsa_user_sgpr_queue_ptr 0
		.amdhsa_user_sgpr_kernarg_segment_ptr 1
		.amdhsa_user_sgpr_dispatch_id 0
		.amdhsa_user_sgpr_flat_scratch_init 0
		.amdhsa_user_sgpr_private_segment_size 0
		.amdhsa_uses_dynamic_stack 0
		.amdhsa_system_sgpr_private_segment_wavefront_offset 0
		.amdhsa_system_sgpr_workgroup_id_x 1
		.amdhsa_system_sgpr_workgroup_id_y 1
		.amdhsa_system_sgpr_workgroup_id_z 1
		.amdhsa_system_sgpr_workgroup_info 0
		.amdhsa_system_vgpr_workitem_id 1
		.amdhsa_next_free_vgpr 38
		.amdhsa_next_free_sgpr 17
		.amdhsa_reserve_vcc 1
		.amdhsa_reserve_flat_scratch 0
		.amdhsa_float_round_mode_32 0
		.amdhsa_float_round_mode_16_64 0
		.amdhsa_float_denorm_mode_32 3
		.amdhsa_float_denorm_mode_16_64 3
		.amdhsa_dx10_clamp 1
		.amdhsa_ieee_mode 1
		.amdhsa_fp16_overflow 0
		.amdhsa_exception_fp_ieee_invalid_op 0
		.amdhsa_exception_fp_denorm_src 0
		.amdhsa_exception_fp_ieee_div_zero 0
		.amdhsa_exception_fp_ieee_overflow 0
		.amdhsa_exception_fp_ieee_underflow 0
		.amdhsa_exception_fp_ieee_inexact 0
		.amdhsa_exception_int_div_zero 0
	.end_amdhsa_kernel
	.section	.text._ZL37rocblas_syrkx_herkx_restricted_kernelIidLi16ELi32ELi8ELi1ELi1ELb0ELc67ELc85EKPKdKPdEviT_PT9_S5_lS7_S5_lPT10_S5_li,"axG",@progbits,_ZL37rocblas_syrkx_herkx_restricted_kernelIidLi16ELi32ELi8ELi1ELi1ELb0ELc67ELc85EKPKdKPdEviT_PT9_S5_lS7_S5_lPT10_S5_li,comdat
.Lfunc_end545:
	.size	_ZL37rocblas_syrkx_herkx_restricted_kernelIidLi16ELi32ELi8ELi1ELi1ELb0ELc67ELc85EKPKdKPdEviT_PT9_S5_lS7_S5_lPT10_S5_li, .Lfunc_end545-_ZL37rocblas_syrkx_herkx_restricted_kernelIidLi16ELi32ELi8ELi1ELi1ELb0ELc67ELc85EKPKdKPdEviT_PT9_S5_lS7_S5_lPT10_S5_li
                                        ; -- End function
	.set _ZL37rocblas_syrkx_herkx_restricted_kernelIidLi16ELi32ELi8ELi1ELi1ELb0ELc67ELc85EKPKdKPdEviT_PT9_S5_lS7_S5_lPT10_S5_li.num_vgpr, 38
	.set _ZL37rocblas_syrkx_herkx_restricted_kernelIidLi16ELi32ELi8ELi1ELi1ELb0ELc67ELc85EKPKdKPdEviT_PT9_S5_lS7_S5_lPT10_S5_li.num_agpr, 0
	.set _ZL37rocblas_syrkx_herkx_restricted_kernelIidLi16ELi32ELi8ELi1ELi1ELb0ELc67ELc85EKPKdKPdEviT_PT9_S5_lS7_S5_lPT10_S5_li.numbered_sgpr, 17
	.set _ZL37rocblas_syrkx_herkx_restricted_kernelIidLi16ELi32ELi8ELi1ELi1ELb0ELc67ELc85EKPKdKPdEviT_PT9_S5_lS7_S5_lPT10_S5_li.num_named_barrier, 0
	.set _ZL37rocblas_syrkx_herkx_restricted_kernelIidLi16ELi32ELi8ELi1ELi1ELb0ELc67ELc85EKPKdKPdEviT_PT9_S5_lS7_S5_lPT10_S5_li.private_seg_size, 0
	.set _ZL37rocblas_syrkx_herkx_restricted_kernelIidLi16ELi32ELi8ELi1ELi1ELb0ELc67ELc85EKPKdKPdEviT_PT9_S5_lS7_S5_lPT10_S5_li.uses_vcc, 1
	.set _ZL37rocblas_syrkx_herkx_restricted_kernelIidLi16ELi32ELi8ELi1ELi1ELb0ELc67ELc85EKPKdKPdEviT_PT9_S5_lS7_S5_lPT10_S5_li.uses_flat_scratch, 0
	.set _ZL37rocblas_syrkx_herkx_restricted_kernelIidLi16ELi32ELi8ELi1ELi1ELb0ELc67ELc85EKPKdKPdEviT_PT9_S5_lS7_S5_lPT10_S5_li.has_dyn_sized_stack, 0
	.set _ZL37rocblas_syrkx_herkx_restricted_kernelIidLi16ELi32ELi8ELi1ELi1ELb0ELc67ELc85EKPKdKPdEviT_PT9_S5_lS7_S5_lPT10_S5_li.has_recursion, 0
	.set _ZL37rocblas_syrkx_herkx_restricted_kernelIidLi16ELi32ELi8ELi1ELi1ELb0ELc67ELc85EKPKdKPdEviT_PT9_S5_lS7_S5_lPT10_S5_li.has_indirect_call, 0
	.section	.AMDGPU.csdata,"",@progbits
; Kernel info:
; codeLenInByte = 1264
; TotalNumSgprs: 21
; NumVgprs: 38
; ScratchSize: 0
; MemoryBound: 0
; FloatMode: 240
; IeeeMode: 1
; LDSByteSize: 4096 bytes/workgroup (compile time only)
; SGPRBlocks: 2
; VGPRBlocks: 9
; NumSGPRsForWavesPerEU: 21
; NumVGPRsForWavesPerEU: 38
; Occupancy: 6
; WaveLimiterHint : 1
; COMPUTE_PGM_RSRC2:SCRATCH_EN: 0
; COMPUTE_PGM_RSRC2:USER_SGPR: 6
; COMPUTE_PGM_RSRC2:TRAP_HANDLER: 0
; COMPUTE_PGM_RSRC2:TGID_X_EN: 1
; COMPUTE_PGM_RSRC2:TGID_Y_EN: 1
; COMPUTE_PGM_RSRC2:TGID_Z_EN: 1
; COMPUTE_PGM_RSRC2:TIDIG_COMP_CNT: 1
	.section	.text._ZL37rocblas_syrkx_herkx_restricted_kernelIidLi16ELi32ELi8ELi1ELi1ELb0ELc78ELc85EKPKdKPdEviT_PT9_S5_lS7_S5_lPT10_S5_li,"axG",@progbits,_ZL37rocblas_syrkx_herkx_restricted_kernelIidLi16ELi32ELi8ELi1ELi1ELb0ELc78ELc85EKPKdKPdEviT_PT9_S5_lS7_S5_lPT10_S5_li,comdat
	.globl	_ZL37rocblas_syrkx_herkx_restricted_kernelIidLi16ELi32ELi8ELi1ELi1ELb0ELc78ELc85EKPKdKPdEviT_PT9_S5_lS7_S5_lPT10_S5_li ; -- Begin function _ZL37rocblas_syrkx_herkx_restricted_kernelIidLi16ELi32ELi8ELi1ELi1ELb0ELc78ELc85EKPKdKPdEviT_PT9_S5_lS7_S5_lPT10_S5_li
	.p2align	8
	.type	_ZL37rocblas_syrkx_herkx_restricted_kernelIidLi16ELi32ELi8ELi1ELi1ELb0ELc78ELc85EKPKdKPdEviT_PT9_S5_lS7_S5_lPT10_S5_li,@function
_ZL37rocblas_syrkx_herkx_restricted_kernelIidLi16ELi32ELi8ELi1ELi1ELb0ELc78ELc85EKPKdKPdEviT_PT9_S5_lS7_S5_lPT10_S5_li: ; @_ZL37rocblas_syrkx_herkx_restricted_kernelIidLi16ELi32ELi8ELi1ELi1ELb0ELc78ELc85EKPKdKPdEviT_PT9_S5_lS7_S5_lPT10_S5_li
; %bb.0:
	s_load_dwordx2 s[10:11], s[4:5], 0x38
	s_load_dwordx2 s[2:3], s[4:5], 0x0
	s_mov_b32 s9, 0
	s_lshl_b64 s[0:1], s[8:9], 3
	s_waitcnt lgkmcnt(0)
	s_add_u32 s10, s10, s0
	s_addc_u32 s11, s11, s1
	s_load_dwordx2 s[10:11], s[10:11], 0x0
	s_lshl_b32 s8, s6, 5
	s_lshl_b32 s12, s7, 5
	s_cmp_lt_i32 s3, 1
	s_cbranch_scc1 .LBB546_3
; %bb.1:
	s_load_dword s6, s[4:5], 0x10
	s_load_dword s14, s[4:5], 0x28
	s_load_dwordx2 s[16:17], s[4:5], 0x20
	s_load_dwordx2 s[18:19], s[4:5], 0x8
	v_lshl_add_u32 v5, v1, 4, v0
	s_waitcnt lgkmcnt(0)
	s_ashr_i32 s7, s6, 31
	s_ashr_i32 s15, s14, 31
	v_lshrrev_b32_e32 v6, 3, v5
	s_add_u32 s18, s18, s0
	s_addc_u32 s19, s19, s1
	s_add_u32 s0, s16, s0
	v_add_u32_e32 v2, s12, v6
	s_addc_u32 s1, s17, s1
	v_and_b32_e32 v4, 7, v0
	v_ashrrev_i32_e32 v3, 31, v2
	s_load_dwordx2 s[16:17], s[0:1], 0x0
	v_mad_i64_i32 v[2:3], s[0:1], s14, v4, v[2:3]
	v_lshlrev_b32_e32 v4, 3, v4
	v_lshrrev_b32_e32 v7, 5, v5
	v_and_b32_e32 v5, 31, v5
	v_lshl_or_b32 v4, v6, 6, v4
	v_add_u32_e32 v15, 0x800, v4
	v_add_u32_e32 v4, s8, v5
	v_lshlrev_b32_e32 v8, 3, v5
	v_ashrrev_i32_e32 v5, 31, v4
	v_mad_i64_i32 v[4:5], s[0:1], s6, v7, v[4:5]
	s_load_dwordx2 s[18:19], s[18:19], 0x0
	v_mov_b32_e32 v6, 0x800
	v_lshlrev_b64 v[4:5], 3, v[4:5]
	v_lshl_add_u32 v17, v1, 6, v6
	v_lshlrev_b64 v[2:3], 3, v[2:3]
	s_waitcnt lgkmcnt(0)
	v_mov_b32_e32 v6, s19
	v_add_co_u32_e32 v4, vcc, s18, v4
	v_addc_co_u32_e32 v5, vcc, v6, v5, vcc
	v_lshl_or_b32 v14, v7, 8, v8
	v_mov_b32_e32 v7, s17
	v_add_co_u32_e32 v6, vcc, s16, v2
	s_lshl_b64 s[0:1], s[6:7], 6
	v_addc_co_u32_e32 v7, vcc, v7, v3, vcc
	s_lshl_b64 s[6:7], s[14:15], 6
	v_mov_b32_e32 v2, 0
	v_mov_b32_e32 v8, 0
	;; [unrolled: 1-line block ×4, first 2 shown]
	v_lshlrev_b32_e32 v16, 3, v0
	v_mov_b32_e32 v3, 0
	v_mov_b32_e32 v18, s1
	;; [unrolled: 1-line block ×6, first 2 shown]
.LBB546_2:                              ; =>This Inner Loop Header: Depth=1
	flat_load_dwordx2 v[20:21], v[4:5]
	v_add_co_u32_e32 v4, vcc, s0, v4
	v_addc_co_u32_e32 v5, vcc, v5, v18, vcc
	s_add_i32 s9, s9, 8
	s_cmp_ge_i32 s9, s3
	s_waitcnt vmcnt(0) lgkmcnt(0)
	ds_write_b64 v14, v[20:21]
	flat_load_dwordx2 v[20:21], v[6:7]
	v_add_co_u32_e32 v6, vcc, s6, v6
	v_addc_co_u32_e32 v7, vcc, v7, v19, vcc
	s_waitcnt vmcnt(0) lgkmcnt(0)
	ds_write_b64 v15, v[20:21]
	s_waitcnt lgkmcnt(0)
	s_barrier
	ds_read2_b64 v[20:23], v16 offset1:16
	ds_read_b128 v[24:27], v17
	ds_read_b128 v[28:31], v17 offset:16
	s_waitcnt lgkmcnt(1)
	v_fma_f64 v[36:37], v[20:21], v[24:25], v[12:13]
	v_fma_f64 v[24:25], v[22:23], v[24:25], v[10:11]
	ds_read_b128 v[10:13], v17 offset:1024
	ds_read_b128 v[32:35], v17 offset:1040
	s_waitcnt lgkmcnt(1)
	v_fma_f64 v[20:21], v[20:21], v[10:11], v[8:9]
	v_fma_f64 v[2:3], v[22:23], v[10:11], v[2:3]
	ds_read2_b64 v[8:11], v16 offset0:32 offset1:48
	s_waitcnt lgkmcnt(0)
	v_fma_f64 v[22:23], v[8:9], v[26:27], v[36:37]
	v_fma_f64 v[24:25], v[10:11], v[26:27], v[24:25]
	v_fma_f64 v[20:21], v[8:9], v[12:13], v[20:21]
	v_fma_f64 v[2:3], v[10:11], v[12:13], v[2:3]
	ds_read2_b64 v[8:11], v16 offset0:64 offset1:80
	s_waitcnt lgkmcnt(0)
	v_fma_f64 v[12:13], v[8:9], v[28:29], v[22:23]
	v_fma_f64 v[22:23], v[10:11], v[28:29], v[24:25]
	;; [unrolled: 6-line block ×3, first 2 shown]
	ds_read2_b64 v[20:23], v16 offset0:128 offset1:144
	v_fma_f64 v[36:37], v[8:9], v[34:35], v[24:25]
	v_fma_f64 v[2:3], v[10:11], v[34:35], v[2:3]
	ds_read_b128 v[8:11], v17 offset:32
	ds_read_b128 v[24:27], v17 offset:48
	s_waitcnt lgkmcnt(1)
	v_fma_f64 v[12:13], v[20:21], v[8:9], v[12:13]
	v_fma_f64 v[8:9], v[22:23], v[8:9], v[28:29]
	ds_read_b128 v[28:31], v17 offset:1056
	ds_read_b128 v[32:35], v17 offset:1072
	s_waitcnt lgkmcnt(1)
	v_fma_f64 v[36:37], v[20:21], v[28:29], v[36:37]
	v_fma_f64 v[2:3], v[22:23], v[28:29], v[2:3]
	ds_read2_b64 v[20:23], v16 offset0:160 offset1:176
	s_waitcnt lgkmcnt(0)
	v_fma_f64 v[12:13], v[20:21], v[10:11], v[12:13]
	v_fma_f64 v[28:29], v[22:23], v[10:11], v[8:9]
	;; [unrolled: 1-line block ×4, first 2 shown]
	ds_read2_b64 v[8:11], v16 offset0:192 offset1:208
	s_waitcnt lgkmcnt(0)
	v_fma_f64 v[12:13], v[8:9], v[24:25], v[12:13]
	v_fma_f64 v[24:25], v[10:11], v[24:25], v[28:29]
	;; [unrolled: 1-line block ×4, first 2 shown]
	ds_read2_b64 v[20:23], v16 offset0:224 offset1:240
	s_waitcnt lgkmcnt(0)
	s_barrier
	v_fma_f64 v[12:13], v[20:21], v[26:27], v[12:13]
	v_fma_f64 v[10:11], v[22:23], v[26:27], v[24:25]
	;; [unrolled: 1-line block ×4, first 2 shown]
	s_cbranch_scc0 .LBB546_2
	s_branch .LBB546_4
.LBB546_3:
	v_mov_b32_e32 v12, 0
	v_mov_b32_e32 v10, 0
	;; [unrolled: 1-line block ×8, first 2 shown]
.LBB546_4:
	s_load_dword s3, s[4:5], 0x40
	v_add_u32_e32 v6, s12, v1
	s_waitcnt lgkmcnt(0)
	v_mov_b32_e32 v1, s11
	v_add_u32_e32 v0, s8, v0
	v_cmp_gt_i32_e32 vcc, s2, v6
	v_mad_i64_i32 v[4:5], s[0:1], v6, s3, 0
	v_lshlrev_b64 v[4:5], 3, v[4:5]
	v_add_co_u32_e64 v7, s[0:1], s10, v4
	v_addc_co_u32_e64 v14, s[0:1], v1, v5, s[0:1]
	v_cmp_le_i32_e64 s[0:1], v0, v6
	s_and_b64 s[0:1], vcc, s[0:1]
	s_and_saveexec_b64 s[4:5], s[0:1]
	s_cbranch_execz .LBB546_6
; %bb.5:
	v_ashrrev_i32_e32 v1, 31, v0
	v_lshlrev_b64 v[4:5], 3, v[0:1]
	v_add_co_u32_e64 v4, s[0:1], v7, v4
	v_addc_co_u32_e64 v5, s[0:1], v14, v5, s[0:1]
	flat_load_dwordx2 v[15:16], v[4:5]
	s_waitcnt vmcnt(0) lgkmcnt(0)
	v_add_f64 v[12:13], v[12:13], v[15:16]
	flat_store_dwordx2 v[4:5], v[12:13]
.LBB546_6:
	s_or_b64 exec, exec, s[4:5]
	v_add_u32_e32 v4, 16, v0
	v_cmp_le_i32_e64 s[0:1], v4, v6
	s_and_b64 s[4:5], vcc, s[0:1]
	s_and_saveexec_b64 s[0:1], s[4:5]
	s_cbranch_execz .LBB546_8
; %bb.7:
	v_ashrrev_i32_e32 v5, 31, v4
	v_lshlrev_b64 v[12:13], 3, v[4:5]
	v_add_co_u32_e32 v12, vcc, v7, v12
	v_addc_co_u32_e32 v13, vcc, v14, v13, vcc
	flat_load_dwordx2 v[14:15], v[12:13]
	s_waitcnt vmcnt(0) lgkmcnt(0)
	v_add_f64 v[10:11], v[10:11], v[14:15]
	flat_store_dwordx2 v[12:13], v[10:11]
.LBB546_8:
	s_or_b64 exec, exec, s[0:1]
	v_add_u32_e32 v5, 16, v6
	v_mad_i64_i32 v[6:7], s[0:1], v5, s3, 0
	v_mov_b32_e32 v1, s11
	v_cmp_gt_i32_e32 vcc, s2, v5
	v_lshlrev_b64 v[6:7], 3, v[6:7]
	v_add_co_u32_e64 v6, s[0:1], s10, v6
	v_addc_co_u32_e64 v7, s[0:1], v1, v7, s[0:1]
	v_cmp_le_i32_e64 s[0:1], v0, v5
	s_and_b64 s[0:1], vcc, s[0:1]
	s_and_saveexec_b64 s[2:3], s[0:1]
	s_cbranch_execz .LBB546_10
; %bb.9:
	v_ashrrev_i32_e32 v1, 31, v0
	v_lshlrev_b64 v[0:1], 3, v[0:1]
	v_add_co_u32_e64 v0, s[0:1], v6, v0
	v_addc_co_u32_e64 v1, s[0:1], v7, v1, s[0:1]
	flat_load_dwordx2 v[10:11], v[0:1]
	s_waitcnt vmcnt(0) lgkmcnt(0)
	v_add_f64 v[8:9], v[8:9], v[10:11]
	flat_store_dwordx2 v[0:1], v[8:9]
.LBB546_10:
	s_or_b64 exec, exec, s[2:3]
	v_cmp_le_i32_e64 s[0:1], v4, v5
	s_and_b64 s[0:1], vcc, s[0:1]
	s_and_saveexec_b64 s[2:3], s[0:1]
	s_cbranch_execz .LBB546_12
; %bb.11:
	v_ashrrev_i32_e32 v5, 31, v4
	v_lshlrev_b64 v[0:1], 3, v[4:5]
	v_add_co_u32_e32 v0, vcc, v6, v0
	v_addc_co_u32_e32 v1, vcc, v7, v1, vcc
	flat_load_dwordx2 v[4:5], v[0:1]
	s_waitcnt vmcnt(0) lgkmcnt(0)
	v_add_f64 v[2:3], v[2:3], v[4:5]
	flat_store_dwordx2 v[0:1], v[2:3]
.LBB546_12:
	s_endpgm
	.section	.rodata,"a",@progbits
	.p2align	6, 0x0
	.amdhsa_kernel _ZL37rocblas_syrkx_herkx_restricted_kernelIidLi16ELi32ELi8ELi1ELi1ELb0ELc78ELc85EKPKdKPdEviT_PT9_S5_lS7_S5_lPT10_S5_li
		.amdhsa_group_segment_fixed_size 4096
		.amdhsa_private_segment_fixed_size 0
		.amdhsa_kernarg_size 84
		.amdhsa_user_sgpr_count 6
		.amdhsa_user_sgpr_private_segment_buffer 1
		.amdhsa_user_sgpr_dispatch_ptr 0
		.amdhsa_user_sgpr_queue_ptr 0
		.amdhsa_user_sgpr_kernarg_segment_ptr 1
		.amdhsa_user_sgpr_dispatch_id 0
		.amdhsa_user_sgpr_flat_scratch_init 0
		.amdhsa_user_sgpr_private_segment_size 0
		.amdhsa_uses_dynamic_stack 0
		.amdhsa_system_sgpr_private_segment_wavefront_offset 0
		.amdhsa_system_sgpr_workgroup_id_x 1
		.amdhsa_system_sgpr_workgroup_id_y 1
		.amdhsa_system_sgpr_workgroup_id_z 1
		.amdhsa_system_sgpr_workgroup_info 0
		.amdhsa_system_vgpr_workitem_id 1
		.amdhsa_next_free_vgpr 38
		.amdhsa_next_free_sgpr 20
		.amdhsa_reserve_vcc 1
		.amdhsa_reserve_flat_scratch 0
		.amdhsa_float_round_mode_32 0
		.amdhsa_float_round_mode_16_64 0
		.amdhsa_float_denorm_mode_32 3
		.amdhsa_float_denorm_mode_16_64 3
		.amdhsa_dx10_clamp 1
		.amdhsa_ieee_mode 1
		.amdhsa_fp16_overflow 0
		.amdhsa_exception_fp_ieee_invalid_op 0
		.amdhsa_exception_fp_denorm_src 0
		.amdhsa_exception_fp_ieee_div_zero 0
		.amdhsa_exception_fp_ieee_overflow 0
		.amdhsa_exception_fp_ieee_underflow 0
		.amdhsa_exception_fp_ieee_inexact 0
		.amdhsa_exception_int_div_zero 0
	.end_amdhsa_kernel
	.section	.text._ZL37rocblas_syrkx_herkx_restricted_kernelIidLi16ELi32ELi8ELi1ELi1ELb0ELc78ELc85EKPKdKPdEviT_PT9_S5_lS7_S5_lPT10_S5_li,"axG",@progbits,_ZL37rocblas_syrkx_herkx_restricted_kernelIidLi16ELi32ELi8ELi1ELi1ELb0ELc78ELc85EKPKdKPdEviT_PT9_S5_lS7_S5_lPT10_S5_li,comdat
.Lfunc_end546:
	.size	_ZL37rocblas_syrkx_herkx_restricted_kernelIidLi16ELi32ELi8ELi1ELi1ELb0ELc78ELc85EKPKdKPdEviT_PT9_S5_lS7_S5_lPT10_S5_li, .Lfunc_end546-_ZL37rocblas_syrkx_herkx_restricted_kernelIidLi16ELi32ELi8ELi1ELi1ELb0ELc78ELc85EKPKdKPdEviT_PT9_S5_lS7_S5_lPT10_S5_li
                                        ; -- End function
	.set _ZL37rocblas_syrkx_herkx_restricted_kernelIidLi16ELi32ELi8ELi1ELi1ELb0ELc78ELc85EKPKdKPdEviT_PT9_S5_lS7_S5_lPT10_S5_li.num_vgpr, 38
	.set _ZL37rocblas_syrkx_herkx_restricted_kernelIidLi16ELi32ELi8ELi1ELi1ELb0ELc78ELc85EKPKdKPdEviT_PT9_S5_lS7_S5_lPT10_S5_li.num_agpr, 0
	.set _ZL37rocblas_syrkx_herkx_restricted_kernelIidLi16ELi32ELi8ELi1ELi1ELb0ELc78ELc85EKPKdKPdEviT_PT9_S5_lS7_S5_lPT10_S5_li.numbered_sgpr, 20
	.set _ZL37rocblas_syrkx_herkx_restricted_kernelIidLi16ELi32ELi8ELi1ELi1ELb0ELc78ELc85EKPKdKPdEviT_PT9_S5_lS7_S5_lPT10_S5_li.num_named_barrier, 0
	.set _ZL37rocblas_syrkx_herkx_restricted_kernelIidLi16ELi32ELi8ELi1ELi1ELb0ELc78ELc85EKPKdKPdEviT_PT9_S5_lS7_S5_lPT10_S5_li.private_seg_size, 0
	.set _ZL37rocblas_syrkx_herkx_restricted_kernelIidLi16ELi32ELi8ELi1ELi1ELb0ELc78ELc85EKPKdKPdEviT_PT9_S5_lS7_S5_lPT10_S5_li.uses_vcc, 1
	.set _ZL37rocblas_syrkx_herkx_restricted_kernelIidLi16ELi32ELi8ELi1ELi1ELb0ELc78ELc85EKPKdKPdEviT_PT9_S5_lS7_S5_lPT10_S5_li.uses_flat_scratch, 0
	.set _ZL37rocblas_syrkx_herkx_restricted_kernelIidLi16ELi32ELi8ELi1ELi1ELb0ELc78ELc85EKPKdKPdEviT_PT9_S5_lS7_S5_lPT10_S5_li.has_dyn_sized_stack, 0
	.set _ZL37rocblas_syrkx_herkx_restricted_kernelIidLi16ELi32ELi8ELi1ELi1ELb0ELc78ELc85EKPKdKPdEviT_PT9_S5_lS7_S5_lPT10_S5_li.has_recursion, 0
	.set _ZL37rocblas_syrkx_herkx_restricted_kernelIidLi16ELi32ELi8ELi1ELi1ELb0ELc78ELc85EKPKdKPdEviT_PT9_S5_lS7_S5_lPT10_S5_li.has_indirect_call, 0
	.section	.AMDGPU.csdata,"",@progbits
; Kernel info:
; codeLenInByte = 1288
; TotalNumSgprs: 24
; NumVgprs: 38
; ScratchSize: 0
; MemoryBound: 0
; FloatMode: 240
; IeeeMode: 1
; LDSByteSize: 4096 bytes/workgroup (compile time only)
; SGPRBlocks: 2
; VGPRBlocks: 9
; NumSGPRsForWavesPerEU: 24
; NumVGPRsForWavesPerEU: 38
; Occupancy: 6
; WaveLimiterHint : 1
; COMPUTE_PGM_RSRC2:SCRATCH_EN: 0
; COMPUTE_PGM_RSRC2:USER_SGPR: 6
; COMPUTE_PGM_RSRC2:TRAP_HANDLER: 0
; COMPUTE_PGM_RSRC2:TGID_X_EN: 1
; COMPUTE_PGM_RSRC2:TGID_Y_EN: 1
; COMPUTE_PGM_RSRC2:TGID_Z_EN: 1
; COMPUTE_PGM_RSRC2:TIDIG_COMP_CNT: 1
	.section	.text._ZL37rocblas_syrkx_herkx_restricted_kernelIidLi16ELi32ELi8ELi1ELin1ELb0ELc84ELc76EKPKdKPdEviT_PT9_S5_lS7_S5_lPT10_S5_li,"axG",@progbits,_ZL37rocblas_syrkx_herkx_restricted_kernelIidLi16ELi32ELi8ELi1ELin1ELb0ELc84ELc76EKPKdKPdEviT_PT9_S5_lS7_S5_lPT10_S5_li,comdat
	.globl	_ZL37rocblas_syrkx_herkx_restricted_kernelIidLi16ELi32ELi8ELi1ELin1ELb0ELc84ELc76EKPKdKPdEviT_PT9_S5_lS7_S5_lPT10_S5_li ; -- Begin function _ZL37rocblas_syrkx_herkx_restricted_kernelIidLi16ELi32ELi8ELi1ELin1ELb0ELc84ELc76EKPKdKPdEviT_PT9_S5_lS7_S5_lPT10_S5_li
	.p2align	8
	.type	_ZL37rocblas_syrkx_herkx_restricted_kernelIidLi16ELi32ELi8ELi1ELin1ELb0ELc84ELc76EKPKdKPdEviT_PT9_S5_lS7_S5_lPT10_S5_li,@function
_ZL37rocblas_syrkx_herkx_restricted_kernelIidLi16ELi32ELi8ELi1ELin1ELb0ELc84ELc76EKPKdKPdEviT_PT9_S5_lS7_S5_lPT10_S5_li: ; @_ZL37rocblas_syrkx_herkx_restricted_kernelIidLi16ELi32ELi8ELi1ELin1ELb0ELc84ELc76EKPKdKPdEviT_PT9_S5_lS7_S5_lPT10_S5_li
; %bb.0:
	s_load_dwordx2 s[2:3], s[4:5], 0x38
	s_load_dwordx2 s[12:13], s[4:5], 0x0
	s_mov_b32 s9, 0
	s_lshl_b64 s[0:1], s[8:9], 3
	s_waitcnt lgkmcnt(0)
	s_add_u32 s2, s2, s0
	s_addc_u32 s3, s3, s1
	s_load_dwordx2 s[10:11], s[2:3], 0x0
	s_lshl_b32 s2, s6, 5
	s_lshl_b32 s3, s7, 5
	s_cmp_lt_i32 s13, 1
	s_cbranch_scc1 .LBB547_3
; %bb.1:
	s_load_dwordx2 s[6:7], s[4:5], 0x8
	s_load_dword s8, s[4:5], 0x10
	s_load_dwordx2 s[14:15], s[4:5], 0x20
	s_load_dword s16, s[4:5], 0x28
	v_lshl_add_u32 v4, v1, 4, v0
	s_waitcnt lgkmcnt(0)
	s_add_u32 s6, s6, s0
	s_addc_u32 s7, s7, s1
	v_lshrrev_b32_e32 v8, 3, v4
	s_add_u32 s0, s14, s0
	v_add_u32_e32 v5, s3, v8
	v_and_b32_e32 v2, 7, v0
	v_mov_b32_e32 v3, 0
	s_addc_u32 s1, s15, s1
	v_mad_i64_i32 v[6:7], s[14:15], s16, v5, v[2:3]
	v_and_b32_e32 v9, 31, v4
	v_lshlrev_b32_e32 v2, 3, v2
	v_lshrrev_b32_e32 v4, 5, v4
	v_mov_b32_e32 v5, v3
	v_lshlrev_b32_e32 v3, 3, v9
	v_lshl_or_b32 v8, v8, 6, v2
	v_add_u32_e32 v2, s2, v9
	v_lshl_or_b32 v14, v4, 8, v3
	v_mad_i64_i32 v[2:3], s[14:15], s8, v2, v[4:5]
	s_load_dwordx2 s[6:7], s[6:7], 0x0
	v_add_u32_e32 v15, 0x800, v8
	s_load_dwordx2 s[0:1], s[0:1], 0x0
	v_lshlrev_b64 v[2:3], 3, v[2:3]
	v_mov_b32_e32 v17, 0x800
	s_waitcnt lgkmcnt(0)
	v_mov_b32_e32 v5, s7
	v_add_co_u32_e32 v4, vcc, s6, v2
	v_addc_co_u32_e32 v5, vcc, v5, v3, vcc
	v_lshlrev_b64 v[2:3], 3, v[6:7]
	v_mov_b32_e32 v7, s1
	v_add_co_u32_e32 v6, vcc, s0, v2
	v_addc_co_u32_e32 v7, vcc, v7, v3, vcc
	v_mov_b32_e32 v2, 0
	v_mov_b32_e32 v8, 0
	;; [unrolled: 1-line block ×4, first 2 shown]
	v_lshlrev_b32_e32 v16, 3, v0
	v_mov_b32_e32 v3, 0
	v_mov_b32_e32 v9, 0
	v_mov_b32_e32 v11, 0
	v_mov_b32_e32 v13, 0
	v_lshl_add_u32 v17, v1, 6, v17
.LBB547_2:                              ; =>This Inner Loop Header: Depth=1
	flat_load_dwordx2 v[18:19], v[4:5]
	v_add_co_u32_e32 v4, vcc, 64, v4
	v_addc_co_u32_e32 v5, vcc, 0, v5, vcc
	s_add_i32 s9, s9, 8
	s_cmp_ge_i32 s9, s13
	s_waitcnt vmcnt(0) lgkmcnt(0)
	ds_write_b64 v14, v[18:19]
	flat_load_dwordx2 v[18:19], v[6:7]
	v_add_co_u32_e32 v6, vcc, 64, v6
	v_addc_co_u32_e32 v7, vcc, 0, v7, vcc
	s_waitcnt vmcnt(0) lgkmcnt(0)
	ds_write_b64 v15, v[18:19]
	s_waitcnt lgkmcnt(0)
	s_barrier
	ds_read2_b64 v[18:21], v16 offset1:16
	ds_read_b128 v[22:25], v17
	ds_read_b128 v[26:29], v17 offset:1024
	ds_read_b128 v[30:33], v17 offset:16
	s_waitcnt lgkmcnt(2)
	v_fma_f64 v[34:35], v[18:19], v[22:23], v[12:13]
	v_fma_f64 v[22:23], v[20:21], v[22:23], v[10:11]
	s_waitcnt lgkmcnt(1)
	v_fma_f64 v[8:9], v[18:19], v[26:27], v[8:9]
	v_fma_f64 v[2:3], v[20:21], v[26:27], v[2:3]
	ds_read2_b64 v[18:21], v16 offset0:32 offset1:48
	ds_read_b128 v[10:13], v17 offset:1040
	s_waitcnt lgkmcnt(1)
	v_fma_f64 v[26:27], v[18:19], v[24:25], v[34:35]
	v_fma_f64 v[34:35], v[20:21], v[24:25], v[22:23]
	;; [unrolled: 1-line block ×4, first 2 shown]
	ds_read2_b64 v[18:21], v16 offset0:64 offset1:80
	ds_read2_b64 v[22:25], v16 offset0:96 offset1:112
	s_waitcnt lgkmcnt(1)
	v_fma_f64 v[26:27], v[18:19], v[30:31], v[26:27]
	v_fma_f64 v[28:29], v[20:21], v[30:31], v[34:35]
	;; [unrolled: 1-line block ×4, first 2 shown]
	ds_read2_b64 v[8:11], v16 offset0:128 offset1:144
	ds_read_b128 v[18:21], v17 offset:32
	s_waitcnt lgkmcnt(2)
	v_fma_f64 v[34:35], v[22:23], v[32:33], v[26:27]
	v_fma_f64 v[32:33], v[24:25], v[32:33], v[28:29]
	;; [unrolled: 1-line block ×4, first 2 shown]
	ds_read_b128 v[22:25], v17 offset:1056
	ds_read_b128 v[26:29], v17 offset:48
	s_waitcnt lgkmcnt(2)
	v_fma_f64 v[12:13], v[8:9], v[18:19], v[34:35]
	v_fma_f64 v[18:19], v[10:11], v[18:19], v[32:33]
	s_waitcnt lgkmcnt(1)
	v_fma_f64 v[34:35], v[8:9], v[22:23], v[36:37]
	v_fma_f64 v[2:3], v[10:11], v[22:23], v[2:3]
	ds_read2_b64 v[8:11], v16 offset0:160 offset1:176
	ds_read_b128 v[30:33], v17 offset:1072
	s_waitcnt lgkmcnt(1)
	v_fma_f64 v[12:13], v[8:9], v[20:21], v[12:13]
	v_fma_f64 v[18:19], v[10:11], v[20:21], v[18:19]
	;; [unrolled: 1-line block ×4, first 2 shown]
	ds_read2_b64 v[8:11], v16 offset0:192 offset1:208
	s_waitcnt lgkmcnt(0)
	v_fma_f64 v[12:13], v[8:9], v[26:27], v[12:13]
	v_fma_f64 v[22:23], v[10:11], v[26:27], v[18:19]
	;; [unrolled: 1-line block ×4, first 2 shown]
	ds_read2_b64 v[18:21], v16 offset0:224 offset1:240
	s_waitcnt lgkmcnt(0)
	s_barrier
	v_fma_f64 v[12:13], v[18:19], v[28:29], v[12:13]
	v_fma_f64 v[10:11], v[20:21], v[28:29], v[22:23]
	;; [unrolled: 1-line block ×4, first 2 shown]
	s_cbranch_scc0 .LBB547_2
	s_branch .LBB547_4
.LBB547_3:
	v_mov_b32_e32 v12, 0
	v_mov_b32_e32 v10, 0
	;; [unrolled: 1-line block ×8, first 2 shown]
.LBB547_4:
	s_load_dword s6, s[4:5], 0x40
	v_add_u32_e32 v6, s3, v1
	s_waitcnt lgkmcnt(0)
	v_mov_b32_e32 v1, s11
	v_add_u32_e32 v0, s2, v0
	v_mad_i64_i32 v[4:5], s[0:1], v6, s6, 0
	v_cmp_le_i32_e64 s[0:1], v6, v0
	v_lshlrev_b64 v[4:5], 3, v[4:5]
	v_add_co_u32_e32 v7, vcc, s10, v4
	v_addc_co_u32_e32 v14, vcc, v1, v5, vcc
	v_cmp_gt_i32_e32 vcc, s12, v0
	s_and_b64 s[0:1], s[0:1], vcc
	s_and_saveexec_b64 s[2:3], s[0:1]
	s_cbranch_execz .LBB547_6
; %bb.5:
	v_ashrrev_i32_e32 v1, 31, v0
	v_lshlrev_b64 v[4:5], 3, v[0:1]
	v_add_co_u32_e64 v4, s[0:1], v7, v4
	v_addc_co_u32_e64 v5, s[0:1], v14, v5, s[0:1]
	flat_load_dwordx2 v[15:16], v[4:5]
	s_waitcnt vmcnt(0) lgkmcnt(0)
	v_add_f64 v[12:13], v[12:13], -v[15:16]
	flat_store_dwordx2 v[4:5], v[12:13]
.LBB547_6:
	s_or_b64 exec, exec, s[2:3]
	v_add_u32_e32 v4, 16, v0
	v_cmp_le_i32_e64 s[2:3], v6, v4
	v_cmp_gt_i32_e64 s[0:1], s12, v4
	s_and_b64 s[2:3], s[2:3], s[0:1]
	s_and_saveexec_b64 s[4:5], s[2:3]
	s_cbranch_execz .LBB547_8
; %bb.7:
	v_ashrrev_i32_e32 v5, 31, v4
	v_lshlrev_b64 v[12:13], 3, v[4:5]
	v_add_co_u32_e64 v12, s[2:3], v7, v12
	v_addc_co_u32_e64 v13, s[2:3], v14, v13, s[2:3]
	flat_load_dwordx2 v[14:15], v[12:13]
	s_waitcnt vmcnt(0) lgkmcnt(0)
	v_add_f64 v[10:11], v[10:11], -v[14:15]
	flat_store_dwordx2 v[12:13], v[10:11]
.LBB547_8:
	s_or_b64 exec, exec, s[4:5]
	v_add_u32_e32 v5, 16, v6
	v_mad_i64_i32 v[6:7], s[2:3], v5, s6, 0
	v_mov_b32_e32 v1, s11
	v_lshlrev_b64 v[6:7], 3, v[6:7]
	v_add_co_u32_e64 v6, s[2:3], s10, v6
	v_addc_co_u32_e64 v7, s[2:3], v1, v7, s[2:3]
	v_cmp_le_i32_e64 s[2:3], v5, v0
	s_and_b64 s[4:5], s[2:3], vcc
	s_and_saveexec_b64 s[2:3], s[4:5]
	s_cbranch_execz .LBB547_10
; %bb.9:
	v_ashrrev_i32_e32 v1, 31, v0
	v_lshlrev_b64 v[0:1], 3, v[0:1]
	v_add_co_u32_e32 v0, vcc, v6, v0
	v_addc_co_u32_e32 v1, vcc, v7, v1, vcc
	flat_load_dwordx2 v[10:11], v[0:1]
	s_waitcnt vmcnt(0) lgkmcnt(0)
	v_add_f64 v[8:9], v[8:9], -v[10:11]
	flat_store_dwordx2 v[0:1], v[8:9]
.LBB547_10:
	s_or_b64 exec, exec, s[2:3]
	v_cmp_le_i32_e32 vcc, v5, v4
	s_and_b64 s[0:1], vcc, s[0:1]
	s_and_saveexec_b64 s[2:3], s[0:1]
	s_cbranch_execz .LBB547_12
; %bb.11:
	v_ashrrev_i32_e32 v5, 31, v4
	v_lshlrev_b64 v[0:1], 3, v[4:5]
	v_add_co_u32_e32 v0, vcc, v6, v0
	v_addc_co_u32_e32 v1, vcc, v7, v1, vcc
	flat_load_dwordx2 v[4:5], v[0:1]
	s_waitcnt vmcnt(0) lgkmcnt(0)
	v_add_f64 v[2:3], v[2:3], -v[4:5]
	flat_store_dwordx2 v[0:1], v[2:3]
.LBB547_12:
	s_endpgm
	.section	.rodata,"a",@progbits
	.p2align	6, 0x0
	.amdhsa_kernel _ZL37rocblas_syrkx_herkx_restricted_kernelIidLi16ELi32ELi8ELi1ELin1ELb0ELc84ELc76EKPKdKPdEviT_PT9_S5_lS7_S5_lPT10_S5_li
		.amdhsa_group_segment_fixed_size 4096
		.amdhsa_private_segment_fixed_size 0
		.amdhsa_kernarg_size 84
		.amdhsa_user_sgpr_count 6
		.amdhsa_user_sgpr_private_segment_buffer 1
		.amdhsa_user_sgpr_dispatch_ptr 0
		.amdhsa_user_sgpr_queue_ptr 0
		.amdhsa_user_sgpr_kernarg_segment_ptr 1
		.amdhsa_user_sgpr_dispatch_id 0
		.amdhsa_user_sgpr_flat_scratch_init 0
		.amdhsa_user_sgpr_private_segment_size 0
		.amdhsa_uses_dynamic_stack 0
		.amdhsa_system_sgpr_private_segment_wavefront_offset 0
		.amdhsa_system_sgpr_workgroup_id_x 1
		.amdhsa_system_sgpr_workgroup_id_y 1
		.amdhsa_system_sgpr_workgroup_id_z 1
		.amdhsa_system_sgpr_workgroup_info 0
		.amdhsa_system_vgpr_workitem_id 1
		.amdhsa_next_free_vgpr 38
		.amdhsa_next_free_sgpr 17
		.amdhsa_reserve_vcc 1
		.amdhsa_reserve_flat_scratch 0
		.amdhsa_float_round_mode_32 0
		.amdhsa_float_round_mode_16_64 0
		.amdhsa_float_denorm_mode_32 3
		.amdhsa_float_denorm_mode_16_64 3
		.amdhsa_dx10_clamp 1
		.amdhsa_ieee_mode 1
		.amdhsa_fp16_overflow 0
		.amdhsa_exception_fp_ieee_invalid_op 0
		.amdhsa_exception_fp_denorm_src 0
		.amdhsa_exception_fp_ieee_div_zero 0
		.amdhsa_exception_fp_ieee_overflow 0
		.amdhsa_exception_fp_ieee_underflow 0
		.amdhsa_exception_fp_ieee_inexact 0
		.amdhsa_exception_int_div_zero 0
	.end_amdhsa_kernel
	.section	.text._ZL37rocblas_syrkx_herkx_restricted_kernelIidLi16ELi32ELi8ELi1ELin1ELb0ELc84ELc76EKPKdKPdEviT_PT9_S5_lS7_S5_lPT10_S5_li,"axG",@progbits,_ZL37rocblas_syrkx_herkx_restricted_kernelIidLi16ELi32ELi8ELi1ELin1ELb0ELc84ELc76EKPKdKPdEviT_PT9_S5_lS7_S5_lPT10_S5_li,comdat
.Lfunc_end547:
	.size	_ZL37rocblas_syrkx_herkx_restricted_kernelIidLi16ELi32ELi8ELi1ELin1ELb0ELc84ELc76EKPKdKPdEviT_PT9_S5_lS7_S5_lPT10_S5_li, .Lfunc_end547-_ZL37rocblas_syrkx_herkx_restricted_kernelIidLi16ELi32ELi8ELi1ELin1ELb0ELc84ELc76EKPKdKPdEviT_PT9_S5_lS7_S5_lPT10_S5_li
                                        ; -- End function
	.set _ZL37rocblas_syrkx_herkx_restricted_kernelIidLi16ELi32ELi8ELi1ELin1ELb0ELc84ELc76EKPKdKPdEviT_PT9_S5_lS7_S5_lPT10_S5_li.num_vgpr, 38
	.set _ZL37rocblas_syrkx_herkx_restricted_kernelIidLi16ELi32ELi8ELi1ELin1ELb0ELc84ELc76EKPKdKPdEviT_PT9_S5_lS7_S5_lPT10_S5_li.num_agpr, 0
	.set _ZL37rocblas_syrkx_herkx_restricted_kernelIidLi16ELi32ELi8ELi1ELin1ELb0ELc84ELc76EKPKdKPdEviT_PT9_S5_lS7_S5_lPT10_S5_li.numbered_sgpr, 17
	.set _ZL37rocblas_syrkx_herkx_restricted_kernelIidLi16ELi32ELi8ELi1ELin1ELb0ELc84ELc76EKPKdKPdEviT_PT9_S5_lS7_S5_lPT10_S5_li.num_named_barrier, 0
	.set _ZL37rocblas_syrkx_herkx_restricted_kernelIidLi16ELi32ELi8ELi1ELin1ELb0ELc84ELc76EKPKdKPdEviT_PT9_S5_lS7_S5_lPT10_S5_li.private_seg_size, 0
	.set _ZL37rocblas_syrkx_herkx_restricted_kernelIidLi16ELi32ELi8ELi1ELin1ELb0ELc84ELc76EKPKdKPdEviT_PT9_S5_lS7_S5_lPT10_S5_li.uses_vcc, 1
	.set _ZL37rocblas_syrkx_herkx_restricted_kernelIidLi16ELi32ELi8ELi1ELin1ELb0ELc84ELc76EKPKdKPdEviT_PT9_S5_lS7_S5_lPT10_S5_li.uses_flat_scratch, 0
	.set _ZL37rocblas_syrkx_herkx_restricted_kernelIidLi16ELi32ELi8ELi1ELin1ELb0ELc84ELc76EKPKdKPdEviT_PT9_S5_lS7_S5_lPT10_S5_li.has_dyn_sized_stack, 0
	.set _ZL37rocblas_syrkx_herkx_restricted_kernelIidLi16ELi32ELi8ELi1ELin1ELb0ELc84ELc76EKPKdKPdEviT_PT9_S5_lS7_S5_lPT10_S5_li.has_recursion, 0
	.set _ZL37rocblas_syrkx_herkx_restricted_kernelIidLi16ELi32ELi8ELi1ELin1ELb0ELc84ELc76EKPKdKPdEviT_PT9_S5_lS7_S5_lPT10_S5_li.has_indirect_call, 0
	.section	.AMDGPU.csdata,"",@progbits
; Kernel info:
; codeLenInByte = 1256
; TotalNumSgprs: 21
; NumVgprs: 38
; ScratchSize: 0
; MemoryBound: 0
; FloatMode: 240
; IeeeMode: 1
; LDSByteSize: 4096 bytes/workgroup (compile time only)
; SGPRBlocks: 2
; VGPRBlocks: 9
; NumSGPRsForWavesPerEU: 21
; NumVGPRsForWavesPerEU: 38
; Occupancy: 6
; WaveLimiterHint : 1
; COMPUTE_PGM_RSRC2:SCRATCH_EN: 0
; COMPUTE_PGM_RSRC2:USER_SGPR: 6
; COMPUTE_PGM_RSRC2:TRAP_HANDLER: 0
; COMPUTE_PGM_RSRC2:TGID_X_EN: 1
; COMPUTE_PGM_RSRC2:TGID_Y_EN: 1
; COMPUTE_PGM_RSRC2:TGID_Z_EN: 1
; COMPUTE_PGM_RSRC2:TIDIG_COMP_CNT: 1
	.section	.text._ZL37rocblas_syrkx_herkx_restricted_kernelIidLi16ELi32ELi8ELi1ELin1ELb0ELc67ELc76EKPKdKPdEviT_PT9_S5_lS7_S5_lPT10_S5_li,"axG",@progbits,_ZL37rocblas_syrkx_herkx_restricted_kernelIidLi16ELi32ELi8ELi1ELin1ELb0ELc67ELc76EKPKdKPdEviT_PT9_S5_lS7_S5_lPT10_S5_li,comdat
	.globl	_ZL37rocblas_syrkx_herkx_restricted_kernelIidLi16ELi32ELi8ELi1ELin1ELb0ELc67ELc76EKPKdKPdEviT_PT9_S5_lS7_S5_lPT10_S5_li ; -- Begin function _ZL37rocblas_syrkx_herkx_restricted_kernelIidLi16ELi32ELi8ELi1ELin1ELb0ELc67ELc76EKPKdKPdEviT_PT9_S5_lS7_S5_lPT10_S5_li
	.p2align	8
	.type	_ZL37rocblas_syrkx_herkx_restricted_kernelIidLi16ELi32ELi8ELi1ELin1ELb0ELc67ELc76EKPKdKPdEviT_PT9_S5_lS7_S5_lPT10_S5_li,@function
_ZL37rocblas_syrkx_herkx_restricted_kernelIidLi16ELi32ELi8ELi1ELin1ELb0ELc67ELc76EKPKdKPdEviT_PT9_S5_lS7_S5_lPT10_S5_li: ; @_ZL37rocblas_syrkx_herkx_restricted_kernelIidLi16ELi32ELi8ELi1ELin1ELb0ELc67ELc76EKPKdKPdEviT_PT9_S5_lS7_S5_lPT10_S5_li
; %bb.0:
	s_load_dwordx2 s[2:3], s[4:5], 0x38
	s_load_dwordx2 s[12:13], s[4:5], 0x0
	s_mov_b32 s9, 0
	s_lshl_b64 s[0:1], s[8:9], 3
	s_waitcnt lgkmcnt(0)
	s_add_u32 s2, s2, s0
	s_addc_u32 s3, s3, s1
	s_load_dwordx2 s[10:11], s[2:3], 0x0
	s_lshl_b32 s2, s6, 5
	s_lshl_b32 s3, s7, 5
	s_cmp_lt_i32 s13, 1
	s_cbranch_scc1 .LBB548_3
; %bb.1:
	s_load_dwordx2 s[6:7], s[4:5], 0x8
	s_load_dword s8, s[4:5], 0x10
	s_load_dwordx2 s[14:15], s[4:5], 0x20
	s_load_dword s16, s[4:5], 0x28
	v_lshl_add_u32 v4, v1, 4, v0
	s_waitcnt lgkmcnt(0)
	s_add_u32 s6, s6, s0
	s_addc_u32 s7, s7, s1
	v_lshrrev_b32_e32 v8, 3, v4
	s_add_u32 s0, s14, s0
	v_add_u32_e32 v5, s3, v8
	v_and_b32_e32 v2, 7, v0
	v_mov_b32_e32 v3, 0
	s_addc_u32 s1, s15, s1
	v_mad_i64_i32 v[6:7], s[14:15], s16, v5, v[2:3]
	v_and_b32_e32 v9, 31, v4
	v_lshlrev_b32_e32 v2, 3, v2
	v_lshrrev_b32_e32 v4, 5, v4
	v_mov_b32_e32 v5, v3
	v_lshlrev_b32_e32 v3, 3, v9
	v_lshl_or_b32 v8, v8, 6, v2
	v_add_u32_e32 v2, s2, v9
	v_lshl_or_b32 v14, v4, 8, v3
	v_mad_i64_i32 v[2:3], s[14:15], s8, v2, v[4:5]
	s_load_dwordx2 s[6:7], s[6:7], 0x0
	v_add_u32_e32 v15, 0x800, v8
	s_load_dwordx2 s[0:1], s[0:1], 0x0
	v_lshlrev_b64 v[2:3], 3, v[2:3]
	v_mov_b32_e32 v17, 0x800
	s_waitcnt lgkmcnt(0)
	v_mov_b32_e32 v5, s7
	v_add_co_u32_e32 v4, vcc, s6, v2
	v_addc_co_u32_e32 v5, vcc, v5, v3, vcc
	v_lshlrev_b64 v[2:3], 3, v[6:7]
	v_mov_b32_e32 v7, s1
	v_add_co_u32_e32 v6, vcc, s0, v2
	v_addc_co_u32_e32 v7, vcc, v7, v3, vcc
	v_mov_b32_e32 v2, 0
	v_mov_b32_e32 v8, 0
	;; [unrolled: 1-line block ×4, first 2 shown]
	v_lshlrev_b32_e32 v16, 3, v0
	v_mov_b32_e32 v3, 0
	v_mov_b32_e32 v9, 0
	;; [unrolled: 1-line block ×4, first 2 shown]
	v_lshl_add_u32 v17, v1, 6, v17
.LBB548_2:                              ; =>This Inner Loop Header: Depth=1
	flat_load_dwordx2 v[18:19], v[4:5]
	v_add_co_u32_e32 v4, vcc, 64, v4
	v_addc_co_u32_e32 v5, vcc, 0, v5, vcc
	s_add_i32 s9, s9, 8
	s_cmp_ge_i32 s9, s13
	s_waitcnt vmcnt(0) lgkmcnt(0)
	ds_write_b64 v14, v[18:19]
	flat_load_dwordx2 v[18:19], v[6:7]
	v_add_co_u32_e32 v6, vcc, 64, v6
	v_addc_co_u32_e32 v7, vcc, 0, v7, vcc
	s_waitcnt vmcnt(0) lgkmcnt(0)
	ds_write_b64 v15, v[18:19]
	s_waitcnt lgkmcnt(0)
	s_barrier
	ds_read2_b64 v[18:21], v16 offset1:16
	ds_read_b128 v[22:25], v17
	ds_read_b128 v[26:29], v17 offset:1024
	ds_read_b128 v[30:33], v17 offset:16
	s_waitcnt lgkmcnt(2)
	v_fma_f64 v[34:35], v[18:19], v[22:23], v[12:13]
	v_fma_f64 v[22:23], v[20:21], v[22:23], v[10:11]
	s_waitcnt lgkmcnt(1)
	v_fma_f64 v[8:9], v[18:19], v[26:27], v[8:9]
	v_fma_f64 v[2:3], v[20:21], v[26:27], v[2:3]
	ds_read2_b64 v[18:21], v16 offset0:32 offset1:48
	ds_read_b128 v[10:13], v17 offset:1040
	s_waitcnt lgkmcnt(1)
	v_fma_f64 v[26:27], v[18:19], v[24:25], v[34:35]
	v_fma_f64 v[34:35], v[20:21], v[24:25], v[22:23]
	;; [unrolled: 1-line block ×4, first 2 shown]
	ds_read2_b64 v[18:21], v16 offset0:64 offset1:80
	ds_read2_b64 v[22:25], v16 offset0:96 offset1:112
	s_waitcnt lgkmcnt(1)
	v_fma_f64 v[26:27], v[18:19], v[30:31], v[26:27]
	v_fma_f64 v[28:29], v[20:21], v[30:31], v[34:35]
	;; [unrolled: 1-line block ×4, first 2 shown]
	ds_read2_b64 v[8:11], v16 offset0:128 offset1:144
	ds_read_b128 v[18:21], v17 offset:32
	s_waitcnt lgkmcnt(2)
	v_fma_f64 v[34:35], v[22:23], v[32:33], v[26:27]
	v_fma_f64 v[32:33], v[24:25], v[32:33], v[28:29]
	;; [unrolled: 1-line block ×4, first 2 shown]
	ds_read_b128 v[22:25], v17 offset:1056
	ds_read_b128 v[26:29], v17 offset:48
	s_waitcnt lgkmcnt(2)
	v_fma_f64 v[12:13], v[8:9], v[18:19], v[34:35]
	v_fma_f64 v[18:19], v[10:11], v[18:19], v[32:33]
	s_waitcnt lgkmcnt(1)
	v_fma_f64 v[34:35], v[8:9], v[22:23], v[36:37]
	v_fma_f64 v[2:3], v[10:11], v[22:23], v[2:3]
	ds_read2_b64 v[8:11], v16 offset0:160 offset1:176
	ds_read_b128 v[30:33], v17 offset:1072
	s_waitcnt lgkmcnt(1)
	v_fma_f64 v[12:13], v[8:9], v[20:21], v[12:13]
	v_fma_f64 v[18:19], v[10:11], v[20:21], v[18:19]
	;; [unrolled: 1-line block ×4, first 2 shown]
	ds_read2_b64 v[8:11], v16 offset0:192 offset1:208
	s_waitcnt lgkmcnt(0)
	v_fma_f64 v[12:13], v[8:9], v[26:27], v[12:13]
	v_fma_f64 v[22:23], v[10:11], v[26:27], v[18:19]
	v_fma_f64 v[8:9], v[8:9], v[30:31], v[20:21]
	v_fma_f64 v[2:3], v[10:11], v[30:31], v[2:3]
	ds_read2_b64 v[18:21], v16 offset0:224 offset1:240
	s_waitcnt lgkmcnt(0)
	s_barrier
	v_fma_f64 v[12:13], v[18:19], v[28:29], v[12:13]
	v_fma_f64 v[10:11], v[20:21], v[28:29], v[22:23]
	;; [unrolled: 1-line block ×4, first 2 shown]
	s_cbranch_scc0 .LBB548_2
	s_branch .LBB548_4
.LBB548_3:
	v_mov_b32_e32 v12, 0
	v_mov_b32_e32 v10, 0
	;; [unrolled: 1-line block ×8, first 2 shown]
.LBB548_4:
	s_load_dword s6, s[4:5], 0x40
	v_add_u32_e32 v6, s3, v1
	s_waitcnt lgkmcnt(0)
	v_mov_b32_e32 v1, s11
	v_add_u32_e32 v0, s2, v0
	v_mad_i64_i32 v[4:5], s[0:1], v6, s6, 0
	v_cmp_le_i32_e64 s[0:1], v6, v0
	v_lshlrev_b64 v[4:5], 3, v[4:5]
	v_add_co_u32_e32 v7, vcc, s10, v4
	v_addc_co_u32_e32 v14, vcc, v1, v5, vcc
	v_cmp_gt_i32_e32 vcc, s12, v0
	s_and_b64 s[0:1], s[0:1], vcc
	s_and_saveexec_b64 s[2:3], s[0:1]
	s_cbranch_execz .LBB548_6
; %bb.5:
	v_ashrrev_i32_e32 v1, 31, v0
	v_lshlrev_b64 v[4:5], 3, v[0:1]
	v_add_co_u32_e64 v4, s[0:1], v7, v4
	v_addc_co_u32_e64 v5, s[0:1], v14, v5, s[0:1]
	flat_load_dwordx2 v[15:16], v[4:5]
	s_waitcnt vmcnt(0) lgkmcnt(0)
	v_add_f64 v[12:13], v[12:13], -v[15:16]
	flat_store_dwordx2 v[4:5], v[12:13]
.LBB548_6:
	s_or_b64 exec, exec, s[2:3]
	v_add_u32_e32 v4, 16, v0
	v_cmp_le_i32_e64 s[2:3], v6, v4
	v_cmp_gt_i32_e64 s[0:1], s12, v4
	s_and_b64 s[2:3], s[2:3], s[0:1]
	s_and_saveexec_b64 s[4:5], s[2:3]
	s_cbranch_execz .LBB548_8
; %bb.7:
	v_ashrrev_i32_e32 v5, 31, v4
	v_lshlrev_b64 v[12:13], 3, v[4:5]
	v_add_co_u32_e64 v12, s[2:3], v7, v12
	v_addc_co_u32_e64 v13, s[2:3], v14, v13, s[2:3]
	flat_load_dwordx2 v[14:15], v[12:13]
	s_waitcnt vmcnt(0) lgkmcnt(0)
	v_add_f64 v[10:11], v[10:11], -v[14:15]
	flat_store_dwordx2 v[12:13], v[10:11]
.LBB548_8:
	s_or_b64 exec, exec, s[4:5]
	v_add_u32_e32 v5, 16, v6
	v_mad_i64_i32 v[6:7], s[2:3], v5, s6, 0
	v_mov_b32_e32 v1, s11
	v_lshlrev_b64 v[6:7], 3, v[6:7]
	v_add_co_u32_e64 v6, s[2:3], s10, v6
	v_addc_co_u32_e64 v7, s[2:3], v1, v7, s[2:3]
	v_cmp_le_i32_e64 s[2:3], v5, v0
	s_and_b64 s[4:5], s[2:3], vcc
	s_and_saveexec_b64 s[2:3], s[4:5]
	s_cbranch_execz .LBB548_10
; %bb.9:
	v_ashrrev_i32_e32 v1, 31, v0
	v_lshlrev_b64 v[0:1], 3, v[0:1]
	v_add_co_u32_e32 v0, vcc, v6, v0
	v_addc_co_u32_e32 v1, vcc, v7, v1, vcc
	flat_load_dwordx2 v[10:11], v[0:1]
	s_waitcnt vmcnt(0) lgkmcnt(0)
	v_add_f64 v[8:9], v[8:9], -v[10:11]
	flat_store_dwordx2 v[0:1], v[8:9]
.LBB548_10:
	s_or_b64 exec, exec, s[2:3]
	v_cmp_le_i32_e32 vcc, v5, v4
	s_and_b64 s[0:1], vcc, s[0:1]
	s_and_saveexec_b64 s[2:3], s[0:1]
	s_cbranch_execz .LBB548_12
; %bb.11:
	v_ashrrev_i32_e32 v5, 31, v4
	v_lshlrev_b64 v[0:1], 3, v[4:5]
	v_add_co_u32_e32 v0, vcc, v6, v0
	v_addc_co_u32_e32 v1, vcc, v7, v1, vcc
	flat_load_dwordx2 v[4:5], v[0:1]
	s_waitcnt vmcnt(0) lgkmcnt(0)
	v_add_f64 v[2:3], v[2:3], -v[4:5]
	flat_store_dwordx2 v[0:1], v[2:3]
.LBB548_12:
	s_endpgm
	.section	.rodata,"a",@progbits
	.p2align	6, 0x0
	.amdhsa_kernel _ZL37rocblas_syrkx_herkx_restricted_kernelIidLi16ELi32ELi8ELi1ELin1ELb0ELc67ELc76EKPKdKPdEviT_PT9_S5_lS7_S5_lPT10_S5_li
		.amdhsa_group_segment_fixed_size 4096
		.amdhsa_private_segment_fixed_size 0
		.amdhsa_kernarg_size 84
		.amdhsa_user_sgpr_count 6
		.amdhsa_user_sgpr_private_segment_buffer 1
		.amdhsa_user_sgpr_dispatch_ptr 0
		.amdhsa_user_sgpr_queue_ptr 0
		.amdhsa_user_sgpr_kernarg_segment_ptr 1
		.amdhsa_user_sgpr_dispatch_id 0
		.amdhsa_user_sgpr_flat_scratch_init 0
		.amdhsa_user_sgpr_private_segment_size 0
		.amdhsa_uses_dynamic_stack 0
		.amdhsa_system_sgpr_private_segment_wavefront_offset 0
		.amdhsa_system_sgpr_workgroup_id_x 1
		.amdhsa_system_sgpr_workgroup_id_y 1
		.amdhsa_system_sgpr_workgroup_id_z 1
		.amdhsa_system_sgpr_workgroup_info 0
		.amdhsa_system_vgpr_workitem_id 1
		.amdhsa_next_free_vgpr 38
		.amdhsa_next_free_sgpr 17
		.amdhsa_reserve_vcc 1
		.amdhsa_reserve_flat_scratch 0
		.amdhsa_float_round_mode_32 0
		.amdhsa_float_round_mode_16_64 0
		.amdhsa_float_denorm_mode_32 3
		.amdhsa_float_denorm_mode_16_64 3
		.amdhsa_dx10_clamp 1
		.amdhsa_ieee_mode 1
		.amdhsa_fp16_overflow 0
		.amdhsa_exception_fp_ieee_invalid_op 0
		.amdhsa_exception_fp_denorm_src 0
		.amdhsa_exception_fp_ieee_div_zero 0
		.amdhsa_exception_fp_ieee_overflow 0
		.amdhsa_exception_fp_ieee_underflow 0
		.amdhsa_exception_fp_ieee_inexact 0
		.amdhsa_exception_int_div_zero 0
	.end_amdhsa_kernel
	.section	.text._ZL37rocblas_syrkx_herkx_restricted_kernelIidLi16ELi32ELi8ELi1ELin1ELb0ELc67ELc76EKPKdKPdEviT_PT9_S5_lS7_S5_lPT10_S5_li,"axG",@progbits,_ZL37rocblas_syrkx_herkx_restricted_kernelIidLi16ELi32ELi8ELi1ELin1ELb0ELc67ELc76EKPKdKPdEviT_PT9_S5_lS7_S5_lPT10_S5_li,comdat
.Lfunc_end548:
	.size	_ZL37rocblas_syrkx_herkx_restricted_kernelIidLi16ELi32ELi8ELi1ELin1ELb0ELc67ELc76EKPKdKPdEviT_PT9_S5_lS7_S5_lPT10_S5_li, .Lfunc_end548-_ZL37rocblas_syrkx_herkx_restricted_kernelIidLi16ELi32ELi8ELi1ELin1ELb0ELc67ELc76EKPKdKPdEviT_PT9_S5_lS7_S5_lPT10_S5_li
                                        ; -- End function
	.set _ZL37rocblas_syrkx_herkx_restricted_kernelIidLi16ELi32ELi8ELi1ELin1ELb0ELc67ELc76EKPKdKPdEviT_PT9_S5_lS7_S5_lPT10_S5_li.num_vgpr, 38
	.set _ZL37rocblas_syrkx_herkx_restricted_kernelIidLi16ELi32ELi8ELi1ELin1ELb0ELc67ELc76EKPKdKPdEviT_PT9_S5_lS7_S5_lPT10_S5_li.num_agpr, 0
	.set _ZL37rocblas_syrkx_herkx_restricted_kernelIidLi16ELi32ELi8ELi1ELin1ELb0ELc67ELc76EKPKdKPdEviT_PT9_S5_lS7_S5_lPT10_S5_li.numbered_sgpr, 17
	.set _ZL37rocblas_syrkx_herkx_restricted_kernelIidLi16ELi32ELi8ELi1ELin1ELb0ELc67ELc76EKPKdKPdEviT_PT9_S5_lS7_S5_lPT10_S5_li.num_named_barrier, 0
	.set _ZL37rocblas_syrkx_herkx_restricted_kernelIidLi16ELi32ELi8ELi1ELin1ELb0ELc67ELc76EKPKdKPdEviT_PT9_S5_lS7_S5_lPT10_S5_li.private_seg_size, 0
	.set _ZL37rocblas_syrkx_herkx_restricted_kernelIidLi16ELi32ELi8ELi1ELin1ELb0ELc67ELc76EKPKdKPdEviT_PT9_S5_lS7_S5_lPT10_S5_li.uses_vcc, 1
	.set _ZL37rocblas_syrkx_herkx_restricted_kernelIidLi16ELi32ELi8ELi1ELin1ELb0ELc67ELc76EKPKdKPdEviT_PT9_S5_lS7_S5_lPT10_S5_li.uses_flat_scratch, 0
	.set _ZL37rocblas_syrkx_herkx_restricted_kernelIidLi16ELi32ELi8ELi1ELin1ELb0ELc67ELc76EKPKdKPdEviT_PT9_S5_lS7_S5_lPT10_S5_li.has_dyn_sized_stack, 0
	.set _ZL37rocblas_syrkx_herkx_restricted_kernelIidLi16ELi32ELi8ELi1ELin1ELb0ELc67ELc76EKPKdKPdEviT_PT9_S5_lS7_S5_lPT10_S5_li.has_recursion, 0
	.set _ZL37rocblas_syrkx_herkx_restricted_kernelIidLi16ELi32ELi8ELi1ELin1ELb0ELc67ELc76EKPKdKPdEviT_PT9_S5_lS7_S5_lPT10_S5_li.has_indirect_call, 0
	.section	.AMDGPU.csdata,"",@progbits
; Kernel info:
; codeLenInByte = 1256
; TotalNumSgprs: 21
; NumVgprs: 38
; ScratchSize: 0
; MemoryBound: 0
; FloatMode: 240
; IeeeMode: 1
; LDSByteSize: 4096 bytes/workgroup (compile time only)
; SGPRBlocks: 2
; VGPRBlocks: 9
; NumSGPRsForWavesPerEU: 21
; NumVGPRsForWavesPerEU: 38
; Occupancy: 6
; WaveLimiterHint : 1
; COMPUTE_PGM_RSRC2:SCRATCH_EN: 0
; COMPUTE_PGM_RSRC2:USER_SGPR: 6
; COMPUTE_PGM_RSRC2:TRAP_HANDLER: 0
; COMPUTE_PGM_RSRC2:TGID_X_EN: 1
; COMPUTE_PGM_RSRC2:TGID_Y_EN: 1
; COMPUTE_PGM_RSRC2:TGID_Z_EN: 1
; COMPUTE_PGM_RSRC2:TIDIG_COMP_CNT: 1
	.section	.text._ZL37rocblas_syrkx_herkx_restricted_kernelIidLi16ELi32ELi8ELi1ELin1ELb0ELc78ELc76EKPKdKPdEviT_PT9_S5_lS7_S5_lPT10_S5_li,"axG",@progbits,_ZL37rocblas_syrkx_herkx_restricted_kernelIidLi16ELi32ELi8ELi1ELin1ELb0ELc78ELc76EKPKdKPdEviT_PT9_S5_lS7_S5_lPT10_S5_li,comdat
	.globl	_ZL37rocblas_syrkx_herkx_restricted_kernelIidLi16ELi32ELi8ELi1ELin1ELb0ELc78ELc76EKPKdKPdEviT_PT9_S5_lS7_S5_lPT10_S5_li ; -- Begin function _ZL37rocblas_syrkx_herkx_restricted_kernelIidLi16ELi32ELi8ELi1ELin1ELb0ELc78ELc76EKPKdKPdEviT_PT9_S5_lS7_S5_lPT10_S5_li
	.p2align	8
	.type	_ZL37rocblas_syrkx_herkx_restricted_kernelIidLi16ELi32ELi8ELi1ELin1ELb0ELc78ELc76EKPKdKPdEviT_PT9_S5_lS7_S5_lPT10_S5_li,@function
_ZL37rocblas_syrkx_herkx_restricted_kernelIidLi16ELi32ELi8ELi1ELin1ELb0ELc78ELc76EKPKdKPdEviT_PT9_S5_lS7_S5_lPT10_S5_li: ; @_ZL37rocblas_syrkx_herkx_restricted_kernelIidLi16ELi32ELi8ELi1ELin1ELb0ELc78ELc76EKPKdKPdEviT_PT9_S5_lS7_S5_lPT10_S5_li
; %bb.0:
	s_load_dwordx2 s[2:3], s[4:5], 0x38
	s_load_dwordx2 s[12:13], s[4:5], 0x0
	s_mov_b32 s9, 0
	s_lshl_b64 s[0:1], s[8:9], 3
	s_waitcnt lgkmcnt(0)
	s_add_u32 s2, s2, s0
	s_addc_u32 s3, s3, s1
	s_load_dwordx2 s[10:11], s[2:3], 0x0
	s_lshl_b32 s6, s6, 5
	s_lshl_b32 s7, s7, 5
	s_cmp_lt_i32 s13, 1
	s_cbranch_scc1 .LBB549_3
; %bb.1:
	s_load_dword s2, s[4:5], 0x10
	s_load_dword s14, s[4:5], 0x28
	s_load_dwordx2 s[16:17], s[4:5], 0x20
	s_load_dwordx2 s[18:19], s[4:5], 0x8
	v_lshl_add_u32 v5, v1, 4, v0
	s_waitcnt lgkmcnt(0)
	s_ashr_i32 s3, s2, 31
	s_ashr_i32 s15, s14, 31
	v_lshrrev_b32_e32 v6, 3, v5
	s_add_u32 s18, s18, s0
	s_addc_u32 s19, s19, s1
	s_add_u32 s0, s16, s0
	v_add_u32_e32 v2, s7, v6
	s_addc_u32 s1, s17, s1
	v_and_b32_e32 v4, 7, v0
	v_ashrrev_i32_e32 v3, 31, v2
	s_load_dwordx2 s[16:17], s[0:1], 0x0
	v_mad_i64_i32 v[2:3], s[0:1], s14, v4, v[2:3]
	v_lshlrev_b32_e32 v4, 3, v4
	v_lshrrev_b32_e32 v7, 5, v5
	v_and_b32_e32 v5, 31, v5
	v_lshl_or_b32 v4, v6, 6, v4
	v_add_u32_e32 v15, 0x800, v4
	v_add_u32_e32 v4, s6, v5
	v_lshlrev_b32_e32 v8, 3, v5
	v_ashrrev_i32_e32 v5, 31, v4
	v_mad_i64_i32 v[4:5], s[0:1], s2, v7, v[4:5]
	s_load_dwordx2 s[18:19], s[18:19], 0x0
	v_mov_b32_e32 v6, 0x800
	v_lshlrev_b64 v[4:5], 3, v[4:5]
	v_lshl_add_u32 v17, v1, 6, v6
	v_lshlrev_b64 v[2:3], 3, v[2:3]
	s_waitcnt lgkmcnt(0)
	v_mov_b32_e32 v6, s19
	v_add_co_u32_e32 v4, vcc, s18, v4
	v_addc_co_u32_e32 v5, vcc, v6, v5, vcc
	v_lshl_or_b32 v14, v7, 8, v8
	v_mov_b32_e32 v7, s17
	v_add_co_u32_e32 v6, vcc, s16, v2
	s_lshl_b64 s[0:1], s[2:3], 6
	v_addc_co_u32_e32 v7, vcc, v7, v3, vcc
	s_lshl_b64 s[2:3], s[14:15], 6
	v_mov_b32_e32 v2, 0
	v_mov_b32_e32 v8, 0
	;; [unrolled: 1-line block ×4, first 2 shown]
	v_lshlrev_b32_e32 v16, 3, v0
	v_mov_b32_e32 v3, 0
	v_mov_b32_e32 v18, s1
	;; [unrolled: 1-line block ×6, first 2 shown]
.LBB549_2:                              ; =>This Inner Loop Header: Depth=1
	flat_load_dwordx2 v[20:21], v[4:5]
	v_add_co_u32_e32 v4, vcc, s0, v4
	v_addc_co_u32_e32 v5, vcc, v5, v18, vcc
	s_add_i32 s9, s9, 8
	s_cmp_ge_i32 s9, s13
	s_waitcnt vmcnt(0) lgkmcnt(0)
	ds_write_b64 v14, v[20:21]
	flat_load_dwordx2 v[20:21], v[6:7]
	v_add_co_u32_e32 v6, vcc, s2, v6
	v_addc_co_u32_e32 v7, vcc, v7, v19, vcc
	s_waitcnt vmcnt(0) lgkmcnt(0)
	ds_write_b64 v15, v[20:21]
	s_waitcnt lgkmcnt(0)
	s_barrier
	ds_read2_b64 v[20:23], v16 offset1:16
	ds_read_b128 v[24:27], v17
	ds_read_b128 v[28:31], v17 offset:16
	s_waitcnt lgkmcnt(1)
	v_fma_f64 v[36:37], v[20:21], v[24:25], v[12:13]
	v_fma_f64 v[24:25], v[22:23], v[24:25], v[10:11]
	ds_read_b128 v[10:13], v17 offset:1024
	ds_read_b128 v[32:35], v17 offset:1040
	s_waitcnt lgkmcnt(1)
	v_fma_f64 v[20:21], v[20:21], v[10:11], v[8:9]
	v_fma_f64 v[2:3], v[22:23], v[10:11], v[2:3]
	ds_read2_b64 v[8:11], v16 offset0:32 offset1:48
	s_waitcnt lgkmcnt(0)
	v_fma_f64 v[22:23], v[8:9], v[26:27], v[36:37]
	v_fma_f64 v[24:25], v[10:11], v[26:27], v[24:25]
	v_fma_f64 v[20:21], v[8:9], v[12:13], v[20:21]
	v_fma_f64 v[2:3], v[10:11], v[12:13], v[2:3]
	ds_read2_b64 v[8:11], v16 offset0:64 offset1:80
	s_waitcnt lgkmcnt(0)
	v_fma_f64 v[12:13], v[8:9], v[28:29], v[22:23]
	v_fma_f64 v[22:23], v[10:11], v[28:29], v[24:25]
	;; [unrolled: 6-line block ×3, first 2 shown]
	ds_read2_b64 v[20:23], v16 offset0:128 offset1:144
	v_fma_f64 v[36:37], v[8:9], v[34:35], v[24:25]
	v_fma_f64 v[2:3], v[10:11], v[34:35], v[2:3]
	ds_read_b128 v[8:11], v17 offset:32
	ds_read_b128 v[24:27], v17 offset:48
	s_waitcnt lgkmcnt(1)
	v_fma_f64 v[12:13], v[20:21], v[8:9], v[12:13]
	v_fma_f64 v[8:9], v[22:23], v[8:9], v[28:29]
	ds_read_b128 v[28:31], v17 offset:1056
	ds_read_b128 v[32:35], v17 offset:1072
	s_waitcnt lgkmcnt(1)
	v_fma_f64 v[36:37], v[20:21], v[28:29], v[36:37]
	v_fma_f64 v[2:3], v[22:23], v[28:29], v[2:3]
	ds_read2_b64 v[20:23], v16 offset0:160 offset1:176
	s_waitcnt lgkmcnt(0)
	v_fma_f64 v[12:13], v[20:21], v[10:11], v[12:13]
	v_fma_f64 v[28:29], v[22:23], v[10:11], v[8:9]
	;; [unrolled: 1-line block ×4, first 2 shown]
	ds_read2_b64 v[8:11], v16 offset0:192 offset1:208
	s_waitcnt lgkmcnt(0)
	v_fma_f64 v[12:13], v[8:9], v[24:25], v[12:13]
	v_fma_f64 v[24:25], v[10:11], v[24:25], v[28:29]
	;; [unrolled: 1-line block ×4, first 2 shown]
	ds_read2_b64 v[20:23], v16 offset0:224 offset1:240
	s_waitcnt lgkmcnt(0)
	s_barrier
	v_fma_f64 v[12:13], v[20:21], v[26:27], v[12:13]
	v_fma_f64 v[10:11], v[22:23], v[26:27], v[24:25]
	;; [unrolled: 1-line block ×4, first 2 shown]
	s_cbranch_scc0 .LBB549_2
	s_branch .LBB549_4
.LBB549_3:
	v_mov_b32_e32 v12, 0
	v_mov_b32_e32 v10, 0
	;; [unrolled: 1-line block ×8, first 2 shown]
.LBB549_4:
	s_load_dword s8, s[4:5], 0x40
	v_add_u32_e32 v6, s7, v1
	s_waitcnt lgkmcnt(0)
	v_mov_b32_e32 v1, s11
	v_add_u32_e32 v0, s6, v0
	v_mad_i64_i32 v[4:5], s[0:1], v6, s8, 0
	v_cmp_le_i32_e64 s[0:1], v6, v0
	v_lshlrev_b64 v[4:5], 3, v[4:5]
	v_add_co_u32_e32 v7, vcc, s10, v4
	v_addc_co_u32_e32 v14, vcc, v1, v5, vcc
	v_cmp_gt_i32_e32 vcc, s12, v0
	s_and_b64 s[0:1], s[0:1], vcc
	s_and_saveexec_b64 s[2:3], s[0:1]
	s_cbranch_execz .LBB549_6
; %bb.5:
	v_ashrrev_i32_e32 v1, 31, v0
	v_lshlrev_b64 v[4:5], 3, v[0:1]
	v_add_co_u32_e64 v4, s[0:1], v7, v4
	v_addc_co_u32_e64 v5, s[0:1], v14, v5, s[0:1]
	flat_load_dwordx2 v[15:16], v[4:5]
	s_waitcnt vmcnt(0) lgkmcnt(0)
	v_add_f64 v[12:13], v[12:13], -v[15:16]
	flat_store_dwordx2 v[4:5], v[12:13]
.LBB549_6:
	s_or_b64 exec, exec, s[2:3]
	v_add_u32_e32 v4, 16, v0
	v_cmp_le_i32_e64 s[2:3], v6, v4
	v_cmp_gt_i32_e64 s[0:1], s12, v4
	s_and_b64 s[2:3], s[2:3], s[0:1]
	s_and_saveexec_b64 s[4:5], s[2:3]
	s_cbranch_execz .LBB549_8
; %bb.7:
	v_ashrrev_i32_e32 v5, 31, v4
	v_lshlrev_b64 v[12:13], 3, v[4:5]
	v_add_co_u32_e64 v12, s[2:3], v7, v12
	v_addc_co_u32_e64 v13, s[2:3], v14, v13, s[2:3]
	flat_load_dwordx2 v[14:15], v[12:13]
	s_waitcnt vmcnt(0) lgkmcnt(0)
	v_add_f64 v[10:11], v[10:11], -v[14:15]
	flat_store_dwordx2 v[12:13], v[10:11]
.LBB549_8:
	s_or_b64 exec, exec, s[4:5]
	v_add_u32_e32 v5, 16, v6
	v_mad_i64_i32 v[6:7], s[2:3], v5, s8, 0
	v_mov_b32_e32 v1, s11
	v_lshlrev_b64 v[6:7], 3, v[6:7]
	v_add_co_u32_e64 v6, s[2:3], s10, v6
	v_addc_co_u32_e64 v7, s[2:3], v1, v7, s[2:3]
	v_cmp_le_i32_e64 s[2:3], v5, v0
	s_and_b64 s[4:5], s[2:3], vcc
	s_and_saveexec_b64 s[2:3], s[4:5]
	s_cbranch_execz .LBB549_10
; %bb.9:
	v_ashrrev_i32_e32 v1, 31, v0
	v_lshlrev_b64 v[0:1], 3, v[0:1]
	v_add_co_u32_e32 v0, vcc, v6, v0
	v_addc_co_u32_e32 v1, vcc, v7, v1, vcc
	flat_load_dwordx2 v[10:11], v[0:1]
	s_waitcnt vmcnt(0) lgkmcnt(0)
	v_add_f64 v[8:9], v[8:9], -v[10:11]
	flat_store_dwordx2 v[0:1], v[8:9]
.LBB549_10:
	s_or_b64 exec, exec, s[2:3]
	v_cmp_le_i32_e32 vcc, v5, v4
	s_and_b64 s[0:1], vcc, s[0:1]
	s_and_saveexec_b64 s[2:3], s[0:1]
	s_cbranch_execz .LBB549_12
; %bb.11:
	v_ashrrev_i32_e32 v5, 31, v4
	v_lshlrev_b64 v[0:1], 3, v[4:5]
	v_add_co_u32_e32 v0, vcc, v6, v0
	v_addc_co_u32_e32 v1, vcc, v7, v1, vcc
	flat_load_dwordx2 v[4:5], v[0:1]
	s_waitcnt vmcnt(0) lgkmcnt(0)
	v_add_f64 v[2:3], v[2:3], -v[4:5]
	flat_store_dwordx2 v[0:1], v[2:3]
.LBB549_12:
	s_endpgm
	.section	.rodata,"a",@progbits
	.p2align	6, 0x0
	.amdhsa_kernel _ZL37rocblas_syrkx_herkx_restricted_kernelIidLi16ELi32ELi8ELi1ELin1ELb0ELc78ELc76EKPKdKPdEviT_PT9_S5_lS7_S5_lPT10_S5_li
		.amdhsa_group_segment_fixed_size 4096
		.amdhsa_private_segment_fixed_size 0
		.amdhsa_kernarg_size 84
		.amdhsa_user_sgpr_count 6
		.amdhsa_user_sgpr_private_segment_buffer 1
		.amdhsa_user_sgpr_dispatch_ptr 0
		.amdhsa_user_sgpr_queue_ptr 0
		.amdhsa_user_sgpr_kernarg_segment_ptr 1
		.amdhsa_user_sgpr_dispatch_id 0
		.amdhsa_user_sgpr_flat_scratch_init 0
		.amdhsa_user_sgpr_private_segment_size 0
		.amdhsa_uses_dynamic_stack 0
		.amdhsa_system_sgpr_private_segment_wavefront_offset 0
		.amdhsa_system_sgpr_workgroup_id_x 1
		.amdhsa_system_sgpr_workgroup_id_y 1
		.amdhsa_system_sgpr_workgroup_id_z 1
		.amdhsa_system_sgpr_workgroup_info 0
		.amdhsa_system_vgpr_workitem_id 1
		.amdhsa_next_free_vgpr 38
		.amdhsa_next_free_sgpr 20
		.amdhsa_reserve_vcc 1
		.amdhsa_reserve_flat_scratch 0
		.amdhsa_float_round_mode_32 0
		.amdhsa_float_round_mode_16_64 0
		.amdhsa_float_denorm_mode_32 3
		.amdhsa_float_denorm_mode_16_64 3
		.amdhsa_dx10_clamp 1
		.amdhsa_ieee_mode 1
		.amdhsa_fp16_overflow 0
		.amdhsa_exception_fp_ieee_invalid_op 0
		.amdhsa_exception_fp_denorm_src 0
		.amdhsa_exception_fp_ieee_div_zero 0
		.amdhsa_exception_fp_ieee_overflow 0
		.amdhsa_exception_fp_ieee_underflow 0
		.amdhsa_exception_fp_ieee_inexact 0
		.amdhsa_exception_int_div_zero 0
	.end_amdhsa_kernel
	.section	.text._ZL37rocblas_syrkx_herkx_restricted_kernelIidLi16ELi32ELi8ELi1ELin1ELb0ELc78ELc76EKPKdKPdEviT_PT9_S5_lS7_S5_lPT10_S5_li,"axG",@progbits,_ZL37rocblas_syrkx_herkx_restricted_kernelIidLi16ELi32ELi8ELi1ELin1ELb0ELc78ELc76EKPKdKPdEviT_PT9_S5_lS7_S5_lPT10_S5_li,comdat
.Lfunc_end549:
	.size	_ZL37rocblas_syrkx_herkx_restricted_kernelIidLi16ELi32ELi8ELi1ELin1ELb0ELc78ELc76EKPKdKPdEviT_PT9_S5_lS7_S5_lPT10_S5_li, .Lfunc_end549-_ZL37rocblas_syrkx_herkx_restricted_kernelIidLi16ELi32ELi8ELi1ELin1ELb0ELc78ELc76EKPKdKPdEviT_PT9_S5_lS7_S5_lPT10_S5_li
                                        ; -- End function
	.set _ZL37rocblas_syrkx_herkx_restricted_kernelIidLi16ELi32ELi8ELi1ELin1ELb0ELc78ELc76EKPKdKPdEviT_PT9_S5_lS7_S5_lPT10_S5_li.num_vgpr, 38
	.set _ZL37rocblas_syrkx_herkx_restricted_kernelIidLi16ELi32ELi8ELi1ELin1ELb0ELc78ELc76EKPKdKPdEviT_PT9_S5_lS7_S5_lPT10_S5_li.num_agpr, 0
	.set _ZL37rocblas_syrkx_herkx_restricted_kernelIidLi16ELi32ELi8ELi1ELin1ELb0ELc78ELc76EKPKdKPdEviT_PT9_S5_lS7_S5_lPT10_S5_li.numbered_sgpr, 20
	.set _ZL37rocblas_syrkx_herkx_restricted_kernelIidLi16ELi32ELi8ELi1ELin1ELb0ELc78ELc76EKPKdKPdEviT_PT9_S5_lS7_S5_lPT10_S5_li.num_named_barrier, 0
	.set _ZL37rocblas_syrkx_herkx_restricted_kernelIidLi16ELi32ELi8ELi1ELin1ELb0ELc78ELc76EKPKdKPdEviT_PT9_S5_lS7_S5_lPT10_S5_li.private_seg_size, 0
	.set _ZL37rocblas_syrkx_herkx_restricted_kernelIidLi16ELi32ELi8ELi1ELin1ELb0ELc78ELc76EKPKdKPdEviT_PT9_S5_lS7_S5_lPT10_S5_li.uses_vcc, 1
	.set _ZL37rocblas_syrkx_herkx_restricted_kernelIidLi16ELi32ELi8ELi1ELin1ELb0ELc78ELc76EKPKdKPdEviT_PT9_S5_lS7_S5_lPT10_S5_li.uses_flat_scratch, 0
	.set _ZL37rocblas_syrkx_herkx_restricted_kernelIidLi16ELi32ELi8ELi1ELin1ELb0ELc78ELc76EKPKdKPdEviT_PT9_S5_lS7_S5_lPT10_S5_li.has_dyn_sized_stack, 0
	.set _ZL37rocblas_syrkx_herkx_restricted_kernelIidLi16ELi32ELi8ELi1ELin1ELb0ELc78ELc76EKPKdKPdEviT_PT9_S5_lS7_S5_lPT10_S5_li.has_recursion, 0
	.set _ZL37rocblas_syrkx_herkx_restricted_kernelIidLi16ELi32ELi8ELi1ELin1ELb0ELc78ELc76EKPKdKPdEviT_PT9_S5_lS7_S5_lPT10_S5_li.has_indirect_call, 0
	.section	.AMDGPU.csdata,"",@progbits
; Kernel info:
; codeLenInByte = 1280
; TotalNumSgprs: 24
; NumVgprs: 38
; ScratchSize: 0
; MemoryBound: 0
; FloatMode: 240
; IeeeMode: 1
; LDSByteSize: 4096 bytes/workgroup (compile time only)
; SGPRBlocks: 2
; VGPRBlocks: 9
; NumSGPRsForWavesPerEU: 24
; NumVGPRsForWavesPerEU: 38
; Occupancy: 6
; WaveLimiterHint : 1
; COMPUTE_PGM_RSRC2:SCRATCH_EN: 0
; COMPUTE_PGM_RSRC2:USER_SGPR: 6
; COMPUTE_PGM_RSRC2:TRAP_HANDLER: 0
; COMPUTE_PGM_RSRC2:TGID_X_EN: 1
; COMPUTE_PGM_RSRC2:TGID_Y_EN: 1
; COMPUTE_PGM_RSRC2:TGID_Z_EN: 1
; COMPUTE_PGM_RSRC2:TIDIG_COMP_CNT: 1
	.section	.text._ZL37rocblas_syrkx_herkx_restricted_kernelIidLi16ELi32ELi8ELi1ELin1ELb0ELc84ELc85EKPKdKPdEviT_PT9_S5_lS7_S5_lPT10_S5_li,"axG",@progbits,_ZL37rocblas_syrkx_herkx_restricted_kernelIidLi16ELi32ELi8ELi1ELin1ELb0ELc84ELc85EKPKdKPdEviT_PT9_S5_lS7_S5_lPT10_S5_li,comdat
	.globl	_ZL37rocblas_syrkx_herkx_restricted_kernelIidLi16ELi32ELi8ELi1ELin1ELb0ELc84ELc85EKPKdKPdEviT_PT9_S5_lS7_S5_lPT10_S5_li ; -- Begin function _ZL37rocblas_syrkx_herkx_restricted_kernelIidLi16ELi32ELi8ELi1ELin1ELb0ELc84ELc85EKPKdKPdEviT_PT9_S5_lS7_S5_lPT10_S5_li
	.p2align	8
	.type	_ZL37rocblas_syrkx_herkx_restricted_kernelIidLi16ELi32ELi8ELi1ELin1ELb0ELc84ELc85EKPKdKPdEviT_PT9_S5_lS7_S5_lPT10_S5_li,@function
_ZL37rocblas_syrkx_herkx_restricted_kernelIidLi16ELi32ELi8ELi1ELin1ELb0ELc84ELc85EKPKdKPdEviT_PT9_S5_lS7_S5_lPT10_S5_li: ; @_ZL37rocblas_syrkx_herkx_restricted_kernelIidLi16ELi32ELi8ELi1ELin1ELb0ELc84ELc85EKPKdKPdEviT_PT9_S5_lS7_S5_lPT10_S5_li
; %bb.0:
	s_load_dwordx2 s[10:11], s[4:5], 0x38
	s_load_dwordx2 s[2:3], s[4:5], 0x0
	s_mov_b32 s9, 0
	s_lshl_b64 s[0:1], s[8:9], 3
	s_waitcnt lgkmcnt(0)
	s_add_u32 s10, s10, s0
	s_addc_u32 s11, s11, s1
	s_load_dwordx2 s[10:11], s[10:11], 0x0
	s_lshl_b32 s6, s6, 5
	s_lshl_b32 s7, s7, 5
	s_cmp_lt_i32 s3, 1
	s_cbranch_scc1 .LBB550_3
; %bb.1:
	s_load_dwordx2 s[12:13], s[4:5], 0x8
	s_load_dword s8, s[4:5], 0x10
	s_load_dwordx2 s[14:15], s[4:5], 0x20
	s_load_dword s16, s[4:5], 0x28
	v_lshl_add_u32 v4, v1, 4, v0
	s_waitcnt lgkmcnt(0)
	s_add_u32 s12, s12, s0
	s_addc_u32 s13, s13, s1
	v_lshrrev_b32_e32 v8, 3, v4
	s_add_u32 s0, s14, s0
	v_add_u32_e32 v5, s7, v8
	v_and_b32_e32 v2, 7, v0
	v_mov_b32_e32 v3, 0
	s_addc_u32 s1, s15, s1
	v_mad_i64_i32 v[6:7], s[14:15], s16, v5, v[2:3]
	v_and_b32_e32 v9, 31, v4
	v_lshlrev_b32_e32 v2, 3, v2
	v_lshrrev_b32_e32 v4, 5, v4
	v_mov_b32_e32 v5, v3
	v_lshlrev_b32_e32 v3, 3, v9
	v_lshl_or_b32 v8, v8, 6, v2
	v_add_u32_e32 v2, s6, v9
	v_lshl_or_b32 v14, v4, 8, v3
	v_mad_i64_i32 v[2:3], s[14:15], s8, v2, v[4:5]
	s_load_dwordx2 s[12:13], s[12:13], 0x0
	v_add_u32_e32 v15, 0x800, v8
	s_load_dwordx2 s[0:1], s[0:1], 0x0
	v_lshlrev_b64 v[2:3], 3, v[2:3]
	v_mov_b32_e32 v17, 0x800
	s_waitcnt lgkmcnt(0)
	v_mov_b32_e32 v5, s13
	v_add_co_u32_e32 v4, vcc, s12, v2
	v_addc_co_u32_e32 v5, vcc, v5, v3, vcc
	v_lshlrev_b64 v[2:3], 3, v[6:7]
	v_mov_b32_e32 v7, s1
	v_add_co_u32_e32 v6, vcc, s0, v2
	v_addc_co_u32_e32 v7, vcc, v7, v3, vcc
	v_mov_b32_e32 v2, 0
	v_mov_b32_e32 v8, 0
	;; [unrolled: 1-line block ×4, first 2 shown]
	v_lshlrev_b32_e32 v16, 3, v0
	v_mov_b32_e32 v3, 0
	v_mov_b32_e32 v9, 0
	;; [unrolled: 1-line block ×4, first 2 shown]
	v_lshl_add_u32 v17, v1, 6, v17
.LBB550_2:                              ; =>This Inner Loop Header: Depth=1
	flat_load_dwordx2 v[18:19], v[4:5]
	v_add_co_u32_e32 v4, vcc, 64, v4
	v_addc_co_u32_e32 v5, vcc, 0, v5, vcc
	s_add_i32 s9, s9, 8
	s_cmp_ge_i32 s9, s3
	s_waitcnt vmcnt(0) lgkmcnt(0)
	ds_write_b64 v14, v[18:19]
	flat_load_dwordx2 v[18:19], v[6:7]
	v_add_co_u32_e32 v6, vcc, 64, v6
	v_addc_co_u32_e32 v7, vcc, 0, v7, vcc
	s_waitcnt vmcnt(0) lgkmcnt(0)
	ds_write_b64 v15, v[18:19]
	s_waitcnt lgkmcnt(0)
	s_barrier
	ds_read2_b64 v[18:21], v16 offset1:16
	ds_read_b128 v[22:25], v17
	ds_read_b128 v[26:29], v17 offset:1024
	ds_read_b128 v[30:33], v17 offset:16
	s_waitcnt lgkmcnt(2)
	v_fma_f64 v[34:35], v[18:19], v[22:23], v[12:13]
	v_fma_f64 v[22:23], v[20:21], v[22:23], v[10:11]
	s_waitcnt lgkmcnt(1)
	v_fma_f64 v[8:9], v[18:19], v[26:27], v[8:9]
	v_fma_f64 v[2:3], v[20:21], v[26:27], v[2:3]
	ds_read2_b64 v[18:21], v16 offset0:32 offset1:48
	ds_read_b128 v[10:13], v17 offset:1040
	s_waitcnt lgkmcnt(1)
	v_fma_f64 v[26:27], v[18:19], v[24:25], v[34:35]
	v_fma_f64 v[34:35], v[20:21], v[24:25], v[22:23]
	;; [unrolled: 1-line block ×4, first 2 shown]
	ds_read2_b64 v[18:21], v16 offset0:64 offset1:80
	ds_read2_b64 v[22:25], v16 offset0:96 offset1:112
	s_waitcnt lgkmcnt(1)
	v_fma_f64 v[26:27], v[18:19], v[30:31], v[26:27]
	v_fma_f64 v[28:29], v[20:21], v[30:31], v[34:35]
	;; [unrolled: 1-line block ×4, first 2 shown]
	ds_read2_b64 v[8:11], v16 offset0:128 offset1:144
	ds_read_b128 v[18:21], v17 offset:32
	s_waitcnt lgkmcnt(2)
	v_fma_f64 v[34:35], v[22:23], v[32:33], v[26:27]
	v_fma_f64 v[32:33], v[24:25], v[32:33], v[28:29]
	;; [unrolled: 1-line block ×4, first 2 shown]
	ds_read_b128 v[22:25], v17 offset:1056
	ds_read_b128 v[26:29], v17 offset:48
	s_waitcnt lgkmcnt(2)
	v_fma_f64 v[12:13], v[8:9], v[18:19], v[34:35]
	v_fma_f64 v[18:19], v[10:11], v[18:19], v[32:33]
	s_waitcnt lgkmcnt(1)
	v_fma_f64 v[34:35], v[8:9], v[22:23], v[36:37]
	v_fma_f64 v[2:3], v[10:11], v[22:23], v[2:3]
	ds_read2_b64 v[8:11], v16 offset0:160 offset1:176
	ds_read_b128 v[30:33], v17 offset:1072
	s_waitcnt lgkmcnt(1)
	v_fma_f64 v[12:13], v[8:9], v[20:21], v[12:13]
	v_fma_f64 v[18:19], v[10:11], v[20:21], v[18:19]
	;; [unrolled: 1-line block ×4, first 2 shown]
	ds_read2_b64 v[8:11], v16 offset0:192 offset1:208
	s_waitcnt lgkmcnt(0)
	v_fma_f64 v[12:13], v[8:9], v[26:27], v[12:13]
	v_fma_f64 v[22:23], v[10:11], v[26:27], v[18:19]
	;; [unrolled: 1-line block ×4, first 2 shown]
	ds_read2_b64 v[18:21], v16 offset0:224 offset1:240
	s_waitcnt lgkmcnt(0)
	s_barrier
	v_fma_f64 v[12:13], v[18:19], v[28:29], v[12:13]
	v_fma_f64 v[10:11], v[20:21], v[28:29], v[22:23]
	;; [unrolled: 1-line block ×4, first 2 shown]
	s_cbranch_scc0 .LBB550_2
	s_branch .LBB550_4
.LBB550_3:
	v_mov_b32_e32 v12, 0
	v_mov_b32_e32 v10, 0
	;; [unrolled: 1-line block ×8, first 2 shown]
.LBB550_4:
	s_load_dword s3, s[4:5], 0x40
	v_add_u32_e32 v6, s7, v1
	s_waitcnt lgkmcnt(0)
	v_mov_b32_e32 v1, s11
	v_add_u32_e32 v0, s6, v0
	v_cmp_gt_i32_e32 vcc, s2, v6
	v_mad_i64_i32 v[4:5], s[0:1], v6, s3, 0
	v_lshlrev_b64 v[4:5], 3, v[4:5]
	v_add_co_u32_e64 v7, s[0:1], s10, v4
	v_addc_co_u32_e64 v14, s[0:1], v1, v5, s[0:1]
	v_cmp_le_i32_e64 s[0:1], v0, v6
	s_and_b64 s[0:1], vcc, s[0:1]
	s_and_saveexec_b64 s[4:5], s[0:1]
	s_cbranch_execz .LBB550_6
; %bb.5:
	v_ashrrev_i32_e32 v1, 31, v0
	v_lshlrev_b64 v[4:5], 3, v[0:1]
	v_add_co_u32_e64 v4, s[0:1], v7, v4
	v_addc_co_u32_e64 v5, s[0:1], v14, v5, s[0:1]
	flat_load_dwordx2 v[15:16], v[4:5]
	s_waitcnt vmcnt(0) lgkmcnt(0)
	v_add_f64 v[12:13], v[12:13], -v[15:16]
	flat_store_dwordx2 v[4:5], v[12:13]
.LBB550_6:
	s_or_b64 exec, exec, s[4:5]
	v_add_u32_e32 v4, 16, v0
	v_cmp_le_i32_e64 s[0:1], v4, v6
	s_and_b64 s[4:5], vcc, s[0:1]
	s_and_saveexec_b64 s[0:1], s[4:5]
	s_cbranch_execz .LBB550_8
; %bb.7:
	v_ashrrev_i32_e32 v5, 31, v4
	v_lshlrev_b64 v[12:13], 3, v[4:5]
	v_add_co_u32_e32 v12, vcc, v7, v12
	v_addc_co_u32_e32 v13, vcc, v14, v13, vcc
	flat_load_dwordx2 v[14:15], v[12:13]
	s_waitcnt vmcnt(0) lgkmcnt(0)
	v_add_f64 v[10:11], v[10:11], -v[14:15]
	flat_store_dwordx2 v[12:13], v[10:11]
.LBB550_8:
	s_or_b64 exec, exec, s[0:1]
	v_add_u32_e32 v5, 16, v6
	v_mad_i64_i32 v[6:7], s[0:1], v5, s3, 0
	v_mov_b32_e32 v1, s11
	v_cmp_gt_i32_e32 vcc, s2, v5
	v_lshlrev_b64 v[6:7], 3, v[6:7]
	v_add_co_u32_e64 v6, s[0:1], s10, v6
	v_addc_co_u32_e64 v7, s[0:1], v1, v7, s[0:1]
	v_cmp_le_i32_e64 s[0:1], v0, v5
	s_and_b64 s[0:1], vcc, s[0:1]
	s_and_saveexec_b64 s[2:3], s[0:1]
	s_cbranch_execz .LBB550_10
; %bb.9:
	v_ashrrev_i32_e32 v1, 31, v0
	v_lshlrev_b64 v[0:1], 3, v[0:1]
	v_add_co_u32_e64 v0, s[0:1], v6, v0
	v_addc_co_u32_e64 v1, s[0:1], v7, v1, s[0:1]
	flat_load_dwordx2 v[10:11], v[0:1]
	s_waitcnt vmcnt(0) lgkmcnt(0)
	v_add_f64 v[8:9], v[8:9], -v[10:11]
	flat_store_dwordx2 v[0:1], v[8:9]
.LBB550_10:
	s_or_b64 exec, exec, s[2:3]
	v_cmp_le_i32_e64 s[0:1], v4, v5
	s_and_b64 s[0:1], vcc, s[0:1]
	s_and_saveexec_b64 s[2:3], s[0:1]
	s_cbranch_execz .LBB550_12
; %bb.11:
	v_ashrrev_i32_e32 v5, 31, v4
	v_lshlrev_b64 v[0:1], 3, v[4:5]
	v_add_co_u32_e32 v0, vcc, v6, v0
	v_addc_co_u32_e32 v1, vcc, v7, v1, vcc
	flat_load_dwordx2 v[4:5], v[0:1]
	s_waitcnt vmcnt(0) lgkmcnt(0)
	v_add_f64 v[2:3], v[2:3], -v[4:5]
	flat_store_dwordx2 v[0:1], v[2:3]
.LBB550_12:
	s_endpgm
	.section	.rodata,"a",@progbits
	.p2align	6, 0x0
	.amdhsa_kernel _ZL37rocblas_syrkx_herkx_restricted_kernelIidLi16ELi32ELi8ELi1ELin1ELb0ELc84ELc85EKPKdKPdEviT_PT9_S5_lS7_S5_lPT10_S5_li
		.amdhsa_group_segment_fixed_size 4096
		.amdhsa_private_segment_fixed_size 0
		.amdhsa_kernarg_size 84
		.amdhsa_user_sgpr_count 6
		.amdhsa_user_sgpr_private_segment_buffer 1
		.amdhsa_user_sgpr_dispatch_ptr 0
		.amdhsa_user_sgpr_queue_ptr 0
		.amdhsa_user_sgpr_kernarg_segment_ptr 1
		.amdhsa_user_sgpr_dispatch_id 0
		.amdhsa_user_sgpr_flat_scratch_init 0
		.amdhsa_user_sgpr_private_segment_size 0
		.amdhsa_uses_dynamic_stack 0
		.amdhsa_system_sgpr_private_segment_wavefront_offset 0
		.amdhsa_system_sgpr_workgroup_id_x 1
		.amdhsa_system_sgpr_workgroup_id_y 1
		.amdhsa_system_sgpr_workgroup_id_z 1
		.amdhsa_system_sgpr_workgroup_info 0
		.amdhsa_system_vgpr_workitem_id 1
		.amdhsa_next_free_vgpr 38
		.amdhsa_next_free_sgpr 17
		.amdhsa_reserve_vcc 1
		.amdhsa_reserve_flat_scratch 0
		.amdhsa_float_round_mode_32 0
		.amdhsa_float_round_mode_16_64 0
		.amdhsa_float_denorm_mode_32 3
		.amdhsa_float_denorm_mode_16_64 3
		.amdhsa_dx10_clamp 1
		.amdhsa_ieee_mode 1
		.amdhsa_fp16_overflow 0
		.amdhsa_exception_fp_ieee_invalid_op 0
		.amdhsa_exception_fp_denorm_src 0
		.amdhsa_exception_fp_ieee_div_zero 0
		.amdhsa_exception_fp_ieee_overflow 0
		.amdhsa_exception_fp_ieee_underflow 0
		.amdhsa_exception_fp_ieee_inexact 0
		.amdhsa_exception_int_div_zero 0
	.end_amdhsa_kernel
	.section	.text._ZL37rocblas_syrkx_herkx_restricted_kernelIidLi16ELi32ELi8ELi1ELin1ELb0ELc84ELc85EKPKdKPdEviT_PT9_S5_lS7_S5_lPT10_S5_li,"axG",@progbits,_ZL37rocblas_syrkx_herkx_restricted_kernelIidLi16ELi32ELi8ELi1ELin1ELb0ELc84ELc85EKPKdKPdEviT_PT9_S5_lS7_S5_lPT10_S5_li,comdat
.Lfunc_end550:
	.size	_ZL37rocblas_syrkx_herkx_restricted_kernelIidLi16ELi32ELi8ELi1ELin1ELb0ELc84ELc85EKPKdKPdEviT_PT9_S5_lS7_S5_lPT10_S5_li, .Lfunc_end550-_ZL37rocblas_syrkx_herkx_restricted_kernelIidLi16ELi32ELi8ELi1ELin1ELb0ELc84ELc85EKPKdKPdEviT_PT9_S5_lS7_S5_lPT10_S5_li
                                        ; -- End function
	.set _ZL37rocblas_syrkx_herkx_restricted_kernelIidLi16ELi32ELi8ELi1ELin1ELb0ELc84ELc85EKPKdKPdEviT_PT9_S5_lS7_S5_lPT10_S5_li.num_vgpr, 38
	.set _ZL37rocblas_syrkx_herkx_restricted_kernelIidLi16ELi32ELi8ELi1ELin1ELb0ELc84ELc85EKPKdKPdEviT_PT9_S5_lS7_S5_lPT10_S5_li.num_agpr, 0
	.set _ZL37rocblas_syrkx_herkx_restricted_kernelIidLi16ELi32ELi8ELi1ELin1ELb0ELc84ELc85EKPKdKPdEviT_PT9_S5_lS7_S5_lPT10_S5_li.numbered_sgpr, 17
	.set _ZL37rocblas_syrkx_herkx_restricted_kernelIidLi16ELi32ELi8ELi1ELin1ELb0ELc84ELc85EKPKdKPdEviT_PT9_S5_lS7_S5_lPT10_S5_li.num_named_barrier, 0
	.set _ZL37rocblas_syrkx_herkx_restricted_kernelIidLi16ELi32ELi8ELi1ELin1ELb0ELc84ELc85EKPKdKPdEviT_PT9_S5_lS7_S5_lPT10_S5_li.private_seg_size, 0
	.set _ZL37rocblas_syrkx_herkx_restricted_kernelIidLi16ELi32ELi8ELi1ELin1ELb0ELc84ELc85EKPKdKPdEviT_PT9_S5_lS7_S5_lPT10_S5_li.uses_vcc, 1
	.set _ZL37rocblas_syrkx_herkx_restricted_kernelIidLi16ELi32ELi8ELi1ELin1ELb0ELc84ELc85EKPKdKPdEviT_PT9_S5_lS7_S5_lPT10_S5_li.uses_flat_scratch, 0
	.set _ZL37rocblas_syrkx_herkx_restricted_kernelIidLi16ELi32ELi8ELi1ELin1ELb0ELc84ELc85EKPKdKPdEviT_PT9_S5_lS7_S5_lPT10_S5_li.has_dyn_sized_stack, 0
	.set _ZL37rocblas_syrkx_herkx_restricted_kernelIidLi16ELi32ELi8ELi1ELin1ELb0ELc84ELc85EKPKdKPdEviT_PT9_S5_lS7_S5_lPT10_S5_li.has_recursion, 0
	.set _ZL37rocblas_syrkx_herkx_restricted_kernelIidLi16ELi32ELi8ELi1ELin1ELb0ELc84ELc85EKPKdKPdEviT_PT9_S5_lS7_S5_lPT10_S5_li.has_indirect_call, 0
	.section	.AMDGPU.csdata,"",@progbits
; Kernel info:
; codeLenInByte = 1264
; TotalNumSgprs: 21
; NumVgprs: 38
; ScratchSize: 0
; MemoryBound: 0
; FloatMode: 240
; IeeeMode: 1
; LDSByteSize: 4096 bytes/workgroup (compile time only)
; SGPRBlocks: 2
; VGPRBlocks: 9
; NumSGPRsForWavesPerEU: 21
; NumVGPRsForWavesPerEU: 38
; Occupancy: 6
; WaveLimiterHint : 1
; COMPUTE_PGM_RSRC2:SCRATCH_EN: 0
; COMPUTE_PGM_RSRC2:USER_SGPR: 6
; COMPUTE_PGM_RSRC2:TRAP_HANDLER: 0
; COMPUTE_PGM_RSRC2:TGID_X_EN: 1
; COMPUTE_PGM_RSRC2:TGID_Y_EN: 1
; COMPUTE_PGM_RSRC2:TGID_Z_EN: 1
; COMPUTE_PGM_RSRC2:TIDIG_COMP_CNT: 1
	.section	.text._ZL37rocblas_syrkx_herkx_restricted_kernelIidLi16ELi32ELi8ELi1ELin1ELb0ELc67ELc85EKPKdKPdEviT_PT9_S5_lS7_S5_lPT10_S5_li,"axG",@progbits,_ZL37rocblas_syrkx_herkx_restricted_kernelIidLi16ELi32ELi8ELi1ELin1ELb0ELc67ELc85EKPKdKPdEviT_PT9_S5_lS7_S5_lPT10_S5_li,comdat
	.globl	_ZL37rocblas_syrkx_herkx_restricted_kernelIidLi16ELi32ELi8ELi1ELin1ELb0ELc67ELc85EKPKdKPdEviT_PT9_S5_lS7_S5_lPT10_S5_li ; -- Begin function _ZL37rocblas_syrkx_herkx_restricted_kernelIidLi16ELi32ELi8ELi1ELin1ELb0ELc67ELc85EKPKdKPdEviT_PT9_S5_lS7_S5_lPT10_S5_li
	.p2align	8
	.type	_ZL37rocblas_syrkx_herkx_restricted_kernelIidLi16ELi32ELi8ELi1ELin1ELb0ELc67ELc85EKPKdKPdEviT_PT9_S5_lS7_S5_lPT10_S5_li,@function
_ZL37rocblas_syrkx_herkx_restricted_kernelIidLi16ELi32ELi8ELi1ELin1ELb0ELc67ELc85EKPKdKPdEviT_PT9_S5_lS7_S5_lPT10_S5_li: ; @_ZL37rocblas_syrkx_herkx_restricted_kernelIidLi16ELi32ELi8ELi1ELin1ELb0ELc67ELc85EKPKdKPdEviT_PT9_S5_lS7_S5_lPT10_S5_li
; %bb.0:
	s_load_dwordx2 s[10:11], s[4:5], 0x38
	s_load_dwordx2 s[2:3], s[4:5], 0x0
	s_mov_b32 s9, 0
	s_lshl_b64 s[0:1], s[8:9], 3
	s_waitcnt lgkmcnt(0)
	s_add_u32 s10, s10, s0
	s_addc_u32 s11, s11, s1
	s_load_dwordx2 s[10:11], s[10:11], 0x0
	s_lshl_b32 s6, s6, 5
	s_lshl_b32 s7, s7, 5
	s_cmp_lt_i32 s3, 1
	s_cbranch_scc1 .LBB551_3
; %bb.1:
	s_load_dwordx2 s[12:13], s[4:5], 0x8
	s_load_dword s8, s[4:5], 0x10
	s_load_dwordx2 s[14:15], s[4:5], 0x20
	s_load_dword s16, s[4:5], 0x28
	v_lshl_add_u32 v4, v1, 4, v0
	s_waitcnt lgkmcnt(0)
	s_add_u32 s12, s12, s0
	s_addc_u32 s13, s13, s1
	v_lshrrev_b32_e32 v8, 3, v4
	s_add_u32 s0, s14, s0
	v_add_u32_e32 v5, s7, v8
	v_and_b32_e32 v2, 7, v0
	v_mov_b32_e32 v3, 0
	s_addc_u32 s1, s15, s1
	v_mad_i64_i32 v[6:7], s[14:15], s16, v5, v[2:3]
	v_and_b32_e32 v9, 31, v4
	v_lshlrev_b32_e32 v2, 3, v2
	v_lshrrev_b32_e32 v4, 5, v4
	v_mov_b32_e32 v5, v3
	v_lshlrev_b32_e32 v3, 3, v9
	v_lshl_or_b32 v8, v8, 6, v2
	v_add_u32_e32 v2, s6, v9
	v_lshl_or_b32 v14, v4, 8, v3
	v_mad_i64_i32 v[2:3], s[14:15], s8, v2, v[4:5]
	s_load_dwordx2 s[12:13], s[12:13], 0x0
	v_add_u32_e32 v15, 0x800, v8
	s_load_dwordx2 s[0:1], s[0:1], 0x0
	v_lshlrev_b64 v[2:3], 3, v[2:3]
	v_mov_b32_e32 v17, 0x800
	s_waitcnt lgkmcnt(0)
	v_mov_b32_e32 v5, s13
	v_add_co_u32_e32 v4, vcc, s12, v2
	v_addc_co_u32_e32 v5, vcc, v5, v3, vcc
	v_lshlrev_b64 v[2:3], 3, v[6:7]
	v_mov_b32_e32 v7, s1
	v_add_co_u32_e32 v6, vcc, s0, v2
	v_addc_co_u32_e32 v7, vcc, v7, v3, vcc
	v_mov_b32_e32 v2, 0
	v_mov_b32_e32 v8, 0
	;; [unrolled: 1-line block ×4, first 2 shown]
	v_lshlrev_b32_e32 v16, 3, v0
	v_mov_b32_e32 v3, 0
	v_mov_b32_e32 v9, 0
	;; [unrolled: 1-line block ×4, first 2 shown]
	v_lshl_add_u32 v17, v1, 6, v17
.LBB551_2:                              ; =>This Inner Loop Header: Depth=1
	flat_load_dwordx2 v[18:19], v[4:5]
	v_add_co_u32_e32 v4, vcc, 64, v4
	v_addc_co_u32_e32 v5, vcc, 0, v5, vcc
	s_add_i32 s9, s9, 8
	s_cmp_ge_i32 s9, s3
	s_waitcnt vmcnt(0) lgkmcnt(0)
	ds_write_b64 v14, v[18:19]
	flat_load_dwordx2 v[18:19], v[6:7]
	v_add_co_u32_e32 v6, vcc, 64, v6
	v_addc_co_u32_e32 v7, vcc, 0, v7, vcc
	s_waitcnt vmcnt(0) lgkmcnt(0)
	ds_write_b64 v15, v[18:19]
	s_waitcnt lgkmcnt(0)
	s_barrier
	ds_read2_b64 v[18:21], v16 offset1:16
	ds_read_b128 v[22:25], v17
	ds_read_b128 v[26:29], v17 offset:1024
	ds_read_b128 v[30:33], v17 offset:16
	s_waitcnt lgkmcnt(2)
	v_fma_f64 v[34:35], v[18:19], v[22:23], v[12:13]
	v_fma_f64 v[22:23], v[20:21], v[22:23], v[10:11]
	s_waitcnt lgkmcnt(1)
	v_fma_f64 v[8:9], v[18:19], v[26:27], v[8:9]
	v_fma_f64 v[2:3], v[20:21], v[26:27], v[2:3]
	ds_read2_b64 v[18:21], v16 offset0:32 offset1:48
	ds_read_b128 v[10:13], v17 offset:1040
	s_waitcnt lgkmcnt(1)
	v_fma_f64 v[26:27], v[18:19], v[24:25], v[34:35]
	v_fma_f64 v[34:35], v[20:21], v[24:25], v[22:23]
	;; [unrolled: 1-line block ×4, first 2 shown]
	ds_read2_b64 v[18:21], v16 offset0:64 offset1:80
	ds_read2_b64 v[22:25], v16 offset0:96 offset1:112
	s_waitcnt lgkmcnt(1)
	v_fma_f64 v[26:27], v[18:19], v[30:31], v[26:27]
	v_fma_f64 v[28:29], v[20:21], v[30:31], v[34:35]
	;; [unrolled: 1-line block ×4, first 2 shown]
	ds_read2_b64 v[8:11], v16 offset0:128 offset1:144
	ds_read_b128 v[18:21], v17 offset:32
	s_waitcnt lgkmcnt(2)
	v_fma_f64 v[34:35], v[22:23], v[32:33], v[26:27]
	v_fma_f64 v[32:33], v[24:25], v[32:33], v[28:29]
	;; [unrolled: 1-line block ×4, first 2 shown]
	ds_read_b128 v[22:25], v17 offset:1056
	ds_read_b128 v[26:29], v17 offset:48
	s_waitcnt lgkmcnt(2)
	v_fma_f64 v[12:13], v[8:9], v[18:19], v[34:35]
	v_fma_f64 v[18:19], v[10:11], v[18:19], v[32:33]
	s_waitcnt lgkmcnt(1)
	v_fma_f64 v[34:35], v[8:9], v[22:23], v[36:37]
	v_fma_f64 v[2:3], v[10:11], v[22:23], v[2:3]
	ds_read2_b64 v[8:11], v16 offset0:160 offset1:176
	ds_read_b128 v[30:33], v17 offset:1072
	s_waitcnt lgkmcnt(1)
	v_fma_f64 v[12:13], v[8:9], v[20:21], v[12:13]
	v_fma_f64 v[18:19], v[10:11], v[20:21], v[18:19]
	;; [unrolled: 1-line block ×4, first 2 shown]
	ds_read2_b64 v[8:11], v16 offset0:192 offset1:208
	s_waitcnt lgkmcnt(0)
	v_fma_f64 v[12:13], v[8:9], v[26:27], v[12:13]
	v_fma_f64 v[22:23], v[10:11], v[26:27], v[18:19]
	;; [unrolled: 1-line block ×4, first 2 shown]
	ds_read2_b64 v[18:21], v16 offset0:224 offset1:240
	s_waitcnt lgkmcnt(0)
	s_barrier
	v_fma_f64 v[12:13], v[18:19], v[28:29], v[12:13]
	v_fma_f64 v[10:11], v[20:21], v[28:29], v[22:23]
	;; [unrolled: 1-line block ×4, first 2 shown]
	s_cbranch_scc0 .LBB551_2
	s_branch .LBB551_4
.LBB551_3:
	v_mov_b32_e32 v12, 0
	v_mov_b32_e32 v10, 0
	;; [unrolled: 1-line block ×8, first 2 shown]
.LBB551_4:
	s_load_dword s3, s[4:5], 0x40
	v_add_u32_e32 v6, s7, v1
	s_waitcnt lgkmcnt(0)
	v_mov_b32_e32 v1, s11
	v_add_u32_e32 v0, s6, v0
	v_cmp_gt_i32_e32 vcc, s2, v6
	v_mad_i64_i32 v[4:5], s[0:1], v6, s3, 0
	v_lshlrev_b64 v[4:5], 3, v[4:5]
	v_add_co_u32_e64 v7, s[0:1], s10, v4
	v_addc_co_u32_e64 v14, s[0:1], v1, v5, s[0:1]
	v_cmp_le_i32_e64 s[0:1], v0, v6
	s_and_b64 s[0:1], vcc, s[0:1]
	s_and_saveexec_b64 s[4:5], s[0:1]
	s_cbranch_execz .LBB551_6
; %bb.5:
	v_ashrrev_i32_e32 v1, 31, v0
	v_lshlrev_b64 v[4:5], 3, v[0:1]
	v_add_co_u32_e64 v4, s[0:1], v7, v4
	v_addc_co_u32_e64 v5, s[0:1], v14, v5, s[0:1]
	flat_load_dwordx2 v[15:16], v[4:5]
	s_waitcnt vmcnt(0) lgkmcnt(0)
	v_add_f64 v[12:13], v[12:13], -v[15:16]
	flat_store_dwordx2 v[4:5], v[12:13]
.LBB551_6:
	s_or_b64 exec, exec, s[4:5]
	v_add_u32_e32 v4, 16, v0
	v_cmp_le_i32_e64 s[0:1], v4, v6
	s_and_b64 s[4:5], vcc, s[0:1]
	s_and_saveexec_b64 s[0:1], s[4:5]
	s_cbranch_execz .LBB551_8
; %bb.7:
	v_ashrrev_i32_e32 v5, 31, v4
	v_lshlrev_b64 v[12:13], 3, v[4:5]
	v_add_co_u32_e32 v12, vcc, v7, v12
	v_addc_co_u32_e32 v13, vcc, v14, v13, vcc
	flat_load_dwordx2 v[14:15], v[12:13]
	s_waitcnt vmcnt(0) lgkmcnt(0)
	v_add_f64 v[10:11], v[10:11], -v[14:15]
	flat_store_dwordx2 v[12:13], v[10:11]
.LBB551_8:
	s_or_b64 exec, exec, s[0:1]
	v_add_u32_e32 v5, 16, v6
	v_mad_i64_i32 v[6:7], s[0:1], v5, s3, 0
	v_mov_b32_e32 v1, s11
	v_cmp_gt_i32_e32 vcc, s2, v5
	v_lshlrev_b64 v[6:7], 3, v[6:7]
	v_add_co_u32_e64 v6, s[0:1], s10, v6
	v_addc_co_u32_e64 v7, s[0:1], v1, v7, s[0:1]
	v_cmp_le_i32_e64 s[0:1], v0, v5
	s_and_b64 s[0:1], vcc, s[0:1]
	s_and_saveexec_b64 s[2:3], s[0:1]
	s_cbranch_execz .LBB551_10
; %bb.9:
	v_ashrrev_i32_e32 v1, 31, v0
	v_lshlrev_b64 v[0:1], 3, v[0:1]
	v_add_co_u32_e64 v0, s[0:1], v6, v0
	v_addc_co_u32_e64 v1, s[0:1], v7, v1, s[0:1]
	flat_load_dwordx2 v[10:11], v[0:1]
	s_waitcnt vmcnt(0) lgkmcnt(0)
	v_add_f64 v[8:9], v[8:9], -v[10:11]
	flat_store_dwordx2 v[0:1], v[8:9]
.LBB551_10:
	s_or_b64 exec, exec, s[2:3]
	v_cmp_le_i32_e64 s[0:1], v4, v5
	s_and_b64 s[0:1], vcc, s[0:1]
	s_and_saveexec_b64 s[2:3], s[0:1]
	s_cbranch_execz .LBB551_12
; %bb.11:
	v_ashrrev_i32_e32 v5, 31, v4
	v_lshlrev_b64 v[0:1], 3, v[4:5]
	v_add_co_u32_e32 v0, vcc, v6, v0
	v_addc_co_u32_e32 v1, vcc, v7, v1, vcc
	flat_load_dwordx2 v[4:5], v[0:1]
	s_waitcnt vmcnt(0) lgkmcnt(0)
	v_add_f64 v[2:3], v[2:3], -v[4:5]
	flat_store_dwordx2 v[0:1], v[2:3]
.LBB551_12:
	s_endpgm
	.section	.rodata,"a",@progbits
	.p2align	6, 0x0
	.amdhsa_kernel _ZL37rocblas_syrkx_herkx_restricted_kernelIidLi16ELi32ELi8ELi1ELin1ELb0ELc67ELc85EKPKdKPdEviT_PT9_S5_lS7_S5_lPT10_S5_li
		.amdhsa_group_segment_fixed_size 4096
		.amdhsa_private_segment_fixed_size 0
		.amdhsa_kernarg_size 84
		.amdhsa_user_sgpr_count 6
		.amdhsa_user_sgpr_private_segment_buffer 1
		.amdhsa_user_sgpr_dispatch_ptr 0
		.amdhsa_user_sgpr_queue_ptr 0
		.amdhsa_user_sgpr_kernarg_segment_ptr 1
		.amdhsa_user_sgpr_dispatch_id 0
		.amdhsa_user_sgpr_flat_scratch_init 0
		.amdhsa_user_sgpr_private_segment_size 0
		.amdhsa_uses_dynamic_stack 0
		.amdhsa_system_sgpr_private_segment_wavefront_offset 0
		.amdhsa_system_sgpr_workgroup_id_x 1
		.amdhsa_system_sgpr_workgroup_id_y 1
		.amdhsa_system_sgpr_workgroup_id_z 1
		.amdhsa_system_sgpr_workgroup_info 0
		.amdhsa_system_vgpr_workitem_id 1
		.amdhsa_next_free_vgpr 38
		.amdhsa_next_free_sgpr 17
		.amdhsa_reserve_vcc 1
		.amdhsa_reserve_flat_scratch 0
		.amdhsa_float_round_mode_32 0
		.amdhsa_float_round_mode_16_64 0
		.amdhsa_float_denorm_mode_32 3
		.amdhsa_float_denorm_mode_16_64 3
		.amdhsa_dx10_clamp 1
		.amdhsa_ieee_mode 1
		.amdhsa_fp16_overflow 0
		.amdhsa_exception_fp_ieee_invalid_op 0
		.amdhsa_exception_fp_denorm_src 0
		.amdhsa_exception_fp_ieee_div_zero 0
		.amdhsa_exception_fp_ieee_overflow 0
		.amdhsa_exception_fp_ieee_underflow 0
		.amdhsa_exception_fp_ieee_inexact 0
		.amdhsa_exception_int_div_zero 0
	.end_amdhsa_kernel
	.section	.text._ZL37rocblas_syrkx_herkx_restricted_kernelIidLi16ELi32ELi8ELi1ELin1ELb0ELc67ELc85EKPKdKPdEviT_PT9_S5_lS7_S5_lPT10_S5_li,"axG",@progbits,_ZL37rocblas_syrkx_herkx_restricted_kernelIidLi16ELi32ELi8ELi1ELin1ELb0ELc67ELc85EKPKdKPdEviT_PT9_S5_lS7_S5_lPT10_S5_li,comdat
.Lfunc_end551:
	.size	_ZL37rocblas_syrkx_herkx_restricted_kernelIidLi16ELi32ELi8ELi1ELin1ELb0ELc67ELc85EKPKdKPdEviT_PT9_S5_lS7_S5_lPT10_S5_li, .Lfunc_end551-_ZL37rocblas_syrkx_herkx_restricted_kernelIidLi16ELi32ELi8ELi1ELin1ELb0ELc67ELc85EKPKdKPdEviT_PT9_S5_lS7_S5_lPT10_S5_li
                                        ; -- End function
	.set _ZL37rocblas_syrkx_herkx_restricted_kernelIidLi16ELi32ELi8ELi1ELin1ELb0ELc67ELc85EKPKdKPdEviT_PT9_S5_lS7_S5_lPT10_S5_li.num_vgpr, 38
	.set _ZL37rocblas_syrkx_herkx_restricted_kernelIidLi16ELi32ELi8ELi1ELin1ELb0ELc67ELc85EKPKdKPdEviT_PT9_S5_lS7_S5_lPT10_S5_li.num_agpr, 0
	.set _ZL37rocblas_syrkx_herkx_restricted_kernelIidLi16ELi32ELi8ELi1ELin1ELb0ELc67ELc85EKPKdKPdEviT_PT9_S5_lS7_S5_lPT10_S5_li.numbered_sgpr, 17
	.set _ZL37rocblas_syrkx_herkx_restricted_kernelIidLi16ELi32ELi8ELi1ELin1ELb0ELc67ELc85EKPKdKPdEviT_PT9_S5_lS7_S5_lPT10_S5_li.num_named_barrier, 0
	.set _ZL37rocblas_syrkx_herkx_restricted_kernelIidLi16ELi32ELi8ELi1ELin1ELb0ELc67ELc85EKPKdKPdEviT_PT9_S5_lS7_S5_lPT10_S5_li.private_seg_size, 0
	.set _ZL37rocblas_syrkx_herkx_restricted_kernelIidLi16ELi32ELi8ELi1ELin1ELb0ELc67ELc85EKPKdKPdEviT_PT9_S5_lS7_S5_lPT10_S5_li.uses_vcc, 1
	.set _ZL37rocblas_syrkx_herkx_restricted_kernelIidLi16ELi32ELi8ELi1ELin1ELb0ELc67ELc85EKPKdKPdEviT_PT9_S5_lS7_S5_lPT10_S5_li.uses_flat_scratch, 0
	.set _ZL37rocblas_syrkx_herkx_restricted_kernelIidLi16ELi32ELi8ELi1ELin1ELb0ELc67ELc85EKPKdKPdEviT_PT9_S5_lS7_S5_lPT10_S5_li.has_dyn_sized_stack, 0
	.set _ZL37rocblas_syrkx_herkx_restricted_kernelIidLi16ELi32ELi8ELi1ELin1ELb0ELc67ELc85EKPKdKPdEviT_PT9_S5_lS7_S5_lPT10_S5_li.has_recursion, 0
	.set _ZL37rocblas_syrkx_herkx_restricted_kernelIidLi16ELi32ELi8ELi1ELin1ELb0ELc67ELc85EKPKdKPdEviT_PT9_S5_lS7_S5_lPT10_S5_li.has_indirect_call, 0
	.section	.AMDGPU.csdata,"",@progbits
; Kernel info:
; codeLenInByte = 1264
; TotalNumSgprs: 21
; NumVgprs: 38
; ScratchSize: 0
; MemoryBound: 0
; FloatMode: 240
; IeeeMode: 1
; LDSByteSize: 4096 bytes/workgroup (compile time only)
; SGPRBlocks: 2
; VGPRBlocks: 9
; NumSGPRsForWavesPerEU: 21
; NumVGPRsForWavesPerEU: 38
; Occupancy: 6
; WaveLimiterHint : 1
; COMPUTE_PGM_RSRC2:SCRATCH_EN: 0
; COMPUTE_PGM_RSRC2:USER_SGPR: 6
; COMPUTE_PGM_RSRC2:TRAP_HANDLER: 0
; COMPUTE_PGM_RSRC2:TGID_X_EN: 1
; COMPUTE_PGM_RSRC2:TGID_Y_EN: 1
; COMPUTE_PGM_RSRC2:TGID_Z_EN: 1
; COMPUTE_PGM_RSRC2:TIDIG_COMP_CNT: 1
	.section	.text._ZL37rocblas_syrkx_herkx_restricted_kernelIidLi16ELi32ELi8ELi1ELin1ELb0ELc78ELc85EKPKdKPdEviT_PT9_S5_lS7_S5_lPT10_S5_li,"axG",@progbits,_ZL37rocblas_syrkx_herkx_restricted_kernelIidLi16ELi32ELi8ELi1ELin1ELb0ELc78ELc85EKPKdKPdEviT_PT9_S5_lS7_S5_lPT10_S5_li,comdat
	.globl	_ZL37rocblas_syrkx_herkx_restricted_kernelIidLi16ELi32ELi8ELi1ELin1ELb0ELc78ELc85EKPKdKPdEviT_PT9_S5_lS7_S5_lPT10_S5_li ; -- Begin function _ZL37rocblas_syrkx_herkx_restricted_kernelIidLi16ELi32ELi8ELi1ELin1ELb0ELc78ELc85EKPKdKPdEviT_PT9_S5_lS7_S5_lPT10_S5_li
	.p2align	8
	.type	_ZL37rocblas_syrkx_herkx_restricted_kernelIidLi16ELi32ELi8ELi1ELin1ELb0ELc78ELc85EKPKdKPdEviT_PT9_S5_lS7_S5_lPT10_S5_li,@function
_ZL37rocblas_syrkx_herkx_restricted_kernelIidLi16ELi32ELi8ELi1ELin1ELb0ELc78ELc85EKPKdKPdEviT_PT9_S5_lS7_S5_lPT10_S5_li: ; @_ZL37rocblas_syrkx_herkx_restricted_kernelIidLi16ELi32ELi8ELi1ELin1ELb0ELc78ELc85EKPKdKPdEviT_PT9_S5_lS7_S5_lPT10_S5_li
; %bb.0:
	s_load_dwordx2 s[10:11], s[4:5], 0x38
	s_load_dwordx2 s[2:3], s[4:5], 0x0
	s_mov_b32 s9, 0
	s_lshl_b64 s[0:1], s[8:9], 3
	s_waitcnt lgkmcnt(0)
	s_add_u32 s10, s10, s0
	s_addc_u32 s11, s11, s1
	s_load_dwordx2 s[10:11], s[10:11], 0x0
	s_lshl_b32 s8, s6, 5
	s_lshl_b32 s12, s7, 5
	s_cmp_lt_i32 s3, 1
	s_cbranch_scc1 .LBB552_3
; %bb.1:
	s_load_dword s6, s[4:5], 0x10
	s_load_dword s14, s[4:5], 0x28
	s_load_dwordx2 s[16:17], s[4:5], 0x20
	s_load_dwordx2 s[18:19], s[4:5], 0x8
	v_lshl_add_u32 v5, v1, 4, v0
	s_waitcnt lgkmcnt(0)
	s_ashr_i32 s7, s6, 31
	s_ashr_i32 s15, s14, 31
	v_lshrrev_b32_e32 v6, 3, v5
	s_add_u32 s18, s18, s0
	s_addc_u32 s19, s19, s1
	s_add_u32 s0, s16, s0
	v_add_u32_e32 v2, s12, v6
	s_addc_u32 s1, s17, s1
	v_and_b32_e32 v4, 7, v0
	v_ashrrev_i32_e32 v3, 31, v2
	s_load_dwordx2 s[16:17], s[0:1], 0x0
	v_mad_i64_i32 v[2:3], s[0:1], s14, v4, v[2:3]
	v_lshlrev_b32_e32 v4, 3, v4
	v_lshrrev_b32_e32 v7, 5, v5
	v_and_b32_e32 v5, 31, v5
	v_lshl_or_b32 v4, v6, 6, v4
	v_add_u32_e32 v15, 0x800, v4
	v_add_u32_e32 v4, s8, v5
	v_lshlrev_b32_e32 v8, 3, v5
	v_ashrrev_i32_e32 v5, 31, v4
	v_mad_i64_i32 v[4:5], s[0:1], s6, v7, v[4:5]
	s_load_dwordx2 s[18:19], s[18:19], 0x0
	v_mov_b32_e32 v6, 0x800
	v_lshlrev_b64 v[4:5], 3, v[4:5]
	v_lshl_add_u32 v17, v1, 6, v6
	v_lshlrev_b64 v[2:3], 3, v[2:3]
	s_waitcnt lgkmcnt(0)
	v_mov_b32_e32 v6, s19
	v_add_co_u32_e32 v4, vcc, s18, v4
	v_addc_co_u32_e32 v5, vcc, v6, v5, vcc
	v_lshl_or_b32 v14, v7, 8, v8
	v_mov_b32_e32 v7, s17
	v_add_co_u32_e32 v6, vcc, s16, v2
	s_lshl_b64 s[0:1], s[6:7], 6
	v_addc_co_u32_e32 v7, vcc, v7, v3, vcc
	s_lshl_b64 s[6:7], s[14:15], 6
	v_mov_b32_e32 v2, 0
	v_mov_b32_e32 v8, 0
	v_mov_b32_e32 v10, 0
	v_mov_b32_e32 v12, 0
	v_lshlrev_b32_e32 v16, 3, v0
	v_mov_b32_e32 v3, 0
	v_mov_b32_e32 v18, s1
	;; [unrolled: 1-line block ×6, first 2 shown]
.LBB552_2:                              ; =>This Inner Loop Header: Depth=1
	flat_load_dwordx2 v[20:21], v[4:5]
	v_add_co_u32_e32 v4, vcc, s0, v4
	v_addc_co_u32_e32 v5, vcc, v5, v18, vcc
	s_add_i32 s9, s9, 8
	s_cmp_ge_i32 s9, s3
	s_waitcnt vmcnt(0) lgkmcnt(0)
	ds_write_b64 v14, v[20:21]
	flat_load_dwordx2 v[20:21], v[6:7]
	v_add_co_u32_e32 v6, vcc, s6, v6
	v_addc_co_u32_e32 v7, vcc, v7, v19, vcc
	s_waitcnt vmcnt(0) lgkmcnt(0)
	ds_write_b64 v15, v[20:21]
	s_waitcnt lgkmcnt(0)
	s_barrier
	ds_read2_b64 v[20:23], v16 offset1:16
	ds_read_b128 v[24:27], v17
	ds_read_b128 v[28:31], v17 offset:16
	s_waitcnt lgkmcnt(1)
	v_fma_f64 v[36:37], v[20:21], v[24:25], v[12:13]
	v_fma_f64 v[24:25], v[22:23], v[24:25], v[10:11]
	ds_read_b128 v[10:13], v17 offset:1024
	ds_read_b128 v[32:35], v17 offset:1040
	s_waitcnt lgkmcnt(1)
	v_fma_f64 v[20:21], v[20:21], v[10:11], v[8:9]
	v_fma_f64 v[2:3], v[22:23], v[10:11], v[2:3]
	ds_read2_b64 v[8:11], v16 offset0:32 offset1:48
	s_waitcnt lgkmcnt(0)
	v_fma_f64 v[22:23], v[8:9], v[26:27], v[36:37]
	v_fma_f64 v[24:25], v[10:11], v[26:27], v[24:25]
	v_fma_f64 v[20:21], v[8:9], v[12:13], v[20:21]
	v_fma_f64 v[2:3], v[10:11], v[12:13], v[2:3]
	ds_read2_b64 v[8:11], v16 offset0:64 offset1:80
	s_waitcnt lgkmcnt(0)
	v_fma_f64 v[12:13], v[8:9], v[28:29], v[22:23]
	v_fma_f64 v[22:23], v[10:11], v[28:29], v[24:25]
	;; [unrolled: 6-line block ×3, first 2 shown]
	ds_read2_b64 v[20:23], v16 offset0:128 offset1:144
	v_fma_f64 v[36:37], v[8:9], v[34:35], v[24:25]
	v_fma_f64 v[2:3], v[10:11], v[34:35], v[2:3]
	ds_read_b128 v[8:11], v17 offset:32
	ds_read_b128 v[24:27], v17 offset:48
	s_waitcnt lgkmcnt(1)
	v_fma_f64 v[12:13], v[20:21], v[8:9], v[12:13]
	v_fma_f64 v[8:9], v[22:23], v[8:9], v[28:29]
	ds_read_b128 v[28:31], v17 offset:1056
	ds_read_b128 v[32:35], v17 offset:1072
	s_waitcnt lgkmcnt(1)
	v_fma_f64 v[36:37], v[20:21], v[28:29], v[36:37]
	v_fma_f64 v[2:3], v[22:23], v[28:29], v[2:3]
	ds_read2_b64 v[20:23], v16 offset0:160 offset1:176
	s_waitcnt lgkmcnt(0)
	v_fma_f64 v[12:13], v[20:21], v[10:11], v[12:13]
	v_fma_f64 v[28:29], v[22:23], v[10:11], v[8:9]
	;; [unrolled: 1-line block ×4, first 2 shown]
	ds_read2_b64 v[8:11], v16 offset0:192 offset1:208
	s_waitcnt lgkmcnt(0)
	v_fma_f64 v[12:13], v[8:9], v[24:25], v[12:13]
	v_fma_f64 v[24:25], v[10:11], v[24:25], v[28:29]
	;; [unrolled: 1-line block ×4, first 2 shown]
	ds_read2_b64 v[20:23], v16 offset0:224 offset1:240
	s_waitcnt lgkmcnt(0)
	s_barrier
	v_fma_f64 v[12:13], v[20:21], v[26:27], v[12:13]
	v_fma_f64 v[10:11], v[22:23], v[26:27], v[24:25]
	;; [unrolled: 1-line block ×4, first 2 shown]
	s_cbranch_scc0 .LBB552_2
	s_branch .LBB552_4
.LBB552_3:
	v_mov_b32_e32 v12, 0
	v_mov_b32_e32 v10, 0
	v_mov_b32_e32 v8, 0
	v_mov_b32_e32 v2, 0
	v_mov_b32_e32 v13, 0
	v_mov_b32_e32 v11, 0
	v_mov_b32_e32 v9, 0
	v_mov_b32_e32 v3, 0
.LBB552_4:
	s_load_dword s3, s[4:5], 0x40
	v_add_u32_e32 v6, s12, v1
	s_waitcnt lgkmcnt(0)
	v_mov_b32_e32 v1, s11
	v_add_u32_e32 v0, s8, v0
	v_cmp_gt_i32_e32 vcc, s2, v6
	v_mad_i64_i32 v[4:5], s[0:1], v6, s3, 0
	v_lshlrev_b64 v[4:5], 3, v[4:5]
	v_add_co_u32_e64 v7, s[0:1], s10, v4
	v_addc_co_u32_e64 v14, s[0:1], v1, v5, s[0:1]
	v_cmp_le_i32_e64 s[0:1], v0, v6
	s_and_b64 s[0:1], vcc, s[0:1]
	s_and_saveexec_b64 s[4:5], s[0:1]
	s_cbranch_execz .LBB552_6
; %bb.5:
	v_ashrrev_i32_e32 v1, 31, v0
	v_lshlrev_b64 v[4:5], 3, v[0:1]
	v_add_co_u32_e64 v4, s[0:1], v7, v4
	v_addc_co_u32_e64 v5, s[0:1], v14, v5, s[0:1]
	flat_load_dwordx2 v[15:16], v[4:5]
	s_waitcnt vmcnt(0) lgkmcnt(0)
	v_add_f64 v[12:13], v[12:13], -v[15:16]
	flat_store_dwordx2 v[4:5], v[12:13]
.LBB552_6:
	s_or_b64 exec, exec, s[4:5]
	v_add_u32_e32 v4, 16, v0
	v_cmp_le_i32_e64 s[0:1], v4, v6
	s_and_b64 s[4:5], vcc, s[0:1]
	s_and_saveexec_b64 s[0:1], s[4:5]
	s_cbranch_execz .LBB552_8
; %bb.7:
	v_ashrrev_i32_e32 v5, 31, v4
	v_lshlrev_b64 v[12:13], 3, v[4:5]
	v_add_co_u32_e32 v12, vcc, v7, v12
	v_addc_co_u32_e32 v13, vcc, v14, v13, vcc
	flat_load_dwordx2 v[14:15], v[12:13]
	s_waitcnt vmcnt(0) lgkmcnt(0)
	v_add_f64 v[10:11], v[10:11], -v[14:15]
	flat_store_dwordx2 v[12:13], v[10:11]
.LBB552_8:
	s_or_b64 exec, exec, s[0:1]
	v_add_u32_e32 v5, 16, v6
	v_mad_i64_i32 v[6:7], s[0:1], v5, s3, 0
	v_mov_b32_e32 v1, s11
	v_cmp_gt_i32_e32 vcc, s2, v5
	v_lshlrev_b64 v[6:7], 3, v[6:7]
	v_add_co_u32_e64 v6, s[0:1], s10, v6
	v_addc_co_u32_e64 v7, s[0:1], v1, v7, s[0:1]
	v_cmp_le_i32_e64 s[0:1], v0, v5
	s_and_b64 s[0:1], vcc, s[0:1]
	s_and_saveexec_b64 s[2:3], s[0:1]
	s_cbranch_execz .LBB552_10
; %bb.9:
	v_ashrrev_i32_e32 v1, 31, v0
	v_lshlrev_b64 v[0:1], 3, v[0:1]
	v_add_co_u32_e64 v0, s[0:1], v6, v0
	v_addc_co_u32_e64 v1, s[0:1], v7, v1, s[0:1]
	flat_load_dwordx2 v[10:11], v[0:1]
	s_waitcnt vmcnt(0) lgkmcnt(0)
	v_add_f64 v[8:9], v[8:9], -v[10:11]
	flat_store_dwordx2 v[0:1], v[8:9]
.LBB552_10:
	s_or_b64 exec, exec, s[2:3]
	v_cmp_le_i32_e64 s[0:1], v4, v5
	s_and_b64 s[0:1], vcc, s[0:1]
	s_and_saveexec_b64 s[2:3], s[0:1]
	s_cbranch_execz .LBB552_12
; %bb.11:
	v_ashrrev_i32_e32 v5, 31, v4
	v_lshlrev_b64 v[0:1], 3, v[4:5]
	v_add_co_u32_e32 v0, vcc, v6, v0
	v_addc_co_u32_e32 v1, vcc, v7, v1, vcc
	flat_load_dwordx2 v[4:5], v[0:1]
	s_waitcnt vmcnt(0) lgkmcnt(0)
	v_add_f64 v[2:3], v[2:3], -v[4:5]
	flat_store_dwordx2 v[0:1], v[2:3]
.LBB552_12:
	s_endpgm
	.section	.rodata,"a",@progbits
	.p2align	6, 0x0
	.amdhsa_kernel _ZL37rocblas_syrkx_herkx_restricted_kernelIidLi16ELi32ELi8ELi1ELin1ELb0ELc78ELc85EKPKdKPdEviT_PT9_S5_lS7_S5_lPT10_S5_li
		.amdhsa_group_segment_fixed_size 4096
		.amdhsa_private_segment_fixed_size 0
		.amdhsa_kernarg_size 84
		.amdhsa_user_sgpr_count 6
		.amdhsa_user_sgpr_private_segment_buffer 1
		.amdhsa_user_sgpr_dispatch_ptr 0
		.amdhsa_user_sgpr_queue_ptr 0
		.amdhsa_user_sgpr_kernarg_segment_ptr 1
		.amdhsa_user_sgpr_dispatch_id 0
		.amdhsa_user_sgpr_flat_scratch_init 0
		.amdhsa_user_sgpr_private_segment_size 0
		.amdhsa_uses_dynamic_stack 0
		.amdhsa_system_sgpr_private_segment_wavefront_offset 0
		.amdhsa_system_sgpr_workgroup_id_x 1
		.amdhsa_system_sgpr_workgroup_id_y 1
		.amdhsa_system_sgpr_workgroup_id_z 1
		.amdhsa_system_sgpr_workgroup_info 0
		.amdhsa_system_vgpr_workitem_id 1
		.amdhsa_next_free_vgpr 38
		.amdhsa_next_free_sgpr 20
		.amdhsa_reserve_vcc 1
		.amdhsa_reserve_flat_scratch 0
		.amdhsa_float_round_mode_32 0
		.amdhsa_float_round_mode_16_64 0
		.amdhsa_float_denorm_mode_32 3
		.amdhsa_float_denorm_mode_16_64 3
		.amdhsa_dx10_clamp 1
		.amdhsa_ieee_mode 1
		.amdhsa_fp16_overflow 0
		.amdhsa_exception_fp_ieee_invalid_op 0
		.amdhsa_exception_fp_denorm_src 0
		.amdhsa_exception_fp_ieee_div_zero 0
		.amdhsa_exception_fp_ieee_overflow 0
		.amdhsa_exception_fp_ieee_underflow 0
		.amdhsa_exception_fp_ieee_inexact 0
		.amdhsa_exception_int_div_zero 0
	.end_amdhsa_kernel
	.section	.text._ZL37rocblas_syrkx_herkx_restricted_kernelIidLi16ELi32ELi8ELi1ELin1ELb0ELc78ELc85EKPKdKPdEviT_PT9_S5_lS7_S5_lPT10_S5_li,"axG",@progbits,_ZL37rocblas_syrkx_herkx_restricted_kernelIidLi16ELi32ELi8ELi1ELin1ELb0ELc78ELc85EKPKdKPdEviT_PT9_S5_lS7_S5_lPT10_S5_li,comdat
.Lfunc_end552:
	.size	_ZL37rocblas_syrkx_herkx_restricted_kernelIidLi16ELi32ELi8ELi1ELin1ELb0ELc78ELc85EKPKdKPdEviT_PT9_S5_lS7_S5_lPT10_S5_li, .Lfunc_end552-_ZL37rocblas_syrkx_herkx_restricted_kernelIidLi16ELi32ELi8ELi1ELin1ELb0ELc78ELc85EKPKdKPdEviT_PT9_S5_lS7_S5_lPT10_S5_li
                                        ; -- End function
	.set _ZL37rocblas_syrkx_herkx_restricted_kernelIidLi16ELi32ELi8ELi1ELin1ELb0ELc78ELc85EKPKdKPdEviT_PT9_S5_lS7_S5_lPT10_S5_li.num_vgpr, 38
	.set _ZL37rocblas_syrkx_herkx_restricted_kernelIidLi16ELi32ELi8ELi1ELin1ELb0ELc78ELc85EKPKdKPdEviT_PT9_S5_lS7_S5_lPT10_S5_li.num_agpr, 0
	.set _ZL37rocblas_syrkx_herkx_restricted_kernelIidLi16ELi32ELi8ELi1ELin1ELb0ELc78ELc85EKPKdKPdEviT_PT9_S5_lS7_S5_lPT10_S5_li.numbered_sgpr, 20
	.set _ZL37rocblas_syrkx_herkx_restricted_kernelIidLi16ELi32ELi8ELi1ELin1ELb0ELc78ELc85EKPKdKPdEviT_PT9_S5_lS7_S5_lPT10_S5_li.num_named_barrier, 0
	.set _ZL37rocblas_syrkx_herkx_restricted_kernelIidLi16ELi32ELi8ELi1ELin1ELb0ELc78ELc85EKPKdKPdEviT_PT9_S5_lS7_S5_lPT10_S5_li.private_seg_size, 0
	.set _ZL37rocblas_syrkx_herkx_restricted_kernelIidLi16ELi32ELi8ELi1ELin1ELb0ELc78ELc85EKPKdKPdEviT_PT9_S5_lS7_S5_lPT10_S5_li.uses_vcc, 1
	.set _ZL37rocblas_syrkx_herkx_restricted_kernelIidLi16ELi32ELi8ELi1ELin1ELb0ELc78ELc85EKPKdKPdEviT_PT9_S5_lS7_S5_lPT10_S5_li.uses_flat_scratch, 0
	.set _ZL37rocblas_syrkx_herkx_restricted_kernelIidLi16ELi32ELi8ELi1ELin1ELb0ELc78ELc85EKPKdKPdEviT_PT9_S5_lS7_S5_lPT10_S5_li.has_dyn_sized_stack, 0
	.set _ZL37rocblas_syrkx_herkx_restricted_kernelIidLi16ELi32ELi8ELi1ELin1ELb0ELc78ELc85EKPKdKPdEviT_PT9_S5_lS7_S5_lPT10_S5_li.has_recursion, 0
	.set _ZL37rocblas_syrkx_herkx_restricted_kernelIidLi16ELi32ELi8ELi1ELin1ELb0ELc78ELc85EKPKdKPdEviT_PT9_S5_lS7_S5_lPT10_S5_li.has_indirect_call, 0
	.section	.AMDGPU.csdata,"",@progbits
; Kernel info:
; codeLenInByte = 1288
; TotalNumSgprs: 24
; NumVgprs: 38
; ScratchSize: 0
; MemoryBound: 0
; FloatMode: 240
; IeeeMode: 1
; LDSByteSize: 4096 bytes/workgroup (compile time only)
; SGPRBlocks: 2
; VGPRBlocks: 9
; NumSGPRsForWavesPerEU: 24
; NumVGPRsForWavesPerEU: 38
; Occupancy: 6
; WaveLimiterHint : 1
; COMPUTE_PGM_RSRC2:SCRATCH_EN: 0
; COMPUTE_PGM_RSRC2:USER_SGPR: 6
; COMPUTE_PGM_RSRC2:TRAP_HANDLER: 0
; COMPUTE_PGM_RSRC2:TGID_X_EN: 1
; COMPUTE_PGM_RSRC2:TGID_Y_EN: 1
; COMPUTE_PGM_RSRC2:TGID_Z_EN: 1
; COMPUTE_PGM_RSRC2:TIDIG_COMP_CNT: 1
	.section	.text._ZL37rocblas_syrkx_herkx_restricted_kernelIidLi16ELi32ELi8ELi1ELi0ELb0ELc84ELc76EKPKdKPdEviT_PT9_S5_lS7_S5_lPT10_S5_li,"axG",@progbits,_ZL37rocblas_syrkx_herkx_restricted_kernelIidLi16ELi32ELi8ELi1ELi0ELb0ELc84ELc76EKPKdKPdEviT_PT9_S5_lS7_S5_lPT10_S5_li,comdat
	.globl	_ZL37rocblas_syrkx_herkx_restricted_kernelIidLi16ELi32ELi8ELi1ELi0ELb0ELc84ELc76EKPKdKPdEviT_PT9_S5_lS7_S5_lPT10_S5_li ; -- Begin function _ZL37rocblas_syrkx_herkx_restricted_kernelIidLi16ELi32ELi8ELi1ELi0ELb0ELc84ELc76EKPKdKPdEviT_PT9_S5_lS7_S5_lPT10_S5_li
	.p2align	8
	.type	_ZL37rocblas_syrkx_herkx_restricted_kernelIidLi16ELi32ELi8ELi1ELi0ELb0ELc84ELc76EKPKdKPdEviT_PT9_S5_lS7_S5_lPT10_S5_li,@function
_ZL37rocblas_syrkx_herkx_restricted_kernelIidLi16ELi32ELi8ELi1ELi0ELb0ELc84ELc76EKPKdKPdEviT_PT9_S5_lS7_S5_lPT10_S5_li: ; @_ZL37rocblas_syrkx_herkx_restricted_kernelIidLi16ELi32ELi8ELi1ELi0ELb0ELc84ELc76EKPKdKPdEviT_PT9_S5_lS7_S5_lPT10_S5_li
; %bb.0:
	s_load_dwordx2 s[2:3], s[4:5], 0x38
	s_load_dwordx2 s[12:13], s[4:5], 0x0
	s_mov_b32 s9, 0
	s_lshl_b64 s[0:1], s[8:9], 3
	s_waitcnt lgkmcnt(0)
	s_add_u32 s2, s2, s0
	s_addc_u32 s3, s3, s1
	s_load_dwordx2 s[10:11], s[2:3], 0x0
	s_lshl_b32 s2, s6, 5
	s_lshl_b32 s3, s7, 5
	s_cmp_lt_i32 s13, 1
	s_cbranch_scc1 .LBB553_3
; %bb.1:
	s_load_dwordx2 s[6:7], s[4:5], 0x8
	s_load_dword s8, s[4:5], 0x10
	s_load_dwordx2 s[14:15], s[4:5], 0x20
	s_load_dword s16, s[4:5], 0x28
	v_lshl_add_u32 v6, v1, 4, v0
	s_waitcnt lgkmcnt(0)
	s_add_u32 s6, s6, s0
	s_addc_u32 s7, s7, s1
	v_lshrrev_b32_e32 v8, 3, v6
	s_add_u32 s0, s14, s0
	v_add_u32_e32 v4, s3, v8
	v_and_b32_e32 v2, 7, v0
	v_mov_b32_e32 v3, 0
	s_addc_u32 s1, s15, s1
	v_mad_i64_i32 v[4:5], s[14:15], s16, v4, v[2:3]
	v_and_b32_e32 v9, 31, v6
	v_lshlrev_b32_e32 v2, 3, v2
	v_lshrrev_b32_e32 v6, 5, v6
	v_mov_b32_e32 v7, v3
	v_lshlrev_b32_e32 v3, 3, v9
	v_lshl_or_b32 v8, v8, 6, v2
	v_add_u32_e32 v2, s2, v9
	v_lshl_or_b32 v14, v6, 8, v3
	v_mad_i64_i32 v[2:3], s[14:15], s8, v2, v[6:7]
	s_load_dwordx2 s[6:7], s[6:7], 0x0
	v_lshlrev_b64 v[4:5], 3, v[4:5]
	s_load_dwordx2 s[0:1], s[0:1], 0x0
	v_lshlrev_b64 v[2:3], 3, v[2:3]
	v_add_u32_e32 v15, 0x800, v8
	s_waitcnt lgkmcnt(0)
	v_mov_b32_e32 v6, s7
	v_add_co_u32_e32 v2, vcc, s6, v2
	v_addc_co_u32_e32 v3, vcc, v6, v3, vcc
	v_mov_b32_e32 v7, s1
	v_add_co_u32_e32 v6, vcc, s0, v4
	v_mov_b32_e32 v17, 0x800
	v_addc_co_u32_e32 v7, vcc, v7, v5, vcc
	v_mov_b32_e32 v4, 0
	v_mov_b32_e32 v8, 0
	;; [unrolled: 1-line block ×4, first 2 shown]
	v_lshlrev_b32_e32 v16, 3, v0
	v_mov_b32_e32 v5, 0
	v_mov_b32_e32 v9, 0
	;; [unrolled: 1-line block ×4, first 2 shown]
	v_lshl_add_u32 v17, v1, 6, v17
.LBB553_2:                              ; =>This Inner Loop Header: Depth=1
	flat_load_dwordx2 v[18:19], v[2:3]
	v_add_co_u32_e32 v2, vcc, 64, v2
	v_addc_co_u32_e32 v3, vcc, 0, v3, vcc
	s_add_i32 s9, s9, 8
	s_cmp_ge_i32 s9, s13
	s_waitcnt vmcnt(0) lgkmcnt(0)
	ds_write_b64 v14, v[18:19]
	flat_load_dwordx2 v[18:19], v[6:7]
	v_add_co_u32_e32 v6, vcc, 64, v6
	v_addc_co_u32_e32 v7, vcc, 0, v7, vcc
	s_waitcnt vmcnt(0) lgkmcnt(0)
	ds_write_b64 v15, v[18:19]
	s_waitcnt lgkmcnt(0)
	s_barrier
	ds_read2_b64 v[18:21], v16 offset1:16
	ds_read_b128 v[22:25], v17
	ds_read_b128 v[26:29], v17 offset:1024
	ds_read_b128 v[30:33], v17 offset:16
	s_waitcnt lgkmcnt(2)
	v_fma_f64 v[34:35], v[18:19], v[22:23], v[12:13]
	v_fma_f64 v[22:23], v[20:21], v[22:23], v[10:11]
	s_waitcnt lgkmcnt(1)
	v_fma_f64 v[8:9], v[18:19], v[26:27], v[8:9]
	v_fma_f64 v[4:5], v[20:21], v[26:27], v[4:5]
	ds_read2_b64 v[18:21], v16 offset0:32 offset1:48
	ds_read_b128 v[10:13], v17 offset:1040
	s_waitcnt lgkmcnt(1)
	v_fma_f64 v[26:27], v[18:19], v[24:25], v[34:35]
	v_fma_f64 v[34:35], v[20:21], v[24:25], v[22:23]
	;; [unrolled: 1-line block ×4, first 2 shown]
	ds_read2_b64 v[18:21], v16 offset0:64 offset1:80
	ds_read2_b64 v[22:25], v16 offset0:96 offset1:112
	s_waitcnt lgkmcnt(1)
	v_fma_f64 v[26:27], v[18:19], v[30:31], v[26:27]
	v_fma_f64 v[28:29], v[20:21], v[30:31], v[34:35]
	;; [unrolled: 1-line block ×4, first 2 shown]
	ds_read2_b64 v[8:11], v16 offset0:128 offset1:144
	ds_read_b128 v[18:21], v17 offset:32
	s_waitcnt lgkmcnt(2)
	v_fma_f64 v[34:35], v[22:23], v[32:33], v[26:27]
	v_fma_f64 v[32:33], v[24:25], v[32:33], v[28:29]
	;; [unrolled: 1-line block ×4, first 2 shown]
	ds_read_b128 v[22:25], v17 offset:1056
	ds_read_b128 v[26:29], v17 offset:48
	s_waitcnt lgkmcnt(2)
	v_fma_f64 v[12:13], v[8:9], v[18:19], v[34:35]
	v_fma_f64 v[18:19], v[10:11], v[18:19], v[32:33]
	s_waitcnt lgkmcnt(1)
	v_fma_f64 v[34:35], v[8:9], v[22:23], v[36:37]
	v_fma_f64 v[4:5], v[10:11], v[22:23], v[4:5]
	ds_read2_b64 v[8:11], v16 offset0:160 offset1:176
	ds_read_b128 v[30:33], v17 offset:1072
	s_waitcnt lgkmcnt(1)
	v_fma_f64 v[12:13], v[8:9], v[20:21], v[12:13]
	v_fma_f64 v[18:19], v[10:11], v[20:21], v[18:19]
	;; [unrolled: 1-line block ×4, first 2 shown]
	ds_read2_b64 v[8:11], v16 offset0:192 offset1:208
	s_waitcnt lgkmcnt(0)
	v_fma_f64 v[12:13], v[8:9], v[26:27], v[12:13]
	v_fma_f64 v[22:23], v[10:11], v[26:27], v[18:19]
	;; [unrolled: 1-line block ×4, first 2 shown]
	ds_read2_b64 v[18:21], v16 offset0:224 offset1:240
	s_waitcnt lgkmcnt(0)
	s_barrier
	v_fma_f64 v[12:13], v[18:19], v[28:29], v[12:13]
	v_fma_f64 v[10:11], v[20:21], v[28:29], v[22:23]
	;; [unrolled: 1-line block ×4, first 2 shown]
	s_cbranch_scc0 .LBB553_2
	s_branch .LBB553_4
.LBB553_3:
	v_mov_b32_e32 v12, 0
	v_mov_b32_e32 v10, 0
	;; [unrolled: 1-line block ×8, first 2 shown]
.LBB553_4:
	s_load_dword s6, s[4:5], 0x40
	v_add_u32_e32 v6, s3, v1
	s_waitcnt lgkmcnt(0)
	v_mov_b32_e32 v3, s11
	v_add_u32_e32 v0, s2, v0
	v_mad_i64_i32 v[1:2], s[0:1], v6, s6, 0
	v_cmp_le_i32_e64 s[0:1], v6, v0
	v_lshlrev_b64 v[1:2], 3, v[1:2]
	v_add_co_u32_e32 v7, vcc, s10, v1
	v_addc_co_u32_e32 v14, vcc, v3, v2, vcc
	v_cmp_gt_i32_e32 vcc, s12, v0
	s_and_b64 s[0:1], s[0:1], vcc
	s_and_saveexec_b64 s[2:3], s[0:1]
	s_cbranch_execz .LBB553_6
; %bb.5:
	v_ashrrev_i32_e32 v1, 31, v0
	v_lshlrev_b64 v[1:2], 3, v[0:1]
	v_add_co_u32_e64 v1, s[0:1], v7, v1
	v_addc_co_u32_e64 v2, s[0:1], v14, v2, s[0:1]
	flat_store_dwordx2 v[1:2], v[12:13]
.LBB553_6:
	s_or_b64 exec, exec, s[2:3]
	v_add_u32_e32 v2, 16, v0
	v_cmp_le_i32_e64 s[2:3], v6, v2
	v_cmp_gt_i32_e64 s[0:1], s12, v2
	s_and_b64 s[2:3], s[2:3], s[0:1]
	s_and_saveexec_b64 s[4:5], s[2:3]
	s_cbranch_execz .LBB553_8
; %bb.7:
	v_ashrrev_i32_e32 v3, 31, v2
	v_lshlrev_b64 v[12:13], 3, v[2:3]
	v_add_co_u32_e64 v12, s[2:3], v7, v12
	v_addc_co_u32_e64 v13, s[2:3], v14, v13, s[2:3]
	flat_store_dwordx2 v[12:13], v[10:11]
.LBB553_8:
	s_or_b64 exec, exec, s[4:5]
	v_add_u32_e32 v3, 16, v6
	v_mad_i64_i32 v[6:7], s[2:3], v3, s6, 0
	v_mov_b32_e32 v1, s11
	v_lshlrev_b64 v[6:7], 3, v[6:7]
	v_add_co_u32_e64 v6, s[2:3], s10, v6
	v_addc_co_u32_e64 v7, s[2:3], v1, v7, s[2:3]
	v_cmp_le_i32_e64 s[2:3], v3, v0
	s_and_b64 s[4:5], s[2:3], vcc
	s_and_saveexec_b64 s[2:3], s[4:5]
	s_cbranch_execz .LBB553_10
; %bb.9:
	v_ashrrev_i32_e32 v1, 31, v0
	v_lshlrev_b64 v[0:1], 3, v[0:1]
	v_add_co_u32_e32 v0, vcc, v6, v0
	v_addc_co_u32_e32 v1, vcc, v7, v1, vcc
	flat_store_dwordx2 v[0:1], v[8:9]
.LBB553_10:
	s_or_b64 exec, exec, s[2:3]
	v_cmp_le_i32_e32 vcc, v3, v2
	s_and_b64 s[0:1], vcc, s[0:1]
	s_and_saveexec_b64 s[2:3], s[0:1]
	s_cbranch_execz .LBB553_12
; %bb.11:
	v_ashrrev_i32_e32 v3, 31, v2
	v_lshlrev_b64 v[0:1], 3, v[2:3]
	v_add_co_u32_e32 v0, vcc, v6, v0
	v_addc_co_u32_e32 v1, vcc, v7, v1, vcc
	flat_store_dwordx2 v[0:1], v[4:5]
.LBB553_12:
	s_endpgm
	.section	.rodata,"a",@progbits
	.p2align	6, 0x0
	.amdhsa_kernel _ZL37rocblas_syrkx_herkx_restricted_kernelIidLi16ELi32ELi8ELi1ELi0ELb0ELc84ELc76EKPKdKPdEviT_PT9_S5_lS7_S5_lPT10_S5_li
		.amdhsa_group_segment_fixed_size 4096
		.amdhsa_private_segment_fixed_size 0
		.amdhsa_kernarg_size 84
		.amdhsa_user_sgpr_count 6
		.amdhsa_user_sgpr_private_segment_buffer 1
		.amdhsa_user_sgpr_dispatch_ptr 0
		.amdhsa_user_sgpr_queue_ptr 0
		.amdhsa_user_sgpr_kernarg_segment_ptr 1
		.amdhsa_user_sgpr_dispatch_id 0
		.amdhsa_user_sgpr_flat_scratch_init 0
		.amdhsa_user_sgpr_private_segment_size 0
		.amdhsa_uses_dynamic_stack 0
		.amdhsa_system_sgpr_private_segment_wavefront_offset 0
		.amdhsa_system_sgpr_workgroup_id_x 1
		.amdhsa_system_sgpr_workgroup_id_y 1
		.amdhsa_system_sgpr_workgroup_id_z 1
		.amdhsa_system_sgpr_workgroup_info 0
		.amdhsa_system_vgpr_workitem_id 1
		.amdhsa_next_free_vgpr 38
		.amdhsa_next_free_sgpr 17
		.amdhsa_reserve_vcc 1
		.amdhsa_reserve_flat_scratch 0
		.amdhsa_float_round_mode_32 0
		.amdhsa_float_round_mode_16_64 0
		.amdhsa_float_denorm_mode_32 3
		.amdhsa_float_denorm_mode_16_64 3
		.amdhsa_dx10_clamp 1
		.amdhsa_ieee_mode 1
		.amdhsa_fp16_overflow 0
		.amdhsa_exception_fp_ieee_invalid_op 0
		.amdhsa_exception_fp_denorm_src 0
		.amdhsa_exception_fp_ieee_div_zero 0
		.amdhsa_exception_fp_ieee_overflow 0
		.amdhsa_exception_fp_ieee_underflow 0
		.amdhsa_exception_fp_ieee_inexact 0
		.amdhsa_exception_int_div_zero 0
	.end_amdhsa_kernel
	.section	.text._ZL37rocblas_syrkx_herkx_restricted_kernelIidLi16ELi32ELi8ELi1ELi0ELb0ELc84ELc76EKPKdKPdEviT_PT9_S5_lS7_S5_lPT10_S5_li,"axG",@progbits,_ZL37rocblas_syrkx_herkx_restricted_kernelIidLi16ELi32ELi8ELi1ELi0ELb0ELc84ELc76EKPKdKPdEviT_PT9_S5_lS7_S5_lPT10_S5_li,comdat
.Lfunc_end553:
	.size	_ZL37rocblas_syrkx_herkx_restricted_kernelIidLi16ELi32ELi8ELi1ELi0ELb0ELc84ELc76EKPKdKPdEviT_PT9_S5_lS7_S5_lPT10_S5_li, .Lfunc_end553-_ZL37rocblas_syrkx_herkx_restricted_kernelIidLi16ELi32ELi8ELi1ELi0ELb0ELc84ELc76EKPKdKPdEviT_PT9_S5_lS7_S5_lPT10_S5_li
                                        ; -- End function
	.set _ZL37rocblas_syrkx_herkx_restricted_kernelIidLi16ELi32ELi8ELi1ELi0ELb0ELc84ELc76EKPKdKPdEviT_PT9_S5_lS7_S5_lPT10_S5_li.num_vgpr, 38
	.set _ZL37rocblas_syrkx_herkx_restricted_kernelIidLi16ELi32ELi8ELi1ELi0ELb0ELc84ELc76EKPKdKPdEviT_PT9_S5_lS7_S5_lPT10_S5_li.num_agpr, 0
	.set _ZL37rocblas_syrkx_herkx_restricted_kernelIidLi16ELi32ELi8ELi1ELi0ELb0ELc84ELc76EKPKdKPdEviT_PT9_S5_lS7_S5_lPT10_S5_li.numbered_sgpr, 17
	.set _ZL37rocblas_syrkx_herkx_restricted_kernelIidLi16ELi32ELi8ELi1ELi0ELb0ELc84ELc76EKPKdKPdEviT_PT9_S5_lS7_S5_lPT10_S5_li.num_named_barrier, 0
	.set _ZL37rocblas_syrkx_herkx_restricted_kernelIidLi16ELi32ELi8ELi1ELi0ELb0ELc84ELc76EKPKdKPdEviT_PT9_S5_lS7_S5_lPT10_S5_li.private_seg_size, 0
	.set _ZL37rocblas_syrkx_herkx_restricted_kernelIidLi16ELi32ELi8ELi1ELi0ELb0ELc84ELc76EKPKdKPdEviT_PT9_S5_lS7_S5_lPT10_S5_li.uses_vcc, 1
	.set _ZL37rocblas_syrkx_herkx_restricted_kernelIidLi16ELi32ELi8ELi1ELi0ELb0ELc84ELc76EKPKdKPdEviT_PT9_S5_lS7_S5_lPT10_S5_li.uses_flat_scratch, 0
	.set _ZL37rocblas_syrkx_herkx_restricted_kernelIidLi16ELi32ELi8ELi1ELi0ELb0ELc84ELc76EKPKdKPdEviT_PT9_S5_lS7_S5_lPT10_S5_li.has_dyn_sized_stack, 0
	.set _ZL37rocblas_syrkx_herkx_restricted_kernelIidLi16ELi32ELi8ELi1ELi0ELb0ELc84ELc76EKPKdKPdEviT_PT9_S5_lS7_S5_lPT10_S5_li.has_recursion, 0
	.set _ZL37rocblas_syrkx_herkx_restricted_kernelIidLi16ELi32ELi8ELi1ELi0ELb0ELc84ELc76EKPKdKPdEviT_PT9_S5_lS7_S5_lPT10_S5_li.has_indirect_call, 0
	.section	.AMDGPU.csdata,"",@progbits
; Kernel info:
; codeLenInByte = 1176
; TotalNumSgprs: 21
; NumVgprs: 38
; ScratchSize: 0
; MemoryBound: 0
; FloatMode: 240
; IeeeMode: 1
; LDSByteSize: 4096 bytes/workgroup (compile time only)
; SGPRBlocks: 2
; VGPRBlocks: 9
; NumSGPRsForWavesPerEU: 21
; NumVGPRsForWavesPerEU: 38
; Occupancy: 6
; WaveLimiterHint : 1
; COMPUTE_PGM_RSRC2:SCRATCH_EN: 0
; COMPUTE_PGM_RSRC2:USER_SGPR: 6
; COMPUTE_PGM_RSRC2:TRAP_HANDLER: 0
; COMPUTE_PGM_RSRC2:TGID_X_EN: 1
; COMPUTE_PGM_RSRC2:TGID_Y_EN: 1
; COMPUTE_PGM_RSRC2:TGID_Z_EN: 1
; COMPUTE_PGM_RSRC2:TIDIG_COMP_CNT: 1
	.section	.text._ZL37rocblas_syrkx_herkx_restricted_kernelIidLi16ELi32ELi8ELi1ELi0ELb0ELc67ELc76EKPKdKPdEviT_PT9_S5_lS7_S5_lPT10_S5_li,"axG",@progbits,_ZL37rocblas_syrkx_herkx_restricted_kernelIidLi16ELi32ELi8ELi1ELi0ELb0ELc67ELc76EKPKdKPdEviT_PT9_S5_lS7_S5_lPT10_S5_li,comdat
	.globl	_ZL37rocblas_syrkx_herkx_restricted_kernelIidLi16ELi32ELi8ELi1ELi0ELb0ELc67ELc76EKPKdKPdEviT_PT9_S5_lS7_S5_lPT10_S5_li ; -- Begin function _ZL37rocblas_syrkx_herkx_restricted_kernelIidLi16ELi32ELi8ELi1ELi0ELb0ELc67ELc76EKPKdKPdEviT_PT9_S5_lS7_S5_lPT10_S5_li
	.p2align	8
	.type	_ZL37rocblas_syrkx_herkx_restricted_kernelIidLi16ELi32ELi8ELi1ELi0ELb0ELc67ELc76EKPKdKPdEviT_PT9_S5_lS7_S5_lPT10_S5_li,@function
_ZL37rocblas_syrkx_herkx_restricted_kernelIidLi16ELi32ELi8ELi1ELi0ELb0ELc67ELc76EKPKdKPdEviT_PT9_S5_lS7_S5_lPT10_S5_li: ; @_ZL37rocblas_syrkx_herkx_restricted_kernelIidLi16ELi32ELi8ELi1ELi0ELb0ELc67ELc76EKPKdKPdEviT_PT9_S5_lS7_S5_lPT10_S5_li
; %bb.0:
	s_load_dwordx2 s[2:3], s[4:5], 0x38
	s_load_dwordx2 s[12:13], s[4:5], 0x0
	s_mov_b32 s9, 0
	s_lshl_b64 s[0:1], s[8:9], 3
	s_waitcnt lgkmcnt(0)
	s_add_u32 s2, s2, s0
	s_addc_u32 s3, s3, s1
	s_load_dwordx2 s[10:11], s[2:3], 0x0
	s_lshl_b32 s2, s6, 5
	s_lshl_b32 s3, s7, 5
	s_cmp_lt_i32 s13, 1
	s_cbranch_scc1 .LBB554_3
; %bb.1:
	s_load_dwordx2 s[6:7], s[4:5], 0x8
	s_load_dword s8, s[4:5], 0x10
	s_load_dwordx2 s[14:15], s[4:5], 0x20
	s_load_dword s16, s[4:5], 0x28
	v_lshl_add_u32 v6, v1, 4, v0
	s_waitcnt lgkmcnt(0)
	s_add_u32 s6, s6, s0
	s_addc_u32 s7, s7, s1
	v_lshrrev_b32_e32 v8, 3, v6
	s_add_u32 s0, s14, s0
	v_add_u32_e32 v4, s3, v8
	v_and_b32_e32 v2, 7, v0
	v_mov_b32_e32 v3, 0
	s_addc_u32 s1, s15, s1
	v_mad_i64_i32 v[4:5], s[14:15], s16, v4, v[2:3]
	v_and_b32_e32 v9, 31, v6
	v_lshlrev_b32_e32 v2, 3, v2
	v_lshrrev_b32_e32 v6, 5, v6
	v_mov_b32_e32 v7, v3
	v_lshlrev_b32_e32 v3, 3, v9
	v_lshl_or_b32 v8, v8, 6, v2
	v_add_u32_e32 v2, s2, v9
	v_lshl_or_b32 v14, v6, 8, v3
	v_mad_i64_i32 v[2:3], s[14:15], s8, v2, v[6:7]
	s_load_dwordx2 s[6:7], s[6:7], 0x0
	v_lshlrev_b64 v[4:5], 3, v[4:5]
	s_load_dwordx2 s[0:1], s[0:1], 0x0
	v_lshlrev_b64 v[2:3], 3, v[2:3]
	v_add_u32_e32 v15, 0x800, v8
	s_waitcnt lgkmcnt(0)
	v_mov_b32_e32 v6, s7
	v_add_co_u32_e32 v2, vcc, s6, v2
	v_addc_co_u32_e32 v3, vcc, v6, v3, vcc
	v_mov_b32_e32 v7, s1
	v_add_co_u32_e32 v6, vcc, s0, v4
	v_mov_b32_e32 v17, 0x800
	v_addc_co_u32_e32 v7, vcc, v7, v5, vcc
	v_mov_b32_e32 v4, 0
	v_mov_b32_e32 v8, 0
	;; [unrolled: 1-line block ×4, first 2 shown]
	v_lshlrev_b32_e32 v16, 3, v0
	v_mov_b32_e32 v5, 0
	v_mov_b32_e32 v9, 0
	;; [unrolled: 1-line block ×4, first 2 shown]
	v_lshl_add_u32 v17, v1, 6, v17
.LBB554_2:                              ; =>This Inner Loop Header: Depth=1
	flat_load_dwordx2 v[18:19], v[2:3]
	v_add_co_u32_e32 v2, vcc, 64, v2
	v_addc_co_u32_e32 v3, vcc, 0, v3, vcc
	s_add_i32 s9, s9, 8
	s_cmp_ge_i32 s9, s13
	s_waitcnt vmcnt(0) lgkmcnt(0)
	ds_write_b64 v14, v[18:19]
	flat_load_dwordx2 v[18:19], v[6:7]
	v_add_co_u32_e32 v6, vcc, 64, v6
	v_addc_co_u32_e32 v7, vcc, 0, v7, vcc
	s_waitcnt vmcnt(0) lgkmcnt(0)
	ds_write_b64 v15, v[18:19]
	s_waitcnt lgkmcnt(0)
	s_barrier
	ds_read2_b64 v[18:21], v16 offset1:16
	ds_read_b128 v[22:25], v17
	ds_read_b128 v[26:29], v17 offset:1024
	ds_read_b128 v[30:33], v17 offset:16
	s_waitcnt lgkmcnt(2)
	v_fma_f64 v[34:35], v[18:19], v[22:23], v[12:13]
	v_fma_f64 v[22:23], v[20:21], v[22:23], v[10:11]
	s_waitcnt lgkmcnt(1)
	v_fma_f64 v[8:9], v[18:19], v[26:27], v[8:9]
	v_fma_f64 v[4:5], v[20:21], v[26:27], v[4:5]
	ds_read2_b64 v[18:21], v16 offset0:32 offset1:48
	ds_read_b128 v[10:13], v17 offset:1040
	s_waitcnt lgkmcnt(1)
	v_fma_f64 v[26:27], v[18:19], v[24:25], v[34:35]
	v_fma_f64 v[34:35], v[20:21], v[24:25], v[22:23]
	v_fma_f64 v[8:9], v[18:19], v[28:29], v[8:9]
	v_fma_f64 v[4:5], v[20:21], v[28:29], v[4:5]
	ds_read2_b64 v[18:21], v16 offset0:64 offset1:80
	ds_read2_b64 v[22:25], v16 offset0:96 offset1:112
	s_waitcnt lgkmcnt(1)
	v_fma_f64 v[26:27], v[18:19], v[30:31], v[26:27]
	v_fma_f64 v[28:29], v[20:21], v[30:31], v[34:35]
	;; [unrolled: 1-line block ×4, first 2 shown]
	ds_read2_b64 v[8:11], v16 offset0:128 offset1:144
	ds_read_b128 v[18:21], v17 offset:32
	s_waitcnt lgkmcnt(2)
	v_fma_f64 v[34:35], v[22:23], v[32:33], v[26:27]
	v_fma_f64 v[32:33], v[24:25], v[32:33], v[28:29]
	;; [unrolled: 1-line block ×4, first 2 shown]
	ds_read_b128 v[22:25], v17 offset:1056
	ds_read_b128 v[26:29], v17 offset:48
	s_waitcnt lgkmcnt(2)
	v_fma_f64 v[12:13], v[8:9], v[18:19], v[34:35]
	v_fma_f64 v[18:19], v[10:11], v[18:19], v[32:33]
	s_waitcnt lgkmcnt(1)
	v_fma_f64 v[34:35], v[8:9], v[22:23], v[36:37]
	v_fma_f64 v[4:5], v[10:11], v[22:23], v[4:5]
	ds_read2_b64 v[8:11], v16 offset0:160 offset1:176
	ds_read_b128 v[30:33], v17 offset:1072
	s_waitcnt lgkmcnt(1)
	v_fma_f64 v[12:13], v[8:9], v[20:21], v[12:13]
	v_fma_f64 v[18:19], v[10:11], v[20:21], v[18:19]
	;; [unrolled: 1-line block ×4, first 2 shown]
	ds_read2_b64 v[8:11], v16 offset0:192 offset1:208
	s_waitcnt lgkmcnt(0)
	v_fma_f64 v[12:13], v[8:9], v[26:27], v[12:13]
	v_fma_f64 v[22:23], v[10:11], v[26:27], v[18:19]
	;; [unrolled: 1-line block ×4, first 2 shown]
	ds_read2_b64 v[18:21], v16 offset0:224 offset1:240
	s_waitcnt lgkmcnt(0)
	s_barrier
	v_fma_f64 v[12:13], v[18:19], v[28:29], v[12:13]
	v_fma_f64 v[10:11], v[20:21], v[28:29], v[22:23]
	;; [unrolled: 1-line block ×4, first 2 shown]
	s_cbranch_scc0 .LBB554_2
	s_branch .LBB554_4
.LBB554_3:
	v_mov_b32_e32 v12, 0
	v_mov_b32_e32 v10, 0
	;; [unrolled: 1-line block ×8, first 2 shown]
.LBB554_4:
	s_load_dword s6, s[4:5], 0x40
	v_add_u32_e32 v6, s3, v1
	s_waitcnt lgkmcnt(0)
	v_mov_b32_e32 v3, s11
	v_add_u32_e32 v0, s2, v0
	v_mad_i64_i32 v[1:2], s[0:1], v6, s6, 0
	v_cmp_le_i32_e64 s[0:1], v6, v0
	v_lshlrev_b64 v[1:2], 3, v[1:2]
	v_add_co_u32_e32 v7, vcc, s10, v1
	v_addc_co_u32_e32 v14, vcc, v3, v2, vcc
	v_cmp_gt_i32_e32 vcc, s12, v0
	s_and_b64 s[0:1], s[0:1], vcc
	s_and_saveexec_b64 s[2:3], s[0:1]
	s_cbranch_execz .LBB554_6
; %bb.5:
	v_ashrrev_i32_e32 v1, 31, v0
	v_lshlrev_b64 v[1:2], 3, v[0:1]
	v_add_co_u32_e64 v1, s[0:1], v7, v1
	v_addc_co_u32_e64 v2, s[0:1], v14, v2, s[0:1]
	flat_store_dwordx2 v[1:2], v[12:13]
.LBB554_6:
	s_or_b64 exec, exec, s[2:3]
	v_add_u32_e32 v2, 16, v0
	v_cmp_le_i32_e64 s[2:3], v6, v2
	v_cmp_gt_i32_e64 s[0:1], s12, v2
	s_and_b64 s[2:3], s[2:3], s[0:1]
	s_and_saveexec_b64 s[4:5], s[2:3]
	s_cbranch_execz .LBB554_8
; %bb.7:
	v_ashrrev_i32_e32 v3, 31, v2
	v_lshlrev_b64 v[12:13], 3, v[2:3]
	v_add_co_u32_e64 v12, s[2:3], v7, v12
	v_addc_co_u32_e64 v13, s[2:3], v14, v13, s[2:3]
	flat_store_dwordx2 v[12:13], v[10:11]
.LBB554_8:
	s_or_b64 exec, exec, s[4:5]
	v_add_u32_e32 v3, 16, v6
	v_mad_i64_i32 v[6:7], s[2:3], v3, s6, 0
	v_mov_b32_e32 v1, s11
	v_lshlrev_b64 v[6:7], 3, v[6:7]
	v_add_co_u32_e64 v6, s[2:3], s10, v6
	v_addc_co_u32_e64 v7, s[2:3], v1, v7, s[2:3]
	v_cmp_le_i32_e64 s[2:3], v3, v0
	s_and_b64 s[4:5], s[2:3], vcc
	s_and_saveexec_b64 s[2:3], s[4:5]
	s_cbranch_execz .LBB554_10
; %bb.9:
	v_ashrrev_i32_e32 v1, 31, v0
	v_lshlrev_b64 v[0:1], 3, v[0:1]
	v_add_co_u32_e32 v0, vcc, v6, v0
	v_addc_co_u32_e32 v1, vcc, v7, v1, vcc
	flat_store_dwordx2 v[0:1], v[8:9]
.LBB554_10:
	s_or_b64 exec, exec, s[2:3]
	v_cmp_le_i32_e32 vcc, v3, v2
	s_and_b64 s[0:1], vcc, s[0:1]
	s_and_saveexec_b64 s[2:3], s[0:1]
	s_cbranch_execz .LBB554_12
; %bb.11:
	v_ashrrev_i32_e32 v3, 31, v2
	v_lshlrev_b64 v[0:1], 3, v[2:3]
	v_add_co_u32_e32 v0, vcc, v6, v0
	v_addc_co_u32_e32 v1, vcc, v7, v1, vcc
	flat_store_dwordx2 v[0:1], v[4:5]
.LBB554_12:
	s_endpgm
	.section	.rodata,"a",@progbits
	.p2align	6, 0x0
	.amdhsa_kernel _ZL37rocblas_syrkx_herkx_restricted_kernelIidLi16ELi32ELi8ELi1ELi0ELb0ELc67ELc76EKPKdKPdEviT_PT9_S5_lS7_S5_lPT10_S5_li
		.amdhsa_group_segment_fixed_size 4096
		.amdhsa_private_segment_fixed_size 0
		.amdhsa_kernarg_size 84
		.amdhsa_user_sgpr_count 6
		.amdhsa_user_sgpr_private_segment_buffer 1
		.amdhsa_user_sgpr_dispatch_ptr 0
		.amdhsa_user_sgpr_queue_ptr 0
		.amdhsa_user_sgpr_kernarg_segment_ptr 1
		.amdhsa_user_sgpr_dispatch_id 0
		.amdhsa_user_sgpr_flat_scratch_init 0
		.amdhsa_user_sgpr_private_segment_size 0
		.amdhsa_uses_dynamic_stack 0
		.amdhsa_system_sgpr_private_segment_wavefront_offset 0
		.amdhsa_system_sgpr_workgroup_id_x 1
		.amdhsa_system_sgpr_workgroup_id_y 1
		.amdhsa_system_sgpr_workgroup_id_z 1
		.amdhsa_system_sgpr_workgroup_info 0
		.amdhsa_system_vgpr_workitem_id 1
		.amdhsa_next_free_vgpr 38
		.amdhsa_next_free_sgpr 17
		.amdhsa_reserve_vcc 1
		.amdhsa_reserve_flat_scratch 0
		.amdhsa_float_round_mode_32 0
		.amdhsa_float_round_mode_16_64 0
		.amdhsa_float_denorm_mode_32 3
		.amdhsa_float_denorm_mode_16_64 3
		.amdhsa_dx10_clamp 1
		.amdhsa_ieee_mode 1
		.amdhsa_fp16_overflow 0
		.amdhsa_exception_fp_ieee_invalid_op 0
		.amdhsa_exception_fp_denorm_src 0
		.amdhsa_exception_fp_ieee_div_zero 0
		.amdhsa_exception_fp_ieee_overflow 0
		.amdhsa_exception_fp_ieee_underflow 0
		.amdhsa_exception_fp_ieee_inexact 0
		.amdhsa_exception_int_div_zero 0
	.end_amdhsa_kernel
	.section	.text._ZL37rocblas_syrkx_herkx_restricted_kernelIidLi16ELi32ELi8ELi1ELi0ELb0ELc67ELc76EKPKdKPdEviT_PT9_S5_lS7_S5_lPT10_S5_li,"axG",@progbits,_ZL37rocblas_syrkx_herkx_restricted_kernelIidLi16ELi32ELi8ELi1ELi0ELb0ELc67ELc76EKPKdKPdEviT_PT9_S5_lS7_S5_lPT10_S5_li,comdat
.Lfunc_end554:
	.size	_ZL37rocblas_syrkx_herkx_restricted_kernelIidLi16ELi32ELi8ELi1ELi0ELb0ELc67ELc76EKPKdKPdEviT_PT9_S5_lS7_S5_lPT10_S5_li, .Lfunc_end554-_ZL37rocblas_syrkx_herkx_restricted_kernelIidLi16ELi32ELi8ELi1ELi0ELb0ELc67ELc76EKPKdKPdEviT_PT9_S5_lS7_S5_lPT10_S5_li
                                        ; -- End function
	.set _ZL37rocblas_syrkx_herkx_restricted_kernelIidLi16ELi32ELi8ELi1ELi0ELb0ELc67ELc76EKPKdKPdEviT_PT9_S5_lS7_S5_lPT10_S5_li.num_vgpr, 38
	.set _ZL37rocblas_syrkx_herkx_restricted_kernelIidLi16ELi32ELi8ELi1ELi0ELb0ELc67ELc76EKPKdKPdEviT_PT9_S5_lS7_S5_lPT10_S5_li.num_agpr, 0
	.set _ZL37rocblas_syrkx_herkx_restricted_kernelIidLi16ELi32ELi8ELi1ELi0ELb0ELc67ELc76EKPKdKPdEviT_PT9_S5_lS7_S5_lPT10_S5_li.numbered_sgpr, 17
	.set _ZL37rocblas_syrkx_herkx_restricted_kernelIidLi16ELi32ELi8ELi1ELi0ELb0ELc67ELc76EKPKdKPdEviT_PT9_S5_lS7_S5_lPT10_S5_li.num_named_barrier, 0
	.set _ZL37rocblas_syrkx_herkx_restricted_kernelIidLi16ELi32ELi8ELi1ELi0ELb0ELc67ELc76EKPKdKPdEviT_PT9_S5_lS7_S5_lPT10_S5_li.private_seg_size, 0
	.set _ZL37rocblas_syrkx_herkx_restricted_kernelIidLi16ELi32ELi8ELi1ELi0ELb0ELc67ELc76EKPKdKPdEviT_PT9_S5_lS7_S5_lPT10_S5_li.uses_vcc, 1
	.set _ZL37rocblas_syrkx_herkx_restricted_kernelIidLi16ELi32ELi8ELi1ELi0ELb0ELc67ELc76EKPKdKPdEviT_PT9_S5_lS7_S5_lPT10_S5_li.uses_flat_scratch, 0
	.set _ZL37rocblas_syrkx_herkx_restricted_kernelIidLi16ELi32ELi8ELi1ELi0ELb0ELc67ELc76EKPKdKPdEviT_PT9_S5_lS7_S5_lPT10_S5_li.has_dyn_sized_stack, 0
	.set _ZL37rocblas_syrkx_herkx_restricted_kernelIidLi16ELi32ELi8ELi1ELi0ELb0ELc67ELc76EKPKdKPdEviT_PT9_S5_lS7_S5_lPT10_S5_li.has_recursion, 0
	.set _ZL37rocblas_syrkx_herkx_restricted_kernelIidLi16ELi32ELi8ELi1ELi0ELb0ELc67ELc76EKPKdKPdEviT_PT9_S5_lS7_S5_lPT10_S5_li.has_indirect_call, 0
	.section	.AMDGPU.csdata,"",@progbits
; Kernel info:
; codeLenInByte = 1176
; TotalNumSgprs: 21
; NumVgprs: 38
; ScratchSize: 0
; MemoryBound: 0
; FloatMode: 240
; IeeeMode: 1
; LDSByteSize: 4096 bytes/workgroup (compile time only)
; SGPRBlocks: 2
; VGPRBlocks: 9
; NumSGPRsForWavesPerEU: 21
; NumVGPRsForWavesPerEU: 38
; Occupancy: 6
; WaveLimiterHint : 1
; COMPUTE_PGM_RSRC2:SCRATCH_EN: 0
; COMPUTE_PGM_RSRC2:USER_SGPR: 6
; COMPUTE_PGM_RSRC2:TRAP_HANDLER: 0
; COMPUTE_PGM_RSRC2:TGID_X_EN: 1
; COMPUTE_PGM_RSRC2:TGID_Y_EN: 1
; COMPUTE_PGM_RSRC2:TGID_Z_EN: 1
; COMPUTE_PGM_RSRC2:TIDIG_COMP_CNT: 1
	.section	.text._ZL37rocblas_syrkx_herkx_restricted_kernelIidLi16ELi32ELi8ELi1ELi0ELb0ELc78ELc76EKPKdKPdEviT_PT9_S5_lS7_S5_lPT10_S5_li,"axG",@progbits,_ZL37rocblas_syrkx_herkx_restricted_kernelIidLi16ELi32ELi8ELi1ELi0ELb0ELc78ELc76EKPKdKPdEviT_PT9_S5_lS7_S5_lPT10_S5_li,comdat
	.globl	_ZL37rocblas_syrkx_herkx_restricted_kernelIidLi16ELi32ELi8ELi1ELi0ELb0ELc78ELc76EKPKdKPdEviT_PT9_S5_lS7_S5_lPT10_S5_li ; -- Begin function _ZL37rocblas_syrkx_herkx_restricted_kernelIidLi16ELi32ELi8ELi1ELi0ELb0ELc78ELc76EKPKdKPdEviT_PT9_S5_lS7_S5_lPT10_S5_li
	.p2align	8
	.type	_ZL37rocblas_syrkx_herkx_restricted_kernelIidLi16ELi32ELi8ELi1ELi0ELb0ELc78ELc76EKPKdKPdEviT_PT9_S5_lS7_S5_lPT10_S5_li,@function
_ZL37rocblas_syrkx_herkx_restricted_kernelIidLi16ELi32ELi8ELi1ELi0ELb0ELc78ELc76EKPKdKPdEviT_PT9_S5_lS7_S5_lPT10_S5_li: ; @_ZL37rocblas_syrkx_herkx_restricted_kernelIidLi16ELi32ELi8ELi1ELi0ELb0ELc78ELc76EKPKdKPdEviT_PT9_S5_lS7_S5_lPT10_S5_li
; %bb.0:
	s_load_dwordx2 s[2:3], s[4:5], 0x38
	s_load_dwordx2 s[12:13], s[4:5], 0x0
	s_mov_b32 s9, 0
	s_lshl_b64 s[0:1], s[8:9], 3
	s_waitcnt lgkmcnt(0)
	s_add_u32 s2, s2, s0
	s_addc_u32 s3, s3, s1
	s_load_dwordx2 s[10:11], s[2:3], 0x0
	s_lshl_b32 s6, s6, 5
	s_lshl_b32 s7, s7, 5
	s_cmp_lt_i32 s13, 1
	s_cbranch_scc1 .LBB555_3
; %bb.1:
	s_load_dword s2, s[4:5], 0x10
	s_load_dword s14, s[4:5], 0x28
	s_load_dwordx2 s[16:17], s[4:5], 0x20
	s_load_dwordx2 s[18:19], s[4:5], 0x8
	v_lshl_add_u32 v7, v1, 4, v0
	s_waitcnt lgkmcnt(0)
	s_ashr_i32 s3, s2, 31
	s_ashr_i32 s15, s14, 31
	v_lshrrev_b32_e32 v8, 3, v7
	s_add_u32 s18, s18, s0
	s_addc_u32 s19, s19, s1
	s_add_u32 s0, s16, s0
	v_add_u32_e32 v2, s7, v8
	s_addc_u32 s1, s17, s1
	v_and_b32_e32 v6, 7, v0
	v_ashrrev_i32_e32 v3, 31, v2
	s_load_dwordx2 s[16:17], s[0:1], 0x0
	v_mad_i64_i32 v[4:5], s[0:1], s14, v6, v[2:3]
	v_and_b32_e32 v2, 31, v7
	v_lshrrev_b32_e32 v9, 5, v7
	v_lshlrev_b32_e32 v3, 3, v2
	v_lshl_or_b32 v14, v9, 8, v3
	v_lshlrev_b32_e32 v3, 3, v6
	v_lshl_or_b32 v3, v8, 6, v3
	v_add_u32_e32 v2, s6, v2
	v_add_u32_e32 v15, 0x800, v3
	v_ashrrev_i32_e32 v3, 31, v2
	v_mad_i64_i32 v[2:3], s[0:1], s2, v9, v[2:3]
	s_load_dwordx2 s[18:19], s[18:19], 0x0
	v_mov_b32_e32 v6, 0x800
	v_lshlrev_b64 v[2:3], 3, v[2:3]
	v_lshl_add_u32 v17, v1, 6, v6
	v_lshlrev_b64 v[4:5], 3, v[4:5]
	s_waitcnt lgkmcnt(0)
	v_mov_b32_e32 v6, s19
	v_add_co_u32_e32 v2, vcc, s18, v2
	v_addc_co_u32_e32 v3, vcc, v6, v3, vcc
	v_mov_b32_e32 v7, s17
	v_add_co_u32_e32 v6, vcc, s16, v4
	s_lshl_b64 s[0:1], s[2:3], 6
	v_addc_co_u32_e32 v7, vcc, v7, v5, vcc
	s_lshl_b64 s[2:3], s[14:15], 6
	v_mov_b32_e32 v4, 0
	v_mov_b32_e32 v8, 0
	;; [unrolled: 1-line block ×4, first 2 shown]
	v_lshlrev_b32_e32 v16, 3, v0
	v_mov_b32_e32 v5, 0
	v_mov_b32_e32 v18, s1
	;; [unrolled: 1-line block ×6, first 2 shown]
.LBB555_2:                              ; =>This Inner Loop Header: Depth=1
	flat_load_dwordx2 v[20:21], v[2:3]
	v_add_co_u32_e32 v2, vcc, s0, v2
	v_addc_co_u32_e32 v3, vcc, v3, v18, vcc
	s_add_i32 s9, s9, 8
	s_cmp_ge_i32 s9, s13
	s_waitcnt vmcnt(0) lgkmcnt(0)
	ds_write_b64 v14, v[20:21]
	flat_load_dwordx2 v[20:21], v[6:7]
	v_add_co_u32_e32 v6, vcc, s2, v6
	v_addc_co_u32_e32 v7, vcc, v7, v19, vcc
	s_waitcnt vmcnt(0) lgkmcnt(0)
	ds_write_b64 v15, v[20:21]
	s_waitcnt lgkmcnt(0)
	s_barrier
	ds_read2_b64 v[20:23], v16 offset1:16
	ds_read_b128 v[24:27], v17
	ds_read_b128 v[28:31], v17 offset:16
	s_waitcnt lgkmcnt(1)
	v_fma_f64 v[36:37], v[20:21], v[24:25], v[12:13]
	v_fma_f64 v[24:25], v[22:23], v[24:25], v[10:11]
	ds_read_b128 v[10:13], v17 offset:1024
	ds_read_b128 v[32:35], v17 offset:1040
	s_waitcnt lgkmcnt(1)
	v_fma_f64 v[20:21], v[20:21], v[10:11], v[8:9]
	v_fma_f64 v[4:5], v[22:23], v[10:11], v[4:5]
	ds_read2_b64 v[8:11], v16 offset0:32 offset1:48
	s_waitcnt lgkmcnt(0)
	v_fma_f64 v[22:23], v[8:9], v[26:27], v[36:37]
	v_fma_f64 v[24:25], v[10:11], v[26:27], v[24:25]
	v_fma_f64 v[20:21], v[8:9], v[12:13], v[20:21]
	v_fma_f64 v[4:5], v[10:11], v[12:13], v[4:5]
	ds_read2_b64 v[8:11], v16 offset0:64 offset1:80
	s_waitcnt lgkmcnt(0)
	v_fma_f64 v[12:13], v[8:9], v[28:29], v[22:23]
	v_fma_f64 v[22:23], v[10:11], v[28:29], v[24:25]
	;; [unrolled: 6-line block ×3, first 2 shown]
	ds_read2_b64 v[20:23], v16 offset0:128 offset1:144
	v_fma_f64 v[36:37], v[8:9], v[34:35], v[24:25]
	v_fma_f64 v[4:5], v[10:11], v[34:35], v[4:5]
	ds_read_b128 v[8:11], v17 offset:32
	ds_read_b128 v[24:27], v17 offset:48
	s_waitcnt lgkmcnt(1)
	v_fma_f64 v[12:13], v[20:21], v[8:9], v[12:13]
	v_fma_f64 v[8:9], v[22:23], v[8:9], v[28:29]
	ds_read_b128 v[28:31], v17 offset:1056
	ds_read_b128 v[32:35], v17 offset:1072
	s_waitcnt lgkmcnt(1)
	v_fma_f64 v[36:37], v[20:21], v[28:29], v[36:37]
	v_fma_f64 v[4:5], v[22:23], v[28:29], v[4:5]
	ds_read2_b64 v[20:23], v16 offset0:160 offset1:176
	s_waitcnt lgkmcnt(0)
	v_fma_f64 v[12:13], v[20:21], v[10:11], v[12:13]
	v_fma_f64 v[28:29], v[22:23], v[10:11], v[8:9]
	;; [unrolled: 1-line block ×4, first 2 shown]
	ds_read2_b64 v[8:11], v16 offset0:192 offset1:208
	s_waitcnt lgkmcnt(0)
	v_fma_f64 v[12:13], v[8:9], v[24:25], v[12:13]
	v_fma_f64 v[24:25], v[10:11], v[24:25], v[28:29]
	;; [unrolled: 1-line block ×4, first 2 shown]
	ds_read2_b64 v[20:23], v16 offset0:224 offset1:240
	s_waitcnt lgkmcnt(0)
	s_barrier
	v_fma_f64 v[12:13], v[20:21], v[26:27], v[12:13]
	v_fma_f64 v[10:11], v[22:23], v[26:27], v[24:25]
	;; [unrolled: 1-line block ×4, first 2 shown]
	s_cbranch_scc0 .LBB555_2
	s_branch .LBB555_4
.LBB555_3:
	v_mov_b32_e32 v12, 0
	v_mov_b32_e32 v10, 0
	;; [unrolled: 1-line block ×8, first 2 shown]
.LBB555_4:
	s_load_dword s8, s[4:5], 0x40
	v_add_u32_e32 v6, s7, v1
	s_waitcnt lgkmcnt(0)
	v_mov_b32_e32 v3, s11
	v_add_u32_e32 v0, s6, v0
	v_mad_i64_i32 v[1:2], s[0:1], v6, s8, 0
	v_cmp_le_i32_e64 s[0:1], v6, v0
	v_lshlrev_b64 v[1:2], 3, v[1:2]
	v_add_co_u32_e32 v7, vcc, s10, v1
	v_addc_co_u32_e32 v14, vcc, v3, v2, vcc
	v_cmp_gt_i32_e32 vcc, s12, v0
	s_and_b64 s[0:1], s[0:1], vcc
	s_and_saveexec_b64 s[2:3], s[0:1]
	s_cbranch_execz .LBB555_6
; %bb.5:
	v_ashrrev_i32_e32 v1, 31, v0
	v_lshlrev_b64 v[1:2], 3, v[0:1]
	v_add_co_u32_e64 v1, s[0:1], v7, v1
	v_addc_co_u32_e64 v2, s[0:1], v14, v2, s[0:1]
	flat_store_dwordx2 v[1:2], v[12:13]
.LBB555_6:
	s_or_b64 exec, exec, s[2:3]
	v_add_u32_e32 v2, 16, v0
	v_cmp_le_i32_e64 s[2:3], v6, v2
	v_cmp_gt_i32_e64 s[0:1], s12, v2
	s_and_b64 s[2:3], s[2:3], s[0:1]
	s_and_saveexec_b64 s[4:5], s[2:3]
	s_cbranch_execz .LBB555_8
; %bb.7:
	v_ashrrev_i32_e32 v3, 31, v2
	v_lshlrev_b64 v[12:13], 3, v[2:3]
	v_add_co_u32_e64 v12, s[2:3], v7, v12
	v_addc_co_u32_e64 v13, s[2:3], v14, v13, s[2:3]
	flat_store_dwordx2 v[12:13], v[10:11]
.LBB555_8:
	s_or_b64 exec, exec, s[4:5]
	v_add_u32_e32 v3, 16, v6
	v_mad_i64_i32 v[6:7], s[2:3], v3, s8, 0
	v_mov_b32_e32 v1, s11
	v_lshlrev_b64 v[6:7], 3, v[6:7]
	v_add_co_u32_e64 v6, s[2:3], s10, v6
	v_addc_co_u32_e64 v7, s[2:3], v1, v7, s[2:3]
	v_cmp_le_i32_e64 s[2:3], v3, v0
	s_and_b64 s[4:5], s[2:3], vcc
	s_and_saveexec_b64 s[2:3], s[4:5]
	s_cbranch_execz .LBB555_10
; %bb.9:
	v_ashrrev_i32_e32 v1, 31, v0
	v_lshlrev_b64 v[0:1], 3, v[0:1]
	v_add_co_u32_e32 v0, vcc, v6, v0
	v_addc_co_u32_e32 v1, vcc, v7, v1, vcc
	flat_store_dwordx2 v[0:1], v[8:9]
.LBB555_10:
	s_or_b64 exec, exec, s[2:3]
	v_cmp_le_i32_e32 vcc, v3, v2
	s_and_b64 s[0:1], vcc, s[0:1]
	s_and_saveexec_b64 s[2:3], s[0:1]
	s_cbranch_execz .LBB555_12
; %bb.11:
	v_ashrrev_i32_e32 v3, 31, v2
	v_lshlrev_b64 v[0:1], 3, v[2:3]
	v_add_co_u32_e32 v0, vcc, v6, v0
	v_addc_co_u32_e32 v1, vcc, v7, v1, vcc
	flat_store_dwordx2 v[0:1], v[4:5]
.LBB555_12:
	s_endpgm
	.section	.rodata,"a",@progbits
	.p2align	6, 0x0
	.amdhsa_kernel _ZL37rocblas_syrkx_herkx_restricted_kernelIidLi16ELi32ELi8ELi1ELi0ELb0ELc78ELc76EKPKdKPdEviT_PT9_S5_lS7_S5_lPT10_S5_li
		.amdhsa_group_segment_fixed_size 4096
		.amdhsa_private_segment_fixed_size 0
		.amdhsa_kernarg_size 84
		.amdhsa_user_sgpr_count 6
		.amdhsa_user_sgpr_private_segment_buffer 1
		.amdhsa_user_sgpr_dispatch_ptr 0
		.amdhsa_user_sgpr_queue_ptr 0
		.amdhsa_user_sgpr_kernarg_segment_ptr 1
		.amdhsa_user_sgpr_dispatch_id 0
		.amdhsa_user_sgpr_flat_scratch_init 0
		.amdhsa_user_sgpr_private_segment_size 0
		.amdhsa_uses_dynamic_stack 0
		.amdhsa_system_sgpr_private_segment_wavefront_offset 0
		.amdhsa_system_sgpr_workgroup_id_x 1
		.amdhsa_system_sgpr_workgroup_id_y 1
		.amdhsa_system_sgpr_workgroup_id_z 1
		.amdhsa_system_sgpr_workgroup_info 0
		.amdhsa_system_vgpr_workitem_id 1
		.amdhsa_next_free_vgpr 38
		.amdhsa_next_free_sgpr 20
		.amdhsa_reserve_vcc 1
		.amdhsa_reserve_flat_scratch 0
		.amdhsa_float_round_mode_32 0
		.amdhsa_float_round_mode_16_64 0
		.amdhsa_float_denorm_mode_32 3
		.amdhsa_float_denorm_mode_16_64 3
		.amdhsa_dx10_clamp 1
		.amdhsa_ieee_mode 1
		.amdhsa_fp16_overflow 0
		.amdhsa_exception_fp_ieee_invalid_op 0
		.amdhsa_exception_fp_denorm_src 0
		.amdhsa_exception_fp_ieee_div_zero 0
		.amdhsa_exception_fp_ieee_overflow 0
		.amdhsa_exception_fp_ieee_underflow 0
		.amdhsa_exception_fp_ieee_inexact 0
		.amdhsa_exception_int_div_zero 0
	.end_amdhsa_kernel
	.section	.text._ZL37rocblas_syrkx_herkx_restricted_kernelIidLi16ELi32ELi8ELi1ELi0ELb0ELc78ELc76EKPKdKPdEviT_PT9_S5_lS7_S5_lPT10_S5_li,"axG",@progbits,_ZL37rocblas_syrkx_herkx_restricted_kernelIidLi16ELi32ELi8ELi1ELi0ELb0ELc78ELc76EKPKdKPdEviT_PT9_S5_lS7_S5_lPT10_S5_li,comdat
.Lfunc_end555:
	.size	_ZL37rocblas_syrkx_herkx_restricted_kernelIidLi16ELi32ELi8ELi1ELi0ELb0ELc78ELc76EKPKdKPdEviT_PT9_S5_lS7_S5_lPT10_S5_li, .Lfunc_end555-_ZL37rocblas_syrkx_herkx_restricted_kernelIidLi16ELi32ELi8ELi1ELi0ELb0ELc78ELc76EKPKdKPdEviT_PT9_S5_lS7_S5_lPT10_S5_li
                                        ; -- End function
	.set _ZL37rocblas_syrkx_herkx_restricted_kernelIidLi16ELi32ELi8ELi1ELi0ELb0ELc78ELc76EKPKdKPdEviT_PT9_S5_lS7_S5_lPT10_S5_li.num_vgpr, 38
	.set _ZL37rocblas_syrkx_herkx_restricted_kernelIidLi16ELi32ELi8ELi1ELi0ELb0ELc78ELc76EKPKdKPdEviT_PT9_S5_lS7_S5_lPT10_S5_li.num_agpr, 0
	.set _ZL37rocblas_syrkx_herkx_restricted_kernelIidLi16ELi32ELi8ELi1ELi0ELb0ELc78ELc76EKPKdKPdEviT_PT9_S5_lS7_S5_lPT10_S5_li.numbered_sgpr, 20
	.set _ZL37rocblas_syrkx_herkx_restricted_kernelIidLi16ELi32ELi8ELi1ELi0ELb0ELc78ELc76EKPKdKPdEviT_PT9_S5_lS7_S5_lPT10_S5_li.num_named_barrier, 0
	.set _ZL37rocblas_syrkx_herkx_restricted_kernelIidLi16ELi32ELi8ELi1ELi0ELb0ELc78ELc76EKPKdKPdEviT_PT9_S5_lS7_S5_lPT10_S5_li.private_seg_size, 0
	.set _ZL37rocblas_syrkx_herkx_restricted_kernelIidLi16ELi32ELi8ELi1ELi0ELb0ELc78ELc76EKPKdKPdEviT_PT9_S5_lS7_S5_lPT10_S5_li.uses_vcc, 1
	.set _ZL37rocblas_syrkx_herkx_restricted_kernelIidLi16ELi32ELi8ELi1ELi0ELb0ELc78ELc76EKPKdKPdEviT_PT9_S5_lS7_S5_lPT10_S5_li.uses_flat_scratch, 0
	.set _ZL37rocblas_syrkx_herkx_restricted_kernelIidLi16ELi32ELi8ELi1ELi0ELb0ELc78ELc76EKPKdKPdEviT_PT9_S5_lS7_S5_lPT10_S5_li.has_dyn_sized_stack, 0
	.set _ZL37rocblas_syrkx_herkx_restricted_kernelIidLi16ELi32ELi8ELi1ELi0ELb0ELc78ELc76EKPKdKPdEviT_PT9_S5_lS7_S5_lPT10_S5_li.has_recursion, 0
	.set _ZL37rocblas_syrkx_herkx_restricted_kernelIidLi16ELi32ELi8ELi1ELi0ELb0ELc78ELc76EKPKdKPdEviT_PT9_S5_lS7_S5_lPT10_S5_li.has_indirect_call, 0
	.section	.AMDGPU.csdata,"",@progbits
; Kernel info:
; codeLenInByte = 1200
; TotalNumSgprs: 24
; NumVgprs: 38
; ScratchSize: 0
; MemoryBound: 0
; FloatMode: 240
; IeeeMode: 1
; LDSByteSize: 4096 bytes/workgroup (compile time only)
; SGPRBlocks: 2
; VGPRBlocks: 9
; NumSGPRsForWavesPerEU: 24
; NumVGPRsForWavesPerEU: 38
; Occupancy: 6
; WaveLimiterHint : 1
; COMPUTE_PGM_RSRC2:SCRATCH_EN: 0
; COMPUTE_PGM_RSRC2:USER_SGPR: 6
; COMPUTE_PGM_RSRC2:TRAP_HANDLER: 0
; COMPUTE_PGM_RSRC2:TGID_X_EN: 1
; COMPUTE_PGM_RSRC2:TGID_Y_EN: 1
; COMPUTE_PGM_RSRC2:TGID_Z_EN: 1
; COMPUTE_PGM_RSRC2:TIDIG_COMP_CNT: 1
	.section	.text._ZL37rocblas_syrkx_herkx_restricted_kernelIidLi16ELi32ELi8ELi1ELi0ELb0ELc84ELc85EKPKdKPdEviT_PT9_S5_lS7_S5_lPT10_S5_li,"axG",@progbits,_ZL37rocblas_syrkx_herkx_restricted_kernelIidLi16ELi32ELi8ELi1ELi0ELb0ELc84ELc85EKPKdKPdEviT_PT9_S5_lS7_S5_lPT10_S5_li,comdat
	.globl	_ZL37rocblas_syrkx_herkx_restricted_kernelIidLi16ELi32ELi8ELi1ELi0ELb0ELc84ELc85EKPKdKPdEviT_PT9_S5_lS7_S5_lPT10_S5_li ; -- Begin function _ZL37rocblas_syrkx_herkx_restricted_kernelIidLi16ELi32ELi8ELi1ELi0ELb0ELc84ELc85EKPKdKPdEviT_PT9_S5_lS7_S5_lPT10_S5_li
	.p2align	8
	.type	_ZL37rocblas_syrkx_herkx_restricted_kernelIidLi16ELi32ELi8ELi1ELi0ELb0ELc84ELc85EKPKdKPdEviT_PT9_S5_lS7_S5_lPT10_S5_li,@function
_ZL37rocblas_syrkx_herkx_restricted_kernelIidLi16ELi32ELi8ELi1ELi0ELb0ELc84ELc85EKPKdKPdEviT_PT9_S5_lS7_S5_lPT10_S5_li: ; @_ZL37rocblas_syrkx_herkx_restricted_kernelIidLi16ELi32ELi8ELi1ELi0ELb0ELc84ELc85EKPKdKPdEviT_PT9_S5_lS7_S5_lPT10_S5_li
; %bb.0:
	s_load_dwordx2 s[10:11], s[4:5], 0x38
	s_load_dwordx2 s[2:3], s[4:5], 0x0
	s_mov_b32 s9, 0
	s_lshl_b64 s[0:1], s[8:9], 3
	s_waitcnt lgkmcnt(0)
	s_add_u32 s10, s10, s0
	s_addc_u32 s11, s11, s1
	s_load_dwordx2 s[10:11], s[10:11], 0x0
	s_lshl_b32 s6, s6, 5
	s_lshl_b32 s7, s7, 5
	s_cmp_lt_i32 s3, 1
	s_cbranch_scc1 .LBB556_3
; %bb.1:
	s_load_dwordx2 s[12:13], s[4:5], 0x8
	s_load_dword s8, s[4:5], 0x10
	s_load_dwordx2 s[14:15], s[4:5], 0x20
	s_load_dword s16, s[4:5], 0x28
	v_lshl_add_u32 v6, v1, 4, v0
	s_waitcnt lgkmcnt(0)
	s_add_u32 s12, s12, s0
	s_addc_u32 s13, s13, s1
	v_lshrrev_b32_e32 v8, 3, v6
	s_add_u32 s0, s14, s0
	v_add_u32_e32 v4, s7, v8
	v_and_b32_e32 v2, 7, v0
	v_mov_b32_e32 v3, 0
	s_addc_u32 s1, s15, s1
	v_mad_i64_i32 v[4:5], s[14:15], s16, v4, v[2:3]
	v_and_b32_e32 v9, 31, v6
	v_lshlrev_b32_e32 v2, 3, v2
	v_lshrrev_b32_e32 v6, 5, v6
	v_mov_b32_e32 v7, v3
	v_lshlrev_b32_e32 v3, 3, v9
	v_lshl_or_b32 v8, v8, 6, v2
	v_add_u32_e32 v2, s6, v9
	v_lshl_or_b32 v14, v6, 8, v3
	v_mad_i64_i32 v[2:3], s[14:15], s8, v2, v[6:7]
	s_load_dwordx2 s[12:13], s[12:13], 0x0
	v_lshlrev_b64 v[4:5], 3, v[4:5]
	s_load_dwordx2 s[0:1], s[0:1], 0x0
	v_lshlrev_b64 v[2:3], 3, v[2:3]
	v_add_u32_e32 v15, 0x800, v8
	s_waitcnt lgkmcnt(0)
	v_mov_b32_e32 v6, s13
	v_add_co_u32_e32 v2, vcc, s12, v2
	v_addc_co_u32_e32 v3, vcc, v6, v3, vcc
	v_mov_b32_e32 v7, s1
	v_add_co_u32_e32 v6, vcc, s0, v4
	v_mov_b32_e32 v17, 0x800
	v_addc_co_u32_e32 v7, vcc, v7, v5, vcc
	v_mov_b32_e32 v4, 0
	v_mov_b32_e32 v8, 0
	;; [unrolled: 1-line block ×4, first 2 shown]
	v_lshlrev_b32_e32 v16, 3, v0
	v_mov_b32_e32 v5, 0
	v_mov_b32_e32 v9, 0
	;; [unrolled: 1-line block ×4, first 2 shown]
	v_lshl_add_u32 v17, v1, 6, v17
.LBB556_2:                              ; =>This Inner Loop Header: Depth=1
	flat_load_dwordx2 v[18:19], v[2:3]
	v_add_co_u32_e32 v2, vcc, 64, v2
	v_addc_co_u32_e32 v3, vcc, 0, v3, vcc
	s_add_i32 s9, s9, 8
	s_cmp_ge_i32 s9, s3
	s_waitcnt vmcnt(0) lgkmcnt(0)
	ds_write_b64 v14, v[18:19]
	flat_load_dwordx2 v[18:19], v[6:7]
	v_add_co_u32_e32 v6, vcc, 64, v6
	v_addc_co_u32_e32 v7, vcc, 0, v7, vcc
	s_waitcnt vmcnt(0) lgkmcnt(0)
	ds_write_b64 v15, v[18:19]
	s_waitcnt lgkmcnt(0)
	s_barrier
	ds_read2_b64 v[18:21], v16 offset1:16
	ds_read_b128 v[22:25], v17
	ds_read_b128 v[26:29], v17 offset:1024
	ds_read_b128 v[30:33], v17 offset:16
	s_waitcnt lgkmcnt(2)
	v_fma_f64 v[34:35], v[18:19], v[22:23], v[12:13]
	v_fma_f64 v[22:23], v[20:21], v[22:23], v[10:11]
	s_waitcnt lgkmcnt(1)
	v_fma_f64 v[8:9], v[18:19], v[26:27], v[8:9]
	v_fma_f64 v[4:5], v[20:21], v[26:27], v[4:5]
	ds_read2_b64 v[18:21], v16 offset0:32 offset1:48
	ds_read_b128 v[10:13], v17 offset:1040
	s_waitcnt lgkmcnt(1)
	v_fma_f64 v[26:27], v[18:19], v[24:25], v[34:35]
	v_fma_f64 v[34:35], v[20:21], v[24:25], v[22:23]
	;; [unrolled: 1-line block ×4, first 2 shown]
	ds_read2_b64 v[18:21], v16 offset0:64 offset1:80
	ds_read2_b64 v[22:25], v16 offset0:96 offset1:112
	s_waitcnt lgkmcnt(1)
	v_fma_f64 v[26:27], v[18:19], v[30:31], v[26:27]
	v_fma_f64 v[28:29], v[20:21], v[30:31], v[34:35]
	;; [unrolled: 1-line block ×4, first 2 shown]
	ds_read2_b64 v[8:11], v16 offset0:128 offset1:144
	ds_read_b128 v[18:21], v17 offset:32
	s_waitcnt lgkmcnt(2)
	v_fma_f64 v[34:35], v[22:23], v[32:33], v[26:27]
	v_fma_f64 v[32:33], v[24:25], v[32:33], v[28:29]
	;; [unrolled: 1-line block ×4, first 2 shown]
	ds_read_b128 v[22:25], v17 offset:1056
	ds_read_b128 v[26:29], v17 offset:48
	s_waitcnt lgkmcnt(2)
	v_fma_f64 v[12:13], v[8:9], v[18:19], v[34:35]
	v_fma_f64 v[18:19], v[10:11], v[18:19], v[32:33]
	s_waitcnt lgkmcnt(1)
	v_fma_f64 v[34:35], v[8:9], v[22:23], v[36:37]
	v_fma_f64 v[4:5], v[10:11], v[22:23], v[4:5]
	ds_read2_b64 v[8:11], v16 offset0:160 offset1:176
	ds_read_b128 v[30:33], v17 offset:1072
	s_waitcnt lgkmcnt(1)
	v_fma_f64 v[12:13], v[8:9], v[20:21], v[12:13]
	v_fma_f64 v[18:19], v[10:11], v[20:21], v[18:19]
	v_fma_f64 v[20:21], v[8:9], v[24:25], v[34:35]
	v_fma_f64 v[4:5], v[10:11], v[24:25], v[4:5]
	ds_read2_b64 v[8:11], v16 offset0:192 offset1:208
	s_waitcnt lgkmcnt(0)
	v_fma_f64 v[12:13], v[8:9], v[26:27], v[12:13]
	v_fma_f64 v[22:23], v[10:11], v[26:27], v[18:19]
	;; [unrolled: 1-line block ×4, first 2 shown]
	ds_read2_b64 v[18:21], v16 offset0:224 offset1:240
	s_waitcnt lgkmcnt(0)
	s_barrier
	v_fma_f64 v[12:13], v[18:19], v[28:29], v[12:13]
	v_fma_f64 v[10:11], v[20:21], v[28:29], v[22:23]
	;; [unrolled: 1-line block ×4, first 2 shown]
	s_cbranch_scc0 .LBB556_2
	s_branch .LBB556_4
.LBB556_3:
	v_mov_b32_e32 v12, 0
	v_mov_b32_e32 v10, 0
	;; [unrolled: 1-line block ×8, first 2 shown]
.LBB556_4:
	s_load_dword s3, s[4:5], 0x40
	v_add_u32_e32 v6, s7, v1
	s_waitcnt lgkmcnt(0)
	v_mov_b32_e32 v3, s11
	v_add_u32_e32 v0, s6, v0
	v_cmp_gt_i32_e32 vcc, s2, v6
	v_mad_i64_i32 v[1:2], s[0:1], v6, s3, 0
	v_lshlrev_b64 v[1:2], 3, v[1:2]
	v_add_co_u32_e64 v7, s[0:1], s10, v1
	v_addc_co_u32_e64 v14, s[0:1], v3, v2, s[0:1]
	v_cmp_le_i32_e64 s[0:1], v0, v6
	s_and_b64 s[0:1], vcc, s[0:1]
	s_and_saveexec_b64 s[4:5], s[0:1]
	s_cbranch_execz .LBB556_6
; %bb.5:
	v_ashrrev_i32_e32 v1, 31, v0
	v_lshlrev_b64 v[1:2], 3, v[0:1]
	v_add_co_u32_e64 v1, s[0:1], v7, v1
	v_addc_co_u32_e64 v2, s[0:1], v14, v2, s[0:1]
	flat_store_dwordx2 v[1:2], v[12:13]
.LBB556_6:
	s_or_b64 exec, exec, s[4:5]
	v_add_u32_e32 v2, 16, v0
	v_cmp_le_i32_e64 s[0:1], v2, v6
	s_and_b64 s[4:5], vcc, s[0:1]
	s_and_saveexec_b64 s[0:1], s[4:5]
	s_cbranch_execz .LBB556_8
; %bb.7:
	v_ashrrev_i32_e32 v3, 31, v2
	v_lshlrev_b64 v[12:13], 3, v[2:3]
	v_add_co_u32_e32 v12, vcc, v7, v12
	v_addc_co_u32_e32 v13, vcc, v14, v13, vcc
	flat_store_dwordx2 v[12:13], v[10:11]
.LBB556_8:
	s_or_b64 exec, exec, s[0:1]
	v_add_u32_e32 v3, 16, v6
	v_mad_i64_i32 v[6:7], s[0:1], v3, s3, 0
	v_mov_b32_e32 v1, s11
	v_cmp_gt_i32_e32 vcc, s2, v3
	v_lshlrev_b64 v[6:7], 3, v[6:7]
	v_add_co_u32_e64 v6, s[0:1], s10, v6
	v_addc_co_u32_e64 v7, s[0:1], v1, v7, s[0:1]
	v_cmp_le_i32_e64 s[0:1], v0, v3
	s_and_b64 s[0:1], vcc, s[0:1]
	s_and_saveexec_b64 s[2:3], s[0:1]
	s_cbranch_execz .LBB556_10
; %bb.9:
	v_ashrrev_i32_e32 v1, 31, v0
	v_lshlrev_b64 v[0:1], 3, v[0:1]
	v_add_co_u32_e64 v0, s[0:1], v6, v0
	v_addc_co_u32_e64 v1, s[0:1], v7, v1, s[0:1]
	flat_store_dwordx2 v[0:1], v[8:9]
.LBB556_10:
	s_or_b64 exec, exec, s[2:3]
	v_cmp_le_i32_e64 s[0:1], v2, v3
	s_and_b64 s[0:1], vcc, s[0:1]
	s_and_saveexec_b64 s[2:3], s[0:1]
	s_cbranch_execz .LBB556_12
; %bb.11:
	v_ashrrev_i32_e32 v3, 31, v2
	v_lshlrev_b64 v[0:1], 3, v[2:3]
	v_add_co_u32_e32 v0, vcc, v6, v0
	v_addc_co_u32_e32 v1, vcc, v7, v1, vcc
	flat_store_dwordx2 v[0:1], v[4:5]
.LBB556_12:
	s_endpgm
	.section	.rodata,"a",@progbits
	.p2align	6, 0x0
	.amdhsa_kernel _ZL37rocblas_syrkx_herkx_restricted_kernelIidLi16ELi32ELi8ELi1ELi0ELb0ELc84ELc85EKPKdKPdEviT_PT9_S5_lS7_S5_lPT10_S5_li
		.amdhsa_group_segment_fixed_size 4096
		.amdhsa_private_segment_fixed_size 0
		.amdhsa_kernarg_size 84
		.amdhsa_user_sgpr_count 6
		.amdhsa_user_sgpr_private_segment_buffer 1
		.amdhsa_user_sgpr_dispatch_ptr 0
		.amdhsa_user_sgpr_queue_ptr 0
		.amdhsa_user_sgpr_kernarg_segment_ptr 1
		.amdhsa_user_sgpr_dispatch_id 0
		.amdhsa_user_sgpr_flat_scratch_init 0
		.amdhsa_user_sgpr_private_segment_size 0
		.amdhsa_uses_dynamic_stack 0
		.amdhsa_system_sgpr_private_segment_wavefront_offset 0
		.amdhsa_system_sgpr_workgroup_id_x 1
		.amdhsa_system_sgpr_workgroup_id_y 1
		.amdhsa_system_sgpr_workgroup_id_z 1
		.amdhsa_system_sgpr_workgroup_info 0
		.amdhsa_system_vgpr_workitem_id 1
		.amdhsa_next_free_vgpr 38
		.amdhsa_next_free_sgpr 17
		.amdhsa_reserve_vcc 1
		.amdhsa_reserve_flat_scratch 0
		.amdhsa_float_round_mode_32 0
		.amdhsa_float_round_mode_16_64 0
		.amdhsa_float_denorm_mode_32 3
		.amdhsa_float_denorm_mode_16_64 3
		.amdhsa_dx10_clamp 1
		.amdhsa_ieee_mode 1
		.amdhsa_fp16_overflow 0
		.amdhsa_exception_fp_ieee_invalid_op 0
		.amdhsa_exception_fp_denorm_src 0
		.amdhsa_exception_fp_ieee_div_zero 0
		.amdhsa_exception_fp_ieee_overflow 0
		.amdhsa_exception_fp_ieee_underflow 0
		.amdhsa_exception_fp_ieee_inexact 0
		.amdhsa_exception_int_div_zero 0
	.end_amdhsa_kernel
	.section	.text._ZL37rocblas_syrkx_herkx_restricted_kernelIidLi16ELi32ELi8ELi1ELi0ELb0ELc84ELc85EKPKdKPdEviT_PT9_S5_lS7_S5_lPT10_S5_li,"axG",@progbits,_ZL37rocblas_syrkx_herkx_restricted_kernelIidLi16ELi32ELi8ELi1ELi0ELb0ELc84ELc85EKPKdKPdEviT_PT9_S5_lS7_S5_lPT10_S5_li,comdat
.Lfunc_end556:
	.size	_ZL37rocblas_syrkx_herkx_restricted_kernelIidLi16ELi32ELi8ELi1ELi0ELb0ELc84ELc85EKPKdKPdEviT_PT9_S5_lS7_S5_lPT10_S5_li, .Lfunc_end556-_ZL37rocblas_syrkx_herkx_restricted_kernelIidLi16ELi32ELi8ELi1ELi0ELb0ELc84ELc85EKPKdKPdEviT_PT9_S5_lS7_S5_lPT10_S5_li
                                        ; -- End function
	.set _ZL37rocblas_syrkx_herkx_restricted_kernelIidLi16ELi32ELi8ELi1ELi0ELb0ELc84ELc85EKPKdKPdEviT_PT9_S5_lS7_S5_lPT10_S5_li.num_vgpr, 38
	.set _ZL37rocblas_syrkx_herkx_restricted_kernelIidLi16ELi32ELi8ELi1ELi0ELb0ELc84ELc85EKPKdKPdEviT_PT9_S5_lS7_S5_lPT10_S5_li.num_agpr, 0
	.set _ZL37rocblas_syrkx_herkx_restricted_kernelIidLi16ELi32ELi8ELi1ELi0ELb0ELc84ELc85EKPKdKPdEviT_PT9_S5_lS7_S5_lPT10_S5_li.numbered_sgpr, 17
	.set _ZL37rocblas_syrkx_herkx_restricted_kernelIidLi16ELi32ELi8ELi1ELi0ELb0ELc84ELc85EKPKdKPdEviT_PT9_S5_lS7_S5_lPT10_S5_li.num_named_barrier, 0
	.set _ZL37rocblas_syrkx_herkx_restricted_kernelIidLi16ELi32ELi8ELi1ELi0ELb0ELc84ELc85EKPKdKPdEviT_PT9_S5_lS7_S5_lPT10_S5_li.private_seg_size, 0
	.set _ZL37rocblas_syrkx_herkx_restricted_kernelIidLi16ELi32ELi8ELi1ELi0ELb0ELc84ELc85EKPKdKPdEviT_PT9_S5_lS7_S5_lPT10_S5_li.uses_vcc, 1
	.set _ZL37rocblas_syrkx_herkx_restricted_kernelIidLi16ELi32ELi8ELi1ELi0ELb0ELc84ELc85EKPKdKPdEviT_PT9_S5_lS7_S5_lPT10_S5_li.uses_flat_scratch, 0
	.set _ZL37rocblas_syrkx_herkx_restricted_kernelIidLi16ELi32ELi8ELi1ELi0ELb0ELc84ELc85EKPKdKPdEviT_PT9_S5_lS7_S5_lPT10_S5_li.has_dyn_sized_stack, 0
	.set _ZL37rocblas_syrkx_herkx_restricted_kernelIidLi16ELi32ELi8ELi1ELi0ELb0ELc84ELc85EKPKdKPdEviT_PT9_S5_lS7_S5_lPT10_S5_li.has_recursion, 0
	.set _ZL37rocblas_syrkx_herkx_restricted_kernelIidLi16ELi32ELi8ELi1ELi0ELb0ELc84ELc85EKPKdKPdEviT_PT9_S5_lS7_S5_lPT10_S5_li.has_indirect_call, 0
	.section	.AMDGPU.csdata,"",@progbits
; Kernel info:
; codeLenInByte = 1184
; TotalNumSgprs: 21
; NumVgprs: 38
; ScratchSize: 0
; MemoryBound: 0
; FloatMode: 240
; IeeeMode: 1
; LDSByteSize: 4096 bytes/workgroup (compile time only)
; SGPRBlocks: 2
; VGPRBlocks: 9
; NumSGPRsForWavesPerEU: 21
; NumVGPRsForWavesPerEU: 38
; Occupancy: 6
; WaveLimiterHint : 1
; COMPUTE_PGM_RSRC2:SCRATCH_EN: 0
; COMPUTE_PGM_RSRC2:USER_SGPR: 6
; COMPUTE_PGM_RSRC2:TRAP_HANDLER: 0
; COMPUTE_PGM_RSRC2:TGID_X_EN: 1
; COMPUTE_PGM_RSRC2:TGID_Y_EN: 1
; COMPUTE_PGM_RSRC2:TGID_Z_EN: 1
; COMPUTE_PGM_RSRC2:TIDIG_COMP_CNT: 1
	.section	.text._ZL37rocblas_syrkx_herkx_restricted_kernelIidLi16ELi32ELi8ELi1ELi0ELb0ELc67ELc85EKPKdKPdEviT_PT9_S5_lS7_S5_lPT10_S5_li,"axG",@progbits,_ZL37rocblas_syrkx_herkx_restricted_kernelIidLi16ELi32ELi8ELi1ELi0ELb0ELc67ELc85EKPKdKPdEviT_PT9_S5_lS7_S5_lPT10_S5_li,comdat
	.globl	_ZL37rocblas_syrkx_herkx_restricted_kernelIidLi16ELi32ELi8ELi1ELi0ELb0ELc67ELc85EKPKdKPdEviT_PT9_S5_lS7_S5_lPT10_S5_li ; -- Begin function _ZL37rocblas_syrkx_herkx_restricted_kernelIidLi16ELi32ELi8ELi1ELi0ELb0ELc67ELc85EKPKdKPdEviT_PT9_S5_lS7_S5_lPT10_S5_li
	.p2align	8
	.type	_ZL37rocblas_syrkx_herkx_restricted_kernelIidLi16ELi32ELi8ELi1ELi0ELb0ELc67ELc85EKPKdKPdEviT_PT9_S5_lS7_S5_lPT10_S5_li,@function
_ZL37rocblas_syrkx_herkx_restricted_kernelIidLi16ELi32ELi8ELi1ELi0ELb0ELc67ELc85EKPKdKPdEviT_PT9_S5_lS7_S5_lPT10_S5_li: ; @_ZL37rocblas_syrkx_herkx_restricted_kernelIidLi16ELi32ELi8ELi1ELi0ELb0ELc67ELc85EKPKdKPdEviT_PT9_S5_lS7_S5_lPT10_S5_li
; %bb.0:
	s_load_dwordx2 s[10:11], s[4:5], 0x38
	s_load_dwordx2 s[2:3], s[4:5], 0x0
	s_mov_b32 s9, 0
	s_lshl_b64 s[0:1], s[8:9], 3
	s_waitcnt lgkmcnt(0)
	s_add_u32 s10, s10, s0
	s_addc_u32 s11, s11, s1
	s_load_dwordx2 s[10:11], s[10:11], 0x0
	s_lshl_b32 s6, s6, 5
	s_lshl_b32 s7, s7, 5
	s_cmp_lt_i32 s3, 1
	s_cbranch_scc1 .LBB557_3
; %bb.1:
	s_load_dwordx2 s[12:13], s[4:5], 0x8
	s_load_dword s8, s[4:5], 0x10
	s_load_dwordx2 s[14:15], s[4:5], 0x20
	s_load_dword s16, s[4:5], 0x28
	v_lshl_add_u32 v6, v1, 4, v0
	s_waitcnt lgkmcnt(0)
	s_add_u32 s12, s12, s0
	s_addc_u32 s13, s13, s1
	v_lshrrev_b32_e32 v8, 3, v6
	s_add_u32 s0, s14, s0
	v_add_u32_e32 v4, s7, v8
	v_and_b32_e32 v2, 7, v0
	v_mov_b32_e32 v3, 0
	s_addc_u32 s1, s15, s1
	v_mad_i64_i32 v[4:5], s[14:15], s16, v4, v[2:3]
	v_and_b32_e32 v9, 31, v6
	v_lshlrev_b32_e32 v2, 3, v2
	v_lshrrev_b32_e32 v6, 5, v6
	v_mov_b32_e32 v7, v3
	v_lshlrev_b32_e32 v3, 3, v9
	v_lshl_or_b32 v8, v8, 6, v2
	v_add_u32_e32 v2, s6, v9
	v_lshl_or_b32 v14, v6, 8, v3
	v_mad_i64_i32 v[2:3], s[14:15], s8, v2, v[6:7]
	s_load_dwordx2 s[12:13], s[12:13], 0x0
	v_lshlrev_b64 v[4:5], 3, v[4:5]
	s_load_dwordx2 s[0:1], s[0:1], 0x0
	v_lshlrev_b64 v[2:3], 3, v[2:3]
	v_add_u32_e32 v15, 0x800, v8
	s_waitcnt lgkmcnt(0)
	v_mov_b32_e32 v6, s13
	v_add_co_u32_e32 v2, vcc, s12, v2
	v_addc_co_u32_e32 v3, vcc, v6, v3, vcc
	v_mov_b32_e32 v7, s1
	v_add_co_u32_e32 v6, vcc, s0, v4
	v_mov_b32_e32 v17, 0x800
	v_addc_co_u32_e32 v7, vcc, v7, v5, vcc
	v_mov_b32_e32 v4, 0
	v_mov_b32_e32 v8, 0
	v_mov_b32_e32 v10, 0
	v_mov_b32_e32 v12, 0
	v_lshlrev_b32_e32 v16, 3, v0
	v_mov_b32_e32 v5, 0
	v_mov_b32_e32 v9, 0
	;; [unrolled: 1-line block ×4, first 2 shown]
	v_lshl_add_u32 v17, v1, 6, v17
.LBB557_2:                              ; =>This Inner Loop Header: Depth=1
	flat_load_dwordx2 v[18:19], v[2:3]
	v_add_co_u32_e32 v2, vcc, 64, v2
	v_addc_co_u32_e32 v3, vcc, 0, v3, vcc
	s_add_i32 s9, s9, 8
	s_cmp_ge_i32 s9, s3
	s_waitcnt vmcnt(0) lgkmcnt(0)
	ds_write_b64 v14, v[18:19]
	flat_load_dwordx2 v[18:19], v[6:7]
	v_add_co_u32_e32 v6, vcc, 64, v6
	v_addc_co_u32_e32 v7, vcc, 0, v7, vcc
	s_waitcnt vmcnt(0) lgkmcnt(0)
	ds_write_b64 v15, v[18:19]
	s_waitcnt lgkmcnt(0)
	s_barrier
	ds_read2_b64 v[18:21], v16 offset1:16
	ds_read_b128 v[22:25], v17
	ds_read_b128 v[26:29], v17 offset:1024
	ds_read_b128 v[30:33], v17 offset:16
	s_waitcnt lgkmcnt(2)
	v_fma_f64 v[34:35], v[18:19], v[22:23], v[12:13]
	v_fma_f64 v[22:23], v[20:21], v[22:23], v[10:11]
	s_waitcnt lgkmcnt(1)
	v_fma_f64 v[8:9], v[18:19], v[26:27], v[8:9]
	v_fma_f64 v[4:5], v[20:21], v[26:27], v[4:5]
	ds_read2_b64 v[18:21], v16 offset0:32 offset1:48
	ds_read_b128 v[10:13], v17 offset:1040
	s_waitcnt lgkmcnt(1)
	v_fma_f64 v[26:27], v[18:19], v[24:25], v[34:35]
	v_fma_f64 v[34:35], v[20:21], v[24:25], v[22:23]
	;; [unrolled: 1-line block ×4, first 2 shown]
	ds_read2_b64 v[18:21], v16 offset0:64 offset1:80
	ds_read2_b64 v[22:25], v16 offset0:96 offset1:112
	s_waitcnt lgkmcnt(1)
	v_fma_f64 v[26:27], v[18:19], v[30:31], v[26:27]
	v_fma_f64 v[28:29], v[20:21], v[30:31], v[34:35]
	;; [unrolled: 1-line block ×4, first 2 shown]
	ds_read2_b64 v[8:11], v16 offset0:128 offset1:144
	ds_read_b128 v[18:21], v17 offset:32
	s_waitcnt lgkmcnt(2)
	v_fma_f64 v[34:35], v[22:23], v[32:33], v[26:27]
	v_fma_f64 v[32:33], v[24:25], v[32:33], v[28:29]
	;; [unrolled: 1-line block ×4, first 2 shown]
	ds_read_b128 v[22:25], v17 offset:1056
	ds_read_b128 v[26:29], v17 offset:48
	s_waitcnt lgkmcnt(2)
	v_fma_f64 v[12:13], v[8:9], v[18:19], v[34:35]
	v_fma_f64 v[18:19], v[10:11], v[18:19], v[32:33]
	s_waitcnt lgkmcnt(1)
	v_fma_f64 v[34:35], v[8:9], v[22:23], v[36:37]
	v_fma_f64 v[4:5], v[10:11], v[22:23], v[4:5]
	ds_read2_b64 v[8:11], v16 offset0:160 offset1:176
	ds_read_b128 v[30:33], v17 offset:1072
	s_waitcnt lgkmcnt(1)
	v_fma_f64 v[12:13], v[8:9], v[20:21], v[12:13]
	v_fma_f64 v[18:19], v[10:11], v[20:21], v[18:19]
	v_fma_f64 v[20:21], v[8:9], v[24:25], v[34:35]
	v_fma_f64 v[4:5], v[10:11], v[24:25], v[4:5]
	ds_read2_b64 v[8:11], v16 offset0:192 offset1:208
	s_waitcnt lgkmcnt(0)
	v_fma_f64 v[12:13], v[8:9], v[26:27], v[12:13]
	v_fma_f64 v[22:23], v[10:11], v[26:27], v[18:19]
	;; [unrolled: 1-line block ×4, first 2 shown]
	ds_read2_b64 v[18:21], v16 offset0:224 offset1:240
	s_waitcnt lgkmcnt(0)
	s_barrier
	v_fma_f64 v[12:13], v[18:19], v[28:29], v[12:13]
	v_fma_f64 v[10:11], v[20:21], v[28:29], v[22:23]
	;; [unrolled: 1-line block ×4, first 2 shown]
	s_cbranch_scc0 .LBB557_2
	s_branch .LBB557_4
.LBB557_3:
	v_mov_b32_e32 v12, 0
	v_mov_b32_e32 v10, 0
	;; [unrolled: 1-line block ×8, first 2 shown]
.LBB557_4:
	s_load_dword s3, s[4:5], 0x40
	v_add_u32_e32 v6, s7, v1
	s_waitcnt lgkmcnt(0)
	v_mov_b32_e32 v3, s11
	v_add_u32_e32 v0, s6, v0
	v_cmp_gt_i32_e32 vcc, s2, v6
	v_mad_i64_i32 v[1:2], s[0:1], v6, s3, 0
	v_lshlrev_b64 v[1:2], 3, v[1:2]
	v_add_co_u32_e64 v7, s[0:1], s10, v1
	v_addc_co_u32_e64 v14, s[0:1], v3, v2, s[0:1]
	v_cmp_le_i32_e64 s[0:1], v0, v6
	s_and_b64 s[0:1], vcc, s[0:1]
	s_and_saveexec_b64 s[4:5], s[0:1]
	s_cbranch_execz .LBB557_6
; %bb.5:
	v_ashrrev_i32_e32 v1, 31, v0
	v_lshlrev_b64 v[1:2], 3, v[0:1]
	v_add_co_u32_e64 v1, s[0:1], v7, v1
	v_addc_co_u32_e64 v2, s[0:1], v14, v2, s[0:1]
	flat_store_dwordx2 v[1:2], v[12:13]
.LBB557_6:
	s_or_b64 exec, exec, s[4:5]
	v_add_u32_e32 v2, 16, v0
	v_cmp_le_i32_e64 s[0:1], v2, v6
	s_and_b64 s[4:5], vcc, s[0:1]
	s_and_saveexec_b64 s[0:1], s[4:5]
	s_cbranch_execz .LBB557_8
; %bb.7:
	v_ashrrev_i32_e32 v3, 31, v2
	v_lshlrev_b64 v[12:13], 3, v[2:3]
	v_add_co_u32_e32 v12, vcc, v7, v12
	v_addc_co_u32_e32 v13, vcc, v14, v13, vcc
	flat_store_dwordx2 v[12:13], v[10:11]
.LBB557_8:
	s_or_b64 exec, exec, s[0:1]
	v_add_u32_e32 v3, 16, v6
	v_mad_i64_i32 v[6:7], s[0:1], v3, s3, 0
	v_mov_b32_e32 v1, s11
	v_cmp_gt_i32_e32 vcc, s2, v3
	v_lshlrev_b64 v[6:7], 3, v[6:7]
	v_add_co_u32_e64 v6, s[0:1], s10, v6
	v_addc_co_u32_e64 v7, s[0:1], v1, v7, s[0:1]
	v_cmp_le_i32_e64 s[0:1], v0, v3
	s_and_b64 s[0:1], vcc, s[0:1]
	s_and_saveexec_b64 s[2:3], s[0:1]
	s_cbranch_execz .LBB557_10
; %bb.9:
	v_ashrrev_i32_e32 v1, 31, v0
	v_lshlrev_b64 v[0:1], 3, v[0:1]
	v_add_co_u32_e64 v0, s[0:1], v6, v0
	v_addc_co_u32_e64 v1, s[0:1], v7, v1, s[0:1]
	flat_store_dwordx2 v[0:1], v[8:9]
.LBB557_10:
	s_or_b64 exec, exec, s[2:3]
	v_cmp_le_i32_e64 s[0:1], v2, v3
	s_and_b64 s[0:1], vcc, s[0:1]
	s_and_saveexec_b64 s[2:3], s[0:1]
	s_cbranch_execz .LBB557_12
; %bb.11:
	v_ashrrev_i32_e32 v3, 31, v2
	v_lshlrev_b64 v[0:1], 3, v[2:3]
	v_add_co_u32_e32 v0, vcc, v6, v0
	v_addc_co_u32_e32 v1, vcc, v7, v1, vcc
	flat_store_dwordx2 v[0:1], v[4:5]
.LBB557_12:
	s_endpgm
	.section	.rodata,"a",@progbits
	.p2align	6, 0x0
	.amdhsa_kernel _ZL37rocblas_syrkx_herkx_restricted_kernelIidLi16ELi32ELi8ELi1ELi0ELb0ELc67ELc85EKPKdKPdEviT_PT9_S5_lS7_S5_lPT10_S5_li
		.amdhsa_group_segment_fixed_size 4096
		.amdhsa_private_segment_fixed_size 0
		.amdhsa_kernarg_size 84
		.amdhsa_user_sgpr_count 6
		.amdhsa_user_sgpr_private_segment_buffer 1
		.amdhsa_user_sgpr_dispatch_ptr 0
		.amdhsa_user_sgpr_queue_ptr 0
		.amdhsa_user_sgpr_kernarg_segment_ptr 1
		.amdhsa_user_sgpr_dispatch_id 0
		.amdhsa_user_sgpr_flat_scratch_init 0
		.amdhsa_user_sgpr_private_segment_size 0
		.amdhsa_uses_dynamic_stack 0
		.amdhsa_system_sgpr_private_segment_wavefront_offset 0
		.amdhsa_system_sgpr_workgroup_id_x 1
		.amdhsa_system_sgpr_workgroup_id_y 1
		.amdhsa_system_sgpr_workgroup_id_z 1
		.amdhsa_system_sgpr_workgroup_info 0
		.amdhsa_system_vgpr_workitem_id 1
		.amdhsa_next_free_vgpr 38
		.amdhsa_next_free_sgpr 17
		.amdhsa_reserve_vcc 1
		.amdhsa_reserve_flat_scratch 0
		.amdhsa_float_round_mode_32 0
		.amdhsa_float_round_mode_16_64 0
		.amdhsa_float_denorm_mode_32 3
		.amdhsa_float_denorm_mode_16_64 3
		.amdhsa_dx10_clamp 1
		.amdhsa_ieee_mode 1
		.amdhsa_fp16_overflow 0
		.amdhsa_exception_fp_ieee_invalid_op 0
		.amdhsa_exception_fp_denorm_src 0
		.amdhsa_exception_fp_ieee_div_zero 0
		.amdhsa_exception_fp_ieee_overflow 0
		.amdhsa_exception_fp_ieee_underflow 0
		.amdhsa_exception_fp_ieee_inexact 0
		.amdhsa_exception_int_div_zero 0
	.end_amdhsa_kernel
	.section	.text._ZL37rocblas_syrkx_herkx_restricted_kernelIidLi16ELi32ELi8ELi1ELi0ELb0ELc67ELc85EKPKdKPdEviT_PT9_S5_lS7_S5_lPT10_S5_li,"axG",@progbits,_ZL37rocblas_syrkx_herkx_restricted_kernelIidLi16ELi32ELi8ELi1ELi0ELb0ELc67ELc85EKPKdKPdEviT_PT9_S5_lS7_S5_lPT10_S5_li,comdat
.Lfunc_end557:
	.size	_ZL37rocblas_syrkx_herkx_restricted_kernelIidLi16ELi32ELi8ELi1ELi0ELb0ELc67ELc85EKPKdKPdEviT_PT9_S5_lS7_S5_lPT10_S5_li, .Lfunc_end557-_ZL37rocblas_syrkx_herkx_restricted_kernelIidLi16ELi32ELi8ELi1ELi0ELb0ELc67ELc85EKPKdKPdEviT_PT9_S5_lS7_S5_lPT10_S5_li
                                        ; -- End function
	.set _ZL37rocblas_syrkx_herkx_restricted_kernelIidLi16ELi32ELi8ELi1ELi0ELb0ELc67ELc85EKPKdKPdEviT_PT9_S5_lS7_S5_lPT10_S5_li.num_vgpr, 38
	.set _ZL37rocblas_syrkx_herkx_restricted_kernelIidLi16ELi32ELi8ELi1ELi0ELb0ELc67ELc85EKPKdKPdEviT_PT9_S5_lS7_S5_lPT10_S5_li.num_agpr, 0
	.set _ZL37rocblas_syrkx_herkx_restricted_kernelIidLi16ELi32ELi8ELi1ELi0ELb0ELc67ELc85EKPKdKPdEviT_PT9_S5_lS7_S5_lPT10_S5_li.numbered_sgpr, 17
	.set _ZL37rocblas_syrkx_herkx_restricted_kernelIidLi16ELi32ELi8ELi1ELi0ELb0ELc67ELc85EKPKdKPdEviT_PT9_S5_lS7_S5_lPT10_S5_li.num_named_barrier, 0
	.set _ZL37rocblas_syrkx_herkx_restricted_kernelIidLi16ELi32ELi8ELi1ELi0ELb0ELc67ELc85EKPKdKPdEviT_PT9_S5_lS7_S5_lPT10_S5_li.private_seg_size, 0
	.set _ZL37rocblas_syrkx_herkx_restricted_kernelIidLi16ELi32ELi8ELi1ELi0ELb0ELc67ELc85EKPKdKPdEviT_PT9_S5_lS7_S5_lPT10_S5_li.uses_vcc, 1
	.set _ZL37rocblas_syrkx_herkx_restricted_kernelIidLi16ELi32ELi8ELi1ELi0ELb0ELc67ELc85EKPKdKPdEviT_PT9_S5_lS7_S5_lPT10_S5_li.uses_flat_scratch, 0
	.set _ZL37rocblas_syrkx_herkx_restricted_kernelIidLi16ELi32ELi8ELi1ELi0ELb0ELc67ELc85EKPKdKPdEviT_PT9_S5_lS7_S5_lPT10_S5_li.has_dyn_sized_stack, 0
	.set _ZL37rocblas_syrkx_herkx_restricted_kernelIidLi16ELi32ELi8ELi1ELi0ELb0ELc67ELc85EKPKdKPdEviT_PT9_S5_lS7_S5_lPT10_S5_li.has_recursion, 0
	.set _ZL37rocblas_syrkx_herkx_restricted_kernelIidLi16ELi32ELi8ELi1ELi0ELb0ELc67ELc85EKPKdKPdEviT_PT9_S5_lS7_S5_lPT10_S5_li.has_indirect_call, 0
	.section	.AMDGPU.csdata,"",@progbits
; Kernel info:
; codeLenInByte = 1184
; TotalNumSgprs: 21
; NumVgprs: 38
; ScratchSize: 0
; MemoryBound: 0
; FloatMode: 240
; IeeeMode: 1
; LDSByteSize: 4096 bytes/workgroup (compile time only)
; SGPRBlocks: 2
; VGPRBlocks: 9
; NumSGPRsForWavesPerEU: 21
; NumVGPRsForWavesPerEU: 38
; Occupancy: 6
; WaveLimiterHint : 1
; COMPUTE_PGM_RSRC2:SCRATCH_EN: 0
; COMPUTE_PGM_RSRC2:USER_SGPR: 6
; COMPUTE_PGM_RSRC2:TRAP_HANDLER: 0
; COMPUTE_PGM_RSRC2:TGID_X_EN: 1
; COMPUTE_PGM_RSRC2:TGID_Y_EN: 1
; COMPUTE_PGM_RSRC2:TGID_Z_EN: 1
; COMPUTE_PGM_RSRC2:TIDIG_COMP_CNT: 1
	.section	.text._ZL37rocblas_syrkx_herkx_restricted_kernelIidLi16ELi32ELi8ELi1ELi0ELb0ELc78ELc85EKPKdKPdEviT_PT9_S5_lS7_S5_lPT10_S5_li,"axG",@progbits,_ZL37rocblas_syrkx_herkx_restricted_kernelIidLi16ELi32ELi8ELi1ELi0ELb0ELc78ELc85EKPKdKPdEviT_PT9_S5_lS7_S5_lPT10_S5_li,comdat
	.globl	_ZL37rocblas_syrkx_herkx_restricted_kernelIidLi16ELi32ELi8ELi1ELi0ELb0ELc78ELc85EKPKdKPdEviT_PT9_S5_lS7_S5_lPT10_S5_li ; -- Begin function _ZL37rocblas_syrkx_herkx_restricted_kernelIidLi16ELi32ELi8ELi1ELi0ELb0ELc78ELc85EKPKdKPdEviT_PT9_S5_lS7_S5_lPT10_S5_li
	.p2align	8
	.type	_ZL37rocblas_syrkx_herkx_restricted_kernelIidLi16ELi32ELi8ELi1ELi0ELb0ELc78ELc85EKPKdKPdEviT_PT9_S5_lS7_S5_lPT10_S5_li,@function
_ZL37rocblas_syrkx_herkx_restricted_kernelIidLi16ELi32ELi8ELi1ELi0ELb0ELc78ELc85EKPKdKPdEviT_PT9_S5_lS7_S5_lPT10_S5_li: ; @_ZL37rocblas_syrkx_herkx_restricted_kernelIidLi16ELi32ELi8ELi1ELi0ELb0ELc78ELc85EKPKdKPdEviT_PT9_S5_lS7_S5_lPT10_S5_li
; %bb.0:
	s_load_dwordx2 s[10:11], s[4:5], 0x38
	s_load_dwordx2 s[2:3], s[4:5], 0x0
	s_mov_b32 s9, 0
	s_lshl_b64 s[0:1], s[8:9], 3
	s_waitcnt lgkmcnt(0)
	s_add_u32 s10, s10, s0
	s_addc_u32 s11, s11, s1
	s_load_dwordx2 s[10:11], s[10:11], 0x0
	s_lshl_b32 s8, s6, 5
	s_lshl_b32 s12, s7, 5
	s_cmp_lt_i32 s3, 1
	s_cbranch_scc1 .LBB558_3
; %bb.1:
	s_load_dword s6, s[4:5], 0x10
	s_load_dword s14, s[4:5], 0x28
	s_load_dwordx2 s[16:17], s[4:5], 0x20
	s_load_dwordx2 s[18:19], s[4:5], 0x8
	v_lshl_add_u32 v7, v1, 4, v0
	s_waitcnt lgkmcnt(0)
	s_ashr_i32 s7, s6, 31
	s_ashr_i32 s15, s14, 31
	v_lshrrev_b32_e32 v8, 3, v7
	s_add_u32 s18, s18, s0
	s_addc_u32 s19, s19, s1
	s_add_u32 s0, s16, s0
	v_add_u32_e32 v2, s12, v8
	s_addc_u32 s1, s17, s1
	v_and_b32_e32 v6, 7, v0
	v_ashrrev_i32_e32 v3, 31, v2
	s_load_dwordx2 s[16:17], s[0:1], 0x0
	v_mad_i64_i32 v[4:5], s[0:1], s14, v6, v[2:3]
	v_and_b32_e32 v2, 31, v7
	v_lshrrev_b32_e32 v9, 5, v7
	v_lshlrev_b32_e32 v3, 3, v2
	v_lshl_or_b32 v14, v9, 8, v3
	v_lshlrev_b32_e32 v3, 3, v6
	v_lshl_or_b32 v3, v8, 6, v3
	v_add_u32_e32 v2, s8, v2
	v_add_u32_e32 v15, 0x800, v3
	v_ashrrev_i32_e32 v3, 31, v2
	v_mad_i64_i32 v[2:3], s[0:1], s6, v9, v[2:3]
	s_load_dwordx2 s[18:19], s[18:19], 0x0
	v_mov_b32_e32 v6, 0x800
	v_lshlrev_b64 v[2:3], 3, v[2:3]
	v_lshl_add_u32 v17, v1, 6, v6
	v_lshlrev_b64 v[4:5], 3, v[4:5]
	s_waitcnt lgkmcnt(0)
	v_mov_b32_e32 v6, s19
	v_add_co_u32_e32 v2, vcc, s18, v2
	v_addc_co_u32_e32 v3, vcc, v6, v3, vcc
	v_mov_b32_e32 v7, s17
	v_add_co_u32_e32 v6, vcc, s16, v4
	s_lshl_b64 s[0:1], s[6:7], 6
	v_addc_co_u32_e32 v7, vcc, v7, v5, vcc
	s_lshl_b64 s[6:7], s[14:15], 6
	v_mov_b32_e32 v4, 0
	v_mov_b32_e32 v8, 0
	;; [unrolled: 1-line block ×4, first 2 shown]
	v_lshlrev_b32_e32 v16, 3, v0
	v_mov_b32_e32 v5, 0
	v_mov_b32_e32 v18, s1
	;; [unrolled: 1-line block ×6, first 2 shown]
.LBB558_2:                              ; =>This Inner Loop Header: Depth=1
	flat_load_dwordx2 v[20:21], v[2:3]
	v_add_co_u32_e32 v2, vcc, s0, v2
	v_addc_co_u32_e32 v3, vcc, v3, v18, vcc
	s_add_i32 s9, s9, 8
	s_cmp_ge_i32 s9, s3
	s_waitcnt vmcnt(0) lgkmcnt(0)
	ds_write_b64 v14, v[20:21]
	flat_load_dwordx2 v[20:21], v[6:7]
	v_add_co_u32_e32 v6, vcc, s6, v6
	v_addc_co_u32_e32 v7, vcc, v7, v19, vcc
	s_waitcnt vmcnt(0) lgkmcnt(0)
	ds_write_b64 v15, v[20:21]
	s_waitcnt lgkmcnt(0)
	s_barrier
	ds_read2_b64 v[20:23], v16 offset1:16
	ds_read_b128 v[24:27], v17
	ds_read_b128 v[28:31], v17 offset:16
	s_waitcnt lgkmcnt(1)
	v_fma_f64 v[36:37], v[20:21], v[24:25], v[12:13]
	v_fma_f64 v[24:25], v[22:23], v[24:25], v[10:11]
	ds_read_b128 v[10:13], v17 offset:1024
	ds_read_b128 v[32:35], v17 offset:1040
	s_waitcnt lgkmcnt(1)
	v_fma_f64 v[20:21], v[20:21], v[10:11], v[8:9]
	v_fma_f64 v[4:5], v[22:23], v[10:11], v[4:5]
	ds_read2_b64 v[8:11], v16 offset0:32 offset1:48
	s_waitcnt lgkmcnt(0)
	v_fma_f64 v[22:23], v[8:9], v[26:27], v[36:37]
	v_fma_f64 v[24:25], v[10:11], v[26:27], v[24:25]
	v_fma_f64 v[20:21], v[8:9], v[12:13], v[20:21]
	v_fma_f64 v[4:5], v[10:11], v[12:13], v[4:5]
	ds_read2_b64 v[8:11], v16 offset0:64 offset1:80
	s_waitcnt lgkmcnt(0)
	v_fma_f64 v[12:13], v[8:9], v[28:29], v[22:23]
	v_fma_f64 v[22:23], v[10:11], v[28:29], v[24:25]
	;; [unrolled: 6-line block ×3, first 2 shown]
	ds_read2_b64 v[20:23], v16 offset0:128 offset1:144
	v_fma_f64 v[36:37], v[8:9], v[34:35], v[24:25]
	v_fma_f64 v[4:5], v[10:11], v[34:35], v[4:5]
	ds_read_b128 v[8:11], v17 offset:32
	ds_read_b128 v[24:27], v17 offset:48
	s_waitcnt lgkmcnt(1)
	v_fma_f64 v[12:13], v[20:21], v[8:9], v[12:13]
	v_fma_f64 v[8:9], v[22:23], v[8:9], v[28:29]
	ds_read_b128 v[28:31], v17 offset:1056
	ds_read_b128 v[32:35], v17 offset:1072
	s_waitcnt lgkmcnt(1)
	v_fma_f64 v[36:37], v[20:21], v[28:29], v[36:37]
	v_fma_f64 v[4:5], v[22:23], v[28:29], v[4:5]
	ds_read2_b64 v[20:23], v16 offset0:160 offset1:176
	s_waitcnt lgkmcnt(0)
	v_fma_f64 v[12:13], v[20:21], v[10:11], v[12:13]
	v_fma_f64 v[28:29], v[22:23], v[10:11], v[8:9]
	;; [unrolled: 1-line block ×4, first 2 shown]
	ds_read2_b64 v[8:11], v16 offset0:192 offset1:208
	s_waitcnt lgkmcnt(0)
	v_fma_f64 v[12:13], v[8:9], v[24:25], v[12:13]
	v_fma_f64 v[24:25], v[10:11], v[24:25], v[28:29]
	;; [unrolled: 1-line block ×4, first 2 shown]
	ds_read2_b64 v[20:23], v16 offset0:224 offset1:240
	s_waitcnt lgkmcnt(0)
	s_barrier
	v_fma_f64 v[12:13], v[20:21], v[26:27], v[12:13]
	v_fma_f64 v[10:11], v[22:23], v[26:27], v[24:25]
	;; [unrolled: 1-line block ×4, first 2 shown]
	s_cbranch_scc0 .LBB558_2
	s_branch .LBB558_4
.LBB558_3:
	v_mov_b32_e32 v12, 0
	v_mov_b32_e32 v10, 0
	;; [unrolled: 1-line block ×8, first 2 shown]
.LBB558_4:
	s_load_dword s3, s[4:5], 0x40
	v_add_u32_e32 v6, s12, v1
	s_waitcnt lgkmcnt(0)
	v_mov_b32_e32 v3, s11
	v_add_u32_e32 v0, s8, v0
	v_cmp_gt_i32_e32 vcc, s2, v6
	v_mad_i64_i32 v[1:2], s[0:1], v6, s3, 0
	v_lshlrev_b64 v[1:2], 3, v[1:2]
	v_add_co_u32_e64 v7, s[0:1], s10, v1
	v_addc_co_u32_e64 v14, s[0:1], v3, v2, s[0:1]
	v_cmp_le_i32_e64 s[0:1], v0, v6
	s_and_b64 s[0:1], vcc, s[0:1]
	s_and_saveexec_b64 s[4:5], s[0:1]
	s_cbranch_execz .LBB558_6
; %bb.5:
	v_ashrrev_i32_e32 v1, 31, v0
	v_lshlrev_b64 v[1:2], 3, v[0:1]
	v_add_co_u32_e64 v1, s[0:1], v7, v1
	v_addc_co_u32_e64 v2, s[0:1], v14, v2, s[0:1]
	flat_store_dwordx2 v[1:2], v[12:13]
.LBB558_6:
	s_or_b64 exec, exec, s[4:5]
	v_add_u32_e32 v2, 16, v0
	v_cmp_le_i32_e64 s[0:1], v2, v6
	s_and_b64 s[4:5], vcc, s[0:1]
	s_and_saveexec_b64 s[0:1], s[4:5]
	s_cbranch_execz .LBB558_8
; %bb.7:
	v_ashrrev_i32_e32 v3, 31, v2
	v_lshlrev_b64 v[12:13], 3, v[2:3]
	v_add_co_u32_e32 v12, vcc, v7, v12
	v_addc_co_u32_e32 v13, vcc, v14, v13, vcc
	flat_store_dwordx2 v[12:13], v[10:11]
.LBB558_8:
	s_or_b64 exec, exec, s[0:1]
	v_add_u32_e32 v3, 16, v6
	v_mad_i64_i32 v[6:7], s[0:1], v3, s3, 0
	v_mov_b32_e32 v1, s11
	v_cmp_gt_i32_e32 vcc, s2, v3
	v_lshlrev_b64 v[6:7], 3, v[6:7]
	v_add_co_u32_e64 v6, s[0:1], s10, v6
	v_addc_co_u32_e64 v7, s[0:1], v1, v7, s[0:1]
	v_cmp_le_i32_e64 s[0:1], v0, v3
	s_and_b64 s[0:1], vcc, s[0:1]
	s_and_saveexec_b64 s[2:3], s[0:1]
	s_cbranch_execz .LBB558_10
; %bb.9:
	v_ashrrev_i32_e32 v1, 31, v0
	v_lshlrev_b64 v[0:1], 3, v[0:1]
	v_add_co_u32_e64 v0, s[0:1], v6, v0
	v_addc_co_u32_e64 v1, s[0:1], v7, v1, s[0:1]
	flat_store_dwordx2 v[0:1], v[8:9]
.LBB558_10:
	s_or_b64 exec, exec, s[2:3]
	v_cmp_le_i32_e64 s[0:1], v2, v3
	s_and_b64 s[0:1], vcc, s[0:1]
	s_and_saveexec_b64 s[2:3], s[0:1]
	s_cbranch_execz .LBB558_12
; %bb.11:
	v_ashrrev_i32_e32 v3, 31, v2
	v_lshlrev_b64 v[0:1], 3, v[2:3]
	v_add_co_u32_e32 v0, vcc, v6, v0
	v_addc_co_u32_e32 v1, vcc, v7, v1, vcc
	flat_store_dwordx2 v[0:1], v[4:5]
.LBB558_12:
	s_endpgm
	.section	.rodata,"a",@progbits
	.p2align	6, 0x0
	.amdhsa_kernel _ZL37rocblas_syrkx_herkx_restricted_kernelIidLi16ELi32ELi8ELi1ELi0ELb0ELc78ELc85EKPKdKPdEviT_PT9_S5_lS7_S5_lPT10_S5_li
		.amdhsa_group_segment_fixed_size 4096
		.amdhsa_private_segment_fixed_size 0
		.amdhsa_kernarg_size 84
		.amdhsa_user_sgpr_count 6
		.amdhsa_user_sgpr_private_segment_buffer 1
		.amdhsa_user_sgpr_dispatch_ptr 0
		.amdhsa_user_sgpr_queue_ptr 0
		.amdhsa_user_sgpr_kernarg_segment_ptr 1
		.amdhsa_user_sgpr_dispatch_id 0
		.amdhsa_user_sgpr_flat_scratch_init 0
		.amdhsa_user_sgpr_private_segment_size 0
		.amdhsa_uses_dynamic_stack 0
		.amdhsa_system_sgpr_private_segment_wavefront_offset 0
		.amdhsa_system_sgpr_workgroup_id_x 1
		.amdhsa_system_sgpr_workgroup_id_y 1
		.amdhsa_system_sgpr_workgroup_id_z 1
		.amdhsa_system_sgpr_workgroup_info 0
		.amdhsa_system_vgpr_workitem_id 1
		.amdhsa_next_free_vgpr 38
		.amdhsa_next_free_sgpr 20
		.amdhsa_reserve_vcc 1
		.amdhsa_reserve_flat_scratch 0
		.amdhsa_float_round_mode_32 0
		.amdhsa_float_round_mode_16_64 0
		.amdhsa_float_denorm_mode_32 3
		.amdhsa_float_denorm_mode_16_64 3
		.amdhsa_dx10_clamp 1
		.amdhsa_ieee_mode 1
		.amdhsa_fp16_overflow 0
		.amdhsa_exception_fp_ieee_invalid_op 0
		.amdhsa_exception_fp_denorm_src 0
		.amdhsa_exception_fp_ieee_div_zero 0
		.amdhsa_exception_fp_ieee_overflow 0
		.amdhsa_exception_fp_ieee_underflow 0
		.amdhsa_exception_fp_ieee_inexact 0
		.amdhsa_exception_int_div_zero 0
	.end_amdhsa_kernel
	.section	.text._ZL37rocblas_syrkx_herkx_restricted_kernelIidLi16ELi32ELi8ELi1ELi0ELb0ELc78ELc85EKPKdKPdEviT_PT9_S5_lS7_S5_lPT10_S5_li,"axG",@progbits,_ZL37rocblas_syrkx_herkx_restricted_kernelIidLi16ELi32ELi8ELi1ELi0ELb0ELc78ELc85EKPKdKPdEviT_PT9_S5_lS7_S5_lPT10_S5_li,comdat
.Lfunc_end558:
	.size	_ZL37rocblas_syrkx_herkx_restricted_kernelIidLi16ELi32ELi8ELi1ELi0ELb0ELc78ELc85EKPKdKPdEviT_PT9_S5_lS7_S5_lPT10_S5_li, .Lfunc_end558-_ZL37rocblas_syrkx_herkx_restricted_kernelIidLi16ELi32ELi8ELi1ELi0ELb0ELc78ELc85EKPKdKPdEviT_PT9_S5_lS7_S5_lPT10_S5_li
                                        ; -- End function
	.set _ZL37rocblas_syrkx_herkx_restricted_kernelIidLi16ELi32ELi8ELi1ELi0ELb0ELc78ELc85EKPKdKPdEviT_PT9_S5_lS7_S5_lPT10_S5_li.num_vgpr, 38
	.set _ZL37rocblas_syrkx_herkx_restricted_kernelIidLi16ELi32ELi8ELi1ELi0ELb0ELc78ELc85EKPKdKPdEviT_PT9_S5_lS7_S5_lPT10_S5_li.num_agpr, 0
	.set _ZL37rocblas_syrkx_herkx_restricted_kernelIidLi16ELi32ELi8ELi1ELi0ELb0ELc78ELc85EKPKdKPdEviT_PT9_S5_lS7_S5_lPT10_S5_li.numbered_sgpr, 20
	.set _ZL37rocblas_syrkx_herkx_restricted_kernelIidLi16ELi32ELi8ELi1ELi0ELb0ELc78ELc85EKPKdKPdEviT_PT9_S5_lS7_S5_lPT10_S5_li.num_named_barrier, 0
	.set _ZL37rocblas_syrkx_herkx_restricted_kernelIidLi16ELi32ELi8ELi1ELi0ELb0ELc78ELc85EKPKdKPdEviT_PT9_S5_lS7_S5_lPT10_S5_li.private_seg_size, 0
	.set _ZL37rocblas_syrkx_herkx_restricted_kernelIidLi16ELi32ELi8ELi1ELi0ELb0ELc78ELc85EKPKdKPdEviT_PT9_S5_lS7_S5_lPT10_S5_li.uses_vcc, 1
	.set _ZL37rocblas_syrkx_herkx_restricted_kernelIidLi16ELi32ELi8ELi1ELi0ELb0ELc78ELc85EKPKdKPdEviT_PT9_S5_lS7_S5_lPT10_S5_li.uses_flat_scratch, 0
	.set _ZL37rocblas_syrkx_herkx_restricted_kernelIidLi16ELi32ELi8ELi1ELi0ELb0ELc78ELc85EKPKdKPdEviT_PT9_S5_lS7_S5_lPT10_S5_li.has_dyn_sized_stack, 0
	.set _ZL37rocblas_syrkx_herkx_restricted_kernelIidLi16ELi32ELi8ELi1ELi0ELb0ELc78ELc85EKPKdKPdEviT_PT9_S5_lS7_S5_lPT10_S5_li.has_recursion, 0
	.set _ZL37rocblas_syrkx_herkx_restricted_kernelIidLi16ELi32ELi8ELi1ELi0ELb0ELc78ELc85EKPKdKPdEviT_PT9_S5_lS7_S5_lPT10_S5_li.has_indirect_call, 0
	.section	.AMDGPU.csdata,"",@progbits
; Kernel info:
; codeLenInByte = 1208
; TotalNumSgprs: 24
; NumVgprs: 38
; ScratchSize: 0
; MemoryBound: 0
; FloatMode: 240
; IeeeMode: 1
; LDSByteSize: 4096 bytes/workgroup (compile time only)
; SGPRBlocks: 2
; VGPRBlocks: 9
; NumSGPRsForWavesPerEU: 24
; NumVGPRsForWavesPerEU: 38
; Occupancy: 6
; WaveLimiterHint : 1
; COMPUTE_PGM_RSRC2:SCRATCH_EN: 0
; COMPUTE_PGM_RSRC2:USER_SGPR: 6
; COMPUTE_PGM_RSRC2:TRAP_HANDLER: 0
; COMPUTE_PGM_RSRC2:TGID_X_EN: 1
; COMPUTE_PGM_RSRC2:TGID_Y_EN: 1
; COMPUTE_PGM_RSRC2:TGID_Z_EN: 1
; COMPUTE_PGM_RSRC2:TIDIG_COMP_CNT: 1
	.section	.text._ZL37rocblas_syrkx_herkx_restricted_kernelIidLi16ELi32ELi8ELin1ELi0ELb0ELc84ELc76EKPKdKPdEviT_PT9_S5_lS7_S5_lPT10_S5_li,"axG",@progbits,_ZL37rocblas_syrkx_herkx_restricted_kernelIidLi16ELi32ELi8ELin1ELi0ELb0ELc84ELc76EKPKdKPdEviT_PT9_S5_lS7_S5_lPT10_S5_li,comdat
	.globl	_ZL37rocblas_syrkx_herkx_restricted_kernelIidLi16ELi32ELi8ELin1ELi0ELb0ELc84ELc76EKPKdKPdEviT_PT9_S5_lS7_S5_lPT10_S5_li ; -- Begin function _ZL37rocblas_syrkx_herkx_restricted_kernelIidLi16ELi32ELi8ELin1ELi0ELb0ELc84ELc76EKPKdKPdEviT_PT9_S5_lS7_S5_lPT10_S5_li
	.p2align	8
	.type	_ZL37rocblas_syrkx_herkx_restricted_kernelIidLi16ELi32ELi8ELin1ELi0ELb0ELc84ELc76EKPKdKPdEviT_PT9_S5_lS7_S5_lPT10_S5_li,@function
_ZL37rocblas_syrkx_herkx_restricted_kernelIidLi16ELi32ELi8ELin1ELi0ELb0ELc84ELc76EKPKdKPdEviT_PT9_S5_lS7_S5_lPT10_S5_li: ; @_ZL37rocblas_syrkx_herkx_restricted_kernelIidLi16ELi32ELi8ELin1ELi0ELb0ELc84ELc76EKPKdKPdEviT_PT9_S5_lS7_S5_lPT10_S5_li
; %bb.0:
	s_load_dwordx2 s[2:3], s[4:5], 0x38
	s_load_dwordx2 s[12:13], s[4:5], 0x0
	s_mov_b32 s9, 0
	s_lshl_b64 s[0:1], s[8:9], 3
	s_waitcnt lgkmcnt(0)
	s_add_u32 s2, s2, s0
	s_addc_u32 s3, s3, s1
	s_load_dwordx2 s[10:11], s[2:3], 0x0
	s_lshl_b32 s2, s6, 5
	s_lshl_b32 s3, s7, 5
	s_cmp_lt_i32 s13, 1
	s_cbranch_scc1 .LBB559_3
; %bb.1:
	s_load_dwordx2 s[6:7], s[4:5], 0x8
	s_load_dword s8, s[4:5], 0x10
	s_load_dwordx2 s[14:15], s[4:5], 0x20
	s_load_dword s16, s[4:5], 0x28
	v_lshl_add_u32 v4, v1, 4, v0
	s_waitcnt lgkmcnt(0)
	s_add_u32 s6, s6, s0
	s_addc_u32 s7, s7, s1
	v_lshrrev_b32_e32 v8, 3, v4
	s_add_u32 s0, s14, s0
	v_add_u32_e32 v5, s3, v8
	v_and_b32_e32 v2, 7, v0
	v_mov_b32_e32 v3, 0
	s_addc_u32 s1, s15, s1
	v_mad_i64_i32 v[6:7], s[14:15], s16, v5, v[2:3]
	v_and_b32_e32 v9, 31, v4
	v_lshlrev_b32_e32 v2, 3, v2
	v_lshrrev_b32_e32 v4, 5, v4
	v_mov_b32_e32 v5, v3
	v_lshlrev_b32_e32 v3, 3, v9
	v_lshl_or_b32 v8, v8, 6, v2
	v_add_u32_e32 v2, s2, v9
	v_lshl_or_b32 v14, v4, 8, v3
	v_mad_i64_i32 v[2:3], s[14:15], s8, v2, v[4:5]
	s_load_dwordx2 s[6:7], s[6:7], 0x0
	v_add_u32_e32 v15, 0x800, v8
	s_load_dwordx2 s[0:1], s[0:1], 0x0
	v_lshlrev_b64 v[2:3], 3, v[2:3]
	v_mov_b32_e32 v17, 0x800
	s_waitcnt lgkmcnt(0)
	v_mov_b32_e32 v5, s7
	v_add_co_u32_e32 v4, vcc, s6, v2
	v_addc_co_u32_e32 v5, vcc, v5, v3, vcc
	v_lshlrev_b64 v[2:3], 3, v[6:7]
	v_mov_b32_e32 v7, s1
	v_add_co_u32_e32 v6, vcc, s0, v2
	v_addc_co_u32_e32 v7, vcc, v7, v3, vcc
	v_mov_b32_e32 v2, 0
	v_mov_b32_e32 v8, 0
	;; [unrolled: 1-line block ×4, first 2 shown]
	v_lshlrev_b32_e32 v16, 3, v0
	v_mov_b32_e32 v3, 0
	v_mov_b32_e32 v9, 0
	;; [unrolled: 1-line block ×4, first 2 shown]
	v_lshl_add_u32 v17, v1, 6, v17
.LBB559_2:                              ; =>This Inner Loop Header: Depth=1
	flat_load_dwordx2 v[18:19], v[4:5]
	v_add_co_u32_e32 v4, vcc, 64, v4
	v_addc_co_u32_e32 v5, vcc, 0, v5, vcc
	s_add_i32 s9, s9, 8
	s_cmp_ge_i32 s9, s13
	s_waitcnt vmcnt(0) lgkmcnt(0)
	ds_write_b64 v14, v[18:19]
	flat_load_dwordx2 v[18:19], v[6:7]
	v_add_co_u32_e32 v6, vcc, 64, v6
	v_addc_co_u32_e32 v7, vcc, 0, v7, vcc
	s_waitcnt vmcnt(0) lgkmcnt(0)
	ds_write_b64 v15, v[18:19]
	s_waitcnt lgkmcnt(0)
	s_barrier
	ds_read2_b64 v[18:21], v16 offset1:16
	ds_read_b128 v[22:25], v17
	ds_read_b128 v[26:29], v17 offset:1024
	ds_read_b128 v[30:33], v17 offset:16
	s_waitcnt lgkmcnt(2)
	v_fma_f64 v[34:35], v[18:19], v[22:23], v[12:13]
	v_fma_f64 v[22:23], v[20:21], v[22:23], v[10:11]
	s_waitcnt lgkmcnt(1)
	v_fma_f64 v[8:9], v[18:19], v[26:27], v[8:9]
	v_fma_f64 v[2:3], v[20:21], v[26:27], v[2:3]
	ds_read2_b64 v[18:21], v16 offset0:32 offset1:48
	ds_read_b128 v[10:13], v17 offset:1040
	s_waitcnt lgkmcnt(1)
	v_fma_f64 v[26:27], v[18:19], v[24:25], v[34:35]
	v_fma_f64 v[34:35], v[20:21], v[24:25], v[22:23]
	;; [unrolled: 1-line block ×4, first 2 shown]
	ds_read2_b64 v[18:21], v16 offset0:64 offset1:80
	ds_read2_b64 v[22:25], v16 offset0:96 offset1:112
	s_waitcnt lgkmcnt(1)
	v_fma_f64 v[26:27], v[18:19], v[30:31], v[26:27]
	v_fma_f64 v[28:29], v[20:21], v[30:31], v[34:35]
	;; [unrolled: 1-line block ×4, first 2 shown]
	ds_read2_b64 v[8:11], v16 offset0:128 offset1:144
	ds_read_b128 v[18:21], v17 offset:32
	s_waitcnt lgkmcnt(2)
	v_fma_f64 v[34:35], v[22:23], v[32:33], v[26:27]
	v_fma_f64 v[32:33], v[24:25], v[32:33], v[28:29]
	;; [unrolled: 1-line block ×4, first 2 shown]
	ds_read_b128 v[22:25], v17 offset:1056
	ds_read_b128 v[26:29], v17 offset:48
	s_waitcnt lgkmcnt(2)
	v_fma_f64 v[12:13], v[8:9], v[18:19], v[34:35]
	v_fma_f64 v[18:19], v[10:11], v[18:19], v[32:33]
	s_waitcnt lgkmcnt(1)
	v_fma_f64 v[34:35], v[8:9], v[22:23], v[36:37]
	v_fma_f64 v[2:3], v[10:11], v[22:23], v[2:3]
	ds_read2_b64 v[8:11], v16 offset0:160 offset1:176
	ds_read_b128 v[30:33], v17 offset:1072
	s_waitcnt lgkmcnt(1)
	v_fma_f64 v[12:13], v[8:9], v[20:21], v[12:13]
	v_fma_f64 v[18:19], v[10:11], v[20:21], v[18:19]
	;; [unrolled: 1-line block ×4, first 2 shown]
	ds_read2_b64 v[8:11], v16 offset0:192 offset1:208
	s_waitcnt lgkmcnt(0)
	v_fma_f64 v[12:13], v[8:9], v[26:27], v[12:13]
	v_fma_f64 v[22:23], v[10:11], v[26:27], v[18:19]
	;; [unrolled: 1-line block ×4, first 2 shown]
	ds_read2_b64 v[18:21], v16 offset0:224 offset1:240
	s_waitcnt lgkmcnt(0)
	s_barrier
	v_fma_f64 v[12:13], v[18:19], v[28:29], v[12:13]
	v_fma_f64 v[10:11], v[20:21], v[28:29], v[22:23]
	v_fma_f64 v[8:9], v[18:19], v[32:33], v[8:9]
	v_fma_f64 v[2:3], v[20:21], v[32:33], v[2:3]
	s_cbranch_scc0 .LBB559_2
	s_branch .LBB559_4
.LBB559_3:
	v_mov_b32_e32 v12, 0
	v_mov_b32_e32 v10, 0
	;; [unrolled: 1-line block ×8, first 2 shown]
.LBB559_4:
	s_load_dword s6, s[4:5], 0x40
	v_add_u32_e32 v6, s3, v1
	s_waitcnt lgkmcnt(0)
	v_mov_b32_e32 v1, s11
	v_add_u32_e32 v0, s2, v0
	v_mad_i64_i32 v[4:5], s[0:1], v6, s6, 0
	v_cmp_le_i32_e64 s[0:1], v6, v0
	v_lshlrev_b64 v[4:5], 3, v[4:5]
	v_add_co_u32_e32 v7, vcc, s10, v4
	v_addc_co_u32_e32 v14, vcc, v1, v5, vcc
	v_cmp_gt_i32_e32 vcc, s12, v0
	s_and_b64 s[0:1], s[0:1], vcc
	s_and_saveexec_b64 s[2:3], s[0:1]
	s_cbranch_execz .LBB559_6
; %bb.5:
	v_ashrrev_i32_e32 v1, 31, v0
	v_lshlrev_b64 v[4:5], 3, v[0:1]
	v_xor_b32_e32 v13, 0x80000000, v13
	v_add_co_u32_e64 v4, s[0:1], v7, v4
	v_addc_co_u32_e64 v5, s[0:1], v14, v5, s[0:1]
	flat_store_dwordx2 v[4:5], v[12:13]
.LBB559_6:
	s_or_b64 exec, exec, s[2:3]
	v_add_u32_e32 v4, 16, v0
	v_cmp_le_i32_e64 s[2:3], v6, v4
	v_cmp_gt_i32_e64 s[0:1], s12, v4
	s_and_b64 s[2:3], s[2:3], s[0:1]
	s_and_saveexec_b64 s[4:5], s[2:3]
	s_cbranch_execz .LBB559_8
; %bb.7:
	v_ashrrev_i32_e32 v5, 31, v4
	v_lshlrev_b64 v[12:13], 3, v[4:5]
	v_xor_b32_e32 v11, 0x80000000, v11
	v_add_co_u32_e64 v12, s[2:3], v7, v12
	v_addc_co_u32_e64 v13, s[2:3], v14, v13, s[2:3]
	flat_store_dwordx2 v[12:13], v[10:11]
.LBB559_8:
	s_or_b64 exec, exec, s[4:5]
	v_add_u32_e32 v5, 16, v6
	v_mad_i64_i32 v[6:7], s[2:3], v5, s6, 0
	v_mov_b32_e32 v1, s11
	v_lshlrev_b64 v[6:7], 3, v[6:7]
	v_add_co_u32_e64 v6, s[2:3], s10, v6
	v_addc_co_u32_e64 v7, s[2:3], v1, v7, s[2:3]
	v_cmp_le_i32_e64 s[2:3], v5, v0
	s_and_b64 s[4:5], s[2:3], vcc
	s_and_saveexec_b64 s[2:3], s[4:5]
	s_cbranch_execz .LBB559_10
; %bb.9:
	v_ashrrev_i32_e32 v1, 31, v0
	v_lshlrev_b64 v[0:1], 3, v[0:1]
	v_xor_b32_e32 v9, 0x80000000, v9
	v_add_co_u32_e32 v0, vcc, v6, v0
	v_addc_co_u32_e32 v1, vcc, v7, v1, vcc
	flat_store_dwordx2 v[0:1], v[8:9]
.LBB559_10:
	s_or_b64 exec, exec, s[2:3]
	v_cmp_le_i32_e32 vcc, v5, v4
	s_and_b64 s[0:1], vcc, s[0:1]
	s_and_saveexec_b64 s[2:3], s[0:1]
	s_cbranch_execz .LBB559_12
; %bb.11:
	v_ashrrev_i32_e32 v5, 31, v4
	v_lshlrev_b64 v[0:1], 3, v[4:5]
	v_xor_b32_e32 v3, 0x80000000, v3
	v_add_co_u32_e32 v0, vcc, v6, v0
	v_addc_co_u32_e32 v1, vcc, v7, v1, vcc
	flat_store_dwordx2 v[0:1], v[2:3]
.LBB559_12:
	s_endpgm
	.section	.rodata,"a",@progbits
	.p2align	6, 0x0
	.amdhsa_kernel _ZL37rocblas_syrkx_herkx_restricted_kernelIidLi16ELi32ELi8ELin1ELi0ELb0ELc84ELc76EKPKdKPdEviT_PT9_S5_lS7_S5_lPT10_S5_li
		.amdhsa_group_segment_fixed_size 4096
		.amdhsa_private_segment_fixed_size 0
		.amdhsa_kernarg_size 84
		.amdhsa_user_sgpr_count 6
		.amdhsa_user_sgpr_private_segment_buffer 1
		.amdhsa_user_sgpr_dispatch_ptr 0
		.amdhsa_user_sgpr_queue_ptr 0
		.amdhsa_user_sgpr_kernarg_segment_ptr 1
		.amdhsa_user_sgpr_dispatch_id 0
		.amdhsa_user_sgpr_flat_scratch_init 0
		.amdhsa_user_sgpr_private_segment_size 0
		.amdhsa_uses_dynamic_stack 0
		.amdhsa_system_sgpr_private_segment_wavefront_offset 0
		.amdhsa_system_sgpr_workgroup_id_x 1
		.amdhsa_system_sgpr_workgroup_id_y 1
		.amdhsa_system_sgpr_workgroup_id_z 1
		.amdhsa_system_sgpr_workgroup_info 0
		.amdhsa_system_vgpr_workitem_id 1
		.amdhsa_next_free_vgpr 38
		.amdhsa_next_free_sgpr 17
		.amdhsa_reserve_vcc 1
		.amdhsa_reserve_flat_scratch 0
		.amdhsa_float_round_mode_32 0
		.amdhsa_float_round_mode_16_64 0
		.amdhsa_float_denorm_mode_32 3
		.amdhsa_float_denorm_mode_16_64 3
		.amdhsa_dx10_clamp 1
		.amdhsa_ieee_mode 1
		.amdhsa_fp16_overflow 0
		.amdhsa_exception_fp_ieee_invalid_op 0
		.amdhsa_exception_fp_denorm_src 0
		.amdhsa_exception_fp_ieee_div_zero 0
		.amdhsa_exception_fp_ieee_overflow 0
		.amdhsa_exception_fp_ieee_underflow 0
		.amdhsa_exception_fp_ieee_inexact 0
		.amdhsa_exception_int_div_zero 0
	.end_amdhsa_kernel
	.section	.text._ZL37rocblas_syrkx_herkx_restricted_kernelIidLi16ELi32ELi8ELin1ELi0ELb0ELc84ELc76EKPKdKPdEviT_PT9_S5_lS7_S5_lPT10_S5_li,"axG",@progbits,_ZL37rocblas_syrkx_herkx_restricted_kernelIidLi16ELi32ELi8ELin1ELi0ELb0ELc84ELc76EKPKdKPdEviT_PT9_S5_lS7_S5_lPT10_S5_li,comdat
.Lfunc_end559:
	.size	_ZL37rocblas_syrkx_herkx_restricted_kernelIidLi16ELi32ELi8ELin1ELi0ELb0ELc84ELc76EKPKdKPdEviT_PT9_S5_lS7_S5_lPT10_S5_li, .Lfunc_end559-_ZL37rocblas_syrkx_herkx_restricted_kernelIidLi16ELi32ELi8ELin1ELi0ELb0ELc84ELc76EKPKdKPdEviT_PT9_S5_lS7_S5_lPT10_S5_li
                                        ; -- End function
	.set _ZL37rocblas_syrkx_herkx_restricted_kernelIidLi16ELi32ELi8ELin1ELi0ELb0ELc84ELc76EKPKdKPdEviT_PT9_S5_lS7_S5_lPT10_S5_li.num_vgpr, 38
	.set _ZL37rocblas_syrkx_herkx_restricted_kernelIidLi16ELi32ELi8ELin1ELi0ELb0ELc84ELc76EKPKdKPdEviT_PT9_S5_lS7_S5_lPT10_S5_li.num_agpr, 0
	.set _ZL37rocblas_syrkx_herkx_restricted_kernelIidLi16ELi32ELi8ELin1ELi0ELb0ELc84ELc76EKPKdKPdEviT_PT9_S5_lS7_S5_lPT10_S5_li.numbered_sgpr, 17
	.set _ZL37rocblas_syrkx_herkx_restricted_kernelIidLi16ELi32ELi8ELin1ELi0ELb0ELc84ELc76EKPKdKPdEviT_PT9_S5_lS7_S5_lPT10_S5_li.num_named_barrier, 0
	.set _ZL37rocblas_syrkx_herkx_restricted_kernelIidLi16ELi32ELi8ELin1ELi0ELb0ELc84ELc76EKPKdKPdEviT_PT9_S5_lS7_S5_lPT10_S5_li.private_seg_size, 0
	.set _ZL37rocblas_syrkx_herkx_restricted_kernelIidLi16ELi32ELi8ELin1ELi0ELb0ELc84ELc76EKPKdKPdEviT_PT9_S5_lS7_S5_lPT10_S5_li.uses_vcc, 1
	.set _ZL37rocblas_syrkx_herkx_restricted_kernelIidLi16ELi32ELi8ELin1ELi0ELb0ELc84ELc76EKPKdKPdEviT_PT9_S5_lS7_S5_lPT10_S5_li.uses_flat_scratch, 0
	.set _ZL37rocblas_syrkx_herkx_restricted_kernelIidLi16ELi32ELi8ELin1ELi0ELb0ELc84ELc76EKPKdKPdEviT_PT9_S5_lS7_S5_lPT10_S5_li.has_dyn_sized_stack, 0
	.set _ZL37rocblas_syrkx_herkx_restricted_kernelIidLi16ELi32ELi8ELin1ELi0ELb0ELc84ELc76EKPKdKPdEviT_PT9_S5_lS7_S5_lPT10_S5_li.has_recursion, 0
	.set _ZL37rocblas_syrkx_herkx_restricted_kernelIidLi16ELi32ELi8ELin1ELi0ELb0ELc84ELc76EKPKdKPdEviT_PT9_S5_lS7_S5_lPT10_S5_li.has_indirect_call, 0
	.section	.AMDGPU.csdata,"",@progbits
; Kernel info:
; codeLenInByte = 1208
; TotalNumSgprs: 21
; NumVgprs: 38
; ScratchSize: 0
; MemoryBound: 0
; FloatMode: 240
; IeeeMode: 1
; LDSByteSize: 4096 bytes/workgroup (compile time only)
; SGPRBlocks: 2
; VGPRBlocks: 9
; NumSGPRsForWavesPerEU: 21
; NumVGPRsForWavesPerEU: 38
; Occupancy: 6
; WaveLimiterHint : 1
; COMPUTE_PGM_RSRC2:SCRATCH_EN: 0
; COMPUTE_PGM_RSRC2:USER_SGPR: 6
; COMPUTE_PGM_RSRC2:TRAP_HANDLER: 0
; COMPUTE_PGM_RSRC2:TGID_X_EN: 1
; COMPUTE_PGM_RSRC2:TGID_Y_EN: 1
; COMPUTE_PGM_RSRC2:TGID_Z_EN: 1
; COMPUTE_PGM_RSRC2:TIDIG_COMP_CNT: 1
	.section	.text._ZL37rocblas_syrkx_herkx_restricted_kernelIidLi16ELi32ELi8ELin1ELi0ELb0ELc67ELc76EKPKdKPdEviT_PT9_S5_lS7_S5_lPT10_S5_li,"axG",@progbits,_ZL37rocblas_syrkx_herkx_restricted_kernelIidLi16ELi32ELi8ELin1ELi0ELb0ELc67ELc76EKPKdKPdEviT_PT9_S5_lS7_S5_lPT10_S5_li,comdat
	.globl	_ZL37rocblas_syrkx_herkx_restricted_kernelIidLi16ELi32ELi8ELin1ELi0ELb0ELc67ELc76EKPKdKPdEviT_PT9_S5_lS7_S5_lPT10_S5_li ; -- Begin function _ZL37rocblas_syrkx_herkx_restricted_kernelIidLi16ELi32ELi8ELin1ELi0ELb0ELc67ELc76EKPKdKPdEviT_PT9_S5_lS7_S5_lPT10_S5_li
	.p2align	8
	.type	_ZL37rocblas_syrkx_herkx_restricted_kernelIidLi16ELi32ELi8ELin1ELi0ELb0ELc67ELc76EKPKdKPdEviT_PT9_S5_lS7_S5_lPT10_S5_li,@function
_ZL37rocblas_syrkx_herkx_restricted_kernelIidLi16ELi32ELi8ELin1ELi0ELb0ELc67ELc76EKPKdKPdEviT_PT9_S5_lS7_S5_lPT10_S5_li: ; @_ZL37rocblas_syrkx_herkx_restricted_kernelIidLi16ELi32ELi8ELin1ELi0ELb0ELc67ELc76EKPKdKPdEviT_PT9_S5_lS7_S5_lPT10_S5_li
; %bb.0:
	s_load_dwordx2 s[2:3], s[4:5], 0x38
	s_load_dwordx2 s[12:13], s[4:5], 0x0
	s_mov_b32 s9, 0
	s_lshl_b64 s[0:1], s[8:9], 3
	s_waitcnt lgkmcnt(0)
	s_add_u32 s2, s2, s0
	s_addc_u32 s3, s3, s1
	s_load_dwordx2 s[10:11], s[2:3], 0x0
	s_lshl_b32 s2, s6, 5
	s_lshl_b32 s3, s7, 5
	s_cmp_lt_i32 s13, 1
	s_cbranch_scc1 .LBB560_3
; %bb.1:
	s_load_dwordx2 s[6:7], s[4:5], 0x8
	s_load_dword s8, s[4:5], 0x10
	s_load_dwordx2 s[14:15], s[4:5], 0x20
	s_load_dword s16, s[4:5], 0x28
	v_lshl_add_u32 v4, v1, 4, v0
	s_waitcnt lgkmcnt(0)
	s_add_u32 s6, s6, s0
	s_addc_u32 s7, s7, s1
	v_lshrrev_b32_e32 v8, 3, v4
	s_add_u32 s0, s14, s0
	v_add_u32_e32 v5, s3, v8
	v_and_b32_e32 v2, 7, v0
	v_mov_b32_e32 v3, 0
	s_addc_u32 s1, s15, s1
	v_mad_i64_i32 v[6:7], s[14:15], s16, v5, v[2:3]
	v_and_b32_e32 v9, 31, v4
	v_lshlrev_b32_e32 v2, 3, v2
	v_lshrrev_b32_e32 v4, 5, v4
	v_mov_b32_e32 v5, v3
	v_lshlrev_b32_e32 v3, 3, v9
	v_lshl_or_b32 v8, v8, 6, v2
	v_add_u32_e32 v2, s2, v9
	v_lshl_or_b32 v14, v4, 8, v3
	v_mad_i64_i32 v[2:3], s[14:15], s8, v2, v[4:5]
	s_load_dwordx2 s[6:7], s[6:7], 0x0
	v_add_u32_e32 v15, 0x800, v8
	s_load_dwordx2 s[0:1], s[0:1], 0x0
	v_lshlrev_b64 v[2:3], 3, v[2:3]
	v_mov_b32_e32 v17, 0x800
	s_waitcnt lgkmcnt(0)
	v_mov_b32_e32 v5, s7
	v_add_co_u32_e32 v4, vcc, s6, v2
	v_addc_co_u32_e32 v5, vcc, v5, v3, vcc
	v_lshlrev_b64 v[2:3], 3, v[6:7]
	v_mov_b32_e32 v7, s1
	v_add_co_u32_e32 v6, vcc, s0, v2
	v_addc_co_u32_e32 v7, vcc, v7, v3, vcc
	v_mov_b32_e32 v2, 0
	v_mov_b32_e32 v8, 0
	;; [unrolled: 1-line block ×4, first 2 shown]
	v_lshlrev_b32_e32 v16, 3, v0
	v_mov_b32_e32 v3, 0
	v_mov_b32_e32 v9, 0
	v_mov_b32_e32 v11, 0
	v_mov_b32_e32 v13, 0
	v_lshl_add_u32 v17, v1, 6, v17
.LBB560_2:                              ; =>This Inner Loop Header: Depth=1
	flat_load_dwordx2 v[18:19], v[4:5]
	v_add_co_u32_e32 v4, vcc, 64, v4
	v_addc_co_u32_e32 v5, vcc, 0, v5, vcc
	s_add_i32 s9, s9, 8
	s_cmp_ge_i32 s9, s13
	s_waitcnt vmcnt(0) lgkmcnt(0)
	ds_write_b64 v14, v[18:19]
	flat_load_dwordx2 v[18:19], v[6:7]
	v_add_co_u32_e32 v6, vcc, 64, v6
	v_addc_co_u32_e32 v7, vcc, 0, v7, vcc
	s_waitcnt vmcnt(0) lgkmcnt(0)
	ds_write_b64 v15, v[18:19]
	s_waitcnt lgkmcnt(0)
	s_barrier
	ds_read2_b64 v[18:21], v16 offset1:16
	ds_read_b128 v[22:25], v17
	ds_read_b128 v[26:29], v17 offset:1024
	ds_read_b128 v[30:33], v17 offset:16
	s_waitcnt lgkmcnt(2)
	v_fma_f64 v[34:35], v[18:19], v[22:23], v[12:13]
	v_fma_f64 v[22:23], v[20:21], v[22:23], v[10:11]
	s_waitcnt lgkmcnt(1)
	v_fma_f64 v[8:9], v[18:19], v[26:27], v[8:9]
	v_fma_f64 v[2:3], v[20:21], v[26:27], v[2:3]
	ds_read2_b64 v[18:21], v16 offset0:32 offset1:48
	ds_read_b128 v[10:13], v17 offset:1040
	s_waitcnt lgkmcnt(1)
	v_fma_f64 v[26:27], v[18:19], v[24:25], v[34:35]
	v_fma_f64 v[34:35], v[20:21], v[24:25], v[22:23]
	;; [unrolled: 1-line block ×4, first 2 shown]
	ds_read2_b64 v[18:21], v16 offset0:64 offset1:80
	ds_read2_b64 v[22:25], v16 offset0:96 offset1:112
	s_waitcnt lgkmcnt(1)
	v_fma_f64 v[26:27], v[18:19], v[30:31], v[26:27]
	v_fma_f64 v[28:29], v[20:21], v[30:31], v[34:35]
	;; [unrolled: 1-line block ×4, first 2 shown]
	ds_read2_b64 v[8:11], v16 offset0:128 offset1:144
	ds_read_b128 v[18:21], v17 offset:32
	s_waitcnt lgkmcnt(2)
	v_fma_f64 v[34:35], v[22:23], v[32:33], v[26:27]
	v_fma_f64 v[32:33], v[24:25], v[32:33], v[28:29]
	;; [unrolled: 1-line block ×4, first 2 shown]
	ds_read_b128 v[22:25], v17 offset:1056
	ds_read_b128 v[26:29], v17 offset:48
	s_waitcnt lgkmcnt(2)
	v_fma_f64 v[12:13], v[8:9], v[18:19], v[34:35]
	v_fma_f64 v[18:19], v[10:11], v[18:19], v[32:33]
	s_waitcnt lgkmcnt(1)
	v_fma_f64 v[34:35], v[8:9], v[22:23], v[36:37]
	v_fma_f64 v[2:3], v[10:11], v[22:23], v[2:3]
	ds_read2_b64 v[8:11], v16 offset0:160 offset1:176
	ds_read_b128 v[30:33], v17 offset:1072
	s_waitcnt lgkmcnt(1)
	v_fma_f64 v[12:13], v[8:9], v[20:21], v[12:13]
	v_fma_f64 v[18:19], v[10:11], v[20:21], v[18:19]
	;; [unrolled: 1-line block ×4, first 2 shown]
	ds_read2_b64 v[8:11], v16 offset0:192 offset1:208
	s_waitcnt lgkmcnt(0)
	v_fma_f64 v[12:13], v[8:9], v[26:27], v[12:13]
	v_fma_f64 v[22:23], v[10:11], v[26:27], v[18:19]
	;; [unrolled: 1-line block ×4, first 2 shown]
	ds_read2_b64 v[18:21], v16 offset0:224 offset1:240
	s_waitcnt lgkmcnt(0)
	s_barrier
	v_fma_f64 v[12:13], v[18:19], v[28:29], v[12:13]
	v_fma_f64 v[10:11], v[20:21], v[28:29], v[22:23]
	;; [unrolled: 1-line block ×4, first 2 shown]
	s_cbranch_scc0 .LBB560_2
	s_branch .LBB560_4
.LBB560_3:
	v_mov_b32_e32 v12, 0
	v_mov_b32_e32 v10, 0
	;; [unrolled: 1-line block ×8, first 2 shown]
.LBB560_4:
	s_load_dword s6, s[4:5], 0x40
	v_add_u32_e32 v6, s3, v1
	s_waitcnt lgkmcnt(0)
	v_mov_b32_e32 v1, s11
	v_add_u32_e32 v0, s2, v0
	v_mad_i64_i32 v[4:5], s[0:1], v6, s6, 0
	v_cmp_le_i32_e64 s[0:1], v6, v0
	v_lshlrev_b64 v[4:5], 3, v[4:5]
	v_add_co_u32_e32 v7, vcc, s10, v4
	v_addc_co_u32_e32 v14, vcc, v1, v5, vcc
	v_cmp_gt_i32_e32 vcc, s12, v0
	s_and_b64 s[0:1], s[0:1], vcc
	s_and_saveexec_b64 s[2:3], s[0:1]
	s_cbranch_execz .LBB560_6
; %bb.5:
	v_ashrrev_i32_e32 v1, 31, v0
	v_lshlrev_b64 v[4:5], 3, v[0:1]
	v_xor_b32_e32 v13, 0x80000000, v13
	v_add_co_u32_e64 v4, s[0:1], v7, v4
	v_addc_co_u32_e64 v5, s[0:1], v14, v5, s[0:1]
	flat_store_dwordx2 v[4:5], v[12:13]
.LBB560_6:
	s_or_b64 exec, exec, s[2:3]
	v_add_u32_e32 v4, 16, v0
	v_cmp_le_i32_e64 s[2:3], v6, v4
	v_cmp_gt_i32_e64 s[0:1], s12, v4
	s_and_b64 s[2:3], s[2:3], s[0:1]
	s_and_saveexec_b64 s[4:5], s[2:3]
	s_cbranch_execz .LBB560_8
; %bb.7:
	v_ashrrev_i32_e32 v5, 31, v4
	v_lshlrev_b64 v[12:13], 3, v[4:5]
	v_xor_b32_e32 v11, 0x80000000, v11
	v_add_co_u32_e64 v12, s[2:3], v7, v12
	v_addc_co_u32_e64 v13, s[2:3], v14, v13, s[2:3]
	flat_store_dwordx2 v[12:13], v[10:11]
.LBB560_8:
	s_or_b64 exec, exec, s[4:5]
	v_add_u32_e32 v5, 16, v6
	v_mad_i64_i32 v[6:7], s[2:3], v5, s6, 0
	v_mov_b32_e32 v1, s11
	v_lshlrev_b64 v[6:7], 3, v[6:7]
	v_add_co_u32_e64 v6, s[2:3], s10, v6
	v_addc_co_u32_e64 v7, s[2:3], v1, v7, s[2:3]
	v_cmp_le_i32_e64 s[2:3], v5, v0
	s_and_b64 s[4:5], s[2:3], vcc
	s_and_saveexec_b64 s[2:3], s[4:5]
	s_cbranch_execz .LBB560_10
; %bb.9:
	v_ashrrev_i32_e32 v1, 31, v0
	v_lshlrev_b64 v[0:1], 3, v[0:1]
	v_xor_b32_e32 v9, 0x80000000, v9
	v_add_co_u32_e32 v0, vcc, v6, v0
	v_addc_co_u32_e32 v1, vcc, v7, v1, vcc
	flat_store_dwordx2 v[0:1], v[8:9]
.LBB560_10:
	s_or_b64 exec, exec, s[2:3]
	v_cmp_le_i32_e32 vcc, v5, v4
	s_and_b64 s[0:1], vcc, s[0:1]
	s_and_saveexec_b64 s[2:3], s[0:1]
	s_cbranch_execz .LBB560_12
; %bb.11:
	v_ashrrev_i32_e32 v5, 31, v4
	v_lshlrev_b64 v[0:1], 3, v[4:5]
	v_xor_b32_e32 v3, 0x80000000, v3
	v_add_co_u32_e32 v0, vcc, v6, v0
	v_addc_co_u32_e32 v1, vcc, v7, v1, vcc
	flat_store_dwordx2 v[0:1], v[2:3]
.LBB560_12:
	s_endpgm
	.section	.rodata,"a",@progbits
	.p2align	6, 0x0
	.amdhsa_kernel _ZL37rocblas_syrkx_herkx_restricted_kernelIidLi16ELi32ELi8ELin1ELi0ELb0ELc67ELc76EKPKdKPdEviT_PT9_S5_lS7_S5_lPT10_S5_li
		.amdhsa_group_segment_fixed_size 4096
		.amdhsa_private_segment_fixed_size 0
		.amdhsa_kernarg_size 84
		.amdhsa_user_sgpr_count 6
		.amdhsa_user_sgpr_private_segment_buffer 1
		.amdhsa_user_sgpr_dispatch_ptr 0
		.amdhsa_user_sgpr_queue_ptr 0
		.amdhsa_user_sgpr_kernarg_segment_ptr 1
		.amdhsa_user_sgpr_dispatch_id 0
		.amdhsa_user_sgpr_flat_scratch_init 0
		.amdhsa_user_sgpr_private_segment_size 0
		.amdhsa_uses_dynamic_stack 0
		.amdhsa_system_sgpr_private_segment_wavefront_offset 0
		.amdhsa_system_sgpr_workgroup_id_x 1
		.amdhsa_system_sgpr_workgroup_id_y 1
		.amdhsa_system_sgpr_workgroup_id_z 1
		.amdhsa_system_sgpr_workgroup_info 0
		.amdhsa_system_vgpr_workitem_id 1
		.amdhsa_next_free_vgpr 38
		.amdhsa_next_free_sgpr 17
		.amdhsa_reserve_vcc 1
		.amdhsa_reserve_flat_scratch 0
		.amdhsa_float_round_mode_32 0
		.amdhsa_float_round_mode_16_64 0
		.amdhsa_float_denorm_mode_32 3
		.amdhsa_float_denorm_mode_16_64 3
		.amdhsa_dx10_clamp 1
		.amdhsa_ieee_mode 1
		.amdhsa_fp16_overflow 0
		.amdhsa_exception_fp_ieee_invalid_op 0
		.amdhsa_exception_fp_denorm_src 0
		.amdhsa_exception_fp_ieee_div_zero 0
		.amdhsa_exception_fp_ieee_overflow 0
		.amdhsa_exception_fp_ieee_underflow 0
		.amdhsa_exception_fp_ieee_inexact 0
		.amdhsa_exception_int_div_zero 0
	.end_amdhsa_kernel
	.section	.text._ZL37rocblas_syrkx_herkx_restricted_kernelIidLi16ELi32ELi8ELin1ELi0ELb0ELc67ELc76EKPKdKPdEviT_PT9_S5_lS7_S5_lPT10_S5_li,"axG",@progbits,_ZL37rocblas_syrkx_herkx_restricted_kernelIidLi16ELi32ELi8ELin1ELi0ELb0ELc67ELc76EKPKdKPdEviT_PT9_S5_lS7_S5_lPT10_S5_li,comdat
.Lfunc_end560:
	.size	_ZL37rocblas_syrkx_herkx_restricted_kernelIidLi16ELi32ELi8ELin1ELi0ELb0ELc67ELc76EKPKdKPdEviT_PT9_S5_lS7_S5_lPT10_S5_li, .Lfunc_end560-_ZL37rocblas_syrkx_herkx_restricted_kernelIidLi16ELi32ELi8ELin1ELi0ELb0ELc67ELc76EKPKdKPdEviT_PT9_S5_lS7_S5_lPT10_S5_li
                                        ; -- End function
	.set _ZL37rocblas_syrkx_herkx_restricted_kernelIidLi16ELi32ELi8ELin1ELi0ELb0ELc67ELc76EKPKdKPdEviT_PT9_S5_lS7_S5_lPT10_S5_li.num_vgpr, 38
	.set _ZL37rocblas_syrkx_herkx_restricted_kernelIidLi16ELi32ELi8ELin1ELi0ELb0ELc67ELc76EKPKdKPdEviT_PT9_S5_lS7_S5_lPT10_S5_li.num_agpr, 0
	.set _ZL37rocblas_syrkx_herkx_restricted_kernelIidLi16ELi32ELi8ELin1ELi0ELb0ELc67ELc76EKPKdKPdEviT_PT9_S5_lS7_S5_lPT10_S5_li.numbered_sgpr, 17
	.set _ZL37rocblas_syrkx_herkx_restricted_kernelIidLi16ELi32ELi8ELin1ELi0ELb0ELc67ELc76EKPKdKPdEviT_PT9_S5_lS7_S5_lPT10_S5_li.num_named_barrier, 0
	.set _ZL37rocblas_syrkx_herkx_restricted_kernelIidLi16ELi32ELi8ELin1ELi0ELb0ELc67ELc76EKPKdKPdEviT_PT9_S5_lS7_S5_lPT10_S5_li.private_seg_size, 0
	.set _ZL37rocblas_syrkx_herkx_restricted_kernelIidLi16ELi32ELi8ELin1ELi0ELb0ELc67ELc76EKPKdKPdEviT_PT9_S5_lS7_S5_lPT10_S5_li.uses_vcc, 1
	.set _ZL37rocblas_syrkx_herkx_restricted_kernelIidLi16ELi32ELi8ELin1ELi0ELb0ELc67ELc76EKPKdKPdEviT_PT9_S5_lS7_S5_lPT10_S5_li.uses_flat_scratch, 0
	.set _ZL37rocblas_syrkx_herkx_restricted_kernelIidLi16ELi32ELi8ELin1ELi0ELb0ELc67ELc76EKPKdKPdEviT_PT9_S5_lS7_S5_lPT10_S5_li.has_dyn_sized_stack, 0
	.set _ZL37rocblas_syrkx_herkx_restricted_kernelIidLi16ELi32ELi8ELin1ELi0ELb0ELc67ELc76EKPKdKPdEviT_PT9_S5_lS7_S5_lPT10_S5_li.has_recursion, 0
	.set _ZL37rocblas_syrkx_herkx_restricted_kernelIidLi16ELi32ELi8ELin1ELi0ELb0ELc67ELc76EKPKdKPdEviT_PT9_S5_lS7_S5_lPT10_S5_li.has_indirect_call, 0
	.section	.AMDGPU.csdata,"",@progbits
; Kernel info:
; codeLenInByte = 1208
; TotalNumSgprs: 21
; NumVgprs: 38
; ScratchSize: 0
; MemoryBound: 0
; FloatMode: 240
; IeeeMode: 1
; LDSByteSize: 4096 bytes/workgroup (compile time only)
; SGPRBlocks: 2
; VGPRBlocks: 9
; NumSGPRsForWavesPerEU: 21
; NumVGPRsForWavesPerEU: 38
; Occupancy: 6
; WaveLimiterHint : 1
; COMPUTE_PGM_RSRC2:SCRATCH_EN: 0
; COMPUTE_PGM_RSRC2:USER_SGPR: 6
; COMPUTE_PGM_RSRC2:TRAP_HANDLER: 0
; COMPUTE_PGM_RSRC2:TGID_X_EN: 1
; COMPUTE_PGM_RSRC2:TGID_Y_EN: 1
; COMPUTE_PGM_RSRC2:TGID_Z_EN: 1
; COMPUTE_PGM_RSRC2:TIDIG_COMP_CNT: 1
	.section	.text._ZL37rocblas_syrkx_herkx_restricted_kernelIidLi16ELi32ELi8ELin1ELi0ELb0ELc78ELc76EKPKdKPdEviT_PT9_S5_lS7_S5_lPT10_S5_li,"axG",@progbits,_ZL37rocblas_syrkx_herkx_restricted_kernelIidLi16ELi32ELi8ELin1ELi0ELb0ELc78ELc76EKPKdKPdEviT_PT9_S5_lS7_S5_lPT10_S5_li,comdat
	.globl	_ZL37rocblas_syrkx_herkx_restricted_kernelIidLi16ELi32ELi8ELin1ELi0ELb0ELc78ELc76EKPKdKPdEviT_PT9_S5_lS7_S5_lPT10_S5_li ; -- Begin function _ZL37rocblas_syrkx_herkx_restricted_kernelIidLi16ELi32ELi8ELin1ELi0ELb0ELc78ELc76EKPKdKPdEviT_PT9_S5_lS7_S5_lPT10_S5_li
	.p2align	8
	.type	_ZL37rocblas_syrkx_herkx_restricted_kernelIidLi16ELi32ELi8ELin1ELi0ELb0ELc78ELc76EKPKdKPdEviT_PT9_S5_lS7_S5_lPT10_S5_li,@function
_ZL37rocblas_syrkx_herkx_restricted_kernelIidLi16ELi32ELi8ELin1ELi0ELb0ELc78ELc76EKPKdKPdEviT_PT9_S5_lS7_S5_lPT10_S5_li: ; @_ZL37rocblas_syrkx_herkx_restricted_kernelIidLi16ELi32ELi8ELin1ELi0ELb0ELc78ELc76EKPKdKPdEviT_PT9_S5_lS7_S5_lPT10_S5_li
; %bb.0:
	s_load_dwordx2 s[2:3], s[4:5], 0x38
	s_load_dwordx2 s[12:13], s[4:5], 0x0
	s_mov_b32 s9, 0
	s_lshl_b64 s[0:1], s[8:9], 3
	s_waitcnt lgkmcnt(0)
	s_add_u32 s2, s2, s0
	s_addc_u32 s3, s3, s1
	s_load_dwordx2 s[10:11], s[2:3], 0x0
	s_lshl_b32 s6, s6, 5
	s_lshl_b32 s7, s7, 5
	s_cmp_lt_i32 s13, 1
	s_cbranch_scc1 .LBB561_3
; %bb.1:
	s_load_dword s2, s[4:5], 0x10
	s_load_dword s14, s[4:5], 0x28
	s_load_dwordx2 s[16:17], s[4:5], 0x20
	s_load_dwordx2 s[18:19], s[4:5], 0x8
	v_lshl_add_u32 v5, v1, 4, v0
	s_waitcnt lgkmcnt(0)
	s_ashr_i32 s3, s2, 31
	s_ashr_i32 s15, s14, 31
	v_lshrrev_b32_e32 v6, 3, v5
	s_add_u32 s18, s18, s0
	s_addc_u32 s19, s19, s1
	s_add_u32 s0, s16, s0
	v_add_u32_e32 v2, s7, v6
	s_addc_u32 s1, s17, s1
	v_and_b32_e32 v4, 7, v0
	v_ashrrev_i32_e32 v3, 31, v2
	s_load_dwordx2 s[16:17], s[0:1], 0x0
	v_mad_i64_i32 v[2:3], s[0:1], s14, v4, v[2:3]
	v_lshlrev_b32_e32 v4, 3, v4
	v_lshrrev_b32_e32 v7, 5, v5
	v_and_b32_e32 v5, 31, v5
	v_lshl_or_b32 v4, v6, 6, v4
	v_add_u32_e32 v15, 0x800, v4
	v_add_u32_e32 v4, s6, v5
	v_lshlrev_b32_e32 v8, 3, v5
	v_ashrrev_i32_e32 v5, 31, v4
	v_mad_i64_i32 v[4:5], s[0:1], s2, v7, v[4:5]
	s_load_dwordx2 s[18:19], s[18:19], 0x0
	v_mov_b32_e32 v6, 0x800
	v_lshlrev_b64 v[4:5], 3, v[4:5]
	v_lshl_add_u32 v17, v1, 6, v6
	v_lshlrev_b64 v[2:3], 3, v[2:3]
	s_waitcnt lgkmcnt(0)
	v_mov_b32_e32 v6, s19
	v_add_co_u32_e32 v4, vcc, s18, v4
	v_addc_co_u32_e32 v5, vcc, v6, v5, vcc
	v_lshl_or_b32 v14, v7, 8, v8
	v_mov_b32_e32 v7, s17
	v_add_co_u32_e32 v6, vcc, s16, v2
	s_lshl_b64 s[0:1], s[2:3], 6
	v_addc_co_u32_e32 v7, vcc, v7, v3, vcc
	s_lshl_b64 s[2:3], s[14:15], 6
	v_mov_b32_e32 v2, 0
	v_mov_b32_e32 v8, 0
	;; [unrolled: 1-line block ×4, first 2 shown]
	v_lshlrev_b32_e32 v16, 3, v0
	v_mov_b32_e32 v3, 0
	v_mov_b32_e32 v18, s1
	;; [unrolled: 1-line block ×6, first 2 shown]
.LBB561_2:                              ; =>This Inner Loop Header: Depth=1
	flat_load_dwordx2 v[20:21], v[4:5]
	v_add_co_u32_e32 v4, vcc, s0, v4
	v_addc_co_u32_e32 v5, vcc, v5, v18, vcc
	s_add_i32 s9, s9, 8
	s_cmp_ge_i32 s9, s13
	s_waitcnt vmcnt(0) lgkmcnt(0)
	ds_write_b64 v14, v[20:21]
	flat_load_dwordx2 v[20:21], v[6:7]
	v_add_co_u32_e32 v6, vcc, s2, v6
	v_addc_co_u32_e32 v7, vcc, v7, v19, vcc
	s_waitcnt vmcnt(0) lgkmcnt(0)
	ds_write_b64 v15, v[20:21]
	s_waitcnt lgkmcnt(0)
	s_barrier
	ds_read2_b64 v[20:23], v16 offset1:16
	ds_read_b128 v[24:27], v17
	ds_read_b128 v[28:31], v17 offset:16
	s_waitcnt lgkmcnt(1)
	v_fma_f64 v[36:37], v[20:21], v[24:25], v[12:13]
	v_fma_f64 v[24:25], v[22:23], v[24:25], v[10:11]
	ds_read_b128 v[10:13], v17 offset:1024
	ds_read_b128 v[32:35], v17 offset:1040
	s_waitcnt lgkmcnt(1)
	v_fma_f64 v[20:21], v[20:21], v[10:11], v[8:9]
	v_fma_f64 v[2:3], v[22:23], v[10:11], v[2:3]
	ds_read2_b64 v[8:11], v16 offset0:32 offset1:48
	s_waitcnt lgkmcnt(0)
	v_fma_f64 v[22:23], v[8:9], v[26:27], v[36:37]
	v_fma_f64 v[24:25], v[10:11], v[26:27], v[24:25]
	v_fma_f64 v[20:21], v[8:9], v[12:13], v[20:21]
	v_fma_f64 v[2:3], v[10:11], v[12:13], v[2:3]
	ds_read2_b64 v[8:11], v16 offset0:64 offset1:80
	s_waitcnt lgkmcnt(0)
	v_fma_f64 v[12:13], v[8:9], v[28:29], v[22:23]
	v_fma_f64 v[22:23], v[10:11], v[28:29], v[24:25]
	;; [unrolled: 6-line block ×3, first 2 shown]
	ds_read2_b64 v[20:23], v16 offset0:128 offset1:144
	v_fma_f64 v[36:37], v[8:9], v[34:35], v[24:25]
	v_fma_f64 v[2:3], v[10:11], v[34:35], v[2:3]
	ds_read_b128 v[8:11], v17 offset:32
	ds_read_b128 v[24:27], v17 offset:48
	s_waitcnt lgkmcnt(1)
	v_fma_f64 v[12:13], v[20:21], v[8:9], v[12:13]
	v_fma_f64 v[8:9], v[22:23], v[8:9], v[28:29]
	ds_read_b128 v[28:31], v17 offset:1056
	ds_read_b128 v[32:35], v17 offset:1072
	s_waitcnt lgkmcnt(1)
	v_fma_f64 v[36:37], v[20:21], v[28:29], v[36:37]
	v_fma_f64 v[2:3], v[22:23], v[28:29], v[2:3]
	ds_read2_b64 v[20:23], v16 offset0:160 offset1:176
	s_waitcnt lgkmcnt(0)
	v_fma_f64 v[12:13], v[20:21], v[10:11], v[12:13]
	v_fma_f64 v[28:29], v[22:23], v[10:11], v[8:9]
	;; [unrolled: 1-line block ×4, first 2 shown]
	ds_read2_b64 v[8:11], v16 offset0:192 offset1:208
	s_waitcnt lgkmcnt(0)
	v_fma_f64 v[12:13], v[8:9], v[24:25], v[12:13]
	v_fma_f64 v[24:25], v[10:11], v[24:25], v[28:29]
	;; [unrolled: 1-line block ×4, first 2 shown]
	ds_read2_b64 v[20:23], v16 offset0:224 offset1:240
	s_waitcnt lgkmcnt(0)
	s_barrier
	v_fma_f64 v[12:13], v[20:21], v[26:27], v[12:13]
	v_fma_f64 v[10:11], v[22:23], v[26:27], v[24:25]
	;; [unrolled: 1-line block ×4, first 2 shown]
	s_cbranch_scc0 .LBB561_2
	s_branch .LBB561_4
.LBB561_3:
	v_mov_b32_e32 v12, 0
	v_mov_b32_e32 v10, 0
	;; [unrolled: 1-line block ×8, first 2 shown]
.LBB561_4:
	s_load_dword s8, s[4:5], 0x40
	v_add_u32_e32 v6, s7, v1
	s_waitcnt lgkmcnt(0)
	v_mov_b32_e32 v1, s11
	v_add_u32_e32 v0, s6, v0
	v_mad_i64_i32 v[4:5], s[0:1], v6, s8, 0
	v_cmp_le_i32_e64 s[0:1], v6, v0
	v_lshlrev_b64 v[4:5], 3, v[4:5]
	v_add_co_u32_e32 v7, vcc, s10, v4
	v_addc_co_u32_e32 v14, vcc, v1, v5, vcc
	v_cmp_gt_i32_e32 vcc, s12, v0
	s_and_b64 s[0:1], s[0:1], vcc
	s_and_saveexec_b64 s[2:3], s[0:1]
	s_cbranch_execz .LBB561_6
; %bb.5:
	v_ashrrev_i32_e32 v1, 31, v0
	v_lshlrev_b64 v[4:5], 3, v[0:1]
	v_xor_b32_e32 v13, 0x80000000, v13
	v_add_co_u32_e64 v4, s[0:1], v7, v4
	v_addc_co_u32_e64 v5, s[0:1], v14, v5, s[0:1]
	flat_store_dwordx2 v[4:5], v[12:13]
.LBB561_6:
	s_or_b64 exec, exec, s[2:3]
	v_add_u32_e32 v4, 16, v0
	v_cmp_le_i32_e64 s[2:3], v6, v4
	v_cmp_gt_i32_e64 s[0:1], s12, v4
	s_and_b64 s[2:3], s[2:3], s[0:1]
	s_and_saveexec_b64 s[4:5], s[2:3]
	s_cbranch_execz .LBB561_8
; %bb.7:
	v_ashrrev_i32_e32 v5, 31, v4
	v_lshlrev_b64 v[12:13], 3, v[4:5]
	v_xor_b32_e32 v11, 0x80000000, v11
	v_add_co_u32_e64 v12, s[2:3], v7, v12
	v_addc_co_u32_e64 v13, s[2:3], v14, v13, s[2:3]
	flat_store_dwordx2 v[12:13], v[10:11]
.LBB561_8:
	s_or_b64 exec, exec, s[4:5]
	v_add_u32_e32 v5, 16, v6
	v_mad_i64_i32 v[6:7], s[2:3], v5, s8, 0
	v_mov_b32_e32 v1, s11
	v_lshlrev_b64 v[6:7], 3, v[6:7]
	v_add_co_u32_e64 v6, s[2:3], s10, v6
	v_addc_co_u32_e64 v7, s[2:3], v1, v7, s[2:3]
	v_cmp_le_i32_e64 s[2:3], v5, v0
	s_and_b64 s[4:5], s[2:3], vcc
	s_and_saveexec_b64 s[2:3], s[4:5]
	s_cbranch_execz .LBB561_10
; %bb.9:
	v_ashrrev_i32_e32 v1, 31, v0
	v_lshlrev_b64 v[0:1], 3, v[0:1]
	v_xor_b32_e32 v9, 0x80000000, v9
	v_add_co_u32_e32 v0, vcc, v6, v0
	v_addc_co_u32_e32 v1, vcc, v7, v1, vcc
	flat_store_dwordx2 v[0:1], v[8:9]
.LBB561_10:
	s_or_b64 exec, exec, s[2:3]
	v_cmp_le_i32_e32 vcc, v5, v4
	s_and_b64 s[0:1], vcc, s[0:1]
	s_and_saveexec_b64 s[2:3], s[0:1]
	s_cbranch_execz .LBB561_12
; %bb.11:
	v_ashrrev_i32_e32 v5, 31, v4
	v_lshlrev_b64 v[0:1], 3, v[4:5]
	v_xor_b32_e32 v3, 0x80000000, v3
	v_add_co_u32_e32 v0, vcc, v6, v0
	v_addc_co_u32_e32 v1, vcc, v7, v1, vcc
	flat_store_dwordx2 v[0:1], v[2:3]
.LBB561_12:
	s_endpgm
	.section	.rodata,"a",@progbits
	.p2align	6, 0x0
	.amdhsa_kernel _ZL37rocblas_syrkx_herkx_restricted_kernelIidLi16ELi32ELi8ELin1ELi0ELb0ELc78ELc76EKPKdKPdEviT_PT9_S5_lS7_S5_lPT10_S5_li
		.amdhsa_group_segment_fixed_size 4096
		.amdhsa_private_segment_fixed_size 0
		.amdhsa_kernarg_size 84
		.amdhsa_user_sgpr_count 6
		.amdhsa_user_sgpr_private_segment_buffer 1
		.amdhsa_user_sgpr_dispatch_ptr 0
		.amdhsa_user_sgpr_queue_ptr 0
		.amdhsa_user_sgpr_kernarg_segment_ptr 1
		.amdhsa_user_sgpr_dispatch_id 0
		.amdhsa_user_sgpr_flat_scratch_init 0
		.amdhsa_user_sgpr_private_segment_size 0
		.amdhsa_uses_dynamic_stack 0
		.amdhsa_system_sgpr_private_segment_wavefront_offset 0
		.amdhsa_system_sgpr_workgroup_id_x 1
		.amdhsa_system_sgpr_workgroup_id_y 1
		.amdhsa_system_sgpr_workgroup_id_z 1
		.amdhsa_system_sgpr_workgroup_info 0
		.amdhsa_system_vgpr_workitem_id 1
		.amdhsa_next_free_vgpr 38
		.amdhsa_next_free_sgpr 20
		.amdhsa_reserve_vcc 1
		.amdhsa_reserve_flat_scratch 0
		.amdhsa_float_round_mode_32 0
		.amdhsa_float_round_mode_16_64 0
		.amdhsa_float_denorm_mode_32 3
		.amdhsa_float_denorm_mode_16_64 3
		.amdhsa_dx10_clamp 1
		.amdhsa_ieee_mode 1
		.amdhsa_fp16_overflow 0
		.amdhsa_exception_fp_ieee_invalid_op 0
		.amdhsa_exception_fp_denorm_src 0
		.amdhsa_exception_fp_ieee_div_zero 0
		.amdhsa_exception_fp_ieee_overflow 0
		.amdhsa_exception_fp_ieee_underflow 0
		.amdhsa_exception_fp_ieee_inexact 0
		.amdhsa_exception_int_div_zero 0
	.end_amdhsa_kernel
	.section	.text._ZL37rocblas_syrkx_herkx_restricted_kernelIidLi16ELi32ELi8ELin1ELi0ELb0ELc78ELc76EKPKdKPdEviT_PT9_S5_lS7_S5_lPT10_S5_li,"axG",@progbits,_ZL37rocblas_syrkx_herkx_restricted_kernelIidLi16ELi32ELi8ELin1ELi0ELb0ELc78ELc76EKPKdKPdEviT_PT9_S5_lS7_S5_lPT10_S5_li,comdat
.Lfunc_end561:
	.size	_ZL37rocblas_syrkx_herkx_restricted_kernelIidLi16ELi32ELi8ELin1ELi0ELb0ELc78ELc76EKPKdKPdEviT_PT9_S5_lS7_S5_lPT10_S5_li, .Lfunc_end561-_ZL37rocblas_syrkx_herkx_restricted_kernelIidLi16ELi32ELi8ELin1ELi0ELb0ELc78ELc76EKPKdKPdEviT_PT9_S5_lS7_S5_lPT10_S5_li
                                        ; -- End function
	.set _ZL37rocblas_syrkx_herkx_restricted_kernelIidLi16ELi32ELi8ELin1ELi0ELb0ELc78ELc76EKPKdKPdEviT_PT9_S5_lS7_S5_lPT10_S5_li.num_vgpr, 38
	.set _ZL37rocblas_syrkx_herkx_restricted_kernelIidLi16ELi32ELi8ELin1ELi0ELb0ELc78ELc76EKPKdKPdEviT_PT9_S5_lS7_S5_lPT10_S5_li.num_agpr, 0
	.set _ZL37rocblas_syrkx_herkx_restricted_kernelIidLi16ELi32ELi8ELin1ELi0ELb0ELc78ELc76EKPKdKPdEviT_PT9_S5_lS7_S5_lPT10_S5_li.numbered_sgpr, 20
	.set _ZL37rocblas_syrkx_herkx_restricted_kernelIidLi16ELi32ELi8ELin1ELi0ELb0ELc78ELc76EKPKdKPdEviT_PT9_S5_lS7_S5_lPT10_S5_li.num_named_barrier, 0
	.set _ZL37rocblas_syrkx_herkx_restricted_kernelIidLi16ELi32ELi8ELin1ELi0ELb0ELc78ELc76EKPKdKPdEviT_PT9_S5_lS7_S5_lPT10_S5_li.private_seg_size, 0
	.set _ZL37rocblas_syrkx_herkx_restricted_kernelIidLi16ELi32ELi8ELin1ELi0ELb0ELc78ELc76EKPKdKPdEviT_PT9_S5_lS7_S5_lPT10_S5_li.uses_vcc, 1
	.set _ZL37rocblas_syrkx_herkx_restricted_kernelIidLi16ELi32ELi8ELin1ELi0ELb0ELc78ELc76EKPKdKPdEviT_PT9_S5_lS7_S5_lPT10_S5_li.uses_flat_scratch, 0
	.set _ZL37rocblas_syrkx_herkx_restricted_kernelIidLi16ELi32ELi8ELin1ELi0ELb0ELc78ELc76EKPKdKPdEviT_PT9_S5_lS7_S5_lPT10_S5_li.has_dyn_sized_stack, 0
	.set _ZL37rocblas_syrkx_herkx_restricted_kernelIidLi16ELi32ELi8ELin1ELi0ELb0ELc78ELc76EKPKdKPdEviT_PT9_S5_lS7_S5_lPT10_S5_li.has_recursion, 0
	.set _ZL37rocblas_syrkx_herkx_restricted_kernelIidLi16ELi32ELi8ELin1ELi0ELb0ELc78ELc76EKPKdKPdEviT_PT9_S5_lS7_S5_lPT10_S5_li.has_indirect_call, 0
	.section	.AMDGPU.csdata,"",@progbits
; Kernel info:
; codeLenInByte = 1232
; TotalNumSgprs: 24
; NumVgprs: 38
; ScratchSize: 0
; MemoryBound: 0
; FloatMode: 240
; IeeeMode: 1
; LDSByteSize: 4096 bytes/workgroup (compile time only)
; SGPRBlocks: 2
; VGPRBlocks: 9
; NumSGPRsForWavesPerEU: 24
; NumVGPRsForWavesPerEU: 38
; Occupancy: 6
; WaveLimiterHint : 1
; COMPUTE_PGM_RSRC2:SCRATCH_EN: 0
; COMPUTE_PGM_RSRC2:USER_SGPR: 6
; COMPUTE_PGM_RSRC2:TRAP_HANDLER: 0
; COMPUTE_PGM_RSRC2:TGID_X_EN: 1
; COMPUTE_PGM_RSRC2:TGID_Y_EN: 1
; COMPUTE_PGM_RSRC2:TGID_Z_EN: 1
; COMPUTE_PGM_RSRC2:TIDIG_COMP_CNT: 1
	.section	.text._ZL37rocblas_syrkx_herkx_restricted_kernelIidLi16ELi32ELi8ELin1ELi0ELb0ELc84ELc85EKPKdKPdEviT_PT9_S5_lS7_S5_lPT10_S5_li,"axG",@progbits,_ZL37rocblas_syrkx_herkx_restricted_kernelIidLi16ELi32ELi8ELin1ELi0ELb0ELc84ELc85EKPKdKPdEviT_PT9_S5_lS7_S5_lPT10_S5_li,comdat
	.globl	_ZL37rocblas_syrkx_herkx_restricted_kernelIidLi16ELi32ELi8ELin1ELi0ELb0ELc84ELc85EKPKdKPdEviT_PT9_S5_lS7_S5_lPT10_S5_li ; -- Begin function _ZL37rocblas_syrkx_herkx_restricted_kernelIidLi16ELi32ELi8ELin1ELi0ELb0ELc84ELc85EKPKdKPdEviT_PT9_S5_lS7_S5_lPT10_S5_li
	.p2align	8
	.type	_ZL37rocblas_syrkx_herkx_restricted_kernelIidLi16ELi32ELi8ELin1ELi0ELb0ELc84ELc85EKPKdKPdEviT_PT9_S5_lS7_S5_lPT10_S5_li,@function
_ZL37rocblas_syrkx_herkx_restricted_kernelIidLi16ELi32ELi8ELin1ELi0ELb0ELc84ELc85EKPKdKPdEviT_PT9_S5_lS7_S5_lPT10_S5_li: ; @_ZL37rocblas_syrkx_herkx_restricted_kernelIidLi16ELi32ELi8ELin1ELi0ELb0ELc84ELc85EKPKdKPdEviT_PT9_S5_lS7_S5_lPT10_S5_li
; %bb.0:
	s_load_dwordx2 s[10:11], s[4:5], 0x38
	s_load_dwordx2 s[2:3], s[4:5], 0x0
	s_mov_b32 s9, 0
	s_lshl_b64 s[0:1], s[8:9], 3
	s_waitcnt lgkmcnt(0)
	s_add_u32 s10, s10, s0
	s_addc_u32 s11, s11, s1
	s_load_dwordx2 s[10:11], s[10:11], 0x0
	s_lshl_b32 s6, s6, 5
	s_lshl_b32 s7, s7, 5
	s_cmp_lt_i32 s3, 1
	s_cbranch_scc1 .LBB562_3
; %bb.1:
	s_load_dwordx2 s[12:13], s[4:5], 0x8
	s_load_dword s8, s[4:5], 0x10
	s_load_dwordx2 s[14:15], s[4:5], 0x20
	s_load_dword s16, s[4:5], 0x28
	v_lshl_add_u32 v4, v1, 4, v0
	s_waitcnt lgkmcnt(0)
	s_add_u32 s12, s12, s0
	s_addc_u32 s13, s13, s1
	v_lshrrev_b32_e32 v8, 3, v4
	s_add_u32 s0, s14, s0
	v_add_u32_e32 v5, s7, v8
	v_and_b32_e32 v2, 7, v0
	v_mov_b32_e32 v3, 0
	s_addc_u32 s1, s15, s1
	v_mad_i64_i32 v[6:7], s[14:15], s16, v5, v[2:3]
	v_and_b32_e32 v9, 31, v4
	v_lshlrev_b32_e32 v2, 3, v2
	v_lshrrev_b32_e32 v4, 5, v4
	v_mov_b32_e32 v5, v3
	v_lshlrev_b32_e32 v3, 3, v9
	v_lshl_or_b32 v8, v8, 6, v2
	v_add_u32_e32 v2, s6, v9
	v_lshl_or_b32 v14, v4, 8, v3
	v_mad_i64_i32 v[2:3], s[14:15], s8, v2, v[4:5]
	s_load_dwordx2 s[12:13], s[12:13], 0x0
	v_add_u32_e32 v15, 0x800, v8
	s_load_dwordx2 s[0:1], s[0:1], 0x0
	v_lshlrev_b64 v[2:3], 3, v[2:3]
	v_mov_b32_e32 v17, 0x800
	s_waitcnt lgkmcnt(0)
	v_mov_b32_e32 v5, s13
	v_add_co_u32_e32 v4, vcc, s12, v2
	v_addc_co_u32_e32 v5, vcc, v5, v3, vcc
	v_lshlrev_b64 v[2:3], 3, v[6:7]
	v_mov_b32_e32 v7, s1
	v_add_co_u32_e32 v6, vcc, s0, v2
	v_addc_co_u32_e32 v7, vcc, v7, v3, vcc
	v_mov_b32_e32 v2, 0
	v_mov_b32_e32 v8, 0
	;; [unrolled: 1-line block ×4, first 2 shown]
	v_lshlrev_b32_e32 v16, 3, v0
	v_mov_b32_e32 v3, 0
	v_mov_b32_e32 v9, 0
	;; [unrolled: 1-line block ×4, first 2 shown]
	v_lshl_add_u32 v17, v1, 6, v17
.LBB562_2:                              ; =>This Inner Loop Header: Depth=1
	flat_load_dwordx2 v[18:19], v[4:5]
	v_add_co_u32_e32 v4, vcc, 64, v4
	v_addc_co_u32_e32 v5, vcc, 0, v5, vcc
	s_add_i32 s9, s9, 8
	s_cmp_ge_i32 s9, s3
	s_waitcnt vmcnt(0) lgkmcnt(0)
	ds_write_b64 v14, v[18:19]
	flat_load_dwordx2 v[18:19], v[6:7]
	v_add_co_u32_e32 v6, vcc, 64, v6
	v_addc_co_u32_e32 v7, vcc, 0, v7, vcc
	s_waitcnt vmcnt(0) lgkmcnt(0)
	ds_write_b64 v15, v[18:19]
	s_waitcnt lgkmcnt(0)
	s_barrier
	ds_read2_b64 v[18:21], v16 offset1:16
	ds_read_b128 v[22:25], v17
	ds_read_b128 v[26:29], v17 offset:1024
	ds_read_b128 v[30:33], v17 offset:16
	s_waitcnt lgkmcnt(2)
	v_fma_f64 v[34:35], v[18:19], v[22:23], v[12:13]
	v_fma_f64 v[22:23], v[20:21], v[22:23], v[10:11]
	s_waitcnt lgkmcnt(1)
	v_fma_f64 v[8:9], v[18:19], v[26:27], v[8:9]
	v_fma_f64 v[2:3], v[20:21], v[26:27], v[2:3]
	ds_read2_b64 v[18:21], v16 offset0:32 offset1:48
	ds_read_b128 v[10:13], v17 offset:1040
	s_waitcnt lgkmcnt(1)
	v_fma_f64 v[26:27], v[18:19], v[24:25], v[34:35]
	v_fma_f64 v[34:35], v[20:21], v[24:25], v[22:23]
	;; [unrolled: 1-line block ×4, first 2 shown]
	ds_read2_b64 v[18:21], v16 offset0:64 offset1:80
	ds_read2_b64 v[22:25], v16 offset0:96 offset1:112
	s_waitcnt lgkmcnt(1)
	v_fma_f64 v[26:27], v[18:19], v[30:31], v[26:27]
	v_fma_f64 v[28:29], v[20:21], v[30:31], v[34:35]
	v_fma_f64 v[30:31], v[18:19], v[10:11], v[8:9]
	v_fma_f64 v[2:3], v[20:21], v[10:11], v[2:3]
	ds_read2_b64 v[8:11], v16 offset0:128 offset1:144
	ds_read_b128 v[18:21], v17 offset:32
	s_waitcnt lgkmcnt(2)
	v_fma_f64 v[34:35], v[22:23], v[32:33], v[26:27]
	v_fma_f64 v[32:33], v[24:25], v[32:33], v[28:29]
	;; [unrolled: 1-line block ×4, first 2 shown]
	ds_read_b128 v[22:25], v17 offset:1056
	ds_read_b128 v[26:29], v17 offset:48
	s_waitcnt lgkmcnt(2)
	v_fma_f64 v[12:13], v[8:9], v[18:19], v[34:35]
	v_fma_f64 v[18:19], v[10:11], v[18:19], v[32:33]
	s_waitcnt lgkmcnt(1)
	v_fma_f64 v[34:35], v[8:9], v[22:23], v[36:37]
	v_fma_f64 v[2:3], v[10:11], v[22:23], v[2:3]
	ds_read2_b64 v[8:11], v16 offset0:160 offset1:176
	ds_read_b128 v[30:33], v17 offset:1072
	s_waitcnt lgkmcnt(1)
	v_fma_f64 v[12:13], v[8:9], v[20:21], v[12:13]
	v_fma_f64 v[18:19], v[10:11], v[20:21], v[18:19]
	;; [unrolled: 1-line block ×4, first 2 shown]
	ds_read2_b64 v[8:11], v16 offset0:192 offset1:208
	s_waitcnt lgkmcnt(0)
	v_fma_f64 v[12:13], v[8:9], v[26:27], v[12:13]
	v_fma_f64 v[22:23], v[10:11], v[26:27], v[18:19]
	;; [unrolled: 1-line block ×4, first 2 shown]
	ds_read2_b64 v[18:21], v16 offset0:224 offset1:240
	s_waitcnt lgkmcnt(0)
	s_barrier
	v_fma_f64 v[12:13], v[18:19], v[28:29], v[12:13]
	v_fma_f64 v[10:11], v[20:21], v[28:29], v[22:23]
	v_fma_f64 v[8:9], v[18:19], v[32:33], v[8:9]
	v_fma_f64 v[2:3], v[20:21], v[32:33], v[2:3]
	s_cbranch_scc0 .LBB562_2
	s_branch .LBB562_4
.LBB562_3:
	v_mov_b32_e32 v12, 0
	v_mov_b32_e32 v10, 0
	;; [unrolled: 1-line block ×8, first 2 shown]
.LBB562_4:
	s_load_dword s3, s[4:5], 0x40
	v_add_u32_e32 v6, s7, v1
	s_waitcnt lgkmcnt(0)
	v_mov_b32_e32 v1, s11
	v_add_u32_e32 v0, s6, v0
	v_cmp_gt_i32_e32 vcc, s2, v6
	v_mad_i64_i32 v[4:5], s[0:1], v6, s3, 0
	v_lshlrev_b64 v[4:5], 3, v[4:5]
	v_add_co_u32_e64 v7, s[0:1], s10, v4
	v_addc_co_u32_e64 v14, s[0:1], v1, v5, s[0:1]
	v_cmp_le_i32_e64 s[0:1], v0, v6
	s_and_b64 s[0:1], vcc, s[0:1]
	s_and_saveexec_b64 s[4:5], s[0:1]
	s_cbranch_execz .LBB562_6
; %bb.5:
	v_ashrrev_i32_e32 v1, 31, v0
	v_lshlrev_b64 v[4:5], 3, v[0:1]
	v_xor_b32_e32 v13, 0x80000000, v13
	v_add_co_u32_e64 v4, s[0:1], v7, v4
	v_addc_co_u32_e64 v5, s[0:1], v14, v5, s[0:1]
	flat_store_dwordx2 v[4:5], v[12:13]
.LBB562_6:
	s_or_b64 exec, exec, s[4:5]
	v_add_u32_e32 v4, 16, v0
	v_cmp_le_i32_e64 s[0:1], v4, v6
	s_and_b64 s[4:5], vcc, s[0:1]
	s_and_saveexec_b64 s[0:1], s[4:5]
	s_cbranch_execz .LBB562_8
; %bb.7:
	v_ashrrev_i32_e32 v5, 31, v4
	v_lshlrev_b64 v[12:13], 3, v[4:5]
	v_xor_b32_e32 v11, 0x80000000, v11
	v_add_co_u32_e32 v12, vcc, v7, v12
	v_addc_co_u32_e32 v13, vcc, v14, v13, vcc
	flat_store_dwordx2 v[12:13], v[10:11]
.LBB562_8:
	s_or_b64 exec, exec, s[0:1]
	v_add_u32_e32 v5, 16, v6
	v_mad_i64_i32 v[6:7], s[0:1], v5, s3, 0
	v_mov_b32_e32 v1, s11
	v_cmp_gt_i32_e32 vcc, s2, v5
	v_lshlrev_b64 v[6:7], 3, v[6:7]
	v_add_co_u32_e64 v6, s[0:1], s10, v6
	v_addc_co_u32_e64 v7, s[0:1], v1, v7, s[0:1]
	v_cmp_le_i32_e64 s[0:1], v0, v5
	s_and_b64 s[0:1], vcc, s[0:1]
	s_and_saveexec_b64 s[2:3], s[0:1]
	s_cbranch_execz .LBB562_10
; %bb.9:
	v_ashrrev_i32_e32 v1, 31, v0
	v_lshlrev_b64 v[0:1], 3, v[0:1]
	v_xor_b32_e32 v9, 0x80000000, v9
	v_add_co_u32_e64 v0, s[0:1], v6, v0
	v_addc_co_u32_e64 v1, s[0:1], v7, v1, s[0:1]
	flat_store_dwordx2 v[0:1], v[8:9]
.LBB562_10:
	s_or_b64 exec, exec, s[2:3]
	v_cmp_le_i32_e64 s[0:1], v4, v5
	s_and_b64 s[0:1], vcc, s[0:1]
	s_and_saveexec_b64 s[2:3], s[0:1]
	s_cbranch_execz .LBB562_12
; %bb.11:
	v_ashrrev_i32_e32 v5, 31, v4
	v_lshlrev_b64 v[0:1], 3, v[4:5]
	v_xor_b32_e32 v3, 0x80000000, v3
	v_add_co_u32_e32 v0, vcc, v6, v0
	v_addc_co_u32_e32 v1, vcc, v7, v1, vcc
	flat_store_dwordx2 v[0:1], v[2:3]
.LBB562_12:
	s_endpgm
	.section	.rodata,"a",@progbits
	.p2align	6, 0x0
	.amdhsa_kernel _ZL37rocblas_syrkx_herkx_restricted_kernelIidLi16ELi32ELi8ELin1ELi0ELb0ELc84ELc85EKPKdKPdEviT_PT9_S5_lS7_S5_lPT10_S5_li
		.amdhsa_group_segment_fixed_size 4096
		.amdhsa_private_segment_fixed_size 0
		.amdhsa_kernarg_size 84
		.amdhsa_user_sgpr_count 6
		.amdhsa_user_sgpr_private_segment_buffer 1
		.amdhsa_user_sgpr_dispatch_ptr 0
		.amdhsa_user_sgpr_queue_ptr 0
		.amdhsa_user_sgpr_kernarg_segment_ptr 1
		.amdhsa_user_sgpr_dispatch_id 0
		.amdhsa_user_sgpr_flat_scratch_init 0
		.amdhsa_user_sgpr_private_segment_size 0
		.amdhsa_uses_dynamic_stack 0
		.amdhsa_system_sgpr_private_segment_wavefront_offset 0
		.amdhsa_system_sgpr_workgroup_id_x 1
		.amdhsa_system_sgpr_workgroup_id_y 1
		.amdhsa_system_sgpr_workgroup_id_z 1
		.amdhsa_system_sgpr_workgroup_info 0
		.amdhsa_system_vgpr_workitem_id 1
		.amdhsa_next_free_vgpr 38
		.amdhsa_next_free_sgpr 17
		.amdhsa_reserve_vcc 1
		.amdhsa_reserve_flat_scratch 0
		.amdhsa_float_round_mode_32 0
		.amdhsa_float_round_mode_16_64 0
		.amdhsa_float_denorm_mode_32 3
		.amdhsa_float_denorm_mode_16_64 3
		.amdhsa_dx10_clamp 1
		.amdhsa_ieee_mode 1
		.amdhsa_fp16_overflow 0
		.amdhsa_exception_fp_ieee_invalid_op 0
		.amdhsa_exception_fp_denorm_src 0
		.amdhsa_exception_fp_ieee_div_zero 0
		.amdhsa_exception_fp_ieee_overflow 0
		.amdhsa_exception_fp_ieee_underflow 0
		.amdhsa_exception_fp_ieee_inexact 0
		.amdhsa_exception_int_div_zero 0
	.end_amdhsa_kernel
	.section	.text._ZL37rocblas_syrkx_herkx_restricted_kernelIidLi16ELi32ELi8ELin1ELi0ELb0ELc84ELc85EKPKdKPdEviT_PT9_S5_lS7_S5_lPT10_S5_li,"axG",@progbits,_ZL37rocblas_syrkx_herkx_restricted_kernelIidLi16ELi32ELi8ELin1ELi0ELb0ELc84ELc85EKPKdKPdEviT_PT9_S5_lS7_S5_lPT10_S5_li,comdat
.Lfunc_end562:
	.size	_ZL37rocblas_syrkx_herkx_restricted_kernelIidLi16ELi32ELi8ELin1ELi0ELb0ELc84ELc85EKPKdKPdEviT_PT9_S5_lS7_S5_lPT10_S5_li, .Lfunc_end562-_ZL37rocblas_syrkx_herkx_restricted_kernelIidLi16ELi32ELi8ELin1ELi0ELb0ELc84ELc85EKPKdKPdEviT_PT9_S5_lS7_S5_lPT10_S5_li
                                        ; -- End function
	.set _ZL37rocblas_syrkx_herkx_restricted_kernelIidLi16ELi32ELi8ELin1ELi0ELb0ELc84ELc85EKPKdKPdEviT_PT9_S5_lS7_S5_lPT10_S5_li.num_vgpr, 38
	.set _ZL37rocblas_syrkx_herkx_restricted_kernelIidLi16ELi32ELi8ELin1ELi0ELb0ELc84ELc85EKPKdKPdEviT_PT9_S5_lS7_S5_lPT10_S5_li.num_agpr, 0
	.set _ZL37rocblas_syrkx_herkx_restricted_kernelIidLi16ELi32ELi8ELin1ELi0ELb0ELc84ELc85EKPKdKPdEviT_PT9_S5_lS7_S5_lPT10_S5_li.numbered_sgpr, 17
	.set _ZL37rocblas_syrkx_herkx_restricted_kernelIidLi16ELi32ELi8ELin1ELi0ELb0ELc84ELc85EKPKdKPdEviT_PT9_S5_lS7_S5_lPT10_S5_li.num_named_barrier, 0
	.set _ZL37rocblas_syrkx_herkx_restricted_kernelIidLi16ELi32ELi8ELin1ELi0ELb0ELc84ELc85EKPKdKPdEviT_PT9_S5_lS7_S5_lPT10_S5_li.private_seg_size, 0
	.set _ZL37rocblas_syrkx_herkx_restricted_kernelIidLi16ELi32ELi8ELin1ELi0ELb0ELc84ELc85EKPKdKPdEviT_PT9_S5_lS7_S5_lPT10_S5_li.uses_vcc, 1
	.set _ZL37rocblas_syrkx_herkx_restricted_kernelIidLi16ELi32ELi8ELin1ELi0ELb0ELc84ELc85EKPKdKPdEviT_PT9_S5_lS7_S5_lPT10_S5_li.uses_flat_scratch, 0
	.set _ZL37rocblas_syrkx_herkx_restricted_kernelIidLi16ELi32ELi8ELin1ELi0ELb0ELc84ELc85EKPKdKPdEviT_PT9_S5_lS7_S5_lPT10_S5_li.has_dyn_sized_stack, 0
	.set _ZL37rocblas_syrkx_herkx_restricted_kernelIidLi16ELi32ELi8ELin1ELi0ELb0ELc84ELc85EKPKdKPdEviT_PT9_S5_lS7_S5_lPT10_S5_li.has_recursion, 0
	.set _ZL37rocblas_syrkx_herkx_restricted_kernelIidLi16ELi32ELi8ELin1ELi0ELb0ELc84ELc85EKPKdKPdEviT_PT9_S5_lS7_S5_lPT10_S5_li.has_indirect_call, 0
	.section	.AMDGPU.csdata,"",@progbits
; Kernel info:
; codeLenInByte = 1216
; TotalNumSgprs: 21
; NumVgprs: 38
; ScratchSize: 0
; MemoryBound: 0
; FloatMode: 240
; IeeeMode: 1
; LDSByteSize: 4096 bytes/workgroup (compile time only)
; SGPRBlocks: 2
; VGPRBlocks: 9
; NumSGPRsForWavesPerEU: 21
; NumVGPRsForWavesPerEU: 38
; Occupancy: 6
; WaveLimiterHint : 1
; COMPUTE_PGM_RSRC2:SCRATCH_EN: 0
; COMPUTE_PGM_RSRC2:USER_SGPR: 6
; COMPUTE_PGM_RSRC2:TRAP_HANDLER: 0
; COMPUTE_PGM_RSRC2:TGID_X_EN: 1
; COMPUTE_PGM_RSRC2:TGID_Y_EN: 1
; COMPUTE_PGM_RSRC2:TGID_Z_EN: 1
; COMPUTE_PGM_RSRC2:TIDIG_COMP_CNT: 1
	.section	.text._ZL37rocblas_syrkx_herkx_restricted_kernelIidLi16ELi32ELi8ELin1ELi0ELb0ELc67ELc85EKPKdKPdEviT_PT9_S5_lS7_S5_lPT10_S5_li,"axG",@progbits,_ZL37rocblas_syrkx_herkx_restricted_kernelIidLi16ELi32ELi8ELin1ELi0ELb0ELc67ELc85EKPKdKPdEviT_PT9_S5_lS7_S5_lPT10_S5_li,comdat
	.globl	_ZL37rocblas_syrkx_herkx_restricted_kernelIidLi16ELi32ELi8ELin1ELi0ELb0ELc67ELc85EKPKdKPdEviT_PT9_S5_lS7_S5_lPT10_S5_li ; -- Begin function _ZL37rocblas_syrkx_herkx_restricted_kernelIidLi16ELi32ELi8ELin1ELi0ELb0ELc67ELc85EKPKdKPdEviT_PT9_S5_lS7_S5_lPT10_S5_li
	.p2align	8
	.type	_ZL37rocblas_syrkx_herkx_restricted_kernelIidLi16ELi32ELi8ELin1ELi0ELb0ELc67ELc85EKPKdKPdEviT_PT9_S5_lS7_S5_lPT10_S5_li,@function
_ZL37rocblas_syrkx_herkx_restricted_kernelIidLi16ELi32ELi8ELin1ELi0ELb0ELc67ELc85EKPKdKPdEviT_PT9_S5_lS7_S5_lPT10_S5_li: ; @_ZL37rocblas_syrkx_herkx_restricted_kernelIidLi16ELi32ELi8ELin1ELi0ELb0ELc67ELc85EKPKdKPdEviT_PT9_S5_lS7_S5_lPT10_S5_li
; %bb.0:
	s_load_dwordx2 s[10:11], s[4:5], 0x38
	s_load_dwordx2 s[2:3], s[4:5], 0x0
	s_mov_b32 s9, 0
	s_lshl_b64 s[0:1], s[8:9], 3
	s_waitcnt lgkmcnt(0)
	s_add_u32 s10, s10, s0
	s_addc_u32 s11, s11, s1
	s_load_dwordx2 s[10:11], s[10:11], 0x0
	s_lshl_b32 s6, s6, 5
	s_lshl_b32 s7, s7, 5
	s_cmp_lt_i32 s3, 1
	s_cbranch_scc1 .LBB563_3
; %bb.1:
	s_load_dwordx2 s[12:13], s[4:5], 0x8
	s_load_dword s8, s[4:5], 0x10
	s_load_dwordx2 s[14:15], s[4:5], 0x20
	s_load_dword s16, s[4:5], 0x28
	v_lshl_add_u32 v4, v1, 4, v0
	s_waitcnt lgkmcnt(0)
	s_add_u32 s12, s12, s0
	s_addc_u32 s13, s13, s1
	v_lshrrev_b32_e32 v8, 3, v4
	s_add_u32 s0, s14, s0
	v_add_u32_e32 v5, s7, v8
	v_and_b32_e32 v2, 7, v0
	v_mov_b32_e32 v3, 0
	s_addc_u32 s1, s15, s1
	v_mad_i64_i32 v[6:7], s[14:15], s16, v5, v[2:3]
	v_and_b32_e32 v9, 31, v4
	v_lshlrev_b32_e32 v2, 3, v2
	v_lshrrev_b32_e32 v4, 5, v4
	v_mov_b32_e32 v5, v3
	v_lshlrev_b32_e32 v3, 3, v9
	v_lshl_or_b32 v8, v8, 6, v2
	v_add_u32_e32 v2, s6, v9
	v_lshl_or_b32 v14, v4, 8, v3
	v_mad_i64_i32 v[2:3], s[14:15], s8, v2, v[4:5]
	s_load_dwordx2 s[12:13], s[12:13], 0x0
	v_add_u32_e32 v15, 0x800, v8
	s_load_dwordx2 s[0:1], s[0:1], 0x0
	v_lshlrev_b64 v[2:3], 3, v[2:3]
	v_mov_b32_e32 v17, 0x800
	s_waitcnt lgkmcnt(0)
	v_mov_b32_e32 v5, s13
	v_add_co_u32_e32 v4, vcc, s12, v2
	v_addc_co_u32_e32 v5, vcc, v5, v3, vcc
	v_lshlrev_b64 v[2:3], 3, v[6:7]
	v_mov_b32_e32 v7, s1
	v_add_co_u32_e32 v6, vcc, s0, v2
	v_addc_co_u32_e32 v7, vcc, v7, v3, vcc
	v_mov_b32_e32 v2, 0
	v_mov_b32_e32 v8, 0
	;; [unrolled: 1-line block ×4, first 2 shown]
	v_lshlrev_b32_e32 v16, 3, v0
	v_mov_b32_e32 v3, 0
	v_mov_b32_e32 v9, 0
	;; [unrolled: 1-line block ×4, first 2 shown]
	v_lshl_add_u32 v17, v1, 6, v17
.LBB563_2:                              ; =>This Inner Loop Header: Depth=1
	flat_load_dwordx2 v[18:19], v[4:5]
	v_add_co_u32_e32 v4, vcc, 64, v4
	v_addc_co_u32_e32 v5, vcc, 0, v5, vcc
	s_add_i32 s9, s9, 8
	s_cmp_ge_i32 s9, s3
	s_waitcnt vmcnt(0) lgkmcnt(0)
	ds_write_b64 v14, v[18:19]
	flat_load_dwordx2 v[18:19], v[6:7]
	v_add_co_u32_e32 v6, vcc, 64, v6
	v_addc_co_u32_e32 v7, vcc, 0, v7, vcc
	s_waitcnt vmcnt(0) lgkmcnt(0)
	ds_write_b64 v15, v[18:19]
	s_waitcnt lgkmcnt(0)
	s_barrier
	ds_read2_b64 v[18:21], v16 offset1:16
	ds_read_b128 v[22:25], v17
	ds_read_b128 v[26:29], v17 offset:1024
	ds_read_b128 v[30:33], v17 offset:16
	s_waitcnt lgkmcnt(2)
	v_fma_f64 v[34:35], v[18:19], v[22:23], v[12:13]
	v_fma_f64 v[22:23], v[20:21], v[22:23], v[10:11]
	s_waitcnt lgkmcnt(1)
	v_fma_f64 v[8:9], v[18:19], v[26:27], v[8:9]
	v_fma_f64 v[2:3], v[20:21], v[26:27], v[2:3]
	ds_read2_b64 v[18:21], v16 offset0:32 offset1:48
	ds_read_b128 v[10:13], v17 offset:1040
	s_waitcnt lgkmcnt(1)
	v_fma_f64 v[26:27], v[18:19], v[24:25], v[34:35]
	v_fma_f64 v[34:35], v[20:21], v[24:25], v[22:23]
	;; [unrolled: 1-line block ×4, first 2 shown]
	ds_read2_b64 v[18:21], v16 offset0:64 offset1:80
	ds_read2_b64 v[22:25], v16 offset0:96 offset1:112
	s_waitcnt lgkmcnt(1)
	v_fma_f64 v[26:27], v[18:19], v[30:31], v[26:27]
	v_fma_f64 v[28:29], v[20:21], v[30:31], v[34:35]
	;; [unrolled: 1-line block ×4, first 2 shown]
	ds_read2_b64 v[8:11], v16 offset0:128 offset1:144
	ds_read_b128 v[18:21], v17 offset:32
	s_waitcnt lgkmcnt(2)
	v_fma_f64 v[34:35], v[22:23], v[32:33], v[26:27]
	v_fma_f64 v[32:33], v[24:25], v[32:33], v[28:29]
	;; [unrolled: 1-line block ×4, first 2 shown]
	ds_read_b128 v[22:25], v17 offset:1056
	ds_read_b128 v[26:29], v17 offset:48
	s_waitcnt lgkmcnt(2)
	v_fma_f64 v[12:13], v[8:9], v[18:19], v[34:35]
	v_fma_f64 v[18:19], v[10:11], v[18:19], v[32:33]
	s_waitcnt lgkmcnt(1)
	v_fma_f64 v[34:35], v[8:9], v[22:23], v[36:37]
	v_fma_f64 v[2:3], v[10:11], v[22:23], v[2:3]
	ds_read2_b64 v[8:11], v16 offset0:160 offset1:176
	ds_read_b128 v[30:33], v17 offset:1072
	s_waitcnt lgkmcnt(1)
	v_fma_f64 v[12:13], v[8:9], v[20:21], v[12:13]
	v_fma_f64 v[18:19], v[10:11], v[20:21], v[18:19]
	;; [unrolled: 1-line block ×4, first 2 shown]
	ds_read2_b64 v[8:11], v16 offset0:192 offset1:208
	s_waitcnt lgkmcnt(0)
	v_fma_f64 v[12:13], v[8:9], v[26:27], v[12:13]
	v_fma_f64 v[22:23], v[10:11], v[26:27], v[18:19]
	;; [unrolled: 1-line block ×4, first 2 shown]
	ds_read2_b64 v[18:21], v16 offset0:224 offset1:240
	s_waitcnt lgkmcnt(0)
	s_barrier
	v_fma_f64 v[12:13], v[18:19], v[28:29], v[12:13]
	v_fma_f64 v[10:11], v[20:21], v[28:29], v[22:23]
	;; [unrolled: 1-line block ×4, first 2 shown]
	s_cbranch_scc0 .LBB563_2
	s_branch .LBB563_4
.LBB563_3:
	v_mov_b32_e32 v12, 0
	v_mov_b32_e32 v10, 0
	;; [unrolled: 1-line block ×8, first 2 shown]
.LBB563_4:
	s_load_dword s3, s[4:5], 0x40
	v_add_u32_e32 v6, s7, v1
	s_waitcnt lgkmcnt(0)
	v_mov_b32_e32 v1, s11
	v_add_u32_e32 v0, s6, v0
	v_cmp_gt_i32_e32 vcc, s2, v6
	v_mad_i64_i32 v[4:5], s[0:1], v6, s3, 0
	v_lshlrev_b64 v[4:5], 3, v[4:5]
	v_add_co_u32_e64 v7, s[0:1], s10, v4
	v_addc_co_u32_e64 v14, s[0:1], v1, v5, s[0:1]
	v_cmp_le_i32_e64 s[0:1], v0, v6
	s_and_b64 s[0:1], vcc, s[0:1]
	s_and_saveexec_b64 s[4:5], s[0:1]
	s_cbranch_execz .LBB563_6
; %bb.5:
	v_ashrrev_i32_e32 v1, 31, v0
	v_lshlrev_b64 v[4:5], 3, v[0:1]
	v_xor_b32_e32 v13, 0x80000000, v13
	v_add_co_u32_e64 v4, s[0:1], v7, v4
	v_addc_co_u32_e64 v5, s[0:1], v14, v5, s[0:1]
	flat_store_dwordx2 v[4:5], v[12:13]
.LBB563_6:
	s_or_b64 exec, exec, s[4:5]
	v_add_u32_e32 v4, 16, v0
	v_cmp_le_i32_e64 s[0:1], v4, v6
	s_and_b64 s[4:5], vcc, s[0:1]
	s_and_saveexec_b64 s[0:1], s[4:5]
	s_cbranch_execz .LBB563_8
; %bb.7:
	v_ashrrev_i32_e32 v5, 31, v4
	v_lshlrev_b64 v[12:13], 3, v[4:5]
	v_xor_b32_e32 v11, 0x80000000, v11
	v_add_co_u32_e32 v12, vcc, v7, v12
	v_addc_co_u32_e32 v13, vcc, v14, v13, vcc
	flat_store_dwordx2 v[12:13], v[10:11]
.LBB563_8:
	s_or_b64 exec, exec, s[0:1]
	v_add_u32_e32 v5, 16, v6
	v_mad_i64_i32 v[6:7], s[0:1], v5, s3, 0
	v_mov_b32_e32 v1, s11
	v_cmp_gt_i32_e32 vcc, s2, v5
	v_lshlrev_b64 v[6:7], 3, v[6:7]
	v_add_co_u32_e64 v6, s[0:1], s10, v6
	v_addc_co_u32_e64 v7, s[0:1], v1, v7, s[0:1]
	v_cmp_le_i32_e64 s[0:1], v0, v5
	s_and_b64 s[0:1], vcc, s[0:1]
	s_and_saveexec_b64 s[2:3], s[0:1]
	s_cbranch_execz .LBB563_10
; %bb.9:
	v_ashrrev_i32_e32 v1, 31, v0
	v_lshlrev_b64 v[0:1], 3, v[0:1]
	v_xor_b32_e32 v9, 0x80000000, v9
	v_add_co_u32_e64 v0, s[0:1], v6, v0
	v_addc_co_u32_e64 v1, s[0:1], v7, v1, s[0:1]
	flat_store_dwordx2 v[0:1], v[8:9]
.LBB563_10:
	s_or_b64 exec, exec, s[2:3]
	v_cmp_le_i32_e64 s[0:1], v4, v5
	s_and_b64 s[0:1], vcc, s[0:1]
	s_and_saveexec_b64 s[2:3], s[0:1]
	s_cbranch_execz .LBB563_12
; %bb.11:
	v_ashrrev_i32_e32 v5, 31, v4
	v_lshlrev_b64 v[0:1], 3, v[4:5]
	v_xor_b32_e32 v3, 0x80000000, v3
	v_add_co_u32_e32 v0, vcc, v6, v0
	v_addc_co_u32_e32 v1, vcc, v7, v1, vcc
	flat_store_dwordx2 v[0:1], v[2:3]
.LBB563_12:
	s_endpgm
	.section	.rodata,"a",@progbits
	.p2align	6, 0x0
	.amdhsa_kernel _ZL37rocblas_syrkx_herkx_restricted_kernelIidLi16ELi32ELi8ELin1ELi0ELb0ELc67ELc85EKPKdKPdEviT_PT9_S5_lS7_S5_lPT10_S5_li
		.amdhsa_group_segment_fixed_size 4096
		.amdhsa_private_segment_fixed_size 0
		.amdhsa_kernarg_size 84
		.amdhsa_user_sgpr_count 6
		.amdhsa_user_sgpr_private_segment_buffer 1
		.amdhsa_user_sgpr_dispatch_ptr 0
		.amdhsa_user_sgpr_queue_ptr 0
		.amdhsa_user_sgpr_kernarg_segment_ptr 1
		.amdhsa_user_sgpr_dispatch_id 0
		.amdhsa_user_sgpr_flat_scratch_init 0
		.amdhsa_user_sgpr_private_segment_size 0
		.amdhsa_uses_dynamic_stack 0
		.amdhsa_system_sgpr_private_segment_wavefront_offset 0
		.amdhsa_system_sgpr_workgroup_id_x 1
		.amdhsa_system_sgpr_workgroup_id_y 1
		.amdhsa_system_sgpr_workgroup_id_z 1
		.amdhsa_system_sgpr_workgroup_info 0
		.amdhsa_system_vgpr_workitem_id 1
		.amdhsa_next_free_vgpr 38
		.amdhsa_next_free_sgpr 17
		.amdhsa_reserve_vcc 1
		.amdhsa_reserve_flat_scratch 0
		.amdhsa_float_round_mode_32 0
		.amdhsa_float_round_mode_16_64 0
		.amdhsa_float_denorm_mode_32 3
		.amdhsa_float_denorm_mode_16_64 3
		.amdhsa_dx10_clamp 1
		.amdhsa_ieee_mode 1
		.amdhsa_fp16_overflow 0
		.amdhsa_exception_fp_ieee_invalid_op 0
		.amdhsa_exception_fp_denorm_src 0
		.amdhsa_exception_fp_ieee_div_zero 0
		.amdhsa_exception_fp_ieee_overflow 0
		.amdhsa_exception_fp_ieee_underflow 0
		.amdhsa_exception_fp_ieee_inexact 0
		.amdhsa_exception_int_div_zero 0
	.end_amdhsa_kernel
	.section	.text._ZL37rocblas_syrkx_herkx_restricted_kernelIidLi16ELi32ELi8ELin1ELi0ELb0ELc67ELc85EKPKdKPdEviT_PT9_S5_lS7_S5_lPT10_S5_li,"axG",@progbits,_ZL37rocblas_syrkx_herkx_restricted_kernelIidLi16ELi32ELi8ELin1ELi0ELb0ELc67ELc85EKPKdKPdEviT_PT9_S5_lS7_S5_lPT10_S5_li,comdat
.Lfunc_end563:
	.size	_ZL37rocblas_syrkx_herkx_restricted_kernelIidLi16ELi32ELi8ELin1ELi0ELb0ELc67ELc85EKPKdKPdEviT_PT9_S5_lS7_S5_lPT10_S5_li, .Lfunc_end563-_ZL37rocblas_syrkx_herkx_restricted_kernelIidLi16ELi32ELi8ELin1ELi0ELb0ELc67ELc85EKPKdKPdEviT_PT9_S5_lS7_S5_lPT10_S5_li
                                        ; -- End function
	.set _ZL37rocblas_syrkx_herkx_restricted_kernelIidLi16ELi32ELi8ELin1ELi0ELb0ELc67ELc85EKPKdKPdEviT_PT9_S5_lS7_S5_lPT10_S5_li.num_vgpr, 38
	.set _ZL37rocblas_syrkx_herkx_restricted_kernelIidLi16ELi32ELi8ELin1ELi0ELb0ELc67ELc85EKPKdKPdEviT_PT9_S5_lS7_S5_lPT10_S5_li.num_agpr, 0
	.set _ZL37rocblas_syrkx_herkx_restricted_kernelIidLi16ELi32ELi8ELin1ELi0ELb0ELc67ELc85EKPKdKPdEviT_PT9_S5_lS7_S5_lPT10_S5_li.numbered_sgpr, 17
	.set _ZL37rocblas_syrkx_herkx_restricted_kernelIidLi16ELi32ELi8ELin1ELi0ELb0ELc67ELc85EKPKdKPdEviT_PT9_S5_lS7_S5_lPT10_S5_li.num_named_barrier, 0
	.set _ZL37rocblas_syrkx_herkx_restricted_kernelIidLi16ELi32ELi8ELin1ELi0ELb0ELc67ELc85EKPKdKPdEviT_PT9_S5_lS7_S5_lPT10_S5_li.private_seg_size, 0
	.set _ZL37rocblas_syrkx_herkx_restricted_kernelIidLi16ELi32ELi8ELin1ELi0ELb0ELc67ELc85EKPKdKPdEviT_PT9_S5_lS7_S5_lPT10_S5_li.uses_vcc, 1
	.set _ZL37rocblas_syrkx_herkx_restricted_kernelIidLi16ELi32ELi8ELin1ELi0ELb0ELc67ELc85EKPKdKPdEviT_PT9_S5_lS7_S5_lPT10_S5_li.uses_flat_scratch, 0
	.set _ZL37rocblas_syrkx_herkx_restricted_kernelIidLi16ELi32ELi8ELin1ELi0ELb0ELc67ELc85EKPKdKPdEviT_PT9_S5_lS7_S5_lPT10_S5_li.has_dyn_sized_stack, 0
	.set _ZL37rocblas_syrkx_herkx_restricted_kernelIidLi16ELi32ELi8ELin1ELi0ELb0ELc67ELc85EKPKdKPdEviT_PT9_S5_lS7_S5_lPT10_S5_li.has_recursion, 0
	.set _ZL37rocblas_syrkx_herkx_restricted_kernelIidLi16ELi32ELi8ELin1ELi0ELb0ELc67ELc85EKPKdKPdEviT_PT9_S5_lS7_S5_lPT10_S5_li.has_indirect_call, 0
	.section	.AMDGPU.csdata,"",@progbits
; Kernel info:
; codeLenInByte = 1216
; TotalNumSgprs: 21
; NumVgprs: 38
; ScratchSize: 0
; MemoryBound: 0
; FloatMode: 240
; IeeeMode: 1
; LDSByteSize: 4096 bytes/workgroup (compile time only)
; SGPRBlocks: 2
; VGPRBlocks: 9
; NumSGPRsForWavesPerEU: 21
; NumVGPRsForWavesPerEU: 38
; Occupancy: 6
; WaveLimiterHint : 1
; COMPUTE_PGM_RSRC2:SCRATCH_EN: 0
; COMPUTE_PGM_RSRC2:USER_SGPR: 6
; COMPUTE_PGM_RSRC2:TRAP_HANDLER: 0
; COMPUTE_PGM_RSRC2:TGID_X_EN: 1
; COMPUTE_PGM_RSRC2:TGID_Y_EN: 1
; COMPUTE_PGM_RSRC2:TGID_Z_EN: 1
; COMPUTE_PGM_RSRC2:TIDIG_COMP_CNT: 1
	.section	.text._ZL37rocblas_syrkx_herkx_restricted_kernelIidLi16ELi32ELi8ELin1ELi0ELb0ELc78ELc85EKPKdKPdEviT_PT9_S5_lS7_S5_lPT10_S5_li,"axG",@progbits,_ZL37rocblas_syrkx_herkx_restricted_kernelIidLi16ELi32ELi8ELin1ELi0ELb0ELc78ELc85EKPKdKPdEviT_PT9_S5_lS7_S5_lPT10_S5_li,comdat
	.globl	_ZL37rocblas_syrkx_herkx_restricted_kernelIidLi16ELi32ELi8ELin1ELi0ELb0ELc78ELc85EKPKdKPdEviT_PT9_S5_lS7_S5_lPT10_S5_li ; -- Begin function _ZL37rocblas_syrkx_herkx_restricted_kernelIidLi16ELi32ELi8ELin1ELi0ELb0ELc78ELc85EKPKdKPdEviT_PT9_S5_lS7_S5_lPT10_S5_li
	.p2align	8
	.type	_ZL37rocblas_syrkx_herkx_restricted_kernelIidLi16ELi32ELi8ELin1ELi0ELb0ELc78ELc85EKPKdKPdEviT_PT9_S5_lS7_S5_lPT10_S5_li,@function
_ZL37rocblas_syrkx_herkx_restricted_kernelIidLi16ELi32ELi8ELin1ELi0ELb0ELc78ELc85EKPKdKPdEviT_PT9_S5_lS7_S5_lPT10_S5_li: ; @_ZL37rocblas_syrkx_herkx_restricted_kernelIidLi16ELi32ELi8ELin1ELi0ELb0ELc78ELc85EKPKdKPdEviT_PT9_S5_lS7_S5_lPT10_S5_li
; %bb.0:
	s_load_dwordx2 s[10:11], s[4:5], 0x38
	s_load_dwordx2 s[2:3], s[4:5], 0x0
	s_mov_b32 s9, 0
	s_lshl_b64 s[0:1], s[8:9], 3
	s_waitcnt lgkmcnt(0)
	s_add_u32 s10, s10, s0
	s_addc_u32 s11, s11, s1
	s_load_dwordx2 s[10:11], s[10:11], 0x0
	s_lshl_b32 s8, s6, 5
	s_lshl_b32 s12, s7, 5
	s_cmp_lt_i32 s3, 1
	s_cbranch_scc1 .LBB564_3
; %bb.1:
	s_load_dword s6, s[4:5], 0x10
	s_load_dword s14, s[4:5], 0x28
	s_load_dwordx2 s[16:17], s[4:5], 0x20
	s_load_dwordx2 s[18:19], s[4:5], 0x8
	v_lshl_add_u32 v5, v1, 4, v0
	s_waitcnt lgkmcnt(0)
	s_ashr_i32 s7, s6, 31
	s_ashr_i32 s15, s14, 31
	v_lshrrev_b32_e32 v6, 3, v5
	s_add_u32 s18, s18, s0
	s_addc_u32 s19, s19, s1
	s_add_u32 s0, s16, s0
	v_add_u32_e32 v2, s12, v6
	s_addc_u32 s1, s17, s1
	v_and_b32_e32 v4, 7, v0
	v_ashrrev_i32_e32 v3, 31, v2
	s_load_dwordx2 s[16:17], s[0:1], 0x0
	v_mad_i64_i32 v[2:3], s[0:1], s14, v4, v[2:3]
	v_lshlrev_b32_e32 v4, 3, v4
	v_lshrrev_b32_e32 v7, 5, v5
	v_and_b32_e32 v5, 31, v5
	v_lshl_or_b32 v4, v6, 6, v4
	v_add_u32_e32 v15, 0x800, v4
	v_add_u32_e32 v4, s8, v5
	v_lshlrev_b32_e32 v8, 3, v5
	v_ashrrev_i32_e32 v5, 31, v4
	v_mad_i64_i32 v[4:5], s[0:1], s6, v7, v[4:5]
	s_load_dwordx2 s[18:19], s[18:19], 0x0
	v_mov_b32_e32 v6, 0x800
	v_lshlrev_b64 v[4:5], 3, v[4:5]
	v_lshl_add_u32 v17, v1, 6, v6
	v_lshlrev_b64 v[2:3], 3, v[2:3]
	s_waitcnt lgkmcnt(0)
	v_mov_b32_e32 v6, s19
	v_add_co_u32_e32 v4, vcc, s18, v4
	v_addc_co_u32_e32 v5, vcc, v6, v5, vcc
	v_lshl_or_b32 v14, v7, 8, v8
	v_mov_b32_e32 v7, s17
	v_add_co_u32_e32 v6, vcc, s16, v2
	s_lshl_b64 s[0:1], s[6:7], 6
	v_addc_co_u32_e32 v7, vcc, v7, v3, vcc
	s_lshl_b64 s[6:7], s[14:15], 6
	v_mov_b32_e32 v2, 0
	v_mov_b32_e32 v8, 0
	;; [unrolled: 1-line block ×4, first 2 shown]
	v_lshlrev_b32_e32 v16, 3, v0
	v_mov_b32_e32 v3, 0
	v_mov_b32_e32 v18, s1
	v_mov_b32_e32 v9, 0
	v_mov_b32_e32 v11, 0
	v_mov_b32_e32 v13, 0
	v_mov_b32_e32 v19, s7
.LBB564_2:                              ; =>This Inner Loop Header: Depth=1
	flat_load_dwordx2 v[20:21], v[4:5]
	v_add_co_u32_e32 v4, vcc, s0, v4
	v_addc_co_u32_e32 v5, vcc, v5, v18, vcc
	s_add_i32 s9, s9, 8
	s_cmp_ge_i32 s9, s3
	s_waitcnt vmcnt(0) lgkmcnt(0)
	ds_write_b64 v14, v[20:21]
	flat_load_dwordx2 v[20:21], v[6:7]
	v_add_co_u32_e32 v6, vcc, s6, v6
	v_addc_co_u32_e32 v7, vcc, v7, v19, vcc
	s_waitcnt vmcnt(0) lgkmcnt(0)
	ds_write_b64 v15, v[20:21]
	s_waitcnt lgkmcnt(0)
	s_barrier
	ds_read2_b64 v[20:23], v16 offset1:16
	ds_read_b128 v[24:27], v17
	ds_read_b128 v[28:31], v17 offset:16
	s_waitcnt lgkmcnt(1)
	v_fma_f64 v[36:37], v[20:21], v[24:25], v[12:13]
	v_fma_f64 v[24:25], v[22:23], v[24:25], v[10:11]
	ds_read_b128 v[10:13], v17 offset:1024
	ds_read_b128 v[32:35], v17 offset:1040
	s_waitcnt lgkmcnt(1)
	v_fma_f64 v[20:21], v[20:21], v[10:11], v[8:9]
	v_fma_f64 v[2:3], v[22:23], v[10:11], v[2:3]
	ds_read2_b64 v[8:11], v16 offset0:32 offset1:48
	s_waitcnt lgkmcnt(0)
	v_fma_f64 v[22:23], v[8:9], v[26:27], v[36:37]
	v_fma_f64 v[24:25], v[10:11], v[26:27], v[24:25]
	v_fma_f64 v[20:21], v[8:9], v[12:13], v[20:21]
	v_fma_f64 v[2:3], v[10:11], v[12:13], v[2:3]
	ds_read2_b64 v[8:11], v16 offset0:64 offset1:80
	s_waitcnt lgkmcnt(0)
	v_fma_f64 v[12:13], v[8:9], v[28:29], v[22:23]
	v_fma_f64 v[22:23], v[10:11], v[28:29], v[24:25]
	;; [unrolled: 6-line block ×3, first 2 shown]
	ds_read2_b64 v[20:23], v16 offset0:128 offset1:144
	v_fma_f64 v[36:37], v[8:9], v[34:35], v[24:25]
	v_fma_f64 v[2:3], v[10:11], v[34:35], v[2:3]
	ds_read_b128 v[8:11], v17 offset:32
	ds_read_b128 v[24:27], v17 offset:48
	s_waitcnt lgkmcnt(1)
	v_fma_f64 v[12:13], v[20:21], v[8:9], v[12:13]
	v_fma_f64 v[8:9], v[22:23], v[8:9], v[28:29]
	ds_read_b128 v[28:31], v17 offset:1056
	ds_read_b128 v[32:35], v17 offset:1072
	s_waitcnt lgkmcnt(1)
	v_fma_f64 v[36:37], v[20:21], v[28:29], v[36:37]
	v_fma_f64 v[2:3], v[22:23], v[28:29], v[2:3]
	ds_read2_b64 v[20:23], v16 offset0:160 offset1:176
	s_waitcnt lgkmcnt(0)
	v_fma_f64 v[12:13], v[20:21], v[10:11], v[12:13]
	v_fma_f64 v[28:29], v[22:23], v[10:11], v[8:9]
	;; [unrolled: 1-line block ×4, first 2 shown]
	ds_read2_b64 v[8:11], v16 offset0:192 offset1:208
	s_waitcnt lgkmcnt(0)
	v_fma_f64 v[12:13], v[8:9], v[24:25], v[12:13]
	v_fma_f64 v[24:25], v[10:11], v[24:25], v[28:29]
	;; [unrolled: 1-line block ×4, first 2 shown]
	ds_read2_b64 v[20:23], v16 offset0:224 offset1:240
	s_waitcnt lgkmcnt(0)
	s_barrier
	v_fma_f64 v[12:13], v[20:21], v[26:27], v[12:13]
	v_fma_f64 v[10:11], v[22:23], v[26:27], v[24:25]
	;; [unrolled: 1-line block ×4, first 2 shown]
	s_cbranch_scc0 .LBB564_2
	s_branch .LBB564_4
.LBB564_3:
	v_mov_b32_e32 v12, 0
	v_mov_b32_e32 v10, 0
	;; [unrolled: 1-line block ×8, first 2 shown]
.LBB564_4:
	s_load_dword s3, s[4:5], 0x40
	v_add_u32_e32 v6, s12, v1
	s_waitcnt lgkmcnt(0)
	v_mov_b32_e32 v1, s11
	v_add_u32_e32 v0, s8, v0
	v_cmp_gt_i32_e32 vcc, s2, v6
	v_mad_i64_i32 v[4:5], s[0:1], v6, s3, 0
	v_lshlrev_b64 v[4:5], 3, v[4:5]
	v_add_co_u32_e64 v7, s[0:1], s10, v4
	v_addc_co_u32_e64 v14, s[0:1], v1, v5, s[0:1]
	v_cmp_le_i32_e64 s[0:1], v0, v6
	s_and_b64 s[0:1], vcc, s[0:1]
	s_and_saveexec_b64 s[4:5], s[0:1]
	s_cbranch_execz .LBB564_6
; %bb.5:
	v_ashrrev_i32_e32 v1, 31, v0
	v_lshlrev_b64 v[4:5], 3, v[0:1]
	v_xor_b32_e32 v13, 0x80000000, v13
	v_add_co_u32_e64 v4, s[0:1], v7, v4
	v_addc_co_u32_e64 v5, s[0:1], v14, v5, s[0:1]
	flat_store_dwordx2 v[4:5], v[12:13]
.LBB564_6:
	s_or_b64 exec, exec, s[4:5]
	v_add_u32_e32 v4, 16, v0
	v_cmp_le_i32_e64 s[0:1], v4, v6
	s_and_b64 s[4:5], vcc, s[0:1]
	s_and_saveexec_b64 s[0:1], s[4:5]
	s_cbranch_execz .LBB564_8
; %bb.7:
	v_ashrrev_i32_e32 v5, 31, v4
	v_lshlrev_b64 v[12:13], 3, v[4:5]
	v_xor_b32_e32 v11, 0x80000000, v11
	v_add_co_u32_e32 v12, vcc, v7, v12
	v_addc_co_u32_e32 v13, vcc, v14, v13, vcc
	flat_store_dwordx2 v[12:13], v[10:11]
.LBB564_8:
	s_or_b64 exec, exec, s[0:1]
	v_add_u32_e32 v5, 16, v6
	v_mad_i64_i32 v[6:7], s[0:1], v5, s3, 0
	v_mov_b32_e32 v1, s11
	v_cmp_gt_i32_e32 vcc, s2, v5
	v_lshlrev_b64 v[6:7], 3, v[6:7]
	v_add_co_u32_e64 v6, s[0:1], s10, v6
	v_addc_co_u32_e64 v7, s[0:1], v1, v7, s[0:1]
	v_cmp_le_i32_e64 s[0:1], v0, v5
	s_and_b64 s[0:1], vcc, s[0:1]
	s_and_saveexec_b64 s[2:3], s[0:1]
	s_cbranch_execz .LBB564_10
; %bb.9:
	v_ashrrev_i32_e32 v1, 31, v0
	v_lshlrev_b64 v[0:1], 3, v[0:1]
	v_xor_b32_e32 v9, 0x80000000, v9
	v_add_co_u32_e64 v0, s[0:1], v6, v0
	v_addc_co_u32_e64 v1, s[0:1], v7, v1, s[0:1]
	flat_store_dwordx2 v[0:1], v[8:9]
.LBB564_10:
	s_or_b64 exec, exec, s[2:3]
	v_cmp_le_i32_e64 s[0:1], v4, v5
	s_and_b64 s[0:1], vcc, s[0:1]
	s_and_saveexec_b64 s[2:3], s[0:1]
	s_cbranch_execz .LBB564_12
; %bb.11:
	v_ashrrev_i32_e32 v5, 31, v4
	v_lshlrev_b64 v[0:1], 3, v[4:5]
	v_xor_b32_e32 v3, 0x80000000, v3
	v_add_co_u32_e32 v0, vcc, v6, v0
	v_addc_co_u32_e32 v1, vcc, v7, v1, vcc
	flat_store_dwordx2 v[0:1], v[2:3]
.LBB564_12:
	s_endpgm
	.section	.rodata,"a",@progbits
	.p2align	6, 0x0
	.amdhsa_kernel _ZL37rocblas_syrkx_herkx_restricted_kernelIidLi16ELi32ELi8ELin1ELi0ELb0ELc78ELc85EKPKdKPdEviT_PT9_S5_lS7_S5_lPT10_S5_li
		.amdhsa_group_segment_fixed_size 4096
		.amdhsa_private_segment_fixed_size 0
		.amdhsa_kernarg_size 84
		.amdhsa_user_sgpr_count 6
		.amdhsa_user_sgpr_private_segment_buffer 1
		.amdhsa_user_sgpr_dispatch_ptr 0
		.amdhsa_user_sgpr_queue_ptr 0
		.amdhsa_user_sgpr_kernarg_segment_ptr 1
		.amdhsa_user_sgpr_dispatch_id 0
		.amdhsa_user_sgpr_flat_scratch_init 0
		.amdhsa_user_sgpr_private_segment_size 0
		.amdhsa_uses_dynamic_stack 0
		.amdhsa_system_sgpr_private_segment_wavefront_offset 0
		.amdhsa_system_sgpr_workgroup_id_x 1
		.amdhsa_system_sgpr_workgroup_id_y 1
		.amdhsa_system_sgpr_workgroup_id_z 1
		.amdhsa_system_sgpr_workgroup_info 0
		.amdhsa_system_vgpr_workitem_id 1
		.amdhsa_next_free_vgpr 38
		.amdhsa_next_free_sgpr 20
		.amdhsa_reserve_vcc 1
		.amdhsa_reserve_flat_scratch 0
		.amdhsa_float_round_mode_32 0
		.amdhsa_float_round_mode_16_64 0
		.amdhsa_float_denorm_mode_32 3
		.amdhsa_float_denorm_mode_16_64 3
		.amdhsa_dx10_clamp 1
		.amdhsa_ieee_mode 1
		.amdhsa_fp16_overflow 0
		.amdhsa_exception_fp_ieee_invalid_op 0
		.amdhsa_exception_fp_denorm_src 0
		.amdhsa_exception_fp_ieee_div_zero 0
		.amdhsa_exception_fp_ieee_overflow 0
		.amdhsa_exception_fp_ieee_underflow 0
		.amdhsa_exception_fp_ieee_inexact 0
		.amdhsa_exception_int_div_zero 0
	.end_amdhsa_kernel
	.section	.text._ZL37rocblas_syrkx_herkx_restricted_kernelIidLi16ELi32ELi8ELin1ELi0ELb0ELc78ELc85EKPKdKPdEviT_PT9_S5_lS7_S5_lPT10_S5_li,"axG",@progbits,_ZL37rocblas_syrkx_herkx_restricted_kernelIidLi16ELi32ELi8ELin1ELi0ELb0ELc78ELc85EKPKdKPdEviT_PT9_S5_lS7_S5_lPT10_S5_li,comdat
.Lfunc_end564:
	.size	_ZL37rocblas_syrkx_herkx_restricted_kernelIidLi16ELi32ELi8ELin1ELi0ELb0ELc78ELc85EKPKdKPdEviT_PT9_S5_lS7_S5_lPT10_S5_li, .Lfunc_end564-_ZL37rocblas_syrkx_herkx_restricted_kernelIidLi16ELi32ELi8ELin1ELi0ELb0ELc78ELc85EKPKdKPdEviT_PT9_S5_lS7_S5_lPT10_S5_li
                                        ; -- End function
	.set _ZL37rocblas_syrkx_herkx_restricted_kernelIidLi16ELi32ELi8ELin1ELi0ELb0ELc78ELc85EKPKdKPdEviT_PT9_S5_lS7_S5_lPT10_S5_li.num_vgpr, 38
	.set _ZL37rocblas_syrkx_herkx_restricted_kernelIidLi16ELi32ELi8ELin1ELi0ELb0ELc78ELc85EKPKdKPdEviT_PT9_S5_lS7_S5_lPT10_S5_li.num_agpr, 0
	.set _ZL37rocblas_syrkx_herkx_restricted_kernelIidLi16ELi32ELi8ELin1ELi0ELb0ELc78ELc85EKPKdKPdEviT_PT9_S5_lS7_S5_lPT10_S5_li.numbered_sgpr, 20
	.set _ZL37rocblas_syrkx_herkx_restricted_kernelIidLi16ELi32ELi8ELin1ELi0ELb0ELc78ELc85EKPKdKPdEviT_PT9_S5_lS7_S5_lPT10_S5_li.num_named_barrier, 0
	.set _ZL37rocblas_syrkx_herkx_restricted_kernelIidLi16ELi32ELi8ELin1ELi0ELb0ELc78ELc85EKPKdKPdEviT_PT9_S5_lS7_S5_lPT10_S5_li.private_seg_size, 0
	.set _ZL37rocblas_syrkx_herkx_restricted_kernelIidLi16ELi32ELi8ELin1ELi0ELb0ELc78ELc85EKPKdKPdEviT_PT9_S5_lS7_S5_lPT10_S5_li.uses_vcc, 1
	.set _ZL37rocblas_syrkx_herkx_restricted_kernelIidLi16ELi32ELi8ELin1ELi0ELb0ELc78ELc85EKPKdKPdEviT_PT9_S5_lS7_S5_lPT10_S5_li.uses_flat_scratch, 0
	.set _ZL37rocblas_syrkx_herkx_restricted_kernelIidLi16ELi32ELi8ELin1ELi0ELb0ELc78ELc85EKPKdKPdEviT_PT9_S5_lS7_S5_lPT10_S5_li.has_dyn_sized_stack, 0
	.set _ZL37rocblas_syrkx_herkx_restricted_kernelIidLi16ELi32ELi8ELin1ELi0ELb0ELc78ELc85EKPKdKPdEviT_PT9_S5_lS7_S5_lPT10_S5_li.has_recursion, 0
	.set _ZL37rocblas_syrkx_herkx_restricted_kernelIidLi16ELi32ELi8ELin1ELi0ELb0ELc78ELc85EKPKdKPdEviT_PT9_S5_lS7_S5_lPT10_S5_li.has_indirect_call, 0
	.section	.AMDGPU.csdata,"",@progbits
; Kernel info:
; codeLenInByte = 1240
; TotalNumSgprs: 24
; NumVgprs: 38
; ScratchSize: 0
; MemoryBound: 0
; FloatMode: 240
; IeeeMode: 1
; LDSByteSize: 4096 bytes/workgroup (compile time only)
; SGPRBlocks: 2
; VGPRBlocks: 9
; NumSGPRsForWavesPerEU: 24
; NumVGPRsForWavesPerEU: 38
; Occupancy: 6
; WaveLimiterHint : 1
; COMPUTE_PGM_RSRC2:SCRATCH_EN: 0
; COMPUTE_PGM_RSRC2:USER_SGPR: 6
; COMPUTE_PGM_RSRC2:TRAP_HANDLER: 0
; COMPUTE_PGM_RSRC2:TGID_X_EN: 1
; COMPUTE_PGM_RSRC2:TGID_Y_EN: 1
; COMPUTE_PGM_RSRC2:TGID_Z_EN: 1
; COMPUTE_PGM_RSRC2:TIDIG_COMP_CNT: 1
	.section	.text._ZL37rocblas_syrkx_herkx_restricted_kernelIidLi16ELi32ELi8ELb1ELb0ELc84ELc76EKPKdKPdEviT_T0_PT8_S5_lS8_S5_lS6_PT9_S5_li,"axG",@progbits,_ZL37rocblas_syrkx_herkx_restricted_kernelIidLi16ELi32ELi8ELb1ELb0ELc84ELc76EKPKdKPdEviT_T0_PT8_S5_lS8_S5_lS6_PT9_S5_li,comdat
	.globl	_ZL37rocblas_syrkx_herkx_restricted_kernelIidLi16ELi32ELi8ELb1ELb0ELc84ELc76EKPKdKPdEviT_T0_PT8_S5_lS8_S5_lS6_PT9_S5_li ; -- Begin function _ZL37rocblas_syrkx_herkx_restricted_kernelIidLi16ELi32ELi8ELb1ELb0ELc84ELc76EKPKdKPdEviT_T0_PT8_S5_lS8_S5_lS6_PT9_S5_li
	.p2align	8
	.type	_ZL37rocblas_syrkx_herkx_restricted_kernelIidLi16ELi32ELi8ELb1ELb0ELc84ELc76EKPKdKPdEviT_T0_PT8_S5_lS8_S5_lS6_PT9_S5_li,@function
_ZL37rocblas_syrkx_herkx_restricted_kernelIidLi16ELi32ELi8ELb1ELb0ELc84ELc76EKPKdKPdEviT_T0_PT8_S5_lS8_S5_lS6_PT9_S5_li: ; @_ZL37rocblas_syrkx_herkx_restricted_kernelIidLi16ELi32ELi8ELb1ELb0ELc84ELc76EKPKdKPdEviT_T0_PT8_S5_lS8_S5_lS6_PT9_S5_li
; %bb.0:
	s_load_dwordx2 s[2:3], s[4:5], 0x48
	s_load_dwordx2 s[16:17], s[4:5], 0x0
	s_load_dwordx4 s[12:15], s[4:5], 0x8
	s_mov_b32 s9, 0
	s_lshl_b64 s[0:1], s[8:9], 3
	s_waitcnt lgkmcnt(0)
	s_add_u32 s2, s2, s0
	s_addc_u32 s3, s3, s1
	s_load_dwordx2 s[10:11], s[2:3], 0x0
	s_lshl_b32 s2, s6, 5
	s_lshl_b32 s3, s7, 5
	s_cmp_lt_i32 s17, 1
	s_cbranch_scc1 .LBB565_3
; %bb.1:
	s_load_dword s8, s[4:5], 0x18
	s_load_dwordx2 s[6:7], s[4:5], 0x28
	s_load_dword s18, s[4:5], 0x30
	s_add_u32 s14, s14, s0
	v_lshl_add_u32 v3, v1, 4, v0
	s_addc_u32 s15, s15, s1
	v_lshrrev_b32_e32 v6, 3, v3
	v_and_b32_e32 v7, 31, v3
	s_waitcnt lgkmcnt(0)
	s_add_u32 s0, s6, s0
	v_lshrrev_b32_e32 v2, 5, v3
	v_and_b32_e32 v4, 7, v0
	v_add_u32_e32 v8, s3, v6
	v_mov_b32_e32 v5, 0
	v_lshlrev_b32_e32 v9, 3, v7
	s_addc_u32 s1, s7, s1
	v_mov_b32_e32 v3, v5
	v_lshl_or_b32 v14, v2, 8, v9
	v_lshlrev_b32_e32 v9, 3, v4
	v_mad_i64_i32 v[4:5], s[6:7], s18, v8, v[4:5]
	s_load_dwordx2 s[0:1], s[0:1], 0x0
	v_lshl_or_b32 v6, v6, 6, v9
	v_add_u32_e32 v15, 0x800, v6
	v_add_u32_e32 v6, s2, v7
	v_mad_i64_i32 v[6:7], s[6:7], s8, v6, v[2:3]
	s_load_dwordx2 s[14:15], s[14:15], 0x0
	v_lshlrev_b64 v[4:5], 3, v[4:5]
	s_waitcnt lgkmcnt(0)
	v_mov_b32_e32 v8, s1
	v_add_co_u32_e32 v2, vcc, s0, v4
	v_addc_co_u32_e32 v3, vcc, v8, v5, vcc
	v_lshlrev_b64 v[4:5], 3, v[6:7]
	v_mov_b32_e32 v6, s15
	v_add_co_u32_e32 v4, vcc, s14, v4
	v_mov_b32_e32 v17, 0x800
	v_addc_co_u32_e32 v5, vcc, v6, v5, vcc
	v_mov_b32_e32 v6, 0
	v_mov_b32_e32 v8, 0
	;; [unrolled: 1-line block ×4, first 2 shown]
	v_lshlrev_b32_e32 v16, 3, v0
	v_mov_b32_e32 v7, 0
	v_mov_b32_e32 v9, 0
	;; [unrolled: 1-line block ×4, first 2 shown]
	v_lshl_add_u32 v17, v1, 6, v17
.LBB565_2:                              ; =>This Inner Loop Header: Depth=1
	flat_load_dwordx2 v[18:19], v[4:5]
	v_add_co_u32_e32 v4, vcc, 64, v4
	v_addc_co_u32_e32 v5, vcc, 0, v5, vcc
	s_add_i32 s9, s9, 8
	s_cmp_ge_i32 s9, s17
	s_waitcnt vmcnt(0) lgkmcnt(0)
	ds_write_b64 v14, v[18:19]
	flat_load_dwordx2 v[18:19], v[2:3]
	v_add_co_u32_e32 v2, vcc, 64, v2
	v_addc_co_u32_e32 v3, vcc, 0, v3, vcc
	s_waitcnt vmcnt(0) lgkmcnt(0)
	ds_write_b64 v15, v[18:19]
	s_waitcnt lgkmcnt(0)
	s_barrier
	ds_read2_b64 v[18:21], v16 offset1:16
	ds_read_b128 v[22:25], v17
	ds_read_b128 v[26:29], v17 offset:1024
	ds_read_b128 v[30:33], v17 offset:16
	s_waitcnt lgkmcnt(2)
	v_fma_f64 v[34:35], v[18:19], v[22:23], v[12:13]
	v_fma_f64 v[22:23], v[20:21], v[22:23], v[10:11]
	s_waitcnt lgkmcnt(1)
	v_fma_f64 v[18:19], v[18:19], v[26:27], v[8:9]
	v_fma_f64 v[20:21], v[20:21], v[26:27], v[6:7]
	ds_read2_b64 v[6:9], v16 offset0:32 offset1:48
	ds_read_b128 v[10:13], v17 offset:1040
	s_waitcnt lgkmcnt(1)
	v_fma_f64 v[26:27], v[6:7], v[24:25], v[34:35]
	v_fma_f64 v[22:23], v[8:9], v[24:25], v[22:23]
	;; [unrolled: 1-line block ×4, first 2 shown]
	ds_read2_b64 v[6:9], v16 offset0:64 offset1:80
	ds_read2_b64 v[18:21], v16 offset0:96 offset1:112
	s_waitcnt lgkmcnt(1)
	v_fma_f64 v[26:27], v[6:7], v[30:31], v[26:27]
	v_fma_f64 v[22:23], v[8:9], v[30:31], v[22:23]
	;; [unrolled: 1-line block ×4, first 2 shown]
	ds_read2_b64 v[6:9], v16 offset0:128 offset1:144
	s_waitcnt lgkmcnt(1)
	v_fma_f64 v[26:27], v[18:19], v[32:33], v[26:27]
	v_fma_f64 v[28:29], v[20:21], v[32:33], v[22:23]
	;; [unrolled: 1-line block ×4, first 2 shown]
	ds_read_b128 v[22:25], v17 offset:32
	ds_read_b128 v[10:13], v17 offset:1056
	;; [unrolled: 1-line block ×3, first 2 shown]
	s_waitcnt lgkmcnt(2)
	v_fma_f64 v[34:35], v[6:7], v[22:23], v[26:27]
	v_fma_f64 v[22:23], v[8:9], v[22:23], v[28:29]
	s_waitcnt lgkmcnt(1)
	v_fma_f64 v[30:31], v[6:7], v[10:11], v[30:31]
	v_fma_f64 v[10:11], v[8:9], v[10:11], v[32:33]
	ds_read2_b64 v[6:9], v16 offset0:160 offset1:176
	ds_read_b128 v[26:29], v17 offset:1072
	s_waitcnt lgkmcnt(1)
	v_fma_f64 v[32:33], v[6:7], v[24:25], v[34:35]
	v_fma_f64 v[22:23], v[8:9], v[24:25], v[22:23]
	;; [unrolled: 1-line block ×4, first 2 shown]
	ds_read2_b64 v[6:9], v16 offset0:192 offset1:208
	s_waitcnt lgkmcnt(0)
	v_fma_f64 v[12:13], v[6:7], v[18:19], v[32:33]
	v_fma_f64 v[18:19], v[8:9], v[18:19], v[22:23]
	;; [unrolled: 1-line block ×4, first 2 shown]
	ds_read2_b64 v[22:25], v16 offset0:224 offset1:240
	s_waitcnt lgkmcnt(0)
	s_barrier
	v_fma_f64 v[12:13], v[22:23], v[20:21], v[12:13]
	v_fma_f64 v[10:11], v[24:25], v[20:21], v[18:19]
	;; [unrolled: 1-line block ×4, first 2 shown]
	s_cbranch_scc0 .LBB565_2
	s_branch .LBB565_4
.LBB565_3:
	v_mov_b32_e32 v12, 0
	v_mov_b32_e32 v10, 0
	;; [unrolled: 1-line block ×8, first 2 shown]
.LBB565_4:
	s_load_dword s6, s[4:5], 0x50
	v_add_u32_e32 v4, s3, v1
	s_waitcnt lgkmcnt(0)
	v_mov_b32_e32 v3, s11
	v_add_u32_e32 v0, s2, v0
	v_mad_i64_i32 v[1:2], s[0:1], v4, s6, 0
	v_cmp_le_i32_e64 s[0:1], v4, v0
	v_lshlrev_b64 v[1:2], 3, v[1:2]
	v_add_co_u32_e32 v5, vcc, s10, v1
	v_addc_co_u32_e32 v14, vcc, v3, v2, vcc
	v_cmp_gt_i32_e32 vcc, s16, v0
	s_and_b64 s[0:1], s[0:1], vcc
	s_and_saveexec_b64 s[2:3], s[0:1]
	s_cbranch_execz .LBB565_6
; %bb.5:
	v_mul_f64 v[2:3], s[12:13], v[12:13]
	v_ashrrev_i32_e32 v1, 31, v0
	v_lshlrev_b64 v[12:13], 3, v[0:1]
	v_add_co_u32_e64 v12, s[0:1], v5, v12
	v_addc_co_u32_e64 v13, s[0:1], v14, v13, s[0:1]
	flat_store_dwordx2 v[12:13], v[2:3]
.LBB565_6:
	s_or_b64 exec, exec, s[2:3]
	v_add_u32_e32 v2, 16, v0
	v_cmp_le_i32_e64 s[2:3], v4, v2
	v_cmp_gt_i32_e64 s[0:1], s16, v2
	s_and_b64 s[2:3], s[2:3], s[0:1]
	s_and_saveexec_b64 s[4:5], s[2:3]
	s_cbranch_execz .LBB565_8
; %bb.7:
	v_mul_f64 v[10:11], s[12:13], v[10:11]
	v_ashrrev_i32_e32 v3, 31, v2
	v_lshlrev_b64 v[12:13], 3, v[2:3]
	v_add_co_u32_e64 v12, s[2:3], v5, v12
	v_addc_co_u32_e64 v13, s[2:3], v14, v13, s[2:3]
	flat_store_dwordx2 v[12:13], v[10:11]
.LBB565_8:
	s_or_b64 exec, exec, s[4:5]
	v_add_u32_e32 v3, 16, v4
	v_mad_i64_i32 v[4:5], s[2:3], v3, s6, 0
	v_mov_b32_e32 v1, s11
	v_lshlrev_b64 v[4:5], 3, v[4:5]
	v_add_co_u32_e64 v4, s[2:3], s10, v4
	v_addc_co_u32_e64 v5, s[2:3], v1, v5, s[2:3]
	v_cmp_le_i32_e64 s[2:3], v3, v0
	s_and_b64 s[4:5], s[2:3], vcc
	s_and_saveexec_b64 s[2:3], s[4:5]
	s_cbranch_execz .LBB565_10
; %bb.9:
	v_mul_f64 v[8:9], s[12:13], v[8:9]
	v_ashrrev_i32_e32 v1, 31, v0
	v_lshlrev_b64 v[0:1], 3, v[0:1]
	v_add_co_u32_e32 v0, vcc, v4, v0
	v_addc_co_u32_e32 v1, vcc, v5, v1, vcc
	flat_store_dwordx2 v[0:1], v[8:9]
.LBB565_10:
	s_or_b64 exec, exec, s[2:3]
	v_cmp_le_i32_e32 vcc, v3, v2
	s_and_b64 s[0:1], vcc, s[0:1]
	s_and_saveexec_b64 s[2:3], s[0:1]
	s_cbranch_execz .LBB565_12
; %bb.11:
	v_mul_f64 v[0:1], s[12:13], v[6:7]
	v_ashrrev_i32_e32 v3, 31, v2
	v_lshlrev_b64 v[2:3], 3, v[2:3]
	v_add_co_u32_e32 v2, vcc, v4, v2
	v_addc_co_u32_e32 v3, vcc, v5, v3, vcc
	flat_store_dwordx2 v[2:3], v[0:1]
.LBB565_12:
	s_endpgm
	.section	.rodata,"a",@progbits
	.p2align	6, 0x0
	.amdhsa_kernel _ZL37rocblas_syrkx_herkx_restricted_kernelIidLi16ELi32ELi8ELb1ELb0ELc84ELc76EKPKdKPdEviT_T0_PT8_S5_lS8_S5_lS6_PT9_S5_li
		.amdhsa_group_segment_fixed_size 4096
		.amdhsa_private_segment_fixed_size 0
		.amdhsa_kernarg_size 100
		.amdhsa_user_sgpr_count 6
		.amdhsa_user_sgpr_private_segment_buffer 1
		.amdhsa_user_sgpr_dispatch_ptr 0
		.amdhsa_user_sgpr_queue_ptr 0
		.amdhsa_user_sgpr_kernarg_segment_ptr 1
		.amdhsa_user_sgpr_dispatch_id 0
		.amdhsa_user_sgpr_flat_scratch_init 0
		.amdhsa_user_sgpr_private_segment_size 0
		.amdhsa_uses_dynamic_stack 0
		.amdhsa_system_sgpr_private_segment_wavefront_offset 0
		.amdhsa_system_sgpr_workgroup_id_x 1
		.amdhsa_system_sgpr_workgroup_id_y 1
		.amdhsa_system_sgpr_workgroup_id_z 1
		.amdhsa_system_sgpr_workgroup_info 0
		.amdhsa_system_vgpr_workitem_id 1
		.amdhsa_next_free_vgpr 36
		.amdhsa_next_free_sgpr 19
		.amdhsa_reserve_vcc 1
		.amdhsa_reserve_flat_scratch 0
		.amdhsa_float_round_mode_32 0
		.amdhsa_float_round_mode_16_64 0
		.amdhsa_float_denorm_mode_32 3
		.amdhsa_float_denorm_mode_16_64 3
		.amdhsa_dx10_clamp 1
		.amdhsa_ieee_mode 1
		.amdhsa_fp16_overflow 0
		.amdhsa_exception_fp_ieee_invalid_op 0
		.amdhsa_exception_fp_denorm_src 0
		.amdhsa_exception_fp_ieee_div_zero 0
		.amdhsa_exception_fp_ieee_overflow 0
		.amdhsa_exception_fp_ieee_underflow 0
		.amdhsa_exception_fp_ieee_inexact 0
		.amdhsa_exception_int_div_zero 0
	.end_amdhsa_kernel
	.section	.text._ZL37rocblas_syrkx_herkx_restricted_kernelIidLi16ELi32ELi8ELb1ELb0ELc84ELc76EKPKdKPdEviT_T0_PT8_S5_lS8_S5_lS6_PT9_S5_li,"axG",@progbits,_ZL37rocblas_syrkx_herkx_restricted_kernelIidLi16ELi32ELi8ELb1ELb0ELc84ELc76EKPKdKPdEviT_T0_PT8_S5_lS8_S5_lS6_PT9_S5_li,comdat
.Lfunc_end565:
	.size	_ZL37rocblas_syrkx_herkx_restricted_kernelIidLi16ELi32ELi8ELb1ELb0ELc84ELc76EKPKdKPdEviT_T0_PT8_S5_lS8_S5_lS6_PT9_S5_li, .Lfunc_end565-_ZL37rocblas_syrkx_herkx_restricted_kernelIidLi16ELi32ELi8ELb1ELb0ELc84ELc76EKPKdKPdEviT_T0_PT8_S5_lS8_S5_lS6_PT9_S5_li
                                        ; -- End function
	.set _ZL37rocblas_syrkx_herkx_restricted_kernelIidLi16ELi32ELi8ELb1ELb0ELc84ELc76EKPKdKPdEviT_T0_PT8_S5_lS8_S5_lS6_PT9_S5_li.num_vgpr, 36
	.set _ZL37rocblas_syrkx_herkx_restricted_kernelIidLi16ELi32ELi8ELb1ELb0ELc84ELc76EKPKdKPdEviT_T0_PT8_S5_lS8_S5_lS6_PT9_S5_li.num_agpr, 0
	.set _ZL37rocblas_syrkx_herkx_restricted_kernelIidLi16ELi32ELi8ELb1ELb0ELc84ELc76EKPKdKPdEviT_T0_PT8_S5_lS8_S5_lS6_PT9_S5_li.numbered_sgpr, 19
	.set _ZL37rocblas_syrkx_herkx_restricted_kernelIidLi16ELi32ELi8ELb1ELb0ELc84ELc76EKPKdKPdEviT_T0_PT8_S5_lS8_S5_lS6_PT9_S5_li.num_named_barrier, 0
	.set _ZL37rocblas_syrkx_herkx_restricted_kernelIidLi16ELi32ELi8ELb1ELb0ELc84ELc76EKPKdKPdEviT_T0_PT8_S5_lS8_S5_lS6_PT9_S5_li.private_seg_size, 0
	.set _ZL37rocblas_syrkx_herkx_restricted_kernelIidLi16ELi32ELi8ELb1ELb0ELc84ELc76EKPKdKPdEviT_T0_PT8_S5_lS8_S5_lS6_PT9_S5_li.uses_vcc, 1
	.set _ZL37rocblas_syrkx_herkx_restricted_kernelIidLi16ELi32ELi8ELb1ELb0ELc84ELc76EKPKdKPdEviT_T0_PT8_S5_lS8_S5_lS6_PT9_S5_li.uses_flat_scratch, 0
	.set _ZL37rocblas_syrkx_herkx_restricted_kernelIidLi16ELi32ELi8ELb1ELb0ELc84ELc76EKPKdKPdEviT_T0_PT8_S5_lS8_S5_lS6_PT9_S5_li.has_dyn_sized_stack, 0
	.set _ZL37rocblas_syrkx_herkx_restricted_kernelIidLi16ELi32ELi8ELb1ELb0ELc84ELc76EKPKdKPdEviT_T0_PT8_S5_lS8_S5_lS6_PT9_S5_li.has_recursion, 0
	.set _ZL37rocblas_syrkx_herkx_restricted_kernelIidLi16ELi32ELi8ELb1ELb0ELc84ELc76EKPKdKPdEviT_T0_PT8_S5_lS8_S5_lS6_PT9_S5_li.has_indirect_call, 0
	.section	.AMDGPU.csdata,"",@progbits
; Kernel info:
; codeLenInByte = 1208
; TotalNumSgprs: 23
; NumVgprs: 36
; ScratchSize: 0
; MemoryBound: 0
; FloatMode: 240
; IeeeMode: 1
; LDSByteSize: 4096 bytes/workgroup (compile time only)
; SGPRBlocks: 2
; VGPRBlocks: 8
; NumSGPRsForWavesPerEU: 23
; NumVGPRsForWavesPerEU: 36
; Occupancy: 7
; WaveLimiterHint : 1
; COMPUTE_PGM_RSRC2:SCRATCH_EN: 0
; COMPUTE_PGM_RSRC2:USER_SGPR: 6
; COMPUTE_PGM_RSRC2:TRAP_HANDLER: 0
; COMPUTE_PGM_RSRC2:TGID_X_EN: 1
; COMPUTE_PGM_RSRC2:TGID_Y_EN: 1
; COMPUTE_PGM_RSRC2:TGID_Z_EN: 1
; COMPUTE_PGM_RSRC2:TIDIG_COMP_CNT: 1
	.section	.text._ZL37rocblas_syrkx_herkx_restricted_kernelIidLi16ELi32ELi8ELb1ELb0ELc67ELc76EKPKdKPdEviT_T0_PT8_S5_lS8_S5_lS6_PT9_S5_li,"axG",@progbits,_ZL37rocblas_syrkx_herkx_restricted_kernelIidLi16ELi32ELi8ELb1ELb0ELc67ELc76EKPKdKPdEviT_T0_PT8_S5_lS8_S5_lS6_PT9_S5_li,comdat
	.globl	_ZL37rocblas_syrkx_herkx_restricted_kernelIidLi16ELi32ELi8ELb1ELb0ELc67ELc76EKPKdKPdEviT_T0_PT8_S5_lS8_S5_lS6_PT9_S5_li ; -- Begin function _ZL37rocblas_syrkx_herkx_restricted_kernelIidLi16ELi32ELi8ELb1ELb0ELc67ELc76EKPKdKPdEviT_T0_PT8_S5_lS8_S5_lS6_PT9_S5_li
	.p2align	8
	.type	_ZL37rocblas_syrkx_herkx_restricted_kernelIidLi16ELi32ELi8ELb1ELb0ELc67ELc76EKPKdKPdEviT_T0_PT8_S5_lS8_S5_lS6_PT9_S5_li,@function
_ZL37rocblas_syrkx_herkx_restricted_kernelIidLi16ELi32ELi8ELb1ELb0ELc67ELc76EKPKdKPdEviT_T0_PT8_S5_lS8_S5_lS6_PT9_S5_li: ; @_ZL37rocblas_syrkx_herkx_restricted_kernelIidLi16ELi32ELi8ELb1ELb0ELc67ELc76EKPKdKPdEviT_T0_PT8_S5_lS8_S5_lS6_PT9_S5_li
; %bb.0:
	s_load_dwordx2 s[2:3], s[4:5], 0x48
	s_load_dwordx2 s[16:17], s[4:5], 0x0
	s_load_dwordx4 s[12:15], s[4:5], 0x8
	s_mov_b32 s9, 0
	s_lshl_b64 s[0:1], s[8:9], 3
	s_waitcnt lgkmcnt(0)
	s_add_u32 s2, s2, s0
	s_addc_u32 s3, s3, s1
	s_load_dwordx2 s[10:11], s[2:3], 0x0
	s_lshl_b32 s2, s6, 5
	s_lshl_b32 s3, s7, 5
	s_cmp_lt_i32 s17, 1
	s_cbranch_scc1 .LBB566_3
; %bb.1:
	s_load_dword s8, s[4:5], 0x18
	s_load_dwordx2 s[6:7], s[4:5], 0x28
	s_load_dword s18, s[4:5], 0x30
	s_add_u32 s14, s14, s0
	v_lshl_add_u32 v3, v1, 4, v0
	s_addc_u32 s15, s15, s1
	v_lshrrev_b32_e32 v6, 3, v3
	v_and_b32_e32 v7, 31, v3
	s_waitcnt lgkmcnt(0)
	s_add_u32 s0, s6, s0
	v_lshrrev_b32_e32 v2, 5, v3
	v_and_b32_e32 v4, 7, v0
	v_add_u32_e32 v8, s3, v6
	v_mov_b32_e32 v5, 0
	v_lshlrev_b32_e32 v9, 3, v7
	s_addc_u32 s1, s7, s1
	v_mov_b32_e32 v3, v5
	v_lshl_or_b32 v14, v2, 8, v9
	v_lshlrev_b32_e32 v9, 3, v4
	v_mad_i64_i32 v[4:5], s[6:7], s18, v8, v[4:5]
	s_load_dwordx2 s[0:1], s[0:1], 0x0
	v_lshl_or_b32 v6, v6, 6, v9
	v_add_u32_e32 v15, 0x800, v6
	v_add_u32_e32 v6, s2, v7
	v_mad_i64_i32 v[6:7], s[6:7], s8, v6, v[2:3]
	s_load_dwordx2 s[14:15], s[14:15], 0x0
	v_lshlrev_b64 v[4:5], 3, v[4:5]
	s_waitcnt lgkmcnt(0)
	v_mov_b32_e32 v8, s1
	v_add_co_u32_e32 v2, vcc, s0, v4
	v_addc_co_u32_e32 v3, vcc, v8, v5, vcc
	v_lshlrev_b64 v[4:5], 3, v[6:7]
	v_mov_b32_e32 v6, s15
	v_add_co_u32_e32 v4, vcc, s14, v4
	v_mov_b32_e32 v17, 0x800
	v_addc_co_u32_e32 v5, vcc, v6, v5, vcc
	v_mov_b32_e32 v6, 0
	v_mov_b32_e32 v8, 0
	;; [unrolled: 1-line block ×4, first 2 shown]
	v_lshlrev_b32_e32 v16, 3, v0
	v_mov_b32_e32 v7, 0
	v_mov_b32_e32 v9, 0
	;; [unrolled: 1-line block ×4, first 2 shown]
	v_lshl_add_u32 v17, v1, 6, v17
.LBB566_2:                              ; =>This Inner Loop Header: Depth=1
	flat_load_dwordx2 v[18:19], v[4:5]
	v_add_co_u32_e32 v4, vcc, 64, v4
	v_addc_co_u32_e32 v5, vcc, 0, v5, vcc
	s_add_i32 s9, s9, 8
	s_cmp_ge_i32 s9, s17
	s_waitcnt vmcnt(0) lgkmcnt(0)
	ds_write_b64 v14, v[18:19]
	flat_load_dwordx2 v[18:19], v[2:3]
	v_add_co_u32_e32 v2, vcc, 64, v2
	v_addc_co_u32_e32 v3, vcc, 0, v3, vcc
	s_waitcnt vmcnt(0) lgkmcnt(0)
	ds_write_b64 v15, v[18:19]
	s_waitcnt lgkmcnt(0)
	s_barrier
	ds_read2_b64 v[18:21], v16 offset1:16
	ds_read_b128 v[22:25], v17
	ds_read_b128 v[26:29], v17 offset:1024
	ds_read_b128 v[30:33], v17 offset:16
	s_waitcnt lgkmcnt(2)
	v_fma_f64 v[34:35], v[18:19], v[22:23], v[12:13]
	v_fma_f64 v[22:23], v[20:21], v[22:23], v[10:11]
	s_waitcnt lgkmcnt(1)
	v_fma_f64 v[18:19], v[18:19], v[26:27], v[8:9]
	v_fma_f64 v[20:21], v[20:21], v[26:27], v[6:7]
	ds_read2_b64 v[6:9], v16 offset0:32 offset1:48
	ds_read_b128 v[10:13], v17 offset:1040
	s_waitcnt lgkmcnt(1)
	v_fma_f64 v[26:27], v[6:7], v[24:25], v[34:35]
	v_fma_f64 v[22:23], v[8:9], v[24:25], v[22:23]
	;; [unrolled: 1-line block ×4, first 2 shown]
	ds_read2_b64 v[6:9], v16 offset0:64 offset1:80
	ds_read2_b64 v[18:21], v16 offset0:96 offset1:112
	s_waitcnt lgkmcnt(1)
	v_fma_f64 v[26:27], v[6:7], v[30:31], v[26:27]
	v_fma_f64 v[22:23], v[8:9], v[30:31], v[22:23]
	;; [unrolled: 1-line block ×4, first 2 shown]
	ds_read2_b64 v[6:9], v16 offset0:128 offset1:144
	s_waitcnt lgkmcnt(1)
	v_fma_f64 v[26:27], v[18:19], v[32:33], v[26:27]
	v_fma_f64 v[28:29], v[20:21], v[32:33], v[22:23]
	;; [unrolled: 1-line block ×4, first 2 shown]
	ds_read_b128 v[22:25], v17 offset:32
	ds_read_b128 v[10:13], v17 offset:1056
	;; [unrolled: 1-line block ×3, first 2 shown]
	s_waitcnt lgkmcnt(2)
	v_fma_f64 v[34:35], v[6:7], v[22:23], v[26:27]
	v_fma_f64 v[22:23], v[8:9], v[22:23], v[28:29]
	s_waitcnt lgkmcnt(1)
	v_fma_f64 v[30:31], v[6:7], v[10:11], v[30:31]
	v_fma_f64 v[10:11], v[8:9], v[10:11], v[32:33]
	ds_read2_b64 v[6:9], v16 offset0:160 offset1:176
	ds_read_b128 v[26:29], v17 offset:1072
	s_waitcnt lgkmcnt(1)
	v_fma_f64 v[32:33], v[6:7], v[24:25], v[34:35]
	v_fma_f64 v[22:23], v[8:9], v[24:25], v[22:23]
	v_fma_f64 v[24:25], v[6:7], v[12:13], v[30:31]
	v_fma_f64 v[10:11], v[8:9], v[12:13], v[10:11]
	ds_read2_b64 v[6:9], v16 offset0:192 offset1:208
	s_waitcnt lgkmcnt(0)
	v_fma_f64 v[12:13], v[6:7], v[18:19], v[32:33]
	v_fma_f64 v[18:19], v[8:9], v[18:19], v[22:23]
	;; [unrolled: 1-line block ×4, first 2 shown]
	ds_read2_b64 v[22:25], v16 offset0:224 offset1:240
	s_waitcnt lgkmcnt(0)
	s_barrier
	v_fma_f64 v[12:13], v[22:23], v[20:21], v[12:13]
	v_fma_f64 v[10:11], v[24:25], v[20:21], v[18:19]
	;; [unrolled: 1-line block ×4, first 2 shown]
	s_cbranch_scc0 .LBB566_2
	s_branch .LBB566_4
.LBB566_3:
	v_mov_b32_e32 v12, 0
	v_mov_b32_e32 v10, 0
	;; [unrolled: 1-line block ×8, first 2 shown]
.LBB566_4:
	s_load_dword s6, s[4:5], 0x50
	v_add_u32_e32 v4, s3, v1
	s_waitcnt lgkmcnt(0)
	v_mov_b32_e32 v3, s11
	v_add_u32_e32 v0, s2, v0
	v_mad_i64_i32 v[1:2], s[0:1], v4, s6, 0
	v_cmp_le_i32_e64 s[0:1], v4, v0
	v_lshlrev_b64 v[1:2], 3, v[1:2]
	v_add_co_u32_e32 v5, vcc, s10, v1
	v_addc_co_u32_e32 v14, vcc, v3, v2, vcc
	v_cmp_gt_i32_e32 vcc, s16, v0
	s_and_b64 s[0:1], s[0:1], vcc
	s_and_saveexec_b64 s[2:3], s[0:1]
	s_cbranch_execz .LBB566_6
; %bb.5:
	v_mul_f64 v[2:3], s[12:13], v[12:13]
	v_ashrrev_i32_e32 v1, 31, v0
	v_lshlrev_b64 v[12:13], 3, v[0:1]
	v_add_co_u32_e64 v12, s[0:1], v5, v12
	v_addc_co_u32_e64 v13, s[0:1], v14, v13, s[0:1]
	flat_store_dwordx2 v[12:13], v[2:3]
.LBB566_6:
	s_or_b64 exec, exec, s[2:3]
	v_add_u32_e32 v2, 16, v0
	v_cmp_le_i32_e64 s[2:3], v4, v2
	v_cmp_gt_i32_e64 s[0:1], s16, v2
	s_and_b64 s[2:3], s[2:3], s[0:1]
	s_and_saveexec_b64 s[4:5], s[2:3]
	s_cbranch_execz .LBB566_8
; %bb.7:
	v_mul_f64 v[10:11], s[12:13], v[10:11]
	v_ashrrev_i32_e32 v3, 31, v2
	v_lshlrev_b64 v[12:13], 3, v[2:3]
	v_add_co_u32_e64 v12, s[2:3], v5, v12
	v_addc_co_u32_e64 v13, s[2:3], v14, v13, s[2:3]
	flat_store_dwordx2 v[12:13], v[10:11]
.LBB566_8:
	s_or_b64 exec, exec, s[4:5]
	v_add_u32_e32 v3, 16, v4
	v_mad_i64_i32 v[4:5], s[2:3], v3, s6, 0
	v_mov_b32_e32 v1, s11
	v_lshlrev_b64 v[4:5], 3, v[4:5]
	v_add_co_u32_e64 v4, s[2:3], s10, v4
	v_addc_co_u32_e64 v5, s[2:3], v1, v5, s[2:3]
	v_cmp_le_i32_e64 s[2:3], v3, v0
	s_and_b64 s[4:5], s[2:3], vcc
	s_and_saveexec_b64 s[2:3], s[4:5]
	s_cbranch_execz .LBB566_10
; %bb.9:
	v_mul_f64 v[8:9], s[12:13], v[8:9]
	v_ashrrev_i32_e32 v1, 31, v0
	v_lshlrev_b64 v[0:1], 3, v[0:1]
	v_add_co_u32_e32 v0, vcc, v4, v0
	v_addc_co_u32_e32 v1, vcc, v5, v1, vcc
	flat_store_dwordx2 v[0:1], v[8:9]
.LBB566_10:
	s_or_b64 exec, exec, s[2:3]
	v_cmp_le_i32_e32 vcc, v3, v2
	s_and_b64 s[0:1], vcc, s[0:1]
	s_and_saveexec_b64 s[2:3], s[0:1]
	s_cbranch_execz .LBB566_12
; %bb.11:
	v_mul_f64 v[0:1], s[12:13], v[6:7]
	v_ashrrev_i32_e32 v3, 31, v2
	v_lshlrev_b64 v[2:3], 3, v[2:3]
	v_add_co_u32_e32 v2, vcc, v4, v2
	v_addc_co_u32_e32 v3, vcc, v5, v3, vcc
	flat_store_dwordx2 v[2:3], v[0:1]
.LBB566_12:
	s_endpgm
	.section	.rodata,"a",@progbits
	.p2align	6, 0x0
	.amdhsa_kernel _ZL37rocblas_syrkx_herkx_restricted_kernelIidLi16ELi32ELi8ELb1ELb0ELc67ELc76EKPKdKPdEviT_T0_PT8_S5_lS8_S5_lS6_PT9_S5_li
		.amdhsa_group_segment_fixed_size 4096
		.amdhsa_private_segment_fixed_size 0
		.amdhsa_kernarg_size 100
		.amdhsa_user_sgpr_count 6
		.amdhsa_user_sgpr_private_segment_buffer 1
		.amdhsa_user_sgpr_dispatch_ptr 0
		.amdhsa_user_sgpr_queue_ptr 0
		.amdhsa_user_sgpr_kernarg_segment_ptr 1
		.amdhsa_user_sgpr_dispatch_id 0
		.amdhsa_user_sgpr_flat_scratch_init 0
		.amdhsa_user_sgpr_private_segment_size 0
		.amdhsa_uses_dynamic_stack 0
		.amdhsa_system_sgpr_private_segment_wavefront_offset 0
		.amdhsa_system_sgpr_workgroup_id_x 1
		.amdhsa_system_sgpr_workgroup_id_y 1
		.amdhsa_system_sgpr_workgroup_id_z 1
		.amdhsa_system_sgpr_workgroup_info 0
		.amdhsa_system_vgpr_workitem_id 1
		.amdhsa_next_free_vgpr 36
		.amdhsa_next_free_sgpr 19
		.amdhsa_reserve_vcc 1
		.amdhsa_reserve_flat_scratch 0
		.amdhsa_float_round_mode_32 0
		.amdhsa_float_round_mode_16_64 0
		.amdhsa_float_denorm_mode_32 3
		.amdhsa_float_denorm_mode_16_64 3
		.amdhsa_dx10_clamp 1
		.amdhsa_ieee_mode 1
		.amdhsa_fp16_overflow 0
		.amdhsa_exception_fp_ieee_invalid_op 0
		.amdhsa_exception_fp_denorm_src 0
		.amdhsa_exception_fp_ieee_div_zero 0
		.amdhsa_exception_fp_ieee_overflow 0
		.amdhsa_exception_fp_ieee_underflow 0
		.amdhsa_exception_fp_ieee_inexact 0
		.amdhsa_exception_int_div_zero 0
	.end_amdhsa_kernel
	.section	.text._ZL37rocblas_syrkx_herkx_restricted_kernelIidLi16ELi32ELi8ELb1ELb0ELc67ELc76EKPKdKPdEviT_T0_PT8_S5_lS8_S5_lS6_PT9_S5_li,"axG",@progbits,_ZL37rocblas_syrkx_herkx_restricted_kernelIidLi16ELi32ELi8ELb1ELb0ELc67ELc76EKPKdKPdEviT_T0_PT8_S5_lS8_S5_lS6_PT9_S5_li,comdat
.Lfunc_end566:
	.size	_ZL37rocblas_syrkx_herkx_restricted_kernelIidLi16ELi32ELi8ELb1ELb0ELc67ELc76EKPKdKPdEviT_T0_PT8_S5_lS8_S5_lS6_PT9_S5_li, .Lfunc_end566-_ZL37rocblas_syrkx_herkx_restricted_kernelIidLi16ELi32ELi8ELb1ELb0ELc67ELc76EKPKdKPdEviT_T0_PT8_S5_lS8_S5_lS6_PT9_S5_li
                                        ; -- End function
	.set _ZL37rocblas_syrkx_herkx_restricted_kernelIidLi16ELi32ELi8ELb1ELb0ELc67ELc76EKPKdKPdEviT_T0_PT8_S5_lS8_S5_lS6_PT9_S5_li.num_vgpr, 36
	.set _ZL37rocblas_syrkx_herkx_restricted_kernelIidLi16ELi32ELi8ELb1ELb0ELc67ELc76EKPKdKPdEviT_T0_PT8_S5_lS8_S5_lS6_PT9_S5_li.num_agpr, 0
	.set _ZL37rocblas_syrkx_herkx_restricted_kernelIidLi16ELi32ELi8ELb1ELb0ELc67ELc76EKPKdKPdEviT_T0_PT8_S5_lS8_S5_lS6_PT9_S5_li.numbered_sgpr, 19
	.set _ZL37rocblas_syrkx_herkx_restricted_kernelIidLi16ELi32ELi8ELb1ELb0ELc67ELc76EKPKdKPdEviT_T0_PT8_S5_lS8_S5_lS6_PT9_S5_li.num_named_barrier, 0
	.set _ZL37rocblas_syrkx_herkx_restricted_kernelIidLi16ELi32ELi8ELb1ELb0ELc67ELc76EKPKdKPdEviT_T0_PT8_S5_lS8_S5_lS6_PT9_S5_li.private_seg_size, 0
	.set _ZL37rocblas_syrkx_herkx_restricted_kernelIidLi16ELi32ELi8ELb1ELb0ELc67ELc76EKPKdKPdEviT_T0_PT8_S5_lS8_S5_lS6_PT9_S5_li.uses_vcc, 1
	.set _ZL37rocblas_syrkx_herkx_restricted_kernelIidLi16ELi32ELi8ELb1ELb0ELc67ELc76EKPKdKPdEviT_T0_PT8_S5_lS8_S5_lS6_PT9_S5_li.uses_flat_scratch, 0
	.set _ZL37rocblas_syrkx_herkx_restricted_kernelIidLi16ELi32ELi8ELb1ELb0ELc67ELc76EKPKdKPdEviT_T0_PT8_S5_lS8_S5_lS6_PT9_S5_li.has_dyn_sized_stack, 0
	.set _ZL37rocblas_syrkx_herkx_restricted_kernelIidLi16ELi32ELi8ELb1ELb0ELc67ELc76EKPKdKPdEviT_T0_PT8_S5_lS8_S5_lS6_PT9_S5_li.has_recursion, 0
	.set _ZL37rocblas_syrkx_herkx_restricted_kernelIidLi16ELi32ELi8ELb1ELb0ELc67ELc76EKPKdKPdEviT_T0_PT8_S5_lS8_S5_lS6_PT9_S5_li.has_indirect_call, 0
	.section	.AMDGPU.csdata,"",@progbits
; Kernel info:
; codeLenInByte = 1208
; TotalNumSgprs: 23
; NumVgprs: 36
; ScratchSize: 0
; MemoryBound: 0
; FloatMode: 240
; IeeeMode: 1
; LDSByteSize: 4096 bytes/workgroup (compile time only)
; SGPRBlocks: 2
; VGPRBlocks: 8
; NumSGPRsForWavesPerEU: 23
; NumVGPRsForWavesPerEU: 36
; Occupancy: 7
; WaveLimiterHint : 1
; COMPUTE_PGM_RSRC2:SCRATCH_EN: 0
; COMPUTE_PGM_RSRC2:USER_SGPR: 6
; COMPUTE_PGM_RSRC2:TRAP_HANDLER: 0
; COMPUTE_PGM_RSRC2:TGID_X_EN: 1
; COMPUTE_PGM_RSRC2:TGID_Y_EN: 1
; COMPUTE_PGM_RSRC2:TGID_Z_EN: 1
; COMPUTE_PGM_RSRC2:TIDIG_COMP_CNT: 1
	.section	.text._ZL37rocblas_syrkx_herkx_restricted_kernelIidLi16ELi32ELi8ELb1ELb0ELc78ELc76EKPKdKPdEviT_T0_PT8_S5_lS8_S5_lS6_PT9_S5_li,"axG",@progbits,_ZL37rocblas_syrkx_herkx_restricted_kernelIidLi16ELi32ELi8ELb1ELb0ELc78ELc76EKPKdKPdEviT_T0_PT8_S5_lS8_S5_lS6_PT9_S5_li,comdat
	.globl	_ZL37rocblas_syrkx_herkx_restricted_kernelIidLi16ELi32ELi8ELb1ELb0ELc78ELc76EKPKdKPdEviT_T0_PT8_S5_lS8_S5_lS6_PT9_S5_li ; -- Begin function _ZL37rocblas_syrkx_herkx_restricted_kernelIidLi16ELi32ELi8ELb1ELb0ELc78ELc76EKPKdKPdEviT_T0_PT8_S5_lS8_S5_lS6_PT9_S5_li
	.p2align	8
	.type	_ZL37rocblas_syrkx_herkx_restricted_kernelIidLi16ELi32ELi8ELb1ELb0ELc78ELc76EKPKdKPdEviT_T0_PT8_S5_lS8_S5_lS6_PT9_S5_li,@function
_ZL37rocblas_syrkx_herkx_restricted_kernelIidLi16ELi32ELi8ELb1ELb0ELc78ELc76EKPKdKPdEviT_T0_PT8_S5_lS8_S5_lS6_PT9_S5_li: ; @_ZL37rocblas_syrkx_herkx_restricted_kernelIidLi16ELi32ELi8ELb1ELb0ELc78ELc76EKPKdKPdEviT_T0_PT8_S5_lS8_S5_lS6_PT9_S5_li
; %bb.0:
	s_load_dwordx2 s[2:3], s[4:5], 0x48
	s_load_dwordx2 s[16:17], s[4:5], 0x0
	s_load_dwordx4 s[12:15], s[4:5], 0x8
	s_mov_b32 s9, 0
	s_lshl_b64 s[0:1], s[8:9], 3
	s_waitcnt lgkmcnt(0)
	s_add_u32 s2, s2, s0
	s_addc_u32 s3, s3, s1
	s_load_dwordx2 s[10:11], s[2:3], 0x0
	s_lshl_b32 s6, s6, 5
	s_lshl_b32 s7, s7, 5
	s_cmp_lt_i32 s17, 1
	s_cbranch_scc1 .LBB567_3
; %bb.1:
	s_load_dword s2, s[4:5], 0x18
	s_load_dword s18, s[4:5], 0x30
	s_load_dwordx2 s[20:21], s[4:5], 0x28
	v_lshl_add_u32 v2, v1, 4, v0
	v_and_b32_e32 v7, 31, v2
	s_waitcnt lgkmcnt(0)
	s_ashr_i32 s3, s2, 31
	s_ashr_i32 s19, s18, 31
	v_lshrrev_b32_e32 v6, 5, v2
	v_and_b32_e32 v5, 7, v0
	v_lshlrev_b32_e32 v8, 3, v7
	s_add_u32 s14, s14, s0
	v_lshrrev_b32_e32 v4, 3, v2
	v_lshl_or_b32 v14, v6, 8, v8
	v_lshlrev_b32_e32 v8, 3, v5
	s_addc_u32 s15, s15, s1
	v_add_u32_e32 v2, s7, v4
	v_lshl_or_b32 v4, v4, 6, v8
	s_add_u32 s0, s20, s0
	v_ashrrev_i32_e32 v3, 31, v2
	v_add_u32_e32 v15, 0x800, v4
	v_mov_b32_e32 v4, 0x800
	s_addc_u32 s1, s21, s1
	v_mad_i64_i32 v[2:3], s[20:21], s18, v5, v[2:3]
	v_lshl_add_u32 v17, v1, 6, v4
	v_add_u32_e32 v4, s6, v7
	s_load_dwordx2 s[0:1], s[0:1], 0x0
	v_ashrrev_i32_e32 v5, 31, v4
	v_mad_i64_i32 v[4:5], s[20:21], s2, v6, v[4:5]
	s_load_dwordx2 s[14:15], s[14:15], 0x0
	v_lshlrev_b64 v[2:3], 3, v[2:3]
	s_waitcnt lgkmcnt(0)
	v_mov_b32_e32 v8, s1
	v_add_co_u32_e32 v2, vcc, s0, v2
	v_lshlrev_b64 v[4:5], 3, v[4:5]
	v_addc_co_u32_e32 v3, vcc, v8, v3, vcc
	v_mov_b32_e32 v7, s15
	v_add_co_u32_e32 v6, vcc, s14, v4
	s_lshl_b64 s[0:1], s[18:19], 6
	v_addc_co_u32_e32 v7, vcc, v7, v5, vcc
	s_lshl_b64 s[2:3], s[2:3], 6
	v_mov_b32_e32 v4, 0
	v_mov_b32_e32 v8, 0
	v_mov_b32_e32 v10, 0
	v_mov_b32_e32 v12, 0
	v_lshlrev_b32_e32 v16, 3, v0
	v_mov_b32_e32 v5, 0
	v_mov_b32_e32 v18, s1
	;; [unrolled: 1-line block ×6, first 2 shown]
.LBB567_2:                              ; =>This Inner Loop Header: Depth=1
	flat_load_dwordx2 v[20:21], v[6:7]
	v_add_co_u32_e32 v6, vcc, s2, v6
	v_addc_co_u32_e32 v7, vcc, v7, v19, vcc
	s_add_i32 s9, s9, 8
	s_cmp_ge_i32 s9, s17
	s_waitcnt vmcnt(0) lgkmcnt(0)
	ds_write_b64 v14, v[20:21]
	flat_load_dwordx2 v[20:21], v[2:3]
	v_add_co_u32_e32 v2, vcc, s0, v2
	v_addc_co_u32_e32 v3, vcc, v3, v18, vcc
	s_waitcnt vmcnt(0) lgkmcnt(0)
	ds_write_b64 v15, v[20:21]
	s_waitcnt lgkmcnt(0)
	s_barrier
	ds_read2_b64 v[20:23], v16 offset1:16
	ds_read_b128 v[24:27], v17
	ds_read_b128 v[28:31], v17 offset:16
	s_waitcnt lgkmcnt(1)
	v_fma_f64 v[36:37], v[20:21], v[24:25], v[12:13]
	v_fma_f64 v[24:25], v[22:23], v[24:25], v[10:11]
	ds_read_b128 v[10:13], v17 offset:1024
	ds_read_b128 v[32:35], v17 offset:1040
	s_waitcnt lgkmcnt(1)
	v_fma_f64 v[20:21], v[20:21], v[10:11], v[8:9]
	v_fma_f64 v[4:5], v[22:23], v[10:11], v[4:5]
	ds_read2_b64 v[8:11], v16 offset0:32 offset1:48
	s_waitcnt lgkmcnt(0)
	v_fma_f64 v[22:23], v[8:9], v[26:27], v[36:37]
	v_fma_f64 v[24:25], v[10:11], v[26:27], v[24:25]
	v_fma_f64 v[20:21], v[8:9], v[12:13], v[20:21]
	v_fma_f64 v[4:5], v[10:11], v[12:13], v[4:5]
	ds_read2_b64 v[8:11], v16 offset0:64 offset1:80
	s_waitcnt lgkmcnt(0)
	v_fma_f64 v[12:13], v[8:9], v[28:29], v[22:23]
	v_fma_f64 v[22:23], v[10:11], v[28:29], v[24:25]
	;; [unrolled: 6-line block ×3, first 2 shown]
	ds_read2_b64 v[20:23], v16 offset0:128 offset1:144
	v_fma_f64 v[36:37], v[8:9], v[34:35], v[24:25]
	v_fma_f64 v[4:5], v[10:11], v[34:35], v[4:5]
	ds_read_b128 v[8:11], v17 offset:32
	ds_read_b128 v[24:27], v17 offset:48
	s_waitcnt lgkmcnt(1)
	v_fma_f64 v[12:13], v[20:21], v[8:9], v[12:13]
	v_fma_f64 v[8:9], v[22:23], v[8:9], v[28:29]
	ds_read_b128 v[28:31], v17 offset:1056
	ds_read_b128 v[32:35], v17 offset:1072
	s_waitcnt lgkmcnt(1)
	v_fma_f64 v[36:37], v[20:21], v[28:29], v[36:37]
	v_fma_f64 v[4:5], v[22:23], v[28:29], v[4:5]
	ds_read2_b64 v[20:23], v16 offset0:160 offset1:176
	s_waitcnt lgkmcnt(0)
	v_fma_f64 v[12:13], v[20:21], v[10:11], v[12:13]
	v_fma_f64 v[28:29], v[22:23], v[10:11], v[8:9]
	;; [unrolled: 1-line block ×4, first 2 shown]
	ds_read2_b64 v[8:11], v16 offset0:192 offset1:208
	s_waitcnt lgkmcnt(0)
	v_fma_f64 v[12:13], v[8:9], v[24:25], v[12:13]
	v_fma_f64 v[24:25], v[10:11], v[24:25], v[28:29]
	;; [unrolled: 1-line block ×4, first 2 shown]
	ds_read2_b64 v[20:23], v16 offset0:224 offset1:240
	s_waitcnt lgkmcnt(0)
	s_barrier
	v_fma_f64 v[12:13], v[20:21], v[26:27], v[12:13]
	v_fma_f64 v[10:11], v[22:23], v[26:27], v[24:25]
	;; [unrolled: 1-line block ×4, first 2 shown]
	s_cbranch_scc0 .LBB567_2
	s_branch .LBB567_4
.LBB567_3:
	v_mov_b32_e32 v12, 0
	v_mov_b32_e32 v10, 0
	;; [unrolled: 1-line block ×8, first 2 shown]
.LBB567_4:
	s_load_dword s8, s[4:5], 0x50
	v_add_u32_e32 v6, s7, v1
	s_waitcnt lgkmcnt(0)
	v_mov_b32_e32 v3, s11
	v_add_u32_e32 v0, s6, v0
	v_mad_i64_i32 v[1:2], s[0:1], v6, s8, 0
	v_cmp_le_i32_e64 s[0:1], v6, v0
	v_lshlrev_b64 v[1:2], 3, v[1:2]
	v_add_co_u32_e32 v7, vcc, s10, v1
	v_addc_co_u32_e32 v14, vcc, v3, v2, vcc
	v_cmp_gt_i32_e32 vcc, s16, v0
	s_and_b64 s[0:1], s[0:1], vcc
	s_and_saveexec_b64 s[2:3], s[0:1]
	s_cbranch_execz .LBB567_6
; %bb.5:
	v_mul_f64 v[2:3], s[12:13], v[12:13]
	v_ashrrev_i32_e32 v1, 31, v0
	v_lshlrev_b64 v[12:13], 3, v[0:1]
	v_add_co_u32_e64 v12, s[0:1], v7, v12
	v_addc_co_u32_e64 v13, s[0:1], v14, v13, s[0:1]
	flat_store_dwordx2 v[12:13], v[2:3]
.LBB567_6:
	s_or_b64 exec, exec, s[2:3]
	v_add_u32_e32 v2, 16, v0
	v_cmp_le_i32_e64 s[2:3], v6, v2
	v_cmp_gt_i32_e64 s[0:1], s16, v2
	s_and_b64 s[2:3], s[2:3], s[0:1]
	s_and_saveexec_b64 s[4:5], s[2:3]
	s_cbranch_execz .LBB567_8
; %bb.7:
	v_mul_f64 v[10:11], s[12:13], v[10:11]
	v_ashrrev_i32_e32 v3, 31, v2
	v_lshlrev_b64 v[12:13], 3, v[2:3]
	v_add_co_u32_e64 v12, s[2:3], v7, v12
	v_addc_co_u32_e64 v13, s[2:3], v14, v13, s[2:3]
	flat_store_dwordx2 v[12:13], v[10:11]
.LBB567_8:
	s_or_b64 exec, exec, s[4:5]
	v_add_u32_e32 v3, 16, v6
	v_mad_i64_i32 v[6:7], s[2:3], v3, s8, 0
	v_mov_b32_e32 v1, s11
	v_lshlrev_b64 v[6:7], 3, v[6:7]
	v_add_co_u32_e64 v6, s[2:3], s10, v6
	v_addc_co_u32_e64 v7, s[2:3], v1, v7, s[2:3]
	v_cmp_le_i32_e64 s[2:3], v3, v0
	s_and_b64 s[4:5], s[2:3], vcc
	s_and_saveexec_b64 s[2:3], s[4:5]
	s_cbranch_execz .LBB567_10
; %bb.9:
	v_mul_f64 v[8:9], s[12:13], v[8:9]
	v_ashrrev_i32_e32 v1, 31, v0
	v_lshlrev_b64 v[0:1], 3, v[0:1]
	v_add_co_u32_e32 v0, vcc, v6, v0
	v_addc_co_u32_e32 v1, vcc, v7, v1, vcc
	flat_store_dwordx2 v[0:1], v[8:9]
.LBB567_10:
	s_or_b64 exec, exec, s[2:3]
	v_cmp_le_i32_e32 vcc, v3, v2
	s_and_b64 s[0:1], vcc, s[0:1]
	s_and_saveexec_b64 s[2:3], s[0:1]
	s_cbranch_execz .LBB567_12
; %bb.11:
	v_mul_f64 v[0:1], s[12:13], v[4:5]
	v_ashrrev_i32_e32 v3, 31, v2
	v_lshlrev_b64 v[2:3], 3, v[2:3]
	v_add_co_u32_e32 v2, vcc, v6, v2
	v_addc_co_u32_e32 v3, vcc, v7, v3, vcc
	flat_store_dwordx2 v[2:3], v[0:1]
.LBB567_12:
	s_endpgm
	.section	.rodata,"a",@progbits
	.p2align	6, 0x0
	.amdhsa_kernel _ZL37rocblas_syrkx_herkx_restricted_kernelIidLi16ELi32ELi8ELb1ELb0ELc78ELc76EKPKdKPdEviT_T0_PT8_S5_lS8_S5_lS6_PT9_S5_li
		.amdhsa_group_segment_fixed_size 4096
		.amdhsa_private_segment_fixed_size 0
		.amdhsa_kernarg_size 100
		.amdhsa_user_sgpr_count 6
		.amdhsa_user_sgpr_private_segment_buffer 1
		.amdhsa_user_sgpr_dispatch_ptr 0
		.amdhsa_user_sgpr_queue_ptr 0
		.amdhsa_user_sgpr_kernarg_segment_ptr 1
		.amdhsa_user_sgpr_dispatch_id 0
		.amdhsa_user_sgpr_flat_scratch_init 0
		.amdhsa_user_sgpr_private_segment_size 0
		.amdhsa_uses_dynamic_stack 0
		.amdhsa_system_sgpr_private_segment_wavefront_offset 0
		.amdhsa_system_sgpr_workgroup_id_x 1
		.amdhsa_system_sgpr_workgroup_id_y 1
		.amdhsa_system_sgpr_workgroup_id_z 1
		.amdhsa_system_sgpr_workgroup_info 0
		.amdhsa_system_vgpr_workitem_id 1
		.amdhsa_next_free_vgpr 38
		.amdhsa_next_free_sgpr 22
		.amdhsa_reserve_vcc 1
		.amdhsa_reserve_flat_scratch 0
		.amdhsa_float_round_mode_32 0
		.amdhsa_float_round_mode_16_64 0
		.amdhsa_float_denorm_mode_32 3
		.amdhsa_float_denorm_mode_16_64 3
		.amdhsa_dx10_clamp 1
		.amdhsa_ieee_mode 1
		.amdhsa_fp16_overflow 0
		.amdhsa_exception_fp_ieee_invalid_op 0
		.amdhsa_exception_fp_denorm_src 0
		.amdhsa_exception_fp_ieee_div_zero 0
		.amdhsa_exception_fp_ieee_overflow 0
		.amdhsa_exception_fp_ieee_underflow 0
		.amdhsa_exception_fp_ieee_inexact 0
		.amdhsa_exception_int_div_zero 0
	.end_amdhsa_kernel
	.section	.text._ZL37rocblas_syrkx_herkx_restricted_kernelIidLi16ELi32ELi8ELb1ELb0ELc78ELc76EKPKdKPdEviT_T0_PT8_S5_lS8_S5_lS6_PT9_S5_li,"axG",@progbits,_ZL37rocblas_syrkx_herkx_restricted_kernelIidLi16ELi32ELi8ELb1ELb0ELc78ELc76EKPKdKPdEviT_T0_PT8_S5_lS8_S5_lS6_PT9_S5_li,comdat
.Lfunc_end567:
	.size	_ZL37rocblas_syrkx_herkx_restricted_kernelIidLi16ELi32ELi8ELb1ELb0ELc78ELc76EKPKdKPdEviT_T0_PT8_S5_lS8_S5_lS6_PT9_S5_li, .Lfunc_end567-_ZL37rocblas_syrkx_herkx_restricted_kernelIidLi16ELi32ELi8ELb1ELb0ELc78ELc76EKPKdKPdEviT_T0_PT8_S5_lS8_S5_lS6_PT9_S5_li
                                        ; -- End function
	.set _ZL37rocblas_syrkx_herkx_restricted_kernelIidLi16ELi32ELi8ELb1ELb0ELc78ELc76EKPKdKPdEviT_T0_PT8_S5_lS8_S5_lS6_PT9_S5_li.num_vgpr, 38
	.set _ZL37rocblas_syrkx_herkx_restricted_kernelIidLi16ELi32ELi8ELb1ELb0ELc78ELc76EKPKdKPdEviT_T0_PT8_S5_lS8_S5_lS6_PT9_S5_li.num_agpr, 0
	.set _ZL37rocblas_syrkx_herkx_restricted_kernelIidLi16ELi32ELi8ELb1ELb0ELc78ELc76EKPKdKPdEviT_T0_PT8_S5_lS8_S5_lS6_PT9_S5_li.numbered_sgpr, 22
	.set _ZL37rocblas_syrkx_herkx_restricted_kernelIidLi16ELi32ELi8ELb1ELb0ELc78ELc76EKPKdKPdEviT_T0_PT8_S5_lS8_S5_lS6_PT9_S5_li.num_named_barrier, 0
	.set _ZL37rocblas_syrkx_herkx_restricted_kernelIidLi16ELi32ELi8ELb1ELb0ELc78ELc76EKPKdKPdEviT_T0_PT8_S5_lS8_S5_lS6_PT9_S5_li.private_seg_size, 0
	.set _ZL37rocblas_syrkx_herkx_restricted_kernelIidLi16ELi32ELi8ELb1ELb0ELc78ELc76EKPKdKPdEviT_T0_PT8_S5_lS8_S5_lS6_PT9_S5_li.uses_vcc, 1
	.set _ZL37rocblas_syrkx_herkx_restricted_kernelIidLi16ELi32ELi8ELb1ELb0ELc78ELc76EKPKdKPdEviT_T0_PT8_S5_lS8_S5_lS6_PT9_S5_li.uses_flat_scratch, 0
	.set _ZL37rocblas_syrkx_herkx_restricted_kernelIidLi16ELi32ELi8ELb1ELb0ELc78ELc76EKPKdKPdEviT_T0_PT8_S5_lS8_S5_lS6_PT9_S5_li.has_dyn_sized_stack, 0
	.set _ZL37rocblas_syrkx_herkx_restricted_kernelIidLi16ELi32ELi8ELb1ELb0ELc78ELc76EKPKdKPdEviT_T0_PT8_S5_lS8_S5_lS6_PT9_S5_li.has_recursion, 0
	.set _ZL37rocblas_syrkx_herkx_restricted_kernelIidLi16ELi32ELi8ELb1ELb0ELc78ELc76EKPKdKPdEviT_T0_PT8_S5_lS8_S5_lS6_PT9_S5_li.has_indirect_call, 0
	.section	.AMDGPU.csdata,"",@progbits
; Kernel info:
; codeLenInByte = 1232
; TotalNumSgprs: 26
; NumVgprs: 38
; ScratchSize: 0
; MemoryBound: 0
; FloatMode: 240
; IeeeMode: 1
; LDSByteSize: 4096 bytes/workgroup (compile time only)
; SGPRBlocks: 3
; VGPRBlocks: 9
; NumSGPRsForWavesPerEU: 26
; NumVGPRsForWavesPerEU: 38
; Occupancy: 6
; WaveLimiterHint : 1
; COMPUTE_PGM_RSRC2:SCRATCH_EN: 0
; COMPUTE_PGM_RSRC2:USER_SGPR: 6
; COMPUTE_PGM_RSRC2:TRAP_HANDLER: 0
; COMPUTE_PGM_RSRC2:TGID_X_EN: 1
; COMPUTE_PGM_RSRC2:TGID_Y_EN: 1
; COMPUTE_PGM_RSRC2:TGID_Z_EN: 1
; COMPUTE_PGM_RSRC2:TIDIG_COMP_CNT: 1
	.section	.text._ZL37rocblas_syrkx_herkx_restricted_kernelIidLi16ELi32ELi8ELb1ELb0ELc84ELc85EKPKdKPdEviT_T0_PT8_S5_lS8_S5_lS6_PT9_S5_li,"axG",@progbits,_ZL37rocblas_syrkx_herkx_restricted_kernelIidLi16ELi32ELi8ELb1ELb0ELc84ELc85EKPKdKPdEviT_T0_PT8_S5_lS8_S5_lS6_PT9_S5_li,comdat
	.globl	_ZL37rocblas_syrkx_herkx_restricted_kernelIidLi16ELi32ELi8ELb1ELb0ELc84ELc85EKPKdKPdEviT_T0_PT8_S5_lS8_S5_lS6_PT9_S5_li ; -- Begin function _ZL37rocblas_syrkx_herkx_restricted_kernelIidLi16ELi32ELi8ELb1ELb0ELc84ELc85EKPKdKPdEviT_T0_PT8_S5_lS8_S5_lS6_PT9_S5_li
	.p2align	8
	.type	_ZL37rocblas_syrkx_herkx_restricted_kernelIidLi16ELi32ELi8ELb1ELb0ELc84ELc85EKPKdKPdEviT_T0_PT8_S5_lS8_S5_lS6_PT9_S5_li,@function
_ZL37rocblas_syrkx_herkx_restricted_kernelIidLi16ELi32ELi8ELb1ELb0ELc84ELc85EKPKdKPdEviT_T0_PT8_S5_lS8_S5_lS6_PT9_S5_li: ; @_ZL37rocblas_syrkx_herkx_restricted_kernelIidLi16ELi32ELi8ELb1ELb0ELc84ELc85EKPKdKPdEviT_T0_PT8_S5_lS8_S5_lS6_PT9_S5_li
; %bb.0:
	s_load_dwordx2 s[10:11], s[4:5], 0x48
	s_load_dwordx2 s[2:3], s[4:5], 0x0
	s_load_dwordx4 s[12:15], s[4:5], 0x8
	s_mov_b32 s9, 0
	s_lshl_b64 s[0:1], s[8:9], 3
	s_waitcnt lgkmcnt(0)
	s_add_u32 s10, s10, s0
	s_addc_u32 s11, s11, s1
	s_load_dwordx2 s[10:11], s[10:11], 0x0
	s_lshl_b32 s6, s6, 5
	s_lshl_b32 s7, s7, 5
	s_cmp_lt_i32 s3, 1
	s_cbranch_scc1 .LBB568_3
; %bb.1:
	s_load_dword s8, s[4:5], 0x18
	s_load_dwordx2 s[16:17], s[4:5], 0x28
	s_load_dword s18, s[4:5], 0x30
	s_add_u32 s14, s14, s0
	v_lshl_add_u32 v3, v1, 4, v0
	s_addc_u32 s15, s15, s1
	v_lshrrev_b32_e32 v6, 3, v3
	v_and_b32_e32 v7, 31, v3
	s_waitcnt lgkmcnt(0)
	s_add_u32 s0, s16, s0
	v_lshrrev_b32_e32 v2, 5, v3
	v_and_b32_e32 v4, 7, v0
	v_add_u32_e32 v8, s7, v6
	v_mov_b32_e32 v5, 0
	v_lshlrev_b32_e32 v9, 3, v7
	s_addc_u32 s1, s17, s1
	v_mov_b32_e32 v3, v5
	v_lshl_or_b32 v14, v2, 8, v9
	v_lshlrev_b32_e32 v9, 3, v4
	v_mad_i64_i32 v[4:5], s[16:17], s18, v8, v[4:5]
	s_load_dwordx2 s[0:1], s[0:1], 0x0
	v_lshl_or_b32 v6, v6, 6, v9
	v_add_u32_e32 v15, 0x800, v6
	v_add_u32_e32 v6, s6, v7
	v_mad_i64_i32 v[6:7], s[16:17], s8, v6, v[2:3]
	s_load_dwordx2 s[14:15], s[14:15], 0x0
	v_lshlrev_b64 v[4:5], 3, v[4:5]
	s_waitcnt lgkmcnt(0)
	v_mov_b32_e32 v8, s1
	v_add_co_u32_e32 v2, vcc, s0, v4
	v_addc_co_u32_e32 v3, vcc, v8, v5, vcc
	v_lshlrev_b64 v[4:5], 3, v[6:7]
	v_mov_b32_e32 v7, s15
	v_add_co_u32_e32 v6, vcc, s14, v4
	v_mov_b32_e32 v17, 0x800
	v_addc_co_u32_e32 v7, vcc, v7, v5, vcc
	v_mov_b32_e32 v4, 0
	v_mov_b32_e32 v8, 0
	v_mov_b32_e32 v10, 0
	v_mov_b32_e32 v12, 0
	v_lshlrev_b32_e32 v16, 3, v0
	v_mov_b32_e32 v5, 0
	v_mov_b32_e32 v9, 0
	;; [unrolled: 1-line block ×4, first 2 shown]
	v_lshl_add_u32 v17, v1, 6, v17
.LBB568_2:                              ; =>This Inner Loop Header: Depth=1
	flat_load_dwordx2 v[18:19], v[6:7]
	v_add_co_u32_e32 v6, vcc, 64, v6
	v_addc_co_u32_e32 v7, vcc, 0, v7, vcc
	s_add_i32 s9, s9, 8
	s_cmp_ge_i32 s9, s3
	s_waitcnt vmcnt(0) lgkmcnt(0)
	ds_write_b64 v14, v[18:19]
	flat_load_dwordx2 v[18:19], v[2:3]
	v_add_co_u32_e32 v2, vcc, 64, v2
	v_addc_co_u32_e32 v3, vcc, 0, v3, vcc
	s_waitcnt vmcnt(0) lgkmcnt(0)
	ds_write_b64 v15, v[18:19]
	s_waitcnt lgkmcnt(0)
	s_barrier
	ds_read2_b64 v[18:21], v16 offset1:16
	ds_read_b128 v[22:25], v17
	ds_read_b128 v[26:29], v17 offset:1024
	ds_read_b128 v[30:33], v17 offset:16
	s_waitcnt lgkmcnt(2)
	v_fma_f64 v[34:35], v[18:19], v[22:23], v[12:13]
	v_fma_f64 v[22:23], v[20:21], v[22:23], v[10:11]
	s_waitcnt lgkmcnt(1)
	v_fma_f64 v[8:9], v[18:19], v[26:27], v[8:9]
	v_fma_f64 v[4:5], v[20:21], v[26:27], v[4:5]
	ds_read2_b64 v[18:21], v16 offset0:32 offset1:48
	ds_read_b128 v[10:13], v17 offset:1040
	s_waitcnt lgkmcnt(1)
	v_fma_f64 v[26:27], v[18:19], v[24:25], v[34:35]
	v_fma_f64 v[34:35], v[20:21], v[24:25], v[22:23]
	;; [unrolled: 1-line block ×4, first 2 shown]
	ds_read2_b64 v[18:21], v16 offset0:64 offset1:80
	ds_read2_b64 v[22:25], v16 offset0:96 offset1:112
	s_waitcnt lgkmcnt(1)
	v_fma_f64 v[26:27], v[18:19], v[30:31], v[26:27]
	v_fma_f64 v[28:29], v[20:21], v[30:31], v[34:35]
	;; [unrolled: 1-line block ×4, first 2 shown]
	ds_read2_b64 v[8:11], v16 offset0:128 offset1:144
	ds_read_b128 v[18:21], v17 offset:32
	s_waitcnt lgkmcnt(2)
	v_fma_f64 v[34:35], v[22:23], v[32:33], v[26:27]
	v_fma_f64 v[32:33], v[24:25], v[32:33], v[28:29]
	;; [unrolled: 1-line block ×4, first 2 shown]
	ds_read_b128 v[22:25], v17 offset:1056
	ds_read_b128 v[26:29], v17 offset:48
	s_waitcnt lgkmcnt(2)
	v_fma_f64 v[12:13], v[8:9], v[18:19], v[34:35]
	v_fma_f64 v[18:19], v[10:11], v[18:19], v[32:33]
	s_waitcnt lgkmcnt(1)
	v_fma_f64 v[34:35], v[8:9], v[22:23], v[36:37]
	v_fma_f64 v[4:5], v[10:11], v[22:23], v[4:5]
	ds_read2_b64 v[8:11], v16 offset0:160 offset1:176
	ds_read_b128 v[30:33], v17 offset:1072
	s_waitcnt lgkmcnt(1)
	v_fma_f64 v[12:13], v[8:9], v[20:21], v[12:13]
	v_fma_f64 v[18:19], v[10:11], v[20:21], v[18:19]
	;; [unrolled: 1-line block ×4, first 2 shown]
	ds_read2_b64 v[8:11], v16 offset0:192 offset1:208
	s_waitcnt lgkmcnt(0)
	v_fma_f64 v[12:13], v[8:9], v[26:27], v[12:13]
	v_fma_f64 v[22:23], v[10:11], v[26:27], v[18:19]
	;; [unrolled: 1-line block ×4, first 2 shown]
	ds_read2_b64 v[18:21], v16 offset0:224 offset1:240
	s_waitcnt lgkmcnt(0)
	s_barrier
	v_fma_f64 v[12:13], v[18:19], v[28:29], v[12:13]
	v_fma_f64 v[10:11], v[20:21], v[28:29], v[22:23]
	;; [unrolled: 1-line block ×4, first 2 shown]
	s_cbranch_scc0 .LBB568_2
	s_branch .LBB568_4
.LBB568_3:
	v_mov_b32_e32 v12, 0
	v_mov_b32_e32 v10, 0
	;; [unrolled: 1-line block ×8, first 2 shown]
.LBB568_4:
	s_load_dword s3, s[4:5], 0x50
	v_add_u32_e32 v6, s7, v1
	s_waitcnt lgkmcnt(0)
	v_mov_b32_e32 v3, s11
	v_add_u32_e32 v0, s6, v0
	v_cmp_gt_i32_e32 vcc, s2, v6
	v_mad_i64_i32 v[1:2], s[0:1], v6, s3, 0
	v_lshlrev_b64 v[1:2], 3, v[1:2]
	v_add_co_u32_e64 v7, s[0:1], s10, v1
	v_addc_co_u32_e64 v14, s[0:1], v3, v2, s[0:1]
	v_cmp_le_i32_e64 s[0:1], v0, v6
	s_and_b64 s[0:1], vcc, s[0:1]
	s_and_saveexec_b64 s[4:5], s[0:1]
	s_cbranch_execz .LBB568_6
; %bb.5:
	v_mul_f64 v[2:3], s[12:13], v[12:13]
	v_ashrrev_i32_e32 v1, 31, v0
	v_lshlrev_b64 v[12:13], 3, v[0:1]
	v_add_co_u32_e64 v12, s[0:1], v7, v12
	v_addc_co_u32_e64 v13, s[0:1], v14, v13, s[0:1]
	flat_store_dwordx2 v[12:13], v[2:3]
.LBB568_6:
	s_or_b64 exec, exec, s[4:5]
	v_add_u32_e32 v2, 16, v0
	v_cmp_le_i32_e64 s[0:1], v2, v6
	s_and_b64 s[4:5], vcc, s[0:1]
	s_and_saveexec_b64 s[0:1], s[4:5]
	s_cbranch_execz .LBB568_8
; %bb.7:
	v_mul_f64 v[10:11], s[12:13], v[10:11]
	v_ashrrev_i32_e32 v3, 31, v2
	v_lshlrev_b64 v[12:13], 3, v[2:3]
	v_add_co_u32_e32 v12, vcc, v7, v12
	v_addc_co_u32_e32 v13, vcc, v14, v13, vcc
	flat_store_dwordx2 v[12:13], v[10:11]
.LBB568_8:
	s_or_b64 exec, exec, s[0:1]
	v_add_u32_e32 v3, 16, v6
	v_mad_i64_i32 v[6:7], s[0:1], v3, s3, 0
	v_mov_b32_e32 v1, s11
	v_cmp_gt_i32_e32 vcc, s2, v3
	v_lshlrev_b64 v[6:7], 3, v[6:7]
	v_add_co_u32_e64 v6, s[0:1], s10, v6
	v_addc_co_u32_e64 v7, s[0:1], v1, v7, s[0:1]
	v_cmp_le_i32_e64 s[0:1], v0, v3
	s_and_b64 s[0:1], vcc, s[0:1]
	s_and_saveexec_b64 s[2:3], s[0:1]
	s_cbranch_execz .LBB568_10
; %bb.9:
	v_mul_f64 v[8:9], s[12:13], v[8:9]
	v_ashrrev_i32_e32 v1, 31, v0
	v_lshlrev_b64 v[0:1], 3, v[0:1]
	v_add_co_u32_e64 v0, s[0:1], v6, v0
	v_addc_co_u32_e64 v1, s[0:1], v7, v1, s[0:1]
	flat_store_dwordx2 v[0:1], v[8:9]
.LBB568_10:
	s_or_b64 exec, exec, s[2:3]
	v_cmp_le_i32_e64 s[0:1], v2, v3
	s_and_b64 s[0:1], vcc, s[0:1]
	s_and_saveexec_b64 s[2:3], s[0:1]
	s_cbranch_execz .LBB568_12
; %bb.11:
	v_mul_f64 v[0:1], s[12:13], v[4:5]
	v_ashrrev_i32_e32 v3, 31, v2
	v_lshlrev_b64 v[2:3], 3, v[2:3]
	v_add_co_u32_e32 v2, vcc, v6, v2
	v_addc_co_u32_e32 v3, vcc, v7, v3, vcc
	flat_store_dwordx2 v[2:3], v[0:1]
.LBB568_12:
	s_endpgm
	.section	.rodata,"a",@progbits
	.p2align	6, 0x0
	.amdhsa_kernel _ZL37rocblas_syrkx_herkx_restricted_kernelIidLi16ELi32ELi8ELb1ELb0ELc84ELc85EKPKdKPdEviT_T0_PT8_S5_lS8_S5_lS6_PT9_S5_li
		.amdhsa_group_segment_fixed_size 4096
		.amdhsa_private_segment_fixed_size 0
		.amdhsa_kernarg_size 100
		.amdhsa_user_sgpr_count 6
		.amdhsa_user_sgpr_private_segment_buffer 1
		.amdhsa_user_sgpr_dispatch_ptr 0
		.amdhsa_user_sgpr_queue_ptr 0
		.amdhsa_user_sgpr_kernarg_segment_ptr 1
		.amdhsa_user_sgpr_dispatch_id 0
		.amdhsa_user_sgpr_flat_scratch_init 0
		.amdhsa_user_sgpr_private_segment_size 0
		.amdhsa_uses_dynamic_stack 0
		.amdhsa_system_sgpr_private_segment_wavefront_offset 0
		.amdhsa_system_sgpr_workgroup_id_x 1
		.amdhsa_system_sgpr_workgroup_id_y 1
		.amdhsa_system_sgpr_workgroup_id_z 1
		.amdhsa_system_sgpr_workgroup_info 0
		.amdhsa_system_vgpr_workitem_id 1
		.amdhsa_next_free_vgpr 38
		.amdhsa_next_free_sgpr 19
		.amdhsa_reserve_vcc 1
		.amdhsa_reserve_flat_scratch 0
		.amdhsa_float_round_mode_32 0
		.amdhsa_float_round_mode_16_64 0
		.amdhsa_float_denorm_mode_32 3
		.amdhsa_float_denorm_mode_16_64 3
		.amdhsa_dx10_clamp 1
		.amdhsa_ieee_mode 1
		.amdhsa_fp16_overflow 0
		.amdhsa_exception_fp_ieee_invalid_op 0
		.amdhsa_exception_fp_denorm_src 0
		.amdhsa_exception_fp_ieee_div_zero 0
		.amdhsa_exception_fp_ieee_overflow 0
		.amdhsa_exception_fp_ieee_underflow 0
		.amdhsa_exception_fp_ieee_inexact 0
		.amdhsa_exception_int_div_zero 0
	.end_amdhsa_kernel
	.section	.text._ZL37rocblas_syrkx_herkx_restricted_kernelIidLi16ELi32ELi8ELb1ELb0ELc84ELc85EKPKdKPdEviT_T0_PT8_S5_lS8_S5_lS6_PT9_S5_li,"axG",@progbits,_ZL37rocblas_syrkx_herkx_restricted_kernelIidLi16ELi32ELi8ELb1ELb0ELc84ELc85EKPKdKPdEviT_T0_PT8_S5_lS8_S5_lS6_PT9_S5_li,comdat
.Lfunc_end568:
	.size	_ZL37rocblas_syrkx_herkx_restricted_kernelIidLi16ELi32ELi8ELb1ELb0ELc84ELc85EKPKdKPdEviT_T0_PT8_S5_lS8_S5_lS6_PT9_S5_li, .Lfunc_end568-_ZL37rocblas_syrkx_herkx_restricted_kernelIidLi16ELi32ELi8ELb1ELb0ELc84ELc85EKPKdKPdEviT_T0_PT8_S5_lS8_S5_lS6_PT9_S5_li
                                        ; -- End function
	.set _ZL37rocblas_syrkx_herkx_restricted_kernelIidLi16ELi32ELi8ELb1ELb0ELc84ELc85EKPKdKPdEviT_T0_PT8_S5_lS8_S5_lS6_PT9_S5_li.num_vgpr, 38
	.set _ZL37rocblas_syrkx_herkx_restricted_kernelIidLi16ELi32ELi8ELb1ELb0ELc84ELc85EKPKdKPdEviT_T0_PT8_S5_lS8_S5_lS6_PT9_S5_li.num_agpr, 0
	.set _ZL37rocblas_syrkx_herkx_restricted_kernelIidLi16ELi32ELi8ELb1ELb0ELc84ELc85EKPKdKPdEviT_T0_PT8_S5_lS8_S5_lS6_PT9_S5_li.numbered_sgpr, 19
	.set _ZL37rocblas_syrkx_herkx_restricted_kernelIidLi16ELi32ELi8ELb1ELb0ELc84ELc85EKPKdKPdEviT_T0_PT8_S5_lS8_S5_lS6_PT9_S5_li.num_named_barrier, 0
	.set _ZL37rocblas_syrkx_herkx_restricted_kernelIidLi16ELi32ELi8ELb1ELb0ELc84ELc85EKPKdKPdEviT_T0_PT8_S5_lS8_S5_lS6_PT9_S5_li.private_seg_size, 0
	.set _ZL37rocblas_syrkx_herkx_restricted_kernelIidLi16ELi32ELi8ELb1ELb0ELc84ELc85EKPKdKPdEviT_T0_PT8_S5_lS8_S5_lS6_PT9_S5_li.uses_vcc, 1
	.set _ZL37rocblas_syrkx_herkx_restricted_kernelIidLi16ELi32ELi8ELb1ELb0ELc84ELc85EKPKdKPdEviT_T0_PT8_S5_lS8_S5_lS6_PT9_S5_li.uses_flat_scratch, 0
	.set _ZL37rocblas_syrkx_herkx_restricted_kernelIidLi16ELi32ELi8ELb1ELb0ELc84ELc85EKPKdKPdEviT_T0_PT8_S5_lS8_S5_lS6_PT9_S5_li.has_dyn_sized_stack, 0
	.set _ZL37rocblas_syrkx_herkx_restricted_kernelIidLi16ELi32ELi8ELb1ELb0ELc84ELc85EKPKdKPdEviT_T0_PT8_S5_lS8_S5_lS6_PT9_S5_li.has_recursion, 0
	.set _ZL37rocblas_syrkx_herkx_restricted_kernelIidLi16ELi32ELi8ELb1ELb0ELc84ELc85EKPKdKPdEviT_T0_PT8_S5_lS8_S5_lS6_PT9_S5_li.has_indirect_call, 0
	.section	.AMDGPU.csdata,"",@progbits
; Kernel info:
; codeLenInByte = 1216
; TotalNumSgprs: 23
; NumVgprs: 38
; ScratchSize: 0
; MemoryBound: 0
; FloatMode: 240
; IeeeMode: 1
; LDSByteSize: 4096 bytes/workgroup (compile time only)
; SGPRBlocks: 2
; VGPRBlocks: 9
; NumSGPRsForWavesPerEU: 23
; NumVGPRsForWavesPerEU: 38
; Occupancy: 6
; WaveLimiterHint : 1
; COMPUTE_PGM_RSRC2:SCRATCH_EN: 0
; COMPUTE_PGM_RSRC2:USER_SGPR: 6
; COMPUTE_PGM_RSRC2:TRAP_HANDLER: 0
; COMPUTE_PGM_RSRC2:TGID_X_EN: 1
; COMPUTE_PGM_RSRC2:TGID_Y_EN: 1
; COMPUTE_PGM_RSRC2:TGID_Z_EN: 1
; COMPUTE_PGM_RSRC2:TIDIG_COMP_CNT: 1
	.section	.text._ZL37rocblas_syrkx_herkx_restricted_kernelIidLi16ELi32ELi8ELb1ELb0ELc67ELc85EKPKdKPdEviT_T0_PT8_S5_lS8_S5_lS6_PT9_S5_li,"axG",@progbits,_ZL37rocblas_syrkx_herkx_restricted_kernelIidLi16ELi32ELi8ELb1ELb0ELc67ELc85EKPKdKPdEviT_T0_PT8_S5_lS8_S5_lS6_PT9_S5_li,comdat
	.globl	_ZL37rocblas_syrkx_herkx_restricted_kernelIidLi16ELi32ELi8ELb1ELb0ELc67ELc85EKPKdKPdEviT_T0_PT8_S5_lS8_S5_lS6_PT9_S5_li ; -- Begin function _ZL37rocblas_syrkx_herkx_restricted_kernelIidLi16ELi32ELi8ELb1ELb0ELc67ELc85EKPKdKPdEviT_T0_PT8_S5_lS8_S5_lS6_PT9_S5_li
	.p2align	8
	.type	_ZL37rocblas_syrkx_herkx_restricted_kernelIidLi16ELi32ELi8ELb1ELb0ELc67ELc85EKPKdKPdEviT_T0_PT8_S5_lS8_S5_lS6_PT9_S5_li,@function
_ZL37rocblas_syrkx_herkx_restricted_kernelIidLi16ELi32ELi8ELb1ELb0ELc67ELc85EKPKdKPdEviT_T0_PT8_S5_lS8_S5_lS6_PT9_S5_li: ; @_ZL37rocblas_syrkx_herkx_restricted_kernelIidLi16ELi32ELi8ELb1ELb0ELc67ELc85EKPKdKPdEviT_T0_PT8_S5_lS8_S5_lS6_PT9_S5_li
; %bb.0:
	s_load_dwordx2 s[10:11], s[4:5], 0x48
	s_load_dwordx2 s[2:3], s[4:5], 0x0
	s_load_dwordx4 s[12:15], s[4:5], 0x8
	s_mov_b32 s9, 0
	s_lshl_b64 s[0:1], s[8:9], 3
	s_waitcnt lgkmcnt(0)
	s_add_u32 s10, s10, s0
	s_addc_u32 s11, s11, s1
	s_load_dwordx2 s[10:11], s[10:11], 0x0
	s_lshl_b32 s6, s6, 5
	s_lshl_b32 s7, s7, 5
	s_cmp_lt_i32 s3, 1
	s_cbranch_scc1 .LBB569_3
; %bb.1:
	s_load_dword s8, s[4:5], 0x18
	s_load_dwordx2 s[16:17], s[4:5], 0x28
	s_load_dword s18, s[4:5], 0x30
	s_add_u32 s14, s14, s0
	v_lshl_add_u32 v3, v1, 4, v0
	s_addc_u32 s15, s15, s1
	v_lshrrev_b32_e32 v6, 3, v3
	v_and_b32_e32 v7, 31, v3
	s_waitcnt lgkmcnt(0)
	s_add_u32 s0, s16, s0
	v_lshrrev_b32_e32 v2, 5, v3
	v_and_b32_e32 v4, 7, v0
	v_add_u32_e32 v8, s7, v6
	v_mov_b32_e32 v5, 0
	v_lshlrev_b32_e32 v9, 3, v7
	s_addc_u32 s1, s17, s1
	v_mov_b32_e32 v3, v5
	v_lshl_or_b32 v14, v2, 8, v9
	v_lshlrev_b32_e32 v9, 3, v4
	v_mad_i64_i32 v[4:5], s[16:17], s18, v8, v[4:5]
	s_load_dwordx2 s[0:1], s[0:1], 0x0
	v_lshl_or_b32 v6, v6, 6, v9
	v_add_u32_e32 v15, 0x800, v6
	v_add_u32_e32 v6, s6, v7
	v_mad_i64_i32 v[6:7], s[16:17], s8, v6, v[2:3]
	s_load_dwordx2 s[14:15], s[14:15], 0x0
	v_lshlrev_b64 v[4:5], 3, v[4:5]
	s_waitcnt lgkmcnt(0)
	v_mov_b32_e32 v8, s1
	v_add_co_u32_e32 v2, vcc, s0, v4
	v_addc_co_u32_e32 v3, vcc, v8, v5, vcc
	v_lshlrev_b64 v[4:5], 3, v[6:7]
	v_mov_b32_e32 v7, s15
	v_add_co_u32_e32 v6, vcc, s14, v4
	v_mov_b32_e32 v17, 0x800
	v_addc_co_u32_e32 v7, vcc, v7, v5, vcc
	v_mov_b32_e32 v4, 0
	v_mov_b32_e32 v8, 0
	;; [unrolled: 1-line block ×4, first 2 shown]
	v_lshlrev_b32_e32 v16, 3, v0
	v_mov_b32_e32 v5, 0
	v_mov_b32_e32 v9, 0
	;; [unrolled: 1-line block ×4, first 2 shown]
	v_lshl_add_u32 v17, v1, 6, v17
.LBB569_2:                              ; =>This Inner Loop Header: Depth=1
	flat_load_dwordx2 v[18:19], v[6:7]
	v_add_co_u32_e32 v6, vcc, 64, v6
	v_addc_co_u32_e32 v7, vcc, 0, v7, vcc
	s_add_i32 s9, s9, 8
	s_cmp_ge_i32 s9, s3
	s_waitcnt vmcnt(0) lgkmcnt(0)
	ds_write_b64 v14, v[18:19]
	flat_load_dwordx2 v[18:19], v[2:3]
	v_add_co_u32_e32 v2, vcc, 64, v2
	v_addc_co_u32_e32 v3, vcc, 0, v3, vcc
	s_waitcnt vmcnt(0) lgkmcnt(0)
	ds_write_b64 v15, v[18:19]
	s_waitcnt lgkmcnt(0)
	s_barrier
	ds_read2_b64 v[18:21], v16 offset1:16
	ds_read_b128 v[22:25], v17
	ds_read_b128 v[26:29], v17 offset:1024
	ds_read_b128 v[30:33], v17 offset:16
	s_waitcnt lgkmcnt(2)
	v_fma_f64 v[34:35], v[18:19], v[22:23], v[12:13]
	v_fma_f64 v[22:23], v[20:21], v[22:23], v[10:11]
	s_waitcnt lgkmcnt(1)
	v_fma_f64 v[8:9], v[18:19], v[26:27], v[8:9]
	v_fma_f64 v[4:5], v[20:21], v[26:27], v[4:5]
	ds_read2_b64 v[18:21], v16 offset0:32 offset1:48
	ds_read_b128 v[10:13], v17 offset:1040
	s_waitcnt lgkmcnt(1)
	v_fma_f64 v[26:27], v[18:19], v[24:25], v[34:35]
	v_fma_f64 v[34:35], v[20:21], v[24:25], v[22:23]
	;; [unrolled: 1-line block ×4, first 2 shown]
	ds_read2_b64 v[18:21], v16 offset0:64 offset1:80
	ds_read2_b64 v[22:25], v16 offset0:96 offset1:112
	s_waitcnt lgkmcnt(1)
	v_fma_f64 v[26:27], v[18:19], v[30:31], v[26:27]
	v_fma_f64 v[28:29], v[20:21], v[30:31], v[34:35]
	;; [unrolled: 1-line block ×4, first 2 shown]
	ds_read2_b64 v[8:11], v16 offset0:128 offset1:144
	ds_read_b128 v[18:21], v17 offset:32
	s_waitcnt lgkmcnt(2)
	v_fma_f64 v[34:35], v[22:23], v[32:33], v[26:27]
	v_fma_f64 v[32:33], v[24:25], v[32:33], v[28:29]
	;; [unrolled: 1-line block ×4, first 2 shown]
	ds_read_b128 v[22:25], v17 offset:1056
	ds_read_b128 v[26:29], v17 offset:48
	s_waitcnt lgkmcnt(2)
	v_fma_f64 v[12:13], v[8:9], v[18:19], v[34:35]
	v_fma_f64 v[18:19], v[10:11], v[18:19], v[32:33]
	s_waitcnt lgkmcnt(1)
	v_fma_f64 v[34:35], v[8:9], v[22:23], v[36:37]
	v_fma_f64 v[4:5], v[10:11], v[22:23], v[4:5]
	ds_read2_b64 v[8:11], v16 offset0:160 offset1:176
	ds_read_b128 v[30:33], v17 offset:1072
	s_waitcnt lgkmcnt(1)
	v_fma_f64 v[12:13], v[8:9], v[20:21], v[12:13]
	v_fma_f64 v[18:19], v[10:11], v[20:21], v[18:19]
	;; [unrolled: 1-line block ×4, first 2 shown]
	ds_read2_b64 v[8:11], v16 offset0:192 offset1:208
	s_waitcnt lgkmcnt(0)
	v_fma_f64 v[12:13], v[8:9], v[26:27], v[12:13]
	v_fma_f64 v[22:23], v[10:11], v[26:27], v[18:19]
	v_fma_f64 v[8:9], v[8:9], v[30:31], v[20:21]
	v_fma_f64 v[4:5], v[10:11], v[30:31], v[4:5]
	ds_read2_b64 v[18:21], v16 offset0:224 offset1:240
	s_waitcnt lgkmcnt(0)
	s_barrier
	v_fma_f64 v[12:13], v[18:19], v[28:29], v[12:13]
	v_fma_f64 v[10:11], v[20:21], v[28:29], v[22:23]
	;; [unrolled: 1-line block ×4, first 2 shown]
	s_cbranch_scc0 .LBB569_2
	s_branch .LBB569_4
.LBB569_3:
	v_mov_b32_e32 v12, 0
	v_mov_b32_e32 v10, 0
	;; [unrolled: 1-line block ×8, first 2 shown]
.LBB569_4:
	s_load_dword s3, s[4:5], 0x50
	v_add_u32_e32 v6, s7, v1
	s_waitcnt lgkmcnt(0)
	v_mov_b32_e32 v3, s11
	v_add_u32_e32 v0, s6, v0
	v_cmp_gt_i32_e32 vcc, s2, v6
	v_mad_i64_i32 v[1:2], s[0:1], v6, s3, 0
	v_lshlrev_b64 v[1:2], 3, v[1:2]
	v_add_co_u32_e64 v7, s[0:1], s10, v1
	v_addc_co_u32_e64 v14, s[0:1], v3, v2, s[0:1]
	v_cmp_le_i32_e64 s[0:1], v0, v6
	s_and_b64 s[0:1], vcc, s[0:1]
	s_and_saveexec_b64 s[4:5], s[0:1]
	s_cbranch_execz .LBB569_6
; %bb.5:
	v_mul_f64 v[2:3], s[12:13], v[12:13]
	v_ashrrev_i32_e32 v1, 31, v0
	v_lshlrev_b64 v[12:13], 3, v[0:1]
	v_add_co_u32_e64 v12, s[0:1], v7, v12
	v_addc_co_u32_e64 v13, s[0:1], v14, v13, s[0:1]
	flat_store_dwordx2 v[12:13], v[2:3]
.LBB569_6:
	s_or_b64 exec, exec, s[4:5]
	v_add_u32_e32 v2, 16, v0
	v_cmp_le_i32_e64 s[0:1], v2, v6
	s_and_b64 s[4:5], vcc, s[0:1]
	s_and_saveexec_b64 s[0:1], s[4:5]
	s_cbranch_execz .LBB569_8
; %bb.7:
	v_mul_f64 v[10:11], s[12:13], v[10:11]
	v_ashrrev_i32_e32 v3, 31, v2
	v_lshlrev_b64 v[12:13], 3, v[2:3]
	v_add_co_u32_e32 v12, vcc, v7, v12
	v_addc_co_u32_e32 v13, vcc, v14, v13, vcc
	flat_store_dwordx2 v[12:13], v[10:11]
.LBB569_8:
	s_or_b64 exec, exec, s[0:1]
	v_add_u32_e32 v3, 16, v6
	v_mad_i64_i32 v[6:7], s[0:1], v3, s3, 0
	v_mov_b32_e32 v1, s11
	v_cmp_gt_i32_e32 vcc, s2, v3
	v_lshlrev_b64 v[6:7], 3, v[6:7]
	v_add_co_u32_e64 v6, s[0:1], s10, v6
	v_addc_co_u32_e64 v7, s[0:1], v1, v7, s[0:1]
	v_cmp_le_i32_e64 s[0:1], v0, v3
	s_and_b64 s[0:1], vcc, s[0:1]
	s_and_saveexec_b64 s[2:3], s[0:1]
	s_cbranch_execz .LBB569_10
; %bb.9:
	v_mul_f64 v[8:9], s[12:13], v[8:9]
	v_ashrrev_i32_e32 v1, 31, v0
	v_lshlrev_b64 v[0:1], 3, v[0:1]
	v_add_co_u32_e64 v0, s[0:1], v6, v0
	v_addc_co_u32_e64 v1, s[0:1], v7, v1, s[0:1]
	flat_store_dwordx2 v[0:1], v[8:9]
.LBB569_10:
	s_or_b64 exec, exec, s[2:3]
	v_cmp_le_i32_e64 s[0:1], v2, v3
	s_and_b64 s[0:1], vcc, s[0:1]
	s_and_saveexec_b64 s[2:3], s[0:1]
	s_cbranch_execz .LBB569_12
; %bb.11:
	v_mul_f64 v[0:1], s[12:13], v[4:5]
	v_ashrrev_i32_e32 v3, 31, v2
	v_lshlrev_b64 v[2:3], 3, v[2:3]
	v_add_co_u32_e32 v2, vcc, v6, v2
	v_addc_co_u32_e32 v3, vcc, v7, v3, vcc
	flat_store_dwordx2 v[2:3], v[0:1]
.LBB569_12:
	s_endpgm
	.section	.rodata,"a",@progbits
	.p2align	6, 0x0
	.amdhsa_kernel _ZL37rocblas_syrkx_herkx_restricted_kernelIidLi16ELi32ELi8ELb1ELb0ELc67ELc85EKPKdKPdEviT_T0_PT8_S5_lS8_S5_lS6_PT9_S5_li
		.amdhsa_group_segment_fixed_size 4096
		.amdhsa_private_segment_fixed_size 0
		.amdhsa_kernarg_size 100
		.amdhsa_user_sgpr_count 6
		.amdhsa_user_sgpr_private_segment_buffer 1
		.amdhsa_user_sgpr_dispatch_ptr 0
		.amdhsa_user_sgpr_queue_ptr 0
		.amdhsa_user_sgpr_kernarg_segment_ptr 1
		.amdhsa_user_sgpr_dispatch_id 0
		.amdhsa_user_sgpr_flat_scratch_init 0
		.amdhsa_user_sgpr_private_segment_size 0
		.amdhsa_uses_dynamic_stack 0
		.amdhsa_system_sgpr_private_segment_wavefront_offset 0
		.amdhsa_system_sgpr_workgroup_id_x 1
		.amdhsa_system_sgpr_workgroup_id_y 1
		.amdhsa_system_sgpr_workgroup_id_z 1
		.amdhsa_system_sgpr_workgroup_info 0
		.amdhsa_system_vgpr_workitem_id 1
		.amdhsa_next_free_vgpr 38
		.amdhsa_next_free_sgpr 19
		.amdhsa_reserve_vcc 1
		.amdhsa_reserve_flat_scratch 0
		.amdhsa_float_round_mode_32 0
		.amdhsa_float_round_mode_16_64 0
		.amdhsa_float_denorm_mode_32 3
		.amdhsa_float_denorm_mode_16_64 3
		.amdhsa_dx10_clamp 1
		.amdhsa_ieee_mode 1
		.amdhsa_fp16_overflow 0
		.amdhsa_exception_fp_ieee_invalid_op 0
		.amdhsa_exception_fp_denorm_src 0
		.amdhsa_exception_fp_ieee_div_zero 0
		.amdhsa_exception_fp_ieee_overflow 0
		.amdhsa_exception_fp_ieee_underflow 0
		.amdhsa_exception_fp_ieee_inexact 0
		.amdhsa_exception_int_div_zero 0
	.end_amdhsa_kernel
	.section	.text._ZL37rocblas_syrkx_herkx_restricted_kernelIidLi16ELi32ELi8ELb1ELb0ELc67ELc85EKPKdKPdEviT_T0_PT8_S5_lS8_S5_lS6_PT9_S5_li,"axG",@progbits,_ZL37rocblas_syrkx_herkx_restricted_kernelIidLi16ELi32ELi8ELb1ELb0ELc67ELc85EKPKdKPdEviT_T0_PT8_S5_lS8_S5_lS6_PT9_S5_li,comdat
.Lfunc_end569:
	.size	_ZL37rocblas_syrkx_herkx_restricted_kernelIidLi16ELi32ELi8ELb1ELb0ELc67ELc85EKPKdKPdEviT_T0_PT8_S5_lS8_S5_lS6_PT9_S5_li, .Lfunc_end569-_ZL37rocblas_syrkx_herkx_restricted_kernelIidLi16ELi32ELi8ELb1ELb0ELc67ELc85EKPKdKPdEviT_T0_PT8_S5_lS8_S5_lS6_PT9_S5_li
                                        ; -- End function
	.set _ZL37rocblas_syrkx_herkx_restricted_kernelIidLi16ELi32ELi8ELb1ELb0ELc67ELc85EKPKdKPdEviT_T0_PT8_S5_lS8_S5_lS6_PT9_S5_li.num_vgpr, 38
	.set _ZL37rocblas_syrkx_herkx_restricted_kernelIidLi16ELi32ELi8ELb1ELb0ELc67ELc85EKPKdKPdEviT_T0_PT8_S5_lS8_S5_lS6_PT9_S5_li.num_agpr, 0
	.set _ZL37rocblas_syrkx_herkx_restricted_kernelIidLi16ELi32ELi8ELb1ELb0ELc67ELc85EKPKdKPdEviT_T0_PT8_S5_lS8_S5_lS6_PT9_S5_li.numbered_sgpr, 19
	.set _ZL37rocblas_syrkx_herkx_restricted_kernelIidLi16ELi32ELi8ELb1ELb0ELc67ELc85EKPKdKPdEviT_T0_PT8_S5_lS8_S5_lS6_PT9_S5_li.num_named_barrier, 0
	.set _ZL37rocblas_syrkx_herkx_restricted_kernelIidLi16ELi32ELi8ELb1ELb0ELc67ELc85EKPKdKPdEviT_T0_PT8_S5_lS8_S5_lS6_PT9_S5_li.private_seg_size, 0
	.set _ZL37rocblas_syrkx_herkx_restricted_kernelIidLi16ELi32ELi8ELb1ELb0ELc67ELc85EKPKdKPdEviT_T0_PT8_S5_lS8_S5_lS6_PT9_S5_li.uses_vcc, 1
	.set _ZL37rocblas_syrkx_herkx_restricted_kernelIidLi16ELi32ELi8ELb1ELb0ELc67ELc85EKPKdKPdEviT_T0_PT8_S5_lS8_S5_lS6_PT9_S5_li.uses_flat_scratch, 0
	.set _ZL37rocblas_syrkx_herkx_restricted_kernelIidLi16ELi32ELi8ELb1ELb0ELc67ELc85EKPKdKPdEviT_T0_PT8_S5_lS8_S5_lS6_PT9_S5_li.has_dyn_sized_stack, 0
	.set _ZL37rocblas_syrkx_herkx_restricted_kernelIidLi16ELi32ELi8ELb1ELb0ELc67ELc85EKPKdKPdEviT_T0_PT8_S5_lS8_S5_lS6_PT9_S5_li.has_recursion, 0
	.set _ZL37rocblas_syrkx_herkx_restricted_kernelIidLi16ELi32ELi8ELb1ELb0ELc67ELc85EKPKdKPdEviT_T0_PT8_S5_lS8_S5_lS6_PT9_S5_li.has_indirect_call, 0
	.section	.AMDGPU.csdata,"",@progbits
; Kernel info:
; codeLenInByte = 1216
; TotalNumSgprs: 23
; NumVgprs: 38
; ScratchSize: 0
; MemoryBound: 0
; FloatMode: 240
; IeeeMode: 1
; LDSByteSize: 4096 bytes/workgroup (compile time only)
; SGPRBlocks: 2
; VGPRBlocks: 9
; NumSGPRsForWavesPerEU: 23
; NumVGPRsForWavesPerEU: 38
; Occupancy: 6
; WaveLimiterHint : 1
; COMPUTE_PGM_RSRC2:SCRATCH_EN: 0
; COMPUTE_PGM_RSRC2:USER_SGPR: 6
; COMPUTE_PGM_RSRC2:TRAP_HANDLER: 0
; COMPUTE_PGM_RSRC2:TGID_X_EN: 1
; COMPUTE_PGM_RSRC2:TGID_Y_EN: 1
; COMPUTE_PGM_RSRC2:TGID_Z_EN: 1
; COMPUTE_PGM_RSRC2:TIDIG_COMP_CNT: 1
	.section	.text._ZL37rocblas_syrkx_herkx_restricted_kernelIidLi16ELi32ELi8ELb1ELb0ELc78ELc85EKPKdKPdEviT_T0_PT8_S5_lS8_S5_lS6_PT9_S5_li,"axG",@progbits,_ZL37rocblas_syrkx_herkx_restricted_kernelIidLi16ELi32ELi8ELb1ELb0ELc78ELc85EKPKdKPdEviT_T0_PT8_S5_lS8_S5_lS6_PT9_S5_li,comdat
	.globl	_ZL37rocblas_syrkx_herkx_restricted_kernelIidLi16ELi32ELi8ELb1ELb0ELc78ELc85EKPKdKPdEviT_T0_PT8_S5_lS8_S5_lS6_PT9_S5_li ; -- Begin function _ZL37rocblas_syrkx_herkx_restricted_kernelIidLi16ELi32ELi8ELb1ELb0ELc78ELc85EKPKdKPdEviT_T0_PT8_S5_lS8_S5_lS6_PT9_S5_li
	.p2align	8
	.type	_ZL37rocblas_syrkx_herkx_restricted_kernelIidLi16ELi32ELi8ELb1ELb0ELc78ELc85EKPKdKPdEviT_T0_PT8_S5_lS8_S5_lS6_PT9_S5_li,@function
_ZL37rocblas_syrkx_herkx_restricted_kernelIidLi16ELi32ELi8ELb1ELb0ELc78ELc85EKPKdKPdEviT_T0_PT8_S5_lS8_S5_lS6_PT9_S5_li: ; @_ZL37rocblas_syrkx_herkx_restricted_kernelIidLi16ELi32ELi8ELb1ELb0ELc78ELc85EKPKdKPdEviT_T0_PT8_S5_lS8_S5_lS6_PT9_S5_li
; %bb.0:
	s_load_dwordx2 s[10:11], s[4:5], 0x48
	s_load_dwordx2 s[2:3], s[4:5], 0x0
	s_load_dwordx4 s[12:15], s[4:5], 0x8
	s_mov_b32 s9, 0
	s_lshl_b64 s[0:1], s[8:9], 3
	s_waitcnt lgkmcnt(0)
	s_add_u32 s10, s10, s0
	s_addc_u32 s11, s11, s1
	s_load_dwordx2 s[10:11], s[10:11], 0x0
	s_lshl_b32 s8, s6, 5
	s_lshl_b32 s16, s7, 5
	s_cmp_lt_i32 s3, 1
	s_cbranch_scc1 .LBB570_3
; %bb.1:
	s_load_dword s6, s[4:5], 0x18
	s_load_dword s18, s[4:5], 0x30
	s_load_dwordx2 s[20:21], s[4:5], 0x28
	v_lshl_add_u32 v2, v1, 4, v0
	v_and_b32_e32 v7, 31, v2
	s_waitcnt lgkmcnt(0)
	s_ashr_i32 s7, s6, 31
	s_ashr_i32 s19, s18, 31
	v_lshrrev_b32_e32 v6, 5, v2
	v_and_b32_e32 v5, 7, v0
	v_lshlrev_b32_e32 v8, 3, v7
	s_add_u32 s14, s14, s0
	v_lshrrev_b32_e32 v4, 3, v2
	v_lshl_or_b32 v14, v6, 8, v8
	v_lshlrev_b32_e32 v8, 3, v5
	s_addc_u32 s15, s15, s1
	v_add_u32_e32 v2, s16, v4
	v_lshl_or_b32 v4, v4, 6, v8
	s_add_u32 s0, s20, s0
	v_ashrrev_i32_e32 v3, 31, v2
	v_add_u32_e32 v15, 0x800, v4
	v_mov_b32_e32 v4, 0x800
	s_addc_u32 s1, s21, s1
	v_mad_i64_i32 v[2:3], s[20:21], s18, v5, v[2:3]
	v_lshl_add_u32 v17, v1, 6, v4
	v_add_u32_e32 v4, s8, v7
	s_load_dwordx2 s[0:1], s[0:1], 0x0
	v_ashrrev_i32_e32 v5, 31, v4
	v_mad_i64_i32 v[4:5], s[20:21], s6, v6, v[4:5]
	s_load_dwordx2 s[14:15], s[14:15], 0x0
	v_lshlrev_b64 v[2:3], 3, v[2:3]
	s_waitcnt lgkmcnt(0)
	v_mov_b32_e32 v8, s1
	v_add_co_u32_e32 v2, vcc, s0, v2
	v_lshlrev_b64 v[4:5], 3, v[4:5]
	v_addc_co_u32_e32 v3, vcc, v8, v3, vcc
	v_mov_b32_e32 v7, s15
	v_add_co_u32_e32 v6, vcc, s14, v4
	s_lshl_b64 s[0:1], s[18:19], 6
	v_addc_co_u32_e32 v7, vcc, v7, v5, vcc
	s_lshl_b64 s[6:7], s[6:7], 6
	v_mov_b32_e32 v4, 0
	v_mov_b32_e32 v8, 0
	;; [unrolled: 1-line block ×4, first 2 shown]
	v_lshlrev_b32_e32 v16, 3, v0
	v_mov_b32_e32 v5, 0
	v_mov_b32_e32 v18, s1
	;; [unrolled: 1-line block ×6, first 2 shown]
.LBB570_2:                              ; =>This Inner Loop Header: Depth=1
	flat_load_dwordx2 v[20:21], v[6:7]
	v_add_co_u32_e32 v6, vcc, s6, v6
	v_addc_co_u32_e32 v7, vcc, v7, v19, vcc
	s_add_i32 s9, s9, 8
	s_cmp_ge_i32 s9, s3
	s_waitcnt vmcnt(0) lgkmcnt(0)
	ds_write_b64 v14, v[20:21]
	flat_load_dwordx2 v[20:21], v[2:3]
	v_add_co_u32_e32 v2, vcc, s0, v2
	v_addc_co_u32_e32 v3, vcc, v3, v18, vcc
	s_waitcnt vmcnt(0) lgkmcnt(0)
	ds_write_b64 v15, v[20:21]
	s_waitcnt lgkmcnt(0)
	s_barrier
	ds_read2_b64 v[20:23], v16 offset1:16
	ds_read_b128 v[24:27], v17
	ds_read_b128 v[28:31], v17 offset:16
	s_waitcnt lgkmcnt(1)
	v_fma_f64 v[36:37], v[20:21], v[24:25], v[12:13]
	v_fma_f64 v[24:25], v[22:23], v[24:25], v[10:11]
	ds_read_b128 v[10:13], v17 offset:1024
	ds_read_b128 v[32:35], v17 offset:1040
	s_waitcnt lgkmcnt(1)
	v_fma_f64 v[20:21], v[20:21], v[10:11], v[8:9]
	v_fma_f64 v[4:5], v[22:23], v[10:11], v[4:5]
	ds_read2_b64 v[8:11], v16 offset0:32 offset1:48
	s_waitcnt lgkmcnt(0)
	v_fma_f64 v[22:23], v[8:9], v[26:27], v[36:37]
	v_fma_f64 v[24:25], v[10:11], v[26:27], v[24:25]
	v_fma_f64 v[20:21], v[8:9], v[12:13], v[20:21]
	v_fma_f64 v[4:5], v[10:11], v[12:13], v[4:5]
	ds_read2_b64 v[8:11], v16 offset0:64 offset1:80
	s_waitcnt lgkmcnt(0)
	v_fma_f64 v[12:13], v[8:9], v[28:29], v[22:23]
	v_fma_f64 v[22:23], v[10:11], v[28:29], v[24:25]
	;; [unrolled: 6-line block ×3, first 2 shown]
	ds_read2_b64 v[20:23], v16 offset0:128 offset1:144
	v_fma_f64 v[36:37], v[8:9], v[34:35], v[24:25]
	v_fma_f64 v[4:5], v[10:11], v[34:35], v[4:5]
	ds_read_b128 v[8:11], v17 offset:32
	ds_read_b128 v[24:27], v17 offset:48
	s_waitcnt lgkmcnt(1)
	v_fma_f64 v[12:13], v[20:21], v[8:9], v[12:13]
	v_fma_f64 v[8:9], v[22:23], v[8:9], v[28:29]
	ds_read_b128 v[28:31], v17 offset:1056
	ds_read_b128 v[32:35], v17 offset:1072
	s_waitcnt lgkmcnt(1)
	v_fma_f64 v[36:37], v[20:21], v[28:29], v[36:37]
	v_fma_f64 v[4:5], v[22:23], v[28:29], v[4:5]
	ds_read2_b64 v[20:23], v16 offset0:160 offset1:176
	s_waitcnt lgkmcnt(0)
	v_fma_f64 v[12:13], v[20:21], v[10:11], v[12:13]
	v_fma_f64 v[28:29], v[22:23], v[10:11], v[8:9]
	;; [unrolled: 1-line block ×4, first 2 shown]
	ds_read2_b64 v[8:11], v16 offset0:192 offset1:208
	s_waitcnt lgkmcnt(0)
	v_fma_f64 v[12:13], v[8:9], v[24:25], v[12:13]
	v_fma_f64 v[24:25], v[10:11], v[24:25], v[28:29]
	;; [unrolled: 1-line block ×4, first 2 shown]
	ds_read2_b64 v[20:23], v16 offset0:224 offset1:240
	s_waitcnt lgkmcnt(0)
	s_barrier
	v_fma_f64 v[12:13], v[20:21], v[26:27], v[12:13]
	v_fma_f64 v[10:11], v[22:23], v[26:27], v[24:25]
	;; [unrolled: 1-line block ×4, first 2 shown]
	s_cbranch_scc0 .LBB570_2
	s_branch .LBB570_4
.LBB570_3:
	v_mov_b32_e32 v12, 0
	v_mov_b32_e32 v10, 0
	;; [unrolled: 1-line block ×8, first 2 shown]
.LBB570_4:
	s_load_dword s3, s[4:5], 0x50
	v_add_u32_e32 v6, s16, v1
	s_waitcnt lgkmcnt(0)
	v_mov_b32_e32 v3, s11
	v_add_u32_e32 v0, s8, v0
	v_cmp_gt_i32_e32 vcc, s2, v6
	v_mad_i64_i32 v[1:2], s[0:1], v6, s3, 0
	v_lshlrev_b64 v[1:2], 3, v[1:2]
	v_add_co_u32_e64 v7, s[0:1], s10, v1
	v_addc_co_u32_e64 v14, s[0:1], v3, v2, s[0:1]
	v_cmp_le_i32_e64 s[0:1], v0, v6
	s_and_b64 s[0:1], vcc, s[0:1]
	s_and_saveexec_b64 s[4:5], s[0:1]
	s_cbranch_execz .LBB570_6
; %bb.5:
	v_mul_f64 v[2:3], s[12:13], v[12:13]
	v_ashrrev_i32_e32 v1, 31, v0
	v_lshlrev_b64 v[12:13], 3, v[0:1]
	v_add_co_u32_e64 v12, s[0:1], v7, v12
	v_addc_co_u32_e64 v13, s[0:1], v14, v13, s[0:1]
	flat_store_dwordx2 v[12:13], v[2:3]
.LBB570_6:
	s_or_b64 exec, exec, s[4:5]
	v_add_u32_e32 v2, 16, v0
	v_cmp_le_i32_e64 s[0:1], v2, v6
	s_and_b64 s[4:5], vcc, s[0:1]
	s_and_saveexec_b64 s[0:1], s[4:5]
	s_cbranch_execz .LBB570_8
; %bb.7:
	v_mul_f64 v[10:11], s[12:13], v[10:11]
	v_ashrrev_i32_e32 v3, 31, v2
	v_lshlrev_b64 v[12:13], 3, v[2:3]
	v_add_co_u32_e32 v12, vcc, v7, v12
	v_addc_co_u32_e32 v13, vcc, v14, v13, vcc
	flat_store_dwordx2 v[12:13], v[10:11]
.LBB570_8:
	s_or_b64 exec, exec, s[0:1]
	v_add_u32_e32 v3, 16, v6
	v_mad_i64_i32 v[6:7], s[0:1], v3, s3, 0
	v_mov_b32_e32 v1, s11
	v_cmp_gt_i32_e32 vcc, s2, v3
	v_lshlrev_b64 v[6:7], 3, v[6:7]
	v_add_co_u32_e64 v6, s[0:1], s10, v6
	v_addc_co_u32_e64 v7, s[0:1], v1, v7, s[0:1]
	v_cmp_le_i32_e64 s[0:1], v0, v3
	s_and_b64 s[0:1], vcc, s[0:1]
	s_and_saveexec_b64 s[2:3], s[0:1]
	s_cbranch_execz .LBB570_10
; %bb.9:
	v_mul_f64 v[8:9], s[12:13], v[8:9]
	v_ashrrev_i32_e32 v1, 31, v0
	v_lshlrev_b64 v[0:1], 3, v[0:1]
	v_add_co_u32_e64 v0, s[0:1], v6, v0
	v_addc_co_u32_e64 v1, s[0:1], v7, v1, s[0:1]
	flat_store_dwordx2 v[0:1], v[8:9]
.LBB570_10:
	s_or_b64 exec, exec, s[2:3]
	v_cmp_le_i32_e64 s[0:1], v2, v3
	s_and_b64 s[0:1], vcc, s[0:1]
	s_and_saveexec_b64 s[2:3], s[0:1]
	s_cbranch_execz .LBB570_12
; %bb.11:
	v_mul_f64 v[0:1], s[12:13], v[4:5]
	v_ashrrev_i32_e32 v3, 31, v2
	v_lshlrev_b64 v[2:3], 3, v[2:3]
	v_add_co_u32_e32 v2, vcc, v6, v2
	v_addc_co_u32_e32 v3, vcc, v7, v3, vcc
	flat_store_dwordx2 v[2:3], v[0:1]
.LBB570_12:
	s_endpgm
	.section	.rodata,"a",@progbits
	.p2align	6, 0x0
	.amdhsa_kernel _ZL37rocblas_syrkx_herkx_restricted_kernelIidLi16ELi32ELi8ELb1ELb0ELc78ELc85EKPKdKPdEviT_T0_PT8_S5_lS8_S5_lS6_PT9_S5_li
		.amdhsa_group_segment_fixed_size 4096
		.amdhsa_private_segment_fixed_size 0
		.amdhsa_kernarg_size 100
		.amdhsa_user_sgpr_count 6
		.amdhsa_user_sgpr_private_segment_buffer 1
		.amdhsa_user_sgpr_dispatch_ptr 0
		.amdhsa_user_sgpr_queue_ptr 0
		.amdhsa_user_sgpr_kernarg_segment_ptr 1
		.amdhsa_user_sgpr_dispatch_id 0
		.amdhsa_user_sgpr_flat_scratch_init 0
		.amdhsa_user_sgpr_private_segment_size 0
		.amdhsa_uses_dynamic_stack 0
		.amdhsa_system_sgpr_private_segment_wavefront_offset 0
		.amdhsa_system_sgpr_workgroup_id_x 1
		.amdhsa_system_sgpr_workgroup_id_y 1
		.amdhsa_system_sgpr_workgroup_id_z 1
		.amdhsa_system_sgpr_workgroup_info 0
		.amdhsa_system_vgpr_workitem_id 1
		.amdhsa_next_free_vgpr 38
		.amdhsa_next_free_sgpr 22
		.amdhsa_reserve_vcc 1
		.amdhsa_reserve_flat_scratch 0
		.amdhsa_float_round_mode_32 0
		.amdhsa_float_round_mode_16_64 0
		.amdhsa_float_denorm_mode_32 3
		.amdhsa_float_denorm_mode_16_64 3
		.amdhsa_dx10_clamp 1
		.amdhsa_ieee_mode 1
		.amdhsa_fp16_overflow 0
		.amdhsa_exception_fp_ieee_invalid_op 0
		.amdhsa_exception_fp_denorm_src 0
		.amdhsa_exception_fp_ieee_div_zero 0
		.amdhsa_exception_fp_ieee_overflow 0
		.amdhsa_exception_fp_ieee_underflow 0
		.amdhsa_exception_fp_ieee_inexact 0
		.amdhsa_exception_int_div_zero 0
	.end_amdhsa_kernel
	.section	.text._ZL37rocblas_syrkx_herkx_restricted_kernelIidLi16ELi32ELi8ELb1ELb0ELc78ELc85EKPKdKPdEviT_T0_PT8_S5_lS8_S5_lS6_PT9_S5_li,"axG",@progbits,_ZL37rocblas_syrkx_herkx_restricted_kernelIidLi16ELi32ELi8ELb1ELb0ELc78ELc85EKPKdKPdEviT_T0_PT8_S5_lS8_S5_lS6_PT9_S5_li,comdat
.Lfunc_end570:
	.size	_ZL37rocblas_syrkx_herkx_restricted_kernelIidLi16ELi32ELi8ELb1ELb0ELc78ELc85EKPKdKPdEviT_T0_PT8_S5_lS8_S5_lS6_PT9_S5_li, .Lfunc_end570-_ZL37rocblas_syrkx_herkx_restricted_kernelIidLi16ELi32ELi8ELb1ELb0ELc78ELc85EKPKdKPdEviT_T0_PT8_S5_lS8_S5_lS6_PT9_S5_li
                                        ; -- End function
	.set _ZL37rocblas_syrkx_herkx_restricted_kernelIidLi16ELi32ELi8ELb1ELb0ELc78ELc85EKPKdKPdEviT_T0_PT8_S5_lS8_S5_lS6_PT9_S5_li.num_vgpr, 38
	.set _ZL37rocblas_syrkx_herkx_restricted_kernelIidLi16ELi32ELi8ELb1ELb0ELc78ELc85EKPKdKPdEviT_T0_PT8_S5_lS8_S5_lS6_PT9_S5_li.num_agpr, 0
	.set _ZL37rocblas_syrkx_herkx_restricted_kernelIidLi16ELi32ELi8ELb1ELb0ELc78ELc85EKPKdKPdEviT_T0_PT8_S5_lS8_S5_lS6_PT9_S5_li.numbered_sgpr, 22
	.set _ZL37rocblas_syrkx_herkx_restricted_kernelIidLi16ELi32ELi8ELb1ELb0ELc78ELc85EKPKdKPdEviT_T0_PT8_S5_lS8_S5_lS6_PT9_S5_li.num_named_barrier, 0
	.set _ZL37rocblas_syrkx_herkx_restricted_kernelIidLi16ELi32ELi8ELb1ELb0ELc78ELc85EKPKdKPdEviT_T0_PT8_S5_lS8_S5_lS6_PT9_S5_li.private_seg_size, 0
	.set _ZL37rocblas_syrkx_herkx_restricted_kernelIidLi16ELi32ELi8ELb1ELb0ELc78ELc85EKPKdKPdEviT_T0_PT8_S5_lS8_S5_lS6_PT9_S5_li.uses_vcc, 1
	.set _ZL37rocblas_syrkx_herkx_restricted_kernelIidLi16ELi32ELi8ELb1ELb0ELc78ELc85EKPKdKPdEviT_T0_PT8_S5_lS8_S5_lS6_PT9_S5_li.uses_flat_scratch, 0
	.set _ZL37rocblas_syrkx_herkx_restricted_kernelIidLi16ELi32ELi8ELb1ELb0ELc78ELc85EKPKdKPdEviT_T0_PT8_S5_lS8_S5_lS6_PT9_S5_li.has_dyn_sized_stack, 0
	.set _ZL37rocblas_syrkx_herkx_restricted_kernelIidLi16ELi32ELi8ELb1ELb0ELc78ELc85EKPKdKPdEviT_T0_PT8_S5_lS8_S5_lS6_PT9_S5_li.has_recursion, 0
	.set _ZL37rocblas_syrkx_herkx_restricted_kernelIidLi16ELi32ELi8ELb1ELb0ELc78ELc85EKPKdKPdEviT_T0_PT8_S5_lS8_S5_lS6_PT9_S5_li.has_indirect_call, 0
	.section	.AMDGPU.csdata,"",@progbits
; Kernel info:
; codeLenInByte = 1240
; TotalNumSgprs: 26
; NumVgprs: 38
; ScratchSize: 0
; MemoryBound: 0
; FloatMode: 240
; IeeeMode: 1
; LDSByteSize: 4096 bytes/workgroup (compile time only)
; SGPRBlocks: 3
; VGPRBlocks: 9
; NumSGPRsForWavesPerEU: 26
; NumVGPRsForWavesPerEU: 38
; Occupancy: 6
; WaveLimiterHint : 1
; COMPUTE_PGM_RSRC2:SCRATCH_EN: 0
; COMPUTE_PGM_RSRC2:USER_SGPR: 6
; COMPUTE_PGM_RSRC2:TRAP_HANDLER: 0
; COMPUTE_PGM_RSRC2:TGID_X_EN: 1
; COMPUTE_PGM_RSRC2:TGID_Y_EN: 1
; COMPUTE_PGM_RSRC2:TGID_Z_EN: 1
; COMPUTE_PGM_RSRC2:TIDIG_COMP_CNT: 1
	.section	.text._ZL37rocblas_syrkx_herkx_restricted_kernelIidLi16ELi32ELi8ELb0ELb0ELc84ELc76EKPKdKPdEviT_T0_PT8_S5_lS8_S5_lS6_PT9_S5_li,"axG",@progbits,_ZL37rocblas_syrkx_herkx_restricted_kernelIidLi16ELi32ELi8ELb0ELb0ELc84ELc76EKPKdKPdEviT_T0_PT8_S5_lS8_S5_lS6_PT9_S5_li,comdat
	.globl	_ZL37rocblas_syrkx_herkx_restricted_kernelIidLi16ELi32ELi8ELb0ELb0ELc84ELc76EKPKdKPdEviT_T0_PT8_S5_lS8_S5_lS6_PT9_S5_li ; -- Begin function _ZL37rocblas_syrkx_herkx_restricted_kernelIidLi16ELi32ELi8ELb0ELb0ELc84ELc76EKPKdKPdEviT_T0_PT8_S5_lS8_S5_lS6_PT9_S5_li
	.p2align	8
	.type	_ZL37rocblas_syrkx_herkx_restricted_kernelIidLi16ELi32ELi8ELb0ELb0ELc84ELc76EKPKdKPdEviT_T0_PT8_S5_lS8_S5_lS6_PT9_S5_li,@function
_ZL37rocblas_syrkx_herkx_restricted_kernelIidLi16ELi32ELi8ELb0ELb0ELc84ELc76EKPKdKPdEviT_T0_PT8_S5_lS8_S5_lS6_PT9_S5_li: ; @_ZL37rocblas_syrkx_herkx_restricted_kernelIidLi16ELi32ELi8ELb0ELb0ELc84ELc76EKPKdKPdEviT_T0_PT8_S5_lS8_S5_lS6_PT9_S5_li
; %bb.0:
	s_load_dwordx4 s[12:15], s[4:5], 0x40
	s_load_dwordx2 s[20:21], s[4:5], 0x0
	s_load_dwordx4 s[16:19], s[4:5], 0x8
	s_mov_b32 s9, 0
	s_lshl_b64 s[0:1], s[8:9], 3
	s_waitcnt lgkmcnt(0)
	s_add_u32 s2, s14, s0
	s_addc_u32 s3, s15, s1
	s_load_dwordx2 s[10:11], s[2:3], 0x0
	s_lshl_b32 s2, s6, 5
	s_lshl_b32 s3, s7, 5
	s_cmp_lt_i32 s21, 1
	s_cbranch_scc1 .LBB571_3
; %bb.1:
	s_load_dword s8, s[4:5], 0x18
	s_load_dwordx2 s[6:7], s[4:5], 0x28
	s_load_dword s22, s[4:5], 0x30
	s_add_u32 s14, s18, s0
	v_lshl_add_u32 v3, v1, 4, v0
	s_addc_u32 s15, s19, s1
	v_lshrrev_b32_e32 v6, 3, v3
	v_and_b32_e32 v7, 31, v3
	s_waitcnt lgkmcnt(0)
	s_add_u32 s0, s6, s0
	v_lshrrev_b32_e32 v2, 5, v3
	v_and_b32_e32 v4, 7, v0
	v_add_u32_e32 v8, s3, v6
	v_mov_b32_e32 v5, 0
	v_lshlrev_b32_e32 v9, 3, v7
	s_addc_u32 s1, s7, s1
	v_mov_b32_e32 v3, v5
	v_lshl_or_b32 v14, v2, 8, v9
	v_lshlrev_b32_e32 v9, 3, v4
	v_mad_i64_i32 v[4:5], s[6:7], s22, v8, v[4:5]
	s_load_dwordx2 s[0:1], s[0:1], 0x0
	v_add_u32_e32 v7, s2, v7
	v_mad_i64_i32 v[2:3], s[6:7], s8, v7, v[2:3]
	s_load_dwordx2 s[14:15], s[14:15], 0x0
	v_lshlrev_b64 v[4:5], 3, v[4:5]
	v_lshl_or_b32 v6, v6, 6, v9
	v_add_u32_e32 v15, 0x800, v6
	s_waitcnt lgkmcnt(0)
	v_mov_b32_e32 v6, s1
	v_add_co_u32_e32 v4, vcc, s0, v4
	v_lshlrev_b64 v[2:3], 3, v[2:3]
	v_addc_co_u32_e32 v5, vcc, v6, v5, vcc
	v_mov_b32_e32 v7, s15
	v_add_co_u32_e32 v6, vcc, s14, v2
	v_mov_b32_e32 v17, 0x800
	v_addc_co_u32_e32 v7, vcc, v7, v3, vcc
	v_mov_b32_e32 v2, 0
	v_mov_b32_e32 v8, 0
	;; [unrolled: 1-line block ×4, first 2 shown]
	v_lshlrev_b32_e32 v16, 3, v0
	v_mov_b32_e32 v3, 0
	v_mov_b32_e32 v9, 0
	;; [unrolled: 1-line block ×4, first 2 shown]
	v_lshl_add_u32 v17, v1, 6, v17
.LBB571_2:                              ; =>This Inner Loop Header: Depth=1
	flat_load_dwordx2 v[18:19], v[6:7]
	v_add_co_u32_e32 v6, vcc, 64, v6
	v_addc_co_u32_e32 v7, vcc, 0, v7, vcc
	s_add_i32 s9, s9, 8
	s_cmp_ge_i32 s9, s21
	s_waitcnt vmcnt(0) lgkmcnt(0)
	ds_write_b64 v14, v[18:19]
	flat_load_dwordx2 v[18:19], v[4:5]
	v_add_co_u32_e32 v4, vcc, 64, v4
	v_addc_co_u32_e32 v5, vcc, 0, v5, vcc
	s_waitcnt vmcnt(0) lgkmcnt(0)
	ds_write_b64 v15, v[18:19]
	s_waitcnt lgkmcnt(0)
	s_barrier
	ds_read2_b64 v[18:21], v16 offset1:16
	ds_read_b128 v[22:25], v17
	ds_read_b128 v[26:29], v17 offset:1024
	ds_read_b128 v[30:33], v17 offset:16
	s_waitcnt lgkmcnt(2)
	v_fma_f64 v[34:35], v[18:19], v[22:23], v[12:13]
	v_fma_f64 v[22:23], v[20:21], v[22:23], v[10:11]
	s_waitcnt lgkmcnt(1)
	v_fma_f64 v[8:9], v[18:19], v[26:27], v[8:9]
	v_fma_f64 v[2:3], v[20:21], v[26:27], v[2:3]
	ds_read2_b64 v[18:21], v16 offset0:32 offset1:48
	ds_read_b128 v[10:13], v17 offset:1040
	s_waitcnt lgkmcnt(1)
	v_fma_f64 v[26:27], v[18:19], v[24:25], v[34:35]
	v_fma_f64 v[34:35], v[20:21], v[24:25], v[22:23]
	;; [unrolled: 1-line block ×4, first 2 shown]
	ds_read2_b64 v[18:21], v16 offset0:64 offset1:80
	ds_read2_b64 v[22:25], v16 offset0:96 offset1:112
	s_waitcnt lgkmcnt(1)
	v_fma_f64 v[26:27], v[18:19], v[30:31], v[26:27]
	v_fma_f64 v[28:29], v[20:21], v[30:31], v[34:35]
	;; [unrolled: 1-line block ×4, first 2 shown]
	ds_read2_b64 v[8:11], v16 offset0:128 offset1:144
	ds_read_b128 v[18:21], v17 offset:32
	s_waitcnt lgkmcnt(2)
	v_fma_f64 v[34:35], v[22:23], v[32:33], v[26:27]
	v_fma_f64 v[32:33], v[24:25], v[32:33], v[28:29]
	;; [unrolled: 1-line block ×4, first 2 shown]
	ds_read_b128 v[22:25], v17 offset:1056
	ds_read_b128 v[26:29], v17 offset:48
	s_waitcnt lgkmcnt(2)
	v_fma_f64 v[12:13], v[8:9], v[18:19], v[34:35]
	v_fma_f64 v[18:19], v[10:11], v[18:19], v[32:33]
	s_waitcnt lgkmcnt(1)
	v_fma_f64 v[34:35], v[8:9], v[22:23], v[36:37]
	v_fma_f64 v[2:3], v[10:11], v[22:23], v[2:3]
	ds_read2_b64 v[8:11], v16 offset0:160 offset1:176
	ds_read_b128 v[30:33], v17 offset:1072
	s_waitcnt lgkmcnt(1)
	v_fma_f64 v[12:13], v[8:9], v[20:21], v[12:13]
	v_fma_f64 v[18:19], v[10:11], v[20:21], v[18:19]
	;; [unrolled: 1-line block ×4, first 2 shown]
	ds_read2_b64 v[8:11], v16 offset0:192 offset1:208
	s_waitcnt lgkmcnt(0)
	v_fma_f64 v[12:13], v[8:9], v[26:27], v[12:13]
	v_fma_f64 v[22:23], v[10:11], v[26:27], v[18:19]
	;; [unrolled: 1-line block ×4, first 2 shown]
	ds_read2_b64 v[18:21], v16 offset0:224 offset1:240
	s_waitcnt lgkmcnt(0)
	s_barrier
	v_fma_f64 v[12:13], v[18:19], v[28:29], v[12:13]
	v_fma_f64 v[10:11], v[20:21], v[28:29], v[22:23]
	;; [unrolled: 1-line block ×4, first 2 shown]
	s_cbranch_scc0 .LBB571_2
	s_branch .LBB571_4
.LBB571_3:
	v_mov_b32_e32 v12, 0
	v_mov_b32_e32 v10, 0
	;; [unrolled: 1-line block ×8, first 2 shown]
.LBB571_4:
	s_load_dword s6, s[4:5], 0x50
	v_add_u32_e32 v6, s3, v1
	s_waitcnt lgkmcnt(0)
	v_mov_b32_e32 v1, s11
	v_add_u32_e32 v0, s2, v0
	v_mad_i64_i32 v[4:5], s[0:1], v6, s6, 0
	v_cmp_le_i32_e64 s[0:1], v6, v0
	v_lshlrev_b64 v[4:5], 3, v[4:5]
	v_add_co_u32_e32 v7, vcc, s10, v4
	v_addc_co_u32_e32 v14, vcc, v1, v5, vcc
	v_cmp_gt_i32_e32 vcc, s20, v0
	s_and_b64 s[0:1], s[0:1], vcc
	s_and_saveexec_b64 s[2:3], s[0:1]
	s_cbranch_execz .LBB571_6
; %bb.5:
	v_ashrrev_i32_e32 v1, 31, v0
	v_lshlrev_b64 v[4:5], 3, v[0:1]
	v_add_co_u32_e64 v4, s[0:1], v7, v4
	v_addc_co_u32_e64 v5, s[0:1], v14, v5, s[0:1]
	flat_load_dwordx2 v[15:16], v[4:5]
	s_waitcnt vmcnt(0) lgkmcnt(0)
	v_mul_f64 v[15:16], s[12:13], v[15:16]
	v_fma_f64 v[12:13], s[16:17], v[12:13], v[15:16]
	flat_store_dwordx2 v[4:5], v[12:13]
.LBB571_6:
	s_or_b64 exec, exec, s[2:3]
	v_add_u32_e32 v4, 16, v0
	v_cmp_le_i32_e64 s[2:3], v6, v4
	v_cmp_gt_i32_e64 s[0:1], s20, v4
	s_and_b64 s[2:3], s[2:3], s[0:1]
	s_and_saveexec_b64 s[4:5], s[2:3]
	s_cbranch_execz .LBB571_8
; %bb.7:
	v_ashrrev_i32_e32 v5, 31, v4
	v_lshlrev_b64 v[12:13], 3, v[4:5]
	v_add_co_u32_e64 v12, s[2:3], v7, v12
	v_addc_co_u32_e64 v13, s[2:3], v14, v13, s[2:3]
	flat_load_dwordx2 v[14:15], v[12:13]
	s_waitcnt vmcnt(0) lgkmcnt(0)
	v_mul_f64 v[14:15], s[12:13], v[14:15]
	v_fma_f64 v[10:11], s[16:17], v[10:11], v[14:15]
	flat_store_dwordx2 v[12:13], v[10:11]
.LBB571_8:
	s_or_b64 exec, exec, s[4:5]
	v_add_u32_e32 v5, 16, v6
	v_mad_i64_i32 v[6:7], s[2:3], v5, s6, 0
	v_mov_b32_e32 v1, s11
	v_lshlrev_b64 v[6:7], 3, v[6:7]
	v_add_co_u32_e64 v6, s[2:3], s10, v6
	v_addc_co_u32_e64 v7, s[2:3], v1, v7, s[2:3]
	v_cmp_le_i32_e64 s[2:3], v5, v0
	s_and_b64 s[4:5], s[2:3], vcc
	s_and_saveexec_b64 s[2:3], s[4:5]
	s_cbranch_execz .LBB571_10
; %bb.9:
	v_ashrrev_i32_e32 v1, 31, v0
	v_lshlrev_b64 v[0:1], 3, v[0:1]
	v_add_co_u32_e32 v0, vcc, v6, v0
	v_addc_co_u32_e32 v1, vcc, v7, v1, vcc
	flat_load_dwordx2 v[10:11], v[0:1]
	s_waitcnt vmcnt(0) lgkmcnt(0)
	v_mul_f64 v[10:11], s[12:13], v[10:11]
	v_fma_f64 v[8:9], s[16:17], v[8:9], v[10:11]
	flat_store_dwordx2 v[0:1], v[8:9]
.LBB571_10:
	s_or_b64 exec, exec, s[2:3]
	v_cmp_le_i32_e32 vcc, v5, v4
	s_and_b64 s[0:1], vcc, s[0:1]
	s_and_saveexec_b64 s[2:3], s[0:1]
	s_cbranch_execz .LBB571_12
; %bb.11:
	v_ashrrev_i32_e32 v5, 31, v4
	v_lshlrev_b64 v[0:1], 3, v[4:5]
	v_add_co_u32_e32 v0, vcc, v6, v0
	v_addc_co_u32_e32 v1, vcc, v7, v1, vcc
	flat_load_dwordx2 v[4:5], v[0:1]
	s_waitcnt vmcnt(0) lgkmcnt(0)
	v_mul_f64 v[4:5], s[12:13], v[4:5]
	v_fma_f64 v[2:3], s[16:17], v[2:3], v[4:5]
	flat_store_dwordx2 v[0:1], v[2:3]
.LBB571_12:
	s_endpgm
	.section	.rodata,"a",@progbits
	.p2align	6, 0x0
	.amdhsa_kernel _ZL37rocblas_syrkx_herkx_restricted_kernelIidLi16ELi32ELi8ELb0ELb0ELc84ELc76EKPKdKPdEviT_T0_PT8_S5_lS8_S5_lS6_PT9_S5_li
		.amdhsa_group_segment_fixed_size 4096
		.amdhsa_private_segment_fixed_size 0
		.amdhsa_kernarg_size 100
		.amdhsa_user_sgpr_count 6
		.amdhsa_user_sgpr_private_segment_buffer 1
		.amdhsa_user_sgpr_dispatch_ptr 0
		.amdhsa_user_sgpr_queue_ptr 0
		.amdhsa_user_sgpr_kernarg_segment_ptr 1
		.amdhsa_user_sgpr_dispatch_id 0
		.amdhsa_user_sgpr_flat_scratch_init 0
		.amdhsa_user_sgpr_private_segment_size 0
		.amdhsa_uses_dynamic_stack 0
		.amdhsa_system_sgpr_private_segment_wavefront_offset 0
		.amdhsa_system_sgpr_workgroup_id_x 1
		.amdhsa_system_sgpr_workgroup_id_y 1
		.amdhsa_system_sgpr_workgroup_id_z 1
		.amdhsa_system_sgpr_workgroup_info 0
		.amdhsa_system_vgpr_workitem_id 1
		.amdhsa_next_free_vgpr 38
		.amdhsa_next_free_sgpr 23
		.amdhsa_reserve_vcc 1
		.amdhsa_reserve_flat_scratch 0
		.amdhsa_float_round_mode_32 0
		.amdhsa_float_round_mode_16_64 0
		.amdhsa_float_denorm_mode_32 3
		.amdhsa_float_denorm_mode_16_64 3
		.amdhsa_dx10_clamp 1
		.amdhsa_ieee_mode 1
		.amdhsa_fp16_overflow 0
		.amdhsa_exception_fp_ieee_invalid_op 0
		.amdhsa_exception_fp_denorm_src 0
		.amdhsa_exception_fp_ieee_div_zero 0
		.amdhsa_exception_fp_ieee_overflow 0
		.amdhsa_exception_fp_ieee_underflow 0
		.amdhsa_exception_fp_ieee_inexact 0
		.amdhsa_exception_int_div_zero 0
	.end_amdhsa_kernel
	.section	.text._ZL37rocblas_syrkx_herkx_restricted_kernelIidLi16ELi32ELi8ELb0ELb0ELc84ELc76EKPKdKPdEviT_T0_PT8_S5_lS8_S5_lS6_PT9_S5_li,"axG",@progbits,_ZL37rocblas_syrkx_herkx_restricted_kernelIidLi16ELi32ELi8ELb0ELb0ELc84ELc76EKPKdKPdEviT_T0_PT8_S5_lS8_S5_lS6_PT9_S5_li,comdat
.Lfunc_end571:
	.size	_ZL37rocblas_syrkx_herkx_restricted_kernelIidLi16ELi32ELi8ELb0ELb0ELc84ELc76EKPKdKPdEviT_T0_PT8_S5_lS8_S5_lS6_PT9_S5_li, .Lfunc_end571-_ZL37rocblas_syrkx_herkx_restricted_kernelIidLi16ELi32ELi8ELb0ELb0ELc84ELc76EKPKdKPdEviT_T0_PT8_S5_lS8_S5_lS6_PT9_S5_li
                                        ; -- End function
	.set _ZL37rocblas_syrkx_herkx_restricted_kernelIidLi16ELi32ELi8ELb0ELb0ELc84ELc76EKPKdKPdEviT_T0_PT8_S5_lS8_S5_lS6_PT9_S5_li.num_vgpr, 38
	.set _ZL37rocblas_syrkx_herkx_restricted_kernelIidLi16ELi32ELi8ELb0ELb0ELc84ELc76EKPKdKPdEviT_T0_PT8_S5_lS8_S5_lS6_PT9_S5_li.num_agpr, 0
	.set _ZL37rocblas_syrkx_herkx_restricted_kernelIidLi16ELi32ELi8ELb0ELb0ELc84ELc76EKPKdKPdEviT_T0_PT8_S5_lS8_S5_lS6_PT9_S5_li.numbered_sgpr, 23
	.set _ZL37rocblas_syrkx_herkx_restricted_kernelIidLi16ELi32ELi8ELb0ELb0ELc84ELc76EKPKdKPdEviT_T0_PT8_S5_lS8_S5_lS6_PT9_S5_li.num_named_barrier, 0
	.set _ZL37rocblas_syrkx_herkx_restricted_kernelIidLi16ELi32ELi8ELb0ELb0ELc84ELc76EKPKdKPdEviT_T0_PT8_S5_lS8_S5_lS6_PT9_S5_li.private_seg_size, 0
	.set _ZL37rocblas_syrkx_herkx_restricted_kernelIidLi16ELi32ELi8ELb0ELb0ELc84ELc76EKPKdKPdEviT_T0_PT8_S5_lS8_S5_lS6_PT9_S5_li.uses_vcc, 1
	.set _ZL37rocblas_syrkx_herkx_restricted_kernelIidLi16ELi32ELi8ELb0ELb0ELc84ELc76EKPKdKPdEviT_T0_PT8_S5_lS8_S5_lS6_PT9_S5_li.uses_flat_scratch, 0
	.set _ZL37rocblas_syrkx_herkx_restricted_kernelIidLi16ELi32ELi8ELb0ELb0ELc84ELc76EKPKdKPdEviT_T0_PT8_S5_lS8_S5_lS6_PT9_S5_li.has_dyn_sized_stack, 0
	.set _ZL37rocblas_syrkx_herkx_restricted_kernelIidLi16ELi32ELi8ELb0ELb0ELc84ELc76EKPKdKPdEviT_T0_PT8_S5_lS8_S5_lS6_PT9_S5_li.has_recursion, 0
	.set _ZL37rocblas_syrkx_herkx_restricted_kernelIidLi16ELi32ELi8ELb0ELb0ELc84ELc76EKPKdKPdEviT_T0_PT8_S5_lS8_S5_lS6_PT9_S5_li.has_indirect_call, 0
	.section	.AMDGPU.csdata,"",@progbits
; Kernel info:
; codeLenInByte = 1288
; TotalNumSgprs: 27
; NumVgprs: 38
; ScratchSize: 0
; MemoryBound: 0
; FloatMode: 240
; IeeeMode: 1
; LDSByteSize: 4096 bytes/workgroup (compile time only)
; SGPRBlocks: 3
; VGPRBlocks: 9
; NumSGPRsForWavesPerEU: 27
; NumVGPRsForWavesPerEU: 38
; Occupancy: 6
; WaveLimiterHint : 1
; COMPUTE_PGM_RSRC2:SCRATCH_EN: 0
; COMPUTE_PGM_RSRC2:USER_SGPR: 6
; COMPUTE_PGM_RSRC2:TRAP_HANDLER: 0
; COMPUTE_PGM_RSRC2:TGID_X_EN: 1
; COMPUTE_PGM_RSRC2:TGID_Y_EN: 1
; COMPUTE_PGM_RSRC2:TGID_Z_EN: 1
; COMPUTE_PGM_RSRC2:TIDIG_COMP_CNT: 1
	.section	.text._ZL37rocblas_syrkx_herkx_restricted_kernelIidLi16ELi32ELi8ELb0ELb0ELc67ELc76EKPKdKPdEviT_T0_PT8_S5_lS8_S5_lS6_PT9_S5_li,"axG",@progbits,_ZL37rocblas_syrkx_herkx_restricted_kernelIidLi16ELi32ELi8ELb0ELb0ELc67ELc76EKPKdKPdEviT_T0_PT8_S5_lS8_S5_lS6_PT9_S5_li,comdat
	.globl	_ZL37rocblas_syrkx_herkx_restricted_kernelIidLi16ELi32ELi8ELb0ELb0ELc67ELc76EKPKdKPdEviT_T0_PT8_S5_lS8_S5_lS6_PT9_S5_li ; -- Begin function _ZL37rocblas_syrkx_herkx_restricted_kernelIidLi16ELi32ELi8ELb0ELb0ELc67ELc76EKPKdKPdEviT_T0_PT8_S5_lS8_S5_lS6_PT9_S5_li
	.p2align	8
	.type	_ZL37rocblas_syrkx_herkx_restricted_kernelIidLi16ELi32ELi8ELb0ELb0ELc67ELc76EKPKdKPdEviT_T0_PT8_S5_lS8_S5_lS6_PT9_S5_li,@function
_ZL37rocblas_syrkx_herkx_restricted_kernelIidLi16ELi32ELi8ELb0ELb0ELc67ELc76EKPKdKPdEviT_T0_PT8_S5_lS8_S5_lS6_PT9_S5_li: ; @_ZL37rocblas_syrkx_herkx_restricted_kernelIidLi16ELi32ELi8ELb0ELb0ELc67ELc76EKPKdKPdEviT_T0_PT8_S5_lS8_S5_lS6_PT9_S5_li
; %bb.0:
	s_load_dwordx4 s[12:15], s[4:5], 0x40
	s_load_dwordx2 s[20:21], s[4:5], 0x0
	s_load_dwordx4 s[16:19], s[4:5], 0x8
	s_mov_b32 s9, 0
	s_lshl_b64 s[0:1], s[8:9], 3
	s_waitcnt lgkmcnt(0)
	s_add_u32 s2, s14, s0
	s_addc_u32 s3, s15, s1
	s_load_dwordx2 s[10:11], s[2:3], 0x0
	s_lshl_b32 s2, s6, 5
	s_lshl_b32 s3, s7, 5
	s_cmp_lt_i32 s21, 1
	s_cbranch_scc1 .LBB572_3
; %bb.1:
	s_load_dword s8, s[4:5], 0x18
	s_load_dwordx2 s[6:7], s[4:5], 0x28
	s_load_dword s22, s[4:5], 0x30
	s_add_u32 s14, s18, s0
	v_lshl_add_u32 v3, v1, 4, v0
	s_addc_u32 s15, s19, s1
	v_lshrrev_b32_e32 v6, 3, v3
	v_and_b32_e32 v7, 31, v3
	s_waitcnt lgkmcnt(0)
	s_add_u32 s0, s6, s0
	v_lshrrev_b32_e32 v2, 5, v3
	v_and_b32_e32 v4, 7, v0
	v_add_u32_e32 v8, s3, v6
	v_mov_b32_e32 v5, 0
	v_lshlrev_b32_e32 v9, 3, v7
	s_addc_u32 s1, s7, s1
	v_mov_b32_e32 v3, v5
	v_lshl_or_b32 v14, v2, 8, v9
	v_lshlrev_b32_e32 v9, 3, v4
	v_mad_i64_i32 v[4:5], s[6:7], s22, v8, v[4:5]
	s_load_dwordx2 s[0:1], s[0:1], 0x0
	v_add_u32_e32 v7, s2, v7
	v_mad_i64_i32 v[2:3], s[6:7], s8, v7, v[2:3]
	s_load_dwordx2 s[14:15], s[14:15], 0x0
	v_lshlrev_b64 v[4:5], 3, v[4:5]
	v_lshl_or_b32 v6, v6, 6, v9
	v_add_u32_e32 v15, 0x800, v6
	s_waitcnt lgkmcnt(0)
	v_mov_b32_e32 v6, s1
	v_add_co_u32_e32 v4, vcc, s0, v4
	v_lshlrev_b64 v[2:3], 3, v[2:3]
	v_addc_co_u32_e32 v5, vcc, v6, v5, vcc
	v_mov_b32_e32 v7, s15
	v_add_co_u32_e32 v6, vcc, s14, v2
	v_mov_b32_e32 v17, 0x800
	v_addc_co_u32_e32 v7, vcc, v7, v3, vcc
	v_mov_b32_e32 v2, 0
	v_mov_b32_e32 v8, 0
	v_mov_b32_e32 v10, 0
	v_mov_b32_e32 v12, 0
	v_lshlrev_b32_e32 v16, 3, v0
	v_mov_b32_e32 v3, 0
	v_mov_b32_e32 v9, 0
	;; [unrolled: 1-line block ×4, first 2 shown]
	v_lshl_add_u32 v17, v1, 6, v17
.LBB572_2:                              ; =>This Inner Loop Header: Depth=1
	flat_load_dwordx2 v[18:19], v[6:7]
	v_add_co_u32_e32 v6, vcc, 64, v6
	v_addc_co_u32_e32 v7, vcc, 0, v7, vcc
	s_add_i32 s9, s9, 8
	s_cmp_ge_i32 s9, s21
	s_waitcnt vmcnt(0) lgkmcnt(0)
	ds_write_b64 v14, v[18:19]
	flat_load_dwordx2 v[18:19], v[4:5]
	v_add_co_u32_e32 v4, vcc, 64, v4
	v_addc_co_u32_e32 v5, vcc, 0, v5, vcc
	s_waitcnt vmcnt(0) lgkmcnt(0)
	ds_write_b64 v15, v[18:19]
	s_waitcnt lgkmcnt(0)
	s_barrier
	ds_read2_b64 v[18:21], v16 offset1:16
	ds_read_b128 v[22:25], v17
	ds_read_b128 v[26:29], v17 offset:1024
	ds_read_b128 v[30:33], v17 offset:16
	s_waitcnt lgkmcnt(2)
	v_fma_f64 v[34:35], v[18:19], v[22:23], v[12:13]
	v_fma_f64 v[22:23], v[20:21], v[22:23], v[10:11]
	s_waitcnt lgkmcnt(1)
	v_fma_f64 v[8:9], v[18:19], v[26:27], v[8:9]
	v_fma_f64 v[2:3], v[20:21], v[26:27], v[2:3]
	ds_read2_b64 v[18:21], v16 offset0:32 offset1:48
	ds_read_b128 v[10:13], v17 offset:1040
	s_waitcnt lgkmcnt(1)
	v_fma_f64 v[26:27], v[18:19], v[24:25], v[34:35]
	v_fma_f64 v[34:35], v[20:21], v[24:25], v[22:23]
	;; [unrolled: 1-line block ×4, first 2 shown]
	ds_read2_b64 v[18:21], v16 offset0:64 offset1:80
	ds_read2_b64 v[22:25], v16 offset0:96 offset1:112
	s_waitcnt lgkmcnt(1)
	v_fma_f64 v[26:27], v[18:19], v[30:31], v[26:27]
	v_fma_f64 v[28:29], v[20:21], v[30:31], v[34:35]
	;; [unrolled: 1-line block ×4, first 2 shown]
	ds_read2_b64 v[8:11], v16 offset0:128 offset1:144
	ds_read_b128 v[18:21], v17 offset:32
	s_waitcnt lgkmcnt(2)
	v_fma_f64 v[34:35], v[22:23], v[32:33], v[26:27]
	v_fma_f64 v[32:33], v[24:25], v[32:33], v[28:29]
	;; [unrolled: 1-line block ×4, first 2 shown]
	ds_read_b128 v[22:25], v17 offset:1056
	ds_read_b128 v[26:29], v17 offset:48
	s_waitcnt lgkmcnt(2)
	v_fma_f64 v[12:13], v[8:9], v[18:19], v[34:35]
	v_fma_f64 v[18:19], v[10:11], v[18:19], v[32:33]
	s_waitcnt lgkmcnt(1)
	v_fma_f64 v[34:35], v[8:9], v[22:23], v[36:37]
	v_fma_f64 v[2:3], v[10:11], v[22:23], v[2:3]
	ds_read2_b64 v[8:11], v16 offset0:160 offset1:176
	ds_read_b128 v[30:33], v17 offset:1072
	s_waitcnt lgkmcnt(1)
	v_fma_f64 v[12:13], v[8:9], v[20:21], v[12:13]
	v_fma_f64 v[18:19], v[10:11], v[20:21], v[18:19]
	;; [unrolled: 1-line block ×4, first 2 shown]
	ds_read2_b64 v[8:11], v16 offset0:192 offset1:208
	s_waitcnt lgkmcnt(0)
	v_fma_f64 v[12:13], v[8:9], v[26:27], v[12:13]
	v_fma_f64 v[22:23], v[10:11], v[26:27], v[18:19]
	;; [unrolled: 1-line block ×4, first 2 shown]
	ds_read2_b64 v[18:21], v16 offset0:224 offset1:240
	s_waitcnt lgkmcnt(0)
	s_barrier
	v_fma_f64 v[12:13], v[18:19], v[28:29], v[12:13]
	v_fma_f64 v[10:11], v[20:21], v[28:29], v[22:23]
	;; [unrolled: 1-line block ×4, first 2 shown]
	s_cbranch_scc0 .LBB572_2
	s_branch .LBB572_4
.LBB572_3:
	v_mov_b32_e32 v12, 0
	v_mov_b32_e32 v10, 0
	;; [unrolled: 1-line block ×8, first 2 shown]
.LBB572_4:
	s_load_dword s6, s[4:5], 0x50
	v_add_u32_e32 v6, s3, v1
	s_waitcnt lgkmcnt(0)
	v_mov_b32_e32 v1, s11
	v_add_u32_e32 v0, s2, v0
	v_mad_i64_i32 v[4:5], s[0:1], v6, s6, 0
	v_cmp_le_i32_e64 s[0:1], v6, v0
	v_lshlrev_b64 v[4:5], 3, v[4:5]
	v_add_co_u32_e32 v7, vcc, s10, v4
	v_addc_co_u32_e32 v14, vcc, v1, v5, vcc
	v_cmp_gt_i32_e32 vcc, s20, v0
	s_and_b64 s[0:1], s[0:1], vcc
	s_and_saveexec_b64 s[2:3], s[0:1]
	s_cbranch_execz .LBB572_6
; %bb.5:
	v_ashrrev_i32_e32 v1, 31, v0
	v_lshlrev_b64 v[4:5], 3, v[0:1]
	v_add_co_u32_e64 v4, s[0:1], v7, v4
	v_addc_co_u32_e64 v5, s[0:1], v14, v5, s[0:1]
	flat_load_dwordx2 v[15:16], v[4:5]
	s_waitcnt vmcnt(0) lgkmcnt(0)
	v_mul_f64 v[15:16], s[12:13], v[15:16]
	v_fma_f64 v[12:13], s[16:17], v[12:13], v[15:16]
	flat_store_dwordx2 v[4:5], v[12:13]
.LBB572_6:
	s_or_b64 exec, exec, s[2:3]
	v_add_u32_e32 v4, 16, v0
	v_cmp_le_i32_e64 s[2:3], v6, v4
	v_cmp_gt_i32_e64 s[0:1], s20, v4
	s_and_b64 s[2:3], s[2:3], s[0:1]
	s_and_saveexec_b64 s[4:5], s[2:3]
	s_cbranch_execz .LBB572_8
; %bb.7:
	v_ashrrev_i32_e32 v5, 31, v4
	v_lshlrev_b64 v[12:13], 3, v[4:5]
	v_add_co_u32_e64 v12, s[2:3], v7, v12
	v_addc_co_u32_e64 v13, s[2:3], v14, v13, s[2:3]
	flat_load_dwordx2 v[14:15], v[12:13]
	s_waitcnt vmcnt(0) lgkmcnt(0)
	v_mul_f64 v[14:15], s[12:13], v[14:15]
	v_fma_f64 v[10:11], s[16:17], v[10:11], v[14:15]
	flat_store_dwordx2 v[12:13], v[10:11]
.LBB572_8:
	s_or_b64 exec, exec, s[4:5]
	v_add_u32_e32 v5, 16, v6
	v_mad_i64_i32 v[6:7], s[2:3], v5, s6, 0
	v_mov_b32_e32 v1, s11
	v_lshlrev_b64 v[6:7], 3, v[6:7]
	v_add_co_u32_e64 v6, s[2:3], s10, v6
	v_addc_co_u32_e64 v7, s[2:3], v1, v7, s[2:3]
	v_cmp_le_i32_e64 s[2:3], v5, v0
	s_and_b64 s[4:5], s[2:3], vcc
	s_and_saveexec_b64 s[2:3], s[4:5]
	s_cbranch_execz .LBB572_10
; %bb.9:
	v_ashrrev_i32_e32 v1, 31, v0
	v_lshlrev_b64 v[0:1], 3, v[0:1]
	v_add_co_u32_e32 v0, vcc, v6, v0
	v_addc_co_u32_e32 v1, vcc, v7, v1, vcc
	flat_load_dwordx2 v[10:11], v[0:1]
	s_waitcnt vmcnt(0) lgkmcnt(0)
	v_mul_f64 v[10:11], s[12:13], v[10:11]
	v_fma_f64 v[8:9], s[16:17], v[8:9], v[10:11]
	flat_store_dwordx2 v[0:1], v[8:9]
.LBB572_10:
	s_or_b64 exec, exec, s[2:3]
	v_cmp_le_i32_e32 vcc, v5, v4
	s_and_b64 s[0:1], vcc, s[0:1]
	s_and_saveexec_b64 s[2:3], s[0:1]
	s_cbranch_execz .LBB572_12
; %bb.11:
	v_ashrrev_i32_e32 v5, 31, v4
	v_lshlrev_b64 v[0:1], 3, v[4:5]
	v_add_co_u32_e32 v0, vcc, v6, v0
	v_addc_co_u32_e32 v1, vcc, v7, v1, vcc
	flat_load_dwordx2 v[4:5], v[0:1]
	s_waitcnt vmcnt(0) lgkmcnt(0)
	v_mul_f64 v[4:5], s[12:13], v[4:5]
	v_fma_f64 v[2:3], s[16:17], v[2:3], v[4:5]
	flat_store_dwordx2 v[0:1], v[2:3]
.LBB572_12:
	s_endpgm
	.section	.rodata,"a",@progbits
	.p2align	6, 0x0
	.amdhsa_kernel _ZL37rocblas_syrkx_herkx_restricted_kernelIidLi16ELi32ELi8ELb0ELb0ELc67ELc76EKPKdKPdEviT_T0_PT8_S5_lS8_S5_lS6_PT9_S5_li
		.amdhsa_group_segment_fixed_size 4096
		.amdhsa_private_segment_fixed_size 0
		.amdhsa_kernarg_size 100
		.amdhsa_user_sgpr_count 6
		.amdhsa_user_sgpr_private_segment_buffer 1
		.amdhsa_user_sgpr_dispatch_ptr 0
		.amdhsa_user_sgpr_queue_ptr 0
		.amdhsa_user_sgpr_kernarg_segment_ptr 1
		.amdhsa_user_sgpr_dispatch_id 0
		.amdhsa_user_sgpr_flat_scratch_init 0
		.amdhsa_user_sgpr_private_segment_size 0
		.amdhsa_uses_dynamic_stack 0
		.amdhsa_system_sgpr_private_segment_wavefront_offset 0
		.amdhsa_system_sgpr_workgroup_id_x 1
		.amdhsa_system_sgpr_workgroup_id_y 1
		.amdhsa_system_sgpr_workgroup_id_z 1
		.amdhsa_system_sgpr_workgroup_info 0
		.amdhsa_system_vgpr_workitem_id 1
		.amdhsa_next_free_vgpr 38
		.amdhsa_next_free_sgpr 23
		.amdhsa_reserve_vcc 1
		.amdhsa_reserve_flat_scratch 0
		.amdhsa_float_round_mode_32 0
		.amdhsa_float_round_mode_16_64 0
		.amdhsa_float_denorm_mode_32 3
		.amdhsa_float_denorm_mode_16_64 3
		.amdhsa_dx10_clamp 1
		.amdhsa_ieee_mode 1
		.amdhsa_fp16_overflow 0
		.amdhsa_exception_fp_ieee_invalid_op 0
		.amdhsa_exception_fp_denorm_src 0
		.amdhsa_exception_fp_ieee_div_zero 0
		.amdhsa_exception_fp_ieee_overflow 0
		.amdhsa_exception_fp_ieee_underflow 0
		.amdhsa_exception_fp_ieee_inexact 0
		.amdhsa_exception_int_div_zero 0
	.end_amdhsa_kernel
	.section	.text._ZL37rocblas_syrkx_herkx_restricted_kernelIidLi16ELi32ELi8ELb0ELb0ELc67ELc76EKPKdKPdEviT_T0_PT8_S5_lS8_S5_lS6_PT9_S5_li,"axG",@progbits,_ZL37rocblas_syrkx_herkx_restricted_kernelIidLi16ELi32ELi8ELb0ELb0ELc67ELc76EKPKdKPdEviT_T0_PT8_S5_lS8_S5_lS6_PT9_S5_li,comdat
.Lfunc_end572:
	.size	_ZL37rocblas_syrkx_herkx_restricted_kernelIidLi16ELi32ELi8ELb0ELb0ELc67ELc76EKPKdKPdEviT_T0_PT8_S5_lS8_S5_lS6_PT9_S5_li, .Lfunc_end572-_ZL37rocblas_syrkx_herkx_restricted_kernelIidLi16ELi32ELi8ELb0ELb0ELc67ELc76EKPKdKPdEviT_T0_PT8_S5_lS8_S5_lS6_PT9_S5_li
                                        ; -- End function
	.set _ZL37rocblas_syrkx_herkx_restricted_kernelIidLi16ELi32ELi8ELb0ELb0ELc67ELc76EKPKdKPdEviT_T0_PT8_S5_lS8_S5_lS6_PT9_S5_li.num_vgpr, 38
	.set _ZL37rocblas_syrkx_herkx_restricted_kernelIidLi16ELi32ELi8ELb0ELb0ELc67ELc76EKPKdKPdEviT_T0_PT8_S5_lS8_S5_lS6_PT9_S5_li.num_agpr, 0
	.set _ZL37rocblas_syrkx_herkx_restricted_kernelIidLi16ELi32ELi8ELb0ELb0ELc67ELc76EKPKdKPdEviT_T0_PT8_S5_lS8_S5_lS6_PT9_S5_li.numbered_sgpr, 23
	.set _ZL37rocblas_syrkx_herkx_restricted_kernelIidLi16ELi32ELi8ELb0ELb0ELc67ELc76EKPKdKPdEviT_T0_PT8_S5_lS8_S5_lS6_PT9_S5_li.num_named_barrier, 0
	.set _ZL37rocblas_syrkx_herkx_restricted_kernelIidLi16ELi32ELi8ELb0ELb0ELc67ELc76EKPKdKPdEviT_T0_PT8_S5_lS8_S5_lS6_PT9_S5_li.private_seg_size, 0
	.set _ZL37rocblas_syrkx_herkx_restricted_kernelIidLi16ELi32ELi8ELb0ELb0ELc67ELc76EKPKdKPdEviT_T0_PT8_S5_lS8_S5_lS6_PT9_S5_li.uses_vcc, 1
	.set _ZL37rocblas_syrkx_herkx_restricted_kernelIidLi16ELi32ELi8ELb0ELb0ELc67ELc76EKPKdKPdEviT_T0_PT8_S5_lS8_S5_lS6_PT9_S5_li.uses_flat_scratch, 0
	.set _ZL37rocblas_syrkx_herkx_restricted_kernelIidLi16ELi32ELi8ELb0ELb0ELc67ELc76EKPKdKPdEviT_T0_PT8_S5_lS8_S5_lS6_PT9_S5_li.has_dyn_sized_stack, 0
	.set _ZL37rocblas_syrkx_herkx_restricted_kernelIidLi16ELi32ELi8ELb0ELb0ELc67ELc76EKPKdKPdEviT_T0_PT8_S5_lS8_S5_lS6_PT9_S5_li.has_recursion, 0
	.set _ZL37rocblas_syrkx_herkx_restricted_kernelIidLi16ELi32ELi8ELb0ELb0ELc67ELc76EKPKdKPdEviT_T0_PT8_S5_lS8_S5_lS6_PT9_S5_li.has_indirect_call, 0
	.section	.AMDGPU.csdata,"",@progbits
; Kernel info:
; codeLenInByte = 1288
; TotalNumSgprs: 27
; NumVgprs: 38
; ScratchSize: 0
; MemoryBound: 0
; FloatMode: 240
; IeeeMode: 1
; LDSByteSize: 4096 bytes/workgroup (compile time only)
; SGPRBlocks: 3
; VGPRBlocks: 9
; NumSGPRsForWavesPerEU: 27
; NumVGPRsForWavesPerEU: 38
; Occupancy: 6
; WaveLimiterHint : 1
; COMPUTE_PGM_RSRC2:SCRATCH_EN: 0
; COMPUTE_PGM_RSRC2:USER_SGPR: 6
; COMPUTE_PGM_RSRC2:TRAP_HANDLER: 0
; COMPUTE_PGM_RSRC2:TGID_X_EN: 1
; COMPUTE_PGM_RSRC2:TGID_Y_EN: 1
; COMPUTE_PGM_RSRC2:TGID_Z_EN: 1
; COMPUTE_PGM_RSRC2:TIDIG_COMP_CNT: 1
	.section	.text._ZL37rocblas_syrkx_herkx_restricted_kernelIidLi16ELi32ELi8ELb0ELb0ELc78ELc76EKPKdKPdEviT_T0_PT8_S5_lS8_S5_lS6_PT9_S5_li,"axG",@progbits,_ZL37rocblas_syrkx_herkx_restricted_kernelIidLi16ELi32ELi8ELb0ELb0ELc78ELc76EKPKdKPdEviT_T0_PT8_S5_lS8_S5_lS6_PT9_S5_li,comdat
	.globl	_ZL37rocblas_syrkx_herkx_restricted_kernelIidLi16ELi32ELi8ELb0ELb0ELc78ELc76EKPKdKPdEviT_T0_PT8_S5_lS8_S5_lS6_PT9_S5_li ; -- Begin function _ZL37rocblas_syrkx_herkx_restricted_kernelIidLi16ELi32ELi8ELb0ELb0ELc78ELc76EKPKdKPdEviT_T0_PT8_S5_lS8_S5_lS6_PT9_S5_li
	.p2align	8
	.type	_ZL37rocblas_syrkx_herkx_restricted_kernelIidLi16ELi32ELi8ELb0ELb0ELc78ELc76EKPKdKPdEviT_T0_PT8_S5_lS8_S5_lS6_PT9_S5_li,@function
_ZL37rocblas_syrkx_herkx_restricted_kernelIidLi16ELi32ELi8ELb0ELb0ELc78ELc76EKPKdKPdEviT_T0_PT8_S5_lS8_S5_lS6_PT9_S5_li: ; @_ZL37rocblas_syrkx_herkx_restricted_kernelIidLi16ELi32ELi8ELb0ELb0ELc78ELc76EKPKdKPdEviT_T0_PT8_S5_lS8_S5_lS6_PT9_S5_li
; %bb.0:
	s_load_dwordx4 s[12:15], s[4:5], 0x40
	s_load_dwordx2 s[20:21], s[4:5], 0x0
	s_load_dwordx4 s[16:19], s[4:5], 0x8
	s_mov_b32 s9, 0
	s_lshl_b64 s[0:1], s[8:9], 3
	s_waitcnt lgkmcnt(0)
	s_add_u32 s2, s14, s0
	s_addc_u32 s3, s15, s1
	s_load_dwordx2 s[10:11], s[2:3], 0x0
	s_lshl_b32 s6, s6, 5
	s_lshl_b32 s7, s7, 5
	s_cmp_lt_i32 s21, 1
	s_cbranch_scc1 .LBB573_3
; %bb.1:
	s_load_dword s2, s[4:5], 0x18
	s_load_dword s14, s[4:5], 0x30
	s_load_dwordx2 s[22:23], s[4:5], 0x28
	v_lshl_add_u32 v2, v1, 4, v0
	v_and_b32_e32 v7, 31, v2
	s_waitcnt lgkmcnt(0)
	s_ashr_i32 s3, s2, 31
	s_ashr_i32 s15, s14, 31
	s_add_u32 s18, s18, s0
	v_lshrrev_b32_e32 v4, 3, v2
	v_lshrrev_b32_e32 v6, 5, v2
	v_and_b32_e32 v5, 7, v0
	v_lshlrev_b32_e32 v8, 3, v7
	s_addc_u32 s19, s19, s1
	v_add_u32_e32 v2, s7, v4
	v_lshl_or_b32 v14, v6, 8, v8
	v_lshlrev_b32_e32 v8, 3, v5
	s_add_u32 s0, s22, s0
	v_ashrrev_i32_e32 v3, 31, v2
	v_lshl_or_b32 v4, v4, 6, v8
	s_addc_u32 s1, s23, s1
	v_add_u32_e32 v15, 0x800, v4
	v_mad_i64_i32 v[2:3], s[22:23], s14, v5, v[2:3]
	v_mov_b32_e32 v4, 0x800
	s_load_dwordx2 s[0:1], s[0:1], 0x0
	v_lshl_add_u32 v17, v1, 6, v4
	v_add_u32_e32 v4, s6, v7
	v_ashrrev_i32_e32 v5, 31, v4
	v_mad_i64_i32 v[6:7], s[22:23], s2, v6, v[4:5]
	s_load_dwordx2 s[18:19], s[18:19], 0x0
	v_lshlrev_b64 v[2:3], 3, v[2:3]
	s_waitcnt lgkmcnt(0)
	v_mov_b32_e32 v8, s1
	v_add_co_u32_e32 v4, vcc, s0, v2
	v_addc_co_u32_e32 v5, vcc, v8, v3, vcc
	v_lshlrev_b64 v[2:3], 3, v[6:7]
	v_mov_b32_e32 v7, s19
	v_add_co_u32_e32 v6, vcc, s18, v2
	s_lshl_b64 s[0:1], s[14:15], 6
	v_addc_co_u32_e32 v7, vcc, v7, v3, vcc
	s_lshl_b64 s[2:3], s[2:3], 6
	v_mov_b32_e32 v2, 0
	v_mov_b32_e32 v8, 0
	;; [unrolled: 1-line block ×4, first 2 shown]
	v_lshlrev_b32_e32 v16, 3, v0
	v_mov_b32_e32 v3, 0
	v_mov_b32_e32 v18, s1
	;; [unrolled: 1-line block ×6, first 2 shown]
.LBB573_2:                              ; =>This Inner Loop Header: Depth=1
	flat_load_dwordx2 v[20:21], v[6:7]
	v_add_co_u32_e32 v6, vcc, s2, v6
	v_addc_co_u32_e32 v7, vcc, v7, v19, vcc
	s_add_i32 s9, s9, 8
	s_cmp_ge_i32 s9, s21
	s_waitcnt vmcnt(0) lgkmcnt(0)
	ds_write_b64 v14, v[20:21]
	flat_load_dwordx2 v[20:21], v[4:5]
	v_add_co_u32_e32 v4, vcc, s0, v4
	v_addc_co_u32_e32 v5, vcc, v5, v18, vcc
	s_waitcnt vmcnt(0) lgkmcnt(0)
	ds_write_b64 v15, v[20:21]
	s_waitcnt lgkmcnt(0)
	s_barrier
	ds_read2_b64 v[20:23], v16 offset1:16
	ds_read_b128 v[24:27], v17
	ds_read_b128 v[28:31], v17 offset:16
	s_waitcnt lgkmcnt(1)
	v_fma_f64 v[36:37], v[20:21], v[24:25], v[12:13]
	v_fma_f64 v[24:25], v[22:23], v[24:25], v[10:11]
	ds_read_b128 v[10:13], v17 offset:1024
	ds_read_b128 v[32:35], v17 offset:1040
	s_waitcnt lgkmcnt(1)
	v_fma_f64 v[20:21], v[20:21], v[10:11], v[8:9]
	v_fma_f64 v[2:3], v[22:23], v[10:11], v[2:3]
	ds_read2_b64 v[8:11], v16 offset0:32 offset1:48
	s_waitcnt lgkmcnt(0)
	v_fma_f64 v[22:23], v[8:9], v[26:27], v[36:37]
	v_fma_f64 v[24:25], v[10:11], v[26:27], v[24:25]
	v_fma_f64 v[20:21], v[8:9], v[12:13], v[20:21]
	v_fma_f64 v[2:3], v[10:11], v[12:13], v[2:3]
	ds_read2_b64 v[8:11], v16 offset0:64 offset1:80
	s_waitcnt lgkmcnt(0)
	v_fma_f64 v[12:13], v[8:9], v[28:29], v[22:23]
	v_fma_f64 v[22:23], v[10:11], v[28:29], v[24:25]
	;; [unrolled: 6-line block ×3, first 2 shown]
	ds_read2_b64 v[20:23], v16 offset0:128 offset1:144
	v_fma_f64 v[36:37], v[8:9], v[34:35], v[24:25]
	v_fma_f64 v[2:3], v[10:11], v[34:35], v[2:3]
	ds_read_b128 v[8:11], v17 offset:32
	ds_read_b128 v[24:27], v17 offset:48
	s_waitcnt lgkmcnt(1)
	v_fma_f64 v[12:13], v[20:21], v[8:9], v[12:13]
	v_fma_f64 v[8:9], v[22:23], v[8:9], v[28:29]
	ds_read_b128 v[28:31], v17 offset:1056
	ds_read_b128 v[32:35], v17 offset:1072
	s_waitcnt lgkmcnt(1)
	v_fma_f64 v[36:37], v[20:21], v[28:29], v[36:37]
	v_fma_f64 v[2:3], v[22:23], v[28:29], v[2:3]
	ds_read2_b64 v[20:23], v16 offset0:160 offset1:176
	s_waitcnt lgkmcnt(0)
	v_fma_f64 v[12:13], v[20:21], v[10:11], v[12:13]
	v_fma_f64 v[28:29], v[22:23], v[10:11], v[8:9]
	;; [unrolled: 1-line block ×4, first 2 shown]
	ds_read2_b64 v[8:11], v16 offset0:192 offset1:208
	s_waitcnt lgkmcnt(0)
	v_fma_f64 v[12:13], v[8:9], v[24:25], v[12:13]
	v_fma_f64 v[24:25], v[10:11], v[24:25], v[28:29]
	;; [unrolled: 1-line block ×4, first 2 shown]
	ds_read2_b64 v[20:23], v16 offset0:224 offset1:240
	s_waitcnt lgkmcnt(0)
	s_barrier
	v_fma_f64 v[12:13], v[20:21], v[26:27], v[12:13]
	v_fma_f64 v[10:11], v[22:23], v[26:27], v[24:25]
	;; [unrolled: 1-line block ×4, first 2 shown]
	s_cbranch_scc0 .LBB573_2
	s_branch .LBB573_4
.LBB573_3:
	v_mov_b32_e32 v12, 0
	v_mov_b32_e32 v10, 0
	;; [unrolled: 1-line block ×8, first 2 shown]
.LBB573_4:
	s_load_dword s8, s[4:5], 0x50
	v_add_u32_e32 v6, s7, v1
	s_waitcnt lgkmcnt(0)
	v_mov_b32_e32 v1, s11
	v_add_u32_e32 v0, s6, v0
	v_mad_i64_i32 v[4:5], s[0:1], v6, s8, 0
	v_cmp_le_i32_e64 s[0:1], v6, v0
	v_lshlrev_b64 v[4:5], 3, v[4:5]
	v_add_co_u32_e32 v7, vcc, s10, v4
	v_addc_co_u32_e32 v14, vcc, v1, v5, vcc
	v_cmp_gt_i32_e32 vcc, s20, v0
	s_and_b64 s[0:1], s[0:1], vcc
	s_and_saveexec_b64 s[2:3], s[0:1]
	s_cbranch_execz .LBB573_6
; %bb.5:
	v_ashrrev_i32_e32 v1, 31, v0
	v_lshlrev_b64 v[4:5], 3, v[0:1]
	v_add_co_u32_e64 v4, s[0:1], v7, v4
	v_addc_co_u32_e64 v5, s[0:1], v14, v5, s[0:1]
	flat_load_dwordx2 v[15:16], v[4:5]
	s_waitcnt vmcnt(0) lgkmcnt(0)
	v_mul_f64 v[15:16], s[12:13], v[15:16]
	v_fma_f64 v[12:13], s[16:17], v[12:13], v[15:16]
	flat_store_dwordx2 v[4:5], v[12:13]
.LBB573_6:
	s_or_b64 exec, exec, s[2:3]
	v_add_u32_e32 v4, 16, v0
	v_cmp_le_i32_e64 s[2:3], v6, v4
	v_cmp_gt_i32_e64 s[0:1], s20, v4
	s_and_b64 s[2:3], s[2:3], s[0:1]
	s_and_saveexec_b64 s[4:5], s[2:3]
	s_cbranch_execz .LBB573_8
; %bb.7:
	v_ashrrev_i32_e32 v5, 31, v4
	v_lshlrev_b64 v[12:13], 3, v[4:5]
	v_add_co_u32_e64 v12, s[2:3], v7, v12
	v_addc_co_u32_e64 v13, s[2:3], v14, v13, s[2:3]
	flat_load_dwordx2 v[14:15], v[12:13]
	s_waitcnt vmcnt(0) lgkmcnt(0)
	v_mul_f64 v[14:15], s[12:13], v[14:15]
	v_fma_f64 v[10:11], s[16:17], v[10:11], v[14:15]
	flat_store_dwordx2 v[12:13], v[10:11]
.LBB573_8:
	s_or_b64 exec, exec, s[4:5]
	v_add_u32_e32 v5, 16, v6
	v_mad_i64_i32 v[6:7], s[2:3], v5, s8, 0
	v_mov_b32_e32 v1, s11
	v_lshlrev_b64 v[6:7], 3, v[6:7]
	v_add_co_u32_e64 v6, s[2:3], s10, v6
	v_addc_co_u32_e64 v7, s[2:3], v1, v7, s[2:3]
	v_cmp_le_i32_e64 s[2:3], v5, v0
	s_and_b64 s[4:5], s[2:3], vcc
	s_and_saveexec_b64 s[2:3], s[4:5]
	s_cbranch_execz .LBB573_10
; %bb.9:
	v_ashrrev_i32_e32 v1, 31, v0
	v_lshlrev_b64 v[0:1], 3, v[0:1]
	v_add_co_u32_e32 v0, vcc, v6, v0
	v_addc_co_u32_e32 v1, vcc, v7, v1, vcc
	flat_load_dwordx2 v[10:11], v[0:1]
	s_waitcnt vmcnt(0) lgkmcnt(0)
	v_mul_f64 v[10:11], s[12:13], v[10:11]
	v_fma_f64 v[8:9], s[16:17], v[8:9], v[10:11]
	flat_store_dwordx2 v[0:1], v[8:9]
.LBB573_10:
	s_or_b64 exec, exec, s[2:3]
	v_cmp_le_i32_e32 vcc, v5, v4
	s_and_b64 s[0:1], vcc, s[0:1]
	s_and_saveexec_b64 s[2:3], s[0:1]
	s_cbranch_execz .LBB573_12
; %bb.11:
	v_ashrrev_i32_e32 v5, 31, v4
	v_lshlrev_b64 v[0:1], 3, v[4:5]
	v_add_co_u32_e32 v0, vcc, v6, v0
	v_addc_co_u32_e32 v1, vcc, v7, v1, vcc
	flat_load_dwordx2 v[4:5], v[0:1]
	s_waitcnt vmcnt(0) lgkmcnt(0)
	v_mul_f64 v[4:5], s[12:13], v[4:5]
	v_fma_f64 v[2:3], s[16:17], v[2:3], v[4:5]
	flat_store_dwordx2 v[0:1], v[2:3]
.LBB573_12:
	s_endpgm
	.section	.rodata,"a",@progbits
	.p2align	6, 0x0
	.amdhsa_kernel _ZL37rocblas_syrkx_herkx_restricted_kernelIidLi16ELi32ELi8ELb0ELb0ELc78ELc76EKPKdKPdEviT_T0_PT8_S5_lS8_S5_lS6_PT9_S5_li
		.amdhsa_group_segment_fixed_size 4096
		.amdhsa_private_segment_fixed_size 0
		.amdhsa_kernarg_size 100
		.amdhsa_user_sgpr_count 6
		.amdhsa_user_sgpr_private_segment_buffer 1
		.amdhsa_user_sgpr_dispatch_ptr 0
		.amdhsa_user_sgpr_queue_ptr 0
		.amdhsa_user_sgpr_kernarg_segment_ptr 1
		.amdhsa_user_sgpr_dispatch_id 0
		.amdhsa_user_sgpr_flat_scratch_init 0
		.amdhsa_user_sgpr_private_segment_size 0
		.amdhsa_uses_dynamic_stack 0
		.amdhsa_system_sgpr_private_segment_wavefront_offset 0
		.amdhsa_system_sgpr_workgroup_id_x 1
		.amdhsa_system_sgpr_workgroup_id_y 1
		.amdhsa_system_sgpr_workgroup_id_z 1
		.amdhsa_system_sgpr_workgroup_info 0
		.amdhsa_system_vgpr_workitem_id 1
		.amdhsa_next_free_vgpr 38
		.amdhsa_next_free_sgpr 24
		.amdhsa_reserve_vcc 1
		.amdhsa_reserve_flat_scratch 0
		.amdhsa_float_round_mode_32 0
		.amdhsa_float_round_mode_16_64 0
		.amdhsa_float_denorm_mode_32 3
		.amdhsa_float_denorm_mode_16_64 3
		.amdhsa_dx10_clamp 1
		.amdhsa_ieee_mode 1
		.amdhsa_fp16_overflow 0
		.amdhsa_exception_fp_ieee_invalid_op 0
		.amdhsa_exception_fp_denorm_src 0
		.amdhsa_exception_fp_ieee_div_zero 0
		.amdhsa_exception_fp_ieee_overflow 0
		.amdhsa_exception_fp_ieee_underflow 0
		.amdhsa_exception_fp_ieee_inexact 0
		.amdhsa_exception_int_div_zero 0
	.end_amdhsa_kernel
	.section	.text._ZL37rocblas_syrkx_herkx_restricted_kernelIidLi16ELi32ELi8ELb0ELb0ELc78ELc76EKPKdKPdEviT_T0_PT8_S5_lS8_S5_lS6_PT9_S5_li,"axG",@progbits,_ZL37rocblas_syrkx_herkx_restricted_kernelIidLi16ELi32ELi8ELb0ELb0ELc78ELc76EKPKdKPdEviT_T0_PT8_S5_lS8_S5_lS6_PT9_S5_li,comdat
.Lfunc_end573:
	.size	_ZL37rocblas_syrkx_herkx_restricted_kernelIidLi16ELi32ELi8ELb0ELb0ELc78ELc76EKPKdKPdEviT_T0_PT8_S5_lS8_S5_lS6_PT9_S5_li, .Lfunc_end573-_ZL37rocblas_syrkx_herkx_restricted_kernelIidLi16ELi32ELi8ELb0ELb0ELc78ELc76EKPKdKPdEviT_T0_PT8_S5_lS8_S5_lS6_PT9_S5_li
                                        ; -- End function
	.set _ZL37rocblas_syrkx_herkx_restricted_kernelIidLi16ELi32ELi8ELb0ELb0ELc78ELc76EKPKdKPdEviT_T0_PT8_S5_lS8_S5_lS6_PT9_S5_li.num_vgpr, 38
	.set _ZL37rocblas_syrkx_herkx_restricted_kernelIidLi16ELi32ELi8ELb0ELb0ELc78ELc76EKPKdKPdEviT_T0_PT8_S5_lS8_S5_lS6_PT9_S5_li.num_agpr, 0
	.set _ZL37rocblas_syrkx_herkx_restricted_kernelIidLi16ELi32ELi8ELb0ELb0ELc78ELc76EKPKdKPdEviT_T0_PT8_S5_lS8_S5_lS6_PT9_S5_li.numbered_sgpr, 24
	.set _ZL37rocblas_syrkx_herkx_restricted_kernelIidLi16ELi32ELi8ELb0ELb0ELc78ELc76EKPKdKPdEviT_T0_PT8_S5_lS8_S5_lS6_PT9_S5_li.num_named_barrier, 0
	.set _ZL37rocblas_syrkx_herkx_restricted_kernelIidLi16ELi32ELi8ELb0ELb0ELc78ELc76EKPKdKPdEviT_T0_PT8_S5_lS8_S5_lS6_PT9_S5_li.private_seg_size, 0
	.set _ZL37rocblas_syrkx_herkx_restricted_kernelIidLi16ELi32ELi8ELb0ELb0ELc78ELc76EKPKdKPdEviT_T0_PT8_S5_lS8_S5_lS6_PT9_S5_li.uses_vcc, 1
	.set _ZL37rocblas_syrkx_herkx_restricted_kernelIidLi16ELi32ELi8ELb0ELb0ELc78ELc76EKPKdKPdEviT_T0_PT8_S5_lS8_S5_lS6_PT9_S5_li.uses_flat_scratch, 0
	.set _ZL37rocblas_syrkx_herkx_restricted_kernelIidLi16ELi32ELi8ELb0ELb0ELc78ELc76EKPKdKPdEviT_T0_PT8_S5_lS8_S5_lS6_PT9_S5_li.has_dyn_sized_stack, 0
	.set _ZL37rocblas_syrkx_herkx_restricted_kernelIidLi16ELi32ELi8ELb0ELb0ELc78ELc76EKPKdKPdEviT_T0_PT8_S5_lS8_S5_lS6_PT9_S5_li.has_recursion, 0
	.set _ZL37rocblas_syrkx_herkx_restricted_kernelIidLi16ELi32ELi8ELb0ELb0ELc78ELc76EKPKdKPdEviT_T0_PT8_S5_lS8_S5_lS6_PT9_S5_li.has_indirect_call, 0
	.section	.AMDGPU.csdata,"",@progbits
; Kernel info:
; codeLenInByte = 1312
; TotalNumSgprs: 28
; NumVgprs: 38
; ScratchSize: 0
; MemoryBound: 0
; FloatMode: 240
; IeeeMode: 1
; LDSByteSize: 4096 bytes/workgroup (compile time only)
; SGPRBlocks: 3
; VGPRBlocks: 9
; NumSGPRsForWavesPerEU: 28
; NumVGPRsForWavesPerEU: 38
; Occupancy: 6
; WaveLimiterHint : 1
; COMPUTE_PGM_RSRC2:SCRATCH_EN: 0
; COMPUTE_PGM_RSRC2:USER_SGPR: 6
; COMPUTE_PGM_RSRC2:TRAP_HANDLER: 0
; COMPUTE_PGM_RSRC2:TGID_X_EN: 1
; COMPUTE_PGM_RSRC2:TGID_Y_EN: 1
; COMPUTE_PGM_RSRC2:TGID_Z_EN: 1
; COMPUTE_PGM_RSRC2:TIDIG_COMP_CNT: 1
	.section	.text._ZL37rocblas_syrkx_herkx_restricted_kernelIidLi16ELi32ELi8ELb0ELb0ELc84ELc85EKPKdKPdEviT_T0_PT8_S5_lS8_S5_lS6_PT9_S5_li,"axG",@progbits,_ZL37rocblas_syrkx_herkx_restricted_kernelIidLi16ELi32ELi8ELb0ELb0ELc84ELc85EKPKdKPdEviT_T0_PT8_S5_lS8_S5_lS6_PT9_S5_li,comdat
	.globl	_ZL37rocblas_syrkx_herkx_restricted_kernelIidLi16ELi32ELi8ELb0ELb0ELc84ELc85EKPKdKPdEviT_T0_PT8_S5_lS8_S5_lS6_PT9_S5_li ; -- Begin function _ZL37rocblas_syrkx_herkx_restricted_kernelIidLi16ELi32ELi8ELb0ELb0ELc84ELc85EKPKdKPdEviT_T0_PT8_S5_lS8_S5_lS6_PT9_S5_li
	.p2align	8
	.type	_ZL37rocblas_syrkx_herkx_restricted_kernelIidLi16ELi32ELi8ELb0ELb0ELc84ELc85EKPKdKPdEviT_T0_PT8_S5_lS8_S5_lS6_PT9_S5_li,@function
_ZL37rocblas_syrkx_herkx_restricted_kernelIidLi16ELi32ELi8ELb0ELb0ELc84ELc85EKPKdKPdEviT_T0_PT8_S5_lS8_S5_lS6_PT9_S5_li: ; @_ZL37rocblas_syrkx_herkx_restricted_kernelIidLi16ELi32ELi8ELb0ELb0ELc84ELc85EKPKdKPdEviT_T0_PT8_S5_lS8_S5_lS6_PT9_S5_li
; %bb.0:
	s_load_dwordx4 s[12:15], s[4:5], 0x40
	s_load_dwordx2 s[2:3], s[4:5], 0x0
	s_load_dwordx4 s[16:19], s[4:5], 0x8
	s_mov_b32 s9, 0
	s_lshl_b64 s[0:1], s[8:9], 3
	s_waitcnt lgkmcnt(0)
	s_add_u32 s10, s14, s0
	s_addc_u32 s11, s15, s1
	s_load_dwordx2 s[10:11], s[10:11], 0x0
	s_lshl_b32 s6, s6, 5
	s_lshl_b32 s7, s7, 5
	s_cmp_lt_i32 s3, 1
	s_cbranch_scc1 .LBB574_3
; %bb.1:
	s_load_dword s8, s[4:5], 0x18
	s_load_dwordx2 s[14:15], s[4:5], 0x28
	s_load_dword s20, s[4:5], 0x30
	s_add_u32 s18, s18, s0
	v_lshl_add_u32 v3, v1, 4, v0
	s_addc_u32 s19, s19, s1
	v_lshrrev_b32_e32 v6, 3, v3
	v_and_b32_e32 v7, 31, v3
	s_waitcnt lgkmcnt(0)
	s_add_u32 s0, s14, s0
	v_lshrrev_b32_e32 v2, 5, v3
	v_and_b32_e32 v4, 7, v0
	v_add_u32_e32 v8, s7, v6
	v_mov_b32_e32 v5, 0
	v_lshlrev_b32_e32 v9, 3, v7
	s_addc_u32 s1, s15, s1
	v_mov_b32_e32 v3, v5
	v_lshl_or_b32 v14, v2, 8, v9
	v_lshlrev_b32_e32 v9, 3, v4
	v_mad_i64_i32 v[4:5], s[14:15], s20, v8, v[4:5]
	s_load_dwordx2 s[0:1], s[0:1], 0x0
	v_add_u32_e32 v7, s6, v7
	v_mad_i64_i32 v[2:3], s[14:15], s8, v7, v[2:3]
	s_load_dwordx2 s[18:19], s[18:19], 0x0
	v_lshlrev_b64 v[4:5], 3, v[4:5]
	v_lshl_or_b32 v6, v6, 6, v9
	v_add_u32_e32 v15, 0x800, v6
	s_waitcnt lgkmcnt(0)
	v_mov_b32_e32 v6, s1
	v_add_co_u32_e32 v4, vcc, s0, v4
	v_lshlrev_b64 v[2:3], 3, v[2:3]
	v_addc_co_u32_e32 v5, vcc, v6, v5, vcc
	v_mov_b32_e32 v7, s19
	v_add_co_u32_e32 v6, vcc, s18, v2
	v_mov_b32_e32 v17, 0x800
	v_addc_co_u32_e32 v7, vcc, v7, v3, vcc
	v_mov_b32_e32 v2, 0
	v_mov_b32_e32 v8, 0
	;; [unrolled: 1-line block ×4, first 2 shown]
	v_lshlrev_b32_e32 v16, 3, v0
	v_mov_b32_e32 v3, 0
	v_mov_b32_e32 v9, 0
	;; [unrolled: 1-line block ×4, first 2 shown]
	v_lshl_add_u32 v17, v1, 6, v17
.LBB574_2:                              ; =>This Inner Loop Header: Depth=1
	flat_load_dwordx2 v[18:19], v[6:7]
	v_add_co_u32_e32 v6, vcc, 64, v6
	v_addc_co_u32_e32 v7, vcc, 0, v7, vcc
	s_add_i32 s9, s9, 8
	s_cmp_ge_i32 s9, s3
	s_waitcnt vmcnt(0) lgkmcnt(0)
	ds_write_b64 v14, v[18:19]
	flat_load_dwordx2 v[18:19], v[4:5]
	v_add_co_u32_e32 v4, vcc, 64, v4
	v_addc_co_u32_e32 v5, vcc, 0, v5, vcc
	s_waitcnt vmcnt(0) lgkmcnt(0)
	ds_write_b64 v15, v[18:19]
	s_waitcnt lgkmcnt(0)
	s_barrier
	ds_read2_b64 v[18:21], v16 offset1:16
	ds_read_b128 v[22:25], v17
	ds_read_b128 v[26:29], v17 offset:1024
	ds_read_b128 v[30:33], v17 offset:16
	s_waitcnt lgkmcnt(2)
	v_fma_f64 v[34:35], v[18:19], v[22:23], v[12:13]
	v_fma_f64 v[22:23], v[20:21], v[22:23], v[10:11]
	s_waitcnt lgkmcnt(1)
	v_fma_f64 v[8:9], v[18:19], v[26:27], v[8:9]
	v_fma_f64 v[2:3], v[20:21], v[26:27], v[2:3]
	ds_read2_b64 v[18:21], v16 offset0:32 offset1:48
	ds_read_b128 v[10:13], v17 offset:1040
	s_waitcnt lgkmcnt(1)
	v_fma_f64 v[26:27], v[18:19], v[24:25], v[34:35]
	v_fma_f64 v[34:35], v[20:21], v[24:25], v[22:23]
	;; [unrolled: 1-line block ×4, first 2 shown]
	ds_read2_b64 v[18:21], v16 offset0:64 offset1:80
	ds_read2_b64 v[22:25], v16 offset0:96 offset1:112
	s_waitcnt lgkmcnt(1)
	v_fma_f64 v[26:27], v[18:19], v[30:31], v[26:27]
	v_fma_f64 v[28:29], v[20:21], v[30:31], v[34:35]
	;; [unrolled: 1-line block ×4, first 2 shown]
	ds_read2_b64 v[8:11], v16 offset0:128 offset1:144
	ds_read_b128 v[18:21], v17 offset:32
	s_waitcnt lgkmcnt(2)
	v_fma_f64 v[34:35], v[22:23], v[32:33], v[26:27]
	v_fma_f64 v[32:33], v[24:25], v[32:33], v[28:29]
	;; [unrolled: 1-line block ×4, first 2 shown]
	ds_read_b128 v[22:25], v17 offset:1056
	ds_read_b128 v[26:29], v17 offset:48
	s_waitcnt lgkmcnt(2)
	v_fma_f64 v[12:13], v[8:9], v[18:19], v[34:35]
	v_fma_f64 v[18:19], v[10:11], v[18:19], v[32:33]
	s_waitcnt lgkmcnt(1)
	v_fma_f64 v[34:35], v[8:9], v[22:23], v[36:37]
	v_fma_f64 v[2:3], v[10:11], v[22:23], v[2:3]
	ds_read2_b64 v[8:11], v16 offset0:160 offset1:176
	ds_read_b128 v[30:33], v17 offset:1072
	s_waitcnt lgkmcnt(1)
	v_fma_f64 v[12:13], v[8:9], v[20:21], v[12:13]
	v_fma_f64 v[18:19], v[10:11], v[20:21], v[18:19]
	;; [unrolled: 1-line block ×4, first 2 shown]
	ds_read2_b64 v[8:11], v16 offset0:192 offset1:208
	s_waitcnt lgkmcnt(0)
	v_fma_f64 v[12:13], v[8:9], v[26:27], v[12:13]
	v_fma_f64 v[22:23], v[10:11], v[26:27], v[18:19]
	;; [unrolled: 1-line block ×4, first 2 shown]
	ds_read2_b64 v[18:21], v16 offset0:224 offset1:240
	s_waitcnt lgkmcnt(0)
	s_barrier
	v_fma_f64 v[12:13], v[18:19], v[28:29], v[12:13]
	v_fma_f64 v[10:11], v[20:21], v[28:29], v[22:23]
	;; [unrolled: 1-line block ×4, first 2 shown]
	s_cbranch_scc0 .LBB574_2
	s_branch .LBB574_4
.LBB574_3:
	v_mov_b32_e32 v12, 0
	v_mov_b32_e32 v10, 0
	;; [unrolled: 1-line block ×8, first 2 shown]
.LBB574_4:
	s_load_dword s3, s[4:5], 0x50
	v_add_u32_e32 v6, s7, v1
	s_waitcnt lgkmcnt(0)
	v_mov_b32_e32 v1, s11
	v_add_u32_e32 v0, s6, v0
	v_cmp_gt_i32_e32 vcc, s2, v6
	v_mad_i64_i32 v[4:5], s[0:1], v6, s3, 0
	v_lshlrev_b64 v[4:5], 3, v[4:5]
	v_add_co_u32_e64 v7, s[0:1], s10, v4
	v_addc_co_u32_e64 v14, s[0:1], v1, v5, s[0:1]
	v_cmp_le_i32_e64 s[0:1], v0, v6
	s_and_b64 s[0:1], vcc, s[0:1]
	s_and_saveexec_b64 s[4:5], s[0:1]
	s_cbranch_execz .LBB574_6
; %bb.5:
	v_ashrrev_i32_e32 v1, 31, v0
	v_lshlrev_b64 v[4:5], 3, v[0:1]
	v_add_co_u32_e64 v4, s[0:1], v7, v4
	v_addc_co_u32_e64 v5, s[0:1], v14, v5, s[0:1]
	flat_load_dwordx2 v[15:16], v[4:5]
	s_waitcnt vmcnt(0) lgkmcnt(0)
	v_mul_f64 v[15:16], s[12:13], v[15:16]
	v_fma_f64 v[12:13], s[16:17], v[12:13], v[15:16]
	flat_store_dwordx2 v[4:5], v[12:13]
.LBB574_6:
	s_or_b64 exec, exec, s[4:5]
	v_add_u32_e32 v4, 16, v0
	v_cmp_le_i32_e64 s[0:1], v4, v6
	s_and_b64 s[4:5], vcc, s[0:1]
	s_and_saveexec_b64 s[0:1], s[4:5]
	s_cbranch_execz .LBB574_8
; %bb.7:
	v_ashrrev_i32_e32 v5, 31, v4
	v_lshlrev_b64 v[12:13], 3, v[4:5]
	v_add_co_u32_e32 v12, vcc, v7, v12
	v_addc_co_u32_e32 v13, vcc, v14, v13, vcc
	flat_load_dwordx2 v[14:15], v[12:13]
	s_waitcnt vmcnt(0) lgkmcnt(0)
	v_mul_f64 v[14:15], s[12:13], v[14:15]
	v_fma_f64 v[10:11], s[16:17], v[10:11], v[14:15]
	flat_store_dwordx2 v[12:13], v[10:11]
.LBB574_8:
	s_or_b64 exec, exec, s[0:1]
	v_add_u32_e32 v5, 16, v6
	v_mad_i64_i32 v[6:7], s[0:1], v5, s3, 0
	v_mov_b32_e32 v1, s11
	v_cmp_gt_i32_e32 vcc, s2, v5
	v_lshlrev_b64 v[6:7], 3, v[6:7]
	v_add_co_u32_e64 v6, s[0:1], s10, v6
	v_addc_co_u32_e64 v7, s[0:1], v1, v7, s[0:1]
	v_cmp_le_i32_e64 s[0:1], v0, v5
	s_and_b64 s[0:1], vcc, s[0:1]
	s_and_saveexec_b64 s[2:3], s[0:1]
	s_cbranch_execz .LBB574_10
; %bb.9:
	v_ashrrev_i32_e32 v1, 31, v0
	v_lshlrev_b64 v[0:1], 3, v[0:1]
	v_add_co_u32_e64 v0, s[0:1], v6, v0
	v_addc_co_u32_e64 v1, s[0:1], v7, v1, s[0:1]
	flat_load_dwordx2 v[10:11], v[0:1]
	s_waitcnt vmcnt(0) lgkmcnt(0)
	v_mul_f64 v[10:11], s[12:13], v[10:11]
	v_fma_f64 v[8:9], s[16:17], v[8:9], v[10:11]
	flat_store_dwordx2 v[0:1], v[8:9]
.LBB574_10:
	s_or_b64 exec, exec, s[2:3]
	v_cmp_le_i32_e64 s[0:1], v4, v5
	s_and_b64 s[0:1], vcc, s[0:1]
	s_and_saveexec_b64 s[2:3], s[0:1]
	s_cbranch_execz .LBB574_12
; %bb.11:
	v_ashrrev_i32_e32 v5, 31, v4
	v_lshlrev_b64 v[0:1], 3, v[4:5]
	v_add_co_u32_e32 v0, vcc, v6, v0
	v_addc_co_u32_e32 v1, vcc, v7, v1, vcc
	flat_load_dwordx2 v[4:5], v[0:1]
	s_waitcnt vmcnt(0) lgkmcnt(0)
	v_mul_f64 v[4:5], s[12:13], v[4:5]
	v_fma_f64 v[2:3], s[16:17], v[2:3], v[4:5]
	flat_store_dwordx2 v[0:1], v[2:3]
.LBB574_12:
	s_endpgm
	.section	.rodata,"a",@progbits
	.p2align	6, 0x0
	.amdhsa_kernel _ZL37rocblas_syrkx_herkx_restricted_kernelIidLi16ELi32ELi8ELb0ELb0ELc84ELc85EKPKdKPdEviT_T0_PT8_S5_lS8_S5_lS6_PT9_S5_li
		.amdhsa_group_segment_fixed_size 4096
		.amdhsa_private_segment_fixed_size 0
		.amdhsa_kernarg_size 100
		.amdhsa_user_sgpr_count 6
		.amdhsa_user_sgpr_private_segment_buffer 1
		.amdhsa_user_sgpr_dispatch_ptr 0
		.amdhsa_user_sgpr_queue_ptr 0
		.amdhsa_user_sgpr_kernarg_segment_ptr 1
		.amdhsa_user_sgpr_dispatch_id 0
		.amdhsa_user_sgpr_flat_scratch_init 0
		.amdhsa_user_sgpr_private_segment_size 0
		.amdhsa_uses_dynamic_stack 0
		.amdhsa_system_sgpr_private_segment_wavefront_offset 0
		.amdhsa_system_sgpr_workgroup_id_x 1
		.amdhsa_system_sgpr_workgroup_id_y 1
		.amdhsa_system_sgpr_workgroup_id_z 1
		.amdhsa_system_sgpr_workgroup_info 0
		.amdhsa_system_vgpr_workitem_id 1
		.amdhsa_next_free_vgpr 38
		.amdhsa_next_free_sgpr 21
		.amdhsa_reserve_vcc 1
		.amdhsa_reserve_flat_scratch 0
		.amdhsa_float_round_mode_32 0
		.amdhsa_float_round_mode_16_64 0
		.amdhsa_float_denorm_mode_32 3
		.amdhsa_float_denorm_mode_16_64 3
		.amdhsa_dx10_clamp 1
		.amdhsa_ieee_mode 1
		.amdhsa_fp16_overflow 0
		.amdhsa_exception_fp_ieee_invalid_op 0
		.amdhsa_exception_fp_denorm_src 0
		.amdhsa_exception_fp_ieee_div_zero 0
		.amdhsa_exception_fp_ieee_overflow 0
		.amdhsa_exception_fp_ieee_underflow 0
		.amdhsa_exception_fp_ieee_inexact 0
		.amdhsa_exception_int_div_zero 0
	.end_amdhsa_kernel
	.section	.text._ZL37rocblas_syrkx_herkx_restricted_kernelIidLi16ELi32ELi8ELb0ELb0ELc84ELc85EKPKdKPdEviT_T0_PT8_S5_lS8_S5_lS6_PT9_S5_li,"axG",@progbits,_ZL37rocblas_syrkx_herkx_restricted_kernelIidLi16ELi32ELi8ELb0ELb0ELc84ELc85EKPKdKPdEviT_T0_PT8_S5_lS8_S5_lS6_PT9_S5_li,comdat
.Lfunc_end574:
	.size	_ZL37rocblas_syrkx_herkx_restricted_kernelIidLi16ELi32ELi8ELb0ELb0ELc84ELc85EKPKdKPdEviT_T0_PT8_S5_lS8_S5_lS6_PT9_S5_li, .Lfunc_end574-_ZL37rocblas_syrkx_herkx_restricted_kernelIidLi16ELi32ELi8ELb0ELb0ELc84ELc85EKPKdKPdEviT_T0_PT8_S5_lS8_S5_lS6_PT9_S5_li
                                        ; -- End function
	.set _ZL37rocblas_syrkx_herkx_restricted_kernelIidLi16ELi32ELi8ELb0ELb0ELc84ELc85EKPKdKPdEviT_T0_PT8_S5_lS8_S5_lS6_PT9_S5_li.num_vgpr, 38
	.set _ZL37rocblas_syrkx_herkx_restricted_kernelIidLi16ELi32ELi8ELb0ELb0ELc84ELc85EKPKdKPdEviT_T0_PT8_S5_lS8_S5_lS6_PT9_S5_li.num_agpr, 0
	.set _ZL37rocblas_syrkx_herkx_restricted_kernelIidLi16ELi32ELi8ELb0ELb0ELc84ELc85EKPKdKPdEviT_T0_PT8_S5_lS8_S5_lS6_PT9_S5_li.numbered_sgpr, 21
	.set _ZL37rocblas_syrkx_herkx_restricted_kernelIidLi16ELi32ELi8ELb0ELb0ELc84ELc85EKPKdKPdEviT_T0_PT8_S5_lS8_S5_lS6_PT9_S5_li.num_named_barrier, 0
	.set _ZL37rocblas_syrkx_herkx_restricted_kernelIidLi16ELi32ELi8ELb0ELb0ELc84ELc85EKPKdKPdEviT_T0_PT8_S5_lS8_S5_lS6_PT9_S5_li.private_seg_size, 0
	.set _ZL37rocblas_syrkx_herkx_restricted_kernelIidLi16ELi32ELi8ELb0ELb0ELc84ELc85EKPKdKPdEviT_T0_PT8_S5_lS8_S5_lS6_PT9_S5_li.uses_vcc, 1
	.set _ZL37rocblas_syrkx_herkx_restricted_kernelIidLi16ELi32ELi8ELb0ELb0ELc84ELc85EKPKdKPdEviT_T0_PT8_S5_lS8_S5_lS6_PT9_S5_li.uses_flat_scratch, 0
	.set _ZL37rocblas_syrkx_herkx_restricted_kernelIidLi16ELi32ELi8ELb0ELb0ELc84ELc85EKPKdKPdEviT_T0_PT8_S5_lS8_S5_lS6_PT9_S5_li.has_dyn_sized_stack, 0
	.set _ZL37rocblas_syrkx_herkx_restricted_kernelIidLi16ELi32ELi8ELb0ELb0ELc84ELc85EKPKdKPdEviT_T0_PT8_S5_lS8_S5_lS6_PT9_S5_li.has_recursion, 0
	.set _ZL37rocblas_syrkx_herkx_restricted_kernelIidLi16ELi32ELi8ELb0ELb0ELc84ELc85EKPKdKPdEviT_T0_PT8_S5_lS8_S5_lS6_PT9_S5_li.has_indirect_call, 0
	.section	.AMDGPU.csdata,"",@progbits
; Kernel info:
; codeLenInByte = 1296
; TotalNumSgprs: 25
; NumVgprs: 38
; ScratchSize: 0
; MemoryBound: 0
; FloatMode: 240
; IeeeMode: 1
; LDSByteSize: 4096 bytes/workgroup (compile time only)
; SGPRBlocks: 3
; VGPRBlocks: 9
; NumSGPRsForWavesPerEU: 25
; NumVGPRsForWavesPerEU: 38
; Occupancy: 6
; WaveLimiterHint : 1
; COMPUTE_PGM_RSRC2:SCRATCH_EN: 0
; COMPUTE_PGM_RSRC2:USER_SGPR: 6
; COMPUTE_PGM_RSRC2:TRAP_HANDLER: 0
; COMPUTE_PGM_RSRC2:TGID_X_EN: 1
; COMPUTE_PGM_RSRC2:TGID_Y_EN: 1
; COMPUTE_PGM_RSRC2:TGID_Z_EN: 1
; COMPUTE_PGM_RSRC2:TIDIG_COMP_CNT: 1
	.section	.text._ZL37rocblas_syrkx_herkx_restricted_kernelIidLi16ELi32ELi8ELb0ELb0ELc67ELc85EKPKdKPdEviT_T0_PT8_S5_lS8_S5_lS6_PT9_S5_li,"axG",@progbits,_ZL37rocblas_syrkx_herkx_restricted_kernelIidLi16ELi32ELi8ELb0ELb0ELc67ELc85EKPKdKPdEviT_T0_PT8_S5_lS8_S5_lS6_PT9_S5_li,comdat
	.globl	_ZL37rocblas_syrkx_herkx_restricted_kernelIidLi16ELi32ELi8ELb0ELb0ELc67ELc85EKPKdKPdEviT_T0_PT8_S5_lS8_S5_lS6_PT9_S5_li ; -- Begin function _ZL37rocblas_syrkx_herkx_restricted_kernelIidLi16ELi32ELi8ELb0ELb0ELc67ELc85EKPKdKPdEviT_T0_PT8_S5_lS8_S5_lS6_PT9_S5_li
	.p2align	8
	.type	_ZL37rocblas_syrkx_herkx_restricted_kernelIidLi16ELi32ELi8ELb0ELb0ELc67ELc85EKPKdKPdEviT_T0_PT8_S5_lS8_S5_lS6_PT9_S5_li,@function
_ZL37rocblas_syrkx_herkx_restricted_kernelIidLi16ELi32ELi8ELb0ELb0ELc67ELc85EKPKdKPdEviT_T0_PT8_S5_lS8_S5_lS6_PT9_S5_li: ; @_ZL37rocblas_syrkx_herkx_restricted_kernelIidLi16ELi32ELi8ELb0ELb0ELc67ELc85EKPKdKPdEviT_T0_PT8_S5_lS8_S5_lS6_PT9_S5_li
; %bb.0:
	s_load_dwordx4 s[12:15], s[4:5], 0x40
	s_load_dwordx2 s[2:3], s[4:5], 0x0
	s_load_dwordx4 s[16:19], s[4:5], 0x8
	s_mov_b32 s9, 0
	s_lshl_b64 s[0:1], s[8:9], 3
	s_waitcnt lgkmcnt(0)
	s_add_u32 s10, s14, s0
	s_addc_u32 s11, s15, s1
	s_load_dwordx2 s[10:11], s[10:11], 0x0
	s_lshl_b32 s6, s6, 5
	s_lshl_b32 s7, s7, 5
	s_cmp_lt_i32 s3, 1
	s_cbranch_scc1 .LBB575_3
; %bb.1:
	s_load_dword s8, s[4:5], 0x18
	s_load_dwordx2 s[14:15], s[4:5], 0x28
	s_load_dword s20, s[4:5], 0x30
	s_add_u32 s18, s18, s0
	v_lshl_add_u32 v3, v1, 4, v0
	s_addc_u32 s19, s19, s1
	v_lshrrev_b32_e32 v6, 3, v3
	v_and_b32_e32 v7, 31, v3
	s_waitcnt lgkmcnt(0)
	s_add_u32 s0, s14, s0
	v_lshrrev_b32_e32 v2, 5, v3
	v_and_b32_e32 v4, 7, v0
	v_add_u32_e32 v8, s7, v6
	v_mov_b32_e32 v5, 0
	v_lshlrev_b32_e32 v9, 3, v7
	s_addc_u32 s1, s15, s1
	v_mov_b32_e32 v3, v5
	v_lshl_or_b32 v14, v2, 8, v9
	v_lshlrev_b32_e32 v9, 3, v4
	v_mad_i64_i32 v[4:5], s[14:15], s20, v8, v[4:5]
	s_load_dwordx2 s[0:1], s[0:1], 0x0
	v_add_u32_e32 v7, s6, v7
	v_mad_i64_i32 v[2:3], s[14:15], s8, v7, v[2:3]
	s_load_dwordx2 s[18:19], s[18:19], 0x0
	v_lshlrev_b64 v[4:5], 3, v[4:5]
	v_lshl_or_b32 v6, v6, 6, v9
	v_add_u32_e32 v15, 0x800, v6
	s_waitcnt lgkmcnt(0)
	v_mov_b32_e32 v6, s1
	v_add_co_u32_e32 v4, vcc, s0, v4
	v_lshlrev_b64 v[2:3], 3, v[2:3]
	v_addc_co_u32_e32 v5, vcc, v6, v5, vcc
	v_mov_b32_e32 v7, s19
	v_add_co_u32_e32 v6, vcc, s18, v2
	v_mov_b32_e32 v17, 0x800
	v_addc_co_u32_e32 v7, vcc, v7, v3, vcc
	v_mov_b32_e32 v2, 0
	v_mov_b32_e32 v8, 0
	;; [unrolled: 1-line block ×4, first 2 shown]
	v_lshlrev_b32_e32 v16, 3, v0
	v_mov_b32_e32 v3, 0
	v_mov_b32_e32 v9, 0
	;; [unrolled: 1-line block ×4, first 2 shown]
	v_lshl_add_u32 v17, v1, 6, v17
.LBB575_2:                              ; =>This Inner Loop Header: Depth=1
	flat_load_dwordx2 v[18:19], v[6:7]
	v_add_co_u32_e32 v6, vcc, 64, v6
	v_addc_co_u32_e32 v7, vcc, 0, v7, vcc
	s_add_i32 s9, s9, 8
	s_cmp_ge_i32 s9, s3
	s_waitcnt vmcnt(0) lgkmcnt(0)
	ds_write_b64 v14, v[18:19]
	flat_load_dwordx2 v[18:19], v[4:5]
	v_add_co_u32_e32 v4, vcc, 64, v4
	v_addc_co_u32_e32 v5, vcc, 0, v5, vcc
	s_waitcnt vmcnt(0) lgkmcnt(0)
	ds_write_b64 v15, v[18:19]
	s_waitcnt lgkmcnt(0)
	s_barrier
	ds_read2_b64 v[18:21], v16 offset1:16
	ds_read_b128 v[22:25], v17
	ds_read_b128 v[26:29], v17 offset:1024
	ds_read_b128 v[30:33], v17 offset:16
	s_waitcnt lgkmcnt(2)
	v_fma_f64 v[34:35], v[18:19], v[22:23], v[12:13]
	v_fma_f64 v[22:23], v[20:21], v[22:23], v[10:11]
	s_waitcnt lgkmcnt(1)
	v_fma_f64 v[8:9], v[18:19], v[26:27], v[8:9]
	v_fma_f64 v[2:3], v[20:21], v[26:27], v[2:3]
	ds_read2_b64 v[18:21], v16 offset0:32 offset1:48
	ds_read_b128 v[10:13], v17 offset:1040
	s_waitcnt lgkmcnt(1)
	v_fma_f64 v[26:27], v[18:19], v[24:25], v[34:35]
	v_fma_f64 v[34:35], v[20:21], v[24:25], v[22:23]
	;; [unrolled: 1-line block ×4, first 2 shown]
	ds_read2_b64 v[18:21], v16 offset0:64 offset1:80
	ds_read2_b64 v[22:25], v16 offset0:96 offset1:112
	s_waitcnt lgkmcnt(1)
	v_fma_f64 v[26:27], v[18:19], v[30:31], v[26:27]
	v_fma_f64 v[28:29], v[20:21], v[30:31], v[34:35]
	;; [unrolled: 1-line block ×4, first 2 shown]
	ds_read2_b64 v[8:11], v16 offset0:128 offset1:144
	ds_read_b128 v[18:21], v17 offset:32
	s_waitcnt lgkmcnt(2)
	v_fma_f64 v[34:35], v[22:23], v[32:33], v[26:27]
	v_fma_f64 v[32:33], v[24:25], v[32:33], v[28:29]
	;; [unrolled: 1-line block ×4, first 2 shown]
	ds_read_b128 v[22:25], v17 offset:1056
	ds_read_b128 v[26:29], v17 offset:48
	s_waitcnt lgkmcnt(2)
	v_fma_f64 v[12:13], v[8:9], v[18:19], v[34:35]
	v_fma_f64 v[18:19], v[10:11], v[18:19], v[32:33]
	s_waitcnt lgkmcnt(1)
	v_fma_f64 v[34:35], v[8:9], v[22:23], v[36:37]
	v_fma_f64 v[2:3], v[10:11], v[22:23], v[2:3]
	ds_read2_b64 v[8:11], v16 offset0:160 offset1:176
	ds_read_b128 v[30:33], v17 offset:1072
	s_waitcnt lgkmcnt(1)
	v_fma_f64 v[12:13], v[8:9], v[20:21], v[12:13]
	v_fma_f64 v[18:19], v[10:11], v[20:21], v[18:19]
	;; [unrolled: 1-line block ×4, first 2 shown]
	ds_read2_b64 v[8:11], v16 offset0:192 offset1:208
	s_waitcnt lgkmcnt(0)
	v_fma_f64 v[12:13], v[8:9], v[26:27], v[12:13]
	v_fma_f64 v[22:23], v[10:11], v[26:27], v[18:19]
	;; [unrolled: 1-line block ×4, first 2 shown]
	ds_read2_b64 v[18:21], v16 offset0:224 offset1:240
	s_waitcnt lgkmcnt(0)
	s_barrier
	v_fma_f64 v[12:13], v[18:19], v[28:29], v[12:13]
	v_fma_f64 v[10:11], v[20:21], v[28:29], v[22:23]
	;; [unrolled: 1-line block ×4, first 2 shown]
	s_cbranch_scc0 .LBB575_2
	s_branch .LBB575_4
.LBB575_3:
	v_mov_b32_e32 v12, 0
	v_mov_b32_e32 v10, 0
	;; [unrolled: 1-line block ×8, first 2 shown]
.LBB575_4:
	s_load_dword s3, s[4:5], 0x50
	v_add_u32_e32 v6, s7, v1
	s_waitcnt lgkmcnt(0)
	v_mov_b32_e32 v1, s11
	v_add_u32_e32 v0, s6, v0
	v_cmp_gt_i32_e32 vcc, s2, v6
	v_mad_i64_i32 v[4:5], s[0:1], v6, s3, 0
	v_lshlrev_b64 v[4:5], 3, v[4:5]
	v_add_co_u32_e64 v7, s[0:1], s10, v4
	v_addc_co_u32_e64 v14, s[0:1], v1, v5, s[0:1]
	v_cmp_le_i32_e64 s[0:1], v0, v6
	s_and_b64 s[0:1], vcc, s[0:1]
	s_and_saveexec_b64 s[4:5], s[0:1]
	s_cbranch_execz .LBB575_6
; %bb.5:
	v_ashrrev_i32_e32 v1, 31, v0
	v_lshlrev_b64 v[4:5], 3, v[0:1]
	v_add_co_u32_e64 v4, s[0:1], v7, v4
	v_addc_co_u32_e64 v5, s[0:1], v14, v5, s[0:1]
	flat_load_dwordx2 v[15:16], v[4:5]
	s_waitcnt vmcnt(0) lgkmcnt(0)
	v_mul_f64 v[15:16], s[12:13], v[15:16]
	v_fma_f64 v[12:13], s[16:17], v[12:13], v[15:16]
	flat_store_dwordx2 v[4:5], v[12:13]
.LBB575_6:
	s_or_b64 exec, exec, s[4:5]
	v_add_u32_e32 v4, 16, v0
	v_cmp_le_i32_e64 s[0:1], v4, v6
	s_and_b64 s[4:5], vcc, s[0:1]
	s_and_saveexec_b64 s[0:1], s[4:5]
	s_cbranch_execz .LBB575_8
; %bb.7:
	v_ashrrev_i32_e32 v5, 31, v4
	v_lshlrev_b64 v[12:13], 3, v[4:5]
	v_add_co_u32_e32 v12, vcc, v7, v12
	v_addc_co_u32_e32 v13, vcc, v14, v13, vcc
	flat_load_dwordx2 v[14:15], v[12:13]
	s_waitcnt vmcnt(0) lgkmcnt(0)
	v_mul_f64 v[14:15], s[12:13], v[14:15]
	v_fma_f64 v[10:11], s[16:17], v[10:11], v[14:15]
	flat_store_dwordx2 v[12:13], v[10:11]
.LBB575_8:
	s_or_b64 exec, exec, s[0:1]
	v_add_u32_e32 v5, 16, v6
	v_mad_i64_i32 v[6:7], s[0:1], v5, s3, 0
	v_mov_b32_e32 v1, s11
	v_cmp_gt_i32_e32 vcc, s2, v5
	v_lshlrev_b64 v[6:7], 3, v[6:7]
	v_add_co_u32_e64 v6, s[0:1], s10, v6
	v_addc_co_u32_e64 v7, s[0:1], v1, v7, s[0:1]
	v_cmp_le_i32_e64 s[0:1], v0, v5
	s_and_b64 s[0:1], vcc, s[0:1]
	s_and_saveexec_b64 s[2:3], s[0:1]
	s_cbranch_execz .LBB575_10
; %bb.9:
	v_ashrrev_i32_e32 v1, 31, v0
	v_lshlrev_b64 v[0:1], 3, v[0:1]
	v_add_co_u32_e64 v0, s[0:1], v6, v0
	v_addc_co_u32_e64 v1, s[0:1], v7, v1, s[0:1]
	flat_load_dwordx2 v[10:11], v[0:1]
	s_waitcnt vmcnt(0) lgkmcnt(0)
	v_mul_f64 v[10:11], s[12:13], v[10:11]
	v_fma_f64 v[8:9], s[16:17], v[8:9], v[10:11]
	flat_store_dwordx2 v[0:1], v[8:9]
.LBB575_10:
	s_or_b64 exec, exec, s[2:3]
	v_cmp_le_i32_e64 s[0:1], v4, v5
	s_and_b64 s[0:1], vcc, s[0:1]
	s_and_saveexec_b64 s[2:3], s[0:1]
	s_cbranch_execz .LBB575_12
; %bb.11:
	v_ashrrev_i32_e32 v5, 31, v4
	v_lshlrev_b64 v[0:1], 3, v[4:5]
	v_add_co_u32_e32 v0, vcc, v6, v0
	v_addc_co_u32_e32 v1, vcc, v7, v1, vcc
	flat_load_dwordx2 v[4:5], v[0:1]
	s_waitcnt vmcnt(0) lgkmcnt(0)
	v_mul_f64 v[4:5], s[12:13], v[4:5]
	v_fma_f64 v[2:3], s[16:17], v[2:3], v[4:5]
	flat_store_dwordx2 v[0:1], v[2:3]
.LBB575_12:
	s_endpgm
	.section	.rodata,"a",@progbits
	.p2align	6, 0x0
	.amdhsa_kernel _ZL37rocblas_syrkx_herkx_restricted_kernelIidLi16ELi32ELi8ELb0ELb0ELc67ELc85EKPKdKPdEviT_T0_PT8_S5_lS8_S5_lS6_PT9_S5_li
		.amdhsa_group_segment_fixed_size 4096
		.amdhsa_private_segment_fixed_size 0
		.amdhsa_kernarg_size 100
		.amdhsa_user_sgpr_count 6
		.amdhsa_user_sgpr_private_segment_buffer 1
		.amdhsa_user_sgpr_dispatch_ptr 0
		.amdhsa_user_sgpr_queue_ptr 0
		.amdhsa_user_sgpr_kernarg_segment_ptr 1
		.amdhsa_user_sgpr_dispatch_id 0
		.amdhsa_user_sgpr_flat_scratch_init 0
		.amdhsa_user_sgpr_private_segment_size 0
		.amdhsa_uses_dynamic_stack 0
		.amdhsa_system_sgpr_private_segment_wavefront_offset 0
		.amdhsa_system_sgpr_workgroup_id_x 1
		.amdhsa_system_sgpr_workgroup_id_y 1
		.amdhsa_system_sgpr_workgroup_id_z 1
		.amdhsa_system_sgpr_workgroup_info 0
		.amdhsa_system_vgpr_workitem_id 1
		.amdhsa_next_free_vgpr 38
		.amdhsa_next_free_sgpr 21
		.amdhsa_reserve_vcc 1
		.amdhsa_reserve_flat_scratch 0
		.amdhsa_float_round_mode_32 0
		.amdhsa_float_round_mode_16_64 0
		.amdhsa_float_denorm_mode_32 3
		.amdhsa_float_denorm_mode_16_64 3
		.amdhsa_dx10_clamp 1
		.amdhsa_ieee_mode 1
		.amdhsa_fp16_overflow 0
		.amdhsa_exception_fp_ieee_invalid_op 0
		.amdhsa_exception_fp_denorm_src 0
		.amdhsa_exception_fp_ieee_div_zero 0
		.amdhsa_exception_fp_ieee_overflow 0
		.amdhsa_exception_fp_ieee_underflow 0
		.amdhsa_exception_fp_ieee_inexact 0
		.amdhsa_exception_int_div_zero 0
	.end_amdhsa_kernel
	.section	.text._ZL37rocblas_syrkx_herkx_restricted_kernelIidLi16ELi32ELi8ELb0ELb0ELc67ELc85EKPKdKPdEviT_T0_PT8_S5_lS8_S5_lS6_PT9_S5_li,"axG",@progbits,_ZL37rocblas_syrkx_herkx_restricted_kernelIidLi16ELi32ELi8ELb0ELb0ELc67ELc85EKPKdKPdEviT_T0_PT8_S5_lS8_S5_lS6_PT9_S5_li,comdat
.Lfunc_end575:
	.size	_ZL37rocblas_syrkx_herkx_restricted_kernelIidLi16ELi32ELi8ELb0ELb0ELc67ELc85EKPKdKPdEviT_T0_PT8_S5_lS8_S5_lS6_PT9_S5_li, .Lfunc_end575-_ZL37rocblas_syrkx_herkx_restricted_kernelIidLi16ELi32ELi8ELb0ELb0ELc67ELc85EKPKdKPdEviT_T0_PT8_S5_lS8_S5_lS6_PT9_S5_li
                                        ; -- End function
	.set _ZL37rocblas_syrkx_herkx_restricted_kernelIidLi16ELi32ELi8ELb0ELb0ELc67ELc85EKPKdKPdEviT_T0_PT8_S5_lS8_S5_lS6_PT9_S5_li.num_vgpr, 38
	.set _ZL37rocblas_syrkx_herkx_restricted_kernelIidLi16ELi32ELi8ELb0ELb0ELc67ELc85EKPKdKPdEviT_T0_PT8_S5_lS8_S5_lS6_PT9_S5_li.num_agpr, 0
	.set _ZL37rocblas_syrkx_herkx_restricted_kernelIidLi16ELi32ELi8ELb0ELb0ELc67ELc85EKPKdKPdEviT_T0_PT8_S5_lS8_S5_lS6_PT9_S5_li.numbered_sgpr, 21
	.set _ZL37rocblas_syrkx_herkx_restricted_kernelIidLi16ELi32ELi8ELb0ELb0ELc67ELc85EKPKdKPdEviT_T0_PT8_S5_lS8_S5_lS6_PT9_S5_li.num_named_barrier, 0
	.set _ZL37rocblas_syrkx_herkx_restricted_kernelIidLi16ELi32ELi8ELb0ELb0ELc67ELc85EKPKdKPdEviT_T0_PT8_S5_lS8_S5_lS6_PT9_S5_li.private_seg_size, 0
	.set _ZL37rocblas_syrkx_herkx_restricted_kernelIidLi16ELi32ELi8ELb0ELb0ELc67ELc85EKPKdKPdEviT_T0_PT8_S5_lS8_S5_lS6_PT9_S5_li.uses_vcc, 1
	.set _ZL37rocblas_syrkx_herkx_restricted_kernelIidLi16ELi32ELi8ELb0ELb0ELc67ELc85EKPKdKPdEviT_T0_PT8_S5_lS8_S5_lS6_PT9_S5_li.uses_flat_scratch, 0
	.set _ZL37rocblas_syrkx_herkx_restricted_kernelIidLi16ELi32ELi8ELb0ELb0ELc67ELc85EKPKdKPdEviT_T0_PT8_S5_lS8_S5_lS6_PT9_S5_li.has_dyn_sized_stack, 0
	.set _ZL37rocblas_syrkx_herkx_restricted_kernelIidLi16ELi32ELi8ELb0ELb0ELc67ELc85EKPKdKPdEviT_T0_PT8_S5_lS8_S5_lS6_PT9_S5_li.has_recursion, 0
	.set _ZL37rocblas_syrkx_herkx_restricted_kernelIidLi16ELi32ELi8ELb0ELb0ELc67ELc85EKPKdKPdEviT_T0_PT8_S5_lS8_S5_lS6_PT9_S5_li.has_indirect_call, 0
	.section	.AMDGPU.csdata,"",@progbits
; Kernel info:
; codeLenInByte = 1296
; TotalNumSgprs: 25
; NumVgprs: 38
; ScratchSize: 0
; MemoryBound: 0
; FloatMode: 240
; IeeeMode: 1
; LDSByteSize: 4096 bytes/workgroup (compile time only)
; SGPRBlocks: 3
; VGPRBlocks: 9
; NumSGPRsForWavesPerEU: 25
; NumVGPRsForWavesPerEU: 38
; Occupancy: 6
; WaveLimiterHint : 1
; COMPUTE_PGM_RSRC2:SCRATCH_EN: 0
; COMPUTE_PGM_RSRC2:USER_SGPR: 6
; COMPUTE_PGM_RSRC2:TRAP_HANDLER: 0
; COMPUTE_PGM_RSRC2:TGID_X_EN: 1
; COMPUTE_PGM_RSRC2:TGID_Y_EN: 1
; COMPUTE_PGM_RSRC2:TGID_Z_EN: 1
; COMPUTE_PGM_RSRC2:TIDIG_COMP_CNT: 1
	.section	.text._ZL37rocblas_syrkx_herkx_restricted_kernelIidLi16ELi32ELi8ELb0ELb0ELc78ELc85EKPKdKPdEviT_T0_PT8_S5_lS8_S5_lS6_PT9_S5_li,"axG",@progbits,_ZL37rocblas_syrkx_herkx_restricted_kernelIidLi16ELi32ELi8ELb0ELb0ELc78ELc85EKPKdKPdEviT_T0_PT8_S5_lS8_S5_lS6_PT9_S5_li,comdat
	.globl	_ZL37rocblas_syrkx_herkx_restricted_kernelIidLi16ELi32ELi8ELb0ELb0ELc78ELc85EKPKdKPdEviT_T0_PT8_S5_lS8_S5_lS6_PT9_S5_li ; -- Begin function _ZL37rocblas_syrkx_herkx_restricted_kernelIidLi16ELi32ELi8ELb0ELb0ELc78ELc85EKPKdKPdEviT_T0_PT8_S5_lS8_S5_lS6_PT9_S5_li
	.p2align	8
	.type	_ZL37rocblas_syrkx_herkx_restricted_kernelIidLi16ELi32ELi8ELb0ELb0ELc78ELc85EKPKdKPdEviT_T0_PT8_S5_lS8_S5_lS6_PT9_S5_li,@function
_ZL37rocblas_syrkx_herkx_restricted_kernelIidLi16ELi32ELi8ELb0ELb0ELc78ELc85EKPKdKPdEviT_T0_PT8_S5_lS8_S5_lS6_PT9_S5_li: ; @_ZL37rocblas_syrkx_herkx_restricted_kernelIidLi16ELi32ELi8ELb0ELb0ELc78ELc85EKPKdKPdEviT_T0_PT8_S5_lS8_S5_lS6_PT9_S5_li
; %bb.0:
	s_load_dwordx4 s[12:15], s[4:5], 0x40
	s_load_dwordx2 s[2:3], s[4:5], 0x0
	s_load_dwordx4 s[16:19], s[4:5], 0x8
	s_mov_b32 s9, 0
	s_lshl_b64 s[0:1], s[8:9], 3
	s_waitcnt lgkmcnt(0)
	s_add_u32 s10, s14, s0
	s_addc_u32 s11, s15, s1
	s_load_dwordx2 s[10:11], s[10:11], 0x0
	s_lshl_b32 s8, s6, 5
	s_lshl_b32 s14, s7, 5
	s_cmp_lt_i32 s3, 1
	s_cbranch_scc1 .LBB576_3
; %bb.1:
	s_load_dword s6, s[4:5], 0x18
	s_load_dword s20, s[4:5], 0x30
	s_load_dwordx2 s[22:23], s[4:5], 0x28
	v_lshl_add_u32 v2, v1, 4, v0
	v_and_b32_e32 v7, 31, v2
	s_waitcnt lgkmcnt(0)
	s_ashr_i32 s7, s6, 31
	s_ashr_i32 s21, s20, 31
	s_add_u32 s18, s18, s0
	v_lshrrev_b32_e32 v4, 3, v2
	v_lshrrev_b32_e32 v6, 5, v2
	v_and_b32_e32 v5, 7, v0
	v_lshlrev_b32_e32 v8, 3, v7
	s_addc_u32 s19, s19, s1
	v_add_u32_e32 v2, s14, v4
	v_lshl_or_b32 v14, v6, 8, v8
	v_lshlrev_b32_e32 v8, 3, v5
	s_add_u32 s0, s22, s0
	v_ashrrev_i32_e32 v3, 31, v2
	v_lshl_or_b32 v4, v4, 6, v8
	s_addc_u32 s1, s23, s1
	v_add_u32_e32 v15, 0x800, v4
	v_mad_i64_i32 v[2:3], s[22:23], s20, v5, v[2:3]
	v_mov_b32_e32 v4, 0x800
	s_load_dwordx2 s[0:1], s[0:1], 0x0
	v_lshl_add_u32 v17, v1, 6, v4
	v_add_u32_e32 v4, s8, v7
	v_ashrrev_i32_e32 v5, 31, v4
	v_mad_i64_i32 v[6:7], s[22:23], s6, v6, v[4:5]
	s_load_dwordx2 s[18:19], s[18:19], 0x0
	v_lshlrev_b64 v[2:3], 3, v[2:3]
	s_waitcnt lgkmcnt(0)
	v_mov_b32_e32 v8, s1
	v_add_co_u32_e32 v4, vcc, s0, v2
	v_addc_co_u32_e32 v5, vcc, v8, v3, vcc
	v_lshlrev_b64 v[2:3], 3, v[6:7]
	v_mov_b32_e32 v7, s19
	v_add_co_u32_e32 v6, vcc, s18, v2
	s_lshl_b64 s[0:1], s[20:21], 6
	v_addc_co_u32_e32 v7, vcc, v7, v3, vcc
	s_lshl_b64 s[6:7], s[6:7], 6
	v_mov_b32_e32 v2, 0
	v_mov_b32_e32 v8, 0
	;; [unrolled: 1-line block ×4, first 2 shown]
	v_lshlrev_b32_e32 v16, 3, v0
	v_mov_b32_e32 v3, 0
	v_mov_b32_e32 v18, s1
	;; [unrolled: 1-line block ×6, first 2 shown]
.LBB576_2:                              ; =>This Inner Loop Header: Depth=1
	flat_load_dwordx2 v[20:21], v[6:7]
	v_add_co_u32_e32 v6, vcc, s6, v6
	v_addc_co_u32_e32 v7, vcc, v7, v19, vcc
	s_add_i32 s9, s9, 8
	s_cmp_ge_i32 s9, s3
	s_waitcnt vmcnt(0) lgkmcnt(0)
	ds_write_b64 v14, v[20:21]
	flat_load_dwordx2 v[20:21], v[4:5]
	v_add_co_u32_e32 v4, vcc, s0, v4
	v_addc_co_u32_e32 v5, vcc, v5, v18, vcc
	s_waitcnt vmcnt(0) lgkmcnt(0)
	ds_write_b64 v15, v[20:21]
	s_waitcnt lgkmcnt(0)
	s_barrier
	ds_read2_b64 v[20:23], v16 offset1:16
	ds_read_b128 v[24:27], v17
	ds_read_b128 v[28:31], v17 offset:16
	s_waitcnt lgkmcnt(1)
	v_fma_f64 v[36:37], v[20:21], v[24:25], v[12:13]
	v_fma_f64 v[24:25], v[22:23], v[24:25], v[10:11]
	ds_read_b128 v[10:13], v17 offset:1024
	ds_read_b128 v[32:35], v17 offset:1040
	s_waitcnt lgkmcnt(1)
	v_fma_f64 v[20:21], v[20:21], v[10:11], v[8:9]
	v_fma_f64 v[2:3], v[22:23], v[10:11], v[2:3]
	ds_read2_b64 v[8:11], v16 offset0:32 offset1:48
	s_waitcnt lgkmcnt(0)
	v_fma_f64 v[22:23], v[8:9], v[26:27], v[36:37]
	v_fma_f64 v[24:25], v[10:11], v[26:27], v[24:25]
	v_fma_f64 v[20:21], v[8:9], v[12:13], v[20:21]
	v_fma_f64 v[2:3], v[10:11], v[12:13], v[2:3]
	ds_read2_b64 v[8:11], v16 offset0:64 offset1:80
	s_waitcnt lgkmcnt(0)
	v_fma_f64 v[12:13], v[8:9], v[28:29], v[22:23]
	v_fma_f64 v[22:23], v[10:11], v[28:29], v[24:25]
	;; [unrolled: 6-line block ×3, first 2 shown]
	ds_read2_b64 v[20:23], v16 offset0:128 offset1:144
	v_fma_f64 v[36:37], v[8:9], v[34:35], v[24:25]
	v_fma_f64 v[2:3], v[10:11], v[34:35], v[2:3]
	ds_read_b128 v[8:11], v17 offset:32
	ds_read_b128 v[24:27], v17 offset:48
	s_waitcnt lgkmcnt(1)
	v_fma_f64 v[12:13], v[20:21], v[8:9], v[12:13]
	v_fma_f64 v[8:9], v[22:23], v[8:9], v[28:29]
	ds_read_b128 v[28:31], v17 offset:1056
	ds_read_b128 v[32:35], v17 offset:1072
	s_waitcnt lgkmcnt(1)
	v_fma_f64 v[36:37], v[20:21], v[28:29], v[36:37]
	v_fma_f64 v[2:3], v[22:23], v[28:29], v[2:3]
	ds_read2_b64 v[20:23], v16 offset0:160 offset1:176
	s_waitcnt lgkmcnt(0)
	v_fma_f64 v[12:13], v[20:21], v[10:11], v[12:13]
	v_fma_f64 v[28:29], v[22:23], v[10:11], v[8:9]
	;; [unrolled: 1-line block ×4, first 2 shown]
	ds_read2_b64 v[8:11], v16 offset0:192 offset1:208
	s_waitcnt lgkmcnt(0)
	v_fma_f64 v[12:13], v[8:9], v[24:25], v[12:13]
	v_fma_f64 v[24:25], v[10:11], v[24:25], v[28:29]
	;; [unrolled: 1-line block ×4, first 2 shown]
	ds_read2_b64 v[20:23], v16 offset0:224 offset1:240
	s_waitcnt lgkmcnt(0)
	s_barrier
	v_fma_f64 v[12:13], v[20:21], v[26:27], v[12:13]
	v_fma_f64 v[10:11], v[22:23], v[26:27], v[24:25]
	;; [unrolled: 1-line block ×4, first 2 shown]
	s_cbranch_scc0 .LBB576_2
	s_branch .LBB576_4
.LBB576_3:
	v_mov_b32_e32 v12, 0
	v_mov_b32_e32 v10, 0
	;; [unrolled: 1-line block ×8, first 2 shown]
.LBB576_4:
	s_load_dword s3, s[4:5], 0x50
	v_add_u32_e32 v6, s14, v1
	s_waitcnt lgkmcnt(0)
	v_mov_b32_e32 v1, s11
	v_add_u32_e32 v0, s8, v0
	v_cmp_gt_i32_e32 vcc, s2, v6
	v_mad_i64_i32 v[4:5], s[0:1], v6, s3, 0
	v_lshlrev_b64 v[4:5], 3, v[4:5]
	v_add_co_u32_e64 v7, s[0:1], s10, v4
	v_addc_co_u32_e64 v14, s[0:1], v1, v5, s[0:1]
	v_cmp_le_i32_e64 s[0:1], v0, v6
	s_and_b64 s[0:1], vcc, s[0:1]
	s_and_saveexec_b64 s[4:5], s[0:1]
	s_cbranch_execz .LBB576_6
; %bb.5:
	v_ashrrev_i32_e32 v1, 31, v0
	v_lshlrev_b64 v[4:5], 3, v[0:1]
	v_add_co_u32_e64 v4, s[0:1], v7, v4
	v_addc_co_u32_e64 v5, s[0:1], v14, v5, s[0:1]
	flat_load_dwordx2 v[15:16], v[4:5]
	s_waitcnt vmcnt(0) lgkmcnt(0)
	v_mul_f64 v[15:16], s[12:13], v[15:16]
	v_fma_f64 v[12:13], s[16:17], v[12:13], v[15:16]
	flat_store_dwordx2 v[4:5], v[12:13]
.LBB576_6:
	s_or_b64 exec, exec, s[4:5]
	v_add_u32_e32 v4, 16, v0
	v_cmp_le_i32_e64 s[0:1], v4, v6
	s_and_b64 s[4:5], vcc, s[0:1]
	s_and_saveexec_b64 s[0:1], s[4:5]
	s_cbranch_execz .LBB576_8
; %bb.7:
	v_ashrrev_i32_e32 v5, 31, v4
	v_lshlrev_b64 v[12:13], 3, v[4:5]
	v_add_co_u32_e32 v12, vcc, v7, v12
	v_addc_co_u32_e32 v13, vcc, v14, v13, vcc
	flat_load_dwordx2 v[14:15], v[12:13]
	s_waitcnt vmcnt(0) lgkmcnt(0)
	v_mul_f64 v[14:15], s[12:13], v[14:15]
	v_fma_f64 v[10:11], s[16:17], v[10:11], v[14:15]
	flat_store_dwordx2 v[12:13], v[10:11]
.LBB576_8:
	s_or_b64 exec, exec, s[0:1]
	v_add_u32_e32 v5, 16, v6
	v_mad_i64_i32 v[6:7], s[0:1], v5, s3, 0
	v_mov_b32_e32 v1, s11
	v_cmp_gt_i32_e32 vcc, s2, v5
	v_lshlrev_b64 v[6:7], 3, v[6:7]
	v_add_co_u32_e64 v6, s[0:1], s10, v6
	v_addc_co_u32_e64 v7, s[0:1], v1, v7, s[0:1]
	v_cmp_le_i32_e64 s[0:1], v0, v5
	s_and_b64 s[0:1], vcc, s[0:1]
	s_and_saveexec_b64 s[2:3], s[0:1]
	s_cbranch_execz .LBB576_10
; %bb.9:
	v_ashrrev_i32_e32 v1, 31, v0
	v_lshlrev_b64 v[0:1], 3, v[0:1]
	v_add_co_u32_e64 v0, s[0:1], v6, v0
	v_addc_co_u32_e64 v1, s[0:1], v7, v1, s[0:1]
	flat_load_dwordx2 v[10:11], v[0:1]
	s_waitcnt vmcnt(0) lgkmcnt(0)
	v_mul_f64 v[10:11], s[12:13], v[10:11]
	v_fma_f64 v[8:9], s[16:17], v[8:9], v[10:11]
	flat_store_dwordx2 v[0:1], v[8:9]
.LBB576_10:
	s_or_b64 exec, exec, s[2:3]
	v_cmp_le_i32_e64 s[0:1], v4, v5
	s_and_b64 s[0:1], vcc, s[0:1]
	s_and_saveexec_b64 s[2:3], s[0:1]
	s_cbranch_execz .LBB576_12
; %bb.11:
	v_ashrrev_i32_e32 v5, 31, v4
	v_lshlrev_b64 v[0:1], 3, v[4:5]
	v_add_co_u32_e32 v0, vcc, v6, v0
	v_addc_co_u32_e32 v1, vcc, v7, v1, vcc
	flat_load_dwordx2 v[4:5], v[0:1]
	s_waitcnt vmcnt(0) lgkmcnt(0)
	v_mul_f64 v[4:5], s[12:13], v[4:5]
	v_fma_f64 v[2:3], s[16:17], v[2:3], v[4:5]
	flat_store_dwordx2 v[0:1], v[2:3]
.LBB576_12:
	s_endpgm
	.section	.rodata,"a",@progbits
	.p2align	6, 0x0
	.amdhsa_kernel _ZL37rocblas_syrkx_herkx_restricted_kernelIidLi16ELi32ELi8ELb0ELb0ELc78ELc85EKPKdKPdEviT_T0_PT8_S5_lS8_S5_lS6_PT9_S5_li
		.amdhsa_group_segment_fixed_size 4096
		.amdhsa_private_segment_fixed_size 0
		.amdhsa_kernarg_size 100
		.amdhsa_user_sgpr_count 6
		.amdhsa_user_sgpr_private_segment_buffer 1
		.amdhsa_user_sgpr_dispatch_ptr 0
		.amdhsa_user_sgpr_queue_ptr 0
		.amdhsa_user_sgpr_kernarg_segment_ptr 1
		.amdhsa_user_sgpr_dispatch_id 0
		.amdhsa_user_sgpr_flat_scratch_init 0
		.amdhsa_user_sgpr_private_segment_size 0
		.amdhsa_uses_dynamic_stack 0
		.amdhsa_system_sgpr_private_segment_wavefront_offset 0
		.amdhsa_system_sgpr_workgroup_id_x 1
		.amdhsa_system_sgpr_workgroup_id_y 1
		.amdhsa_system_sgpr_workgroup_id_z 1
		.amdhsa_system_sgpr_workgroup_info 0
		.amdhsa_system_vgpr_workitem_id 1
		.amdhsa_next_free_vgpr 38
		.amdhsa_next_free_sgpr 24
		.amdhsa_reserve_vcc 1
		.amdhsa_reserve_flat_scratch 0
		.amdhsa_float_round_mode_32 0
		.amdhsa_float_round_mode_16_64 0
		.amdhsa_float_denorm_mode_32 3
		.amdhsa_float_denorm_mode_16_64 3
		.amdhsa_dx10_clamp 1
		.amdhsa_ieee_mode 1
		.amdhsa_fp16_overflow 0
		.amdhsa_exception_fp_ieee_invalid_op 0
		.amdhsa_exception_fp_denorm_src 0
		.amdhsa_exception_fp_ieee_div_zero 0
		.amdhsa_exception_fp_ieee_overflow 0
		.amdhsa_exception_fp_ieee_underflow 0
		.amdhsa_exception_fp_ieee_inexact 0
		.amdhsa_exception_int_div_zero 0
	.end_amdhsa_kernel
	.section	.text._ZL37rocblas_syrkx_herkx_restricted_kernelIidLi16ELi32ELi8ELb0ELb0ELc78ELc85EKPKdKPdEviT_T0_PT8_S5_lS8_S5_lS6_PT9_S5_li,"axG",@progbits,_ZL37rocblas_syrkx_herkx_restricted_kernelIidLi16ELi32ELi8ELb0ELb0ELc78ELc85EKPKdKPdEviT_T0_PT8_S5_lS8_S5_lS6_PT9_S5_li,comdat
.Lfunc_end576:
	.size	_ZL37rocblas_syrkx_herkx_restricted_kernelIidLi16ELi32ELi8ELb0ELb0ELc78ELc85EKPKdKPdEviT_T0_PT8_S5_lS8_S5_lS6_PT9_S5_li, .Lfunc_end576-_ZL37rocblas_syrkx_herkx_restricted_kernelIidLi16ELi32ELi8ELb0ELb0ELc78ELc85EKPKdKPdEviT_T0_PT8_S5_lS8_S5_lS6_PT9_S5_li
                                        ; -- End function
	.set _ZL37rocblas_syrkx_herkx_restricted_kernelIidLi16ELi32ELi8ELb0ELb0ELc78ELc85EKPKdKPdEviT_T0_PT8_S5_lS8_S5_lS6_PT9_S5_li.num_vgpr, 38
	.set _ZL37rocblas_syrkx_herkx_restricted_kernelIidLi16ELi32ELi8ELb0ELb0ELc78ELc85EKPKdKPdEviT_T0_PT8_S5_lS8_S5_lS6_PT9_S5_li.num_agpr, 0
	.set _ZL37rocblas_syrkx_herkx_restricted_kernelIidLi16ELi32ELi8ELb0ELb0ELc78ELc85EKPKdKPdEviT_T0_PT8_S5_lS8_S5_lS6_PT9_S5_li.numbered_sgpr, 24
	.set _ZL37rocblas_syrkx_herkx_restricted_kernelIidLi16ELi32ELi8ELb0ELb0ELc78ELc85EKPKdKPdEviT_T0_PT8_S5_lS8_S5_lS6_PT9_S5_li.num_named_barrier, 0
	.set _ZL37rocblas_syrkx_herkx_restricted_kernelIidLi16ELi32ELi8ELb0ELb0ELc78ELc85EKPKdKPdEviT_T0_PT8_S5_lS8_S5_lS6_PT9_S5_li.private_seg_size, 0
	.set _ZL37rocblas_syrkx_herkx_restricted_kernelIidLi16ELi32ELi8ELb0ELb0ELc78ELc85EKPKdKPdEviT_T0_PT8_S5_lS8_S5_lS6_PT9_S5_li.uses_vcc, 1
	.set _ZL37rocblas_syrkx_herkx_restricted_kernelIidLi16ELi32ELi8ELb0ELb0ELc78ELc85EKPKdKPdEviT_T0_PT8_S5_lS8_S5_lS6_PT9_S5_li.uses_flat_scratch, 0
	.set _ZL37rocblas_syrkx_herkx_restricted_kernelIidLi16ELi32ELi8ELb0ELb0ELc78ELc85EKPKdKPdEviT_T0_PT8_S5_lS8_S5_lS6_PT9_S5_li.has_dyn_sized_stack, 0
	.set _ZL37rocblas_syrkx_herkx_restricted_kernelIidLi16ELi32ELi8ELb0ELb0ELc78ELc85EKPKdKPdEviT_T0_PT8_S5_lS8_S5_lS6_PT9_S5_li.has_recursion, 0
	.set _ZL37rocblas_syrkx_herkx_restricted_kernelIidLi16ELi32ELi8ELb0ELb0ELc78ELc85EKPKdKPdEviT_T0_PT8_S5_lS8_S5_lS6_PT9_S5_li.has_indirect_call, 0
	.section	.AMDGPU.csdata,"",@progbits
; Kernel info:
; codeLenInByte = 1320
; TotalNumSgprs: 28
; NumVgprs: 38
; ScratchSize: 0
; MemoryBound: 0
; FloatMode: 240
; IeeeMode: 1
; LDSByteSize: 4096 bytes/workgroup (compile time only)
; SGPRBlocks: 3
; VGPRBlocks: 9
; NumSGPRsForWavesPerEU: 28
; NumVGPRsForWavesPerEU: 38
; Occupancy: 6
; WaveLimiterHint : 1
; COMPUTE_PGM_RSRC2:SCRATCH_EN: 0
; COMPUTE_PGM_RSRC2:USER_SGPR: 6
; COMPUTE_PGM_RSRC2:TRAP_HANDLER: 0
; COMPUTE_PGM_RSRC2:TGID_X_EN: 1
; COMPUTE_PGM_RSRC2:TGID_Y_EN: 1
; COMPUTE_PGM_RSRC2:TGID_Z_EN: 1
; COMPUTE_PGM_RSRC2:TIDIG_COMP_CNT: 1
	.section	.text._ZL41rocblas_syrkx_herkx_small_restrict_kernelIidLi16ELb1ELb0ELc84ELc76EKPKdKPdEviT_T0_PT6_S5_lS8_S5_lS6_PT7_S5_li,"axG",@progbits,_ZL41rocblas_syrkx_herkx_small_restrict_kernelIidLi16ELb1ELb0ELc84ELc76EKPKdKPdEviT_T0_PT6_S5_lS8_S5_lS6_PT7_S5_li,comdat
	.globl	_ZL41rocblas_syrkx_herkx_small_restrict_kernelIidLi16ELb1ELb0ELc84ELc76EKPKdKPdEviT_T0_PT6_S5_lS8_S5_lS6_PT7_S5_li ; -- Begin function _ZL41rocblas_syrkx_herkx_small_restrict_kernelIidLi16ELb1ELb0ELc84ELc76EKPKdKPdEviT_T0_PT6_S5_lS8_S5_lS6_PT7_S5_li
	.p2align	8
	.type	_ZL41rocblas_syrkx_herkx_small_restrict_kernelIidLi16ELb1ELb0ELc84ELc76EKPKdKPdEviT_T0_PT6_S5_lS8_S5_lS6_PT7_S5_li,@function
_ZL41rocblas_syrkx_herkx_small_restrict_kernelIidLi16ELb1ELb0ELc84ELc76EKPKdKPdEviT_T0_PT6_S5_lS8_S5_lS6_PT7_S5_li: ; @_ZL41rocblas_syrkx_herkx_small_restrict_kernelIidLi16ELb1ELb0ELc84ELc76EKPKdKPdEviT_T0_PT6_S5_lS8_S5_lS6_PT7_S5_li
; %bb.0:
	s_load_dwordx2 s[2:3], s[4:5], 0x48
	s_load_dword s10, s[4:5], 0x4
	s_load_dwordx4 s[12:15], s[4:5], 0x8
	s_mov_b32 s9, 0
	s_lshl_b64 s[0:1], s[8:9], 3
	s_waitcnt lgkmcnt(0)
	s_add_u32 s2, s2, s0
	s_addc_u32 s3, s3, s1
	s_load_dwordx2 s[2:3], s[2:3], 0x0
	v_lshl_add_u32 v2, s6, 4, v0
	s_cmp_lt_i32 s10, 1
	v_lshl_add_u32 v7, s7, 4, v1
	s_cbranch_scc1 .LBB577_6
; %bb.1:
	s_load_dwordx2 s[6:7], s[4:5], 0x28
	s_load_dword s8, s[4:5], 0x18
	s_load_dword s11, s[4:5], 0x30
	v_lshlrev_b32_e32 v5, 7, v1
	v_lshlrev_b32_e32 v8, 3, v0
	s_waitcnt lgkmcnt(0)
	s_add_u32 s6, s6, s0
	s_addc_u32 s7, s7, s1
	s_add_u32 s0, s14, s0
	s_addc_u32 s1, s15, s1
	v_mad_i64_i32 v[3:4], s[14:15], s11, v7, 0
	s_load_dwordx2 s[6:7], s[6:7], 0x0
	v_add_u32_e32 v9, v8, v5
	v_add_u32_e32 v10, 0x800, v5
	v_lshlrev_b64 v[3:4], 3, v[3:4]
	v_mad_i64_i32 v[5:6], s[14:15], s8, v2, 0
	v_add_co_u32_e32 v0, vcc, v3, v8
	s_load_dwordx2 s[0:1], s[0:1], 0x0
	v_addc_co_u32_e32 v4, vcc, 0, v4, vcc
	s_waitcnt lgkmcnt(0)
	v_mov_b32_e32 v12, s7
	v_add_co_u32_e32 v3, vcc, s6, v0
	v_lshlrev_b64 v[5:6], 3, v[5:6]
	v_addc_co_u32_e32 v4, vcc, v12, v4, vcc
	v_lshlrev_b32_e32 v0, 3, v1
	v_add_co_u32_e32 v0, vcc, v5, v0
	v_addc_co_u32_e32 v1, vcc, 0, v6, vcc
	v_mov_b32_e32 v12, s1
	v_mov_b32_e32 v5, 0
	v_add_co_u32_e32 v0, vcc, s0, v0
	v_add_u32_e32 v11, v10, v8
	v_mov_b32_e32 v6, 0
	v_addc_co_u32_e32 v1, vcc, v12, v1, vcc
.LBB577_2:                              ; =>This Inner Loop Header: Depth=1
	flat_load_dwordx2 v[12:13], v[0:1]
	s_add_i32 s9, s9, 16
	s_cmp_lt_i32 s9, s10
	s_waitcnt vmcnt(0) lgkmcnt(0)
	ds_write_b64 v9, v[12:13]
	flat_load_dwordx2 v[12:13], v[3:4]
	v_add_co_u32_e32 v3, vcc, 0x80, v3
	s_mov_b64 s[0:1], vcc
	v_add_co_u32_e32 v0, vcc, 0x80, v0
	v_addc_co_u32_e64 v4, s[0:1], 0, v4, s[0:1]
	v_addc_co_u32_e32 v1, vcc, 0, v1, vcc
	s_waitcnt vmcnt(0) lgkmcnt(0)
	ds_write_b64 v11, v[12:13]
	s_waitcnt lgkmcnt(0)
	s_barrier
	ds_read2_b64 v[12:15], v8 offset1:16
	ds_read_b128 v[16:19], v10
	s_waitcnt lgkmcnt(0)
	v_fma_f64 v[5:6], v[12:13], v[16:17], v[5:6]
	v_fma_f64 v[5:6], v[14:15], v[18:19], v[5:6]
	ds_read_b128 v[12:15], v10 offset:16
	ds_read2_b64 v[16:19], v8 offset0:32 offset1:48
	s_waitcnt lgkmcnt(0)
	v_fma_f64 v[5:6], v[16:17], v[12:13], v[5:6]
	v_fma_f64 v[5:6], v[18:19], v[14:15], v[5:6]
	ds_read2_b64 v[12:15], v8 offset0:64 offset1:80
	ds_read_b128 v[16:19], v10 offset:32
	s_waitcnt lgkmcnt(0)
	v_fma_f64 v[5:6], v[12:13], v[16:17], v[5:6]
	v_fma_f64 v[5:6], v[14:15], v[18:19], v[5:6]
	ds_read_b128 v[12:15], v10 offset:48
	ds_read2_b64 v[16:19], v8 offset0:96 offset1:112
	s_waitcnt lgkmcnt(0)
	v_fma_f64 v[5:6], v[16:17], v[12:13], v[5:6]
	v_fma_f64 v[5:6], v[18:19], v[14:15], v[5:6]
	ds_read2_b64 v[12:15], v8 offset0:128 offset1:144
	ds_read_b128 v[16:19], v10 offset:64
	;; [unrolled: 10-line block ×3, first 2 shown]
	s_waitcnt lgkmcnt(0)
	v_fma_f64 v[5:6], v[12:13], v[16:17], v[5:6]
	v_fma_f64 v[5:6], v[14:15], v[18:19], v[5:6]
	ds_read_b128 v[12:15], v10 offset:112
	ds_read2_b64 v[16:19], v8 offset0:224 offset1:240
	s_waitcnt lgkmcnt(0)
	s_barrier
	v_fma_f64 v[5:6], v[16:17], v[12:13], v[5:6]
	v_fma_f64 v[5:6], v[18:19], v[14:15], v[5:6]
	s_cbranch_scc1 .LBB577_2
; %bb.3:
	v_cmp_le_i32_e32 vcc, v7, v2
	s_and_saveexec_b64 s[0:1], vcc
	s_cbranch_execz .LBB577_5
.LBB577_4:
	s_load_dword s0, s[4:5], 0x50
	v_mul_f64 v[0:1], s[12:13], v[5:6]
	v_ashrrev_i32_e32 v3, 31, v2
	s_waitcnt lgkmcnt(0)
	v_mov_b32_e32 v6, s3
	v_lshlrev_b64 v[2:3], 3, v[2:3]
	v_mad_i64_i32 v[4:5], s[0:1], s0, v7, 0
	v_lshlrev_b64 v[4:5], 3, v[4:5]
	v_add_co_u32_e32 v4, vcc, s2, v4
	v_addc_co_u32_e32 v5, vcc, v6, v5, vcc
	v_add_co_u32_e32 v2, vcc, v4, v2
	v_addc_co_u32_e32 v3, vcc, v5, v3, vcc
	flat_store_dwordx2 v[2:3], v[0:1]
.LBB577_5:
	s_endpgm
.LBB577_6:
	v_mov_b32_e32 v5, 0
	v_mov_b32_e32 v6, 0
	v_cmp_le_i32_e32 vcc, v7, v2
	s_and_saveexec_b64 s[0:1], vcc
	s_cbranch_execnz .LBB577_4
	s_branch .LBB577_5
	.section	.rodata,"a",@progbits
	.p2align	6, 0x0
	.amdhsa_kernel _ZL41rocblas_syrkx_herkx_small_restrict_kernelIidLi16ELb1ELb0ELc84ELc76EKPKdKPdEviT_T0_PT6_S5_lS8_S5_lS6_PT7_S5_li
		.amdhsa_group_segment_fixed_size 4096
		.amdhsa_private_segment_fixed_size 0
		.amdhsa_kernarg_size 100
		.amdhsa_user_sgpr_count 6
		.amdhsa_user_sgpr_private_segment_buffer 1
		.amdhsa_user_sgpr_dispatch_ptr 0
		.amdhsa_user_sgpr_queue_ptr 0
		.amdhsa_user_sgpr_kernarg_segment_ptr 1
		.amdhsa_user_sgpr_dispatch_id 0
		.amdhsa_user_sgpr_flat_scratch_init 0
		.amdhsa_user_sgpr_private_segment_size 0
		.amdhsa_uses_dynamic_stack 0
		.amdhsa_system_sgpr_private_segment_wavefront_offset 0
		.amdhsa_system_sgpr_workgroup_id_x 1
		.amdhsa_system_sgpr_workgroup_id_y 1
		.amdhsa_system_sgpr_workgroup_id_z 1
		.amdhsa_system_sgpr_workgroup_info 0
		.amdhsa_system_vgpr_workitem_id 1
		.amdhsa_next_free_vgpr 20
		.amdhsa_next_free_sgpr 16
		.amdhsa_reserve_vcc 1
		.amdhsa_reserve_flat_scratch 0
		.amdhsa_float_round_mode_32 0
		.amdhsa_float_round_mode_16_64 0
		.amdhsa_float_denorm_mode_32 3
		.amdhsa_float_denorm_mode_16_64 3
		.amdhsa_dx10_clamp 1
		.amdhsa_ieee_mode 1
		.amdhsa_fp16_overflow 0
		.amdhsa_exception_fp_ieee_invalid_op 0
		.amdhsa_exception_fp_denorm_src 0
		.amdhsa_exception_fp_ieee_div_zero 0
		.amdhsa_exception_fp_ieee_overflow 0
		.amdhsa_exception_fp_ieee_underflow 0
		.amdhsa_exception_fp_ieee_inexact 0
		.amdhsa_exception_int_div_zero 0
	.end_amdhsa_kernel
	.section	.text._ZL41rocblas_syrkx_herkx_small_restrict_kernelIidLi16ELb1ELb0ELc84ELc76EKPKdKPdEviT_T0_PT6_S5_lS8_S5_lS6_PT7_S5_li,"axG",@progbits,_ZL41rocblas_syrkx_herkx_small_restrict_kernelIidLi16ELb1ELb0ELc84ELc76EKPKdKPdEviT_T0_PT6_S5_lS8_S5_lS6_PT7_S5_li,comdat
.Lfunc_end577:
	.size	_ZL41rocblas_syrkx_herkx_small_restrict_kernelIidLi16ELb1ELb0ELc84ELc76EKPKdKPdEviT_T0_PT6_S5_lS8_S5_lS6_PT7_S5_li, .Lfunc_end577-_ZL41rocblas_syrkx_herkx_small_restrict_kernelIidLi16ELb1ELb0ELc84ELc76EKPKdKPdEviT_T0_PT6_S5_lS8_S5_lS6_PT7_S5_li
                                        ; -- End function
	.set _ZL41rocblas_syrkx_herkx_small_restrict_kernelIidLi16ELb1ELb0ELc84ELc76EKPKdKPdEviT_T0_PT6_S5_lS8_S5_lS6_PT7_S5_li.num_vgpr, 20
	.set _ZL41rocblas_syrkx_herkx_small_restrict_kernelIidLi16ELb1ELb0ELc84ELc76EKPKdKPdEviT_T0_PT6_S5_lS8_S5_lS6_PT7_S5_li.num_agpr, 0
	.set _ZL41rocblas_syrkx_herkx_small_restrict_kernelIidLi16ELb1ELb0ELc84ELc76EKPKdKPdEviT_T0_PT6_S5_lS8_S5_lS6_PT7_S5_li.numbered_sgpr, 16
	.set _ZL41rocblas_syrkx_herkx_small_restrict_kernelIidLi16ELb1ELb0ELc84ELc76EKPKdKPdEviT_T0_PT6_S5_lS8_S5_lS6_PT7_S5_li.num_named_barrier, 0
	.set _ZL41rocblas_syrkx_herkx_small_restrict_kernelIidLi16ELb1ELb0ELc84ELc76EKPKdKPdEviT_T0_PT6_S5_lS8_S5_lS6_PT7_S5_li.private_seg_size, 0
	.set _ZL41rocblas_syrkx_herkx_small_restrict_kernelIidLi16ELb1ELb0ELc84ELc76EKPKdKPdEviT_T0_PT6_S5_lS8_S5_lS6_PT7_S5_li.uses_vcc, 1
	.set _ZL41rocblas_syrkx_herkx_small_restrict_kernelIidLi16ELb1ELb0ELc84ELc76EKPKdKPdEviT_T0_PT6_S5_lS8_S5_lS6_PT7_S5_li.uses_flat_scratch, 0
	.set _ZL41rocblas_syrkx_herkx_small_restrict_kernelIidLi16ELb1ELb0ELc84ELc76EKPKdKPdEviT_T0_PT6_S5_lS8_S5_lS6_PT7_S5_li.has_dyn_sized_stack, 0
	.set _ZL41rocblas_syrkx_herkx_small_restrict_kernelIidLi16ELb1ELb0ELc84ELc76EKPKdKPdEviT_T0_PT6_S5_lS8_S5_lS6_PT7_S5_li.has_recursion, 0
	.set _ZL41rocblas_syrkx_herkx_small_restrict_kernelIidLi16ELb1ELb0ELc84ELc76EKPKdKPdEviT_T0_PT6_S5_lS8_S5_lS6_PT7_S5_li.has_indirect_call, 0
	.section	.AMDGPU.csdata,"",@progbits
; Kernel info:
; codeLenInByte = 748
; TotalNumSgprs: 20
; NumVgprs: 20
; ScratchSize: 0
; MemoryBound: 0
; FloatMode: 240
; IeeeMode: 1
; LDSByteSize: 4096 bytes/workgroup (compile time only)
; SGPRBlocks: 2
; VGPRBlocks: 4
; NumSGPRsForWavesPerEU: 20
; NumVGPRsForWavesPerEU: 20
; Occupancy: 10
; WaveLimiterHint : 1
; COMPUTE_PGM_RSRC2:SCRATCH_EN: 0
; COMPUTE_PGM_RSRC2:USER_SGPR: 6
; COMPUTE_PGM_RSRC2:TRAP_HANDLER: 0
; COMPUTE_PGM_RSRC2:TGID_X_EN: 1
; COMPUTE_PGM_RSRC2:TGID_Y_EN: 1
; COMPUTE_PGM_RSRC2:TGID_Z_EN: 1
; COMPUTE_PGM_RSRC2:TIDIG_COMP_CNT: 1
	.section	.text._ZL41rocblas_syrkx_herkx_small_restrict_kernelIidLi16ELb1ELb0ELc67ELc76EKPKdKPdEviT_T0_PT6_S5_lS8_S5_lS6_PT7_S5_li,"axG",@progbits,_ZL41rocblas_syrkx_herkx_small_restrict_kernelIidLi16ELb1ELb0ELc67ELc76EKPKdKPdEviT_T0_PT6_S5_lS8_S5_lS6_PT7_S5_li,comdat
	.globl	_ZL41rocblas_syrkx_herkx_small_restrict_kernelIidLi16ELb1ELb0ELc67ELc76EKPKdKPdEviT_T0_PT6_S5_lS8_S5_lS6_PT7_S5_li ; -- Begin function _ZL41rocblas_syrkx_herkx_small_restrict_kernelIidLi16ELb1ELb0ELc67ELc76EKPKdKPdEviT_T0_PT6_S5_lS8_S5_lS6_PT7_S5_li
	.p2align	8
	.type	_ZL41rocblas_syrkx_herkx_small_restrict_kernelIidLi16ELb1ELb0ELc67ELc76EKPKdKPdEviT_T0_PT6_S5_lS8_S5_lS6_PT7_S5_li,@function
_ZL41rocblas_syrkx_herkx_small_restrict_kernelIidLi16ELb1ELb0ELc67ELc76EKPKdKPdEviT_T0_PT6_S5_lS8_S5_lS6_PT7_S5_li: ; @_ZL41rocblas_syrkx_herkx_small_restrict_kernelIidLi16ELb1ELb0ELc67ELc76EKPKdKPdEviT_T0_PT6_S5_lS8_S5_lS6_PT7_S5_li
; %bb.0:
	s_load_dwordx2 s[2:3], s[4:5], 0x48
	s_load_dword s10, s[4:5], 0x4
	s_load_dwordx4 s[12:15], s[4:5], 0x8
	s_mov_b32 s9, 0
	s_lshl_b64 s[0:1], s[8:9], 3
	s_waitcnt lgkmcnt(0)
	s_add_u32 s2, s2, s0
	s_addc_u32 s3, s3, s1
	s_load_dwordx2 s[2:3], s[2:3], 0x0
	v_lshl_add_u32 v2, s6, 4, v0
	s_cmp_lt_i32 s10, 1
	v_lshl_add_u32 v7, s7, 4, v1
	s_cbranch_scc1 .LBB578_6
; %bb.1:
	s_load_dwordx2 s[6:7], s[4:5], 0x28
	s_load_dword s8, s[4:5], 0x18
	s_load_dword s11, s[4:5], 0x30
	v_lshlrev_b32_e32 v5, 7, v1
	v_lshlrev_b32_e32 v8, 3, v0
	s_waitcnt lgkmcnt(0)
	s_add_u32 s6, s6, s0
	s_addc_u32 s7, s7, s1
	s_add_u32 s0, s14, s0
	s_addc_u32 s1, s15, s1
	v_mad_i64_i32 v[3:4], s[14:15], s11, v7, 0
	s_load_dwordx2 s[6:7], s[6:7], 0x0
	v_add_u32_e32 v9, v8, v5
	v_add_u32_e32 v10, 0x800, v5
	v_lshlrev_b64 v[3:4], 3, v[3:4]
	v_mad_i64_i32 v[5:6], s[14:15], s8, v2, 0
	v_add_co_u32_e32 v0, vcc, v3, v8
	s_load_dwordx2 s[0:1], s[0:1], 0x0
	v_addc_co_u32_e32 v4, vcc, 0, v4, vcc
	s_waitcnt lgkmcnt(0)
	v_mov_b32_e32 v12, s7
	v_add_co_u32_e32 v3, vcc, s6, v0
	v_lshlrev_b64 v[5:6], 3, v[5:6]
	v_addc_co_u32_e32 v4, vcc, v12, v4, vcc
	v_lshlrev_b32_e32 v0, 3, v1
	v_add_co_u32_e32 v0, vcc, v5, v0
	v_addc_co_u32_e32 v1, vcc, 0, v6, vcc
	v_mov_b32_e32 v12, s1
	v_mov_b32_e32 v5, 0
	v_add_co_u32_e32 v0, vcc, s0, v0
	v_add_u32_e32 v11, v10, v8
	v_mov_b32_e32 v6, 0
	v_addc_co_u32_e32 v1, vcc, v12, v1, vcc
.LBB578_2:                              ; =>This Inner Loop Header: Depth=1
	flat_load_dwordx2 v[12:13], v[0:1]
	s_add_i32 s9, s9, 16
	s_cmp_lt_i32 s9, s10
	s_waitcnt vmcnt(0) lgkmcnt(0)
	ds_write_b64 v9, v[12:13]
	flat_load_dwordx2 v[12:13], v[3:4]
	v_add_co_u32_e32 v3, vcc, 0x80, v3
	s_mov_b64 s[0:1], vcc
	v_add_co_u32_e32 v0, vcc, 0x80, v0
	v_addc_co_u32_e64 v4, s[0:1], 0, v4, s[0:1]
	v_addc_co_u32_e32 v1, vcc, 0, v1, vcc
	s_waitcnt vmcnt(0) lgkmcnt(0)
	ds_write_b64 v11, v[12:13]
	s_waitcnt lgkmcnt(0)
	s_barrier
	ds_read2_b64 v[12:15], v8 offset1:16
	ds_read_b128 v[16:19], v10
	s_waitcnt lgkmcnt(0)
	v_fma_f64 v[5:6], v[12:13], v[16:17], v[5:6]
	v_fma_f64 v[5:6], v[14:15], v[18:19], v[5:6]
	ds_read_b128 v[12:15], v10 offset:16
	ds_read2_b64 v[16:19], v8 offset0:32 offset1:48
	s_waitcnt lgkmcnt(0)
	v_fma_f64 v[5:6], v[16:17], v[12:13], v[5:6]
	v_fma_f64 v[5:6], v[18:19], v[14:15], v[5:6]
	ds_read2_b64 v[12:15], v8 offset0:64 offset1:80
	ds_read_b128 v[16:19], v10 offset:32
	s_waitcnt lgkmcnt(0)
	v_fma_f64 v[5:6], v[12:13], v[16:17], v[5:6]
	v_fma_f64 v[5:6], v[14:15], v[18:19], v[5:6]
	ds_read_b128 v[12:15], v10 offset:48
	ds_read2_b64 v[16:19], v8 offset0:96 offset1:112
	s_waitcnt lgkmcnt(0)
	v_fma_f64 v[5:6], v[16:17], v[12:13], v[5:6]
	v_fma_f64 v[5:6], v[18:19], v[14:15], v[5:6]
	ds_read2_b64 v[12:15], v8 offset0:128 offset1:144
	ds_read_b128 v[16:19], v10 offset:64
	;; [unrolled: 10-line block ×3, first 2 shown]
	s_waitcnt lgkmcnt(0)
	v_fma_f64 v[5:6], v[12:13], v[16:17], v[5:6]
	v_fma_f64 v[5:6], v[14:15], v[18:19], v[5:6]
	ds_read_b128 v[12:15], v10 offset:112
	ds_read2_b64 v[16:19], v8 offset0:224 offset1:240
	s_waitcnt lgkmcnt(0)
	s_barrier
	v_fma_f64 v[5:6], v[16:17], v[12:13], v[5:6]
	v_fma_f64 v[5:6], v[18:19], v[14:15], v[5:6]
	s_cbranch_scc1 .LBB578_2
; %bb.3:
	v_cmp_le_i32_e32 vcc, v7, v2
	s_and_saveexec_b64 s[0:1], vcc
	s_cbranch_execz .LBB578_5
.LBB578_4:
	s_load_dword s0, s[4:5], 0x50
	v_mul_f64 v[0:1], s[12:13], v[5:6]
	v_ashrrev_i32_e32 v3, 31, v2
	s_waitcnt lgkmcnt(0)
	v_mov_b32_e32 v6, s3
	v_lshlrev_b64 v[2:3], 3, v[2:3]
	v_mad_i64_i32 v[4:5], s[0:1], s0, v7, 0
	v_lshlrev_b64 v[4:5], 3, v[4:5]
	v_add_co_u32_e32 v4, vcc, s2, v4
	v_addc_co_u32_e32 v5, vcc, v6, v5, vcc
	v_add_co_u32_e32 v2, vcc, v4, v2
	v_addc_co_u32_e32 v3, vcc, v5, v3, vcc
	flat_store_dwordx2 v[2:3], v[0:1]
.LBB578_5:
	s_endpgm
.LBB578_6:
	v_mov_b32_e32 v5, 0
	v_mov_b32_e32 v6, 0
	v_cmp_le_i32_e32 vcc, v7, v2
	s_and_saveexec_b64 s[0:1], vcc
	s_cbranch_execnz .LBB578_4
	s_branch .LBB578_5
	.section	.rodata,"a",@progbits
	.p2align	6, 0x0
	.amdhsa_kernel _ZL41rocblas_syrkx_herkx_small_restrict_kernelIidLi16ELb1ELb0ELc67ELc76EKPKdKPdEviT_T0_PT6_S5_lS8_S5_lS6_PT7_S5_li
		.amdhsa_group_segment_fixed_size 4096
		.amdhsa_private_segment_fixed_size 0
		.amdhsa_kernarg_size 100
		.amdhsa_user_sgpr_count 6
		.amdhsa_user_sgpr_private_segment_buffer 1
		.amdhsa_user_sgpr_dispatch_ptr 0
		.amdhsa_user_sgpr_queue_ptr 0
		.amdhsa_user_sgpr_kernarg_segment_ptr 1
		.amdhsa_user_sgpr_dispatch_id 0
		.amdhsa_user_sgpr_flat_scratch_init 0
		.amdhsa_user_sgpr_private_segment_size 0
		.amdhsa_uses_dynamic_stack 0
		.amdhsa_system_sgpr_private_segment_wavefront_offset 0
		.amdhsa_system_sgpr_workgroup_id_x 1
		.amdhsa_system_sgpr_workgroup_id_y 1
		.amdhsa_system_sgpr_workgroup_id_z 1
		.amdhsa_system_sgpr_workgroup_info 0
		.amdhsa_system_vgpr_workitem_id 1
		.amdhsa_next_free_vgpr 20
		.amdhsa_next_free_sgpr 16
		.amdhsa_reserve_vcc 1
		.amdhsa_reserve_flat_scratch 0
		.amdhsa_float_round_mode_32 0
		.amdhsa_float_round_mode_16_64 0
		.amdhsa_float_denorm_mode_32 3
		.amdhsa_float_denorm_mode_16_64 3
		.amdhsa_dx10_clamp 1
		.amdhsa_ieee_mode 1
		.amdhsa_fp16_overflow 0
		.amdhsa_exception_fp_ieee_invalid_op 0
		.amdhsa_exception_fp_denorm_src 0
		.amdhsa_exception_fp_ieee_div_zero 0
		.amdhsa_exception_fp_ieee_overflow 0
		.amdhsa_exception_fp_ieee_underflow 0
		.amdhsa_exception_fp_ieee_inexact 0
		.amdhsa_exception_int_div_zero 0
	.end_amdhsa_kernel
	.section	.text._ZL41rocblas_syrkx_herkx_small_restrict_kernelIidLi16ELb1ELb0ELc67ELc76EKPKdKPdEviT_T0_PT6_S5_lS8_S5_lS6_PT7_S5_li,"axG",@progbits,_ZL41rocblas_syrkx_herkx_small_restrict_kernelIidLi16ELb1ELb0ELc67ELc76EKPKdKPdEviT_T0_PT6_S5_lS8_S5_lS6_PT7_S5_li,comdat
.Lfunc_end578:
	.size	_ZL41rocblas_syrkx_herkx_small_restrict_kernelIidLi16ELb1ELb0ELc67ELc76EKPKdKPdEviT_T0_PT6_S5_lS8_S5_lS6_PT7_S5_li, .Lfunc_end578-_ZL41rocblas_syrkx_herkx_small_restrict_kernelIidLi16ELb1ELb0ELc67ELc76EKPKdKPdEviT_T0_PT6_S5_lS8_S5_lS6_PT7_S5_li
                                        ; -- End function
	.set _ZL41rocblas_syrkx_herkx_small_restrict_kernelIidLi16ELb1ELb0ELc67ELc76EKPKdKPdEviT_T0_PT6_S5_lS8_S5_lS6_PT7_S5_li.num_vgpr, 20
	.set _ZL41rocblas_syrkx_herkx_small_restrict_kernelIidLi16ELb1ELb0ELc67ELc76EKPKdKPdEviT_T0_PT6_S5_lS8_S5_lS6_PT7_S5_li.num_agpr, 0
	.set _ZL41rocblas_syrkx_herkx_small_restrict_kernelIidLi16ELb1ELb0ELc67ELc76EKPKdKPdEviT_T0_PT6_S5_lS8_S5_lS6_PT7_S5_li.numbered_sgpr, 16
	.set _ZL41rocblas_syrkx_herkx_small_restrict_kernelIidLi16ELb1ELb0ELc67ELc76EKPKdKPdEviT_T0_PT6_S5_lS8_S5_lS6_PT7_S5_li.num_named_barrier, 0
	.set _ZL41rocblas_syrkx_herkx_small_restrict_kernelIidLi16ELb1ELb0ELc67ELc76EKPKdKPdEviT_T0_PT6_S5_lS8_S5_lS6_PT7_S5_li.private_seg_size, 0
	.set _ZL41rocblas_syrkx_herkx_small_restrict_kernelIidLi16ELb1ELb0ELc67ELc76EKPKdKPdEviT_T0_PT6_S5_lS8_S5_lS6_PT7_S5_li.uses_vcc, 1
	.set _ZL41rocblas_syrkx_herkx_small_restrict_kernelIidLi16ELb1ELb0ELc67ELc76EKPKdKPdEviT_T0_PT6_S5_lS8_S5_lS6_PT7_S5_li.uses_flat_scratch, 0
	.set _ZL41rocblas_syrkx_herkx_small_restrict_kernelIidLi16ELb1ELb0ELc67ELc76EKPKdKPdEviT_T0_PT6_S5_lS8_S5_lS6_PT7_S5_li.has_dyn_sized_stack, 0
	.set _ZL41rocblas_syrkx_herkx_small_restrict_kernelIidLi16ELb1ELb0ELc67ELc76EKPKdKPdEviT_T0_PT6_S5_lS8_S5_lS6_PT7_S5_li.has_recursion, 0
	.set _ZL41rocblas_syrkx_herkx_small_restrict_kernelIidLi16ELb1ELb0ELc67ELc76EKPKdKPdEviT_T0_PT6_S5_lS8_S5_lS6_PT7_S5_li.has_indirect_call, 0
	.section	.AMDGPU.csdata,"",@progbits
; Kernel info:
; codeLenInByte = 748
; TotalNumSgprs: 20
; NumVgprs: 20
; ScratchSize: 0
; MemoryBound: 0
; FloatMode: 240
; IeeeMode: 1
; LDSByteSize: 4096 bytes/workgroup (compile time only)
; SGPRBlocks: 2
; VGPRBlocks: 4
; NumSGPRsForWavesPerEU: 20
; NumVGPRsForWavesPerEU: 20
; Occupancy: 10
; WaveLimiterHint : 1
; COMPUTE_PGM_RSRC2:SCRATCH_EN: 0
; COMPUTE_PGM_RSRC2:USER_SGPR: 6
; COMPUTE_PGM_RSRC2:TRAP_HANDLER: 0
; COMPUTE_PGM_RSRC2:TGID_X_EN: 1
; COMPUTE_PGM_RSRC2:TGID_Y_EN: 1
; COMPUTE_PGM_RSRC2:TGID_Z_EN: 1
; COMPUTE_PGM_RSRC2:TIDIG_COMP_CNT: 1
	.section	.text._ZL41rocblas_syrkx_herkx_small_restrict_kernelIidLi16ELb1ELb0ELc78ELc76EKPKdKPdEviT_T0_PT6_S5_lS8_S5_lS6_PT7_S5_li,"axG",@progbits,_ZL41rocblas_syrkx_herkx_small_restrict_kernelIidLi16ELb1ELb0ELc78ELc76EKPKdKPdEviT_T0_PT6_S5_lS8_S5_lS6_PT7_S5_li,comdat
	.globl	_ZL41rocblas_syrkx_herkx_small_restrict_kernelIidLi16ELb1ELb0ELc78ELc76EKPKdKPdEviT_T0_PT6_S5_lS8_S5_lS6_PT7_S5_li ; -- Begin function _ZL41rocblas_syrkx_herkx_small_restrict_kernelIidLi16ELb1ELb0ELc78ELc76EKPKdKPdEviT_T0_PT6_S5_lS8_S5_lS6_PT7_S5_li
	.p2align	8
	.type	_ZL41rocblas_syrkx_herkx_small_restrict_kernelIidLi16ELb1ELb0ELc78ELc76EKPKdKPdEviT_T0_PT6_S5_lS8_S5_lS6_PT7_S5_li,@function
_ZL41rocblas_syrkx_herkx_small_restrict_kernelIidLi16ELb1ELb0ELc78ELc76EKPKdKPdEviT_T0_PT6_S5_lS8_S5_lS6_PT7_S5_li: ; @_ZL41rocblas_syrkx_herkx_small_restrict_kernelIidLi16ELb1ELb0ELc78ELc76EKPKdKPdEviT_T0_PT6_S5_lS8_S5_lS6_PT7_S5_li
; %bb.0:
	s_load_dwordx2 s[10:11], s[4:5], 0x48
	s_load_dword s14, s[4:5], 0x4
	s_load_dwordx4 s[0:3], s[4:5], 0x8
	s_mov_b32 s9, 0
	s_lshl_b64 s[12:13], s[8:9], 3
	s_waitcnt lgkmcnt(0)
	s_add_u32 s10, s10, s12
	s_addc_u32 s11, s11, s13
	s_load_dwordx2 s[10:11], s[10:11], 0x0
	v_lshl_add_u32 v2, s6, 4, v0
	v_lshl_add_u32 v4, s7, 4, v1
	s_cmp_lt_i32 s14, 1
	v_ashrrev_i32_e32 v3, 31, v2
	s_cbranch_scc1 .LBB579_6
; %bb.1:
	s_load_dword s6, s[4:5], 0x18
	s_load_dword s16, s[4:5], 0x30
	s_load_dwordx2 s[18:19], s[4:5], 0x28
	v_ashrrev_i32_e32 v5, 31, v4
	v_lshlrev_b64 v[12:13], 3, v[4:5]
	s_waitcnt lgkmcnt(0)
	s_ashr_i32 s7, s6, 31
	s_ashr_i32 s17, s16, 31
	s_add_u32 s18, s18, s12
	s_addc_u32 s19, s19, s13
	s_add_u32 s2, s2, s12
	s_addc_u32 s3, s3, s13
	s_load_dwordx2 s[12:13], s[2:3], 0x0
	v_mad_i64_i32 v[6:7], s[2:3], s16, v0, 0
	s_load_dwordx2 s[18:19], s[18:19], 0x0
	v_lshlrev_b32_e32 v9, 3, v0
	v_lshlrev_b64 v[6:7], 3, v[6:7]
	v_lshlrev_b32_e32 v8, 7, v1
	v_add_co_u32_e32 v0, vcc, v6, v12
	v_mad_i64_i32 v[5:6], s[2:3], s6, v1, 0
	v_addc_co_u32_e32 v7, vcc, v7, v13, vcc
	v_add_u32_e32 v10, v9, v8
	v_add_u32_e32 v11, 0x800, v8
	s_waitcnt lgkmcnt(0)
	v_mov_b32_e32 v8, s19
	v_add_co_u32_e32 v0, vcc, s18, v0
	v_addc_co_u32_e32 v1, vcc, v8, v7, vcc
	v_lshlrev_b64 v[5:6], 3, v[5:6]
	v_lshlrev_b64 v[7:8], 3, v[2:3]
	s_lshl_b64 s[2:3], s[16:17], 7
	v_add_co_u32_e32 v5, vcc, v5, v7
	v_addc_co_u32_e32 v6, vcc, v6, v8, vcc
	v_mov_b32_e32 v7, s13
	v_add_co_u32_e32 v5, vcc, s12, v5
	v_addc_co_u32_e32 v6, vcc, v7, v6, vcc
	s_lshl_b64 s[6:7], s[6:7], 7
	v_mov_b32_e32 v7, 0
	v_mov_b32_e32 v8, 0
	;; [unrolled: 1-line block ×4, first 2 shown]
.LBB579_2:                              ; =>This Inner Loop Header: Depth=1
	flat_load_dwordx2 v[14:15], v[5:6]
	v_add_u32_e32 v16, v11, v9
	v_add_co_u32_e32 v5, vcc, s6, v5
	v_addc_co_u32_e32 v6, vcc, v6, v13, vcc
	s_add_i32 s9, s9, 16
	s_cmp_lt_i32 s9, s14
	s_waitcnt vmcnt(0) lgkmcnt(0)
	ds_write_b64 v10, v[14:15]
	flat_load_dwordx2 v[14:15], v[0:1]
	v_add_co_u32_e32 v0, vcc, s2, v0
	v_addc_co_u32_e32 v1, vcc, v1, v12, vcc
	s_waitcnt vmcnt(0) lgkmcnt(0)
	ds_write_b64 v16, v[14:15]
	s_waitcnt lgkmcnt(0)
	s_barrier
	ds_read2_b64 v[14:17], v9 offset1:16
	ds_read_b128 v[18:21], v11
	ds_read_b128 v[22:25], v11 offset:16
	s_waitcnt lgkmcnt(1)
	v_fma_f64 v[7:8], v[14:15], v[18:19], v[7:8]
	v_fma_f64 v[7:8], v[16:17], v[20:21], v[7:8]
	ds_read2_b64 v[14:17], v9 offset0:32 offset1:48
	s_waitcnt lgkmcnt(0)
	v_fma_f64 v[7:8], v[14:15], v[22:23], v[7:8]
	v_fma_f64 v[7:8], v[16:17], v[24:25], v[7:8]
	ds_read2_b64 v[14:17], v9 offset0:64 offset1:80
	ds_read_b128 v[18:21], v11 offset:32
	ds_read_b128 v[22:25], v11 offset:48
	s_waitcnt lgkmcnt(1)
	v_fma_f64 v[7:8], v[14:15], v[18:19], v[7:8]
	v_fma_f64 v[7:8], v[16:17], v[20:21], v[7:8]
	ds_read2_b64 v[14:17], v9 offset0:96 offset1:112
	s_waitcnt lgkmcnt(0)
	v_fma_f64 v[7:8], v[14:15], v[22:23], v[7:8]
	v_fma_f64 v[7:8], v[16:17], v[24:25], v[7:8]
	ds_read2_b64 v[14:17], v9 offset0:128 offset1:144
	ds_read_b128 v[18:21], v11 offset:64
	;; [unrolled: 10-line block ×3, first 2 shown]
	ds_read_b128 v[22:25], v11 offset:112
	s_waitcnt lgkmcnt(1)
	v_fma_f64 v[7:8], v[14:15], v[18:19], v[7:8]
	v_fma_f64 v[7:8], v[16:17], v[20:21], v[7:8]
	ds_read2_b64 v[14:17], v9 offset0:224 offset1:240
	s_waitcnt lgkmcnt(0)
	s_barrier
	v_fma_f64 v[7:8], v[14:15], v[22:23], v[7:8]
	v_fma_f64 v[7:8], v[16:17], v[24:25], v[7:8]
	s_cbranch_scc1 .LBB579_2
; %bb.3:
	v_cmp_le_i32_e32 vcc, v4, v2
	s_and_saveexec_b64 s[2:3], vcc
	s_cbranch_execz .LBB579_5
.LBB579_4:
	s_load_dword s2, s[4:5], 0x50
	s_waitcnt lgkmcnt(0)
	v_mov_b32_e32 v6, s11
	v_lshlrev_b64 v[2:3], 3, v[2:3]
	v_mad_i64_i32 v[0:1], s[2:3], s2, v4, 0
	v_mul_f64 v[4:5], s[0:1], v[7:8]
	v_lshlrev_b64 v[0:1], 3, v[0:1]
	v_add_co_u32_e32 v0, vcc, s10, v0
	v_addc_co_u32_e32 v1, vcc, v6, v1, vcc
	v_add_co_u32_e32 v0, vcc, v0, v2
	v_addc_co_u32_e32 v1, vcc, v1, v3, vcc
	flat_store_dwordx2 v[0:1], v[4:5]
.LBB579_5:
	s_endpgm
.LBB579_6:
	v_mov_b32_e32 v7, 0
	v_mov_b32_e32 v8, 0
	v_cmp_le_i32_e32 vcc, v4, v2
	s_and_saveexec_b64 s[2:3], vcc
	s_cbranch_execnz .LBB579_4
	s_branch .LBB579_5
	.section	.rodata,"a",@progbits
	.p2align	6, 0x0
	.amdhsa_kernel _ZL41rocblas_syrkx_herkx_small_restrict_kernelIidLi16ELb1ELb0ELc78ELc76EKPKdKPdEviT_T0_PT6_S5_lS8_S5_lS6_PT7_S5_li
		.amdhsa_group_segment_fixed_size 4096
		.amdhsa_private_segment_fixed_size 0
		.amdhsa_kernarg_size 100
		.amdhsa_user_sgpr_count 6
		.amdhsa_user_sgpr_private_segment_buffer 1
		.amdhsa_user_sgpr_dispatch_ptr 0
		.amdhsa_user_sgpr_queue_ptr 0
		.amdhsa_user_sgpr_kernarg_segment_ptr 1
		.amdhsa_user_sgpr_dispatch_id 0
		.amdhsa_user_sgpr_flat_scratch_init 0
		.amdhsa_user_sgpr_private_segment_size 0
		.amdhsa_uses_dynamic_stack 0
		.amdhsa_system_sgpr_private_segment_wavefront_offset 0
		.amdhsa_system_sgpr_workgroup_id_x 1
		.amdhsa_system_sgpr_workgroup_id_y 1
		.amdhsa_system_sgpr_workgroup_id_z 1
		.amdhsa_system_sgpr_workgroup_info 0
		.amdhsa_system_vgpr_workitem_id 1
		.amdhsa_next_free_vgpr 26
		.amdhsa_next_free_sgpr 20
		.amdhsa_reserve_vcc 1
		.amdhsa_reserve_flat_scratch 0
		.amdhsa_float_round_mode_32 0
		.amdhsa_float_round_mode_16_64 0
		.amdhsa_float_denorm_mode_32 3
		.amdhsa_float_denorm_mode_16_64 3
		.amdhsa_dx10_clamp 1
		.amdhsa_ieee_mode 1
		.amdhsa_fp16_overflow 0
		.amdhsa_exception_fp_ieee_invalid_op 0
		.amdhsa_exception_fp_denorm_src 0
		.amdhsa_exception_fp_ieee_div_zero 0
		.amdhsa_exception_fp_ieee_overflow 0
		.amdhsa_exception_fp_ieee_underflow 0
		.amdhsa_exception_fp_ieee_inexact 0
		.amdhsa_exception_int_div_zero 0
	.end_amdhsa_kernel
	.section	.text._ZL41rocblas_syrkx_herkx_small_restrict_kernelIidLi16ELb1ELb0ELc78ELc76EKPKdKPdEviT_T0_PT6_S5_lS8_S5_lS6_PT7_S5_li,"axG",@progbits,_ZL41rocblas_syrkx_herkx_small_restrict_kernelIidLi16ELb1ELb0ELc78ELc76EKPKdKPdEviT_T0_PT6_S5_lS8_S5_lS6_PT7_S5_li,comdat
.Lfunc_end579:
	.size	_ZL41rocblas_syrkx_herkx_small_restrict_kernelIidLi16ELb1ELb0ELc78ELc76EKPKdKPdEviT_T0_PT6_S5_lS8_S5_lS6_PT7_S5_li, .Lfunc_end579-_ZL41rocblas_syrkx_herkx_small_restrict_kernelIidLi16ELb1ELb0ELc78ELc76EKPKdKPdEviT_T0_PT6_S5_lS8_S5_lS6_PT7_S5_li
                                        ; -- End function
	.set _ZL41rocblas_syrkx_herkx_small_restrict_kernelIidLi16ELb1ELb0ELc78ELc76EKPKdKPdEviT_T0_PT6_S5_lS8_S5_lS6_PT7_S5_li.num_vgpr, 26
	.set _ZL41rocblas_syrkx_herkx_small_restrict_kernelIidLi16ELb1ELb0ELc78ELc76EKPKdKPdEviT_T0_PT6_S5_lS8_S5_lS6_PT7_S5_li.num_agpr, 0
	.set _ZL41rocblas_syrkx_herkx_small_restrict_kernelIidLi16ELb1ELb0ELc78ELc76EKPKdKPdEviT_T0_PT6_S5_lS8_S5_lS6_PT7_S5_li.numbered_sgpr, 20
	.set _ZL41rocblas_syrkx_herkx_small_restrict_kernelIidLi16ELb1ELb0ELc78ELc76EKPKdKPdEviT_T0_PT6_S5_lS8_S5_lS6_PT7_S5_li.num_named_barrier, 0
	.set _ZL41rocblas_syrkx_herkx_small_restrict_kernelIidLi16ELb1ELb0ELc78ELc76EKPKdKPdEviT_T0_PT6_S5_lS8_S5_lS6_PT7_S5_li.private_seg_size, 0
	.set _ZL41rocblas_syrkx_herkx_small_restrict_kernelIidLi16ELb1ELb0ELc78ELc76EKPKdKPdEviT_T0_PT6_S5_lS8_S5_lS6_PT7_S5_li.uses_vcc, 1
	.set _ZL41rocblas_syrkx_herkx_small_restrict_kernelIidLi16ELb1ELb0ELc78ELc76EKPKdKPdEviT_T0_PT6_S5_lS8_S5_lS6_PT7_S5_li.uses_flat_scratch, 0
	.set _ZL41rocblas_syrkx_herkx_small_restrict_kernelIidLi16ELb1ELb0ELc78ELc76EKPKdKPdEviT_T0_PT6_S5_lS8_S5_lS6_PT7_S5_li.has_dyn_sized_stack, 0
	.set _ZL41rocblas_syrkx_herkx_small_restrict_kernelIidLi16ELb1ELb0ELc78ELc76EKPKdKPdEviT_T0_PT6_S5_lS8_S5_lS6_PT7_S5_li.has_recursion, 0
	.set _ZL41rocblas_syrkx_herkx_small_restrict_kernelIidLi16ELb1ELb0ELc78ELc76EKPKdKPdEviT_T0_PT6_S5_lS8_S5_lS6_PT7_S5_li.has_indirect_call, 0
	.section	.AMDGPU.csdata,"",@progbits
; Kernel info:
; codeLenInByte = 772
; TotalNumSgprs: 24
; NumVgprs: 26
; ScratchSize: 0
; MemoryBound: 0
; FloatMode: 240
; IeeeMode: 1
; LDSByteSize: 4096 bytes/workgroup (compile time only)
; SGPRBlocks: 2
; VGPRBlocks: 6
; NumSGPRsForWavesPerEU: 24
; NumVGPRsForWavesPerEU: 26
; Occupancy: 9
; WaveLimiterHint : 1
; COMPUTE_PGM_RSRC2:SCRATCH_EN: 0
; COMPUTE_PGM_RSRC2:USER_SGPR: 6
; COMPUTE_PGM_RSRC2:TRAP_HANDLER: 0
; COMPUTE_PGM_RSRC2:TGID_X_EN: 1
; COMPUTE_PGM_RSRC2:TGID_Y_EN: 1
; COMPUTE_PGM_RSRC2:TGID_Z_EN: 1
; COMPUTE_PGM_RSRC2:TIDIG_COMP_CNT: 1
	.section	.text._ZL41rocblas_syrkx_herkx_small_restrict_kernelIidLi16ELb1ELb0ELc84ELc85EKPKdKPdEviT_T0_PT6_S5_lS8_S5_lS6_PT7_S5_li,"axG",@progbits,_ZL41rocblas_syrkx_herkx_small_restrict_kernelIidLi16ELb1ELb0ELc84ELc85EKPKdKPdEviT_T0_PT6_S5_lS8_S5_lS6_PT7_S5_li,comdat
	.globl	_ZL41rocblas_syrkx_herkx_small_restrict_kernelIidLi16ELb1ELb0ELc84ELc85EKPKdKPdEviT_T0_PT6_S5_lS8_S5_lS6_PT7_S5_li ; -- Begin function _ZL41rocblas_syrkx_herkx_small_restrict_kernelIidLi16ELb1ELb0ELc84ELc85EKPKdKPdEviT_T0_PT6_S5_lS8_S5_lS6_PT7_S5_li
	.p2align	8
	.type	_ZL41rocblas_syrkx_herkx_small_restrict_kernelIidLi16ELb1ELb0ELc84ELc85EKPKdKPdEviT_T0_PT6_S5_lS8_S5_lS6_PT7_S5_li,@function
_ZL41rocblas_syrkx_herkx_small_restrict_kernelIidLi16ELb1ELb0ELc84ELc85EKPKdKPdEviT_T0_PT6_S5_lS8_S5_lS6_PT7_S5_li: ; @_ZL41rocblas_syrkx_herkx_small_restrict_kernelIidLi16ELb1ELb0ELc84ELc85EKPKdKPdEviT_T0_PT6_S5_lS8_S5_lS6_PT7_S5_li
; %bb.0:
	s_load_dwordx2 s[2:3], s[4:5], 0x48
	s_load_dword s10, s[4:5], 0x4
	s_load_dwordx4 s[12:15], s[4:5], 0x8
	s_mov_b32 s9, 0
	s_lshl_b64 s[0:1], s[8:9], 3
	s_waitcnt lgkmcnt(0)
	s_add_u32 s2, s2, s0
	s_addc_u32 s3, s3, s1
	s_load_dwordx2 s[2:3], s[2:3], 0x0
	v_lshl_add_u32 v2, s6, 4, v0
	s_cmp_lt_i32 s10, 1
	v_lshl_add_u32 v7, s7, 4, v1
	s_cbranch_scc1 .LBB580_6
; %bb.1:
	s_load_dwordx2 s[6:7], s[4:5], 0x28
	s_load_dword s8, s[4:5], 0x18
	s_load_dword s11, s[4:5], 0x30
	v_lshlrev_b32_e32 v5, 7, v1
	v_lshlrev_b32_e32 v8, 3, v0
	s_waitcnt lgkmcnt(0)
	s_add_u32 s6, s6, s0
	s_addc_u32 s7, s7, s1
	s_add_u32 s0, s14, s0
	s_addc_u32 s1, s15, s1
	v_mad_i64_i32 v[3:4], s[14:15], s11, v7, 0
	s_load_dwordx2 s[6:7], s[6:7], 0x0
	v_add_u32_e32 v9, v8, v5
	v_add_u32_e32 v10, 0x800, v5
	v_lshlrev_b64 v[3:4], 3, v[3:4]
	v_mad_i64_i32 v[5:6], s[14:15], s8, v2, 0
	v_add_co_u32_e32 v0, vcc, v3, v8
	s_load_dwordx2 s[0:1], s[0:1], 0x0
	v_addc_co_u32_e32 v4, vcc, 0, v4, vcc
	s_waitcnt lgkmcnt(0)
	v_mov_b32_e32 v12, s7
	v_add_co_u32_e32 v3, vcc, s6, v0
	v_lshlrev_b64 v[5:6], 3, v[5:6]
	v_addc_co_u32_e32 v4, vcc, v12, v4, vcc
	v_lshlrev_b32_e32 v0, 3, v1
	v_add_co_u32_e32 v0, vcc, v5, v0
	v_addc_co_u32_e32 v1, vcc, 0, v6, vcc
	v_mov_b32_e32 v12, s1
	v_mov_b32_e32 v5, 0
	v_add_co_u32_e32 v0, vcc, s0, v0
	v_add_u32_e32 v11, v10, v8
	v_mov_b32_e32 v6, 0
	v_addc_co_u32_e32 v1, vcc, v12, v1, vcc
.LBB580_2:                              ; =>This Inner Loop Header: Depth=1
	flat_load_dwordx2 v[12:13], v[0:1]
	s_add_i32 s9, s9, 16
	s_cmp_lt_i32 s9, s10
	s_waitcnt vmcnt(0) lgkmcnt(0)
	ds_write_b64 v9, v[12:13]
	flat_load_dwordx2 v[12:13], v[3:4]
	v_add_co_u32_e32 v3, vcc, 0x80, v3
	s_mov_b64 s[0:1], vcc
	v_add_co_u32_e32 v0, vcc, 0x80, v0
	v_addc_co_u32_e64 v4, s[0:1], 0, v4, s[0:1]
	v_addc_co_u32_e32 v1, vcc, 0, v1, vcc
	s_waitcnt vmcnt(0) lgkmcnt(0)
	ds_write_b64 v11, v[12:13]
	s_waitcnt lgkmcnt(0)
	s_barrier
	ds_read2_b64 v[12:15], v8 offset1:16
	ds_read_b128 v[16:19], v10
	s_waitcnt lgkmcnt(0)
	v_fma_f64 v[5:6], v[12:13], v[16:17], v[5:6]
	v_fma_f64 v[5:6], v[14:15], v[18:19], v[5:6]
	ds_read_b128 v[12:15], v10 offset:16
	ds_read2_b64 v[16:19], v8 offset0:32 offset1:48
	s_waitcnt lgkmcnt(0)
	v_fma_f64 v[5:6], v[16:17], v[12:13], v[5:6]
	v_fma_f64 v[5:6], v[18:19], v[14:15], v[5:6]
	ds_read2_b64 v[12:15], v8 offset0:64 offset1:80
	ds_read_b128 v[16:19], v10 offset:32
	s_waitcnt lgkmcnt(0)
	v_fma_f64 v[5:6], v[12:13], v[16:17], v[5:6]
	v_fma_f64 v[5:6], v[14:15], v[18:19], v[5:6]
	ds_read_b128 v[12:15], v10 offset:48
	ds_read2_b64 v[16:19], v8 offset0:96 offset1:112
	s_waitcnt lgkmcnt(0)
	v_fma_f64 v[5:6], v[16:17], v[12:13], v[5:6]
	v_fma_f64 v[5:6], v[18:19], v[14:15], v[5:6]
	ds_read2_b64 v[12:15], v8 offset0:128 offset1:144
	ds_read_b128 v[16:19], v10 offset:64
	;; [unrolled: 10-line block ×3, first 2 shown]
	s_waitcnt lgkmcnt(0)
	v_fma_f64 v[5:6], v[12:13], v[16:17], v[5:6]
	v_fma_f64 v[5:6], v[14:15], v[18:19], v[5:6]
	ds_read_b128 v[12:15], v10 offset:112
	ds_read2_b64 v[16:19], v8 offset0:224 offset1:240
	s_waitcnt lgkmcnt(0)
	s_barrier
	v_fma_f64 v[5:6], v[16:17], v[12:13], v[5:6]
	v_fma_f64 v[5:6], v[18:19], v[14:15], v[5:6]
	s_cbranch_scc1 .LBB580_2
; %bb.3:
	v_cmp_le_i32_e32 vcc, v2, v7
	s_and_saveexec_b64 s[0:1], vcc
	s_cbranch_execz .LBB580_5
.LBB580_4:
	s_load_dword s0, s[4:5], 0x50
	v_mul_f64 v[0:1], s[12:13], v[5:6]
	v_ashrrev_i32_e32 v3, 31, v2
	s_waitcnt lgkmcnt(0)
	v_mov_b32_e32 v6, s3
	v_lshlrev_b64 v[2:3], 3, v[2:3]
	v_mad_i64_i32 v[4:5], s[0:1], s0, v7, 0
	v_lshlrev_b64 v[4:5], 3, v[4:5]
	v_add_co_u32_e32 v4, vcc, s2, v4
	v_addc_co_u32_e32 v5, vcc, v6, v5, vcc
	v_add_co_u32_e32 v2, vcc, v4, v2
	v_addc_co_u32_e32 v3, vcc, v5, v3, vcc
	flat_store_dwordx2 v[2:3], v[0:1]
.LBB580_5:
	s_endpgm
.LBB580_6:
	v_mov_b32_e32 v5, 0
	v_mov_b32_e32 v6, 0
	v_cmp_le_i32_e32 vcc, v2, v7
	s_and_saveexec_b64 s[0:1], vcc
	s_cbranch_execnz .LBB580_4
	s_branch .LBB580_5
	.section	.rodata,"a",@progbits
	.p2align	6, 0x0
	.amdhsa_kernel _ZL41rocblas_syrkx_herkx_small_restrict_kernelIidLi16ELb1ELb0ELc84ELc85EKPKdKPdEviT_T0_PT6_S5_lS8_S5_lS6_PT7_S5_li
		.amdhsa_group_segment_fixed_size 4096
		.amdhsa_private_segment_fixed_size 0
		.amdhsa_kernarg_size 100
		.amdhsa_user_sgpr_count 6
		.amdhsa_user_sgpr_private_segment_buffer 1
		.amdhsa_user_sgpr_dispatch_ptr 0
		.amdhsa_user_sgpr_queue_ptr 0
		.amdhsa_user_sgpr_kernarg_segment_ptr 1
		.amdhsa_user_sgpr_dispatch_id 0
		.amdhsa_user_sgpr_flat_scratch_init 0
		.amdhsa_user_sgpr_private_segment_size 0
		.amdhsa_uses_dynamic_stack 0
		.amdhsa_system_sgpr_private_segment_wavefront_offset 0
		.amdhsa_system_sgpr_workgroup_id_x 1
		.amdhsa_system_sgpr_workgroup_id_y 1
		.amdhsa_system_sgpr_workgroup_id_z 1
		.amdhsa_system_sgpr_workgroup_info 0
		.amdhsa_system_vgpr_workitem_id 1
		.amdhsa_next_free_vgpr 20
		.amdhsa_next_free_sgpr 16
		.amdhsa_reserve_vcc 1
		.amdhsa_reserve_flat_scratch 0
		.amdhsa_float_round_mode_32 0
		.amdhsa_float_round_mode_16_64 0
		.amdhsa_float_denorm_mode_32 3
		.amdhsa_float_denorm_mode_16_64 3
		.amdhsa_dx10_clamp 1
		.amdhsa_ieee_mode 1
		.amdhsa_fp16_overflow 0
		.amdhsa_exception_fp_ieee_invalid_op 0
		.amdhsa_exception_fp_denorm_src 0
		.amdhsa_exception_fp_ieee_div_zero 0
		.amdhsa_exception_fp_ieee_overflow 0
		.amdhsa_exception_fp_ieee_underflow 0
		.amdhsa_exception_fp_ieee_inexact 0
		.amdhsa_exception_int_div_zero 0
	.end_amdhsa_kernel
	.section	.text._ZL41rocblas_syrkx_herkx_small_restrict_kernelIidLi16ELb1ELb0ELc84ELc85EKPKdKPdEviT_T0_PT6_S5_lS8_S5_lS6_PT7_S5_li,"axG",@progbits,_ZL41rocblas_syrkx_herkx_small_restrict_kernelIidLi16ELb1ELb0ELc84ELc85EKPKdKPdEviT_T0_PT6_S5_lS8_S5_lS6_PT7_S5_li,comdat
.Lfunc_end580:
	.size	_ZL41rocblas_syrkx_herkx_small_restrict_kernelIidLi16ELb1ELb0ELc84ELc85EKPKdKPdEviT_T0_PT6_S5_lS8_S5_lS6_PT7_S5_li, .Lfunc_end580-_ZL41rocblas_syrkx_herkx_small_restrict_kernelIidLi16ELb1ELb0ELc84ELc85EKPKdKPdEviT_T0_PT6_S5_lS8_S5_lS6_PT7_S5_li
                                        ; -- End function
	.set _ZL41rocblas_syrkx_herkx_small_restrict_kernelIidLi16ELb1ELb0ELc84ELc85EKPKdKPdEviT_T0_PT6_S5_lS8_S5_lS6_PT7_S5_li.num_vgpr, 20
	.set _ZL41rocblas_syrkx_herkx_small_restrict_kernelIidLi16ELb1ELb0ELc84ELc85EKPKdKPdEviT_T0_PT6_S5_lS8_S5_lS6_PT7_S5_li.num_agpr, 0
	.set _ZL41rocblas_syrkx_herkx_small_restrict_kernelIidLi16ELb1ELb0ELc84ELc85EKPKdKPdEviT_T0_PT6_S5_lS8_S5_lS6_PT7_S5_li.numbered_sgpr, 16
	.set _ZL41rocblas_syrkx_herkx_small_restrict_kernelIidLi16ELb1ELb0ELc84ELc85EKPKdKPdEviT_T0_PT6_S5_lS8_S5_lS6_PT7_S5_li.num_named_barrier, 0
	.set _ZL41rocblas_syrkx_herkx_small_restrict_kernelIidLi16ELb1ELb0ELc84ELc85EKPKdKPdEviT_T0_PT6_S5_lS8_S5_lS6_PT7_S5_li.private_seg_size, 0
	.set _ZL41rocblas_syrkx_herkx_small_restrict_kernelIidLi16ELb1ELb0ELc84ELc85EKPKdKPdEviT_T0_PT6_S5_lS8_S5_lS6_PT7_S5_li.uses_vcc, 1
	.set _ZL41rocblas_syrkx_herkx_small_restrict_kernelIidLi16ELb1ELb0ELc84ELc85EKPKdKPdEviT_T0_PT6_S5_lS8_S5_lS6_PT7_S5_li.uses_flat_scratch, 0
	.set _ZL41rocblas_syrkx_herkx_small_restrict_kernelIidLi16ELb1ELb0ELc84ELc85EKPKdKPdEviT_T0_PT6_S5_lS8_S5_lS6_PT7_S5_li.has_dyn_sized_stack, 0
	.set _ZL41rocblas_syrkx_herkx_small_restrict_kernelIidLi16ELb1ELb0ELc84ELc85EKPKdKPdEviT_T0_PT6_S5_lS8_S5_lS6_PT7_S5_li.has_recursion, 0
	.set _ZL41rocblas_syrkx_herkx_small_restrict_kernelIidLi16ELb1ELb0ELc84ELc85EKPKdKPdEviT_T0_PT6_S5_lS8_S5_lS6_PT7_S5_li.has_indirect_call, 0
	.section	.AMDGPU.csdata,"",@progbits
; Kernel info:
; codeLenInByte = 748
; TotalNumSgprs: 20
; NumVgprs: 20
; ScratchSize: 0
; MemoryBound: 0
; FloatMode: 240
; IeeeMode: 1
; LDSByteSize: 4096 bytes/workgroup (compile time only)
; SGPRBlocks: 2
; VGPRBlocks: 4
; NumSGPRsForWavesPerEU: 20
; NumVGPRsForWavesPerEU: 20
; Occupancy: 10
; WaveLimiterHint : 1
; COMPUTE_PGM_RSRC2:SCRATCH_EN: 0
; COMPUTE_PGM_RSRC2:USER_SGPR: 6
; COMPUTE_PGM_RSRC2:TRAP_HANDLER: 0
; COMPUTE_PGM_RSRC2:TGID_X_EN: 1
; COMPUTE_PGM_RSRC2:TGID_Y_EN: 1
; COMPUTE_PGM_RSRC2:TGID_Z_EN: 1
; COMPUTE_PGM_RSRC2:TIDIG_COMP_CNT: 1
	.section	.text._ZL41rocblas_syrkx_herkx_small_restrict_kernelIidLi16ELb1ELb0ELc67ELc85EKPKdKPdEviT_T0_PT6_S5_lS8_S5_lS6_PT7_S5_li,"axG",@progbits,_ZL41rocblas_syrkx_herkx_small_restrict_kernelIidLi16ELb1ELb0ELc67ELc85EKPKdKPdEviT_T0_PT6_S5_lS8_S5_lS6_PT7_S5_li,comdat
	.globl	_ZL41rocblas_syrkx_herkx_small_restrict_kernelIidLi16ELb1ELb0ELc67ELc85EKPKdKPdEviT_T0_PT6_S5_lS8_S5_lS6_PT7_S5_li ; -- Begin function _ZL41rocblas_syrkx_herkx_small_restrict_kernelIidLi16ELb1ELb0ELc67ELc85EKPKdKPdEviT_T0_PT6_S5_lS8_S5_lS6_PT7_S5_li
	.p2align	8
	.type	_ZL41rocblas_syrkx_herkx_small_restrict_kernelIidLi16ELb1ELb0ELc67ELc85EKPKdKPdEviT_T0_PT6_S5_lS8_S5_lS6_PT7_S5_li,@function
_ZL41rocblas_syrkx_herkx_small_restrict_kernelIidLi16ELb1ELb0ELc67ELc85EKPKdKPdEviT_T0_PT6_S5_lS8_S5_lS6_PT7_S5_li: ; @_ZL41rocblas_syrkx_herkx_small_restrict_kernelIidLi16ELb1ELb0ELc67ELc85EKPKdKPdEviT_T0_PT6_S5_lS8_S5_lS6_PT7_S5_li
; %bb.0:
	s_load_dwordx2 s[2:3], s[4:5], 0x48
	s_load_dword s10, s[4:5], 0x4
	s_load_dwordx4 s[12:15], s[4:5], 0x8
	s_mov_b32 s9, 0
	s_lshl_b64 s[0:1], s[8:9], 3
	s_waitcnt lgkmcnt(0)
	s_add_u32 s2, s2, s0
	s_addc_u32 s3, s3, s1
	s_load_dwordx2 s[2:3], s[2:3], 0x0
	v_lshl_add_u32 v2, s6, 4, v0
	s_cmp_lt_i32 s10, 1
	v_lshl_add_u32 v7, s7, 4, v1
	s_cbranch_scc1 .LBB581_6
; %bb.1:
	s_load_dwordx2 s[6:7], s[4:5], 0x28
	s_load_dword s8, s[4:5], 0x18
	s_load_dword s11, s[4:5], 0x30
	v_lshlrev_b32_e32 v5, 7, v1
	v_lshlrev_b32_e32 v8, 3, v0
	s_waitcnt lgkmcnt(0)
	s_add_u32 s6, s6, s0
	s_addc_u32 s7, s7, s1
	s_add_u32 s0, s14, s0
	s_addc_u32 s1, s15, s1
	v_mad_i64_i32 v[3:4], s[14:15], s11, v7, 0
	s_load_dwordx2 s[6:7], s[6:7], 0x0
	v_add_u32_e32 v9, v8, v5
	v_add_u32_e32 v10, 0x800, v5
	v_lshlrev_b64 v[3:4], 3, v[3:4]
	v_mad_i64_i32 v[5:6], s[14:15], s8, v2, 0
	v_add_co_u32_e32 v0, vcc, v3, v8
	s_load_dwordx2 s[0:1], s[0:1], 0x0
	v_addc_co_u32_e32 v4, vcc, 0, v4, vcc
	s_waitcnt lgkmcnt(0)
	v_mov_b32_e32 v12, s7
	v_add_co_u32_e32 v3, vcc, s6, v0
	v_lshlrev_b64 v[5:6], 3, v[5:6]
	v_addc_co_u32_e32 v4, vcc, v12, v4, vcc
	v_lshlrev_b32_e32 v0, 3, v1
	v_add_co_u32_e32 v0, vcc, v5, v0
	v_addc_co_u32_e32 v1, vcc, 0, v6, vcc
	v_mov_b32_e32 v12, s1
	v_mov_b32_e32 v5, 0
	v_add_co_u32_e32 v0, vcc, s0, v0
	v_add_u32_e32 v11, v10, v8
	v_mov_b32_e32 v6, 0
	v_addc_co_u32_e32 v1, vcc, v12, v1, vcc
.LBB581_2:                              ; =>This Inner Loop Header: Depth=1
	flat_load_dwordx2 v[12:13], v[0:1]
	s_add_i32 s9, s9, 16
	s_cmp_lt_i32 s9, s10
	s_waitcnt vmcnt(0) lgkmcnt(0)
	ds_write_b64 v9, v[12:13]
	flat_load_dwordx2 v[12:13], v[3:4]
	v_add_co_u32_e32 v3, vcc, 0x80, v3
	s_mov_b64 s[0:1], vcc
	v_add_co_u32_e32 v0, vcc, 0x80, v0
	v_addc_co_u32_e64 v4, s[0:1], 0, v4, s[0:1]
	v_addc_co_u32_e32 v1, vcc, 0, v1, vcc
	s_waitcnt vmcnt(0) lgkmcnt(0)
	ds_write_b64 v11, v[12:13]
	s_waitcnt lgkmcnt(0)
	s_barrier
	ds_read2_b64 v[12:15], v8 offset1:16
	ds_read_b128 v[16:19], v10
	s_waitcnt lgkmcnt(0)
	v_fma_f64 v[5:6], v[12:13], v[16:17], v[5:6]
	v_fma_f64 v[5:6], v[14:15], v[18:19], v[5:6]
	ds_read_b128 v[12:15], v10 offset:16
	ds_read2_b64 v[16:19], v8 offset0:32 offset1:48
	s_waitcnt lgkmcnt(0)
	v_fma_f64 v[5:6], v[16:17], v[12:13], v[5:6]
	v_fma_f64 v[5:6], v[18:19], v[14:15], v[5:6]
	ds_read2_b64 v[12:15], v8 offset0:64 offset1:80
	ds_read_b128 v[16:19], v10 offset:32
	s_waitcnt lgkmcnt(0)
	v_fma_f64 v[5:6], v[12:13], v[16:17], v[5:6]
	v_fma_f64 v[5:6], v[14:15], v[18:19], v[5:6]
	ds_read_b128 v[12:15], v10 offset:48
	ds_read2_b64 v[16:19], v8 offset0:96 offset1:112
	s_waitcnt lgkmcnt(0)
	v_fma_f64 v[5:6], v[16:17], v[12:13], v[5:6]
	v_fma_f64 v[5:6], v[18:19], v[14:15], v[5:6]
	ds_read2_b64 v[12:15], v8 offset0:128 offset1:144
	ds_read_b128 v[16:19], v10 offset:64
	;; [unrolled: 10-line block ×3, first 2 shown]
	s_waitcnt lgkmcnt(0)
	v_fma_f64 v[5:6], v[12:13], v[16:17], v[5:6]
	v_fma_f64 v[5:6], v[14:15], v[18:19], v[5:6]
	ds_read_b128 v[12:15], v10 offset:112
	ds_read2_b64 v[16:19], v8 offset0:224 offset1:240
	s_waitcnt lgkmcnt(0)
	s_barrier
	v_fma_f64 v[5:6], v[16:17], v[12:13], v[5:6]
	v_fma_f64 v[5:6], v[18:19], v[14:15], v[5:6]
	s_cbranch_scc1 .LBB581_2
; %bb.3:
	v_cmp_le_i32_e32 vcc, v2, v7
	s_and_saveexec_b64 s[0:1], vcc
	s_cbranch_execz .LBB581_5
.LBB581_4:
	s_load_dword s0, s[4:5], 0x50
	v_mul_f64 v[0:1], s[12:13], v[5:6]
	v_ashrrev_i32_e32 v3, 31, v2
	s_waitcnt lgkmcnt(0)
	v_mov_b32_e32 v6, s3
	v_lshlrev_b64 v[2:3], 3, v[2:3]
	v_mad_i64_i32 v[4:5], s[0:1], s0, v7, 0
	v_lshlrev_b64 v[4:5], 3, v[4:5]
	v_add_co_u32_e32 v4, vcc, s2, v4
	v_addc_co_u32_e32 v5, vcc, v6, v5, vcc
	v_add_co_u32_e32 v2, vcc, v4, v2
	v_addc_co_u32_e32 v3, vcc, v5, v3, vcc
	flat_store_dwordx2 v[2:3], v[0:1]
.LBB581_5:
	s_endpgm
.LBB581_6:
	v_mov_b32_e32 v5, 0
	v_mov_b32_e32 v6, 0
	v_cmp_le_i32_e32 vcc, v2, v7
	s_and_saveexec_b64 s[0:1], vcc
	s_cbranch_execnz .LBB581_4
	s_branch .LBB581_5
	.section	.rodata,"a",@progbits
	.p2align	6, 0x0
	.amdhsa_kernel _ZL41rocblas_syrkx_herkx_small_restrict_kernelIidLi16ELb1ELb0ELc67ELc85EKPKdKPdEviT_T0_PT6_S5_lS8_S5_lS6_PT7_S5_li
		.amdhsa_group_segment_fixed_size 4096
		.amdhsa_private_segment_fixed_size 0
		.amdhsa_kernarg_size 100
		.amdhsa_user_sgpr_count 6
		.amdhsa_user_sgpr_private_segment_buffer 1
		.amdhsa_user_sgpr_dispatch_ptr 0
		.amdhsa_user_sgpr_queue_ptr 0
		.amdhsa_user_sgpr_kernarg_segment_ptr 1
		.amdhsa_user_sgpr_dispatch_id 0
		.amdhsa_user_sgpr_flat_scratch_init 0
		.amdhsa_user_sgpr_private_segment_size 0
		.amdhsa_uses_dynamic_stack 0
		.amdhsa_system_sgpr_private_segment_wavefront_offset 0
		.amdhsa_system_sgpr_workgroup_id_x 1
		.amdhsa_system_sgpr_workgroup_id_y 1
		.amdhsa_system_sgpr_workgroup_id_z 1
		.amdhsa_system_sgpr_workgroup_info 0
		.amdhsa_system_vgpr_workitem_id 1
		.amdhsa_next_free_vgpr 20
		.amdhsa_next_free_sgpr 16
		.amdhsa_reserve_vcc 1
		.amdhsa_reserve_flat_scratch 0
		.amdhsa_float_round_mode_32 0
		.amdhsa_float_round_mode_16_64 0
		.amdhsa_float_denorm_mode_32 3
		.amdhsa_float_denorm_mode_16_64 3
		.amdhsa_dx10_clamp 1
		.amdhsa_ieee_mode 1
		.amdhsa_fp16_overflow 0
		.amdhsa_exception_fp_ieee_invalid_op 0
		.amdhsa_exception_fp_denorm_src 0
		.amdhsa_exception_fp_ieee_div_zero 0
		.amdhsa_exception_fp_ieee_overflow 0
		.amdhsa_exception_fp_ieee_underflow 0
		.amdhsa_exception_fp_ieee_inexact 0
		.amdhsa_exception_int_div_zero 0
	.end_amdhsa_kernel
	.section	.text._ZL41rocblas_syrkx_herkx_small_restrict_kernelIidLi16ELb1ELb0ELc67ELc85EKPKdKPdEviT_T0_PT6_S5_lS8_S5_lS6_PT7_S5_li,"axG",@progbits,_ZL41rocblas_syrkx_herkx_small_restrict_kernelIidLi16ELb1ELb0ELc67ELc85EKPKdKPdEviT_T0_PT6_S5_lS8_S5_lS6_PT7_S5_li,comdat
.Lfunc_end581:
	.size	_ZL41rocblas_syrkx_herkx_small_restrict_kernelIidLi16ELb1ELb0ELc67ELc85EKPKdKPdEviT_T0_PT6_S5_lS8_S5_lS6_PT7_S5_li, .Lfunc_end581-_ZL41rocblas_syrkx_herkx_small_restrict_kernelIidLi16ELb1ELb0ELc67ELc85EKPKdKPdEviT_T0_PT6_S5_lS8_S5_lS6_PT7_S5_li
                                        ; -- End function
	.set _ZL41rocblas_syrkx_herkx_small_restrict_kernelIidLi16ELb1ELb0ELc67ELc85EKPKdKPdEviT_T0_PT6_S5_lS8_S5_lS6_PT7_S5_li.num_vgpr, 20
	.set _ZL41rocblas_syrkx_herkx_small_restrict_kernelIidLi16ELb1ELb0ELc67ELc85EKPKdKPdEviT_T0_PT6_S5_lS8_S5_lS6_PT7_S5_li.num_agpr, 0
	.set _ZL41rocblas_syrkx_herkx_small_restrict_kernelIidLi16ELb1ELb0ELc67ELc85EKPKdKPdEviT_T0_PT6_S5_lS8_S5_lS6_PT7_S5_li.numbered_sgpr, 16
	.set _ZL41rocblas_syrkx_herkx_small_restrict_kernelIidLi16ELb1ELb0ELc67ELc85EKPKdKPdEviT_T0_PT6_S5_lS8_S5_lS6_PT7_S5_li.num_named_barrier, 0
	.set _ZL41rocblas_syrkx_herkx_small_restrict_kernelIidLi16ELb1ELb0ELc67ELc85EKPKdKPdEviT_T0_PT6_S5_lS8_S5_lS6_PT7_S5_li.private_seg_size, 0
	.set _ZL41rocblas_syrkx_herkx_small_restrict_kernelIidLi16ELb1ELb0ELc67ELc85EKPKdKPdEviT_T0_PT6_S5_lS8_S5_lS6_PT7_S5_li.uses_vcc, 1
	.set _ZL41rocblas_syrkx_herkx_small_restrict_kernelIidLi16ELb1ELb0ELc67ELc85EKPKdKPdEviT_T0_PT6_S5_lS8_S5_lS6_PT7_S5_li.uses_flat_scratch, 0
	.set _ZL41rocblas_syrkx_herkx_small_restrict_kernelIidLi16ELb1ELb0ELc67ELc85EKPKdKPdEviT_T0_PT6_S5_lS8_S5_lS6_PT7_S5_li.has_dyn_sized_stack, 0
	.set _ZL41rocblas_syrkx_herkx_small_restrict_kernelIidLi16ELb1ELb0ELc67ELc85EKPKdKPdEviT_T0_PT6_S5_lS8_S5_lS6_PT7_S5_li.has_recursion, 0
	.set _ZL41rocblas_syrkx_herkx_small_restrict_kernelIidLi16ELb1ELb0ELc67ELc85EKPKdKPdEviT_T0_PT6_S5_lS8_S5_lS6_PT7_S5_li.has_indirect_call, 0
	.section	.AMDGPU.csdata,"",@progbits
; Kernel info:
; codeLenInByte = 748
; TotalNumSgprs: 20
; NumVgprs: 20
; ScratchSize: 0
; MemoryBound: 0
; FloatMode: 240
; IeeeMode: 1
; LDSByteSize: 4096 bytes/workgroup (compile time only)
; SGPRBlocks: 2
; VGPRBlocks: 4
; NumSGPRsForWavesPerEU: 20
; NumVGPRsForWavesPerEU: 20
; Occupancy: 10
; WaveLimiterHint : 1
; COMPUTE_PGM_RSRC2:SCRATCH_EN: 0
; COMPUTE_PGM_RSRC2:USER_SGPR: 6
; COMPUTE_PGM_RSRC2:TRAP_HANDLER: 0
; COMPUTE_PGM_RSRC2:TGID_X_EN: 1
; COMPUTE_PGM_RSRC2:TGID_Y_EN: 1
; COMPUTE_PGM_RSRC2:TGID_Z_EN: 1
; COMPUTE_PGM_RSRC2:TIDIG_COMP_CNT: 1
	.section	.text._ZL41rocblas_syrkx_herkx_small_restrict_kernelIidLi16ELb1ELb0ELc78ELc85EKPKdKPdEviT_T0_PT6_S5_lS8_S5_lS6_PT7_S5_li,"axG",@progbits,_ZL41rocblas_syrkx_herkx_small_restrict_kernelIidLi16ELb1ELb0ELc78ELc85EKPKdKPdEviT_T0_PT6_S5_lS8_S5_lS6_PT7_S5_li,comdat
	.globl	_ZL41rocblas_syrkx_herkx_small_restrict_kernelIidLi16ELb1ELb0ELc78ELc85EKPKdKPdEviT_T0_PT6_S5_lS8_S5_lS6_PT7_S5_li ; -- Begin function _ZL41rocblas_syrkx_herkx_small_restrict_kernelIidLi16ELb1ELb0ELc78ELc85EKPKdKPdEviT_T0_PT6_S5_lS8_S5_lS6_PT7_S5_li
	.p2align	8
	.type	_ZL41rocblas_syrkx_herkx_small_restrict_kernelIidLi16ELb1ELb0ELc78ELc85EKPKdKPdEviT_T0_PT6_S5_lS8_S5_lS6_PT7_S5_li,@function
_ZL41rocblas_syrkx_herkx_small_restrict_kernelIidLi16ELb1ELb0ELc78ELc85EKPKdKPdEviT_T0_PT6_S5_lS8_S5_lS6_PT7_S5_li: ; @_ZL41rocblas_syrkx_herkx_small_restrict_kernelIidLi16ELb1ELb0ELc78ELc85EKPKdKPdEviT_T0_PT6_S5_lS8_S5_lS6_PT7_S5_li
; %bb.0:
	s_load_dwordx2 s[10:11], s[4:5], 0x48
	s_load_dword s14, s[4:5], 0x4
	s_load_dwordx4 s[0:3], s[4:5], 0x8
	s_mov_b32 s9, 0
	s_lshl_b64 s[12:13], s[8:9], 3
	s_waitcnt lgkmcnt(0)
	s_add_u32 s10, s10, s12
	s_addc_u32 s11, s11, s13
	s_load_dwordx2 s[10:11], s[10:11], 0x0
	v_lshl_add_u32 v2, s6, 4, v0
	v_lshl_add_u32 v4, s7, 4, v1
	s_cmp_lt_i32 s14, 1
	v_ashrrev_i32_e32 v3, 31, v2
	s_cbranch_scc1 .LBB582_6
; %bb.1:
	s_load_dword s6, s[4:5], 0x18
	s_load_dword s16, s[4:5], 0x30
	s_load_dwordx2 s[18:19], s[4:5], 0x28
	v_ashrrev_i32_e32 v5, 31, v4
	v_lshlrev_b64 v[12:13], 3, v[4:5]
	s_waitcnt lgkmcnt(0)
	s_ashr_i32 s7, s6, 31
	s_ashr_i32 s17, s16, 31
	s_add_u32 s18, s18, s12
	s_addc_u32 s19, s19, s13
	s_add_u32 s2, s2, s12
	s_addc_u32 s3, s3, s13
	s_load_dwordx2 s[12:13], s[2:3], 0x0
	v_mad_i64_i32 v[6:7], s[2:3], s16, v0, 0
	s_load_dwordx2 s[18:19], s[18:19], 0x0
	v_lshlrev_b32_e32 v9, 3, v0
	v_lshlrev_b64 v[6:7], 3, v[6:7]
	v_lshlrev_b32_e32 v8, 7, v1
	v_add_co_u32_e32 v0, vcc, v6, v12
	v_mad_i64_i32 v[5:6], s[2:3], s6, v1, 0
	v_addc_co_u32_e32 v7, vcc, v7, v13, vcc
	v_add_u32_e32 v10, v9, v8
	v_add_u32_e32 v11, 0x800, v8
	s_waitcnt lgkmcnt(0)
	v_mov_b32_e32 v8, s19
	v_add_co_u32_e32 v0, vcc, s18, v0
	v_addc_co_u32_e32 v1, vcc, v8, v7, vcc
	v_lshlrev_b64 v[5:6], 3, v[5:6]
	v_lshlrev_b64 v[7:8], 3, v[2:3]
	s_lshl_b64 s[2:3], s[16:17], 7
	v_add_co_u32_e32 v5, vcc, v5, v7
	v_addc_co_u32_e32 v6, vcc, v6, v8, vcc
	v_mov_b32_e32 v7, s13
	v_add_co_u32_e32 v5, vcc, s12, v5
	v_addc_co_u32_e32 v6, vcc, v7, v6, vcc
	s_lshl_b64 s[6:7], s[6:7], 7
	v_mov_b32_e32 v7, 0
	v_mov_b32_e32 v8, 0
	;; [unrolled: 1-line block ×4, first 2 shown]
.LBB582_2:                              ; =>This Inner Loop Header: Depth=1
	flat_load_dwordx2 v[14:15], v[5:6]
	v_add_u32_e32 v16, v11, v9
	v_add_co_u32_e32 v5, vcc, s6, v5
	v_addc_co_u32_e32 v6, vcc, v6, v13, vcc
	s_add_i32 s9, s9, 16
	s_cmp_lt_i32 s9, s14
	s_waitcnt vmcnt(0) lgkmcnt(0)
	ds_write_b64 v10, v[14:15]
	flat_load_dwordx2 v[14:15], v[0:1]
	v_add_co_u32_e32 v0, vcc, s2, v0
	v_addc_co_u32_e32 v1, vcc, v1, v12, vcc
	s_waitcnt vmcnt(0) lgkmcnt(0)
	ds_write_b64 v16, v[14:15]
	s_waitcnt lgkmcnt(0)
	s_barrier
	ds_read2_b64 v[14:17], v9 offset1:16
	ds_read_b128 v[18:21], v11
	ds_read_b128 v[22:25], v11 offset:16
	s_waitcnt lgkmcnt(1)
	v_fma_f64 v[7:8], v[14:15], v[18:19], v[7:8]
	v_fma_f64 v[7:8], v[16:17], v[20:21], v[7:8]
	ds_read2_b64 v[14:17], v9 offset0:32 offset1:48
	s_waitcnt lgkmcnt(0)
	v_fma_f64 v[7:8], v[14:15], v[22:23], v[7:8]
	v_fma_f64 v[7:8], v[16:17], v[24:25], v[7:8]
	ds_read2_b64 v[14:17], v9 offset0:64 offset1:80
	ds_read_b128 v[18:21], v11 offset:32
	ds_read_b128 v[22:25], v11 offset:48
	s_waitcnt lgkmcnt(1)
	v_fma_f64 v[7:8], v[14:15], v[18:19], v[7:8]
	v_fma_f64 v[7:8], v[16:17], v[20:21], v[7:8]
	ds_read2_b64 v[14:17], v9 offset0:96 offset1:112
	s_waitcnt lgkmcnt(0)
	v_fma_f64 v[7:8], v[14:15], v[22:23], v[7:8]
	v_fma_f64 v[7:8], v[16:17], v[24:25], v[7:8]
	ds_read2_b64 v[14:17], v9 offset0:128 offset1:144
	ds_read_b128 v[18:21], v11 offset:64
	;; [unrolled: 10-line block ×3, first 2 shown]
	ds_read_b128 v[22:25], v11 offset:112
	s_waitcnt lgkmcnt(1)
	v_fma_f64 v[7:8], v[14:15], v[18:19], v[7:8]
	v_fma_f64 v[7:8], v[16:17], v[20:21], v[7:8]
	ds_read2_b64 v[14:17], v9 offset0:224 offset1:240
	s_waitcnt lgkmcnt(0)
	s_barrier
	v_fma_f64 v[7:8], v[14:15], v[22:23], v[7:8]
	v_fma_f64 v[7:8], v[16:17], v[24:25], v[7:8]
	s_cbranch_scc1 .LBB582_2
; %bb.3:
	v_cmp_le_i32_e32 vcc, v2, v4
	s_and_saveexec_b64 s[2:3], vcc
	s_cbranch_execz .LBB582_5
.LBB582_4:
	s_load_dword s2, s[4:5], 0x50
	s_waitcnt lgkmcnt(0)
	v_mov_b32_e32 v6, s11
	v_lshlrev_b64 v[2:3], 3, v[2:3]
	v_mad_i64_i32 v[0:1], s[2:3], s2, v4, 0
	v_mul_f64 v[4:5], s[0:1], v[7:8]
	v_lshlrev_b64 v[0:1], 3, v[0:1]
	v_add_co_u32_e32 v0, vcc, s10, v0
	v_addc_co_u32_e32 v1, vcc, v6, v1, vcc
	v_add_co_u32_e32 v0, vcc, v0, v2
	v_addc_co_u32_e32 v1, vcc, v1, v3, vcc
	flat_store_dwordx2 v[0:1], v[4:5]
.LBB582_5:
	s_endpgm
.LBB582_6:
	v_mov_b32_e32 v7, 0
	v_mov_b32_e32 v8, 0
	v_cmp_le_i32_e32 vcc, v2, v4
	s_and_saveexec_b64 s[2:3], vcc
	s_cbranch_execnz .LBB582_4
	s_branch .LBB582_5
	.section	.rodata,"a",@progbits
	.p2align	6, 0x0
	.amdhsa_kernel _ZL41rocblas_syrkx_herkx_small_restrict_kernelIidLi16ELb1ELb0ELc78ELc85EKPKdKPdEviT_T0_PT6_S5_lS8_S5_lS6_PT7_S5_li
		.amdhsa_group_segment_fixed_size 4096
		.amdhsa_private_segment_fixed_size 0
		.amdhsa_kernarg_size 100
		.amdhsa_user_sgpr_count 6
		.amdhsa_user_sgpr_private_segment_buffer 1
		.amdhsa_user_sgpr_dispatch_ptr 0
		.amdhsa_user_sgpr_queue_ptr 0
		.amdhsa_user_sgpr_kernarg_segment_ptr 1
		.amdhsa_user_sgpr_dispatch_id 0
		.amdhsa_user_sgpr_flat_scratch_init 0
		.amdhsa_user_sgpr_private_segment_size 0
		.amdhsa_uses_dynamic_stack 0
		.amdhsa_system_sgpr_private_segment_wavefront_offset 0
		.amdhsa_system_sgpr_workgroup_id_x 1
		.amdhsa_system_sgpr_workgroup_id_y 1
		.amdhsa_system_sgpr_workgroup_id_z 1
		.amdhsa_system_sgpr_workgroup_info 0
		.amdhsa_system_vgpr_workitem_id 1
		.amdhsa_next_free_vgpr 26
		.amdhsa_next_free_sgpr 20
		.amdhsa_reserve_vcc 1
		.amdhsa_reserve_flat_scratch 0
		.amdhsa_float_round_mode_32 0
		.amdhsa_float_round_mode_16_64 0
		.amdhsa_float_denorm_mode_32 3
		.amdhsa_float_denorm_mode_16_64 3
		.amdhsa_dx10_clamp 1
		.amdhsa_ieee_mode 1
		.amdhsa_fp16_overflow 0
		.amdhsa_exception_fp_ieee_invalid_op 0
		.amdhsa_exception_fp_denorm_src 0
		.amdhsa_exception_fp_ieee_div_zero 0
		.amdhsa_exception_fp_ieee_overflow 0
		.amdhsa_exception_fp_ieee_underflow 0
		.amdhsa_exception_fp_ieee_inexact 0
		.amdhsa_exception_int_div_zero 0
	.end_amdhsa_kernel
	.section	.text._ZL41rocblas_syrkx_herkx_small_restrict_kernelIidLi16ELb1ELb0ELc78ELc85EKPKdKPdEviT_T0_PT6_S5_lS8_S5_lS6_PT7_S5_li,"axG",@progbits,_ZL41rocblas_syrkx_herkx_small_restrict_kernelIidLi16ELb1ELb0ELc78ELc85EKPKdKPdEviT_T0_PT6_S5_lS8_S5_lS6_PT7_S5_li,comdat
.Lfunc_end582:
	.size	_ZL41rocblas_syrkx_herkx_small_restrict_kernelIidLi16ELb1ELb0ELc78ELc85EKPKdKPdEviT_T0_PT6_S5_lS8_S5_lS6_PT7_S5_li, .Lfunc_end582-_ZL41rocblas_syrkx_herkx_small_restrict_kernelIidLi16ELb1ELb0ELc78ELc85EKPKdKPdEviT_T0_PT6_S5_lS8_S5_lS6_PT7_S5_li
                                        ; -- End function
	.set _ZL41rocblas_syrkx_herkx_small_restrict_kernelIidLi16ELb1ELb0ELc78ELc85EKPKdKPdEviT_T0_PT6_S5_lS8_S5_lS6_PT7_S5_li.num_vgpr, 26
	.set _ZL41rocblas_syrkx_herkx_small_restrict_kernelIidLi16ELb1ELb0ELc78ELc85EKPKdKPdEviT_T0_PT6_S5_lS8_S5_lS6_PT7_S5_li.num_agpr, 0
	.set _ZL41rocblas_syrkx_herkx_small_restrict_kernelIidLi16ELb1ELb0ELc78ELc85EKPKdKPdEviT_T0_PT6_S5_lS8_S5_lS6_PT7_S5_li.numbered_sgpr, 20
	.set _ZL41rocblas_syrkx_herkx_small_restrict_kernelIidLi16ELb1ELb0ELc78ELc85EKPKdKPdEviT_T0_PT6_S5_lS8_S5_lS6_PT7_S5_li.num_named_barrier, 0
	.set _ZL41rocblas_syrkx_herkx_small_restrict_kernelIidLi16ELb1ELb0ELc78ELc85EKPKdKPdEviT_T0_PT6_S5_lS8_S5_lS6_PT7_S5_li.private_seg_size, 0
	.set _ZL41rocblas_syrkx_herkx_small_restrict_kernelIidLi16ELb1ELb0ELc78ELc85EKPKdKPdEviT_T0_PT6_S5_lS8_S5_lS6_PT7_S5_li.uses_vcc, 1
	.set _ZL41rocblas_syrkx_herkx_small_restrict_kernelIidLi16ELb1ELb0ELc78ELc85EKPKdKPdEviT_T0_PT6_S5_lS8_S5_lS6_PT7_S5_li.uses_flat_scratch, 0
	.set _ZL41rocblas_syrkx_herkx_small_restrict_kernelIidLi16ELb1ELb0ELc78ELc85EKPKdKPdEviT_T0_PT6_S5_lS8_S5_lS6_PT7_S5_li.has_dyn_sized_stack, 0
	.set _ZL41rocblas_syrkx_herkx_small_restrict_kernelIidLi16ELb1ELb0ELc78ELc85EKPKdKPdEviT_T0_PT6_S5_lS8_S5_lS6_PT7_S5_li.has_recursion, 0
	.set _ZL41rocblas_syrkx_herkx_small_restrict_kernelIidLi16ELb1ELb0ELc78ELc85EKPKdKPdEviT_T0_PT6_S5_lS8_S5_lS6_PT7_S5_li.has_indirect_call, 0
	.section	.AMDGPU.csdata,"",@progbits
; Kernel info:
; codeLenInByte = 772
; TotalNumSgprs: 24
; NumVgprs: 26
; ScratchSize: 0
; MemoryBound: 0
; FloatMode: 240
; IeeeMode: 1
; LDSByteSize: 4096 bytes/workgroup (compile time only)
; SGPRBlocks: 2
; VGPRBlocks: 6
; NumSGPRsForWavesPerEU: 24
; NumVGPRsForWavesPerEU: 26
; Occupancy: 9
; WaveLimiterHint : 1
; COMPUTE_PGM_RSRC2:SCRATCH_EN: 0
; COMPUTE_PGM_RSRC2:USER_SGPR: 6
; COMPUTE_PGM_RSRC2:TRAP_HANDLER: 0
; COMPUTE_PGM_RSRC2:TGID_X_EN: 1
; COMPUTE_PGM_RSRC2:TGID_Y_EN: 1
; COMPUTE_PGM_RSRC2:TGID_Z_EN: 1
; COMPUTE_PGM_RSRC2:TIDIG_COMP_CNT: 1
	.section	.text._ZL41rocblas_syrkx_herkx_small_restrict_kernelIidLi16ELb0ELb0ELc84ELc76EKPKdKPdEviT_T0_PT6_S5_lS8_S5_lS6_PT7_S5_li,"axG",@progbits,_ZL41rocblas_syrkx_herkx_small_restrict_kernelIidLi16ELb0ELb0ELc84ELc76EKPKdKPdEviT_T0_PT6_S5_lS8_S5_lS6_PT7_S5_li,comdat
	.globl	_ZL41rocblas_syrkx_herkx_small_restrict_kernelIidLi16ELb0ELb0ELc84ELc76EKPKdKPdEviT_T0_PT6_S5_lS8_S5_lS6_PT7_S5_li ; -- Begin function _ZL41rocblas_syrkx_herkx_small_restrict_kernelIidLi16ELb0ELb0ELc84ELc76EKPKdKPdEviT_T0_PT6_S5_lS8_S5_lS6_PT7_S5_li
	.p2align	8
	.type	_ZL41rocblas_syrkx_herkx_small_restrict_kernelIidLi16ELb0ELb0ELc84ELc76EKPKdKPdEviT_T0_PT6_S5_lS8_S5_lS6_PT7_S5_li,@function
_ZL41rocblas_syrkx_herkx_small_restrict_kernelIidLi16ELb0ELb0ELc84ELc76EKPKdKPdEviT_T0_PT6_S5_lS8_S5_lS6_PT7_S5_li: ; @_ZL41rocblas_syrkx_herkx_small_restrict_kernelIidLi16ELb0ELb0ELc84ELc76EKPKdKPdEviT_T0_PT6_S5_lS8_S5_lS6_PT7_S5_li
; %bb.0:
	s_load_dwordx4 s[12:15], s[4:5], 0x40
	s_load_dword s10, s[4:5], 0x4
	s_load_dwordx4 s[16:19], s[4:5], 0x8
	s_mov_b32 s9, 0
	s_lshl_b64 s[0:1], s[8:9], 3
	s_waitcnt lgkmcnt(0)
	s_add_u32 s2, s14, s0
	s_addc_u32 s3, s15, s1
	s_load_dwordx2 s[2:3], s[2:3], 0x0
	v_lshl_add_u32 v2, s6, 4, v0
	s_cmp_lt_i32 s10, 1
	v_lshl_add_u32 v7, s7, 4, v1
	s_cbranch_scc1 .LBB583_6
; %bb.1:
	s_load_dwordx2 s[6:7], s[4:5], 0x28
	s_load_dword s8, s[4:5], 0x18
	s_load_dword s11, s[4:5], 0x30
	v_lshlrev_b32_e32 v5, 7, v1
	v_lshlrev_b32_e32 v8, 3, v0
	s_waitcnt lgkmcnt(0)
	s_add_u32 s6, s6, s0
	s_addc_u32 s7, s7, s1
	v_mad_i64_i32 v[3:4], s[14:15], s11, v7, 0
	s_load_dwordx2 s[6:7], s[6:7], 0x0
	v_add_u32_e32 v9, v8, v5
	v_add_u32_e32 v10, 0x800, v5
	v_lshlrev_b64 v[3:4], 3, v[3:4]
	v_mad_i64_i32 v[5:6], s[14:15], s8, v2, 0
	s_add_u32 s0, s18, s0
	s_addc_u32 s1, s19, s1
	v_add_co_u32_e32 v0, vcc, v3, v8
	s_load_dwordx2 s[0:1], s[0:1], 0x0
	v_addc_co_u32_e32 v4, vcc, 0, v4, vcc
	s_waitcnt lgkmcnt(0)
	v_mov_b32_e32 v12, s7
	v_add_co_u32_e32 v3, vcc, s6, v0
	v_lshlrev_b64 v[5:6], 3, v[5:6]
	v_addc_co_u32_e32 v4, vcc, v12, v4, vcc
	v_lshlrev_b32_e32 v0, 3, v1
	v_add_co_u32_e32 v0, vcc, v5, v0
	v_addc_co_u32_e32 v1, vcc, 0, v6, vcc
	v_mov_b32_e32 v12, s1
	v_mov_b32_e32 v5, 0
	v_add_co_u32_e32 v0, vcc, s0, v0
	v_add_u32_e32 v11, v10, v8
	v_mov_b32_e32 v6, 0
	v_addc_co_u32_e32 v1, vcc, v12, v1, vcc
.LBB583_2:                              ; =>This Inner Loop Header: Depth=1
	flat_load_dwordx2 v[12:13], v[0:1]
	s_add_i32 s9, s9, 16
	s_cmp_lt_i32 s9, s10
	s_waitcnt vmcnt(0) lgkmcnt(0)
	ds_write_b64 v9, v[12:13]
	flat_load_dwordx2 v[12:13], v[3:4]
	v_add_co_u32_e32 v3, vcc, 0x80, v3
	s_mov_b64 s[0:1], vcc
	v_add_co_u32_e32 v0, vcc, 0x80, v0
	v_addc_co_u32_e64 v4, s[0:1], 0, v4, s[0:1]
	v_addc_co_u32_e32 v1, vcc, 0, v1, vcc
	s_waitcnt vmcnt(0) lgkmcnt(0)
	ds_write_b64 v11, v[12:13]
	s_waitcnt lgkmcnt(0)
	s_barrier
	ds_read2_b64 v[12:15], v8 offset1:16
	ds_read_b128 v[16:19], v10
	s_waitcnt lgkmcnt(0)
	v_fma_f64 v[5:6], v[12:13], v[16:17], v[5:6]
	v_fma_f64 v[5:6], v[14:15], v[18:19], v[5:6]
	ds_read_b128 v[12:15], v10 offset:16
	ds_read2_b64 v[16:19], v8 offset0:32 offset1:48
	s_waitcnt lgkmcnt(0)
	v_fma_f64 v[5:6], v[16:17], v[12:13], v[5:6]
	v_fma_f64 v[5:6], v[18:19], v[14:15], v[5:6]
	ds_read2_b64 v[12:15], v8 offset0:64 offset1:80
	ds_read_b128 v[16:19], v10 offset:32
	s_waitcnt lgkmcnt(0)
	v_fma_f64 v[5:6], v[12:13], v[16:17], v[5:6]
	v_fma_f64 v[5:6], v[14:15], v[18:19], v[5:6]
	ds_read_b128 v[12:15], v10 offset:48
	ds_read2_b64 v[16:19], v8 offset0:96 offset1:112
	s_waitcnt lgkmcnt(0)
	v_fma_f64 v[5:6], v[16:17], v[12:13], v[5:6]
	v_fma_f64 v[5:6], v[18:19], v[14:15], v[5:6]
	ds_read2_b64 v[12:15], v8 offset0:128 offset1:144
	ds_read_b128 v[16:19], v10 offset:64
	;; [unrolled: 10-line block ×3, first 2 shown]
	s_waitcnt lgkmcnt(0)
	v_fma_f64 v[5:6], v[12:13], v[16:17], v[5:6]
	v_fma_f64 v[5:6], v[14:15], v[18:19], v[5:6]
	ds_read_b128 v[12:15], v10 offset:112
	ds_read2_b64 v[16:19], v8 offset0:224 offset1:240
	s_waitcnt lgkmcnt(0)
	s_barrier
	v_fma_f64 v[5:6], v[16:17], v[12:13], v[5:6]
	v_fma_f64 v[5:6], v[18:19], v[14:15], v[5:6]
	s_cbranch_scc1 .LBB583_2
; %bb.3:
	v_cmp_le_i32_e32 vcc, v7, v2
	s_and_saveexec_b64 s[0:1], vcc
	s_cbranch_execz .LBB583_5
.LBB583_4:
	s_load_dword s0, s[4:5], 0x50
	v_ashrrev_i32_e32 v3, 31, v2
	s_waitcnt lgkmcnt(0)
	v_mov_b32_e32 v4, s3
	v_lshlrev_b64 v[2:3], 3, v[2:3]
	v_mad_i64_i32 v[0:1], s[0:1], s0, v7, 0
	v_lshlrev_b64 v[0:1], 3, v[0:1]
	v_add_co_u32_e32 v0, vcc, s2, v0
	v_addc_co_u32_e32 v1, vcc, v4, v1, vcc
	v_add_co_u32_e32 v0, vcc, v0, v2
	v_addc_co_u32_e32 v1, vcc, v1, v3, vcc
	flat_load_dwordx2 v[2:3], v[0:1]
	s_waitcnt vmcnt(0) lgkmcnt(0)
	v_mul_f64 v[2:3], s[12:13], v[2:3]
	v_fma_f64 v[2:3], s[16:17], v[5:6], v[2:3]
	flat_store_dwordx2 v[0:1], v[2:3]
.LBB583_5:
	s_endpgm
.LBB583_6:
	v_mov_b32_e32 v5, 0
	v_mov_b32_e32 v6, 0
	v_cmp_le_i32_e32 vcc, v7, v2
	s_and_saveexec_b64 s[0:1], vcc
	s_cbranch_execnz .LBB583_4
	s_branch .LBB583_5
	.section	.rodata,"a",@progbits
	.p2align	6, 0x0
	.amdhsa_kernel _ZL41rocblas_syrkx_herkx_small_restrict_kernelIidLi16ELb0ELb0ELc84ELc76EKPKdKPdEviT_T0_PT6_S5_lS8_S5_lS6_PT7_S5_li
		.amdhsa_group_segment_fixed_size 4096
		.amdhsa_private_segment_fixed_size 0
		.amdhsa_kernarg_size 100
		.amdhsa_user_sgpr_count 6
		.amdhsa_user_sgpr_private_segment_buffer 1
		.amdhsa_user_sgpr_dispatch_ptr 0
		.amdhsa_user_sgpr_queue_ptr 0
		.amdhsa_user_sgpr_kernarg_segment_ptr 1
		.amdhsa_user_sgpr_dispatch_id 0
		.amdhsa_user_sgpr_flat_scratch_init 0
		.amdhsa_user_sgpr_private_segment_size 0
		.amdhsa_uses_dynamic_stack 0
		.amdhsa_system_sgpr_private_segment_wavefront_offset 0
		.amdhsa_system_sgpr_workgroup_id_x 1
		.amdhsa_system_sgpr_workgroup_id_y 1
		.amdhsa_system_sgpr_workgroup_id_z 1
		.amdhsa_system_sgpr_workgroup_info 0
		.amdhsa_system_vgpr_workitem_id 1
		.amdhsa_next_free_vgpr 20
		.amdhsa_next_free_sgpr 20
		.amdhsa_reserve_vcc 1
		.amdhsa_reserve_flat_scratch 0
		.amdhsa_float_round_mode_32 0
		.amdhsa_float_round_mode_16_64 0
		.amdhsa_float_denorm_mode_32 3
		.amdhsa_float_denorm_mode_16_64 3
		.amdhsa_dx10_clamp 1
		.amdhsa_ieee_mode 1
		.amdhsa_fp16_overflow 0
		.amdhsa_exception_fp_ieee_invalid_op 0
		.amdhsa_exception_fp_denorm_src 0
		.amdhsa_exception_fp_ieee_div_zero 0
		.amdhsa_exception_fp_ieee_overflow 0
		.amdhsa_exception_fp_ieee_underflow 0
		.amdhsa_exception_fp_ieee_inexact 0
		.amdhsa_exception_int_div_zero 0
	.end_amdhsa_kernel
	.section	.text._ZL41rocblas_syrkx_herkx_small_restrict_kernelIidLi16ELb0ELb0ELc84ELc76EKPKdKPdEviT_T0_PT6_S5_lS8_S5_lS6_PT7_S5_li,"axG",@progbits,_ZL41rocblas_syrkx_herkx_small_restrict_kernelIidLi16ELb0ELb0ELc84ELc76EKPKdKPdEviT_T0_PT6_S5_lS8_S5_lS6_PT7_S5_li,comdat
.Lfunc_end583:
	.size	_ZL41rocblas_syrkx_herkx_small_restrict_kernelIidLi16ELb0ELb0ELc84ELc76EKPKdKPdEviT_T0_PT6_S5_lS8_S5_lS6_PT7_S5_li, .Lfunc_end583-_ZL41rocblas_syrkx_herkx_small_restrict_kernelIidLi16ELb0ELb0ELc84ELc76EKPKdKPdEviT_T0_PT6_S5_lS8_S5_lS6_PT7_S5_li
                                        ; -- End function
	.set _ZL41rocblas_syrkx_herkx_small_restrict_kernelIidLi16ELb0ELb0ELc84ELc76EKPKdKPdEviT_T0_PT6_S5_lS8_S5_lS6_PT7_S5_li.num_vgpr, 20
	.set _ZL41rocblas_syrkx_herkx_small_restrict_kernelIidLi16ELb0ELb0ELc84ELc76EKPKdKPdEviT_T0_PT6_S5_lS8_S5_lS6_PT7_S5_li.num_agpr, 0
	.set _ZL41rocblas_syrkx_herkx_small_restrict_kernelIidLi16ELb0ELb0ELc84ELc76EKPKdKPdEviT_T0_PT6_S5_lS8_S5_lS6_PT7_S5_li.numbered_sgpr, 20
	.set _ZL41rocblas_syrkx_herkx_small_restrict_kernelIidLi16ELb0ELb0ELc84ELc76EKPKdKPdEviT_T0_PT6_S5_lS8_S5_lS6_PT7_S5_li.num_named_barrier, 0
	.set _ZL41rocblas_syrkx_herkx_small_restrict_kernelIidLi16ELb0ELb0ELc84ELc76EKPKdKPdEviT_T0_PT6_S5_lS8_S5_lS6_PT7_S5_li.private_seg_size, 0
	.set _ZL41rocblas_syrkx_herkx_small_restrict_kernelIidLi16ELb0ELb0ELc84ELc76EKPKdKPdEviT_T0_PT6_S5_lS8_S5_lS6_PT7_S5_li.uses_vcc, 1
	.set _ZL41rocblas_syrkx_herkx_small_restrict_kernelIidLi16ELb0ELb0ELc84ELc76EKPKdKPdEviT_T0_PT6_S5_lS8_S5_lS6_PT7_S5_li.uses_flat_scratch, 0
	.set _ZL41rocblas_syrkx_herkx_small_restrict_kernelIidLi16ELb0ELb0ELc84ELc76EKPKdKPdEviT_T0_PT6_S5_lS8_S5_lS6_PT7_S5_li.has_dyn_sized_stack, 0
	.set _ZL41rocblas_syrkx_herkx_small_restrict_kernelIidLi16ELb0ELb0ELc84ELc76EKPKdKPdEviT_T0_PT6_S5_lS8_S5_lS6_PT7_S5_li.has_recursion, 0
	.set _ZL41rocblas_syrkx_herkx_small_restrict_kernelIidLi16ELb0ELb0ELc84ELc76EKPKdKPdEviT_T0_PT6_S5_lS8_S5_lS6_PT7_S5_li.has_indirect_call, 0
	.section	.AMDGPU.csdata,"",@progbits
; Kernel info:
; codeLenInByte = 768
; TotalNumSgprs: 24
; NumVgprs: 20
; ScratchSize: 0
; MemoryBound: 0
; FloatMode: 240
; IeeeMode: 1
; LDSByteSize: 4096 bytes/workgroup (compile time only)
; SGPRBlocks: 2
; VGPRBlocks: 4
; NumSGPRsForWavesPerEU: 24
; NumVGPRsForWavesPerEU: 20
; Occupancy: 10
; WaveLimiterHint : 1
; COMPUTE_PGM_RSRC2:SCRATCH_EN: 0
; COMPUTE_PGM_RSRC2:USER_SGPR: 6
; COMPUTE_PGM_RSRC2:TRAP_HANDLER: 0
; COMPUTE_PGM_RSRC2:TGID_X_EN: 1
; COMPUTE_PGM_RSRC2:TGID_Y_EN: 1
; COMPUTE_PGM_RSRC2:TGID_Z_EN: 1
; COMPUTE_PGM_RSRC2:TIDIG_COMP_CNT: 1
	.section	.text._ZL41rocblas_syrkx_herkx_small_restrict_kernelIidLi16ELb0ELb0ELc67ELc76EKPKdKPdEviT_T0_PT6_S5_lS8_S5_lS6_PT7_S5_li,"axG",@progbits,_ZL41rocblas_syrkx_herkx_small_restrict_kernelIidLi16ELb0ELb0ELc67ELc76EKPKdKPdEviT_T0_PT6_S5_lS8_S5_lS6_PT7_S5_li,comdat
	.globl	_ZL41rocblas_syrkx_herkx_small_restrict_kernelIidLi16ELb0ELb0ELc67ELc76EKPKdKPdEviT_T0_PT6_S5_lS8_S5_lS6_PT7_S5_li ; -- Begin function _ZL41rocblas_syrkx_herkx_small_restrict_kernelIidLi16ELb0ELb0ELc67ELc76EKPKdKPdEviT_T0_PT6_S5_lS8_S5_lS6_PT7_S5_li
	.p2align	8
	.type	_ZL41rocblas_syrkx_herkx_small_restrict_kernelIidLi16ELb0ELb0ELc67ELc76EKPKdKPdEviT_T0_PT6_S5_lS8_S5_lS6_PT7_S5_li,@function
_ZL41rocblas_syrkx_herkx_small_restrict_kernelIidLi16ELb0ELb0ELc67ELc76EKPKdKPdEviT_T0_PT6_S5_lS8_S5_lS6_PT7_S5_li: ; @_ZL41rocblas_syrkx_herkx_small_restrict_kernelIidLi16ELb0ELb0ELc67ELc76EKPKdKPdEviT_T0_PT6_S5_lS8_S5_lS6_PT7_S5_li
; %bb.0:
	s_load_dwordx4 s[12:15], s[4:5], 0x40
	s_load_dword s10, s[4:5], 0x4
	s_load_dwordx4 s[16:19], s[4:5], 0x8
	s_mov_b32 s9, 0
	s_lshl_b64 s[0:1], s[8:9], 3
	s_waitcnt lgkmcnt(0)
	s_add_u32 s2, s14, s0
	s_addc_u32 s3, s15, s1
	s_load_dwordx2 s[2:3], s[2:3], 0x0
	v_lshl_add_u32 v2, s6, 4, v0
	s_cmp_lt_i32 s10, 1
	v_lshl_add_u32 v7, s7, 4, v1
	s_cbranch_scc1 .LBB584_6
; %bb.1:
	s_load_dwordx2 s[6:7], s[4:5], 0x28
	s_load_dword s8, s[4:5], 0x18
	s_load_dword s11, s[4:5], 0x30
	v_lshlrev_b32_e32 v5, 7, v1
	v_lshlrev_b32_e32 v8, 3, v0
	s_waitcnt lgkmcnt(0)
	s_add_u32 s6, s6, s0
	s_addc_u32 s7, s7, s1
	v_mad_i64_i32 v[3:4], s[14:15], s11, v7, 0
	s_load_dwordx2 s[6:7], s[6:7], 0x0
	v_add_u32_e32 v9, v8, v5
	v_add_u32_e32 v10, 0x800, v5
	v_lshlrev_b64 v[3:4], 3, v[3:4]
	v_mad_i64_i32 v[5:6], s[14:15], s8, v2, 0
	s_add_u32 s0, s18, s0
	s_addc_u32 s1, s19, s1
	v_add_co_u32_e32 v0, vcc, v3, v8
	s_load_dwordx2 s[0:1], s[0:1], 0x0
	v_addc_co_u32_e32 v4, vcc, 0, v4, vcc
	s_waitcnt lgkmcnt(0)
	v_mov_b32_e32 v12, s7
	v_add_co_u32_e32 v3, vcc, s6, v0
	v_lshlrev_b64 v[5:6], 3, v[5:6]
	v_addc_co_u32_e32 v4, vcc, v12, v4, vcc
	v_lshlrev_b32_e32 v0, 3, v1
	v_add_co_u32_e32 v0, vcc, v5, v0
	v_addc_co_u32_e32 v1, vcc, 0, v6, vcc
	v_mov_b32_e32 v12, s1
	v_mov_b32_e32 v5, 0
	v_add_co_u32_e32 v0, vcc, s0, v0
	v_add_u32_e32 v11, v10, v8
	v_mov_b32_e32 v6, 0
	v_addc_co_u32_e32 v1, vcc, v12, v1, vcc
.LBB584_2:                              ; =>This Inner Loop Header: Depth=1
	flat_load_dwordx2 v[12:13], v[0:1]
	s_add_i32 s9, s9, 16
	s_cmp_lt_i32 s9, s10
	s_waitcnt vmcnt(0) lgkmcnt(0)
	ds_write_b64 v9, v[12:13]
	flat_load_dwordx2 v[12:13], v[3:4]
	v_add_co_u32_e32 v3, vcc, 0x80, v3
	s_mov_b64 s[0:1], vcc
	v_add_co_u32_e32 v0, vcc, 0x80, v0
	v_addc_co_u32_e64 v4, s[0:1], 0, v4, s[0:1]
	v_addc_co_u32_e32 v1, vcc, 0, v1, vcc
	s_waitcnt vmcnt(0) lgkmcnt(0)
	ds_write_b64 v11, v[12:13]
	s_waitcnt lgkmcnt(0)
	s_barrier
	ds_read2_b64 v[12:15], v8 offset1:16
	ds_read_b128 v[16:19], v10
	s_waitcnt lgkmcnt(0)
	v_fma_f64 v[5:6], v[12:13], v[16:17], v[5:6]
	v_fma_f64 v[5:6], v[14:15], v[18:19], v[5:6]
	ds_read_b128 v[12:15], v10 offset:16
	ds_read2_b64 v[16:19], v8 offset0:32 offset1:48
	s_waitcnt lgkmcnt(0)
	v_fma_f64 v[5:6], v[16:17], v[12:13], v[5:6]
	v_fma_f64 v[5:6], v[18:19], v[14:15], v[5:6]
	ds_read2_b64 v[12:15], v8 offset0:64 offset1:80
	ds_read_b128 v[16:19], v10 offset:32
	s_waitcnt lgkmcnt(0)
	v_fma_f64 v[5:6], v[12:13], v[16:17], v[5:6]
	v_fma_f64 v[5:6], v[14:15], v[18:19], v[5:6]
	ds_read_b128 v[12:15], v10 offset:48
	ds_read2_b64 v[16:19], v8 offset0:96 offset1:112
	s_waitcnt lgkmcnt(0)
	v_fma_f64 v[5:6], v[16:17], v[12:13], v[5:6]
	v_fma_f64 v[5:6], v[18:19], v[14:15], v[5:6]
	ds_read2_b64 v[12:15], v8 offset0:128 offset1:144
	ds_read_b128 v[16:19], v10 offset:64
	;; [unrolled: 10-line block ×3, first 2 shown]
	s_waitcnt lgkmcnt(0)
	v_fma_f64 v[5:6], v[12:13], v[16:17], v[5:6]
	v_fma_f64 v[5:6], v[14:15], v[18:19], v[5:6]
	ds_read_b128 v[12:15], v10 offset:112
	ds_read2_b64 v[16:19], v8 offset0:224 offset1:240
	s_waitcnt lgkmcnt(0)
	s_barrier
	v_fma_f64 v[5:6], v[16:17], v[12:13], v[5:6]
	v_fma_f64 v[5:6], v[18:19], v[14:15], v[5:6]
	s_cbranch_scc1 .LBB584_2
; %bb.3:
	v_cmp_le_i32_e32 vcc, v7, v2
	s_and_saveexec_b64 s[0:1], vcc
	s_cbranch_execz .LBB584_5
.LBB584_4:
	s_load_dword s0, s[4:5], 0x50
	v_ashrrev_i32_e32 v3, 31, v2
	s_waitcnt lgkmcnt(0)
	v_mov_b32_e32 v4, s3
	v_lshlrev_b64 v[2:3], 3, v[2:3]
	v_mad_i64_i32 v[0:1], s[0:1], s0, v7, 0
	v_lshlrev_b64 v[0:1], 3, v[0:1]
	v_add_co_u32_e32 v0, vcc, s2, v0
	v_addc_co_u32_e32 v1, vcc, v4, v1, vcc
	v_add_co_u32_e32 v0, vcc, v0, v2
	v_addc_co_u32_e32 v1, vcc, v1, v3, vcc
	flat_load_dwordx2 v[2:3], v[0:1]
	s_waitcnt vmcnt(0) lgkmcnt(0)
	v_mul_f64 v[2:3], s[12:13], v[2:3]
	v_fma_f64 v[2:3], s[16:17], v[5:6], v[2:3]
	flat_store_dwordx2 v[0:1], v[2:3]
.LBB584_5:
	s_endpgm
.LBB584_6:
	v_mov_b32_e32 v5, 0
	v_mov_b32_e32 v6, 0
	v_cmp_le_i32_e32 vcc, v7, v2
	s_and_saveexec_b64 s[0:1], vcc
	s_cbranch_execnz .LBB584_4
	s_branch .LBB584_5
	.section	.rodata,"a",@progbits
	.p2align	6, 0x0
	.amdhsa_kernel _ZL41rocblas_syrkx_herkx_small_restrict_kernelIidLi16ELb0ELb0ELc67ELc76EKPKdKPdEviT_T0_PT6_S5_lS8_S5_lS6_PT7_S5_li
		.amdhsa_group_segment_fixed_size 4096
		.amdhsa_private_segment_fixed_size 0
		.amdhsa_kernarg_size 100
		.amdhsa_user_sgpr_count 6
		.amdhsa_user_sgpr_private_segment_buffer 1
		.amdhsa_user_sgpr_dispatch_ptr 0
		.amdhsa_user_sgpr_queue_ptr 0
		.amdhsa_user_sgpr_kernarg_segment_ptr 1
		.amdhsa_user_sgpr_dispatch_id 0
		.amdhsa_user_sgpr_flat_scratch_init 0
		.amdhsa_user_sgpr_private_segment_size 0
		.amdhsa_uses_dynamic_stack 0
		.amdhsa_system_sgpr_private_segment_wavefront_offset 0
		.amdhsa_system_sgpr_workgroup_id_x 1
		.amdhsa_system_sgpr_workgroup_id_y 1
		.amdhsa_system_sgpr_workgroup_id_z 1
		.amdhsa_system_sgpr_workgroup_info 0
		.amdhsa_system_vgpr_workitem_id 1
		.amdhsa_next_free_vgpr 20
		.amdhsa_next_free_sgpr 20
		.amdhsa_reserve_vcc 1
		.amdhsa_reserve_flat_scratch 0
		.amdhsa_float_round_mode_32 0
		.amdhsa_float_round_mode_16_64 0
		.amdhsa_float_denorm_mode_32 3
		.amdhsa_float_denorm_mode_16_64 3
		.amdhsa_dx10_clamp 1
		.amdhsa_ieee_mode 1
		.amdhsa_fp16_overflow 0
		.amdhsa_exception_fp_ieee_invalid_op 0
		.amdhsa_exception_fp_denorm_src 0
		.amdhsa_exception_fp_ieee_div_zero 0
		.amdhsa_exception_fp_ieee_overflow 0
		.amdhsa_exception_fp_ieee_underflow 0
		.amdhsa_exception_fp_ieee_inexact 0
		.amdhsa_exception_int_div_zero 0
	.end_amdhsa_kernel
	.section	.text._ZL41rocblas_syrkx_herkx_small_restrict_kernelIidLi16ELb0ELb0ELc67ELc76EKPKdKPdEviT_T0_PT6_S5_lS8_S5_lS6_PT7_S5_li,"axG",@progbits,_ZL41rocblas_syrkx_herkx_small_restrict_kernelIidLi16ELb0ELb0ELc67ELc76EKPKdKPdEviT_T0_PT6_S5_lS8_S5_lS6_PT7_S5_li,comdat
.Lfunc_end584:
	.size	_ZL41rocblas_syrkx_herkx_small_restrict_kernelIidLi16ELb0ELb0ELc67ELc76EKPKdKPdEviT_T0_PT6_S5_lS8_S5_lS6_PT7_S5_li, .Lfunc_end584-_ZL41rocblas_syrkx_herkx_small_restrict_kernelIidLi16ELb0ELb0ELc67ELc76EKPKdKPdEviT_T0_PT6_S5_lS8_S5_lS6_PT7_S5_li
                                        ; -- End function
	.set _ZL41rocblas_syrkx_herkx_small_restrict_kernelIidLi16ELb0ELb0ELc67ELc76EKPKdKPdEviT_T0_PT6_S5_lS8_S5_lS6_PT7_S5_li.num_vgpr, 20
	.set _ZL41rocblas_syrkx_herkx_small_restrict_kernelIidLi16ELb0ELb0ELc67ELc76EKPKdKPdEviT_T0_PT6_S5_lS8_S5_lS6_PT7_S5_li.num_agpr, 0
	.set _ZL41rocblas_syrkx_herkx_small_restrict_kernelIidLi16ELb0ELb0ELc67ELc76EKPKdKPdEviT_T0_PT6_S5_lS8_S5_lS6_PT7_S5_li.numbered_sgpr, 20
	.set _ZL41rocblas_syrkx_herkx_small_restrict_kernelIidLi16ELb0ELb0ELc67ELc76EKPKdKPdEviT_T0_PT6_S5_lS8_S5_lS6_PT7_S5_li.num_named_barrier, 0
	.set _ZL41rocblas_syrkx_herkx_small_restrict_kernelIidLi16ELb0ELb0ELc67ELc76EKPKdKPdEviT_T0_PT6_S5_lS8_S5_lS6_PT7_S5_li.private_seg_size, 0
	.set _ZL41rocblas_syrkx_herkx_small_restrict_kernelIidLi16ELb0ELb0ELc67ELc76EKPKdKPdEviT_T0_PT6_S5_lS8_S5_lS6_PT7_S5_li.uses_vcc, 1
	.set _ZL41rocblas_syrkx_herkx_small_restrict_kernelIidLi16ELb0ELb0ELc67ELc76EKPKdKPdEviT_T0_PT6_S5_lS8_S5_lS6_PT7_S5_li.uses_flat_scratch, 0
	.set _ZL41rocblas_syrkx_herkx_small_restrict_kernelIidLi16ELb0ELb0ELc67ELc76EKPKdKPdEviT_T0_PT6_S5_lS8_S5_lS6_PT7_S5_li.has_dyn_sized_stack, 0
	.set _ZL41rocblas_syrkx_herkx_small_restrict_kernelIidLi16ELb0ELb0ELc67ELc76EKPKdKPdEviT_T0_PT6_S5_lS8_S5_lS6_PT7_S5_li.has_recursion, 0
	.set _ZL41rocblas_syrkx_herkx_small_restrict_kernelIidLi16ELb0ELb0ELc67ELc76EKPKdKPdEviT_T0_PT6_S5_lS8_S5_lS6_PT7_S5_li.has_indirect_call, 0
	.section	.AMDGPU.csdata,"",@progbits
; Kernel info:
; codeLenInByte = 768
; TotalNumSgprs: 24
; NumVgprs: 20
; ScratchSize: 0
; MemoryBound: 0
; FloatMode: 240
; IeeeMode: 1
; LDSByteSize: 4096 bytes/workgroup (compile time only)
; SGPRBlocks: 2
; VGPRBlocks: 4
; NumSGPRsForWavesPerEU: 24
; NumVGPRsForWavesPerEU: 20
; Occupancy: 10
; WaveLimiterHint : 1
; COMPUTE_PGM_RSRC2:SCRATCH_EN: 0
; COMPUTE_PGM_RSRC2:USER_SGPR: 6
; COMPUTE_PGM_RSRC2:TRAP_HANDLER: 0
; COMPUTE_PGM_RSRC2:TGID_X_EN: 1
; COMPUTE_PGM_RSRC2:TGID_Y_EN: 1
; COMPUTE_PGM_RSRC2:TGID_Z_EN: 1
; COMPUTE_PGM_RSRC2:TIDIG_COMP_CNT: 1
	.section	.text._ZL41rocblas_syrkx_herkx_small_restrict_kernelIidLi16ELb0ELb0ELc78ELc76EKPKdKPdEviT_T0_PT6_S5_lS8_S5_lS6_PT7_S5_li,"axG",@progbits,_ZL41rocblas_syrkx_herkx_small_restrict_kernelIidLi16ELb0ELb0ELc78ELc76EKPKdKPdEviT_T0_PT6_S5_lS8_S5_lS6_PT7_S5_li,comdat
	.globl	_ZL41rocblas_syrkx_herkx_small_restrict_kernelIidLi16ELb0ELb0ELc78ELc76EKPKdKPdEviT_T0_PT6_S5_lS8_S5_lS6_PT7_S5_li ; -- Begin function _ZL41rocblas_syrkx_herkx_small_restrict_kernelIidLi16ELb0ELb0ELc78ELc76EKPKdKPdEviT_T0_PT6_S5_lS8_S5_lS6_PT7_S5_li
	.p2align	8
	.type	_ZL41rocblas_syrkx_herkx_small_restrict_kernelIidLi16ELb0ELb0ELc78ELc76EKPKdKPdEviT_T0_PT6_S5_lS8_S5_lS6_PT7_S5_li,@function
_ZL41rocblas_syrkx_herkx_small_restrict_kernelIidLi16ELb0ELb0ELc78ELc76EKPKdKPdEviT_T0_PT6_S5_lS8_S5_lS6_PT7_S5_li: ; @_ZL41rocblas_syrkx_herkx_small_restrict_kernelIidLi16ELb0ELb0ELc78ELc76EKPKdKPdEviT_T0_PT6_S5_lS8_S5_lS6_PT7_S5_li
; %bb.0:
	s_load_dwordx4 s[0:3], s[4:5], 0x40
	s_load_dword s16, s[4:5], 0x4
	s_load_dwordx4 s[12:15], s[4:5], 0x8
	s_mov_b32 s9, 0
	s_lshl_b64 s[10:11], s[8:9], 3
	s_waitcnt lgkmcnt(0)
	s_add_u32 s2, s2, s10
	s_addc_u32 s3, s3, s11
	s_load_dwordx2 s[2:3], s[2:3], 0x0
	v_lshl_add_u32 v2, s6, 4, v0
	v_lshl_add_u32 v4, s7, 4, v1
	s_cmp_lt_i32 s16, 1
	v_ashrrev_i32_e32 v3, 31, v2
	s_cbranch_scc1 .LBB585_6
; %bb.1:
	s_load_dword s18, s[4:5], 0x18
	s_load_dword s6, s[4:5], 0x30
	s_load_dwordx2 s[20:21], s[4:5], 0x28
	v_ashrrev_i32_e32 v5, 31, v4
	v_lshlrev_b64 v[12:13], 3, v[4:5]
	s_waitcnt lgkmcnt(0)
	s_ashr_i32 s19, s18, 31
	s_ashr_i32 s7, s6, 31
	s_add_u32 s20, s20, s10
	s_addc_u32 s21, s21, s11
	s_add_u32 s10, s14, s10
	s_addc_u32 s11, s15, s11
	v_mad_i64_i32 v[6:7], s[14:15], s6, v0, 0
	s_load_dwordx2 s[20:21], s[20:21], 0x0
	v_lshlrev_b32_e32 v9, 3, v0
	v_lshlrev_b64 v[6:7], 3, v[6:7]
	v_lshlrev_b32_e32 v8, 7, v1
	v_add_co_u32_e32 v0, vcc, v6, v12
	v_mad_i64_i32 v[5:6], s[14:15], s18, v1, 0
	v_addc_co_u32_e32 v7, vcc, v7, v13, vcc
	s_load_dwordx2 s[10:11], s[10:11], 0x0
	v_add_u32_e32 v10, v9, v8
	v_add_u32_e32 v11, 0x800, v8
	s_waitcnt lgkmcnt(0)
	v_mov_b32_e32 v8, s21
	v_add_co_u32_e32 v0, vcc, s20, v0
	v_addc_co_u32_e32 v1, vcc, v8, v7, vcc
	v_lshlrev_b64 v[5:6], 3, v[5:6]
	v_lshlrev_b64 v[7:8], 3, v[2:3]
	s_lshl_b64 s[6:7], s[6:7], 7
	v_add_co_u32_e32 v5, vcc, v5, v7
	v_addc_co_u32_e32 v6, vcc, v6, v8, vcc
	v_mov_b32_e32 v7, s11
	v_add_co_u32_e32 v5, vcc, s10, v5
	v_addc_co_u32_e32 v6, vcc, v7, v6, vcc
	s_lshl_b64 s[10:11], s[18:19], 7
	v_mov_b32_e32 v7, 0
	v_mov_b32_e32 v8, 0
	;; [unrolled: 1-line block ×4, first 2 shown]
.LBB585_2:                              ; =>This Inner Loop Header: Depth=1
	flat_load_dwordx2 v[14:15], v[5:6]
	v_add_u32_e32 v16, v11, v9
	v_add_co_u32_e32 v5, vcc, s10, v5
	v_addc_co_u32_e32 v6, vcc, v6, v13, vcc
	s_add_i32 s9, s9, 16
	s_cmp_lt_i32 s9, s16
	s_waitcnt vmcnt(0) lgkmcnt(0)
	ds_write_b64 v10, v[14:15]
	flat_load_dwordx2 v[14:15], v[0:1]
	v_add_co_u32_e32 v0, vcc, s6, v0
	v_addc_co_u32_e32 v1, vcc, v1, v12, vcc
	s_waitcnt vmcnt(0) lgkmcnt(0)
	ds_write_b64 v16, v[14:15]
	s_waitcnt lgkmcnt(0)
	s_barrier
	ds_read2_b64 v[14:17], v9 offset1:16
	ds_read_b128 v[18:21], v11
	ds_read_b128 v[22:25], v11 offset:16
	s_waitcnt lgkmcnt(1)
	v_fma_f64 v[7:8], v[14:15], v[18:19], v[7:8]
	v_fma_f64 v[7:8], v[16:17], v[20:21], v[7:8]
	ds_read2_b64 v[14:17], v9 offset0:32 offset1:48
	s_waitcnt lgkmcnt(0)
	v_fma_f64 v[7:8], v[14:15], v[22:23], v[7:8]
	v_fma_f64 v[7:8], v[16:17], v[24:25], v[7:8]
	ds_read2_b64 v[14:17], v9 offset0:64 offset1:80
	ds_read_b128 v[18:21], v11 offset:32
	ds_read_b128 v[22:25], v11 offset:48
	s_waitcnt lgkmcnt(1)
	v_fma_f64 v[7:8], v[14:15], v[18:19], v[7:8]
	v_fma_f64 v[7:8], v[16:17], v[20:21], v[7:8]
	ds_read2_b64 v[14:17], v9 offset0:96 offset1:112
	s_waitcnt lgkmcnt(0)
	v_fma_f64 v[7:8], v[14:15], v[22:23], v[7:8]
	v_fma_f64 v[7:8], v[16:17], v[24:25], v[7:8]
	ds_read2_b64 v[14:17], v9 offset0:128 offset1:144
	ds_read_b128 v[18:21], v11 offset:64
	;; [unrolled: 10-line block ×3, first 2 shown]
	ds_read_b128 v[22:25], v11 offset:112
	s_waitcnt lgkmcnt(1)
	v_fma_f64 v[7:8], v[14:15], v[18:19], v[7:8]
	v_fma_f64 v[7:8], v[16:17], v[20:21], v[7:8]
	ds_read2_b64 v[14:17], v9 offset0:224 offset1:240
	s_waitcnt lgkmcnt(0)
	s_barrier
	v_fma_f64 v[7:8], v[14:15], v[22:23], v[7:8]
	v_fma_f64 v[7:8], v[16:17], v[24:25], v[7:8]
	s_cbranch_scc1 .LBB585_2
; %bb.3:
	v_cmp_le_i32_e32 vcc, v4, v2
	s_and_saveexec_b64 s[6:7], vcc
	s_cbranch_execz .LBB585_5
.LBB585_4:
	s_load_dword s4, s[4:5], 0x50
	v_lshlrev_b64 v[2:3], 3, v[2:3]
	s_waitcnt lgkmcnt(0)
	v_mad_i64_i32 v[0:1], s[4:5], s4, v4, 0
	v_mov_b32_e32 v4, s3
	v_lshlrev_b64 v[0:1], 3, v[0:1]
	v_add_co_u32_e32 v0, vcc, s2, v0
	v_addc_co_u32_e32 v1, vcc, v4, v1, vcc
	v_add_co_u32_e32 v0, vcc, v0, v2
	v_addc_co_u32_e32 v1, vcc, v1, v3, vcc
	flat_load_dwordx2 v[2:3], v[0:1]
	s_waitcnt vmcnt(0) lgkmcnt(0)
	v_mul_f64 v[2:3], s[0:1], v[2:3]
	v_fma_f64 v[2:3], s[12:13], v[7:8], v[2:3]
	flat_store_dwordx2 v[0:1], v[2:3]
.LBB585_5:
	s_endpgm
.LBB585_6:
	v_mov_b32_e32 v7, 0
	v_mov_b32_e32 v8, 0
	v_cmp_le_i32_e32 vcc, v4, v2
	s_and_saveexec_b64 s[6:7], vcc
	s_cbranch_execnz .LBB585_4
	s_branch .LBB585_5
	.section	.rodata,"a",@progbits
	.p2align	6, 0x0
	.amdhsa_kernel _ZL41rocblas_syrkx_herkx_small_restrict_kernelIidLi16ELb0ELb0ELc78ELc76EKPKdKPdEviT_T0_PT6_S5_lS8_S5_lS6_PT7_S5_li
		.amdhsa_group_segment_fixed_size 4096
		.amdhsa_private_segment_fixed_size 0
		.amdhsa_kernarg_size 100
		.amdhsa_user_sgpr_count 6
		.amdhsa_user_sgpr_private_segment_buffer 1
		.amdhsa_user_sgpr_dispatch_ptr 0
		.amdhsa_user_sgpr_queue_ptr 0
		.amdhsa_user_sgpr_kernarg_segment_ptr 1
		.amdhsa_user_sgpr_dispatch_id 0
		.amdhsa_user_sgpr_flat_scratch_init 0
		.amdhsa_user_sgpr_private_segment_size 0
		.amdhsa_uses_dynamic_stack 0
		.amdhsa_system_sgpr_private_segment_wavefront_offset 0
		.amdhsa_system_sgpr_workgroup_id_x 1
		.amdhsa_system_sgpr_workgroup_id_y 1
		.amdhsa_system_sgpr_workgroup_id_z 1
		.amdhsa_system_sgpr_workgroup_info 0
		.amdhsa_system_vgpr_workitem_id 1
		.amdhsa_next_free_vgpr 26
		.amdhsa_next_free_sgpr 22
		.amdhsa_reserve_vcc 1
		.amdhsa_reserve_flat_scratch 0
		.amdhsa_float_round_mode_32 0
		.amdhsa_float_round_mode_16_64 0
		.amdhsa_float_denorm_mode_32 3
		.amdhsa_float_denorm_mode_16_64 3
		.amdhsa_dx10_clamp 1
		.amdhsa_ieee_mode 1
		.amdhsa_fp16_overflow 0
		.amdhsa_exception_fp_ieee_invalid_op 0
		.amdhsa_exception_fp_denorm_src 0
		.amdhsa_exception_fp_ieee_div_zero 0
		.amdhsa_exception_fp_ieee_overflow 0
		.amdhsa_exception_fp_ieee_underflow 0
		.amdhsa_exception_fp_ieee_inexact 0
		.amdhsa_exception_int_div_zero 0
	.end_amdhsa_kernel
	.section	.text._ZL41rocblas_syrkx_herkx_small_restrict_kernelIidLi16ELb0ELb0ELc78ELc76EKPKdKPdEviT_T0_PT6_S5_lS8_S5_lS6_PT7_S5_li,"axG",@progbits,_ZL41rocblas_syrkx_herkx_small_restrict_kernelIidLi16ELb0ELb0ELc78ELc76EKPKdKPdEviT_T0_PT6_S5_lS8_S5_lS6_PT7_S5_li,comdat
.Lfunc_end585:
	.size	_ZL41rocblas_syrkx_herkx_small_restrict_kernelIidLi16ELb0ELb0ELc78ELc76EKPKdKPdEviT_T0_PT6_S5_lS8_S5_lS6_PT7_S5_li, .Lfunc_end585-_ZL41rocblas_syrkx_herkx_small_restrict_kernelIidLi16ELb0ELb0ELc78ELc76EKPKdKPdEviT_T0_PT6_S5_lS8_S5_lS6_PT7_S5_li
                                        ; -- End function
	.set _ZL41rocblas_syrkx_herkx_small_restrict_kernelIidLi16ELb0ELb0ELc78ELc76EKPKdKPdEviT_T0_PT6_S5_lS8_S5_lS6_PT7_S5_li.num_vgpr, 26
	.set _ZL41rocblas_syrkx_herkx_small_restrict_kernelIidLi16ELb0ELb0ELc78ELc76EKPKdKPdEviT_T0_PT6_S5_lS8_S5_lS6_PT7_S5_li.num_agpr, 0
	.set _ZL41rocblas_syrkx_herkx_small_restrict_kernelIidLi16ELb0ELb0ELc78ELc76EKPKdKPdEviT_T0_PT6_S5_lS8_S5_lS6_PT7_S5_li.numbered_sgpr, 22
	.set _ZL41rocblas_syrkx_herkx_small_restrict_kernelIidLi16ELb0ELb0ELc78ELc76EKPKdKPdEviT_T0_PT6_S5_lS8_S5_lS6_PT7_S5_li.num_named_barrier, 0
	.set _ZL41rocblas_syrkx_herkx_small_restrict_kernelIidLi16ELb0ELb0ELc78ELc76EKPKdKPdEviT_T0_PT6_S5_lS8_S5_lS6_PT7_S5_li.private_seg_size, 0
	.set _ZL41rocblas_syrkx_herkx_small_restrict_kernelIidLi16ELb0ELb0ELc78ELc76EKPKdKPdEviT_T0_PT6_S5_lS8_S5_lS6_PT7_S5_li.uses_vcc, 1
	.set _ZL41rocblas_syrkx_herkx_small_restrict_kernelIidLi16ELb0ELb0ELc78ELc76EKPKdKPdEviT_T0_PT6_S5_lS8_S5_lS6_PT7_S5_li.uses_flat_scratch, 0
	.set _ZL41rocblas_syrkx_herkx_small_restrict_kernelIidLi16ELb0ELb0ELc78ELc76EKPKdKPdEviT_T0_PT6_S5_lS8_S5_lS6_PT7_S5_li.has_dyn_sized_stack, 0
	.set _ZL41rocblas_syrkx_herkx_small_restrict_kernelIidLi16ELb0ELb0ELc78ELc76EKPKdKPdEviT_T0_PT6_S5_lS8_S5_lS6_PT7_S5_li.has_recursion, 0
	.set _ZL41rocblas_syrkx_herkx_small_restrict_kernelIidLi16ELb0ELb0ELc78ELc76EKPKdKPdEviT_T0_PT6_S5_lS8_S5_lS6_PT7_S5_li.has_indirect_call, 0
	.section	.AMDGPU.csdata,"",@progbits
; Kernel info:
; codeLenInByte = 792
; TotalNumSgprs: 26
; NumVgprs: 26
; ScratchSize: 0
; MemoryBound: 0
; FloatMode: 240
; IeeeMode: 1
; LDSByteSize: 4096 bytes/workgroup (compile time only)
; SGPRBlocks: 3
; VGPRBlocks: 6
; NumSGPRsForWavesPerEU: 26
; NumVGPRsForWavesPerEU: 26
; Occupancy: 9
; WaveLimiterHint : 1
; COMPUTE_PGM_RSRC2:SCRATCH_EN: 0
; COMPUTE_PGM_RSRC2:USER_SGPR: 6
; COMPUTE_PGM_RSRC2:TRAP_HANDLER: 0
; COMPUTE_PGM_RSRC2:TGID_X_EN: 1
; COMPUTE_PGM_RSRC2:TGID_Y_EN: 1
; COMPUTE_PGM_RSRC2:TGID_Z_EN: 1
; COMPUTE_PGM_RSRC2:TIDIG_COMP_CNT: 1
	.section	.text._ZL41rocblas_syrkx_herkx_small_restrict_kernelIidLi16ELb0ELb0ELc84ELc85EKPKdKPdEviT_T0_PT6_S5_lS8_S5_lS6_PT7_S5_li,"axG",@progbits,_ZL41rocblas_syrkx_herkx_small_restrict_kernelIidLi16ELb0ELb0ELc84ELc85EKPKdKPdEviT_T0_PT6_S5_lS8_S5_lS6_PT7_S5_li,comdat
	.globl	_ZL41rocblas_syrkx_herkx_small_restrict_kernelIidLi16ELb0ELb0ELc84ELc85EKPKdKPdEviT_T0_PT6_S5_lS8_S5_lS6_PT7_S5_li ; -- Begin function _ZL41rocblas_syrkx_herkx_small_restrict_kernelIidLi16ELb0ELb0ELc84ELc85EKPKdKPdEviT_T0_PT6_S5_lS8_S5_lS6_PT7_S5_li
	.p2align	8
	.type	_ZL41rocblas_syrkx_herkx_small_restrict_kernelIidLi16ELb0ELb0ELc84ELc85EKPKdKPdEviT_T0_PT6_S5_lS8_S5_lS6_PT7_S5_li,@function
_ZL41rocblas_syrkx_herkx_small_restrict_kernelIidLi16ELb0ELb0ELc84ELc85EKPKdKPdEviT_T0_PT6_S5_lS8_S5_lS6_PT7_S5_li: ; @_ZL41rocblas_syrkx_herkx_small_restrict_kernelIidLi16ELb0ELb0ELc84ELc85EKPKdKPdEviT_T0_PT6_S5_lS8_S5_lS6_PT7_S5_li
; %bb.0:
	s_load_dwordx4 s[12:15], s[4:5], 0x40
	s_load_dword s10, s[4:5], 0x4
	s_load_dwordx4 s[16:19], s[4:5], 0x8
	s_mov_b32 s9, 0
	s_lshl_b64 s[0:1], s[8:9], 3
	s_waitcnt lgkmcnt(0)
	s_add_u32 s2, s14, s0
	s_addc_u32 s3, s15, s1
	s_load_dwordx2 s[2:3], s[2:3], 0x0
	v_lshl_add_u32 v2, s6, 4, v0
	s_cmp_lt_i32 s10, 1
	v_lshl_add_u32 v7, s7, 4, v1
	s_cbranch_scc1 .LBB586_6
; %bb.1:
	s_load_dwordx2 s[6:7], s[4:5], 0x28
	s_load_dword s8, s[4:5], 0x18
	s_load_dword s11, s[4:5], 0x30
	v_lshlrev_b32_e32 v5, 7, v1
	v_lshlrev_b32_e32 v8, 3, v0
	s_waitcnt lgkmcnt(0)
	s_add_u32 s6, s6, s0
	s_addc_u32 s7, s7, s1
	v_mad_i64_i32 v[3:4], s[14:15], s11, v7, 0
	s_load_dwordx2 s[6:7], s[6:7], 0x0
	v_add_u32_e32 v9, v8, v5
	v_add_u32_e32 v10, 0x800, v5
	v_lshlrev_b64 v[3:4], 3, v[3:4]
	v_mad_i64_i32 v[5:6], s[14:15], s8, v2, 0
	s_add_u32 s0, s18, s0
	s_addc_u32 s1, s19, s1
	v_add_co_u32_e32 v0, vcc, v3, v8
	s_load_dwordx2 s[0:1], s[0:1], 0x0
	v_addc_co_u32_e32 v4, vcc, 0, v4, vcc
	s_waitcnt lgkmcnt(0)
	v_mov_b32_e32 v12, s7
	v_add_co_u32_e32 v3, vcc, s6, v0
	v_lshlrev_b64 v[5:6], 3, v[5:6]
	v_addc_co_u32_e32 v4, vcc, v12, v4, vcc
	v_lshlrev_b32_e32 v0, 3, v1
	v_add_co_u32_e32 v0, vcc, v5, v0
	v_addc_co_u32_e32 v1, vcc, 0, v6, vcc
	v_mov_b32_e32 v12, s1
	v_mov_b32_e32 v5, 0
	v_add_co_u32_e32 v0, vcc, s0, v0
	v_add_u32_e32 v11, v10, v8
	v_mov_b32_e32 v6, 0
	v_addc_co_u32_e32 v1, vcc, v12, v1, vcc
.LBB586_2:                              ; =>This Inner Loop Header: Depth=1
	flat_load_dwordx2 v[12:13], v[0:1]
	s_add_i32 s9, s9, 16
	s_cmp_lt_i32 s9, s10
	s_waitcnt vmcnt(0) lgkmcnt(0)
	ds_write_b64 v9, v[12:13]
	flat_load_dwordx2 v[12:13], v[3:4]
	v_add_co_u32_e32 v3, vcc, 0x80, v3
	s_mov_b64 s[0:1], vcc
	v_add_co_u32_e32 v0, vcc, 0x80, v0
	v_addc_co_u32_e64 v4, s[0:1], 0, v4, s[0:1]
	v_addc_co_u32_e32 v1, vcc, 0, v1, vcc
	s_waitcnt vmcnt(0) lgkmcnt(0)
	ds_write_b64 v11, v[12:13]
	s_waitcnt lgkmcnt(0)
	s_barrier
	ds_read2_b64 v[12:15], v8 offset1:16
	ds_read_b128 v[16:19], v10
	s_waitcnt lgkmcnt(0)
	v_fma_f64 v[5:6], v[12:13], v[16:17], v[5:6]
	v_fma_f64 v[5:6], v[14:15], v[18:19], v[5:6]
	ds_read_b128 v[12:15], v10 offset:16
	ds_read2_b64 v[16:19], v8 offset0:32 offset1:48
	s_waitcnt lgkmcnt(0)
	v_fma_f64 v[5:6], v[16:17], v[12:13], v[5:6]
	v_fma_f64 v[5:6], v[18:19], v[14:15], v[5:6]
	ds_read2_b64 v[12:15], v8 offset0:64 offset1:80
	ds_read_b128 v[16:19], v10 offset:32
	s_waitcnt lgkmcnt(0)
	v_fma_f64 v[5:6], v[12:13], v[16:17], v[5:6]
	v_fma_f64 v[5:6], v[14:15], v[18:19], v[5:6]
	ds_read_b128 v[12:15], v10 offset:48
	ds_read2_b64 v[16:19], v8 offset0:96 offset1:112
	s_waitcnt lgkmcnt(0)
	v_fma_f64 v[5:6], v[16:17], v[12:13], v[5:6]
	v_fma_f64 v[5:6], v[18:19], v[14:15], v[5:6]
	ds_read2_b64 v[12:15], v8 offset0:128 offset1:144
	ds_read_b128 v[16:19], v10 offset:64
	;; [unrolled: 10-line block ×3, first 2 shown]
	s_waitcnt lgkmcnt(0)
	v_fma_f64 v[5:6], v[12:13], v[16:17], v[5:6]
	v_fma_f64 v[5:6], v[14:15], v[18:19], v[5:6]
	ds_read_b128 v[12:15], v10 offset:112
	ds_read2_b64 v[16:19], v8 offset0:224 offset1:240
	s_waitcnt lgkmcnt(0)
	s_barrier
	v_fma_f64 v[5:6], v[16:17], v[12:13], v[5:6]
	v_fma_f64 v[5:6], v[18:19], v[14:15], v[5:6]
	s_cbranch_scc1 .LBB586_2
; %bb.3:
	v_cmp_le_i32_e32 vcc, v2, v7
	s_and_saveexec_b64 s[0:1], vcc
	s_cbranch_execz .LBB586_5
.LBB586_4:
	s_load_dword s0, s[4:5], 0x50
	v_ashrrev_i32_e32 v3, 31, v2
	s_waitcnt lgkmcnt(0)
	v_mov_b32_e32 v4, s3
	v_lshlrev_b64 v[2:3], 3, v[2:3]
	v_mad_i64_i32 v[0:1], s[0:1], s0, v7, 0
	v_lshlrev_b64 v[0:1], 3, v[0:1]
	v_add_co_u32_e32 v0, vcc, s2, v0
	v_addc_co_u32_e32 v1, vcc, v4, v1, vcc
	v_add_co_u32_e32 v0, vcc, v0, v2
	v_addc_co_u32_e32 v1, vcc, v1, v3, vcc
	flat_load_dwordx2 v[2:3], v[0:1]
	s_waitcnt vmcnt(0) lgkmcnt(0)
	v_mul_f64 v[2:3], s[12:13], v[2:3]
	v_fma_f64 v[2:3], s[16:17], v[5:6], v[2:3]
	flat_store_dwordx2 v[0:1], v[2:3]
.LBB586_5:
	s_endpgm
.LBB586_6:
	v_mov_b32_e32 v5, 0
	v_mov_b32_e32 v6, 0
	v_cmp_le_i32_e32 vcc, v2, v7
	s_and_saveexec_b64 s[0:1], vcc
	s_cbranch_execnz .LBB586_4
	s_branch .LBB586_5
	.section	.rodata,"a",@progbits
	.p2align	6, 0x0
	.amdhsa_kernel _ZL41rocblas_syrkx_herkx_small_restrict_kernelIidLi16ELb0ELb0ELc84ELc85EKPKdKPdEviT_T0_PT6_S5_lS8_S5_lS6_PT7_S5_li
		.amdhsa_group_segment_fixed_size 4096
		.amdhsa_private_segment_fixed_size 0
		.amdhsa_kernarg_size 100
		.amdhsa_user_sgpr_count 6
		.amdhsa_user_sgpr_private_segment_buffer 1
		.amdhsa_user_sgpr_dispatch_ptr 0
		.amdhsa_user_sgpr_queue_ptr 0
		.amdhsa_user_sgpr_kernarg_segment_ptr 1
		.amdhsa_user_sgpr_dispatch_id 0
		.amdhsa_user_sgpr_flat_scratch_init 0
		.amdhsa_user_sgpr_private_segment_size 0
		.amdhsa_uses_dynamic_stack 0
		.amdhsa_system_sgpr_private_segment_wavefront_offset 0
		.amdhsa_system_sgpr_workgroup_id_x 1
		.amdhsa_system_sgpr_workgroup_id_y 1
		.amdhsa_system_sgpr_workgroup_id_z 1
		.amdhsa_system_sgpr_workgroup_info 0
		.amdhsa_system_vgpr_workitem_id 1
		.amdhsa_next_free_vgpr 20
		.amdhsa_next_free_sgpr 20
		.amdhsa_reserve_vcc 1
		.amdhsa_reserve_flat_scratch 0
		.amdhsa_float_round_mode_32 0
		.amdhsa_float_round_mode_16_64 0
		.amdhsa_float_denorm_mode_32 3
		.amdhsa_float_denorm_mode_16_64 3
		.amdhsa_dx10_clamp 1
		.amdhsa_ieee_mode 1
		.amdhsa_fp16_overflow 0
		.amdhsa_exception_fp_ieee_invalid_op 0
		.amdhsa_exception_fp_denorm_src 0
		.amdhsa_exception_fp_ieee_div_zero 0
		.amdhsa_exception_fp_ieee_overflow 0
		.amdhsa_exception_fp_ieee_underflow 0
		.amdhsa_exception_fp_ieee_inexact 0
		.amdhsa_exception_int_div_zero 0
	.end_amdhsa_kernel
	.section	.text._ZL41rocblas_syrkx_herkx_small_restrict_kernelIidLi16ELb0ELb0ELc84ELc85EKPKdKPdEviT_T0_PT6_S5_lS8_S5_lS6_PT7_S5_li,"axG",@progbits,_ZL41rocblas_syrkx_herkx_small_restrict_kernelIidLi16ELb0ELb0ELc84ELc85EKPKdKPdEviT_T0_PT6_S5_lS8_S5_lS6_PT7_S5_li,comdat
.Lfunc_end586:
	.size	_ZL41rocblas_syrkx_herkx_small_restrict_kernelIidLi16ELb0ELb0ELc84ELc85EKPKdKPdEviT_T0_PT6_S5_lS8_S5_lS6_PT7_S5_li, .Lfunc_end586-_ZL41rocblas_syrkx_herkx_small_restrict_kernelIidLi16ELb0ELb0ELc84ELc85EKPKdKPdEviT_T0_PT6_S5_lS8_S5_lS6_PT7_S5_li
                                        ; -- End function
	.set _ZL41rocblas_syrkx_herkx_small_restrict_kernelIidLi16ELb0ELb0ELc84ELc85EKPKdKPdEviT_T0_PT6_S5_lS8_S5_lS6_PT7_S5_li.num_vgpr, 20
	.set _ZL41rocblas_syrkx_herkx_small_restrict_kernelIidLi16ELb0ELb0ELc84ELc85EKPKdKPdEviT_T0_PT6_S5_lS8_S5_lS6_PT7_S5_li.num_agpr, 0
	.set _ZL41rocblas_syrkx_herkx_small_restrict_kernelIidLi16ELb0ELb0ELc84ELc85EKPKdKPdEviT_T0_PT6_S5_lS8_S5_lS6_PT7_S5_li.numbered_sgpr, 20
	.set _ZL41rocblas_syrkx_herkx_small_restrict_kernelIidLi16ELb0ELb0ELc84ELc85EKPKdKPdEviT_T0_PT6_S5_lS8_S5_lS6_PT7_S5_li.num_named_barrier, 0
	.set _ZL41rocblas_syrkx_herkx_small_restrict_kernelIidLi16ELb0ELb0ELc84ELc85EKPKdKPdEviT_T0_PT6_S5_lS8_S5_lS6_PT7_S5_li.private_seg_size, 0
	.set _ZL41rocblas_syrkx_herkx_small_restrict_kernelIidLi16ELb0ELb0ELc84ELc85EKPKdKPdEviT_T0_PT6_S5_lS8_S5_lS6_PT7_S5_li.uses_vcc, 1
	.set _ZL41rocblas_syrkx_herkx_small_restrict_kernelIidLi16ELb0ELb0ELc84ELc85EKPKdKPdEviT_T0_PT6_S5_lS8_S5_lS6_PT7_S5_li.uses_flat_scratch, 0
	.set _ZL41rocblas_syrkx_herkx_small_restrict_kernelIidLi16ELb0ELb0ELc84ELc85EKPKdKPdEviT_T0_PT6_S5_lS8_S5_lS6_PT7_S5_li.has_dyn_sized_stack, 0
	.set _ZL41rocblas_syrkx_herkx_small_restrict_kernelIidLi16ELb0ELb0ELc84ELc85EKPKdKPdEviT_T0_PT6_S5_lS8_S5_lS6_PT7_S5_li.has_recursion, 0
	.set _ZL41rocblas_syrkx_herkx_small_restrict_kernelIidLi16ELb0ELb0ELc84ELc85EKPKdKPdEviT_T0_PT6_S5_lS8_S5_lS6_PT7_S5_li.has_indirect_call, 0
	.section	.AMDGPU.csdata,"",@progbits
; Kernel info:
; codeLenInByte = 768
; TotalNumSgprs: 24
; NumVgprs: 20
; ScratchSize: 0
; MemoryBound: 0
; FloatMode: 240
; IeeeMode: 1
; LDSByteSize: 4096 bytes/workgroup (compile time only)
; SGPRBlocks: 2
; VGPRBlocks: 4
; NumSGPRsForWavesPerEU: 24
; NumVGPRsForWavesPerEU: 20
; Occupancy: 10
; WaveLimiterHint : 1
; COMPUTE_PGM_RSRC2:SCRATCH_EN: 0
; COMPUTE_PGM_RSRC2:USER_SGPR: 6
; COMPUTE_PGM_RSRC2:TRAP_HANDLER: 0
; COMPUTE_PGM_RSRC2:TGID_X_EN: 1
; COMPUTE_PGM_RSRC2:TGID_Y_EN: 1
; COMPUTE_PGM_RSRC2:TGID_Z_EN: 1
; COMPUTE_PGM_RSRC2:TIDIG_COMP_CNT: 1
	.section	.text._ZL41rocblas_syrkx_herkx_small_restrict_kernelIidLi16ELb0ELb0ELc67ELc85EKPKdKPdEviT_T0_PT6_S5_lS8_S5_lS6_PT7_S5_li,"axG",@progbits,_ZL41rocblas_syrkx_herkx_small_restrict_kernelIidLi16ELb0ELb0ELc67ELc85EKPKdKPdEviT_T0_PT6_S5_lS8_S5_lS6_PT7_S5_li,comdat
	.globl	_ZL41rocblas_syrkx_herkx_small_restrict_kernelIidLi16ELb0ELb0ELc67ELc85EKPKdKPdEviT_T0_PT6_S5_lS8_S5_lS6_PT7_S5_li ; -- Begin function _ZL41rocblas_syrkx_herkx_small_restrict_kernelIidLi16ELb0ELb0ELc67ELc85EKPKdKPdEviT_T0_PT6_S5_lS8_S5_lS6_PT7_S5_li
	.p2align	8
	.type	_ZL41rocblas_syrkx_herkx_small_restrict_kernelIidLi16ELb0ELb0ELc67ELc85EKPKdKPdEviT_T0_PT6_S5_lS8_S5_lS6_PT7_S5_li,@function
_ZL41rocblas_syrkx_herkx_small_restrict_kernelIidLi16ELb0ELb0ELc67ELc85EKPKdKPdEviT_T0_PT6_S5_lS8_S5_lS6_PT7_S5_li: ; @_ZL41rocblas_syrkx_herkx_small_restrict_kernelIidLi16ELb0ELb0ELc67ELc85EKPKdKPdEviT_T0_PT6_S5_lS8_S5_lS6_PT7_S5_li
; %bb.0:
	s_load_dwordx4 s[12:15], s[4:5], 0x40
	s_load_dword s10, s[4:5], 0x4
	s_load_dwordx4 s[16:19], s[4:5], 0x8
	s_mov_b32 s9, 0
	s_lshl_b64 s[0:1], s[8:9], 3
	s_waitcnt lgkmcnt(0)
	s_add_u32 s2, s14, s0
	s_addc_u32 s3, s15, s1
	s_load_dwordx2 s[2:3], s[2:3], 0x0
	v_lshl_add_u32 v2, s6, 4, v0
	s_cmp_lt_i32 s10, 1
	v_lshl_add_u32 v7, s7, 4, v1
	s_cbranch_scc1 .LBB587_6
; %bb.1:
	s_load_dwordx2 s[6:7], s[4:5], 0x28
	s_load_dword s8, s[4:5], 0x18
	s_load_dword s11, s[4:5], 0x30
	v_lshlrev_b32_e32 v5, 7, v1
	v_lshlrev_b32_e32 v8, 3, v0
	s_waitcnt lgkmcnt(0)
	s_add_u32 s6, s6, s0
	s_addc_u32 s7, s7, s1
	v_mad_i64_i32 v[3:4], s[14:15], s11, v7, 0
	s_load_dwordx2 s[6:7], s[6:7], 0x0
	v_add_u32_e32 v9, v8, v5
	v_add_u32_e32 v10, 0x800, v5
	v_lshlrev_b64 v[3:4], 3, v[3:4]
	v_mad_i64_i32 v[5:6], s[14:15], s8, v2, 0
	s_add_u32 s0, s18, s0
	s_addc_u32 s1, s19, s1
	v_add_co_u32_e32 v0, vcc, v3, v8
	s_load_dwordx2 s[0:1], s[0:1], 0x0
	v_addc_co_u32_e32 v4, vcc, 0, v4, vcc
	s_waitcnt lgkmcnt(0)
	v_mov_b32_e32 v12, s7
	v_add_co_u32_e32 v3, vcc, s6, v0
	v_lshlrev_b64 v[5:6], 3, v[5:6]
	v_addc_co_u32_e32 v4, vcc, v12, v4, vcc
	v_lshlrev_b32_e32 v0, 3, v1
	v_add_co_u32_e32 v0, vcc, v5, v0
	v_addc_co_u32_e32 v1, vcc, 0, v6, vcc
	v_mov_b32_e32 v12, s1
	v_mov_b32_e32 v5, 0
	v_add_co_u32_e32 v0, vcc, s0, v0
	v_add_u32_e32 v11, v10, v8
	v_mov_b32_e32 v6, 0
	v_addc_co_u32_e32 v1, vcc, v12, v1, vcc
.LBB587_2:                              ; =>This Inner Loop Header: Depth=1
	flat_load_dwordx2 v[12:13], v[0:1]
	s_add_i32 s9, s9, 16
	s_cmp_lt_i32 s9, s10
	s_waitcnt vmcnt(0) lgkmcnt(0)
	ds_write_b64 v9, v[12:13]
	flat_load_dwordx2 v[12:13], v[3:4]
	v_add_co_u32_e32 v3, vcc, 0x80, v3
	s_mov_b64 s[0:1], vcc
	v_add_co_u32_e32 v0, vcc, 0x80, v0
	v_addc_co_u32_e64 v4, s[0:1], 0, v4, s[0:1]
	v_addc_co_u32_e32 v1, vcc, 0, v1, vcc
	s_waitcnt vmcnt(0) lgkmcnt(0)
	ds_write_b64 v11, v[12:13]
	s_waitcnt lgkmcnt(0)
	s_barrier
	ds_read2_b64 v[12:15], v8 offset1:16
	ds_read_b128 v[16:19], v10
	s_waitcnt lgkmcnt(0)
	v_fma_f64 v[5:6], v[12:13], v[16:17], v[5:6]
	v_fma_f64 v[5:6], v[14:15], v[18:19], v[5:6]
	ds_read_b128 v[12:15], v10 offset:16
	ds_read2_b64 v[16:19], v8 offset0:32 offset1:48
	s_waitcnt lgkmcnt(0)
	v_fma_f64 v[5:6], v[16:17], v[12:13], v[5:6]
	v_fma_f64 v[5:6], v[18:19], v[14:15], v[5:6]
	ds_read2_b64 v[12:15], v8 offset0:64 offset1:80
	ds_read_b128 v[16:19], v10 offset:32
	s_waitcnt lgkmcnt(0)
	v_fma_f64 v[5:6], v[12:13], v[16:17], v[5:6]
	v_fma_f64 v[5:6], v[14:15], v[18:19], v[5:6]
	ds_read_b128 v[12:15], v10 offset:48
	ds_read2_b64 v[16:19], v8 offset0:96 offset1:112
	s_waitcnt lgkmcnt(0)
	v_fma_f64 v[5:6], v[16:17], v[12:13], v[5:6]
	v_fma_f64 v[5:6], v[18:19], v[14:15], v[5:6]
	ds_read2_b64 v[12:15], v8 offset0:128 offset1:144
	ds_read_b128 v[16:19], v10 offset:64
	;; [unrolled: 10-line block ×3, first 2 shown]
	s_waitcnt lgkmcnt(0)
	v_fma_f64 v[5:6], v[12:13], v[16:17], v[5:6]
	v_fma_f64 v[5:6], v[14:15], v[18:19], v[5:6]
	ds_read_b128 v[12:15], v10 offset:112
	ds_read2_b64 v[16:19], v8 offset0:224 offset1:240
	s_waitcnt lgkmcnt(0)
	s_barrier
	v_fma_f64 v[5:6], v[16:17], v[12:13], v[5:6]
	v_fma_f64 v[5:6], v[18:19], v[14:15], v[5:6]
	s_cbranch_scc1 .LBB587_2
; %bb.3:
	v_cmp_le_i32_e32 vcc, v2, v7
	s_and_saveexec_b64 s[0:1], vcc
	s_cbranch_execz .LBB587_5
.LBB587_4:
	s_load_dword s0, s[4:5], 0x50
	v_ashrrev_i32_e32 v3, 31, v2
	s_waitcnt lgkmcnt(0)
	v_mov_b32_e32 v4, s3
	v_lshlrev_b64 v[2:3], 3, v[2:3]
	v_mad_i64_i32 v[0:1], s[0:1], s0, v7, 0
	v_lshlrev_b64 v[0:1], 3, v[0:1]
	v_add_co_u32_e32 v0, vcc, s2, v0
	v_addc_co_u32_e32 v1, vcc, v4, v1, vcc
	v_add_co_u32_e32 v0, vcc, v0, v2
	v_addc_co_u32_e32 v1, vcc, v1, v3, vcc
	flat_load_dwordx2 v[2:3], v[0:1]
	s_waitcnt vmcnt(0) lgkmcnt(0)
	v_mul_f64 v[2:3], s[12:13], v[2:3]
	v_fma_f64 v[2:3], s[16:17], v[5:6], v[2:3]
	flat_store_dwordx2 v[0:1], v[2:3]
.LBB587_5:
	s_endpgm
.LBB587_6:
	v_mov_b32_e32 v5, 0
	v_mov_b32_e32 v6, 0
	v_cmp_le_i32_e32 vcc, v2, v7
	s_and_saveexec_b64 s[0:1], vcc
	s_cbranch_execnz .LBB587_4
	s_branch .LBB587_5
	.section	.rodata,"a",@progbits
	.p2align	6, 0x0
	.amdhsa_kernel _ZL41rocblas_syrkx_herkx_small_restrict_kernelIidLi16ELb0ELb0ELc67ELc85EKPKdKPdEviT_T0_PT6_S5_lS8_S5_lS6_PT7_S5_li
		.amdhsa_group_segment_fixed_size 4096
		.amdhsa_private_segment_fixed_size 0
		.amdhsa_kernarg_size 100
		.amdhsa_user_sgpr_count 6
		.amdhsa_user_sgpr_private_segment_buffer 1
		.amdhsa_user_sgpr_dispatch_ptr 0
		.amdhsa_user_sgpr_queue_ptr 0
		.amdhsa_user_sgpr_kernarg_segment_ptr 1
		.amdhsa_user_sgpr_dispatch_id 0
		.amdhsa_user_sgpr_flat_scratch_init 0
		.amdhsa_user_sgpr_private_segment_size 0
		.amdhsa_uses_dynamic_stack 0
		.amdhsa_system_sgpr_private_segment_wavefront_offset 0
		.amdhsa_system_sgpr_workgroup_id_x 1
		.amdhsa_system_sgpr_workgroup_id_y 1
		.amdhsa_system_sgpr_workgroup_id_z 1
		.amdhsa_system_sgpr_workgroup_info 0
		.amdhsa_system_vgpr_workitem_id 1
		.amdhsa_next_free_vgpr 20
		.amdhsa_next_free_sgpr 20
		.amdhsa_reserve_vcc 1
		.amdhsa_reserve_flat_scratch 0
		.amdhsa_float_round_mode_32 0
		.amdhsa_float_round_mode_16_64 0
		.amdhsa_float_denorm_mode_32 3
		.amdhsa_float_denorm_mode_16_64 3
		.amdhsa_dx10_clamp 1
		.amdhsa_ieee_mode 1
		.amdhsa_fp16_overflow 0
		.amdhsa_exception_fp_ieee_invalid_op 0
		.amdhsa_exception_fp_denorm_src 0
		.amdhsa_exception_fp_ieee_div_zero 0
		.amdhsa_exception_fp_ieee_overflow 0
		.amdhsa_exception_fp_ieee_underflow 0
		.amdhsa_exception_fp_ieee_inexact 0
		.amdhsa_exception_int_div_zero 0
	.end_amdhsa_kernel
	.section	.text._ZL41rocblas_syrkx_herkx_small_restrict_kernelIidLi16ELb0ELb0ELc67ELc85EKPKdKPdEviT_T0_PT6_S5_lS8_S5_lS6_PT7_S5_li,"axG",@progbits,_ZL41rocblas_syrkx_herkx_small_restrict_kernelIidLi16ELb0ELb0ELc67ELc85EKPKdKPdEviT_T0_PT6_S5_lS8_S5_lS6_PT7_S5_li,comdat
.Lfunc_end587:
	.size	_ZL41rocblas_syrkx_herkx_small_restrict_kernelIidLi16ELb0ELb0ELc67ELc85EKPKdKPdEviT_T0_PT6_S5_lS8_S5_lS6_PT7_S5_li, .Lfunc_end587-_ZL41rocblas_syrkx_herkx_small_restrict_kernelIidLi16ELb0ELb0ELc67ELc85EKPKdKPdEviT_T0_PT6_S5_lS8_S5_lS6_PT7_S5_li
                                        ; -- End function
	.set _ZL41rocblas_syrkx_herkx_small_restrict_kernelIidLi16ELb0ELb0ELc67ELc85EKPKdKPdEviT_T0_PT6_S5_lS8_S5_lS6_PT7_S5_li.num_vgpr, 20
	.set _ZL41rocblas_syrkx_herkx_small_restrict_kernelIidLi16ELb0ELb0ELc67ELc85EKPKdKPdEviT_T0_PT6_S5_lS8_S5_lS6_PT7_S5_li.num_agpr, 0
	.set _ZL41rocblas_syrkx_herkx_small_restrict_kernelIidLi16ELb0ELb0ELc67ELc85EKPKdKPdEviT_T0_PT6_S5_lS8_S5_lS6_PT7_S5_li.numbered_sgpr, 20
	.set _ZL41rocblas_syrkx_herkx_small_restrict_kernelIidLi16ELb0ELb0ELc67ELc85EKPKdKPdEviT_T0_PT6_S5_lS8_S5_lS6_PT7_S5_li.num_named_barrier, 0
	.set _ZL41rocblas_syrkx_herkx_small_restrict_kernelIidLi16ELb0ELb0ELc67ELc85EKPKdKPdEviT_T0_PT6_S5_lS8_S5_lS6_PT7_S5_li.private_seg_size, 0
	.set _ZL41rocblas_syrkx_herkx_small_restrict_kernelIidLi16ELb0ELb0ELc67ELc85EKPKdKPdEviT_T0_PT6_S5_lS8_S5_lS6_PT7_S5_li.uses_vcc, 1
	.set _ZL41rocblas_syrkx_herkx_small_restrict_kernelIidLi16ELb0ELb0ELc67ELc85EKPKdKPdEviT_T0_PT6_S5_lS8_S5_lS6_PT7_S5_li.uses_flat_scratch, 0
	.set _ZL41rocblas_syrkx_herkx_small_restrict_kernelIidLi16ELb0ELb0ELc67ELc85EKPKdKPdEviT_T0_PT6_S5_lS8_S5_lS6_PT7_S5_li.has_dyn_sized_stack, 0
	.set _ZL41rocblas_syrkx_herkx_small_restrict_kernelIidLi16ELb0ELb0ELc67ELc85EKPKdKPdEviT_T0_PT6_S5_lS8_S5_lS6_PT7_S5_li.has_recursion, 0
	.set _ZL41rocblas_syrkx_herkx_small_restrict_kernelIidLi16ELb0ELb0ELc67ELc85EKPKdKPdEviT_T0_PT6_S5_lS8_S5_lS6_PT7_S5_li.has_indirect_call, 0
	.section	.AMDGPU.csdata,"",@progbits
; Kernel info:
; codeLenInByte = 768
; TotalNumSgprs: 24
; NumVgprs: 20
; ScratchSize: 0
; MemoryBound: 0
; FloatMode: 240
; IeeeMode: 1
; LDSByteSize: 4096 bytes/workgroup (compile time only)
; SGPRBlocks: 2
; VGPRBlocks: 4
; NumSGPRsForWavesPerEU: 24
; NumVGPRsForWavesPerEU: 20
; Occupancy: 10
; WaveLimiterHint : 1
; COMPUTE_PGM_RSRC2:SCRATCH_EN: 0
; COMPUTE_PGM_RSRC2:USER_SGPR: 6
; COMPUTE_PGM_RSRC2:TRAP_HANDLER: 0
; COMPUTE_PGM_RSRC2:TGID_X_EN: 1
; COMPUTE_PGM_RSRC2:TGID_Y_EN: 1
; COMPUTE_PGM_RSRC2:TGID_Z_EN: 1
; COMPUTE_PGM_RSRC2:TIDIG_COMP_CNT: 1
	.section	.text._ZL41rocblas_syrkx_herkx_small_restrict_kernelIidLi16ELb0ELb0ELc78ELc85EKPKdKPdEviT_T0_PT6_S5_lS8_S5_lS6_PT7_S5_li,"axG",@progbits,_ZL41rocblas_syrkx_herkx_small_restrict_kernelIidLi16ELb0ELb0ELc78ELc85EKPKdKPdEviT_T0_PT6_S5_lS8_S5_lS6_PT7_S5_li,comdat
	.globl	_ZL41rocblas_syrkx_herkx_small_restrict_kernelIidLi16ELb0ELb0ELc78ELc85EKPKdKPdEviT_T0_PT6_S5_lS8_S5_lS6_PT7_S5_li ; -- Begin function _ZL41rocblas_syrkx_herkx_small_restrict_kernelIidLi16ELb0ELb0ELc78ELc85EKPKdKPdEviT_T0_PT6_S5_lS8_S5_lS6_PT7_S5_li
	.p2align	8
	.type	_ZL41rocblas_syrkx_herkx_small_restrict_kernelIidLi16ELb0ELb0ELc78ELc85EKPKdKPdEviT_T0_PT6_S5_lS8_S5_lS6_PT7_S5_li,@function
_ZL41rocblas_syrkx_herkx_small_restrict_kernelIidLi16ELb0ELb0ELc78ELc85EKPKdKPdEviT_T0_PT6_S5_lS8_S5_lS6_PT7_S5_li: ; @_ZL41rocblas_syrkx_herkx_small_restrict_kernelIidLi16ELb0ELb0ELc78ELc85EKPKdKPdEviT_T0_PT6_S5_lS8_S5_lS6_PT7_S5_li
; %bb.0:
	s_load_dwordx4 s[0:3], s[4:5], 0x40
	s_load_dword s16, s[4:5], 0x4
	s_load_dwordx4 s[12:15], s[4:5], 0x8
	s_mov_b32 s9, 0
	s_lshl_b64 s[10:11], s[8:9], 3
	s_waitcnt lgkmcnt(0)
	s_add_u32 s2, s2, s10
	s_addc_u32 s3, s3, s11
	s_load_dwordx2 s[2:3], s[2:3], 0x0
	v_lshl_add_u32 v2, s6, 4, v0
	v_lshl_add_u32 v4, s7, 4, v1
	s_cmp_lt_i32 s16, 1
	v_ashrrev_i32_e32 v3, 31, v2
	s_cbranch_scc1 .LBB588_6
; %bb.1:
	s_load_dword s18, s[4:5], 0x18
	s_load_dword s6, s[4:5], 0x30
	s_load_dwordx2 s[20:21], s[4:5], 0x28
	v_ashrrev_i32_e32 v5, 31, v4
	v_lshlrev_b64 v[12:13], 3, v[4:5]
	s_waitcnt lgkmcnt(0)
	s_ashr_i32 s19, s18, 31
	s_ashr_i32 s7, s6, 31
	s_add_u32 s20, s20, s10
	s_addc_u32 s21, s21, s11
	s_add_u32 s10, s14, s10
	s_addc_u32 s11, s15, s11
	v_mad_i64_i32 v[6:7], s[14:15], s6, v0, 0
	s_load_dwordx2 s[20:21], s[20:21], 0x0
	v_lshlrev_b32_e32 v9, 3, v0
	v_lshlrev_b64 v[6:7], 3, v[6:7]
	v_lshlrev_b32_e32 v8, 7, v1
	v_add_co_u32_e32 v0, vcc, v6, v12
	v_mad_i64_i32 v[5:6], s[14:15], s18, v1, 0
	v_addc_co_u32_e32 v7, vcc, v7, v13, vcc
	s_load_dwordx2 s[10:11], s[10:11], 0x0
	v_add_u32_e32 v10, v9, v8
	v_add_u32_e32 v11, 0x800, v8
	s_waitcnt lgkmcnt(0)
	v_mov_b32_e32 v8, s21
	v_add_co_u32_e32 v0, vcc, s20, v0
	v_addc_co_u32_e32 v1, vcc, v8, v7, vcc
	v_lshlrev_b64 v[5:6], 3, v[5:6]
	v_lshlrev_b64 v[7:8], 3, v[2:3]
	s_lshl_b64 s[6:7], s[6:7], 7
	v_add_co_u32_e32 v5, vcc, v5, v7
	v_addc_co_u32_e32 v6, vcc, v6, v8, vcc
	v_mov_b32_e32 v7, s11
	v_add_co_u32_e32 v5, vcc, s10, v5
	v_addc_co_u32_e32 v6, vcc, v7, v6, vcc
	s_lshl_b64 s[10:11], s[18:19], 7
	v_mov_b32_e32 v7, 0
	v_mov_b32_e32 v8, 0
	;; [unrolled: 1-line block ×4, first 2 shown]
.LBB588_2:                              ; =>This Inner Loop Header: Depth=1
	flat_load_dwordx2 v[14:15], v[5:6]
	v_add_u32_e32 v16, v11, v9
	v_add_co_u32_e32 v5, vcc, s10, v5
	v_addc_co_u32_e32 v6, vcc, v6, v13, vcc
	s_add_i32 s9, s9, 16
	s_cmp_lt_i32 s9, s16
	s_waitcnt vmcnt(0) lgkmcnt(0)
	ds_write_b64 v10, v[14:15]
	flat_load_dwordx2 v[14:15], v[0:1]
	v_add_co_u32_e32 v0, vcc, s6, v0
	v_addc_co_u32_e32 v1, vcc, v1, v12, vcc
	s_waitcnt vmcnt(0) lgkmcnt(0)
	ds_write_b64 v16, v[14:15]
	s_waitcnt lgkmcnt(0)
	s_barrier
	ds_read2_b64 v[14:17], v9 offset1:16
	ds_read_b128 v[18:21], v11
	ds_read_b128 v[22:25], v11 offset:16
	s_waitcnt lgkmcnt(1)
	v_fma_f64 v[7:8], v[14:15], v[18:19], v[7:8]
	v_fma_f64 v[7:8], v[16:17], v[20:21], v[7:8]
	ds_read2_b64 v[14:17], v9 offset0:32 offset1:48
	s_waitcnt lgkmcnt(0)
	v_fma_f64 v[7:8], v[14:15], v[22:23], v[7:8]
	v_fma_f64 v[7:8], v[16:17], v[24:25], v[7:8]
	ds_read2_b64 v[14:17], v9 offset0:64 offset1:80
	ds_read_b128 v[18:21], v11 offset:32
	ds_read_b128 v[22:25], v11 offset:48
	s_waitcnt lgkmcnt(1)
	v_fma_f64 v[7:8], v[14:15], v[18:19], v[7:8]
	v_fma_f64 v[7:8], v[16:17], v[20:21], v[7:8]
	ds_read2_b64 v[14:17], v9 offset0:96 offset1:112
	s_waitcnt lgkmcnt(0)
	v_fma_f64 v[7:8], v[14:15], v[22:23], v[7:8]
	v_fma_f64 v[7:8], v[16:17], v[24:25], v[7:8]
	ds_read2_b64 v[14:17], v9 offset0:128 offset1:144
	ds_read_b128 v[18:21], v11 offset:64
	;; [unrolled: 10-line block ×3, first 2 shown]
	ds_read_b128 v[22:25], v11 offset:112
	s_waitcnt lgkmcnt(1)
	v_fma_f64 v[7:8], v[14:15], v[18:19], v[7:8]
	v_fma_f64 v[7:8], v[16:17], v[20:21], v[7:8]
	ds_read2_b64 v[14:17], v9 offset0:224 offset1:240
	s_waitcnt lgkmcnt(0)
	s_barrier
	v_fma_f64 v[7:8], v[14:15], v[22:23], v[7:8]
	v_fma_f64 v[7:8], v[16:17], v[24:25], v[7:8]
	s_cbranch_scc1 .LBB588_2
; %bb.3:
	v_cmp_le_i32_e32 vcc, v2, v4
	s_and_saveexec_b64 s[6:7], vcc
	s_cbranch_execz .LBB588_5
.LBB588_4:
	s_load_dword s4, s[4:5], 0x50
	v_lshlrev_b64 v[2:3], 3, v[2:3]
	s_waitcnt lgkmcnt(0)
	v_mad_i64_i32 v[0:1], s[4:5], s4, v4, 0
	v_mov_b32_e32 v4, s3
	v_lshlrev_b64 v[0:1], 3, v[0:1]
	v_add_co_u32_e32 v0, vcc, s2, v0
	v_addc_co_u32_e32 v1, vcc, v4, v1, vcc
	v_add_co_u32_e32 v0, vcc, v0, v2
	v_addc_co_u32_e32 v1, vcc, v1, v3, vcc
	flat_load_dwordx2 v[2:3], v[0:1]
	s_waitcnt vmcnt(0) lgkmcnt(0)
	v_mul_f64 v[2:3], s[0:1], v[2:3]
	v_fma_f64 v[2:3], s[12:13], v[7:8], v[2:3]
	flat_store_dwordx2 v[0:1], v[2:3]
.LBB588_5:
	s_endpgm
.LBB588_6:
	v_mov_b32_e32 v7, 0
	v_mov_b32_e32 v8, 0
	v_cmp_le_i32_e32 vcc, v2, v4
	s_and_saveexec_b64 s[6:7], vcc
	s_cbranch_execnz .LBB588_4
	s_branch .LBB588_5
	.section	.rodata,"a",@progbits
	.p2align	6, 0x0
	.amdhsa_kernel _ZL41rocblas_syrkx_herkx_small_restrict_kernelIidLi16ELb0ELb0ELc78ELc85EKPKdKPdEviT_T0_PT6_S5_lS8_S5_lS6_PT7_S5_li
		.amdhsa_group_segment_fixed_size 4096
		.amdhsa_private_segment_fixed_size 0
		.amdhsa_kernarg_size 100
		.amdhsa_user_sgpr_count 6
		.amdhsa_user_sgpr_private_segment_buffer 1
		.amdhsa_user_sgpr_dispatch_ptr 0
		.amdhsa_user_sgpr_queue_ptr 0
		.amdhsa_user_sgpr_kernarg_segment_ptr 1
		.amdhsa_user_sgpr_dispatch_id 0
		.amdhsa_user_sgpr_flat_scratch_init 0
		.amdhsa_user_sgpr_private_segment_size 0
		.amdhsa_uses_dynamic_stack 0
		.amdhsa_system_sgpr_private_segment_wavefront_offset 0
		.amdhsa_system_sgpr_workgroup_id_x 1
		.amdhsa_system_sgpr_workgroup_id_y 1
		.amdhsa_system_sgpr_workgroup_id_z 1
		.amdhsa_system_sgpr_workgroup_info 0
		.amdhsa_system_vgpr_workitem_id 1
		.amdhsa_next_free_vgpr 26
		.amdhsa_next_free_sgpr 22
		.amdhsa_reserve_vcc 1
		.amdhsa_reserve_flat_scratch 0
		.amdhsa_float_round_mode_32 0
		.amdhsa_float_round_mode_16_64 0
		.amdhsa_float_denorm_mode_32 3
		.amdhsa_float_denorm_mode_16_64 3
		.amdhsa_dx10_clamp 1
		.amdhsa_ieee_mode 1
		.amdhsa_fp16_overflow 0
		.amdhsa_exception_fp_ieee_invalid_op 0
		.amdhsa_exception_fp_denorm_src 0
		.amdhsa_exception_fp_ieee_div_zero 0
		.amdhsa_exception_fp_ieee_overflow 0
		.amdhsa_exception_fp_ieee_underflow 0
		.amdhsa_exception_fp_ieee_inexact 0
		.amdhsa_exception_int_div_zero 0
	.end_amdhsa_kernel
	.section	.text._ZL41rocblas_syrkx_herkx_small_restrict_kernelIidLi16ELb0ELb0ELc78ELc85EKPKdKPdEviT_T0_PT6_S5_lS8_S5_lS6_PT7_S5_li,"axG",@progbits,_ZL41rocblas_syrkx_herkx_small_restrict_kernelIidLi16ELb0ELb0ELc78ELc85EKPKdKPdEviT_T0_PT6_S5_lS8_S5_lS6_PT7_S5_li,comdat
.Lfunc_end588:
	.size	_ZL41rocblas_syrkx_herkx_small_restrict_kernelIidLi16ELb0ELb0ELc78ELc85EKPKdKPdEviT_T0_PT6_S5_lS8_S5_lS6_PT7_S5_li, .Lfunc_end588-_ZL41rocblas_syrkx_herkx_small_restrict_kernelIidLi16ELb0ELb0ELc78ELc85EKPKdKPdEviT_T0_PT6_S5_lS8_S5_lS6_PT7_S5_li
                                        ; -- End function
	.set _ZL41rocblas_syrkx_herkx_small_restrict_kernelIidLi16ELb0ELb0ELc78ELc85EKPKdKPdEviT_T0_PT6_S5_lS8_S5_lS6_PT7_S5_li.num_vgpr, 26
	.set _ZL41rocblas_syrkx_herkx_small_restrict_kernelIidLi16ELb0ELb0ELc78ELc85EKPKdKPdEviT_T0_PT6_S5_lS8_S5_lS6_PT7_S5_li.num_agpr, 0
	.set _ZL41rocblas_syrkx_herkx_small_restrict_kernelIidLi16ELb0ELb0ELc78ELc85EKPKdKPdEviT_T0_PT6_S5_lS8_S5_lS6_PT7_S5_li.numbered_sgpr, 22
	.set _ZL41rocblas_syrkx_herkx_small_restrict_kernelIidLi16ELb0ELb0ELc78ELc85EKPKdKPdEviT_T0_PT6_S5_lS8_S5_lS6_PT7_S5_li.num_named_barrier, 0
	.set _ZL41rocblas_syrkx_herkx_small_restrict_kernelIidLi16ELb0ELb0ELc78ELc85EKPKdKPdEviT_T0_PT6_S5_lS8_S5_lS6_PT7_S5_li.private_seg_size, 0
	.set _ZL41rocblas_syrkx_herkx_small_restrict_kernelIidLi16ELb0ELb0ELc78ELc85EKPKdKPdEviT_T0_PT6_S5_lS8_S5_lS6_PT7_S5_li.uses_vcc, 1
	.set _ZL41rocblas_syrkx_herkx_small_restrict_kernelIidLi16ELb0ELb0ELc78ELc85EKPKdKPdEviT_T0_PT6_S5_lS8_S5_lS6_PT7_S5_li.uses_flat_scratch, 0
	.set _ZL41rocblas_syrkx_herkx_small_restrict_kernelIidLi16ELb0ELb0ELc78ELc85EKPKdKPdEviT_T0_PT6_S5_lS8_S5_lS6_PT7_S5_li.has_dyn_sized_stack, 0
	.set _ZL41rocblas_syrkx_herkx_small_restrict_kernelIidLi16ELb0ELb0ELc78ELc85EKPKdKPdEviT_T0_PT6_S5_lS8_S5_lS6_PT7_S5_li.has_recursion, 0
	.set _ZL41rocblas_syrkx_herkx_small_restrict_kernelIidLi16ELb0ELb0ELc78ELc85EKPKdKPdEviT_T0_PT6_S5_lS8_S5_lS6_PT7_S5_li.has_indirect_call, 0
	.section	.AMDGPU.csdata,"",@progbits
; Kernel info:
; codeLenInByte = 792
; TotalNumSgprs: 26
; NumVgprs: 26
; ScratchSize: 0
; MemoryBound: 0
; FloatMode: 240
; IeeeMode: 1
; LDSByteSize: 4096 bytes/workgroup (compile time only)
; SGPRBlocks: 3
; VGPRBlocks: 6
; NumSGPRsForWavesPerEU: 26
; NumVGPRsForWavesPerEU: 26
; Occupancy: 9
; WaveLimiterHint : 1
; COMPUTE_PGM_RSRC2:SCRATCH_EN: 0
; COMPUTE_PGM_RSRC2:USER_SGPR: 6
; COMPUTE_PGM_RSRC2:TRAP_HANDLER: 0
; COMPUTE_PGM_RSRC2:TGID_X_EN: 1
; COMPUTE_PGM_RSRC2:TGID_Y_EN: 1
; COMPUTE_PGM_RSRC2:TGID_Z_EN: 1
; COMPUTE_PGM_RSRC2:TIDIG_COMP_CNT: 1
	.section	.text._ZL32rocblas_syrkx_herkx_small_kernelIidLi16ELb1ELb0ELc84ELc76EKPKdKPdEviT_T0_PT6_S5_lS8_S5_lS6_PT7_S5_li,"axG",@progbits,_ZL32rocblas_syrkx_herkx_small_kernelIidLi16ELb1ELb0ELc84ELc76EKPKdKPdEviT_T0_PT6_S5_lS8_S5_lS6_PT7_S5_li,comdat
	.globl	_ZL32rocblas_syrkx_herkx_small_kernelIidLi16ELb1ELb0ELc84ELc76EKPKdKPdEviT_T0_PT6_S5_lS8_S5_lS6_PT7_S5_li ; -- Begin function _ZL32rocblas_syrkx_herkx_small_kernelIidLi16ELb1ELb0ELc84ELc76EKPKdKPdEviT_T0_PT6_S5_lS8_S5_lS6_PT7_S5_li
	.p2align	8
	.type	_ZL32rocblas_syrkx_herkx_small_kernelIidLi16ELb1ELb0ELc84ELc76EKPKdKPdEviT_T0_PT6_S5_lS8_S5_lS6_PT7_S5_li,@function
_ZL32rocblas_syrkx_herkx_small_kernelIidLi16ELb1ELb0ELc84ELc76EKPKdKPdEviT_T0_PT6_S5_lS8_S5_lS6_PT7_S5_li: ; @_ZL32rocblas_syrkx_herkx_small_kernelIidLi16ELb1ELb0ELc84ELc76EKPKdKPdEviT_T0_PT6_S5_lS8_S5_lS6_PT7_S5_li
; %bb.0:
	s_load_dwordx2 s[0:1], s[4:5], 0x48
	s_load_dwordx2 s[16:17], s[4:5], 0x0
	s_load_dwordx4 s[12:15], s[4:5], 0x8
	s_mov_b32 s9, 0
	s_lshl_b64 s[2:3], s[8:9], 3
	s_waitcnt lgkmcnt(0)
	s_add_u32 s0, s0, s2
	s_addc_u32 s1, s1, s3
	s_load_dwordx2 s[10:11], s[0:1], 0x0
	v_lshl_add_u32 v2, s6, 4, v0
	v_lshl_add_u32 v11, s7, 4, v1
	s_cmp_lt_i32 s17, 1
	v_cmp_gt_i32_e64 s[0:1], s16, v2
	s_cbranch_scc1 .LBB589_7
; %bb.1:
	s_load_dwordx2 s[6:7], s[4:5], 0x28
	s_load_dword s8, s[4:5], 0x18
	s_load_dword s18, s[4:5], 0x30
	v_lshlrev_b32_e32 v5, 7, v1
	v_lshlrev_b32_e32 v12, 3, v0
	s_waitcnt lgkmcnt(0)
	s_add_u32 s6, s6, s2
	s_addc_u32 s7, s7, s3
	s_add_u32 s2, s14, s2
	s_addc_u32 s3, s15, s3
	s_load_dwordx2 s[14:15], s[2:3], 0x0
	v_mad_i64_i32 v[3:4], s[2:3], s18, v11, 0
	s_load_dwordx2 s[6:7], s[6:7], 0x0
	v_add_u32_e32 v13, v12, v5
	v_add_u32_e32 v14, 0x800, v5
	v_lshlrev_b64 v[3:4], 3, v[3:4]
	v_mad_i64_i32 v[5:6], s[18:19], s8, v2, 0
	v_add_co_u32_e32 v3, vcc, v3, v12
	v_addc_co_u32_e32 v4, vcc, 0, v4, vcc
	s_waitcnt lgkmcnt(0)
	v_mov_b32_e32 v7, s7
	v_add_co_u32_e32 v3, vcc, s6, v3
	v_lshlrev_b64 v[5:6], 3, v[5:6]
	v_addc_co_u32_e32 v4, vcc, v7, v4, vcc
	v_lshlrev_b32_e32 v7, 3, v1
	v_add_co_u32_e32 v5, vcc, v5, v7
	v_addc_co_u32_e32 v6, vcc, 0, v6, vcc
	v_mov_b32_e32 v9, s15
	v_mov_b32_e32 v7, 0
	v_add_co_u32_e32 v5, vcc, s14, v5
	v_cmp_gt_i32_e64 s[2:3], s16, v11
	v_add_u32_e32 v15, v14, v12
	v_mov_b32_e32 v8, 0
	v_addc_co_u32_e32 v6, vcc, v9, v6, vcc
	s_branch .LBB589_3
.LBB589_2:                              ;   in Loop: Header=BB589_3 Depth=1
	s_or_b64 exec, exec, s[6:7]
	s_waitcnt vmcnt(0) lgkmcnt(0)
	ds_write_b64 v15, v[9:10]
	s_waitcnt lgkmcnt(0)
	s_barrier
	ds_read2_b64 v[16:19], v12 offset1:16
	ds_read_b128 v[20:23], v14
	v_add_co_u32_e32 v3, vcc, 0x80, v3
	v_addc_co_u32_e32 v4, vcc, 0, v4, vcc
	s_waitcnt lgkmcnt(0)
	v_fma_f64 v[7:8], v[16:17], v[20:21], v[7:8]
	s_add_i32 s9, s9, 16
	v_add_co_u32_e32 v5, vcc, 0x80, v5
	s_cmp_ge_i32 s9, s17
	v_addc_co_u32_e32 v6, vcc, 0, v6, vcc
	v_fma_f64 v[20:21], v[18:19], v[22:23], v[7:8]
	ds_read_b128 v[7:10], v14 offset:16
	ds_read2_b64 v[16:19], v12 offset0:32 offset1:48
	s_waitcnt lgkmcnt(0)
	v_fma_f64 v[7:8], v[16:17], v[7:8], v[20:21]
	v_fma_f64 v[20:21], v[18:19], v[9:10], v[7:8]
	ds_read2_b64 v[7:10], v12 offset0:64 offset1:80
	ds_read_b128 v[16:19], v14 offset:32
	s_waitcnt lgkmcnt(0)
	v_fma_f64 v[7:8], v[7:8], v[16:17], v[20:21]
	v_fma_f64 v[20:21], v[9:10], v[18:19], v[7:8]
	ds_read_b128 v[7:10], v14 offset:48
	ds_read2_b64 v[16:19], v12 offset0:96 offset1:112
	s_waitcnt lgkmcnt(0)
	v_fma_f64 v[7:8], v[16:17], v[7:8], v[20:21]
	v_fma_f64 v[20:21], v[18:19], v[9:10], v[7:8]
	ds_read2_b64 v[7:10], v12 offset0:128 offset1:144
	ds_read_b128 v[16:19], v14 offset:64
	s_waitcnt lgkmcnt(0)
	v_fma_f64 v[7:8], v[7:8], v[16:17], v[20:21]
	;; [unrolled: 10-line block ×3, first 2 shown]
	v_fma_f64 v[20:21], v[9:10], v[18:19], v[7:8]
	ds_read_b128 v[7:10], v14 offset:112
	ds_read2_b64 v[16:19], v12 offset0:224 offset1:240
	s_waitcnt lgkmcnt(0)
	s_barrier
	v_fma_f64 v[7:8], v[16:17], v[7:8], v[20:21]
	v_fma_f64 v[7:8], v[18:19], v[9:10], v[7:8]
	s_cbranch_scc1 .LBB589_8
.LBB589_3:                              ; =>This Inner Loop Header: Depth=1
	v_add_u32_e32 v9, s9, v1
	v_cmp_gt_i32_e32 vcc, s17, v9
	v_mov_b32_e32 v9, 0
	v_mov_b32_e32 v10, 0
	s_and_b64 s[14:15], s[0:1], vcc
	s_and_saveexec_b64 s[6:7], s[14:15]
	s_cbranch_execz .LBB589_5
; %bb.4:                                ;   in Loop: Header=BB589_3 Depth=1
	flat_load_dwordx2 v[9:10], v[5:6]
.LBB589_5:                              ;   in Loop: Header=BB589_3 Depth=1
	s_or_b64 exec, exec, s[6:7]
	s_waitcnt vmcnt(0) lgkmcnt(0)
	ds_write_b64 v13, v[9:10]
	v_add_u32_e32 v9, s9, v0
	v_cmp_gt_i32_e32 vcc, s17, v9
	v_mov_b32_e32 v9, 0
	v_mov_b32_e32 v10, 0
	s_and_b64 s[14:15], s[2:3], vcc
	s_and_saveexec_b64 s[6:7], s[14:15]
	s_cbranch_execz .LBB589_2
; %bb.6:                                ;   in Loop: Header=BB589_3 Depth=1
	flat_load_dwordx2 v[9:10], v[3:4]
	s_branch .LBB589_2
.LBB589_7:
	v_mov_b32_e32 v7, 0
	v_mov_b32_e32 v8, 0
.LBB589_8:
	v_cmp_le_i32_e32 vcc, v11, v2
	v_cmp_gt_i32_e64 s[0:1], s16, v2
	s_and_b64 s[0:1], vcc, s[0:1]
	s_and_saveexec_b64 s[2:3], s[0:1]
	s_cbranch_execz .LBB589_10
; %bb.9:
	s_load_dword s0, s[4:5], 0x50
	v_mul_f64 v[0:1], s[12:13], v[7:8]
	v_ashrrev_i32_e32 v3, 31, v2
	s_waitcnt lgkmcnt(0)
	v_mov_b32_e32 v6, s11
	v_lshlrev_b64 v[2:3], 3, v[2:3]
	v_mad_i64_i32 v[4:5], s[0:1], s0, v11, 0
	v_lshlrev_b64 v[4:5], 3, v[4:5]
	v_add_co_u32_e32 v4, vcc, s10, v4
	v_addc_co_u32_e32 v5, vcc, v6, v5, vcc
	v_add_co_u32_e32 v2, vcc, v4, v2
	v_addc_co_u32_e32 v3, vcc, v5, v3, vcc
	flat_store_dwordx2 v[2:3], v[0:1]
.LBB589_10:
	s_endpgm
	.section	.rodata,"a",@progbits
	.p2align	6, 0x0
	.amdhsa_kernel _ZL32rocblas_syrkx_herkx_small_kernelIidLi16ELb1ELb0ELc84ELc76EKPKdKPdEviT_T0_PT6_S5_lS8_S5_lS6_PT7_S5_li
		.amdhsa_group_segment_fixed_size 4096
		.amdhsa_private_segment_fixed_size 0
		.amdhsa_kernarg_size 100
		.amdhsa_user_sgpr_count 6
		.amdhsa_user_sgpr_private_segment_buffer 1
		.amdhsa_user_sgpr_dispatch_ptr 0
		.amdhsa_user_sgpr_queue_ptr 0
		.amdhsa_user_sgpr_kernarg_segment_ptr 1
		.amdhsa_user_sgpr_dispatch_id 0
		.amdhsa_user_sgpr_flat_scratch_init 0
		.amdhsa_user_sgpr_private_segment_size 0
		.amdhsa_uses_dynamic_stack 0
		.amdhsa_system_sgpr_private_segment_wavefront_offset 0
		.amdhsa_system_sgpr_workgroup_id_x 1
		.amdhsa_system_sgpr_workgroup_id_y 1
		.amdhsa_system_sgpr_workgroup_id_z 1
		.amdhsa_system_sgpr_workgroup_info 0
		.amdhsa_system_vgpr_workitem_id 1
		.amdhsa_next_free_vgpr 24
		.amdhsa_next_free_sgpr 20
		.amdhsa_reserve_vcc 1
		.amdhsa_reserve_flat_scratch 0
		.amdhsa_float_round_mode_32 0
		.amdhsa_float_round_mode_16_64 0
		.amdhsa_float_denorm_mode_32 3
		.amdhsa_float_denorm_mode_16_64 3
		.amdhsa_dx10_clamp 1
		.amdhsa_ieee_mode 1
		.amdhsa_fp16_overflow 0
		.amdhsa_exception_fp_ieee_invalid_op 0
		.amdhsa_exception_fp_denorm_src 0
		.amdhsa_exception_fp_ieee_div_zero 0
		.amdhsa_exception_fp_ieee_overflow 0
		.amdhsa_exception_fp_ieee_underflow 0
		.amdhsa_exception_fp_ieee_inexact 0
		.amdhsa_exception_int_div_zero 0
	.end_amdhsa_kernel
	.section	.text._ZL32rocblas_syrkx_herkx_small_kernelIidLi16ELb1ELb0ELc84ELc76EKPKdKPdEviT_T0_PT6_S5_lS8_S5_lS6_PT7_S5_li,"axG",@progbits,_ZL32rocblas_syrkx_herkx_small_kernelIidLi16ELb1ELb0ELc84ELc76EKPKdKPdEviT_T0_PT6_S5_lS8_S5_lS6_PT7_S5_li,comdat
.Lfunc_end589:
	.size	_ZL32rocblas_syrkx_herkx_small_kernelIidLi16ELb1ELb0ELc84ELc76EKPKdKPdEviT_T0_PT6_S5_lS8_S5_lS6_PT7_S5_li, .Lfunc_end589-_ZL32rocblas_syrkx_herkx_small_kernelIidLi16ELb1ELb0ELc84ELc76EKPKdKPdEviT_T0_PT6_S5_lS8_S5_lS6_PT7_S5_li
                                        ; -- End function
	.set _ZL32rocblas_syrkx_herkx_small_kernelIidLi16ELb1ELb0ELc84ELc76EKPKdKPdEviT_T0_PT6_S5_lS8_S5_lS6_PT7_S5_li.num_vgpr, 24
	.set _ZL32rocblas_syrkx_herkx_small_kernelIidLi16ELb1ELb0ELc84ELc76EKPKdKPdEviT_T0_PT6_S5_lS8_S5_lS6_PT7_S5_li.num_agpr, 0
	.set _ZL32rocblas_syrkx_herkx_small_kernelIidLi16ELb1ELb0ELc84ELc76EKPKdKPdEviT_T0_PT6_S5_lS8_S5_lS6_PT7_S5_li.numbered_sgpr, 20
	.set _ZL32rocblas_syrkx_herkx_small_kernelIidLi16ELb1ELb0ELc84ELc76EKPKdKPdEviT_T0_PT6_S5_lS8_S5_lS6_PT7_S5_li.num_named_barrier, 0
	.set _ZL32rocblas_syrkx_herkx_small_kernelIidLi16ELb1ELb0ELc84ELc76EKPKdKPdEviT_T0_PT6_S5_lS8_S5_lS6_PT7_S5_li.private_seg_size, 0
	.set _ZL32rocblas_syrkx_herkx_small_kernelIidLi16ELb1ELb0ELc84ELc76EKPKdKPdEviT_T0_PT6_S5_lS8_S5_lS6_PT7_S5_li.uses_vcc, 1
	.set _ZL32rocblas_syrkx_herkx_small_kernelIidLi16ELb1ELb0ELc84ELc76EKPKdKPdEviT_T0_PT6_S5_lS8_S5_lS6_PT7_S5_li.uses_flat_scratch, 0
	.set _ZL32rocblas_syrkx_herkx_small_kernelIidLi16ELb1ELb0ELc84ELc76EKPKdKPdEviT_T0_PT6_S5_lS8_S5_lS6_PT7_S5_li.has_dyn_sized_stack, 0
	.set _ZL32rocblas_syrkx_herkx_small_kernelIidLi16ELb1ELb0ELc84ELc76EKPKdKPdEviT_T0_PT6_S5_lS8_S5_lS6_PT7_S5_li.has_recursion, 0
	.set _ZL32rocblas_syrkx_herkx_small_kernelIidLi16ELb1ELb0ELc84ELc76EKPKdKPdEviT_T0_PT6_S5_lS8_S5_lS6_PT7_S5_li.has_indirect_call, 0
	.section	.AMDGPU.csdata,"",@progbits
; Kernel info:
; codeLenInByte = 824
; TotalNumSgprs: 24
; NumVgprs: 24
; ScratchSize: 0
; MemoryBound: 0
; FloatMode: 240
; IeeeMode: 1
; LDSByteSize: 4096 bytes/workgroup (compile time only)
; SGPRBlocks: 2
; VGPRBlocks: 5
; NumSGPRsForWavesPerEU: 24
; NumVGPRsForWavesPerEU: 24
; Occupancy: 10
; WaveLimiterHint : 1
; COMPUTE_PGM_RSRC2:SCRATCH_EN: 0
; COMPUTE_PGM_RSRC2:USER_SGPR: 6
; COMPUTE_PGM_RSRC2:TRAP_HANDLER: 0
; COMPUTE_PGM_RSRC2:TGID_X_EN: 1
; COMPUTE_PGM_RSRC2:TGID_Y_EN: 1
; COMPUTE_PGM_RSRC2:TGID_Z_EN: 1
; COMPUTE_PGM_RSRC2:TIDIG_COMP_CNT: 1
	.section	.text._ZL32rocblas_syrkx_herkx_small_kernelIidLi16ELb1ELb0ELc67ELc76EKPKdKPdEviT_T0_PT6_S5_lS8_S5_lS6_PT7_S5_li,"axG",@progbits,_ZL32rocblas_syrkx_herkx_small_kernelIidLi16ELb1ELb0ELc67ELc76EKPKdKPdEviT_T0_PT6_S5_lS8_S5_lS6_PT7_S5_li,comdat
	.globl	_ZL32rocblas_syrkx_herkx_small_kernelIidLi16ELb1ELb0ELc67ELc76EKPKdKPdEviT_T0_PT6_S5_lS8_S5_lS6_PT7_S5_li ; -- Begin function _ZL32rocblas_syrkx_herkx_small_kernelIidLi16ELb1ELb0ELc67ELc76EKPKdKPdEviT_T0_PT6_S5_lS8_S5_lS6_PT7_S5_li
	.p2align	8
	.type	_ZL32rocblas_syrkx_herkx_small_kernelIidLi16ELb1ELb0ELc67ELc76EKPKdKPdEviT_T0_PT6_S5_lS8_S5_lS6_PT7_S5_li,@function
_ZL32rocblas_syrkx_herkx_small_kernelIidLi16ELb1ELb0ELc67ELc76EKPKdKPdEviT_T0_PT6_S5_lS8_S5_lS6_PT7_S5_li: ; @_ZL32rocblas_syrkx_herkx_small_kernelIidLi16ELb1ELb0ELc67ELc76EKPKdKPdEviT_T0_PT6_S5_lS8_S5_lS6_PT7_S5_li
; %bb.0:
	s_load_dwordx2 s[0:1], s[4:5], 0x48
	s_load_dwordx2 s[16:17], s[4:5], 0x0
	s_load_dwordx4 s[12:15], s[4:5], 0x8
	s_mov_b32 s9, 0
	s_lshl_b64 s[2:3], s[8:9], 3
	s_waitcnt lgkmcnt(0)
	s_add_u32 s0, s0, s2
	s_addc_u32 s1, s1, s3
	s_load_dwordx2 s[10:11], s[0:1], 0x0
	v_lshl_add_u32 v2, s6, 4, v0
	v_lshl_add_u32 v11, s7, 4, v1
	s_cmp_lt_i32 s17, 1
	v_cmp_gt_i32_e64 s[0:1], s16, v2
	s_cbranch_scc1 .LBB590_7
; %bb.1:
	s_load_dwordx2 s[6:7], s[4:5], 0x28
	s_load_dword s8, s[4:5], 0x18
	s_load_dword s18, s[4:5], 0x30
	v_lshlrev_b32_e32 v5, 7, v1
	v_lshlrev_b32_e32 v12, 3, v0
	s_waitcnt lgkmcnt(0)
	s_add_u32 s6, s6, s2
	s_addc_u32 s7, s7, s3
	s_add_u32 s2, s14, s2
	s_addc_u32 s3, s15, s3
	s_load_dwordx2 s[14:15], s[2:3], 0x0
	v_mad_i64_i32 v[3:4], s[2:3], s18, v11, 0
	s_load_dwordx2 s[6:7], s[6:7], 0x0
	v_add_u32_e32 v13, v12, v5
	v_add_u32_e32 v14, 0x800, v5
	v_lshlrev_b64 v[3:4], 3, v[3:4]
	v_mad_i64_i32 v[5:6], s[18:19], s8, v2, 0
	v_add_co_u32_e32 v3, vcc, v3, v12
	v_addc_co_u32_e32 v4, vcc, 0, v4, vcc
	s_waitcnt lgkmcnt(0)
	v_mov_b32_e32 v7, s7
	v_add_co_u32_e32 v3, vcc, s6, v3
	v_lshlrev_b64 v[5:6], 3, v[5:6]
	v_addc_co_u32_e32 v4, vcc, v7, v4, vcc
	v_lshlrev_b32_e32 v7, 3, v1
	v_add_co_u32_e32 v5, vcc, v5, v7
	v_addc_co_u32_e32 v6, vcc, 0, v6, vcc
	v_mov_b32_e32 v9, s15
	v_mov_b32_e32 v7, 0
	v_add_co_u32_e32 v5, vcc, s14, v5
	v_cmp_gt_i32_e64 s[2:3], s16, v11
	v_add_u32_e32 v15, v14, v12
	v_mov_b32_e32 v8, 0
	v_addc_co_u32_e32 v6, vcc, v9, v6, vcc
	s_branch .LBB590_3
.LBB590_2:                              ;   in Loop: Header=BB590_3 Depth=1
	s_or_b64 exec, exec, s[6:7]
	s_waitcnt vmcnt(0) lgkmcnt(0)
	ds_write_b64 v15, v[9:10]
	s_waitcnt lgkmcnt(0)
	s_barrier
	ds_read2_b64 v[16:19], v12 offset1:16
	ds_read_b128 v[20:23], v14
	v_add_co_u32_e32 v3, vcc, 0x80, v3
	v_addc_co_u32_e32 v4, vcc, 0, v4, vcc
	s_waitcnt lgkmcnt(0)
	v_fma_f64 v[7:8], v[16:17], v[20:21], v[7:8]
	s_add_i32 s9, s9, 16
	v_add_co_u32_e32 v5, vcc, 0x80, v5
	s_cmp_ge_i32 s9, s17
	v_addc_co_u32_e32 v6, vcc, 0, v6, vcc
	v_fma_f64 v[20:21], v[18:19], v[22:23], v[7:8]
	ds_read_b128 v[7:10], v14 offset:16
	ds_read2_b64 v[16:19], v12 offset0:32 offset1:48
	s_waitcnt lgkmcnt(0)
	v_fma_f64 v[7:8], v[16:17], v[7:8], v[20:21]
	v_fma_f64 v[20:21], v[18:19], v[9:10], v[7:8]
	ds_read2_b64 v[7:10], v12 offset0:64 offset1:80
	ds_read_b128 v[16:19], v14 offset:32
	s_waitcnt lgkmcnt(0)
	v_fma_f64 v[7:8], v[7:8], v[16:17], v[20:21]
	v_fma_f64 v[20:21], v[9:10], v[18:19], v[7:8]
	ds_read_b128 v[7:10], v14 offset:48
	ds_read2_b64 v[16:19], v12 offset0:96 offset1:112
	s_waitcnt lgkmcnt(0)
	v_fma_f64 v[7:8], v[16:17], v[7:8], v[20:21]
	v_fma_f64 v[20:21], v[18:19], v[9:10], v[7:8]
	ds_read2_b64 v[7:10], v12 offset0:128 offset1:144
	ds_read_b128 v[16:19], v14 offset:64
	s_waitcnt lgkmcnt(0)
	v_fma_f64 v[7:8], v[7:8], v[16:17], v[20:21]
	;; [unrolled: 10-line block ×3, first 2 shown]
	v_fma_f64 v[20:21], v[9:10], v[18:19], v[7:8]
	ds_read_b128 v[7:10], v14 offset:112
	ds_read2_b64 v[16:19], v12 offset0:224 offset1:240
	s_waitcnt lgkmcnt(0)
	s_barrier
	v_fma_f64 v[7:8], v[16:17], v[7:8], v[20:21]
	v_fma_f64 v[7:8], v[18:19], v[9:10], v[7:8]
	s_cbranch_scc1 .LBB590_8
.LBB590_3:                              ; =>This Inner Loop Header: Depth=1
	v_add_u32_e32 v9, s9, v1
	v_cmp_gt_i32_e32 vcc, s17, v9
	v_mov_b32_e32 v9, 0
	v_mov_b32_e32 v10, 0
	s_and_b64 s[14:15], s[0:1], vcc
	s_and_saveexec_b64 s[6:7], s[14:15]
	s_cbranch_execz .LBB590_5
; %bb.4:                                ;   in Loop: Header=BB590_3 Depth=1
	flat_load_dwordx2 v[9:10], v[5:6]
.LBB590_5:                              ;   in Loop: Header=BB590_3 Depth=1
	s_or_b64 exec, exec, s[6:7]
	s_waitcnt vmcnt(0) lgkmcnt(0)
	ds_write_b64 v13, v[9:10]
	v_add_u32_e32 v9, s9, v0
	v_cmp_gt_i32_e32 vcc, s17, v9
	v_mov_b32_e32 v9, 0
	v_mov_b32_e32 v10, 0
	s_and_b64 s[14:15], s[2:3], vcc
	s_and_saveexec_b64 s[6:7], s[14:15]
	s_cbranch_execz .LBB590_2
; %bb.6:                                ;   in Loop: Header=BB590_3 Depth=1
	flat_load_dwordx2 v[9:10], v[3:4]
	s_branch .LBB590_2
.LBB590_7:
	v_mov_b32_e32 v7, 0
	v_mov_b32_e32 v8, 0
.LBB590_8:
	v_cmp_le_i32_e32 vcc, v11, v2
	v_cmp_gt_i32_e64 s[0:1], s16, v2
	s_and_b64 s[0:1], vcc, s[0:1]
	s_and_saveexec_b64 s[2:3], s[0:1]
	s_cbranch_execz .LBB590_10
; %bb.9:
	s_load_dword s0, s[4:5], 0x50
	v_mul_f64 v[0:1], s[12:13], v[7:8]
	v_ashrrev_i32_e32 v3, 31, v2
	s_waitcnt lgkmcnt(0)
	v_mov_b32_e32 v6, s11
	v_lshlrev_b64 v[2:3], 3, v[2:3]
	v_mad_i64_i32 v[4:5], s[0:1], s0, v11, 0
	v_lshlrev_b64 v[4:5], 3, v[4:5]
	v_add_co_u32_e32 v4, vcc, s10, v4
	v_addc_co_u32_e32 v5, vcc, v6, v5, vcc
	v_add_co_u32_e32 v2, vcc, v4, v2
	v_addc_co_u32_e32 v3, vcc, v5, v3, vcc
	flat_store_dwordx2 v[2:3], v[0:1]
.LBB590_10:
	s_endpgm
	.section	.rodata,"a",@progbits
	.p2align	6, 0x0
	.amdhsa_kernel _ZL32rocblas_syrkx_herkx_small_kernelIidLi16ELb1ELb0ELc67ELc76EKPKdKPdEviT_T0_PT6_S5_lS8_S5_lS6_PT7_S5_li
		.amdhsa_group_segment_fixed_size 4096
		.amdhsa_private_segment_fixed_size 0
		.amdhsa_kernarg_size 100
		.amdhsa_user_sgpr_count 6
		.amdhsa_user_sgpr_private_segment_buffer 1
		.amdhsa_user_sgpr_dispatch_ptr 0
		.amdhsa_user_sgpr_queue_ptr 0
		.amdhsa_user_sgpr_kernarg_segment_ptr 1
		.amdhsa_user_sgpr_dispatch_id 0
		.amdhsa_user_sgpr_flat_scratch_init 0
		.amdhsa_user_sgpr_private_segment_size 0
		.amdhsa_uses_dynamic_stack 0
		.amdhsa_system_sgpr_private_segment_wavefront_offset 0
		.amdhsa_system_sgpr_workgroup_id_x 1
		.amdhsa_system_sgpr_workgroup_id_y 1
		.amdhsa_system_sgpr_workgroup_id_z 1
		.amdhsa_system_sgpr_workgroup_info 0
		.amdhsa_system_vgpr_workitem_id 1
		.amdhsa_next_free_vgpr 24
		.amdhsa_next_free_sgpr 20
		.amdhsa_reserve_vcc 1
		.amdhsa_reserve_flat_scratch 0
		.amdhsa_float_round_mode_32 0
		.amdhsa_float_round_mode_16_64 0
		.amdhsa_float_denorm_mode_32 3
		.amdhsa_float_denorm_mode_16_64 3
		.amdhsa_dx10_clamp 1
		.amdhsa_ieee_mode 1
		.amdhsa_fp16_overflow 0
		.amdhsa_exception_fp_ieee_invalid_op 0
		.amdhsa_exception_fp_denorm_src 0
		.amdhsa_exception_fp_ieee_div_zero 0
		.amdhsa_exception_fp_ieee_overflow 0
		.amdhsa_exception_fp_ieee_underflow 0
		.amdhsa_exception_fp_ieee_inexact 0
		.amdhsa_exception_int_div_zero 0
	.end_amdhsa_kernel
	.section	.text._ZL32rocblas_syrkx_herkx_small_kernelIidLi16ELb1ELb0ELc67ELc76EKPKdKPdEviT_T0_PT6_S5_lS8_S5_lS6_PT7_S5_li,"axG",@progbits,_ZL32rocblas_syrkx_herkx_small_kernelIidLi16ELb1ELb0ELc67ELc76EKPKdKPdEviT_T0_PT6_S5_lS8_S5_lS6_PT7_S5_li,comdat
.Lfunc_end590:
	.size	_ZL32rocblas_syrkx_herkx_small_kernelIidLi16ELb1ELb0ELc67ELc76EKPKdKPdEviT_T0_PT6_S5_lS8_S5_lS6_PT7_S5_li, .Lfunc_end590-_ZL32rocblas_syrkx_herkx_small_kernelIidLi16ELb1ELb0ELc67ELc76EKPKdKPdEviT_T0_PT6_S5_lS8_S5_lS6_PT7_S5_li
                                        ; -- End function
	.set _ZL32rocblas_syrkx_herkx_small_kernelIidLi16ELb1ELb0ELc67ELc76EKPKdKPdEviT_T0_PT6_S5_lS8_S5_lS6_PT7_S5_li.num_vgpr, 24
	.set _ZL32rocblas_syrkx_herkx_small_kernelIidLi16ELb1ELb0ELc67ELc76EKPKdKPdEviT_T0_PT6_S5_lS8_S5_lS6_PT7_S5_li.num_agpr, 0
	.set _ZL32rocblas_syrkx_herkx_small_kernelIidLi16ELb1ELb0ELc67ELc76EKPKdKPdEviT_T0_PT6_S5_lS8_S5_lS6_PT7_S5_li.numbered_sgpr, 20
	.set _ZL32rocblas_syrkx_herkx_small_kernelIidLi16ELb1ELb0ELc67ELc76EKPKdKPdEviT_T0_PT6_S5_lS8_S5_lS6_PT7_S5_li.num_named_barrier, 0
	.set _ZL32rocblas_syrkx_herkx_small_kernelIidLi16ELb1ELb0ELc67ELc76EKPKdKPdEviT_T0_PT6_S5_lS8_S5_lS6_PT7_S5_li.private_seg_size, 0
	.set _ZL32rocblas_syrkx_herkx_small_kernelIidLi16ELb1ELb0ELc67ELc76EKPKdKPdEviT_T0_PT6_S5_lS8_S5_lS6_PT7_S5_li.uses_vcc, 1
	.set _ZL32rocblas_syrkx_herkx_small_kernelIidLi16ELb1ELb0ELc67ELc76EKPKdKPdEviT_T0_PT6_S5_lS8_S5_lS6_PT7_S5_li.uses_flat_scratch, 0
	.set _ZL32rocblas_syrkx_herkx_small_kernelIidLi16ELb1ELb0ELc67ELc76EKPKdKPdEviT_T0_PT6_S5_lS8_S5_lS6_PT7_S5_li.has_dyn_sized_stack, 0
	.set _ZL32rocblas_syrkx_herkx_small_kernelIidLi16ELb1ELb0ELc67ELc76EKPKdKPdEviT_T0_PT6_S5_lS8_S5_lS6_PT7_S5_li.has_recursion, 0
	.set _ZL32rocblas_syrkx_herkx_small_kernelIidLi16ELb1ELb0ELc67ELc76EKPKdKPdEviT_T0_PT6_S5_lS8_S5_lS6_PT7_S5_li.has_indirect_call, 0
	.section	.AMDGPU.csdata,"",@progbits
; Kernel info:
; codeLenInByte = 824
; TotalNumSgprs: 24
; NumVgprs: 24
; ScratchSize: 0
; MemoryBound: 0
; FloatMode: 240
; IeeeMode: 1
; LDSByteSize: 4096 bytes/workgroup (compile time only)
; SGPRBlocks: 2
; VGPRBlocks: 5
; NumSGPRsForWavesPerEU: 24
; NumVGPRsForWavesPerEU: 24
; Occupancy: 10
; WaveLimiterHint : 1
; COMPUTE_PGM_RSRC2:SCRATCH_EN: 0
; COMPUTE_PGM_RSRC2:USER_SGPR: 6
; COMPUTE_PGM_RSRC2:TRAP_HANDLER: 0
; COMPUTE_PGM_RSRC2:TGID_X_EN: 1
; COMPUTE_PGM_RSRC2:TGID_Y_EN: 1
; COMPUTE_PGM_RSRC2:TGID_Z_EN: 1
; COMPUTE_PGM_RSRC2:TIDIG_COMP_CNT: 1
	.section	.text._ZL32rocblas_syrkx_herkx_small_kernelIidLi16ELb1ELb0ELc78ELc76EKPKdKPdEviT_T0_PT6_S5_lS8_S5_lS6_PT7_S5_li,"axG",@progbits,_ZL32rocblas_syrkx_herkx_small_kernelIidLi16ELb1ELb0ELc78ELc76EKPKdKPdEviT_T0_PT6_S5_lS8_S5_lS6_PT7_S5_li,comdat
	.globl	_ZL32rocblas_syrkx_herkx_small_kernelIidLi16ELb1ELb0ELc78ELc76EKPKdKPdEviT_T0_PT6_S5_lS8_S5_lS6_PT7_S5_li ; -- Begin function _ZL32rocblas_syrkx_herkx_small_kernelIidLi16ELb1ELb0ELc78ELc76EKPKdKPdEviT_T0_PT6_S5_lS8_S5_lS6_PT7_S5_li
	.p2align	8
	.type	_ZL32rocblas_syrkx_herkx_small_kernelIidLi16ELb1ELb0ELc78ELc76EKPKdKPdEviT_T0_PT6_S5_lS8_S5_lS6_PT7_S5_li,@function
_ZL32rocblas_syrkx_herkx_small_kernelIidLi16ELb1ELb0ELc78ELc76EKPKdKPdEviT_T0_PT6_S5_lS8_S5_lS6_PT7_S5_li: ; @_ZL32rocblas_syrkx_herkx_small_kernelIidLi16ELb1ELb0ELc78ELc76EKPKdKPdEviT_T0_PT6_S5_lS8_S5_lS6_PT7_S5_li
; %bb.0:
	s_load_dwordx2 s[2:3], s[4:5], 0x48
	s_load_dwordx2 s[16:17], s[4:5], 0x0
	s_load_dwordx4 s[12:15], s[4:5], 0x8
	s_mov_b32 s9, 0
	s_lshl_b64 s[0:1], s[8:9], 3
	s_waitcnt lgkmcnt(0)
	s_add_u32 s2, s2, s0
	s_addc_u32 s3, s3, s1
	s_load_dwordx2 s[10:11], s[2:3], 0x0
	v_lshl_add_u32 v2, s6, 4, v0
	v_lshl_add_u32 v4, s7, 4, v1
	s_cmp_lt_i32 s17, 1
	v_cmp_gt_i32_e32 vcc, s16, v2
	v_ashrrev_i32_e32 v3, 31, v2
	s_cbranch_scc1 .LBB591_7
; %bb.1:
	s_load_dword s18, s[4:5], 0x18
	s_load_dword s6, s[4:5], 0x30
	s_load_dwordx2 s[2:3], s[4:5], 0x28
	v_lshlrev_b32_e32 v5, 7, v1
	v_lshlrev_b32_e32 v13, 3, v0
	s_waitcnt lgkmcnt(0)
	s_ashr_i32 s19, s18, 31
	s_ashr_i32 s7, s6, 31
	s_add_u32 s2, s2, s0
	s_addc_u32 s3, s3, s1
	s_load_dwordx2 s[20:21], s[2:3], 0x0
	v_mad_i64_i32 v[6:7], s[2:3], s6, v0, 0
	v_add_u32_e32 v14, v13, v5
	v_add_u32_e32 v15, 0x800, v5
	v_ashrrev_i32_e32 v5, 31, v4
	v_lshlrev_b64 v[6:7], 3, v[6:7]
	v_lshlrev_b64 v[8:9], 3, v[4:5]
	s_add_u32 s0, s14, s0
	v_add_co_u32_e64 v5, s[2:3], v6, v8
	v_addc_co_u32_e64 v6, s[2:3], v7, v9, s[2:3]
	v_mad_i64_i32 v[7:8], s[2:3], s18, v1, 0
	s_addc_u32 s1, s15, s1
	s_load_dwordx2 s[14:15], s[0:1], 0x0
	s_waitcnt lgkmcnt(0)
	v_mov_b32_e32 v9, s21
	v_add_co_u32_e64 v5, s[2:3], s20, v5
	v_addc_co_u32_e64 v6, s[2:3], v9, v6, s[2:3]
	v_lshlrev_b64 v[7:8], 3, v[7:8]
	v_lshlrev_b64 v[9:10], 3, v[2:3]
	s_lshl_b64 s[6:7], s[6:7], 7
	v_add_co_u32_e64 v7, s[2:3], v7, v9
	v_addc_co_u32_e64 v8, s[2:3], v8, v10, s[2:3]
	v_mov_b32_e32 v9, s15
	v_add_co_u32_e64 v7, s[2:3], s14, v7
	v_addc_co_u32_e64 v8, s[2:3], v9, v8, s[2:3]
	s_lshl_b64 s[14:15], s[18:19], 7
	v_mov_b32_e32 v9, 0
	v_cmp_gt_i32_e64 s[0:1], s16, v4
	v_add_u32_e32 v16, v15, v13
	v_mov_b32_e32 v10, 0
	v_mov_b32_e32 v17, s7
	;; [unrolled: 1-line block ×3, first 2 shown]
	s_branch .LBB591_3
.LBB591_2:                              ;   in Loop: Header=BB591_3 Depth=1
	s_or_b64 exec, exec, s[2:3]
	s_waitcnt vmcnt(0) lgkmcnt(0)
	ds_write_b64 v16, v[11:12]
	s_waitcnt lgkmcnt(0)
	s_barrier
	ds_read2_b64 v[19:22], v13 offset1:16
	ds_read_b128 v[23:26], v15
	ds_read_b128 v[27:30], v15 offset:16
	v_add_co_u32_e64 v5, s[2:3], s6, v5
	v_addc_co_u32_e64 v6, s[2:3], v6, v17, s[2:3]
	s_waitcnt lgkmcnt(1)
	v_fma_f64 v[9:10], v[19:20], v[23:24], v[9:10]
	s_add_i32 s9, s9, 16
	v_add_co_u32_e64 v7, s[2:3], s14, v7
	s_cmp_ge_i32 s9, s17
	v_addc_co_u32_e64 v8, s[2:3], v8, v18, s[2:3]
	v_fma_f64 v[19:20], v[21:22], v[25:26], v[9:10]
	ds_read2_b64 v[9:12], v13 offset0:32 offset1:48
	s_waitcnt lgkmcnt(0)
	v_fma_f64 v[9:10], v[9:10], v[27:28], v[19:20]
	v_fma_f64 v[27:28], v[11:12], v[29:30], v[9:10]
	ds_read2_b64 v[9:12], v13 offset0:64 offset1:80
	ds_read_b128 v[19:22], v15 offset:32
	ds_read_b128 v[23:26], v15 offset:48
	s_waitcnt lgkmcnt(1)
	v_fma_f64 v[9:10], v[9:10], v[19:20], v[27:28]
	v_fma_f64 v[19:20], v[11:12], v[21:22], v[9:10]
	ds_read2_b64 v[9:12], v13 offset0:96 offset1:112
	s_waitcnt lgkmcnt(0)
	v_fma_f64 v[9:10], v[9:10], v[23:24], v[19:20]
	v_fma_f64 v[27:28], v[11:12], v[25:26], v[9:10]
	ds_read2_b64 v[9:12], v13 offset0:128 offset1:144
	ds_read_b128 v[19:22], v15 offset:64
	ds_read_b128 v[23:26], v15 offset:80
	s_waitcnt lgkmcnt(1)
	v_fma_f64 v[9:10], v[9:10], v[19:20], v[27:28]
	;; [unrolled: 10-line block ×3, first 2 shown]
	v_fma_f64 v[19:20], v[11:12], v[21:22], v[9:10]
	ds_read2_b64 v[9:12], v13 offset0:224 offset1:240
	s_waitcnt lgkmcnt(0)
	s_barrier
	v_fma_f64 v[9:10], v[9:10], v[23:24], v[19:20]
	v_fma_f64 v[9:10], v[11:12], v[25:26], v[9:10]
	s_cbranch_scc1 .LBB591_8
.LBB591_3:                              ; =>This Inner Loop Header: Depth=1
	v_add_u32_e32 v11, s9, v1
	v_cmp_gt_i32_e64 s[2:3], s17, v11
	v_mov_b32_e32 v11, 0
	v_mov_b32_e32 v12, 0
	s_and_b64 s[18:19], vcc, s[2:3]
	s_and_saveexec_b64 s[2:3], s[18:19]
	s_cbranch_execz .LBB591_5
; %bb.4:                                ;   in Loop: Header=BB591_3 Depth=1
	flat_load_dwordx2 v[11:12], v[7:8]
.LBB591_5:                              ;   in Loop: Header=BB591_3 Depth=1
	s_or_b64 exec, exec, s[2:3]
	s_waitcnt vmcnt(0) lgkmcnt(0)
	ds_write_b64 v14, v[11:12]
	v_add_u32_e32 v11, s9, v0
	v_cmp_gt_i32_e64 s[2:3], s17, v11
	v_mov_b32_e32 v11, 0
	v_mov_b32_e32 v12, 0
	s_and_b64 s[18:19], s[0:1], s[2:3]
	s_and_saveexec_b64 s[2:3], s[18:19]
	s_cbranch_execz .LBB591_2
; %bb.6:                                ;   in Loop: Header=BB591_3 Depth=1
	flat_load_dwordx2 v[11:12], v[5:6]
	s_branch .LBB591_2
.LBB591_7:
	v_mov_b32_e32 v9, 0
	v_mov_b32_e32 v10, 0
.LBB591_8:
	v_cmp_le_i32_e32 vcc, v4, v2
	v_cmp_gt_i32_e64 s[0:1], s16, v2
	s_and_b64 s[0:1], vcc, s[0:1]
	s_and_saveexec_b64 s[2:3], s[0:1]
	s_cbranch_execz .LBB591_10
; %bb.9:
	s_load_dword s0, s[4:5], 0x50
	s_waitcnt lgkmcnt(0)
	v_mov_b32_e32 v6, s11
	v_lshlrev_b64 v[2:3], 3, v[2:3]
	v_mad_i64_i32 v[0:1], s[0:1], s0, v4, 0
	v_mul_f64 v[4:5], s[12:13], v[9:10]
	v_lshlrev_b64 v[0:1], 3, v[0:1]
	v_add_co_u32_e32 v0, vcc, s10, v0
	v_addc_co_u32_e32 v1, vcc, v6, v1, vcc
	v_add_co_u32_e32 v0, vcc, v0, v2
	v_addc_co_u32_e32 v1, vcc, v1, v3, vcc
	flat_store_dwordx2 v[0:1], v[4:5]
.LBB591_10:
	s_endpgm
	.section	.rodata,"a",@progbits
	.p2align	6, 0x0
	.amdhsa_kernel _ZL32rocblas_syrkx_herkx_small_kernelIidLi16ELb1ELb0ELc78ELc76EKPKdKPdEviT_T0_PT6_S5_lS8_S5_lS6_PT7_S5_li
		.amdhsa_group_segment_fixed_size 4096
		.amdhsa_private_segment_fixed_size 0
		.amdhsa_kernarg_size 100
		.amdhsa_user_sgpr_count 6
		.amdhsa_user_sgpr_private_segment_buffer 1
		.amdhsa_user_sgpr_dispatch_ptr 0
		.amdhsa_user_sgpr_queue_ptr 0
		.amdhsa_user_sgpr_kernarg_segment_ptr 1
		.amdhsa_user_sgpr_dispatch_id 0
		.amdhsa_user_sgpr_flat_scratch_init 0
		.amdhsa_user_sgpr_private_segment_size 0
		.amdhsa_uses_dynamic_stack 0
		.amdhsa_system_sgpr_private_segment_wavefront_offset 0
		.amdhsa_system_sgpr_workgroup_id_x 1
		.amdhsa_system_sgpr_workgroup_id_y 1
		.amdhsa_system_sgpr_workgroup_id_z 1
		.amdhsa_system_sgpr_workgroup_info 0
		.amdhsa_system_vgpr_workitem_id 1
		.amdhsa_next_free_vgpr 31
		.amdhsa_next_free_sgpr 22
		.amdhsa_reserve_vcc 1
		.amdhsa_reserve_flat_scratch 0
		.amdhsa_float_round_mode_32 0
		.amdhsa_float_round_mode_16_64 0
		.amdhsa_float_denorm_mode_32 3
		.amdhsa_float_denorm_mode_16_64 3
		.amdhsa_dx10_clamp 1
		.amdhsa_ieee_mode 1
		.amdhsa_fp16_overflow 0
		.amdhsa_exception_fp_ieee_invalid_op 0
		.amdhsa_exception_fp_denorm_src 0
		.amdhsa_exception_fp_ieee_div_zero 0
		.amdhsa_exception_fp_ieee_overflow 0
		.amdhsa_exception_fp_ieee_underflow 0
		.amdhsa_exception_fp_ieee_inexact 0
		.amdhsa_exception_int_div_zero 0
	.end_amdhsa_kernel
	.section	.text._ZL32rocblas_syrkx_herkx_small_kernelIidLi16ELb1ELb0ELc78ELc76EKPKdKPdEviT_T0_PT6_S5_lS8_S5_lS6_PT7_S5_li,"axG",@progbits,_ZL32rocblas_syrkx_herkx_small_kernelIidLi16ELb1ELb0ELc78ELc76EKPKdKPdEviT_T0_PT6_S5_lS8_S5_lS6_PT7_S5_li,comdat
.Lfunc_end591:
	.size	_ZL32rocblas_syrkx_herkx_small_kernelIidLi16ELb1ELb0ELc78ELc76EKPKdKPdEviT_T0_PT6_S5_lS8_S5_lS6_PT7_S5_li, .Lfunc_end591-_ZL32rocblas_syrkx_herkx_small_kernelIidLi16ELb1ELb0ELc78ELc76EKPKdKPdEviT_T0_PT6_S5_lS8_S5_lS6_PT7_S5_li
                                        ; -- End function
	.set _ZL32rocblas_syrkx_herkx_small_kernelIidLi16ELb1ELb0ELc78ELc76EKPKdKPdEviT_T0_PT6_S5_lS8_S5_lS6_PT7_S5_li.num_vgpr, 31
	.set _ZL32rocblas_syrkx_herkx_small_kernelIidLi16ELb1ELb0ELc78ELc76EKPKdKPdEviT_T0_PT6_S5_lS8_S5_lS6_PT7_S5_li.num_agpr, 0
	.set _ZL32rocblas_syrkx_herkx_small_kernelIidLi16ELb1ELb0ELc78ELc76EKPKdKPdEviT_T0_PT6_S5_lS8_S5_lS6_PT7_S5_li.numbered_sgpr, 22
	.set _ZL32rocblas_syrkx_herkx_small_kernelIidLi16ELb1ELb0ELc78ELc76EKPKdKPdEviT_T0_PT6_S5_lS8_S5_lS6_PT7_S5_li.num_named_barrier, 0
	.set _ZL32rocblas_syrkx_herkx_small_kernelIidLi16ELb1ELb0ELc78ELc76EKPKdKPdEviT_T0_PT6_S5_lS8_S5_lS6_PT7_S5_li.private_seg_size, 0
	.set _ZL32rocblas_syrkx_herkx_small_kernelIidLi16ELb1ELb0ELc78ELc76EKPKdKPdEviT_T0_PT6_S5_lS8_S5_lS6_PT7_S5_li.uses_vcc, 1
	.set _ZL32rocblas_syrkx_herkx_small_kernelIidLi16ELb1ELb0ELc78ELc76EKPKdKPdEviT_T0_PT6_S5_lS8_S5_lS6_PT7_S5_li.uses_flat_scratch, 0
	.set _ZL32rocblas_syrkx_herkx_small_kernelIidLi16ELb1ELb0ELc78ELc76EKPKdKPdEviT_T0_PT6_S5_lS8_S5_lS6_PT7_S5_li.has_dyn_sized_stack, 0
	.set _ZL32rocblas_syrkx_herkx_small_kernelIidLi16ELb1ELb0ELc78ELc76EKPKdKPdEviT_T0_PT6_S5_lS8_S5_lS6_PT7_S5_li.has_recursion, 0
	.set _ZL32rocblas_syrkx_herkx_small_kernelIidLi16ELb1ELb0ELc78ELc76EKPKdKPdEviT_T0_PT6_S5_lS8_S5_lS6_PT7_S5_li.has_indirect_call, 0
	.section	.AMDGPU.csdata,"",@progbits
; Kernel info:
; codeLenInByte = 908
; TotalNumSgprs: 26
; NumVgprs: 31
; ScratchSize: 0
; MemoryBound: 0
; FloatMode: 240
; IeeeMode: 1
; LDSByteSize: 4096 bytes/workgroup (compile time only)
; SGPRBlocks: 3
; VGPRBlocks: 7
; NumSGPRsForWavesPerEU: 26
; NumVGPRsForWavesPerEU: 31
; Occupancy: 8
; WaveLimiterHint : 1
; COMPUTE_PGM_RSRC2:SCRATCH_EN: 0
; COMPUTE_PGM_RSRC2:USER_SGPR: 6
; COMPUTE_PGM_RSRC2:TRAP_HANDLER: 0
; COMPUTE_PGM_RSRC2:TGID_X_EN: 1
; COMPUTE_PGM_RSRC2:TGID_Y_EN: 1
; COMPUTE_PGM_RSRC2:TGID_Z_EN: 1
; COMPUTE_PGM_RSRC2:TIDIG_COMP_CNT: 1
	.section	.text._ZL32rocblas_syrkx_herkx_small_kernelIidLi16ELb1ELb0ELc84ELc85EKPKdKPdEviT_T0_PT6_S5_lS8_S5_lS6_PT7_S5_li,"axG",@progbits,_ZL32rocblas_syrkx_herkx_small_kernelIidLi16ELb1ELb0ELc84ELc85EKPKdKPdEviT_T0_PT6_S5_lS8_S5_lS6_PT7_S5_li,comdat
	.globl	_ZL32rocblas_syrkx_herkx_small_kernelIidLi16ELb1ELb0ELc84ELc85EKPKdKPdEviT_T0_PT6_S5_lS8_S5_lS6_PT7_S5_li ; -- Begin function _ZL32rocblas_syrkx_herkx_small_kernelIidLi16ELb1ELb0ELc84ELc85EKPKdKPdEviT_T0_PT6_S5_lS8_S5_lS6_PT7_S5_li
	.p2align	8
	.type	_ZL32rocblas_syrkx_herkx_small_kernelIidLi16ELb1ELb0ELc84ELc85EKPKdKPdEviT_T0_PT6_S5_lS8_S5_lS6_PT7_S5_li,@function
_ZL32rocblas_syrkx_herkx_small_kernelIidLi16ELb1ELb0ELc84ELc85EKPKdKPdEviT_T0_PT6_S5_lS8_S5_lS6_PT7_S5_li: ; @_ZL32rocblas_syrkx_herkx_small_kernelIidLi16ELb1ELb0ELc84ELc85EKPKdKPdEviT_T0_PT6_S5_lS8_S5_lS6_PT7_S5_li
; %bb.0:
	s_load_dwordx2 s[0:1], s[4:5], 0x48
	s_load_dwordx2 s[16:17], s[4:5], 0x0
	s_load_dwordx4 s[12:15], s[4:5], 0x8
	s_mov_b32 s9, 0
	s_lshl_b64 s[18:19], s[8:9], 3
	s_waitcnt lgkmcnt(0)
	s_add_u32 s0, s0, s18
	s_addc_u32 s1, s1, s19
	s_load_dwordx2 s[10:11], s[0:1], 0x0
	v_lshl_add_u32 v11, s7, 4, v1
	v_lshl_add_u32 v2, s6, 4, v0
	s_cmp_lt_i32 s17, 1
	v_cmp_gt_i32_e64 s[0:1], s16, v11
	s_cbranch_scc1 .LBB592_7
; %bb.1:
	s_load_dwordx2 s[6:7], s[4:5], 0x28
	s_load_dword s8, s[4:5], 0x18
	s_load_dword s20, s[4:5], 0x30
	v_lshlrev_b32_e32 v5, 7, v1
	v_lshlrev_b32_e32 v12, 3, v0
	s_waitcnt lgkmcnt(0)
	s_add_u32 s6, s6, s18
	s_addc_u32 s7, s7, s19
	s_add_u32 s14, s14, s18
	s_addc_u32 s15, s15, s19
	v_mad_i64_i32 v[3:4], s[18:19], s20, v11, 0
	s_load_dwordx2 s[6:7], s[6:7], 0x0
	v_add_u32_e32 v13, v12, v5
	v_add_u32_e32 v14, 0x800, v5
	v_lshlrev_b64 v[3:4], 3, v[3:4]
	v_mad_i64_i32 v[5:6], s[18:19], s8, v2, 0
	v_add_co_u32_e32 v3, vcc, v3, v12
	s_load_dwordx2 s[14:15], s[14:15], 0x0
	v_addc_co_u32_e32 v4, vcc, 0, v4, vcc
	s_waitcnt lgkmcnt(0)
	v_mov_b32_e32 v7, s7
	v_add_co_u32_e32 v3, vcc, s6, v3
	v_lshlrev_b64 v[5:6], 3, v[5:6]
	v_addc_co_u32_e32 v4, vcc, v7, v4, vcc
	v_lshlrev_b32_e32 v7, 3, v1
	v_add_co_u32_e32 v5, vcc, v5, v7
	v_addc_co_u32_e32 v6, vcc, 0, v6, vcc
	v_mov_b32_e32 v9, s15
	v_mov_b32_e32 v7, 0
	v_add_co_u32_e32 v5, vcc, s14, v5
	v_cmp_gt_i32_e64 s[2:3], s16, v2
	v_add_u32_e32 v15, v14, v12
	v_mov_b32_e32 v8, 0
	v_addc_co_u32_e32 v6, vcc, v9, v6, vcc
	s_branch .LBB592_3
.LBB592_2:                              ;   in Loop: Header=BB592_3 Depth=1
	s_or_b64 exec, exec, s[6:7]
	s_waitcnt vmcnt(0) lgkmcnt(0)
	ds_write_b64 v15, v[9:10]
	s_waitcnt lgkmcnt(0)
	s_barrier
	ds_read2_b64 v[16:19], v12 offset1:16
	ds_read_b128 v[20:23], v14
	v_add_co_u32_e32 v3, vcc, 0x80, v3
	v_addc_co_u32_e32 v4, vcc, 0, v4, vcc
	s_waitcnt lgkmcnt(0)
	v_fma_f64 v[7:8], v[16:17], v[20:21], v[7:8]
	s_add_i32 s9, s9, 16
	v_add_co_u32_e32 v5, vcc, 0x80, v5
	s_cmp_ge_i32 s9, s17
	v_addc_co_u32_e32 v6, vcc, 0, v6, vcc
	v_fma_f64 v[20:21], v[18:19], v[22:23], v[7:8]
	ds_read_b128 v[7:10], v14 offset:16
	ds_read2_b64 v[16:19], v12 offset0:32 offset1:48
	s_waitcnt lgkmcnt(0)
	v_fma_f64 v[7:8], v[16:17], v[7:8], v[20:21]
	v_fma_f64 v[20:21], v[18:19], v[9:10], v[7:8]
	ds_read2_b64 v[7:10], v12 offset0:64 offset1:80
	ds_read_b128 v[16:19], v14 offset:32
	s_waitcnt lgkmcnt(0)
	v_fma_f64 v[7:8], v[7:8], v[16:17], v[20:21]
	v_fma_f64 v[20:21], v[9:10], v[18:19], v[7:8]
	ds_read_b128 v[7:10], v14 offset:48
	ds_read2_b64 v[16:19], v12 offset0:96 offset1:112
	s_waitcnt lgkmcnt(0)
	v_fma_f64 v[7:8], v[16:17], v[7:8], v[20:21]
	v_fma_f64 v[20:21], v[18:19], v[9:10], v[7:8]
	ds_read2_b64 v[7:10], v12 offset0:128 offset1:144
	ds_read_b128 v[16:19], v14 offset:64
	s_waitcnt lgkmcnt(0)
	v_fma_f64 v[7:8], v[7:8], v[16:17], v[20:21]
	;; [unrolled: 10-line block ×3, first 2 shown]
	v_fma_f64 v[20:21], v[9:10], v[18:19], v[7:8]
	ds_read_b128 v[7:10], v14 offset:112
	ds_read2_b64 v[16:19], v12 offset0:224 offset1:240
	s_waitcnt lgkmcnt(0)
	s_barrier
	v_fma_f64 v[7:8], v[16:17], v[7:8], v[20:21]
	v_fma_f64 v[7:8], v[18:19], v[9:10], v[7:8]
	s_cbranch_scc1 .LBB592_8
.LBB592_3:                              ; =>This Inner Loop Header: Depth=1
	v_add_u32_e32 v9, s9, v1
	v_cmp_gt_i32_e32 vcc, s17, v9
	v_mov_b32_e32 v9, 0
	v_mov_b32_e32 v10, 0
	s_and_b64 s[14:15], s[2:3], vcc
	s_and_saveexec_b64 s[6:7], s[14:15]
	s_cbranch_execz .LBB592_5
; %bb.4:                                ;   in Loop: Header=BB592_3 Depth=1
	flat_load_dwordx2 v[9:10], v[5:6]
.LBB592_5:                              ;   in Loop: Header=BB592_3 Depth=1
	s_or_b64 exec, exec, s[6:7]
	s_waitcnt vmcnt(0) lgkmcnt(0)
	ds_write_b64 v13, v[9:10]
	v_add_u32_e32 v9, s9, v0
	v_cmp_gt_i32_e32 vcc, s17, v9
	v_mov_b32_e32 v9, 0
	v_mov_b32_e32 v10, 0
	s_and_b64 s[14:15], s[0:1], vcc
	s_and_saveexec_b64 s[6:7], s[14:15]
	s_cbranch_execz .LBB592_2
; %bb.6:                                ;   in Loop: Header=BB592_3 Depth=1
	flat_load_dwordx2 v[9:10], v[3:4]
	s_branch .LBB592_2
.LBB592_7:
	v_mov_b32_e32 v7, 0
	v_mov_b32_e32 v8, 0
.LBB592_8:
	v_cmp_le_i32_e32 vcc, v2, v11
	v_cmp_gt_i32_e64 s[0:1], s16, v11
	s_and_b64 s[0:1], vcc, s[0:1]
	s_and_saveexec_b64 s[2:3], s[0:1]
	s_cbranch_execz .LBB592_10
; %bb.9:
	s_load_dword s0, s[4:5], 0x50
	v_mul_f64 v[0:1], s[12:13], v[7:8]
	v_ashrrev_i32_e32 v3, 31, v2
	s_waitcnt lgkmcnt(0)
	v_mov_b32_e32 v6, s11
	v_lshlrev_b64 v[2:3], 3, v[2:3]
	v_mad_i64_i32 v[4:5], s[0:1], s0, v11, 0
	v_lshlrev_b64 v[4:5], 3, v[4:5]
	v_add_co_u32_e32 v4, vcc, s10, v4
	v_addc_co_u32_e32 v5, vcc, v6, v5, vcc
	v_add_co_u32_e32 v2, vcc, v4, v2
	v_addc_co_u32_e32 v3, vcc, v5, v3, vcc
	flat_store_dwordx2 v[2:3], v[0:1]
.LBB592_10:
	s_endpgm
	.section	.rodata,"a",@progbits
	.p2align	6, 0x0
	.amdhsa_kernel _ZL32rocblas_syrkx_herkx_small_kernelIidLi16ELb1ELb0ELc84ELc85EKPKdKPdEviT_T0_PT6_S5_lS8_S5_lS6_PT7_S5_li
		.amdhsa_group_segment_fixed_size 4096
		.amdhsa_private_segment_fixed_size 0
		.amdhsa_kernarg_size 100
		.amdhsa_user_sgpr_count 6
		.amdhsa_user_sgpr_private_segment_buffer 1
		.amdhsa_user_sgpr_dispatch_ptr 0
		.amdhsa_user_sgpr_queue_ptr 0
		.amdhsa_user_sgpr_kernarg_segment_ptr 1
		.amdhsa_user_sgpr_dispatch_id 0
		.amdhsa_user_sgpr_flat_scratch_init 0
		.amdhsa_user_sgpr_private_segment_size 0
		.amdhsa_uses_dynamic_stack 0
		.amdhsa_system_sgpr_private_segment_wavefront_offset 0
		.amdhsa_system_sgpr_workgroup_id_x 1
		.amdhsa_system_sgpr_workgroup_id_y 1
		.amdhsa_system_sgpr_workgroup_id_z 1
		.amdhsa_system_sgpr_workgroup_info 0
		.amdhsa_system_vgpr_workitem_id 1
		.amdhsa_next_free_vgpr 24
		.amdhsa_next_free_sgpr 21
		.amdhsa_reserve_vcc 1
		.amdhsa_reserve_flat_scratch 0
		.amdhsa_float_round_mode_32 0
		.amdhsa_float_round_mode_16_64 0
		.amdhsa_float_denorm_mode_32 3
		.amdhsa_float_denorm_mode_16_64 3
		.amdhsa_dx10_clamp 1
		.amdhsa_ieee_mode 1
		.amdhsa_fp16_overflow 0
		.amdhsa_exception_fp_ieee_invalid_op 0
		.amdhsa_exception_fp_denorm_src 0
		.amdhsa_exception_fp_ieee_div_zero 0
		.amdhsa_exception_fp_ieee_overflow 0
		.amdhsa_exception_fp_ieee_underflow 0
		.amdhsa_exception_fp_ieee_inexact 0
		.amdhsa_exception_int_div_zero 0
	.end_amdhsa_kernel
	.section	.text._ZL32rocblas_syrkx_herkx_small_kernelIidLi16ELb1ELb0ELc84ELc85EKPKdKPdEviT_T0_PT6_S5_lS8_S5_lS6_PT7_S5_li,"axG",@progbits,_ZL32rocblas_syrkx_herkx_small_kernelIidLi16ELb1ELb0ELc84ELc85EKPKdKPdEviT_T0_PT6_S5_lS8_S5_lS6_PT7_S5_li,comdat
.Lfunc_end592:
	.size	_ZL32rocblas_syrkx_herkx_small_kernelIidLi16ELb1ELb0ELc84ELc85EKPKdKPdEviT_T0_PT6_S5_lS8_S5_lS6_PT7_S5_li, .Lfunc_end592-_ZL32rocblas_syrkx_herkx_small_kernelIidLi16ELb1ELb0ELc84ELc85EKPKdKPdEviT_T0_PT6_S5_lS8_S5_lS6_PT7_S5_li
                                        ; -- End function
	.set _ZL32rocblas_syrkx_herkx_small_kernelIidLi16ELb1ELb0ELc84ELc85EKPKdKPdEviT_T0_PT6_S5_lS8_S5_lS6_PT7_S5_li.num_vgpr, 24
	.set _ZL32rocblas_syrkx_herkx_small_kernelIidLi16ELb1ELb0ELc84ELc85EKPKdKPdEviT_T0_PT6_S5_lS8_S5_lS6_PT7_S5_li.num_agpr, 0
	.set _ZL32rocblas_syrkx_herkx_small_kernelIidLi16ELb1ELb0ELc84ELc85EKPKdKPdEviT_T0_PT6_S5_lS8_S5_lS6_PT7_S5_li.numbered_sgpr, 21
	.set _ZL32rocblas_syrkx_herkx_small_kernelIidLi16ELb1ELb0ELc84ELc85EKPKdKPdEviT_T0_PT6_S5_lS8_S5_lS6_PT7_S5_li.num_named_barrier, 0
	.set _ZL32rocblas_syrkx_herkx_small_kernelIidLi16ELb1ELb0ELc84ELc85EKPKdKPdEviT_T0_PT6_S5_lS8_S5_lS6_PT7_S5_li.private_seg_size, 0
	.set _ZL32rocblas_syrkx_herkx_small_kernelIidLi16ELb1ELb0ELc84ELc85EKPKdKPdEviT_T0_PT6_S5_lS8_S5_lS6_PT7_S5_li.uses_vcc, 1
	.set _ZL32rocblas_syrkx_herkx_small_kernelIidLi16ELb1ELb0ELc84ELc85EKPKdKPdEviT_T0_PT6_S5_lS8_S5_lS6_PT7_S5_li.uses_flat_scratch, 0
	.set _ZL32rocblas_syrkx_herkx_small_kernelIidLi16ELb1ELb0ELc84ELc85EKPKdKPdEviT_T0_PT6_S5_lS8_S5_lS6_PT7_S5_li.has_dyn_sized_stack, 0
	.set _ZL32rocblas_syrkx_herkx_small_kernelIidLi16ELb1ELb0ELc84ELc85EKPKdKPdEviT_T0_PT6_S5_lS8_S5_lS6_PT7_S5_li.has_recursion, 0
	.set _ZL32rocblas_syrkx_herkx_small_kernelIidLi16ELb1ELb0ELc84ELc85EKPKdKPdEviT_T0_PT6_S5_lS8_S5_lS6_PT7_S5_li.has_indirect_call, 0
	.section	.AMDGPU.csdata,"",@progbits
; Kernel info:
; codeLenInByte = 824
; TotalNumSgprs: 25
; NumVgprs: 24
; ScratchSize: 0
; MemoryBound: 0
; FloatMode: 240
; IeeeMode: 1
; LDSByteSize: 4096 bytes/workgroup (compile time only)
; SGPRBlocks: 3
; VGPRBlocks: 5
; NumSGPRsForWavesPerEU: 25
; NumVGPRsForWavesPerEU: 24
; Occupancy: 10
; WaveLimiterHint : 1
; COMPUTE_PGM_RSRC2:SCRATCH_EN: 0
; COMPUTE_PGM_RSRC2:USER_SGPR: 6
; COMPUTE_PGM_RSRC2:TRAP_HANDLER: 0
; COMPUTE_PGM_RSRC2:TGID_X_EN: 1
; COMPUTE_PGM_RSRC2:TGID_Y_EN: 1
; COMPUTE_PGM_RSRC2:TGID_Z_EN: 1
; COMPUTE_PGM_RSRC2:TIDIG_COMP_CNT: 1
	.section	.text._ZL32rocblas_syrkx_herkx_small_kernelIidLi16ELb1ELb0ELc67ELc85EKPKdKPdEviT_T0_PT6_S5_lS8_S5_lS6_PT7_S5_li,"axG",@progbits,_ZL32rocblas_syrkx_herkx_small_kernelIidLi16ELb1ELb0ELc67ELc85EKPKdKPdEviT_T0_PT6_S5_lS8_S5_lS6_PT7_S5_li,comdat
	.globl	_ZL32rocblas_syrkx_herkx_small_kernelIidLi16ELb1ELb0ELc67ELc85EKPKdKPdEviT_T0_PT6_S5_lS8_S5_lS6_PT7_S5_li ; -- Begin function _ZL32rocblas_syrkx_herkx_small_kernelIidLi16ELb1ELb0ELc67ELc85EKPKdKPdEviT_T0_PT6_S5_lS8_S5_lS6_PT7_S5_li
	.p2align	8
	.type	_ZL32rocblas_syrkx_herkx_small_kernelIidLi16ELb1ELb0ELc67ELc85EKPKdKPdEviT_T0_PT6_S5_lS8_S5_lS6_PT7_S5_li,@function
_ZL32rocblas_syrkx_herkx_small_kernelIidLi16ELb1ELb0ELc67ELc85EKPKdKPdEviT_T0_PT6_S5_lS8_S5_lS6_PT7_S5_li: ; @_ZL32rocblas_syrkx_herkx_small_kernelIidLi16ELb1ELb0ELc67ELc85EKPKdKPdEviT_T0_PT6_S5_lS8_S5_lS6_PT7_S5_li
; %bb.0:
	s_load_dwordx2 s[0:1], s[4:5], 0x48
	s_load_dwordx2 s[16:17], s[4:5], 0x0
	s_load_dwordx4 s[12:15], s[4:5], 0x8
	s_mov_b32 s9, 0
	s_lshl_b64 s[18:19], s[8:9], 3
	s_waitcnt lgkmcnt(0)
	s_add_u32 s0, s0, s18
	s_addc_u32 s1, s1, s19
	s_load_dwordx2 s[10:11], s[0:1], 0x0
	v_lshl_add_u32 v11, s7, 4, v1
	v_lshl_add_u32 v2, s6, 4, v0
	s_cmp_lt_i32 s17, 1
	v_cmp_gt_i32_e64 s[0:1], s16, v11
	s_cbranch_scc1 .LBB593_7
; %bb.1:
	s_load_dwordx2 s[6:7], s[4:5], 0x28
	s_load_dword s8, s[4:5], 0x18
	s_load_dword s20, s[4:5], 0x30
	v_lshlrev_b32_e32 v5, 7, v1
	v_lshlrev_b32_e32 v12, 3, v0
	s_waitcnt lgkmcnt(0)
	s_add_u32 s6, s6, s18
	s_addc_u32 s7, s7, s19
	s_add_u32 s14, s14, s18
	s_addc_u32 s15, s15, s19
	v_mad_i64_i32 v[3:4], s[18:19], s20, v11, 0
	s_load_dwordx2 s[6:7], s[6:7], 0x0
	v_add_u32_e32 v13, v12, v5
	v_add_u32_e32 v14, 0x800, v5
	v_lshlrev_b64 v[3:4], 3, v[3:4]
	v_mad_i64_i32 v[5:6], s[18:19], s8, v2, 0
	v_add_co_u32_e32 v3, vcc, v3, v12
	s_load_dwordx2 s[14:15], s[14:15], 0x0
	v_addc_co_u32_e32 v4, vcc, 0, v4, vcc
	s_waitcnt lgkmcnt(0)
	v_mov_b32_e32 v7, s7
	v_add_co_u32_e32 v3, vcc, s6, v3
	v_lshlrev_b64 v[5:6], 3, v[5:6]
	v_addc_co_u32_e32 v4, vcc, v7, v4, vcc
	v_lshlrev_b32_e32 v7, 3, v1
	v_add_co_u32_e32 v5, vcc, v5, v7
	v_addc_co_u32_e32 v6, vcc, 0, v6, vcc
	v_mov_b32_e32 v9, s15
	v_mov_b32_e32 v7, 0
	v_add_co_u32_e32 v5, vcc, s14, v5
	v_cmp_gt_i32_e64 s[2:3], s16, v2
	v_add_u32_e32 v15, v14, v12
	v_mov_b32_e32 v8, 0
	v_addc_co_u32_e32 v6, vcc, v9, v6, vcc
	s_branch .LBB593_3
.LBB593_2:                              ;   in Loop: Header=BB593_3 Depth=1
	s_or_b64 exec, exec, s[6:7]
	s_waitcnt vmcnt(0) lgkmcnt(0)
	ds_write_b64 v15, v[9:10]
	s_waitcnt lgkmcnt(0)
	s_barrier
	ds_read2_b64 v[16:19], v12 offset1:16
	ds_read_b128 v[20:23], v14
	v_add_co_u32_e32 v3, vcc, 0x80, v3
	v_addc_co_u32_e32 v4, vcc, 0, v4, vcc
	s_waitcnt lgkmcnt(0)
	v_fma_f64 v[7:8], v[16:17], v[20:21], v[7:8]
	s_add_i32 s9, s9, 16
	v_add_co_u32_e32 v5, vcc, 0x80, v5
	s_cmp_ge_i32 s9, s17
	v_addc_co_u32_e32 v6, vcc, 0, v6, vcc
	v_fma_f64 v[20:21], v[18:19], v[22:23], v[7:8]
	ds_read_b128 v[7:10], v14 offset:16
	ds_read2_b64 v[16:19], v12 offset0:32 offset1:48
	s_waitcnt lgkmcnt(0)
	v_fma_f64 v[7:8], v[16:17], v[7:8], v[20:21]
	v_fma_f64 v[20:21], v[18:19], v[9:10], v[7:8]
	ds_read2_b64 v[7:10], v12 offset0:64 offset1:80
	ds_read_b128 v[16:19], v14 offset:32
	s_waitcnt lgkmcnt(0)
	v_fma_f64 v[7:8], v[7:8], v[16:17], v[20:21]
	v_fma_f64 v[20:21], v[9:10], v[18:19], v[7:8]
	ds_read_b128 v[7:10], v14 offset:48
	ds_read2_b64 v[16:19], v12 offset0:96 offset1:112
	s_waitcnt lgkmcnt(0)
	v_fma_f64 v[7:8], v[16:17], v[7:8], v[20:21]
	v_fma_f64 v[20:21], v[18:19], v[9:10], v[7:8]
	ds_read2_b64 v[7:10], v12 offset0:128 offset1:144
	ds_read_b128 v[16:19], v14 offset:64
	s_waitcnt lgkmcnt(0)
	v_fma_f64 v[7:8], v[7:8], v[16:17], v[20:21]
	;; [unrolled: 10-line block ×3, first 2 shown]
	v_fma_f64 v[20:21], v[9:10], v[18:19], v[7:8]
	ds_read_b128 v[7:10], v14 offset:112
	ds_read2_b64 v[16:19], v12 offset0:224 offset1:240
	s_waitcnt lgkmcnt(0)
	s_barrier
	v_fma_f64 v[7:8], v[16:17], v[7:8], v[20:21]
	v_fma_f64 v[7:8], v[18:19], v[9:10], v[7:8]
	s_cbranch_scc1 .LBB593_8
.LBB593_3:                              ; =>This Inner Loop Header: Depth=1
	v_add_u32_e32 v9, s9, v1
	v_cmp_gt_i32_e32 vcc, s17, v9
	v_mov_b32_e32 v9, 0
	v_mov_b32_e32 v10, 0
	s_and_b64 s[14:15], s[2:3], vcc
	s_and_saveexec_b64 s[6:7], s[14:15]
	s_cbranch_execz .LBB593_5
; %bb.4:                                ;   in Loop: Header=BB593_3 Depth=1
	flat_load_dwordx2 v[9:10], v[5:6]
.LBB593_5:                              ;   in Loop: Header=BB593_3 Depth=1
	s_or_b64 exec, exec, s[6:7]
	s_waitcnt vmcnt(0) lgkmcnt(0)
	ds_write_b64 v13, v[9:10]
	v_add_u32_e32 v9, s9, v0
	v_cmp_gt_i32_e32 vcc, s17, v9
	v_mov_b32_e32 v9, 0
	v_mov_b32_e32 v10, 0
	s_and_b64 s[14:15], s[0:1], vcc
	s_and_saveexec_b64 s[6:7], s[14:15]
	s_cbranch_execz .LBB593_2
; %bb.6:                                ;   in Loop: Header=BB593_3 Depth=1
	flat_load_dwordx2 v[9:10], v[3:4]
	s_branch .LBB593_2
.LBB593_7:
	v_mov_b32_e32 v7, 0
	v_mov_b32_e32 v8, 0
.LBB593_8:
	v_cmp_le_i32_e32 vcc, v2, v11
	v_cmp_gt_i32_e64 s[0:1], s16, v11
	s_and_b64 s[0:1], vcc, s[0:1]
	s_and_saveexec_b64 s[2:3], s[0:1]
	s_cbranch_execz .LBB593_10
; %bb.9:
	s_load_dword s0, s[4:5], 0x50
	v_mul_f64 v[0:1], s[12:13], v[7:8]
	v_ashrrev_i32_e32 v3, 31, v2
	s_waitcnt lgkmcnt(0)
	v_mov_b32_e32 v6, s11
	v_lshlrev_b64 v[2:3], 3, v[2:3]
	v_mad_i64_i32 v[4:5], s[0:1], s0, v11, 0
	v_lshlrev_b64 v[4:5], 3, v[4:5]
	v_add_co_u32_e32 v4, vcc, s10, v4
	v_addc_co_u32_e32 v5, vcc, v6, v5, vcc
	v_add_co_u32_e32 v2, vcc, v4, v2
	v_addc_co_u32_e32 v3, vcc, v5, v3, vcc
	flat_store_dwordx2 v[2:3], v[0:1]
.LBB593_10:
	s_endpgm
	.section	.rodata,"a",@progbits
	.p2align	6, 0x0
	.amdhsa_kernel _ZL32rocblas_syrkx_herkx_small_kernelIidLi16ELb1ELb0ELc67ELc85EKPKdKPdEviT_T0_PT6_S5_lS8_S5_lS6_PT7_S5_li
		.amdhsa_group_segment_fixed_size 4096
		.amdhsa_private_segment_fixed_size 0
		.amdhsa_kernarg_size 100
		.amdhsa_user_sgpr_count 6
		.amdhsa_user_sgpr_private_segment_buffer 1
		.amdhsa_user_sgpr_dispatch_ptr 0
		.amdhsa_user_sgpr_queue_ptr 0
		.amdhsa_user_sgpr_kernarg_segment_ptr 1
		.amdhsa_user_sgpr_dispatch_id 0
		.amdhsa_user_sgpr_flat_scratch_init 0
		.amdhsa_user_sgpr_private_segment_size 0
		.amdhsa_uses_dynamic_stack 0
		.amdhsa_system_sgpr_private_segment_wavefront_offset 0
		.amdhsa_system_sgpr_workgroup_id_x 1
		.amdhsa_system_sgpr_workgroup_id_y 1
		.amdhsa_system_sgpr_workgroup_id_z 1
		.amdhsa_system_sgpr_workgroup_info 0
		.amdhsa_system_vgpr_workitem_id 1
		.amdhsa_next_free_vgpr 24
		.amdhsa_next_free_sgpr 21
		.amdhsa_reserve_vcc 1
		.amdhsa_reserve_flat_scratch 0
		.amdhsa_float_round_mode_32 0
		.amdhsa_float_round_mode_16_64 0
		.amdhsa_float_denorm_mode_32 3
		.amdhsa_float_denorm_mode_16_64 3
		.amdhsa_dx10_clamp 1
		.amdhsa_ieee_mode 1
		.amdhsa_fp16_overflow 0
		.amdhsa_exception_fp_ieee_invalid_op 0
		.amdhsa_exception_fp_denorm_src 0
		.amdhsa_exception_fp_ieee_div_zero 0
		.amdhsa_exception_fp_ieee_overflow 0
		.amdhsa_exception_fp_ieee_underflow 0
		.amdhsa_exception_fp_ieee_inexact 0
		.amdhsa_exception_int_div_zero 0
	.end_amdhsa_kernel
	.section	.text._ZL32rocblas_syrkx_herkx_small_kernelIidLi16ELb1ELb0ELc67ELc85EKPKdKPdEviT_T0_PT6_S5_lS8_S5_lS6_PT7_S5_li,"axG",@progbits,_ZL32rocblas_syrkx_herkx_small_kernelIidLi16ELb1ELb0ELc67ELc85EKPKdKPdEviT_T0_PT6_S5_lS8_S5_lS6_PT7_S5_li,comdat
.Lfunc_end593:
	.size	_ZL32rocblas_syrkx_herkx_small_kernelIidLi16ELb1ELb0ELc67ELc85EKPKdKPdEviT_T0_PT6_S5_lS8_S5_lS6_PT7_S5_li, .Lfunc_end593-_ZL32rocblas_syrkx_herkx_small_kernelIidLi16ELb1ELb0ELc67ELc85EKPKdKPdEviT_T0_PT6_S5_lS8_S5_lS6_PT7_S5_li
                                        ; -- End function
	.set _ZL32rocblas_syrkx_herkx_small_kernelIidLi16ELb1ELb0ELc67ELc85EKPKdKPdEviT_T0_PT6_S5_lS8_S5_lS6_PT7_S5_li.num_vgpr, 24
	.set _ZL32rocblas_syrkx_herkx_small_kernelIidLi16ELb1ELb0ELc67ELc85EKPKdKPdEviT_T0_PT6_S5_lS8_S5_lS6_PT7_S5_li.num_agpr, 0
	.set _ZL32rocblas_syrkx_herkx_small_kernelIidLi16ELb1ELb0ELc67ELc85EKPKdKPdEviT_T0_PT6_S5_lS8_S5_lS6_PT7_S5_li.numbered_sgpr, 21
	.set _ZL32rocblas_syrkx_herkx_small_kernelIidLi16ELb1ELb0ELc67ELc85EKPKdKPdEviT_T0_PT6_S5_lS8_S5_lS6_PT7_S5_li.num_named_barrier, 0
	.set _ZL32rocblas_syrkx_herkx_small_kernelIidLi16ELb1ELb0ELc67ELc85EKPKdKPdEviT_T0_PT6_S5_lS8_S5_lS6_PT7_S5_li.private_seg_size, 0
	.set _ZL32rocblas_syrkx_herkx_small_kernelIidLi16ELb1ELb0ELc67ELc85EKPKdKPdEviT_T0_PT6_S5_lS8_S5_lS6_PT7_S5_li.uses_vcc, 1
	.set _ZL32rocblas_syrkx_herkx_small_kernelIidLi16ELb1ELb0ELc67ELc85EKPKdKPdEviT_T0_PT6_S5_lS8_S5_lS6_PT7_S5_li.uses_flat_scratch, 0
	.set _ZL32rocblas_syrkx_herkx_small_kernelIidLi16ELb1ELb0ELc67ELc85EKPKdKPdEviT_T0_PT6_S5_lS8_S5_lS6_PT7_S5_li.has_dyn_sized_stack, 0
	.set _ZL32rocblas_syrkx_herkx_small_kernelIidLi16ELb1ELb0ELc67ELc85EKPKdKPdEviT_T0_PT6_S5_lS8_S5_lS6_PT7_S5_li.has_recursion, 0
	.set _ZL32rocblas_syrkx_herkx_small_kernelIidLi16ELb1ELb0ELc67ELc85EKPKdKPdEviT_T0_PT6_S5_lS8_S5_lS6_PT7_S5_li.has_indirect_call, 0
	.section	.AMDGPU.csdata,"",@progbits
; Kernel info:
; codeLenInByte = 824
; TotalNumSgprs: 25
; NumVgprs: 24
; ScratchSize: 0
; MemoryBound: 0
; FloatMode: 240
; IeeeMode: 1
; LDSByteSize: 4096 bytes/workgroup (compile time only)
; SGPRBlocks: 3
; VGPRBlocks: 5
; NumSGPRsForWavesPerEU: 25
; NumVGPRsForWavesPerEU: 24
; Occupancy: 10
; WaveLimiterHint : 1
; COMPUTE_PGM_RSRC2:SCRATCH_EN: 0
; COMPUTE_PGM_RSRC2:USER_SGPR: 6
; COMPUTE_PGM_RSRC2:TRAP_HANDLER: 0
; COMPUTE_PGM_RSRC2:TGID_X_EN: 1
; COMPUTE_PGM_RSRC2:TGID_Y_EN: 1
; COMPUTE_PGM_RSRC2:TGID_Z_EN: 1
; COMPUTE_PGM_RSRC2:TIDIG_COMP_CNT: 1
	.section	.text._ZL32rocblas_syrkx_herkx_small_kernelIidLi16ELb1ELb0ELc78ELc85EKPKdKPdEviT_T0_PT6_S5_lS8_S5_lS6_PT7_S5_li,"axG",@progbits,_ZL32rocblas_syrkx_herkx_small_kernelIidLi16ELb1ELb0ELc78ELc85EKPKdKPdEviT_T0_PT6_S5_lS8_S5_lS6_PT7_S5_li,comdat
	.globl	_ZL32rocblas_syrkx_herkx_small_kernelIidLi16ELb1ELb0ELc78ELc85EKPKdKPdEviT_T0_PT6_S5_lS8_S5_lS6_PT7_S5_li ; -- Begin function _ZL32rocblas_syrkx_herkx_small_kernelIidLi16ELb1ELb0ELc78ELc85EKPKdKPdEviT_T0_PT6_S5_lS8_S5_lS6_PT7_S5_li
	.p2align	8
	.type	_ZL32rocblas_syrkx_herkx_small_kernelIidLi16ELb1ELb0ELc78ELc85EKPKdKPdEviT_T0_PT6_S5_lS8_S5_lS6_PT7_S5_li,@function
_ZL32rocblas_syrkx_herkx_small_kernelIidLi16ELb1ELb0ELc78ELc85EKPKdKPdEviT_T0_PT6_S5_lS8_S5_lS6_PT7_S5_li: ; @_ZL32rocblas_syrkx_herkx_small_kernelIidLi16ELb1ELb0ELc78ELc85EKPKdKPdEviT_T0_PT6_S5_lS8_S5_lS6_PT7_S5_li
; %bb.0:
	s_load_dwordx2 s[2:3], s[4:5], 0x48
	s_load_dwordx2 s[16:17], s[4:5], 0x0
	s_load_dwordx4 s[12:15], s[4:5], 0x8
	s_mov_b32 s9, 0
	s_lshl_b64 s[0:1], s[8:9], 3
	s_waitcnt lgkmcnt(0)
	s_add_u32 s2, s2, s0
	s_addc_u32 s3, s3, s1
	s_load_dwordx2 s[10:11], s[2:3], 0x0
	v_lshl_add_u32 v2, s6, 4, v0
	v_lshl_add_u32 v4, s7, 4, v1
	s_cmp_lt_i32 s17, 1
	v_ashrrev_i32_e32 v3, 31, v2
	v_cmp_gt_i32_e32 vcc, s16, v4
	s_cbranch_scc1 .LBB594_7
; %bb.1:
	s_load_dword s18, s[4:5], 0x18
	s_load_dword s6, s[4:5], 0x30
	s_load_dwordx2 s[2:3], s[4:5], 0x28
	v_lshlrev_b32_e32 v5, 7, v1
	v_lshlrev_b32_e32 v13, 3, v0
	s_waitcnt lgkmcnt(0)
	s_ashr_i32 s19, s18, 31
	s_ashr_i32 s7, s6, 31
	s_add_u32 s2, s2, s0
	s_addc_u32 s3, s3, s1
	s_load_dwordx2 s[20:21], s[2:3], 0x0
	v_mad_i64_i32 v[6:7], s[2:3], s6, v0, 0
	v_add_u32_e32 v14, v13, v5
	v_add_u32_e32 v15, 0x800, v5
	v_ashrrev_i32_e32 v5, 31, v4
	v_lshlrev_b64 v[6:7], 3, v[6:7]
	v_lshlrev_b64 v[8:9], 3, v[4:5]
	s_add_u32 s0, s14, s0
	v_add_co_u32_e64 v5, s[2:3], v6, v8
	v_addc_co_u32_e64 v6, s[2:3], v7, v9, s[2:3]
	v_mad_i64_i32 v[7:8], s[2:3], s18, v1, 0
	s_addc_u32 s1, s15, s1
	s_load_dwordx2 s[14:15], s[0:1], 0x0
	s_waitcnt lgkmcnt(0)
	v_mov_b32_e32 v9, s21
	v_add_co_u32_e64 v5, s[2:3], s20, v5
	v_addc_co_u32_e64 v6, s[2:3], v9, v6, s[2:3]
	v_lshlrev_b64 v[7:8], 3, v[7:8]
	v_lshlrev_b64 v[9:10], 3, v[2:3]
	s_lshl_b64 s[6:7], s[6:7], 7
	v_add_co_u32_e64 v7, s[2:3], v7, v9
	v_addc_co_u32_e64 v8, s[2:3], v8, v10, s[2:3]
	v_mov_b32_e32 v9, s15
	v_add_co_u32_e64 v7, s[2:3], s14, v7
	v_addc_co_u32_e64 v8, s[2:3], v9, v8, s[2:3]
	s_lshl_b64 s[14:15], s[18:19], 7
	v_mov_b32_e32 v9, 0
	v_cmp_gt_i32_e64 s[0:1], s16, v2
	v_add_u32_e32 v16, v15, v13
	v_mov_b32_e32 v10, 0
	v_mov_b32_e32 v17, s7
	;; [unrolled: 1-line block ×3, first 2 shown]
	s_branch .LBB594_3
.LBB594_2:                              ;   in Loop: Header=BB594_3 Depth=1
	s_or_b64 exec, exec, s[2:3]
	s_waitcnt vmcnt(0) lgkmcnt(0)
	ds_write_b64 v16, v[11:12]
	s_waitcnt lgkmcnt(0)
	s_barrier
	ds_read2_b64 v[19:22], v13 offset1:16
	ds_read_b128 v[23:26], v15
	ds_read_b128 v[27:30], v15 offset:16
	v_add_co_u32_e64 v5, s[2:3], s6, v5
	v_addc_co_u32_e64 v6, s[2:3], v6, v17, s[2:3]
	s_waitcnt lgkmcnt(1)
	v_fma_f64 v[9:10], v[19:20], v[23:24], v[9:10]
	s_add_i32 s9, s9, 16
	v_add_co_u32_e64 v7, s[2:3], s14, v7
	s_cmp_ge_i32 s9, s17
	v_addc_co_u32_e64 v8, s[2:3], v8, v18, s[2:3]
	v_fma_f64 v[19:20], v[21:22], v[25:26], v[9:10]
	ds_read2_b64 v[9:12], v13 offset0:32 offset1:48
	s_waitcnt lgkmcnt(0)
	v_fma_f64 v[9:10], v[9:10], v[27:28], v[19:20]
	v_fma_f64 v[27:28], v[11:12], v[29:30], v[9:10]
	ds_read2_b64 v[9:12], v13 offset0:64 offset1:80
	ds_read_b128 v[19:22], v15 offset:32
	ds_read_b128 v[23:26], v15 offset:48
	s_waitcnt lgkmcnt(1)
	v_fma_f64 v[9:10], v[9:10], v[19:20], v[27:28]
	v_fma_f64 v[19:20], v[11:12], v[21:22], v[9:10]
	ds_read2_b64 v[9:12], v13 offset0:96 offset1:112
	s_waitcnt lgkmcnt(0)
	v_fma_f64 v[9:10], v[9:10], v[23:24], v[19:20]
	v_fma_f64 v[27:28], v[11:12], v[25:26], v[9:10]
	ds_read2_b64 v[9:12], v13 offset0:128 offset1:144
	ds_read_b128 v[19:22], v15 offset:64
	ds_read_b128 v[23:26], v15 offset:80
	s_waitcnt lgkmcnt(1)
	v_fma_f64 v[9:10], v[9:10], v[19:20], v[27:28]
	;; [unrolled: 10-line block ×3, first 2 shown]
	v_fma_f64 v[19:20], v[11:12], v[21:22], v[9:10]
	ds_read2_b64 v[9:12], v13 offset0:224 offset1:240
	s_waitcnt lgkmcnt(0)
	s_barrier
	v_fma_f64 v[9:10], v[9:10], v[23:24], v[19:20]
	v_fma_f64 v[9:10], v[11:12], v[25:26], v[9:10]
	s_cbranch_scc1 .LBB594_8
.LBB594_3:                              ; =>This Inner Loop Header: Depth=1
	v_add_u32_e32 v11, s9, v1
	v_cmp_gt_i32_e64 s[2:3], s17, v11
	v_mov_b32_e32 v11, 0
	v_mov_b32_e32 v12, 0
	s_and_b64 s[18:19], s[0:1], s[2:3]
	s_and_saveexec_b64 s[2:3], s[18:19]
	s_cbranch_execz .LBB594_5
; %bb.4:                                ;   in Loop: Header=BB594_3 Depth=1
	flat_load_dwordx2 v[11:12], v[7:8]
.LBB594_5:                              ;   in Loop: Header=BB594_3 Depth=1
	s_or_b64 exec, exec, s[2:3]
	s_waitcnt vmcnt(0) lgkmcnt(0)
	ds_write_b64 v14, v[11:12]
	v_add_u32_e32 v11, s9, v0
	v_cmp_gt_i32_e64 s[2:3], s17, v11
	v_mov_b32_e32 v11, 0
	v_mov_b32_e32 v12, 0
	s_and_b64 s[18:19], vcc, s[2:3]
	s_and_saveexec_b64 s[2:3], s[18:19]
	s_cbranch_execz .LBB594_2
; %bb.6:                                ;   in Loop: Header=BB594_3 Depth=1
	flat_load_dwordx2 v[11:12], v[5:6]
	s_branch .LBB594_2
.LBB594_7:
	v_mov_b32_e32 v9, 0
	v_mov_b32_e32 v10, 0
.LBB594_8:
	v_cmp_le_i32_e32 vcc, v2, v4
	v_cmp_gt_i32_e64 s[0:1], s16, v4
	s_and_b64 s[0:1], vcc, s[0:1]
	s_and_saveexec_b64 s[2:3], s[0:1]
	s_cbranch_execz .LBB594_10
; %bb.9:
	s_load_dword s0, s[4:5], 0x50
	s_waitcnt lgkmcnt(0)
	v_mov_b32_e32 v6, s11
	v_lshlrev_b64 v[2:3], 3, v[2:3]
	v_mad_i64_i32 v[0:1], s[0:1], s0, v4, 0
	v_mul_f64 v[4:5], s[12:13], v[9:10]
	v_lshlrev_b64 v[0:1], 3, v[0:1]
	v_add_co_u32_e32 v0, vcc, s10, v0
	v_addc_co_u32_e32 v1, vcc, v6, v1, vcc
	v_add_co_u32_e32 v0, vcc, v0, v2
	v_addc_co_u32_e32 v1, vcc, v1, v3, vcc
	flat_store_dwordx2 v[0:1], v[4:5]
.LBB594_10:
	s_endpgm
	.section	.rodata,"a",@progbits
	.p2align	6, 0x0
	.amdhsa_kernel _ZL32rocblas_syrkx_herkx_small_kernelIidLi16ELb1ELb0ELc78ELc85EKPKdKPdEviT_T0_PT6_S5_lS8_S5_lS6_PT7_S5_li
		.amdhsa_group_segment_fixed_size 4096
		.amdhsa_private_segment_fixed_size 0
		.amdhsa_kernarg_size 100
		.amdhsa_user_sgpr_count 6
		.amdhsa_user_sgpr_private_segment_buffer 1
		.amdhsa_user_sgpr_dispatch_ptr 0
		.amdhsa_user_sgpr_queue_ptr 0
		.amdhsa_user_sgpr_kernarg_segment_ptr 1
		.amdhsa_user_sgpr_dispatch_id 0
		.amdhsa_user_sgpr_flat_scratch_init 0
		.amdhsa_user_sgpr_private_segment_size 0
		.amdhsa_uses_dynamic_stack 0
		.amdhsa_system_sgpr_private_segment_wavefront_offset 0
		.amdhsa_system_sgpr_workgroup_id_x 1
		.amdhsa_system_sgpr_workgroup_id_y 1
		.amdhsa_system_sgpr_workgroup_id_z 1
		.amdhsa_system_sgpr_workgroup_info 0
		.amdhsa_system_vgpr_workitem_id 1
		.amdhsa_next_free_vgpr 31
		.amdhsa_next_free_sgpr 22
		.amdhsa_reserve_vcc 1
		.amdhsa_reserve_flat_scratch 0
		.amdhsa_float_round_mode_32 0
		.amdhsa_float_round_mode_16_64 0
		.amdhsa_float_denorm_mode_32 3
		.amdhsa_float_denorm_mode_16_64 3
		.amdhsa_dx10_clamp 1
		.amdhsa_ieee_mode 1
		.amdhsa_fp16_overflow 0
		.amdhsa_exception_fp_ieee_invalid_op 0
		.amdhsa_exception_fp_denorm_src 0
		.amdhsa_exception_fp_ieee_div_zero 0
		.amdhsa_exception_fp_ieee_overflow 0
		.amdhsa_exception_fp_ieee_underflow 0
		.amdhsa_exception_fp_ieee_inexact 0
		.amdhsa_exception_int_div_zero 0
	.end_amdhsa_kernel
	.section	.text._ZL32rocblas_syrkx_herkx_small_kernelIidLi16ELb1ELb0ELc78ELc85EKPKdKPdEviT_T0_PT6_S5_lS8_S5_lS6_PT7_S5_li,"axG",@progbits,_ZL32rocblas_syrkx_herkx_small_kernelIidLi16ELb1ELb0ELc78ELc85EKPKdKPdEviT_T0_PT6_S5_lS8_S5_lS6_PT7_S5_li,comdat
.Lfunc_end594:
	.size	_ZL32rocblas_syrkx_herkx_small_kernelIidLi16ELb1ELb0ELc78ELc85EKPKdKPdEviT_T0_PT6_S5_lS8_S5_lS6_PT7_S5_li, .Lfunc_end594-_ZL32rocblas_syrkx_herkx_small_kernelIidLi16ELb1ELb0ELc78ELc85EKPKdKPdEviT_T0_PT6_S5_lS8_S5_lS6_PT7_S5_li
                                        ; -- End function
	.set _ZL32rocblas_syrkx_herkx_small_kernelIidLi16ELb1ELb0ELc78ELc85EKPKdKPdEviT_T0_PT6_S5_lS8_S5_lS6_PT7_S5_li.num_vgpr, 31
	.set _ZL32rocblas_syrkx_herkx_small_kernelIidLi16ELb1ELb0ELc78ELc85EKPKdKPdEviT_T0_PT6_S5_lS8_S5_lS6_PT7_S5_li.num_agpr, 0
	.set _ZL32rocblas_syrkx_herkx_small_kernelIidLi16ELb1ELb0ELc78ELc85EKPKdKPdEviT_T0_PT6_S5_lS8_S5_lS6_PT7_S5_li.numbered_sgpr, 22
	.set _ZL32rocblas_syrkx_herkx_small_kernelIidLi16ELb1ELb0ELc78ELc85EKPKdKPdEviT_T0_PT6_S5_lS8_S5_lS6_PT7_S5_li.num_named_barrier, 0
	.set _ZL32rocblas_syrkx_herkx_small_kernelIidLi16ELb1ELb0ELc78ELc85EKPKdKPdEviT_T0_PT6_S5_lS8_S5_lS6_PT7_S5_li.private_seg_size, 0
	.set _ZL32rocblas_syrkx_herkx_small_kernelIidLi16ELb1ELb0ELc78ELc85EKPKdKPdEviT_T0_PT6_S5_lS8_S5_lS6_PT7_S5_li.uses_vcc, 1
	.set _ZL32rocblas_syrkx_herkx_small_kernelIidLi16ELb1ELb0ELc78ELc85EKPKdKPdEviT_T0_PT6_S5_lS8_S5_lS6_PT7_S5_li.uses_flat_scratch, 0
	.set _ZL32rocblas_syrkx_herkx_small_kernelIidLi16ELb1ELb0ELc78ELc85EKPKdKPdEviT_T0_PT6_S5_lS8_S5_lS6_PT7_S5_li.has_dyn_sized_stack, 0
	.set _ZL32rocblas_syrkx_herkx_small_kernelIidLi16ELb1ELb0ELc78ELc85EKPKdKPdEviT_T0_PT6_S5_lS8_S5_lS6_PT7_S5_li.has_recursion, 0
	.set _ZL32rocblas_syrkx_herkx_small_kernelIidLi16ELb1ELb0ELc78ELc85EKPKdKPdEviT_T0_PT6_S5_lS8_S5_lS6_PT7_S5_li.has_indirect_call, 0
	.section	.AMDGPU.csdata,"",@progbits
; Kernel info:
; codeLenInByte = 908
; TotalNumSgprs: 26
; NumVgprs: 31
; ScratchSize: 0
; MemoryBound: 0
; FloatMode: 240
; IeeeMode: 1
; LDSByteSize: 4096 bytes/workgroup (compile time only)
; SGPRBlocks: 3
; VGPRBlocks: 7
; NumSGPRsForWavesPerEU: 26
; NumVGPRsForWavesPerEU: 31
; Occupancy: 8
; WaveLimiterHint : 1
; COMPUTE_PGM_RSRC2:SCRATCH_EN: 0
; COMPUTE_PGM_RSRC2:USER_SGPR: 6
; COMPUTE_PGM_RSRC2:TRAP_HANDLER: 0
; COMPUTE_PGM_RSRC2:TGID_X_EN: 1
; COMPUTE_PGM_RSRC2:TGID_Y_EN: 1
; COMPUTE_PGM_RSRC2:TGID_Z_EN: 1
; COMPUTE_PGM_RSRC2:TIDIG_COMP_CNT: 1
	.section	.text._ZL32rocblas_syrkx_herkx_small_kernelIidLi16ELb0ELb0ELc84ELc76EKPKdKPdEviT_T0_PT6_S5_lS8_S5_lS6_PT7_S5_li,"axG",@progbits,_ZL32rocblas_syrkx_herkx_small_kernelIidLi16ELb0ELb0ELc84ELc76EKPKdKPdEviT_T0_PT6_S5_lS8_S5_lS6_PT7_S5_li,comdat
	.globl	_ZL32rocblas_syrkx_herkx_small_kernelIidLi16ELb0ELb0ELc84ELc76EKPKdKPdEviT_T0_PT6_S5_lS8_S5_lS6_PT7_S5_li ; -- Begin function _ZL32rocblas_syrkx_herkx_small_kernelIidLi16ELb0ELb0ELc84ELc76EKPKdKPdEviT_T0_PT6_S5_lS8_S5_lS6_PT7_S5_li
	.p2align	8
	.type	_ZL32rocblas_syrkx_herkx_small_kernelIidLi16ELb0ELb0ELc84ELc76EKPKdKPdEviT_T0_PT6_S5_lS8_S5_lS6_PT7_S5_li,@function
_ZL32rocblas_syrkx_herkx_small_kernelIidLi16ELb0ELb0ELc84ELc76EKPKdKPdEviT_T0_PT6_S5_lS8_S5_lS6_PT7_S5_li: ; @_ZL32rocblas_syrkx_herkx_small_kernelIidLi16ELb0ELb0ELc84ELc76EKPKdKPdEviT_T0_PT6_S5_lS8_S5_lS6_PT7_S5_li
; %bb.0:
	s_load_dwordx4 s[12:15], s[4:5], 0x40
	s_load_dwordx2 s[20:21], s[4:5], 0x0
	s_load_dwordx4 s[16:19], s[4:5], 0x8
	s_mov_b32 s9, 0
	s_lshl_b64 s[2:3], s[8:9], 3
	s_waitcnt lgkmcnt(0)
	s_add_u32 s0, s14, s2
	s_addc_u32 s1, s15, s3
	s_load_dwordx2 s[10:11], s[0:1], 0x0
	v_lshl_add_u32 v2, s6, 4, v0
	v_lshl_add_u32 v11, s7, 4, v1
	s_cmp_lt_i32 s21, 1
	v_cmp_gt_i32_e64 s[0:1], s20, v2
	s_cbranch_scc1 .LBB595_7
; %bb.1:
	s_load_dwordx2 s[6:7], s[4:5], 0x28
	s_load_dword s8, s[4:5], 0x18
	s_load_dword s22, s[4:5], 0x30
	v_lshlrev_b32_e32 v5, 7, v1
	v_lshlrev_b32_e32 v12, 3, v0
	s_waitcnt lgkmcnt(0)
	s_add_u32 s6, s6, s2
	s_addc_u32 s7, s7, s3
	s_add_u32 s2, s18, s2
	s_addc_u32 s3, s19, s3
	s_load_dwordx2 s[14:15], s[2:3], 0x0
	v_mad_i64_i32 v[3:4], s[2:3], s22, v11, 0
	s_load_dwordx2 s[6:7], s[6:7], 0x0
	v_add_u32_e32 v13, v12, v5
	v_add_u32_e32 v14, 0x800, v5
	v_lshlrev_b64 v[3:4], 3, v[3:4]
	v_mad_i64_i32 v[5:6], s[18:19], s8, v2, 0
	v_add_co_u32_e32 v3, vcc, v3, v12
	v_addc_co_u32_e32 v4, vcc, 0, v4, vcc
	s_waitcnt lgkmcnt(0)
	v_mov_b32_e32 v7, s7
	v_add_co_u32_e32 v3, vcc, s6, v3
	v_lshlrev_b64 v[5:6], 3, v[5:6]
	v_addc_co_u32_e32 v4, vcc, v7, v4, vcc
	v_lshlrev_b32_e32 v7, 3, v1
	v_add_co_u32_e32 v5, vcc, v5, v7
	v_addc_co_u32_e32 v6, vcc, 0, v6, vcc
	v_mov_b32_e32 v9, s15
	v_mov_b32_e32 v7, 0
	v_add_co_u32_e32 v5, vcc, s14, v5
	v_cmp_gt_i32_e64 s[2:3], s20, v11
	v_add_u32_e32 v15, v14, v12
	v_mov_b32_e32 v8, 0
	v_addc_co_u32_e32 v6, vcc, v9, v6, vcc
	s_branch .LBB595_3
.LBB595_2:                              ;   in Loop: Header=BB595_3 Depth=1
	s_or_b64 exec, exec, s[6:7]
	s_waitcnt vmcnt(0) lgkmcnt(0)
	ds_write_b64 v15, v[9:10]
	s_waitcnt lgkmcnt(0)
	s_barrier
	ds_read2_b64 v[16:19], v12 offset1:16
	ds_read_b128 v[20:23], v14
	v_add_co_u32_e32 v3, vcc, 0x80, v3
	v_addc_co_u32_e32 v4, vcc, 0, v4, vcc
	s_waitcnt lgkmcnt(0)
	v_fma_f64 v[7:8], v[16:17], v[20:21], v[7:8]
	s_add_i32 s9, s9, 16
	v_add_co_u32_e32 v5, vcc, 0x80, v5
	s_cmp_ge_i32 s9, s21
	v_addc_co_u32_e32 v6, vcc, 0, v6, vcc
	v_fma_f64 v[20:21], v[18:19], v[22:23], v[7:8]
	ds_read_b128 v[7:10], v14 offset:16
	ds_read2_b64 v[16:19], v12 offset0:32 offset1:48
	s_waitcnt lgkmcnt(0)
	v_fma_f64 v[7:8], v[16:17], v[7:8], v[20:21]
	v_fma_f64 v[20:21], v[18:19], v[9:10], v[7:8]
	ds_read2_b64 v[7:10], v12 offset0:64 offset1:80
	ds_read_b128 v[16:19], v14 offset:32
	s_waitcnt lgkmcnt(0)
	v_fma_f64 v[7:8], v[7:8], v[16:17], v[20:21]
	v_fma_f64 v[20:21], v[9:10], v[18:19], v[7:8]
	ds_read_b128 v[7:10], v14 offset:48
	ds_read2_b64 v[16:19], v12 offset0:96 offset1:112
	s_waitcnt lgkmcnt(0)
	v_fma_f64 v[7:8], v[16:17], v[7:8], v[20:21]
	v_fma_f64 v[20:21], v[18:19], v[9:10], v[7:8]
	ds_read2_b64 v[7:10], v12 offset0:128 offset1:144
	ds_read_b128 v[16:19], v14 offset:64
	s_waitcnt lgkmcnt(0)
	v_fma_f64 v[7:8], v[7:8], v[16:17], v[20:21]
	;; [unrolled: 10-line block ×3, first 2 shown]
	v_fma_f64 v[20:21], v[9:10], v[18:19], v[7:8]
	ds_read_b128 v[7:10], v14 offset:112
	ds_read2_b64 v[16:19], v12 offset0:224 offset1:240
	s_waitcnt lgkmcnt(0)
	s_barrier
	v_fma_f64 v[7:8], v[16:17], v[7:8], v[20:21]
	v_fma_f64 v[7:8], v[18:19], v[9:10], v[7:8]
	s_cbranch_scc1 .LBB595_8
.LBB595_3:                              ; =>This Inner Loop Header: Depth=1
	v_add_u32_e32 v9, s9, v1
	v_cmp_gt_i32_e32 vcc, s21, v9
	v_mov_b32_e32 v9, 0
	v_mov_b32_e32 v10, 0
	s_and_b64 s[14:15], s[0:1], vcc
	s_and_saveexec_b64 s[6:7], s[14:15]
	s_cbranch_execz .LBB595_5
; %bb.4:                                ;   in Loop: Header=BB595_3 Depth=1
	flat_load_dwordx2 v[9:10], v[5:6]
.LBB595_5:                              ;   in Loop: Header=BB595_3 Depth=1
	s_or_b64 exec, exec, s[6:7]
	s_waitcnt vmcnt(0) lgkmcnt(0)
	ds_write_b64 v13, v[9:10]
	v_add_u32_e32 v9, s9, v0
	v_cmp_gt_i32_e32 vcc, s21, v9
	v_mov_b32_e32 v9, 0
	v_mov_b32_e32 v10, 0
	s_and_b64 s[14:15], s[2:3], vcc
	s_and_saveexec_b64 s[6:7], s[14:15]
	s_cbranch_execz .LBB595_2
; %bb.6:                                ;   in Loop: Header=BB595_3 Depth=1
	flat_load_dwordx2 v[9:10], v[3:4]
	s_branch .LBB595_2
.LBB595_7:
	v_mov_b32_e32 v7, 0
	v_mov_b32_e32 v8, 0
.LBB595_8:
	v_cmp_le_i32_e32 vcc, v11, v2
	v_cmp_gt_i32_e64 s[0:1], s20, v2
	s_and_b64 s[0:1], vcc, s[0:1]
	s_and_saveexec_b64 s[2:3], s[0:1]
	s_cbranch_execz .LBB595_10
; %bb.9:
	s_load_dword s0, s[4:5], 0x50
	v_ashrrev_i32_e32 v3, 31, v2
	s_waitcnt lgkmcnt(0)
	v_mov_b32_e32 v4, s11
	v_lshlrev_b64 v[2:3], 3, v[2:3]
	v_mad_i64_i32 v[0:1], s[0:1], s0, v11, 0
	v_lshlrev_b64 v[0:1], 3, v[0:1]
	v_add_co_u32_e32 v0, vcc, s10, v0
	v_addc_co_u32_e32 v1, vcc, v4, v1, vcc
	v_add_co_u32_e32 v0, vcc, v0, v2
	v_addc_co_u32_e32 v1, vcc, v1, v3, vcc
	flat_load_dwordx2 v[2:3], v[0:1]
	s_waitcnt vmcnt(0) lgkmcnt(0)
	v_mul_f64 v[2:3], s[12:13], v[2:3]
	v_fma_f64 v[2:3], s[16:17], v[7:8], v[2:3]
	flat_store_dwordx2 v[0:1], v[2:3]
.LBB595_10:
	s_endpgm
	.section	.rodata,"a",@progbits
	.p2align	6, 0x0
	.amdhsa_kernel _ZL32rocblas_syrkx_herkx_small_kernelIidLi16ELb0ELb0ELc84ELc76EKPKdKPdEviT_T0_PT6_S5_lS8_S5_lS6_PT7_S5_li
		.amdhsa_group_segment_fixed_size 4096
		.amdhsa_private_segment_fixed_size 0
		.amdhsa_kernarg_size 100
		.amdhsa_user_sgpr_count 6
		.amdhsa_user_sgpr_private_segment_buffer 1
		.amdhsa_user_sgpr_dispatch_ptr 0
		.amdhsa_user_sgpr_queue_ptr 0
		.amdhsa_user_sgpr_kernarg_segment_ptr 1
		.amdhsa_user_sgpr_dispatch_id 0
		.amdhsa_user_sgpr_flat_scratch_init 0
		.amdhsa_user_sgpr_private_segment_size 0
		.amdhsa_uses_dynamic_stack 0
		.amdhsa_system_sgpr_private_segment_wavefront_offset 0
		.amdhsa_system_sgpr_workgroup_id_x 1
		.amdhsa_system_sgpr_workgroup_id_y 1
		.amdhsa_system_sgpr_workgroup_id_z 1
		.amdhsa_system_sgpr_workgroup_info 0
		.amdhsa_system_vgpr_workitem_id 1
		.amdhsa_next_free_vgpr 24
		.amdhsa_next_free_sgpr 23
		.amdhsa_reserve_vcc 1
		.amdhsa_reserve_flat_scratch 0
		.amdhsa_float_round_mode_32 0
		.amdhsa_float_round_mode_16_64 0
		.amdhsa_float_denorm_mode_32 3
		.amdhsa_float_denorm_mode_16_64 3
		.amdhsa_dx10_clamp 1
		.amdhsa_ieee_mode 1
		.amdhsa_fp16_overflow 0
		.amdhsa_exception_fp_ieee_invalid_op 0
		.amdhsa_exception_fp_denorm_src 0
		.amdhsa_exception_fp_ieee_div_zero 0
		.amdhsa_exception_fp_ieee_overflow 0
		.amdhsa_exception_fp_ieee_underflow 0
		.amdhsa_exception_fp_ieee_inexact 0
		.amdhsa_exception_int_div_zero 0
	.end_amdhsa_kernel
	.section	.text._ZL32rocblas_syrkx_herkx_small_kernelIidLi16ELb0ELb0ELc84ELc76EKPKdKPdEviT_T0_PT6_S5_lS8_S5_lS6_PT7_S5_li,"axG",@progbits,_ZL32rocblas_syrkx_herkx_small_kernelIidLi16ELb0ELb0ELc84ELc76EKPKdKPdEviT_T0_PT6_S5_lS8_S5_lS6_PT7_S5_li,comdat
.Lfunc_end595:
	.size	_ZL32rocblas_syrkx_herkx_small_kernelIidLi16ELb0ELb0ELc84ELc76EKPKdKPdEviT_T0_PT6_S5_lS8_S5_lS6_PT7_S5_li, .Lfunc_end595-_ZL32rocblas_syrkx_herkx_small_kernelIidLi16ELb0ELb0ELc84ELc76EKPKdKPdEviT_T0_PT6_S5_lS8_S5_lS6_PT7_S5_li
                                        ; -- End function
	.set _ZL32rocblas_syrkx_herkx_small_kernelIidLi16ELb0ELb0ELc84ELc76EKPKdKPdEviT_T0_PT6_S5_lS8_S5_lS6_PT7_S5_li.num_vgpr, 24
	.set _ZL32rocblas_syrkx_herkx_small_kernelIidLi16ELb0ELb0ELc84ELc76EKPKdKPdEviT_T0_PT6_S5_lS8_S5_lS6_PT7_S5_li.num_agpr, 0
	.set _ZL32rocblas_syrkx_herkx_small_kernelIidLi16ELb0ELb0ELc84ELc76EKPKdKPdEviT_T0_PT6_S5_lS8_S5_lS6_PT7_S5_li.numbered_sgpr, 23
	.set _ZL32rocblas_syrkx_herkx_small_kernelIidLi16ELb0ELb0ELc84ELc76EKPKdKPdEviT_T0_PT6_S5_lS8_S5_lS6_PT7_S5_li.num_named_barrier, 0
	.set _ZL32rocblas_syrkx_herkx_small_kernelIidLi16ELb0ELb0ELc84ELc76EKPKdKPdEviT_T0_PT6_S5_lS8_S5_lS6_PT7_S5_li.private_seg_size, 0
	.set _ZL32rocblas_syrkx_herkx_small_kernelIidLi16ELb0ELb0ELc84ELc76EKPKdKPdEviT_T0_PT6_S5_lS8_S5_lS6_PT7_S5_li.uses_vcc, 1
	.set _ZL32rocblas_syrkx_herkx_small_kernelIidLi16ELb0ELb0ELc84ELc76EKPKdKPdEviT_T0_PT6_S5_lS8_S5_lS6_PT7_S5_li.uses_flat_scratch, 0
	.set _ZL32rocblas_syrkx_herkx_small_kernelIidLi16ELb0ELb0ELc84ELc76EKPKdKPdEviT_T0_PT6_S5_lS8_S5_lS6_PT7_S5_li.has_dyn_sized_stack, 0
	.set _ZL32rocblas_syrkx_herkx_small_kernelIidLi16ELb0ELb0ELc84ELc76EKPKdKPdEviT_T0_PT6_S5_lS8_S5_lS6_PT7_S5_li.has_recursion, 0
	.set _ZL32rocblas_syrkx_herkx_small_kernelIidLi16ELb0ELb0ELc84ELc76EKPKdKPdEviT_T0_PT6_S5_lS8_S5_lS6_PT7_S5_li.has_indirect_call, 0
	.section	.AMDGPU.csdata,"",@progbits
; Kernel info:
; codeLenInByte = 844
; TotalNumSgprs: 27
; NumVgprs: 24
; ScratchSize: 0
; MemoryBound: 0
; FloatMode: 240
; IeeeMode: 1
; LDSByteSize: 4096 bytes/workgroup (compile time only)
; SGPRBlocks: 3
; VGPRBlocks: 5
; NumSGPRsForWavesPerEU: 27
; NumVGPRsForWavesPerEU: 24
; Occupancy: 10
; WaveLimiterHint : 1
; COMPUTE_PGM_RSRC2:SCRATCH_EN: 0
; COMPUTE_PGM_RSRC2:USER_SGPR: 6
; COMPUTE_PGM_RSRC2:TRAP_HANDLER: 0
; COMPUTE_PGM_RSRC2:TGID_X_EN: 1
; COMPUTE_PGM_RSRC2:TGID_Y_EN: 1
; COMPUTE_PGM_RSRC2:TGID_Z_EN: 1
; COMPUTE_PGM_RSRC2:TIDIG_COMP_CNT: 1
	.section	.text._ZL32rocblas_syrkx_herkx_small_kernelIidLi16ELb0ELb0ELc67ELc76EKPKdKPdEviT_T0_PT6_S5_lS8_S5_lS6_PT7_S5_li,"axG",@progbits,_ZL32rocblas_syrkx_herkx_small_kernelIidLi16ELb0ELb0ELc67ELc76EKPKdKPdEviT_T0_PT6_S5_lS8_S5_lS6_PT7_S5_li,comdat
	.globl	_ZL32rocblas_syrkx_herkx_small_kernelIidLi16ELb0ELb0ELc67ELc76EKPKdKPdEviT_T0_PT6_S5_lS8_S5_lS6_PT7_S5_li ; -- Begin function _ZL32rocblas_syrkx_herkx_small_kernelIidLi16ELb0ELb0ELc67ELc76EKPKdKPdEviT_T0_PT6_S5_lS8_S5_lS6_PT7_S5_li
	.p2align	8
	.type	_ZL32rocblas_syrkx_herkx_small_kernelIidLi16ELb0ELb0ELc67ELc76EKPKdKPdEviT_T0_PT6_S5_lS8_S5_lS6_PT7_S5_li,@function
_ZL32rocblas_syrkx_herkx_small_kernelIidLi16ELb0ELb0ELc67ELc76EKPKdKPdEviT_T0_PT6_S5_lS8_S5_lS6_PT7_S5_li: ; @_ZL32rocblas_syrkx_herkx_small_kernelIidLi16ELb0ELb0ELc67ELc76EKPKdKPdEviT_T0_PT6_S5_lS8_S5_lS6_PT7_S5_li
; %bb.0:
	s_load_dwordx4 s[12:15], s[4:5], 0x40
	s_load_dwordx2 s[20:21], s[4:5], 0x0
	s_load_dwordx4 s[16:19], s[4:5], 0x8
	s_mov_b32 s9, 0
	s_lshl_b64 s[2:3], s[8:9], 3
	s_waitcnt lgkmcnt(0)
	s_add_u32 s0, s14, s2
	s_addc_u32 s1, s15, s3
	s_load_dwordx2 s[10:11], s[0:1], 0x0
	v_lshl_add_u32 v2, s6, 4, v0
	v_lshl_add_u32 v11, s7, 4, v1
	s_cmp_lt_i32 s21, 1
	v_cmp_gt_i32_e64 s[0:1], s20, v2
	s_cbranch_scc1 .LBB596_7
; %bb.1:
	s_load_dwordx2 s[6:7], s[4:5], 0x28
	s_load_dword s8, s[4:5], 0x18
	s_load_dword s22, s[4:5], 0x30
	v_lshlrev_b32_e32 v5, 7, v1
	v_lshlrev_b32_e32 v12, 3, v0
	s_waitcnt lgkmcnt(0)
	s_add_u32 s6, s6, s2
	s_addc_u32 s7, s7, s3
	s_add_u32 s2, s18, s2
	s_addc_u32 s3, s19, s3
	s_load_dwordx2 s[14:15], s[2:3], 0x0
	v_mad_i64_i32 v[3:4], s[2:3], s22, v11, 0
	s_load_dwordx2 s[6:7], s[6:7], 0x0
	v_add_u32_e32 v13, v12, v5
	v_add_u32_e32 v14, 0x800, v5
	v_lshlrev_b64 v[3:4], 3, v[3:4]
	v_mad_i64_i32 v[5:6], s[18:19], s8, v2, 0
	v_add_co_u32_e32 v3, vcc, v3, v12
	v_addc_co_u32_e32 v4, vcc, 0, v4, vcc
	s_waitcnt lgkmcnt(0)
	v_mov_b32_e32 v7, s7
	v_add_co_u32_e32 v3, vcc, s6, v3
	v_lshlrev_b64 v[5:6], 3, v[5:6]
	v_addc_co_u32_e32 v4, vcc, v7, v4, vcc
	v_lshlrev_b32_e32 v7, 3, v1
	v_add_co_u32_e32 v5, vcc, v5, v7
	v_addc_co_u32_e32 v6, vcc, 0, v6, vcc
	v_mov_b32_e32 v9, s15
	v_mov_b32_e32 v7, 0
	v_add_co_u32_e32 v5, vcc, s14, v5
	v_cmp_gt_i32_e64 s[2:3], s20, v11
	v_add_u32_e32 v15, v14, v12
	v_mov_b32_e32 v8, 0
	v_addc_co_u32_e32 v6, vcc, v9, v6, vcc
	s_branch .LBB596_3
.LBB596_2:                              ;   in Loop: Header=BB596_3 Depth=1
	s_or_b64 exec, exec, s[6:7]
	s_waitcnt vmcnt(0) lgkmcnt(0)
	ds_write_b64 v15, v[9:10]
	s_waitcnt lgkmcnt(0)
	s_barrier
	ds_read2_b64 v[16:19], v12 offset1:16
	ds_read_b128 v[20:23], v14
	v_add_co_u32_e32 v3, vcc, 0x80, v3
	v_addc_co_u32_e32 v4, vcc, 0, v4, vcc
	s_waitcnt lgkmcnt(0)
	v_fma_f64 v[7:8], v[16:17], v[20:21], v[7:8]
	s_add_i32 s9, s9, 16
	v_add_co_u32_e32 v5, vcc, 0x80, v5
	s_cmp_ge_i32 s9, s21
	v_addc_co_u32_e32 v6, vcc, 0, v6, vcc
	v_fma_f64 v[20:21], v[18:19], v[22:23], v[7:8]
	ds_read_b128 v[7:10], v14 offset:16
	ds_read2_b64 v[16:19], v12 offset0:32 offset1:48
	s_waitcnt lgkmcnt(0)
	v_fma_f64 v[7:8], v[16:17], v[7:8], v[20:21]
	v_fma_f64 v[20:21], v[18:19], v[9:10], v[7:8]
	ds_read2_b64 v[7:10], v12 offset0:64 offset1:80
	ds_read_b128 v[16:19], v14 offset:32
	s_waitcnt lgkmcnt(0)
	v_fma_f64 v[7:8], v[7:8], v[16:17], v[20:21]
	v_fma_f64 v[20:21], v[9:10], v[18:19], v[7:8]
	ds_read_b128 v[7:10], v14 offset:48
	ds_read2_b64 v[16:19], v12 offset0:96 offset1:112
	s_waitcnt lgkmcnt(0)
	v_fma_f64 v[7:8], v[16:17], v[7:8], v[20:21]
	v_fma_f64 v[20:21], v[18:19], v[9:10], v[7:8]
	ds_read2_b64 v[7:10], v12 offset0:128 offset1:144
	ds_read_b128 v[16:19], v14 offset:64
	s_waitcnt lgkmcnt(0)
	v_fma_f64 v[7:8], v[7:8], v[16:17], v[20:21]
	;; [unrolled: 10-line block ×3, first 2 shown]
	v_fma_f64 v[20:21], v[9:10], v[18:19], v[7:8]
	ds_read_b128 v[7:10], v14 offset:112
	ds_read2_b64 v[16:19], v12 offset0:224 offset1:240
	s_waitcnt lgkmcnt(0)
	s_barrier
	v_fma_f64 v[7:8], v[16:17], v[7:8], v[20:21]
	v_fma_f64 v[7:8], v[18:19], v[9:10], v[7:8]
	s_cbranch_scc1 .LBB596_8
.LBB596_3:                              ; =>This Inner Loop Header: Depth=1
	v_add_u32_e32 v9, s9, v1
	v_cmp_gt_i32_e32 vcc, s21, v9
	v_mov_b32_e32 v9, 0
	v_mov_b32_e32 v10, 0
	s_and_b64 s[14:15], s[0:1], vcc
	s_and_saveexec_b64 s[6:7], s[14:15]
	s_cbranch_execz .LBB596_5
; %bb.4:                                ;   in Loop: Header=BB596_3 Depth=1
	flat_load_dwordx2 v[9:10], v[5:6]
.LBB596_5:                              ;   in Loop: Header=BB596_3 Depth=1
	s_or_b64 exec, exec, s[6:7]
	s_waitcnt vmcnt(0) lgkmcnt(0)
	ds_write_b64 v13, v[9:10]
	v_add_u32_e32 v9, s9, v0
	v_cmp_gt_i32_e32 vcc, s21, v9
	v_mov_b32_e32 v9, 0
	v_mov_b32_e32 v10, 0
	s_and_b64 s[14:15], s[2:3], vcc
	s_and_saveexec_b64 s[6:7], s[14:15]
	s_cbranch_execz .LBB596_2
; %bb.6:                                ;   in Loop: Header=BB596_3 Depth=1
	flat_load_dwordx2 v[9:10], v[3:4]
	s_branch .LBB596_2
.LBB596_7:
	v_mov_b32_e32 v7, 0
	v_mov_b32_e32 v8, 0
.LBB596_8:
	v_cmp_le_i32_e32 vcc, v11, v2
	v_cmp_gt_i32_e64 s[0:1], s20, v2
	s_and_b64 s[0:1], vcc, s[0:1]
	s_and_saveexec_b64 s[2:3], s[0:1]
	s_cbranch_execz .LBB596_10
; %bb.9:
	s_load_dword s0, s[4:5], 0x50
	v_ashrrev_i32_e32 v3, 31, v2
	s_waitcnt lgkmcnt(0)
	v_mov_b32_e32 v4, s11
	v_lshlrev_b64 v[2:3], 3, v[2:3]
	v_mad_i64_i32 v[0:1], s[0:1], s0, v11, 0
	v_lshlrev_b64 v[0:1], 3, v[0:1]
	v_add_co_u32_e32 v0, vcc, s10, v0
	v_addc_co_u32_e32 v1, vcc, v4, v1, vcc
	v_add_co_u32_e32 v0, vcc, v0, v2
	v_addc_co_u32_e32 v1, vcc, v1, v3, vcc
	flat_load_dwordx2 v[2:3], v[0:1]
	s_waitcnt vmcnt(0) lgkmcnt(0)
	v_mul_f64 v[2:3], s[12:13], v[2:3]
	v_fma_f64 v[2:3], s[16:17], v[7:8], v[2:3]
	flat_store_dwordx2 v[0:1], v[2:3]
.LBB596_10:
	s_endpgm
	.section	.rodata,"a",@progbits
	.p2align	6, 0x0
	.amdhsa_kernel _ZL32rocblas_syrkx_herkx_small_kernelIidLi16ELb0ELb0ELc67ELc76EKPKdKPdEviT_T0_PT6_S5_lS8_S5_lS6_PT7_S5_li
		.amdhsa_group_segment_fixed_size 4096
		.amdhsa_private_segment_fixed_size 0
		.amdhsa_kernarg_size 100
		.amdhsa_user_sgpr_count 6
		.amdhsa_user_sgpr_private_segment_buffer 1
		.amdhsa_user_sgpr_dispatch_ptr 0
		.amdhsa_user_sgpr_queue_ptr 0
		.amdhsa_user_sgpr_kernarg_segment_ptr 1
		.amdhsa_user_sgpr_dispatch_id 0
		.amdhsa_user_sgpr_flat_scratch_init 0
		.amdhsa_user_sgpr_private_segment_size 0
		.amdhsa_uses_dynamic_stack 0
		.amdhsa_system_sgpr_private_segment_wavefront_offset 0
		.amdhsa_system_sgpr_workgroup_id_x 1
		.amdhsa_system_sgpr_workgroup_id_y 1
		.amdhsa_system_sgpr_workgroup_id_z 1
		.amdhsa_system_sgpr_workgroup_info 0
		.amdhsa_system_vgpr_workitem_id 1
		.amdhsa_next_free_vgpr 24
		.amdhsa_next_free_sgpr 23
		.amdhsa_reserve_vcc 1
		.amdhsa_reserve_flat_scratch 0
		.amdhsa_float_round_mode_32 0
		.amdhsa_float_round_mode_16_64 0
		.amdhsa_float_denorm_mode_32 3
		.amdhsa_float_denorm_mode_16_64 3
		.amdhsa_dx10_clamp 1
		.amdhsa_ieee_mode 1
		.amdhsa_fp16_overflow 0
		.amdhsa_exception_fp_ieee_invalid_op 0
		.amdhsa_exception_fp_denorm_src 0
		.amdhsa_exception_fp_ieee_div_zero 0
		.amdhsa_exception_fp_ieee_overflow 0
		.amdhsa_exception_fp_ieee_underflow 0
		.amdhsa_exception_fp_ieee_inexact 0
		.amdhsa_exception_int_div_zero 0
	.end_amdhsa_kernel
	.section	.text._ZL32rocblas_syrkx_herkx_small_kernelIidLi16ELb0ELb0ELc67ELc76EKPKdKPdEviT_T0_PT6_S5_lS8_S5_lS6_PT7_S5_li,"axG",@progbits,_ZL32rocblas_syrkx_herkx_small_kernelIidLi16ELb0ELb0ELc67ELc76EKPKdKPdEviT_T0_PT6_S5_lS8_S5_lS6_PT7_S5_li,comdat
.Lfunc_end596:
	.size	_ZL32rocblas_syrkx_herkx_small_kernelIidLi16ELb0ELb0ELc67ELc76EKPKdKPdEviT_T0_PT6_S5_lS8_S5_lS6_PT7_S5_li, .Lfunc_end596-_ZL32rocblas_syrkx_herkx_small_kernelIidLi16ELb0ELb0ELc67ELc76EKPKdKPdEviT_T0_PT6_S5_lS8_S5_lS6_PT7_S5_li
                                        ; -- End function
	.set _ZL32rocblas_syrkx_herkx_small_kernelIidLi16ELb0ELb0ELc67ELc76EKPKdKPdEviT_T0_PT6_S5_lS8_S5_lS6_PT7_S5_li.num_vgpr, 24
	.set _ZL32rocblas_syrkx_herkx_small_kernelIidLi16ELb0ELb0ELc67ELc76EKPKdKPdEviT_T0_PT6_S5_lS8_S5_lS6_PT7_S5_li.num_agpr, 0
	.set _ZL32rocblas_syrkx_herkx_small_kernelIidLi16ELb0ELb0ELc67ELc76EKPKdKPdEviT_T0_PT6_S5_lS8_S5_lS6_PT7_S5_li.numbered_sgpr, 23
	.set _ZL32rocblas_syrkx_herkx_small_kernelIidLi16ELb0ELb0ELc67ELc76EKPKdKPdEviT_T0_PT6_S5_lS8_S5_lS6_PT7_S5_li.num_named_barrier, 0
	.set _ZL32rocblas_syrkx_herkx_small_kernelIidLi16ELb0ELb0ELc67ELc76EKPKdKPdEviT_T0_PT6_S5_lS8_S5_lS6_PT7_S5_li.private_seg_size, 0
	.set _ZL32rocblas_syrkx_herkx_small_kernelIidLi16ELb0ELb0ELc67ELc76EKPKdKPdEviT_T0_PT6_S5_lS8_S5_lS6_PT7_S5_li.uses_vcc, 1
	.set _ZL32rocblas_syrkx_herkx_small_kernelIidLi16ELb0ELb0ELc67ELc76EKPKdKPdEviT_T0_PT6_S5_lS8_S5_lS6_PT7_S5_li.uses_flat_scratch, 0
	.set _ZL32rocblas_syrkx_herkx_small_kernelIidLi16ELb0ELb0ELc67ELc76EKPKdKPdEviT_T0_PT6_S5_lS8_S5_lS6_PT7_S5_li.has_dyn_sized_stack, 0
	.set _ZL32rocblas_syrkx_herkx_small_kernelIidLi16ELb0ELb0ELc67ELc76EKPKdKPdEviT_T0_PT6_S5_lS8_S5_lS6_PT7_S5_li.has_recursion, 0
	.set _ZL32rocblas_syrkx_herkx_small_kernelIidLi16ELb0ELb0ELc67ELc76EKPKdKPdEviT_T0_PT6_S5_lS8_S5_lS6_PT7_S5_li.has_indirect_call, 0
	.section	.AMDGPU.csdata,"",@progbits
; Kernel info:
; codeLenInByte = 844
; TotalNumSgprs: 27
; NumVgprs: 24
; ScratchSize: 0
; MemoryBound: 0
; FloatMode: 240
; IeeeMode: 1
; LDSByteSize: 4096 bytes/workgroup (compile time only)
; SGPRBlocks: 3
; VGPRBlocks: 5
; NumSGPRsForWavesPerEU: 27
; NumVGPRsForWavesPerEU: 24
; Occupancy: 10
; WaveLimiterHint : 1
; COMPUTE_PGM_RSRC2:SCRATCH_EN: 0
; COMPUTE_PGM_RSRC2:USER_SGPR: 6
; COMPUTE_PGM_RSRC2:TRAP_HANDLER: 0
; COMPUTE_PGM_RSRC2:TGID_X_EN: 1
; COMPUTE_PGM_RSRC2:TGID_Y_EN: 1
; COMPUTE_PGM_RSRC2:TGID_Z_EN: 1
; COMPUTE_PGM_RSRC2:TIDIG_COMP_CNT: 1
	.section	.text._ZL32rocblas_syrkx_herkx_small_kernelIidLi16ELb0ELb0ELc78ELc76EKPKdKPdEviT_T0_PT6_S5_lS8_S5_lS6_PT7_S5_li,"axG",@progbits,_ZL32rocblas_syrkx_herkx_small_kernelIidLi16ELb0ELb0ELc78ELc76EKPKdKPdEviT_T0_PT6_S5_lS8_S5_lS6_PT7_S5_li,comdat
	.globl	_ZL32rocblas_syrkx_herkx_small_kernelIidLi16ELb0ELb0ELc78ELc76EKPKdKPdEviT_T0_PT6_S5_lS8_S5_lS6_PT7_S5_li ; -- Begin function _ZL32rocblas_syrkx_herkx_small_kernelIidLi16ELb0ELb0ELc78ELc76EKPKdKPdEviT_T0_PT6_S5_lS8_S5_lS6_PT7_S5_li
	.p2align	8
	.type	_ZL32rocblas_syrkx_herkx_small_kernelIidLi16ELb0ELb0ELc78ELc76EKPKdKPdEviT_T0_PT6_S5_lS8_S5_lS6_PT7_S5_li,@function
_ZL32rocblas_syrkx_herkx_small_kernelIidLi16ELb0ELb0ELc78ELc76EKPKdKPdEviT_T0_PT6_S5_lS8_S5_lS6_PT7_S5_li: ; @_ZL32rocblas_syrkx_herkx_small_kernelIidLi16ELb0ELb0ELc78ELc76EKPKdKPdEviT_T0_PT6_S5_lS8_S5_lS6_PT7_S5_li
; %bb.0:
	s_load_dwordx4 s[12:15], s[4:5], 0x40
	s_load_dwordx2 s[20:21], s[4:5], 0x0
	s_load_dwordx4 s[16:19], s[4:5], 0x8
	s_mov_b32 s9, 0
	s_lshl_b64 s[0:1], s[8:9], 3
	s_waitcnt lgkmcnt(0)
	s_add_u32 s2, s14, s0
	s_addc_u32 s3, s15, s1
	s_load_dwordx2 s[10:11], s[2:3], 0x0
	v_lshl_add_u32 v2, s6, 4, v0
	v_lshl_add_u32 v4, s7, 4, v1
	s_cmp_lt_i32 s21, 1
	v_cmp_gt_i32_e32 vcc, s20, v2
	v_ashrrev_i32_e32 v3, 31, v2
	s_cbranch_scc1 .LBB597_7
; %bb.1:
	s_load_dword s14, s[4:5], 0x18
	s_load_dword s6, s[4:5], 0x30
	s_load_dwordx2 s[2:3], s[4:5], 0x28
	v_lshlrev_b32_e32 v5, 7, v1
	v_lshlrev_b32_e32 v13, 3, v0
	s_waitcnt lgkmcnt(0)
	s_ashr_i32 s15, s14, 31
	s_ashr_i32 s7, s6, 31
	s_add_u32 s2, s2, s0
	s_addc_u32 s3, s3, s1
	s_load_dwordx2 s[22:23], s[2:3], 0x0
	v_mad_i64_i32 v[6:7], s[2:3], s6, v0, 0
	v_add_u32_e32 v14, v13, v5
	v_add_u32_e32 v15, 0x800, v5
	v_ashrrev_i32_e32 v5, 31, v4
	v_lshlrev_b64 v[6:7], 3, v[6:7]
	v_lshlrev_b64 v[8:9], 3, v[4:5]
	s_add_u32 s0, s18, s0
	v_add_co_u32_e64 v5, s[2:3], v6, v8
	v_addc_co_u32_e64 v6, s[2:3], v7, v9, s[2:3]
	v_mad_i64_i32 v[7:8], s[2:3], s14, v1, 0
	s_addc_u32 s1, s19, s1
	s_load_dwordx2 s[18:19], s[0:1], 0x0
	s_waitcnt lgkmcnt(0)
	v_mov_b32_e32 v9, s23
	v_add_co_u32_e64 v5, s[2:3], s22, v5
	v_addc_co_u32_e64 v6, s[2:3], v9, v6, s[2:3]
	v_lshlrev_b64 v[7:8], 3, v[7:8]
	v_lshlrev_b64 v[9:10], 3, v[2:3]
	s_lshl_b64 s[6:7], s[6:7], 7
	v_add_co_u32_e64 v7, s[2:3], v7, v9
	v_addc_co_u32_e64 v8, s[2:3], v8, v10, s[2:3]
	v_mov_b32_e32 v9, s19
	v_add_co_u32_e64 v7, s[2:3], s18, v7
	v_addc_co_u32_e64 v8, s[2:3], v9, v8, s[2:3]
	s_lshl_b64 s[14:15], s[14:15], 7
	v_mov_b32_e32 v9, 0
	v_cmp_gt_i32_e64 s[0:1], s20, v4
	v_add_u32_e32 v16, v15, v13
	v_mov_b32_e32 v10, 0
	v_mov_b32_e32 v17, s7
	;; [unrolled: 1-line block ×3, first 2 shown]
	s_branch .LBB597_3
.LBB597_2:                              ;   in Loop: Header=BB597_3 Depth=1
	s_or_b64 exec, exec, s[2:3]
	s_waitcnt vmcnt(0) lgkmcnt(0)
	ds_write_b64 v16, v[11:12]
	s_waitcnt lgkmcnt(0)
	s_barrier
	ds_read2_b64 v[19:22], v13 offset1:16
	ds_read_b128 v[23:26], v15
	ds_read_b128 v[27:30], v15 offset:16
	v_add_co_u32_e64 v5, s[2:3], s6, v5
	v_addc_co_u32_e64 v6, s[2:3], v6, v17, s[2:3]
	s_waitcnt lgkmcnt(1)
	v_fma_f64 v[9:10], v[19:20], v[23:24], v[9:10]
	s_add_i32 s9, s9, 16
	v_add_co_u32_e64 v7, s[2:3], s14, v7
	s_cmp_ge_i32 s9, s21
	v_addc_co_u32_e64 v8, s[2:3], v8, v18, s[2:3]
	v_fma_f64 v[19:20], v[21:22], v[25:26], v[9:10]
	ds_read2_b64 v[9:12], v13 offset0:32 offset1:48
	s_waitcnt lgkmcnt(0)
	v_fma_f64 v[9:10], v[9:10], v[27:28], v[19:20]
	v_fma_f64 v[27:28], v[11:12], v[29:30], v[9:10]
	ds_read2_b64 v[9:12], v13 offset0:64 offset1:80
	ds_read_b128 v[19:22], v15 offset:32
	ds_read_b128 v[23:26], v15 offset:48
	s_waitcnt lgkmcnt(1)
	v_fma_f64 v[9:10], v[9:10], v[19:20], v[27:28]
	v_fma_f64 v[19:20], v[11:12], v[21:22], v[9:10]
	ds_read2_b64 v[9:12], v13 offset0:96 offset1:112
	s_waitcnt lgkmcnt(0)
	v_fma_f64 v[9:10], v[9:10], v[23:24], v[19:20]
	v_fma_f64 v[27:28], v[11:12], v[25:26], v[9:10]
	ds_read2_b64 v[9:12], v13 offset0:128 offset1:144
	ds_read_b128 v[19:22], v15 offset:64
	ds_read_b128 v[23:26], v15 offset:80
	s_waitcnt lgkmcnt(1)
	v_fma_f64 v[9:10], v[9:10], v[19:20], v[27:28]
	;; [unrolled: 10-line block ×3, first 2 shown]
	v_fma_f64 v[19:20], v[11:12], v[21:22], v[9:10]
	ds_read2_b64 v[9:12], v13 offset0:224 offset1:240
	s_waitcnt lgkmcnt(0)
	s_barrier
	v_fma_f64 v[9:10], v[9:10], v[23:24], v[19:20]
	v_fma_f64 v[9:10], v[11:12], v[25:26], v[9:10]
	s_cbranch_scc1 .LBB597_8
.LBB597_3:                              ; =>This Inner Loop Header: Depth=1
	v_add_u32_e32 v11, s9, v1
	v_cmp_gt_i32_e64 s[2:3], s21, v11
	v_mov_b32_e32 v11, 0
	v_mov_b32_e32 v12, 0
	s_and_b64 s[18:19], vcc, s[2:3]
	s_and_saveexec_b64 s[2:3], s[18:19]
	s_cbranch_execz .LBB597_5
; %bb.4:                                ;   in Loop: Header=BB597_3 Depth=1
	flat_load_dwordx2 v[11:12], v[7:8]
.LBB597_5:                              ;   in Loop: Header=BB597_3 Depth=1
	s_or_b64 exec, exec, s[2:3]
	s_waitcnt vmcnt(0) lgkmcnt(0)
	ds_write_b64 v14, v[11:12]
	v_add_u32_e32 v11, s9, v0
	v_cmp_gt_i32_e64 s[2:3], s21, v11
	v_mov_b32_e32 v11, 0
	v_mov_b32_e32 v12, 0
	s_and_b64 s[18:19], s[0:1], s[2:3]
	s_and_saveexec_b64 s[2:3], s[18:19]
	s_cbranch_execz .LBB597_2
; %bb.6:                                ;   in Loop: Header=BB597_3 Depth=1
	flat_load_dwordx2 v[11:12], v[5:6]
	s_branch .LBB597_2
.LBB597_7:
	v_mov_b32_e32 v9, 0
	v_mov_b32_e32 v10, 0
.LBB597_8:
	v_cmp_le_i32_e32 vcc, v4, v2
	v_cmp_gt_i32_e64 s[0:1], s20, v2
	s_and_b64 s[0:1], vcc, s[0:1]
	s_and_saveexec_b64 s[2:3], s[0:1]
	s_cbranch_execz .LBB597_10
; %bb.9:
	s_load_dword s0, s[4:5], 0x50
	v_lshlrev_b64 v[2:3], 3, v[2:3]
	s_waitcnt lgkmcnt(0)
	v_mad_i64_i32 v[0:1], s[0:1], s0, v4, 0
	v_mov_b32_e32 v4, s11
	v_lshlrev_b64 v[0:1], 3, v[0:1]
	v_add_co_u32_e32 v0, vcc, s10, v0
	v_addc_co_u32_e32 v1, vcc, v4, v1, vcc
	v_add_co_u32_e32 v0, vcc, v0, v2
	v_addc_co_u32_e32 v1, vcc, v1, v3, vcc
	flat_load_dwordx2 v[2:3], v[0:1]
	s_waitcnt vmcnt(0) lgkmcnt(0)
	v_mul_f64 v[2:3], s[12:13], v[2:3]
	v_fma_f64 v[2:3], s[16:17], v[9:10], v[2:3]
	flat_store_dwordx2 v[0:1], v[2:3]
.LBB597_10:
	s_endpgm
	.section	.rodata,"a",@progbits
	.p2align	6, 0x0
	.amdhsa_kernel _ZL32rocblas_syrkx_herkx_small_kernelIidLi16ELb0ELb0ELc78ELc76EKPKdKPdEviT_T0_PT6_S5_lS8_S5_lS6_PT7_S5_li
		.amdhsa_group_segment_fixed_size 4096
		.amdhsa_private_segment_fixed_size 0
		.amdhsa_kernarg_size 100
		.amdhsa_user_sgpr_count 6
		.amdhsa_user_sgpr_private_segment_buffer 1
		.amdhsa_user_sgpr_dispatch_ptr 0
		.amdhsa_user_sgpr_queue_ptr 0
		.amdhsa_user_sgpr_kernarg_segment_ptr 1
		.amdhsa_user_sgpr_dispatch_id 0
		.amdhsa_user_sgpr_flat_scratch_init 0
		.amdhsa_user_sgpr_private_segment_size 0
		.amdhsa_uses_dynamic_stack 0
		.amdhsa_system_sgpr_private_segment_wavefront_offset 0
		.amdhsa_system_sgpr_workgroup_id_x 1
		.amdhsa_system_sgpr_workgroup_id_y 1
		.amdhsa_system_sgpr_workgroup_id_z 1
		.amdhsa_system_sgpr_workgroup_info 0
		.amdhsa_system_vgpr_workitem_id 1
		.amdhsa_next_free_vgpr 31
		.amdhsa_next_free_sgpr 24
		.amdhsa_reserve_vcc 1
		.amdhsa_reserve_flat_scratch 0
		.amdhsa_float_round_mode_32 0
		.amdhsa_float_round_mode_16_64 0
		.amdhsa_float_denorm_mode_32 3
		.amdhsa_float_denorm_mode_16_64 3
		.amdhsa_dx10_clamp 1
		.amdhsa_ieee_mode 1
		.amdhsa_fp16_overflow 0
		.amdhsa_exception_fp_ieee_invalid_op 0
		.amdhsa_exception_fp_denorm_src 0
		.amdhsa_exception_fp_ieee_div_zero 0
		.amdhsa_exception_fp_ieee_overflow 0
		.amdhsa_exception_fp_ieee_underflow 0
		.amdhsa_exception_fp_ieee_inexact 0
		.amdhsa_exception_int_div_zero 0
	.end_amdhsa_kernel
	.section	.text._ZL32rocblas_syrkx_herkx_small_kernelIidLi16ELb0ELb0ELc78ELc76EKPKdKPdEviT_T0_PT6_S5_lS8_S5_lS6_PT7_S5_li,"axG",@progbits,_ZL32rocblas_syrkx_herkx_small_kernelIidLi16ELb0ELb0ELc78ELc76EKPKdKPdEviT_T0_PT6_S5_lS8_S5_lS6_PT7_S5_li,comdat
.Lfunc_end597:
	.size	_ZL32rocblas_syrkx_herkx_small_kernelIidLi16ELb0ELb0ELc78ELc76EKPKdKPdEviT_T0_PT6_S5_lS8_S5_lS6_PT7_S5_li, .Lfunc_end597-_ZL32rocblas_syrkx_herkx_small_kernelIidLi16ELb0ELb0ELc78ELc76EKPKdKPdEviT_T0_PT6_S5_lS8_S5_lS6_PT7_S5_li
                                        ; -- End function
	.set _ZL32rocblas_syrkx_herkx_small_kernelIidLi16ELb0ELb0ELc78ELc76EKPKdKPdEviT_T0_PT6_S5_lS8_S5_lS6_PT7_S5_li.num_vgpr, 31
	.set _ZL32rocblas_syrkx_herkx_small_kernelIidLi16ELb0ELb0ELc78ELc76EKPKdKPdEviT_T0_PT6_S5_lS8_S5_lS6_PT7_S5_li.num_agpr, 0
	.set _ZL32rocblas_syrkx_herkx_small_kernelIidLi16ELb0ELb0ELc78ELc76EKPKdKPdEviT_T0_PT6_S5_lS8_S5_lS6_PT7_S5_li.numbered_sgpr, 24
	.set _ZL32rocblas_syrkx_herkx_small_kernelIidLi16ELb0ELb0ELc78ELc76EKPKdKPdEviT_T0_PT6_S5_lS8_S5_lS6_PT7_S5_li.num_named_barrier, 0
	.set _ZL32rocblas_syrkx_herkx_small_kernelIidLi16ELb0ELb0ELc78ELc76EKPKdKPdEviT_T0_PT6_S5_lS8_S5_lS6_PT7_S5_li.private_seg_size, 0
	.set _ZL32rocblas_syrkx_herkx_small_kernelIidLi16ELb0ELb0ELc78ELc76EKPKdKPdEviT_T0_PT6_S5_lS8_S5_lS6_PT7_S5_li.uses_vcc, 1
	.set _ZL32rocblas_syrkx_herkx_small_kernelIidLi16ELb0ELb0ELc78ELc76EKPKdKPdEviT_T0_PT6_S5_lS8_S5_lS6_PT7_S5_li.uses_flat_scratch, 0
	.set _ZL32rocblas_syrkx_herkx_small_kernelIidLi16ELb0ELb0ELc78ELc76EKPKdKPdEviT_T0_PT6_S5_lS8_S5_lS6_PT7_S5_li.has_dyn_sized_stack, 0
	.set _ZL32rocblas_syrkx_herkx_small_kernelIidLi16ELb0ELb0ELc78ELc76EKPKdKPdEviT_T0_PT6_S5_lS8_S5_lS6_PT7_S5_li.has_recursion, 0
	.set _ZL32rocblas_syrkx_herkx_small_kernelIidLi16ELb0ELb0ELc78ELc76EKPKdKPdEviT_T0_PT6_S5_lS8_S5_lS6_PT7_S5_li.has_indirect_call, 0
	.section	.AMDGPU.csdata,"",@progbits
; Kernel info:
; codeLenInByte = 928
; TotalNumSgprs: 28
; NumVgprs: 31
; ScratchSize: 0
; MemoryBound: 0
; FloatMode: 240
; IeeeMode: 1
; LDSByteSize: 4096 bytes/workgroup (compile time only)
; SGPRBlocks: 3
; VGPRBlocks: 7
; NumSGPRsForWavesPerEU: 28
; NumVGPRsForWavesPerEU: 31
; Occupancy: 8
; WaveLimiterHint : 1
; COMPUTE_PGM_RSRC2:SCRATCH_EN: 0
; COMPUTE_PGM_RSRC2:USER_SGPR: 6
; COMPUTE_PGM_RSRC2:TRAP_HANDLER: 0
; COMPUTE_PGM_RSRC2:TGID_X_EN: 1
; COMPUTE_PGM_RSRC2:TGID_Y_EN: 1
; COMPUTE_PGM_RSRC2:TGID_Z_EN: 1
; COMPUTE_PGM_RSRC2:TIDIG_COMP_CNT: 1
	.section	.text._ZL32rocblas_syrkx_herkx_small_kernelIidLi16ELb0ELb0ELc84ELc85EKPKdKPdEviT_T0_PT6_S5_lS8_S5_lS6_PT7_S5_li,"axG",@progbits,_ZL32rocblas_syrkx_herkx_small_kernelIidLi16ELb0ELb0ELc84ELc85EKPKdKPdEviT_T0_PT6_S5_lS8_S5_lS6_PT7_S5_li,comdat
	.globl	_ZL32rocblas_syrkx_herkx_small_kernelIidLi16ELb0ELb0ELc84ELc85EKPKdKPdEviT_T0_PT6_S5_lS8_S5_lS6_PT7_S5_li ; -- Begin function _ZL32rocblas_syrkx_herkx_small_kernelIidLi16ELb0ELb0ELc84ELc85EKPKdKPdEviT_T0_PT6_S5_lS8_S5_lS6_PT7_S5_li
	.p2align	8
	.type	_ZL32rocblas_syrkx_herkx_small_kernelIidLi16ELb0ELb0ELc84ELc85EKPKdKPdEviT_T0_PT6_S5_lS8_S5_lS6_PT7_S5_li,@function
_ZL32rocblas_syrkx_herkx_small_kernelIidLi16ELb0ELb0ELc84ELc85EKPKdKPdEviT_T0_PT6_S5_lS8_S5_lS6_PT7_S5_li: ; @_ZL32rocblas_syrkx_herkx_small_kernelIidLi16ELb0ELb0ELc84ELc85EKPKdKPdEviT_T0_PT6_S5_lS8_S5_lS6_PT7_S5_li
; %bb.0:
	s_load_dwordx4 s[12:15], s[4:5], 0x40
	s_load_dwordx2 s[20:21], s[4:5], 0x0
	s_load_dwordx4 s[16:19], s[4:5], 0x8
	s_mov_b32 s9, 0
	s_lshl_b64 s[22:23], s[8:9], 3
	s_waitcnt lgkmcnt(0)
	s_add_u32 s0, s14, s22
	s_addc_u32 s1, s15, s23
	s_load_dwordx2 s[10:11], s[0:1], 0x0
	v_lshl_add_u32 v11, s7, 4, v1
	v_lshl_add_u32 v2, s6, 4, v0
	s_cmp_lt_i32 s21, 1
	v_cmp_gt_i32_e64 s[0:1], s20, v11
	s_cbranch_scc1 .LBB598_7
; %bb.1:
	s_load_dwordx2 s[6:7], s[4:5], 0x28
	s_load_dword s8, s[4:5], 0x18
	s_load_dword s24, s[4:5], 0x30
	v_lshlrev_b32_e32 v5, 7, v1
	v_lshlrev_b32_e32 v12, 3, v0
	s_waitcnt lgkmcnt(0)
	s_add_u32 s6, s6, s22
	s_addc_u32 s7, s7, s23
	s_add_u32 s14, s18, s22
	s_addc_u32 s15, s19, s23
	v_mad_i64_i32 v[3:4], s[18:19], s24, v11, 0
	s_load_dwordx2 s[6:7], s[6:7], 0x0
	v_add_u32_e32 v13, v12, v5
	v_add_u32_e32 v14, 0x800, v5
	v_lshlrev_b64 v[3:4], 3, v[3:4]
	v_mad_i64_i32 v[5:6], s[18:19], s8, v2, 0
	v_add_co_u32_e32 v3, vcc, v3, v12
	s_load_dwordx2 s[14:15], s[14:15], 0x0
	v_addc_co_u32_e32 v4, vcc, 0, v4, vcc
	s_waitcnt lgkmcnt(0)
	v_mov_b32_e32 v7, s7
	v_add_co_u32_e32 v3, vcc, s6, v3
	v_lshlrev_b64 v[5:6], 3, v[5:6]
	v_addc_co_u32_e32 v4, vcc, v7, v4, vcc
	v_lshlrev_b32_e32 v7, 3, v1
	v_add_co_u32_e32 v5, vcc, v5, v7
	v_addc_co_u32_e32 v6, vcc, 0, v6, vcc
	v_mov_b32_e32 v9, s15
	v_mov_b32_e32 v7, 0
	v_add_co_u32_e32 v5, vcc, s14, v5
	v_cmp_gt_i32_e64 s[2:3], s20, v2
	v_add_u32_e32 v15, v14, v12
	v_mov_b32_e32 v8, 0
	v_addc_co_u32_e32 v6, vcc, v9, v6, vcc
	s_branch .LBB598_3
.LBB598_2:                              ;   in Loop: Header=BB598_3 Depth=1
	s_or_b64 exec, exec, s[6:7]
	s_waitcnt vmcnt(0) lgkmcnt(0)
	ds_write_b64 v15, v[9:10]
	s_waitcnt lgkmcnt(0)
	s_barrier
	ds_read2_b64 v[16:19], v12 offset1:16
	ds_read_b128 v[20:23], v14
	v_add_co_u32_e32 v3, vcc, 0x80, v3
	v_addc_co_u32_e32 v4, vcc, 0, v4, vcc
	s_waitcnt lgkmcnt(0)
	v_fma_f64 v[7:8], v[16:17], v[20:21], v[7:8]
	s_add_i32 s9, s9, 16
	v_add_co_u32_e32 v5, vcc, 0x80, v5
	s_cmp_ge_i32 s9, s21
	v_addc_co_u32_e32 v6, vcc, 0, v6, vcc
	v_fma_f64 v[20:21], v[18:19], v[22:23], v[7:8]
	ds_read_b128 v[7:10], v14 offset:16
	ds_read2_b64 v[16:19], v12 offset0:32 offset1:48
	s_waitcnt lgkmcnt(0)
	v_fma_f64 v[7:8], v[16:17], v[7:8], v[20:21]
	v_fma_f64 v[20:21], v[18:19], v[9:10], v[7:8]
	ds_read2_b64 v[7:10], v12 offset0:64 offset1:80
	ds_read_b128 v[16:19], v14 offset:32
	s_waitcnt lgkmcnt(0)
	v_fma_f64 v[7:8], v[7:8], v[16:17], v[20:21]
	v_fma_f64 v[20:21], v[9:10], v[18:19], v[7:8]
	ds_read_b128 v[7:10], v14 offset:48
	ds_read2_b64 v[16:19], v12 offset0:96 offset1:112
	s_waitcnt lgkmcnt(0)
	v_fma_f64 v[7:8], v[16:17], v[7:8], v[20:21]
	v_fma_f64 v[20:21], v[18:19], v[9:10], v[7:8]
	ds_read2_b64 v[7:10], v12 offset0:128 offset1:144
	ds_read_b128 v[16:19], v14 offset:64
	s_waitcnt lgkmcnt(0)
	v_fma_f64 v[7:8], v[7:8], v[16:17], v[20:21]
	v_fma_f64 v[20:21], v[9:10], v[18:19], v[7:8]
	ds_read_b128 v[7:10], v14 offset:80
	ds_read2_b64 v[16:19], v12 offset0:160 offset1:176
	s_waitcnt lgkmcnt(0)
	v_fma_f64 v[7:8], v[16:17], v[7:8], v[20:21]
	v_fma_f64 v[20:21], v[18:19], v[9:10], v[7:8]
	ds_read2_b64 v[7:10], v12 offset0:192 offset1:208
	ds_read_b128 v[16:19], v14 offset:96
	s_waitcnt lgkmcnt(0)
	v_fma_f64 v[7:8], v[7:8], v[16:17], v[20:21]
	v_fma_f64 v[20:21], v[9:10], v[18:19], v[7:8]
	ds_read_b128 v[7:10], v14 offset:112
	ds_read2_b64 v[16:19], v12 offset0:224 offset1:240
	s_waitcnt lgkmcnt(0)
	s_barrier
	v_fma_f64 v[7:8], v[16:17], v[7:8], v[20:21]
	v_fma_f64 v[7:8], v[18:19], v[9:10], v[7:8]
	s_cbranch_scc1 .LBB598_8
.LBB598_3:                              ; =>This Inner Loop Header: Depth=1
	v_add_u32_e32 v9, s9, v1
	v_cmp_gt_i32_e32 vcc, s21, v9
	v_mov_b32_e32 v9, 0
	v_mov_b32_e32 v10, 0
	s_and_b64 s[14:15], s[2:3], vcc
	s_and_saveexec_b64 s[6:7], s[14:15]
	s_cbranch_execz .LBB598_5
; %bb.4:                                ;   in Loop: Header=BB598_3 Depth=1
	flat_load_dwordx2 v[9:10], v[5:6]
.LBB598_5:                              ;   in Loop: Header=BB598_3 Depth=1
	s_or_b64 exec, exec, s[6:7]
	s_waitcnt vmcnt(0) lgkmcnt(0)
	ds_write_b64 v13, v[9:10]
	v_add_u32_e32 v9, s9, v0
	v_cmp_gt_i32_e32 vcc, s21, v9
	v_mov_b32_e32 v9, 0
	v_mov_b32_e32 v10, 0
	s_and_b64 s[14:15], s[0:1], vcc
	s_and_saveexec_b64 s[6:7], s[14:15]
	s_cbranch_execz .LBB598_2
; %bb.6:                                ;   in Loop: Header=BB598_3 Depth=1
	flat_load_dwordx2 v[9:10], v[3:4]
	s_branch .LBB598_2
.LBB598_7:
	v_mov_b32_e32 v7, 0
	v_mov_b32_e32 v8, 0
.LBB598_8:
	v_cmp_le_i32_e32 vcc, v2, v11
	v_cmp_gt_i32_e64 s[0:1], s20, v11
	s_and_b64 s[0:1], vcc, s[0:1]
	s_and_saveexec_b64 s[2:3], s[0:1]
	s_cbranch_execz .LBB598_10
; %bb.9:
	s_load_dword s0, s[4:5], 0x50
	v_ashrrev_i32_e32 v3, 31, v2
	s_waitcnt lgkmcnt(0)
	v_mov_b32_e32 v4, s11
	v_lshlrev_b64 v[2:3], 3, v[2:3]
	v_mad_i64_i32 v[0:1], s[0:1], s0, v11, 0
	v_lshlrev_b64 v[0:1], 3, v[0:1]
	v_add_co_u32_e32 v0, vcc, s10, v0
	v_addc_co_u32_e32 v1, vcc, v4, v1, vcc
	v_add_co_u32_e32 v0, vcc, v0, v2
	v_addc_co_u32_e32 v1, vcc, v1, v3, vcc
	flat_load_dwordx2 v[2:3], v[0:1]
	s_waitcnt vmcnt(0) lgkmcnt(0)
	v_mul_f64 v[2:3], s[12:13], v[2:3]
	v_fma_f64 v[2:3], s[16:17], v[7:8], v[2:3]
	flat_store_dwordx2 v[0:1], v[2:3]
.LBB598_10:
	s_endpgm
	.section	.rodata,"a",@progbits
	.p2align	6, 0x0
	.amdhsa_kernel _ZL32rocblas_syrkx_herkx_small_kernelIidLi16ELb0ELb0ELc84ELc85EKPKdKPdEviT_T0_PT6_S5_lS8_S5_lS6_PT7_S5_li
		.amdhsa_group_segment_fixed_size 4096
		.amdhsa_private_segment_fixed_size 0
		.amdhsa_kernarg_size 100
		.amdhsa_user_sgpr_count 6
		.amdhsa_user_sgpr_private_segment_buffer 1
		.amdhsa_user_sgpr_dispatch_ptr 0
		.amdhsa_user_sgpr_queue_ptr 0
		.amdhsa_user_sgpr_kernarg_segment_ptr 1
		.amdhsa_user_sgpr_dispatch_id 0
		.amdhsa_user_sgpr_flat_scratch_init 0
		.amdhsa_user_sgpr_private_segment_size 0
		.amdhsa_uses_dynamic_stack 0
		.amdhsa_system_sgpr_private_segment_wavefront_offset 0
		.amdhsa_system_sgpr_workgroup_id_x 1
		.amdhsa_system_sgpr_workgroup_id_y 1
		.amdhsa_system_sgpr_workgroup_id_z 1
		.amdhsa_system_sgpr_workgroup_info 0
		.amdhsa_system_vgpr_workitem_id 1
		.amdhsa_next_free_vgpr 24
		.amdhsa_next_free_sgpr 25
		.amdhsa_reserve_vcc 1
		.amdhsa_reserve_flat_scratch 0
		.amdhsa_float_round_mode_32 0
		.amdhsa_float_round_mode_16_64 0
		.amdhsa_float_denorm_mode_32 3
		.amdhsa_float_denorm_mode_16_64 3
		.amdhsa_dx10_clamp 1
		.amdhsa_ieee_mode 1
		.amdhsa_fp16_overflow 0
		.amdhsa_exception_fp_ieee_invalid_op 0
		.amdhsa_exception_fp_denorm_src 0
		.amdhsa_exception_fp_ieee_div_zero 0
		.amdhsa_exception_fp_ieee_overflow 0
		.amdhsa_exception_fp_ieee_underflow 0
		.amdhsa_exception_fp_ieee_inexact 0
		.amdhsa_exception_int_div_zero 0
	.end_amdhsa_kernel
	.section	.text._ZL32rocblas_syrkx_herkx_small_kernelIidLi16ELb0ELb0ELc84ELc85EKPKdKPdEviT_T0_PT6_S5_lS8_S5_lS6_PT7_S5_li,"axG",@progbits,_ZL32rocblas_syrkx_herkx_small_kernelIidLi16ELb0ELb0ELc84ELc85EKPKdKPdEviT_T0_PT6_S5_lS8_S5_lS6_PT7_S5_li,comdat
.Lfunc_end598:
	.size	_ZL32rocblas_syrkx_herkx_small_kernelIidLi16ELb0ELb0ELc84ELc85EKPKdKPdEviT_T0_PT6_S5_lS8_S5_lS6_PT7_S5_li, .Lfunc_end598-_ZL32rocblas_syrkx_herkx_small_kernelIidLi16ELb0ELb0ELc84ELc85EKPKdKPdEviT_T0_PT6_S5_lS8_S5_lS6_PT7_S5_li
                                        ; -- End function
	.set _ZL32rocblas_syrkx_herkx_small_kernelIidLi16ELb0ELb0ELc84ELc85EKPKdKPdEviT_T0_PT6_S5_lS8_S5_lS6_PT7_S5_li.num_vgpr, 24
	.set _ZL32rocblas_syrkx_herkx_small_kernelIidLi16ELb0ELb0ELc84ELc85EKPKdKPdEviT_T0_PT6_S5_lS8_S5_lS6_PT7_S5_li.num_agpr, 0
	.set _ZL32rocblas_syrkx_herkx_small_kernelIidLi16ELb0ELb0ELc84ELc85EKPKdKPdEviT_T0_PT6_S5_lS8_S5_lS6_PT7_S5_li.numbered_sgpr, 25
	.set _ZL32rocblas_syrkx_herkx_small_kernelIidLi16ELb0ELb0ELc84ELc85EKPKdKPdEviT_T0_PT6_S5_lS8_S5_lS6_PT7_S5_li.num_named_barrier, 0
	.set _ZL32rocblas_syrkx_herkx_small_kernelIidLi16ELb0ELb0ELc84ELc85EKPKdKPdEviT_T0_PT6_S5_lS8_S5_lS6_PT7_S5_li.private_seg_size, 0
	.set _ZL32rocblas_syrkx_herkx_small_kernelIidLi16ELb0ELb0ELc84ELc85EKPKdKPdEviT_T0_PT6_S5_lS8_S5_lS6_PT7_S5_li.uses_vcc, 1
	.set _ZL32rocblas_syrkx_herkx_small_kernelIidLi16ELb0ELb0ELc84ELc85EKPKdKPdEviT_T0_PT6_S5_lS8_S5_lS6_PT7_S5_li.uses_flat_scratch, 0
	.set _ZL32rocblas_syrkx_herkx_small_kernelIidLi16ELb0ELb0ELc84ELc85EKPKdKPdEviT_T0_PT6_S5_lS8_S5_lS6_PT7_S5_li.has_dyn_sized_stack, 0
	.set _ZL32rocblas_syrkx_herkx_small_kernelIidLi16ELb0ELb0ELc84ELc85EKPKdKPdEviT_T0_PT6_S5_lS8_S5_lS6_PT7_S5_li.has_recursion, 0
	.set _ZL32rocblas_syrkx_herkx_small_kernelIidLi16ELb0ELb0ELc84ELc85EKPKdKPdEviT_T0_PT6_S5_lS8_S5_lS6_PT7_S5_li.has_indirect_call, 0
	.section	.AMDGPU.csdata,"",@progbits
; Kernel info:
; codeLenInByte = 844
; TotalNumSgprs: 29
; NumVgprs: 24
; ScratchSize: 0
; MemoryBound: 0
; FloatMode: 240
; IeeeMode: 1
; LDSByteSize: 4096 bytes/workgroup (compile time only)
; SGPRBlocks: 3
; VGPRBlocks: 5
; NumSGPRsForWavesPerEU: 29
; NumVGPRsForWavesPerEU: 24
; Occupancy: 10
; WaveLimiterHint : 1
; COMPUTE_PGM_RSRC2:SCRATCH_EN: 0
; COMPUTE_PGM_RSRC2:USER_SGPR: 6
; COMPUTE_PGM_RSRC2:TRAP_HANDLER: 0
; COMPUTE_PGM_RSRC2:TGID_X_EN: 1
; COMPUTE_PGM_RSRC2:TGID_Y_EN: 1
; COMPUTE_PGM_RSRC2:TGID_Z_EN: 1
; COMPUTE_PGM_RSRC2:TIDIG_COMP_CNT: 1
	.section	.text._ZL32rocblas_syrkx_herkx_small_kernelIidLi16ELb0ELb0ELc67ELc85EKPKdKPdEviT_T0_PT6_S5_lS8_S5_lS6_PT7_S5_li,"axG",@progbits,_ZL32rocblas_syrkx_herkx_small_kernelIidLi16ELb0ELb0ELc67ELc85EKPKdKPdEviT_T0_PT6_S5_lS8_S5_lS6_PT7_S5_li,comdat
	.globl	_ZL32rocblas_syrkx_herkx_small_kernelIidLi16ELb0ELb0ELc67ELc85EKPKdKPdEviT_T0_PT6_S5_lS8_S5_lS6_PT7_S5_li ; -- Begin function _ZL32rocblas_syrkx_herkx_small_kernelIidLi16ELb0ELb0ELc67ELc85EKPKdKPdEviT_T0_PT6_S5_lS8_S5_lS6_PT7_S5_li
	.p2align	8
	.type	_ZL32rocblas_syrkx_herkx_small_kernelIidLi16ELb0ELb0ELc67ELc85EKPKdKPdEviT_T0_PT6_S5_lS8_S5_lS6_PT7_S5_li,@function
_ZL32rocblas_syrkx_herkx_small_kernelIidLi16ELb0ELb0ELc67ELc85EKPKdKPdEviT_T0_PT6_S5_lS8_S5_lS6_PT7_S5_li: ; @_ZL32rocblas_syrkx_herkx_small_kernelIidLi16ELb0ELb0ELc67ELc85EKPKdKPdEviT_T0_PT6_S5_lS8_S5_lS6_PT7_S5_li
; %bb.0:
	s_load_dwordx4 s[12:15], s[4:5], 0x40
	s_load_dwordx2 s[20:21], s[4:5], 0x0
	s_load_dwordx4 s[16:19], s[4:5], 0x8
	s_mov_b32 s9, 0
	s_lshl_b64 s[22:23], s[8:9], 3
	s_waitcnt lgkmcnt(0)
	s_add_u32 s0, s14, s22
	s_addc_u32 s1, s15, s23
	s_load_dwordx2 s[10:11], s[0:1], 0x0
	v_lshl_add_u32 v11, s7, 4, v1
	v_lshl_add_u32 v2, s6, 4, v0
	s_cmp_lt_i32 s21, 1
	v_cmp_gt_i32_e64 s[0:1], s20, v11
	s_cbranch_scc1 .LBB599_7
; %bb.1:
	s_load_dwordx2 s[6:7], s[4:5], 0x28
	s_load_dword s8, s[4:5], 0x18
	s_load_dword s24, s[4:5], 0x30
	v_lshlrev_b32_e32 v5, 7, v1
	v_lshlrev_b32_e32 v12, 3, v0
	s_waitcnt lgkmcnt(0)
	s_add_u32 s6, s6, s22
	s_addc_u32 s7, s7, s23
	s_add_u32 s14, s18, s22
	s_addc_u32 s15, s19, s23
	v_mad_i64_i32 v[3:4], s[18:19], s24, v11, 0
	s_load_dwordx2 s[6:7], s[6:7], 0x0
	v_add_u32_e32 v13, v12, v5
	v_add_u32_e32 v14, 0x800, v5
	v_lshlrev_b64 v[3:4], 3, v[3:4]
	v_mad_i64_i32 v[5:6], s[18:19], s8, v2, 0
	v_add_co_u32_e32 v3, vcc, v3, v12
	s_load_dwordx2 s[14:15], s[14:15], 0x0
	v_addc_co_u32_e32 v4, vcc, 0, v4, vcc
	s_waitcnt lgkmcnt(0)
	v_mov_b32_e32 v7, s7
	v_add_co_u32_e32 v3, vcc, s6, v3
	v_lshlrev_b64 v[5:6], 3, v[5:6]
	v_addc_co_u32_e32 v4, vcc, v7, v4, vcc
	v_lshlrev_b32_e32 v7, 3, v1
	v_add_co_u32_e32 v5, vcc, v5, v7
	v_addc_co_u32_e32 v6, vcc, 0, v6, vcc
	v_mov_b32_e32 v9, s15
	v_mov_b32_e32 v7, 0
	v_add_co_u32_e32 v5, vcc, s14, v5
	v_cmp_gt_i32_e64 s[2:3], s20, v2
	v_add_u32_e32 v15, v14, v12
	v_mov_b32_e32 v8, 0
	v_addc_co_u32_e32 v6, vcc, v9, v6, vcc
	s_branch .LBB599_3
.LBB599_2:                              ;   in Loop: Header=BB599_3 Depth=1
	s_or_b64 exec, exec, s[6:7]
	s_waitcnt vmcnt(0) lgkmcnt(0)
	ds_write_b64 v15, v[9:10]
	s_waitcnt lgkmcnt(0)
	s_barrier
	ds_read2_b64 v[16:19], v12 offset1:16
	ds_read_b128 v[20:23], v14
	v_add_co_u32_e32 v3, vcc, 0x80, v3
	v_addc_co_u32_e32 v4, vcc, 0, v4, vcc
	s_waitcnt lgkmcnt(0)
	v_fma_f64 v[7:8], v[16:17], v[20:21], v[7:8]
	s_add_i32 s9, s9, 16
	v_add_co_u32_e32 v5, vcc, 0x80, v5
	s_cmp_ge_i32 s9, s21
	v_addc_co_u32_e32 v6, vcc, 0, v6, vcc
	v_fma_f64 v[20:21], v[18:19], v[22:23], v[7:8]
	ds_read_b128 v[7:10], v14 offset:16
	ds_read2_b64 v[16:19], v12 offset0:32 offset1:48
	s_waitcnt lgkmcnt(0)
	v_fma_f64 v[7:8], v[16:17], v[7:8], v[20:21]
	v_fma_f64 v[20:21], v[18:19], v[9:10], v[7:8]
	ds_read2_b64 v[7:10], v12 offset0:64 offset1:80
	ds_read_b128 v[16:19], v14 offset:32
	s_waitcnt lgkmcnt(0)
	v_fma_f64 v[7:8], v[7:8], v[16:17], v[20:21]
	v_fma_f64 v[20:21], v[9:10], v[18:19], v[7:8]
	ds_read_b128 v[7:10], v14 offset:48
	ds_read2_b64 v[16:19], v12 offset0:96 offset1:112
	s_waitcnt lgkmcnt(0)
	v_fma_f64 v[7:8], v[16:17], v[7:8], v[20:21]
	v_fma_f64 v[20:21], v[18:19], v[9:10], v[7:8]
	ds_read2_b64 v[7:10], v12 offset0:128 offset1:144
	ds_read_b128 v[16:19], v14 offset:64
	s_waitcnt lgkmcnt(0)
	v_fma_f64 v[7:8], v[7:8], v[16:17], v[20:21]
	;; [unrolled: 10-line block ×3, first 2 shown]
	v_fma_f64 v[20:21], v[9:10], v[18:19], v[7:8]
	ds_read_b128 v[7:10], v14 offset:112
	ds_read2_b64 v[16:19], v12 offset0:224 offset1:240
	s_waitcnt lgkmcnt(0)
	s_barrier
	v_fma_f64 v[7:8], v[16:17], v[7:8], v[20:21]
	v_fma_f64 v[7:8], v[18:19], v[9:10], v[7:8]
	s_cbranch_scc1 .LBB599_8
.LBB599_3:                              ; =>This Inner Loop Header: Depth=1
	v_add_u32_e32 v9, s9, v1
	v_cmp_gt_i32_e32 vcc, s21, v9
	v_mov_b32_e32 v9, 0
	v_mov_b32_e32 v10, 0
	s_and_b64 s[14:15], s[2:3], vcc
	s_and_saveexec_b64 s[6:7], s[14:15]
	s_cbranch_execz .LBB599_5
; %bb.4:                                ;   in Loop: Header=BB599_3 Depth=1
	flat_load_dwordx2 v[9:10], v[5:6]
.LBB599_5:                              ;   in Loop: Header=BB599_3 Depth=1
	s_or_b64 exec, exec, s[6:7]
	s_waitcnt vmcnt(0) lgkmcnt(0)
	ds_write_b64 v13, v[9:10]
	v_add_u32_e32 v9, s9, v0
	v_cmp_gt_i32_e32 vcc, s21, v9
	v_mov_b32_e32 v9, 0
	v_mov_b32_e32 v10, 0
	s_and_b64 s[14:15], s[0:1], vcc
	s_and_saveexec_b64 s[6:7], s[14:15]
	s_cbranch_execz .LBB599_2
; %bb.6:                                ;   in Loop: Header=BB599_3 Depth=1
	flat_load_dwordx2 v[9:10], v[3:4]
	s_branch .LBB599_2
.LBB599_7:
	v_mov_b32_e32 v7, 0
	v_mov_b32_e32 v8, 0
.LBB599_8:
	v_cmp_le_i32_e32 vcc, v2, v11
	v_cmp_gt_i32_e64 s[0:1], s20, v11
	s_and_b64 s[0:1], vcc, s[0:1]
	s_and_saveexec_b64 s[2:3], s[0:1]
	s_cbranch_execz .LBB599_10
; %bb.9:
	s_load_dword s0, s[4:5], 0x50
	v_ashrrev_i32_e32 v3, 31, v2
	s_waitcnt lgkmcnt(0)
	v_mov_b32_e32 v4, s11
	v_lshlrev_b64 v[2:3], 3, v[2:3]
	v_mad_i64_i32 v[0:1], s[0:1], s0, v11, 0
	v_lshlrev_b64 v[0:1], 3, v[0:1]
	v_add_co_u32_e32 v0, vcc, s10, v0
	v_addc_co_u32_e32 v1, vcc, v4, v1, vcc
	v_add_co_u32_e32 v0, vcc, v0, v2
	v_addc_co_u32_e32 v1, vcc, v1, v3, vcc
	flat_load_dwordx2 v[2:3], v[0:1]
	s_waitcnt vmcnt(0) lgkmcnt(0)
	v_mul_f64 v[2:3], s[12:13], v[2:3]
	v_fma_f64 v[2:3], s[16:17], v[7:8], v[2:3]
	flat_store_dwordx2 v[0:1], v[2:3]
.LBB599_10:
	s_endpgm
	.section	.rodata,"a",@progbits
	.p2align	6, 0x0
	.amdhsa_kernel _ZL32rocblas_syrkx_herkx_small_kernelIidLi16ELb0ELb0ELc67ELc85EKPKdKPdEviT_T0_PT6_S5_lS8_S5_lS6_PT7_S5_li
		.amdhsa_group_segment_fixed_size 4096
		.amdhsa_private_segment_fixed_size 0
		.amdhsa_kernarg_size 100
		.amdhsa_user_sgpr_count 6
		.amdhsa_user_sgpr_private_segment_buffer 1
		.amdhsa_user_sgpr_dispatch_ptr 0
		.amdhsa_user_sgpr_queue_ptr 0
		.amdhsa_user_sgpr_kernarg_segment_ptr 1
		.amdhsa_user_sgpr_dispatch_id 0
		.amdhsa_user_sgpr_flat_scratch_init 0
		.amdhsa_user_sgpr_private_segment_size 0
		.amdhsa_uses_dynamic_stack 0
		.amdhsa_system_sgpr_private_segment_wavefront_offset 0
		.amdhsa_system_sgpr_workgroup_id_x 1
		.amdhsa_system_sgpr_workgroup_id_y 1
		.amdhsa_system_sgpr_workgroup_id_z 1
		.amdhsa_system_sgpr_workgroup_info 0
		.amdhsa_system_vgpr_workitem_id 1
		.amdhsa_next_free_vgpr 24
		.amdhsa_next_free_sgpr 25
		.amdhsa_reserve_vcc 1
		.amdhsa_reserve_flat_scratch 0
		.amdhsa_float_round_mode_32 0
		.amdhsa_float_round_mode_16_64 0
		.amdhsa_float_denorm_mode_32 3
		.amdhsa_float_denorm_mode_16_64 3
		.amdhsa_dx10_clamp 1
		.amdhsa_ieee_mode 1
		.amdhsa_fp16_overflow 0
		.amdhsa_exception_fp_ieee_invalid_op 0
		.amdhsa_exception_fp_denorm_src 0
		.amdhsa_exception_fp_ieee_div_zero 0
		.amdhsa_exception_fp_ieee_overflow 0
		.amdhsa_exception_fp_ieee_underflow 0
		.amdhsa_exception_fp_ieee_inexact 0
		.amdhsa_exception_int_div_zero 0
	.end_amdhsa_kernel
	.section	.text._ZL32rocblas_syrkx_herkx_small_kernelIidLi16ELb0ELb0ELc67ELc85EKPKdKPdEviT_T0_PT6_S5_lS8_S5_lS6_PT7_S5_li,"axG",@progbits,_ZL32rocblas_syrkx_herkx_small_kernelIidLi16ELb0ELb0ELc67ELc85EKPKdKPdEviT_T0_PT6_S5_lS8_S5_lS6_PT7_S5_li,comdat
.Lfunc_end599:
	.size	_ZL32rocblas_syrkx_herkx_small_kernelIidLi16ELb0ELb0ELc67ELc85EKPKdKPdEviT_T0_PT6_S5_lS8_S5_lS6_PT7_S5_li, .Lfunc_end599-_ZL32rocblas_syrkx_herkx_small_kernelIidLi16ELb0ELb0ELc67ELc85EKPKdKPdEviT_T0_PT6_S5_lS8_S5_lS6_PT7_S5_li
                                        ; -- End function
	.set _ZL32rocblas_syrkx_herkx_small_kernelIidLi16ELb0ELb0ELc67ELc85EKPKdKPdEviT_T0_PT6_S5_lS8_S5_lS6_PT7_S5_li.num_vgpr, 24
	.set _ZL32rocblas_syrkx_herkx_small_kernelIidLi16ELb0ELb0ELc67ELc85EKPKdKPdEviT_T0_PT6_S5_lS8_S5_lS6_PT7_S5_li.num_agpr, 0
	.set _ZL32rocblas_syrkx_herkx_small_kernelIidLi16ELb0ELb0ELc67ELc85EKPKdKPdEviT_T0_PT6_S5_lS8_S5_lS6_PT7_S5_li.numbered_sgpr, 25
	.set _ZL32rocblas_syrkx_herkx_small_kernelIidLi16ELb0ELb0ELc67ELc85EKPKdKPdEviT_T0_PT6_S5_lS8_S5_lS6_PT7_S5_li.num_named_barrier, 0
	.set _ZL32rocblas_syrkx_herkx_small_kernelIidLi16ELb0ELb0ELc67ELc85EKPKdKPdEviT_T0_PT6_S5_lS8_S5_lS6_PT7_S5_li.private_seg_size, 0
	.set _ZL32rocblas_syrkx_herkx_small_kernelIidLi16ELb0ELb0ELc67ELc85EKPKdKPdEviT_T0_PT6_S5_lS8_S5_lS6_PT7_S5_li.uses_vcc, 1
	.set _ZL32rocblas_syrkx_herkx_small_kernelIidLi16ELb0ELb0ELc67ELc85EKPKdKPdEviT_T0_PT6_S5_lS8_S5_lS6_PT7_S5_li.uses_flat_scratch, 0
	.set _ZL32rocblas_syrkx_herkx_small_kernelIidLi16ELb0ELb0ELc67ELc85EKPKdKPdEviT_T0_PT6_S5_lS8_S5_lS6_PT7_S5_li.has_dyn_sized_stack, 0
	.set _ZL32rocblas_syrkx_herkx_small_kernelIidLi16ELb0ELb0ELc67ELc85EKPKdKPdEviT_T0_PT6_S5_lS8_S5_lS6_PT7_S5_li.has_recursion, 0
	.set _ZL32rocblas_syrkx_herkx_small_kernelIidLi16ELb0ELb0ELc67ELc85EKPKdKPdEviT_T0_PT6_S5_lS8_S5_lS6_PT7_S5_li.has_indirect_call, 0
	.section	.AMDGPU.csdata,"",@progbits
; Kernel info:
; codeLenInByte = 844
; TotalNumSgprs: 29
; NumVgprs: 24
; ScratchSize: 0
; MemoryBound: 0
; FloatMode: 240
; IeeeMode: 1
; LDSByteSize: 4096 bytes/workgroup (compile time only)
; SGPRBlocks: 3
; VGPRBlocks: 5
; NumSGPRsForWavesPerEU: 29
; NumVGPRsForWavesPerEU: 24
; Occupancy: 10
; WaveLimiterHint : 1
; COMPUTE_PGM_RSRC2:SCRATCH_EN: 0
; COMPUTE_PGM_RSRC2:USER_SGPR: 6
; COMPUTE_PGM_RSRC2:TRAP_HANDLER: 0
; COMPUTE_PGM_RSRC2:TGID_X_EN: 1
; COMPUTE_PGM_RSRC2:TGID_Y_EN: 1
; COMPUTE_PGM_RSRC2:TGID_Z_EN: 1
; COMPUTE_PGM_RSRC2:TIDIG_COMP_CNT: 1
	.section	.text._ZL32rocblas_syrkx_herkx_small_kernelIidLi16ELb0ELb0ELc78ELc85EKPKdKPdEviT_T0_PT6_S5_lS8_S5_lS6_PT7_S5_li,"axG",@progbits,_ZL32rocblas_syrkx_herkx_small_kernelIidLi16ELb0ELb0ELc78ELc85EKPKdKPdEviT_T0_PT6_S5_lS8_S5_lS6_PT7_S5_li,comdat
	.globl	_ZL32rocblas_syrkx_herkx_small_kernelIidLi16ELb0ELb0ELc78ELc85EKPKdKPdEviT_T0_PT6_S5_lS8_S5_lS6_PT7_S5_li ; -- Begin function _ZL32rocblas_syrkx_herkx_small_kernelIidLi16ELb0ELb0ELc78ELc85EKPKdKPdEviT_T0_PT6_S5_lS8_S5_lS6_PT7_S5_li
	.p2align	8
	.type	_ZL32rocblas_syrkx_herkx_small_kernelIidLi16ELb0ELb0ELc78ELc85EKPKdKPdEviT_T0_PT6_S5_lS8_S5_lS6_PT7_S5_li,@function
_ZL32rocblas_syrkx_herkx_small_kernelIidLi16ELb0ELb0ELc78ELc85EKPKdKPdEviT_T0_PT6_S5_lS8_S5_lS6_PT7_S5_li: ; @_ZL32rocblas_syrkx_herkx_small_kernelIidLi16ELb0ELb0ELc78ELc85EKPKdKPdEviT_T0_PT6_S5_lS8_S5_lS6_PT7_S5_li
; %bb.0:
	s_load_dwordx4 s[12:15], s[4:5], 0x40
	s_load_dwordx2 s[20:21], s[4:5], 0x0
	s_load_dwordx4 s[16:19], s[4:5], 0x8
	s_mov_b32 s9, 0
	s_lshl_b64 s[0:1], s[8:9], 3
	s_waitcnt lgkmcnt(0)
	s_add_u32 s2, s14, s0
	s_addc_u32 s3, s15, s1
	s_load_dwordx2 s[10:11], s[2:3], 0x0
	v_lshl_add_u32 v2, s6, 4, v0
	v_lshl_add_u32 v4, s7, 4, v1
	s_cmp_lt_i32 s21, 1
	v_ashrrev_i32_e32 v3, 31, v2
	v_cmp_gt_i32_e32 vcc, s20, v4
	s_cbranch_scc1 .LBB600_7
; %bb.1:
	s_load_dword s14, s[4:5], 0x18
	s_load_dword s6, s[4:5], 0x30
	s_load_dwordx2 s[2:3], s[4:5], 0x28
	v_lshlrev_b32_e32 v5, 7, v1
	v_lshlrev_b32_e32 v13, 3, v0
	s_waitcnt lgkmcnt(0)
	s_ashr_i32 s15, s14, 31
	s_ashr_i32 s7, s6, 31
	s_add_u32 s2, s2, s0
	s_addc_u32 s3, s3, s1
	s_load_dwordx2 s[22:23], s[2:3], 0x0
	v_mad_i64_i32 v[6:7], s[2:3], s6, v0, 0
	v_add_u32_e32 v14, v13, v5
	v_add_u32_e32 v15, 0x800, v5
	v_ashrrev_i32_e32 v5, 31, v4
	v_lshlrev_b64 v[6:7], 3, v[6:7]
	v_lshlrev_b64 v[8:9], 3, v[4:5]
	s_add_u32 s0, s18, s0
	v_add_co_u32_e64 v5, s[2:3], v6, v8
	v_addc_co_u32_e64 v6, s[2:3], v7, v9, s[2:3]
	v_mad_i64_i32 v[7:8], s[2:3], s14, v1, 0
	s_addc_u32 s1, s19, s1
	s_load_dwordx2 s[18:19], s[0:1], 0x0
	s_waitcnt lgkmcnt(0)
	v_mov_b32_e32 v9, s23
	v_add_co_u32_e64 v5, s[2:3], s22, v5
	v_addc_co_u32_e64 v6, s[2:3], v9, v6, s[2:3]
	v_lshlrev_b64 v[7:8], 3, v[7:8]
	v_lshlrev_b64 v[9:10], 3, v[2:3]
	s_lshl_b64 s[6:7], s[6:7], 7
	v_add_co_u32_e64 v7, s[2:3], v7, v9
	v_addc_co_u32_e64 v8, s[2:3], v8, v10, s[2:3]
	v_mov_b32_e32 v9, s19
	v_add_co_u32_e64 v7, s[2:3], s18, v7
	v_addc_co_u32_e64 v8, s[2:3], v9, v8, s[2:3]
	s_lshl_b64 s[14:15], s[14:15], 7
	v_mov_b32_e32 v9, 0
	v_cmp_gt_i32_e64 s[0:1], s20, v2
	v_add_u32_e32 v16, v15, v13
	v_mov_b32_e32 v10, 0
	v_mov_b32_e32 v17, s7
	;; [unrolled: 1-line block ×3, first 2 shown]
	s_branch .LBB600_3
.LBB600_2:                              ;   in Loop: Header=BB600_3 Depth=1
	s_or_b64 exec, exec, s[2:3]
	s_waitcnt vmcnt(0) lgkmcnt(0)
	ds_write_b64 v16, v[11:12]
	s_waitcnt lgkmcnt(0)
	s_barrier
	ds_read2_b64 v[19:22], v13 offset1:16
	ds_read_b128 v[23:26], v15
	ds_read_b128 v[27:30], v15 offset:16
	v_add_co_u32_e64 v5, s[2:3], s6, v5
	v_addc_co_u32_e64 v6, s[2:3], v6, v17, s[2:3]
	s_waitcnt lgkmcnt(1)
	v_fma_f64 v[9:10], v[19:20], v[23:24], v[9:10]
	s_add_i32 s9, s9, 16
	v_add_co_u32_e64 v7, s[2:3], s14, v7
	s_cmp_ge_i32 s9, s21
	v_addc_co_u32_e64 v8, s[2:3], v8, v18, s[2:3]
	v_fma_f64 v[19:20], v[21:22], v[25:26], v[9:10]
	ds_read2_b64 v[9:12], v13 offset0:32 offset1:48
	s_waitcnt lgkmcnt(0)
	v_fma_f64 v[9:10], v[9:10], v[27:28], v[19:20]
	v_fma_f64 v[27:28], v[11:12], v[29:30], v[9:10]
	ds_read2_b64 v[9:12], v13 offset0:64 offset1:80
	ds_read_b128 v[19:22], v15 offset:32
	ds_read_b128 v[23:26], v15 offset:48
	s_waitcnt lgkmcnt(1)
	v_fma_f64 v[9:10], v[9:10], v[19:20], v[27:28]
	v_fma_f64 v[19:20], v[11:12], v[21:22], v[9:10]
	ds_read2_b64 v[9:12], v13 offset0:96 offset1:112
	s_waitcnt lgkmcnt(0)
	v_fma_f64 v[9:10], v[9:10], v[23:24], v[19:20]
	v_fma_f64 v[27:28], v[11:12], v[25:26], v[9:10]
	ds_read2_b64 v[9:12], v13 offset0:128 offset1:144
	ds_read_b128 v[19:22], v15 offset:64
	ds_read_b128 v[23:26], v15 offset:80
	s_waitcnt lgkmcnt(1)
	v_fma_f64 v[9:10], v[9:10], v[19:20], v[27:28]
	;; [unrolled: 10-line block ×3, first 2 shown]
	v_fma_f64 v[19:20], v[11:12], v[21:22], v[9:10]
	ds_read2_b64 v[9:12], v13 offset0:224 offset1:240
	s_waitcnt lgkmcnt(0)
	s_barrier
	v_fma_f64 v[9:10], v[9:10], v[23:24], v[19:20]
	v_fma_f64 v[9:10], v[11:12], v[25:26], v[9:10]
	s_cbranch_scc1 .LBB600_8
.LBB600_3:                              ; =>This Inner Loop Header: Depth=1
	v_add_u32_e32 v11, s9, v1
	v_cmp_gt_i32_e64 s[2:3], s21, v11
	v_mov_b32_e32 v11, 0
	v_mov_b32_e32 v12, 0
	s_and_b64 s[18:19], s[0:1], s[2:3]
	s_and_saveexec_b64 s[2:3], s[18:19]
	s_cbranch_execz .LBB600_5
; %bb.4:                                ;   in Loop: Header=BB600_3 Depth=1
	flat_load_dwordx2 v[11:12], v[7:8]
.LBB600_5:                              ;   in Loop: Header=BB600_3 Depth=1
	s_or_b64 exec, exec, s[2:3]
	s_waitcnt vmcnt(0) lgkmcnt(0)
	ds_write_b64 v14, v[11:12]
	v_add_u32_e32 v11, s9, v0
	v_cmp_gt_i32_e64 s[2:3], s21, v11
	v_mov_b32_e32 v11, 0
	v_mov_b32_e32 v12, 0
	s_and_b64 s[18:19], vcc, s[2:3]
	s_and_saveexec_b64 s[2:3], s[18:19]
	s_cbranch_execz .LBB600_2
; %bb.6:                                ;   in Loop: Header=BB600_3 Depth=1
	flat_load_dwordx2 v[11:12], v[5:6]
	s_branch .LBB600_2
.LBB600_7:
	v_mov_b32_e32 v9, 0
	v_mov_b32_e32 v10, 0
.LBB600_8:
	v_cmp_le_i32_e32 vcc, v2, v4
	v_cmp_gt_i32_e64 s[0:1], s20, v4
	s_and_b64 s[0:1], vcc, s[0:1]
	s_and_saveexec_b64 s[2:3], s[0:1]
	s_cbranch_execz .LBB600_10
; %bb.9:
	s_load_dword s0, s[4:5], 0x50
	v_lshlrev_b64 v[2:3], 3, v[2:3]
	s_waitcnt lgkmcnt(0)
	v_mad_i64_i32 v[0:1], s[0:1], s0, v4, 0
	v_mov_b32_e32 v4, s11
	v_lshlrev_b64 v[0:1], 3, v[0:1]
	v_add_co_u32_e32 v0, vcc, s10, v0
	v_addc_co_u32_e32 v1, vcc, v4, v1, vcc
	v_add_co_u32_e32 v0, vcc, v0, v2
	v_addc_co_u32_e32 v1, vcc, v1, v3, vcc
	flat_load_dwordx2 v[2:3], v[0:1]
	s_waitcnt vmcnt(0) lgkmcnt(0)
	v_mul_f64 v[2:3], s[12:13], v[2:3]
	v_fma_f64 v[2:3], s[16:17], v[9:10], v[2:3]
	flat_store_dwordx2 v[0:1], v[2:3]
.LBB600_10:
	s_endpgm
	.section	.rodata,"a",@progbits
	.p2align	6, 0x0
	.amdhsa_kernel _ZL32rocblas_syrkx_herkx_small_kernelIidLi16ELb0ELb0ELc78ELc85EKPKdKPdEviT_T0_PT6_S5_lS8_S5_lS6_PT7_S5_li
		.amdhsa_group_segment_fixed_size 4096
		.amdhsa_private_segment_fixed_size 0
		.amdhsa_kernarg_size 100
		.amdhsa_user_sgpr_count 6
		.amdhsa_user_sgpr_private_segment_buffer 1
		.amdhsa_user_sgpr_dispatch_ptr 0
		.amdhsa_user_sgpr_queue_ptr 0
		.amdhsa_user_sgpr_kernarg_segment_ptr 1
		.amdhsa_user_sgpr_dispatch_id 0
		.amdhsa_user_sgpr_flat_scratch_init 0
		.amdhsa_user_sgpr_private_segment_size 0
		.amdhsa_uses_dynamic_stack 0
		.amdhsa_system_sgpr_private_segment_wavefront_offset 0
		.amdhsa_system_sgpr_workgroup_id_x 1
		.amdhsa_system_sgpr_workgroup_id_y 1
		.amdhsa_system_sgpr_workgroup_id_z 1
		.amdhsa_system_sgpr_workgroup_info 0
		.amdhsa_system_vgpr_workitem_id 1
		.amdhsa_next_free_vgpr 31
		.amdhsa_next_free_sgpr 24
		.amdhsa_reserve_vcc 1
		.amdhsa_reserve_flat_scratch 0
		.amdhsa_float_round_mode_32 0
		.amdhsa_float_round_mode_16_64 0
		.amdhsa_float_denorm_mode_32 3
		.amdhsa_float_denorm_mode_16_64 3
		.amdhsa_dx10_clamp 1
		.amdhsa_ieee_mode 1
		.amdhsa_fp16_overflow 0
		.amdhsa_exception_fp_ieee_invalid_op 0
		.amdhsa_exception_fp_denorm_src 0
		.amdhsa_exception_fp_ieee_div_zero 0
		.amdhsa_exception_fp_ieee_overflow 0
		.amdhsa_exception_fp_ieee_underflow 0
		.amdhsa_exception_fp_ieee_inexact 0
		.amdhsa_exception_int_div_zero 0
	.end_amdhsa_kernel
	.section	.text._ZL32rocblas_syrkx_herkx_small_kernelIidLi16ELb0ELb0ELc78ELc85EKPKdKPdEviT_T0_PT6_S5_lS8_S5_lS6_PT7_S5_li,"axG",@progbits,_ZL32rocblas_syrkx_herkx_small_kernelIidLi16ELb0ELb0ELc78ELc85EKPKdKPdEviT_T0_PT6_S5_lS8_S5_lS6_PT7_S5_li,comdat
.Lfunc_end600:
	.size	_ZL32rocblas_syrkx_herkx_small_kernelIidLi16ELb0ELb0ELc78ELc85EKPKdKPdEviT_T0_PT6_S5_lS8_S5_lS6_PT7_S5_li, .Lfunc_end600-_ZL32rocblas_syrkx_herkx_small_kernelIidLi16ELb0ELb0ELc78ELc85EKPKdKPdEviT_T0_PT6_S5_lS8_S5_lS6_PT7_S5_li
                                        ; -- End function
	.set _ZL32rocblas_syrkx_herkx_small_kernelIidLi16ELb0ELb0ELc78ELc85EKPKdKPdEviT_T0_PT6_S5_lS8_S5_lS6_PT7_S5_li.num_vgpr, 31
	.set _ZL32rocblas_syrkx_herkx_small_kernelIidLi16ELb0ELb0ELc78ELc85EKPKdKPdEviT_T0_PT6_S5_lS8_S5_lS6_PT7_S5_li.num_agpr, 0
	.set _ZL32rocblas_syrkx_herkx_small_kernelIidLi16ELb0ELb0ELc78ELc85EKPKdKPdEviT_T0_PT6_S5_lS8_S5_lS6_PT7_S5_li.numbered_sgpr, 24
	.set _ZL32rocblas_syrkx_herkx_small_kernelIidLi16ELb0ELb0ELc78ELc85EKPKdKPdEviT_T0_PT6_S5_lS8_S5_lS6_PT7_S5_li.num_named_barrier, 0
	.set _ZL32rocblas_syrkx_herkx_small_kernelIidLi16ELb0ELb0ELc78ELc85EKPKdKPdEviT_T0_PT6_S5_lS8_S5_lS6_PT7_S5_li.private_seg_size, 0
	.set _ZL32rocblas_syrkx_herkx_small_kernelIidLi16ELb0ELb0ELc78ELc85EKPKdKPdEviT_T0_PT6_S5_lS8_S5_lS6_PT7_S5_li.uses_vcc, 1
	.set _ZL32rocblas_syrkx_herkx_small_kernelIidLi16ELb0ELb0ELc78ELc85EKPKdKPdEviT_T0_PT6_S5_lS8_S5_lS6_PT7_S5_li.uses_flat_scratch, 0
	.set _ZL32rocblas_syrkx_herkx_small_kernelIidLi16ELb0ELb0ELc78ELc85EKPKdKPdEviT_T0_PT6_S5_lS8_S5_lS6_PT7_S5_li.has_dyn_sized_stack, 0
	.set _ZL32rocblas_syrkx_herkx_small_kernelIidLi16ELb0ELb0ELc78ELc85EKPKdKPdEviT_T0_PT6_S5_lS8_S5_lS6_PT7_S5_li.has_recursion, 0
	.set _ZL32rocblas_syrkx_herkx_small_kernelIidLi16ELb0ELb0ELc78ELc85EKPKdKPdEviT_T0_PT6_S5_lS8_S5_lS6_PT7_S5_li.has_indirect_call, 0
	.section	.AMDGPU.csdata,"",@progbits
; Kernel info:
; codeLenInByte = 928
; TotalNumSgprs: 28
; NumVgprs: 31
; ScratchSize: 0
; MemoryBound: 0
; FloatMode: 240
; IeeeMode: 1
; LDSByteSize: 4096 bytes/workgroup (compile time only)
; SGPRBlocks: 3
; VGPRBlocks: 7
; NumSGPRsForWavesPerEU: 28
; NumVGPRsForWavesPerEU: 31
; Occupancy: 8
; WaveLimiterHint : 1
; COMPUTE_PGM_RSRC2:SCRATCH_EN: 0
; COMPUTE_PGM_RSRC2:USER_SGPR: 6
; COMPUTE_PGM_RSRC2:TRAP_HANDLER: 0
; COMPUTE_PGM_RSRC2:TGID_X_EN: 1
; COMPUTE_PGM_RSRC2:TGID_Y_EN: 1
; COMPUTE_PGM_RSRC2:TGID_Z_EN: 1
; COMPUTE_PGM_RSRC2:TIDIG_COMP_CNT: 1
	.section	.text._ZL34rocblas_syrkx_herkx_general_kernelIidLi16ELi32ELi8ELb1ELb0ELc84ELc76EKPKdKPdEviT_T0_PT8_S5_lS8_S5_lS6_PT9_S5_li,"axG",@progbits,_ZL34rocblas_syrkx_herkx_general_kernelIidLi16ELi32ELi8ELb1ELb0ELc84ELc76EKPKdKPdEviT_T0_PT8_S5_lS8_S5_lS6_PT9_S5_li,comdat
	.globl	_ZL34rocblas_syrkx_herkx_general_kernelIidLi16ELi32ELi8ELb1ELb0ELc84ELc76EKPKdKPdEviT_T0_PT8_S5_lS8_S5_lS6_PT9_S5_li ; -- Begin function _ZL34rocblas_syrkx_herkx_general_kernelIidLi16ELi32ELi8ELb1ELb0ELc84ELc76EKPKdKPdEviT_T0_PT8_S5_lS8_S5_lS6_PT9_S5_li
	.p2align	8
	.type	_ZL34rocblas_syrkx_herkx_general_kernelIidLi16ELi32ELi8ELb1ELb0ELc84ELc76EKPKdKPdEviT_T0_PT8_S5_lS8_S5_lS6_PT9_S5_li,@function
_ZL34rocblas_syrkx_herkx_general_kernelIidLi16ELi32ELi8ELb1ELb0ELc84ELc76EKPKdKPdEviT_T0_PT8_S5_lS8_S5_lS6_PT9_S5_li: ; @_ZL34rocblas_syrkx_herkx_general_kernelIidLi16ELi32ELi8ELb1ELb0ELc84ELc76EKPKdKPdEviT_T0_PT8_S5_lS8_S5_lS6_PT9_S5_li
; %bb.0:
	s_load_dwordx2 s[2:3], s[4:5], 0x48
	s_load_dwordx2 s[16:17], s[4:5], 0x0
	s_load_dwordx4 s[12:15], s[4:5], 0x8
	s_mov_b32 s9, 0
	s_lshl_b64 s[0:1], s[8:9], 3
	s_waitcnt lgkmcnt(0)
	s_add_u32 s2, s2, s0
	s_addc_u32 s3, s3, s1
	s_load_dwordx2 s[10:11], s[2:3], 0x0
	s_lshl_b32 s6, s6, 5
	s_lshl_b32 s7, s7, 5
	s_cmp_lt_i32 s17, 1
	s_cbranch_scc1 .LBB601_7
; %bb.1:
	s_load_dword s8, s[4:5], 0x18
	s_load_dwordx2 s[2:3], s[4:5], 0x28
	s_load_dword s20, s[4:5], 0x30
	v_lshl_add_u32 v2, v1, 4, v0
	v_lshrrev_b32_e32 v17, 5, v2
	v_lshrrev_b32_e32 v3, 3, v2
	v_and_b32_e32 v2, 31, v2
	v_and_b32_e32 v16, 7, v0
	v_or_b32_e32 v5, s6, v2
	s_waitcnt lgkmcnt(0)
	s_add_u32 s2, s2, s0
	s_addc_u32 s3, s3, s1
	v_cmp_gt_i32_e32 vcc, s16, v5
	v_lshlrev_b32_e32 v5, 3, v2
	v_lshlrev_b32_e32 v6, 3, v16
	v_add_u32_e32 v2, s6, v2
	v_add_u32_e32 v4, s7, v3
	s_load_dwordx2 s[18:19], s[2:3], 0x0
	v_lshl_or_b32 v18, v17, 8, v5
	v_lshl_or_b32 v5, v3, 6, v6
	v_mad_i64_i32 v[2:3], s[2:3], s8, v2, 0
	s_add_u32 s0, s14, s0
	s_addc_u32 s1, s15, s1
	v_lshlrev_b64 v[2:3], 3, v[2:3]
	v_add_u32_e32 v19, 0x800, v5
	v_lshlrev_b32_e32 v5, 3, v17
	s_load_dwordx2 s[14:15], s[0:1], 0x0
	v_add_co_u32_e64 v5, s[2:3], v2, v5
	v_addc_co_u32_e64 v7, s[2:3], 0, v3, s[2:3]
	v_mad_i64_i32 v[2:3], s[2:3], s20, v4, 0
	v_cmp_gt_i32_e64 s[0:1], s16, v4
	s_waitcnt lgkmcnt(0)
	v_mov_b32_e32 v8, s15
	v_add_co_u32_e64 v4, s[2:3], s14, v5
	v_lshlrev_b64 v[2:3], 3, v[2:3]
	v_addc_co_u32_e64 v5, s[2:3], v8, v7, s[2:3]
	v_add_co_u32_e64 v2, s[2:3], v2, v6
	v_addc_co_u32_e64 v3, s[2:3], 0, v3, s[2:3]
	v_mov_b32_e32 v7, s19
	v_add_co_u32_e64 v6, s[2:3], s18, v2
	v_mov_b32_e32 v14, 0x800
	v_addc_co_u32_e64 v7, s[2:3], v7, v3, s[2:3]
	v_mov_b32_e32 v2, 0
	v_mov_b32_e32 v8, 0
	;; [unrolled: 1-line block ×4, first 2 shown]
	v_lshlrev_b32_e32 v20, 3, v0
	v_mov_b32_e32 v3, 0
	v_mov_b32_e32 v9, 0
	;; [unrolled: 1-line block ×4, first 2 shown]
	v_lshl_add_u32 v21, v1, 6, v14
	s_branch .LBB601_3
.LBB601_2:                              ;   in Loop: Header=BB601_3 Depth=1
	s_or_b64 exec, exec, s[2:3]
	s_waitcnt vmcnt(0) lgkmcnt(0)
	ds_write_b64 v19, v[14:15]
	s_waitcnt lgkmcnt(0)
	s_barrier
	ds_read2_b64 v[22:25], v20 offset1:16
	ds_read_b128 v[26:29], v21
	ds_read_b128 v[30:33], v21 offset:1024
	ds_read_b128 v[34:37], v21 offset:16
	v_add_co_u32_e64 v4, s[2:3], 64, v4
	s_waitcnt lgkmcnt(2)
	v_fma_f64 v[14:15], v[22:23], v[26:27], v[12:13]
	v_fma_f64 v[26:27], v[24:25], v[26:27], v[10:11]
	s_waitcnt lgkmcnt(1)
	v_fma_f64 v[8:9], v[22:23], v[30:31], v[8:9]
	v_fma_f64 v[2:3], v[24:25], v[30:31], v[2:3]
	ds_read2_b64 v[22:25], v20 offset0:32 offset1:48
	ds_read_b128 v[10:13], v21 offset:1040
	v_addc_co_u32_e64 v5, s[2:3], 0, v5, s[2:3]
	s_add_i32 s9, s9, 8
	s_waitcnt lgkmcnt(1)
	v_fma_f64 v[14:15], v[22:23], v[28:29], v[14:15]
	v_fma_f64 v[26:27], v[24:25], v[28:29], v[26:27]
	;; [unrolled: 1-line block ×4, first 2 shown]
	ds_read2_b64 v[22:25], v20 offset0:64 offset1:80
	v_add_co_u32_e64 v6, s[2:3], 64, v6
	s_cmp_ge_i32 s9, s17
	v_addc_co_u32_e64 v7, s[2:3], 0, v7, s[2:3]
	s_waitcnt lgkmcnt(0)
	v_fma_f64 v[14:15], v[22:23], v[34:35], v[14:15]
	v_fma_f64 v[30:31], v[24:25], v[34:35], v[26:27]
	;; [unrolled: 1-line block ×4, first 2 shown]
	ds_read2_b64 v[26:29], v20 offset0:96 offset1:112
	ds_read2_b64 v[8:11], v20 offset0:128 offset1:144
	ds_read_b128 v[22:25], v21 offset:32
	s_waitcnt lgkmcnt(2)
	v_fma_f64 v[34:35], v[26:27], v[36:37], v[14:15]
	v_fma_f64 v[30:31], v[28:29], v[36:37], v[30:31]
	;; [unrolled: 1-line block ×4, first 2 shown]
	ds_read_b128 v[12:15], v21 offset:1056
	ds_read_b128 v[26:29], v21 offset:48
	s_waitcnt lgkmcnt(2)
	v_fma_f64 v[34:35], v[8:9], v[22:23], v[34:35]
	v_fma_f64 v[22:23], v[10:11], v[22:23], v[30:31]
	s_waitcnt lgkmcnt(1)
	v_fma_f64 v[36:37], v[8:9], v[12:13], v[36:37]
	v_fma_f64 v[2:3], v[10:11], v[12:13], v[2:3]
	ds_read2_b64 v[8:11], v20 offset0:160 offset1:176
	ds_read_b128 v[30:33], v21 offset:1072
	s_waitcnt lgkmcnt(1)
	v_fma_f64 v[12:13], v[8:9], v[24:25], v[34:35]
	v_fma_f64 v[34:35], v[10:11], v[24:25], v[22:23]
	;; [unrolled: 1-line block ×4, first 2 shown]
	ds_read2_b64 v[8:11], v20 offset0:192 offset1:208
	ds_read2_b64 v[22:25], v20 offset0:224 offset1:240
	s_waitcnt lgkmcnt(0)
	s_barrier
	v_fma_f64 v[12:13], v[8:9], v[26:27], v[12:13]
	v_fma_f64 v[14:15], v[10:11], v[26:27], v[34:35]
	;; [unrolled: 1-line block ×8, first 2 shown]
	s_cbranch_scc1 .LBB601_8
.LBB601_3:                              ; =>This Inner Loop Header: Depth=1
	v_add_u32_e32 v14, s9, v17
	v_cmp_gt_i32_e64 s[2:3], s17, v14
	v_mov_b32_e32 v14, 0
	v_mov_b32_e32 v15, 0
	s_and_b64 s[14:15], vcc, s[2:3]
	s_and_saveexec_b64 s[2:3], s[14:15]
	s_cbranch_execz .LBB601_5
; %bb.4:                                ;   in Loop: Header=BB601_3 Depth=1
	flat_load_dwordx2 v[14:15], v[4:5]
.LBB601_5:                              ;   in Loop: Header=BB601_3 Depth=1
	s_or_b64 exec, exec, s[2:3]
	s_waitcnt vmcnt(0) lgkmcnt(0)
	ds_write_b64 v18, v[14:15]
	v_add_u32_e32 v14, s9, v16
	v_cmp_gt_i32_e64 s[2:3], s17, v14
	v_mov_b32_e32 v14, 0
	v_mov_b32_e32 v15, 0
	s_and_b64 s[14:15], s[2:3], s[0:1]
	s_and_saveexec_b64 s[2:3], s[14:15]
	s_cbranch_execz .LBB601_2
; %bb.6:                                ;   in Loop: Header=BB601_3 Depth=1
	flat_load_dwordx2 v[14:15], v[6:7]
	s_branch .LBB601_2
.LBB601_7:
	v_mov_b32_e32 v12, 0
	v_mov_b32_e32 v10, 0
	;; [unrolled: 1-line block ×8, first 2 shown]
.LBB601_8:
	s_load_dword s8, s[4:5], 0x50
	v_add_u32_e32 v6, s7, v1
	s_waitcnt lgkmcnt(0)
	v_mov_b32_e32 v1, s11
	v_add_u32_e32 v0, s6, v0
	v_mad_i64_i32 v[4:5], s[0:1], v6, s8, 0
	v_cmp_le_i32_e64 s[0:1], v6, v0
	v_lshlrev_b64 v[4:5], 3, v[4:5]
	v_add_co_u32_e32 v7, vcc, s10, v4
	v_addc_co_u32_e32 v14, vcc, v1, v5, vcc
	v_cmp_gt_i32_e32 vcc, s16, v0
	s_and_b64 s[0:1], s[0:1], vcc
	s_and_saveexec_b64 s[2:3], s[0:1]
	s_cbranch_execz .LBB601_10
; %bb.9:
	v_mul_f64 v[4:5], s[12:13], v[12:13]
	v_ashrrev_i32_e32 v1, 31, v0
	v_lshlrev_b64 v[12:13], 3, v[0:1]
	v_add_co_u32_e64 v12, s[0:1], v7, v12
	v_addc_co_u32_e64 v13, s[0:1], v14, v13, s[0:1]
	flat_store_dwordx2 v[12:13], v[4:5]
.LBB601_10:
	s_or_b64 exec, exec, s[2:3]
	v_add_u32_e32 v4, 16, v0
	v_cmp_le_i32_e64 s[2:3], v6, v4
	v_cmp_gt_i32_e64 s[0:1], s16, v4
	s_and_b64 s[2:3], s[2:3], s[0:1]
	s_and_saveexec_b64 s[4:5], s[2:3]
	s_cbranch_execz .LBB601_12
; %bb.11:
	v_mul_f64 v[10:11], s[12:13], v[10:11]
	v_ashrrev_i32_e32 v5, 31, v4
	v_lshlrev_b64 v[12:13], 3, v[4:5]
	v_add_co_u32_e64 v12, s[2:3], v7, v12
	v_addc_co_u32_e64 v13, s[2:3], v14, v13, s[2:3]
	flat_store_dwordx2 v[12:13], v[10:11]
.LBB601_12:
	s_or_b64 exec, exec, s[4:5]
	v_add_u32_e32 v5, 16, v6
	v_mad_i64_i32 v[6:7], s[2:3], v5, s8, 0
	v_mov_b32_e32 v1, s11
	v_lshlrev_b64 v[6:7], 3, v[6:7]
	v_add_co_u32_e64 v6, s[2:3], s10, v6
	v_addc_co_u32_e64 v7, s[2:3], v1, v7, s[2:3]
	v_cmp_le_i32_e64 s[2:3], v5, v0
	s_and_b64 s[4:5], s[2:3], vcc
	s_and_saveexec_b64 s[2:3], s[4:5]
	s_cbranch_execz .LBB601_14
; %bb.13:
	v_mul_f64 v[8:9], s[12:13], v[8:9]
	v_ashrrev_i32_e32 v1, 31, v0
	v_lshlrev_b64 v[0:1], 3, v[0:1]
	v_add_co_u32_e32 v0, vcc, v6, v0
	v_addc_co_u32_e32 v1, vcc, v7, v1, vcc
	flat_store_dwordx2 v[0:1], v[8:9]
.LBB601_14:
	s_or_b64 exec, exec, s[2:3]
	v_cmp_le_i32_e32 vcc, v5, v4
	s_and_b64 s[0:1], vcc, s[0:1]
	s_and_saveexec_b64 s[2:3], s[0:1]
	s_cbranch_execz .LBB601_16
; %bb.15:
	v_mul_f64 v[0:1], s[12:13], v[2:3]
	v_ashrrev_i32_e32 v5, 31, v4
	v_lshlrev_b64 v[2:3], 3, v[4:5]
	v_add_co_u32_e32 v2, vcc, v6, v2
	v_addc_co_u32_e32 v3, vcc, v7, v3, vcc
	flat_store_dwordx2 v[2:3], v[0:1]
.LBB601_16:
	s_endpgm
	.section	.rodata,"a",@progbits
	.p2align	6, 0x0
	.amdhsa_kernel _ZL34rocblas_syrkx_herkx_general_kernelIidLi16ELi32ELi8ELb1ELb0ELc84ELc76EKPKdKPdEviT_T0_PT8_S5_lS8_S5_lS6_PT9_S5_li
		.amdhsa_group_segment_fixed_size 4096
		.amdhsa_private_segment_fixed_size 0
		.amdhsa_kernarg_size 100
		.amdhsa_user_sgpr_count 6
		.amdhsa_user_sgpr_private_segment_buffer 1
		.amdhsa_user_sgpr_dispatch_ptr 0
		.amdhsa_user_sgpr_queue_ptr 0
		.amdhsa_user_sgpr_kernarg_segment_ptr 1
		.amdhsa_user_sgpr_dispatch_id 0
		.amdhsa_user_sgpr_flat_scratch_init 0
		.amdhsa_user_sgpr_private_segment_size 0
		.amdhsa_uses_dynamic_stack 0
		.amdhsa_system_sgpr_private_segment_wavefront_offset 0
		.amdhsa_system_sgpr_workgroup_id_x 1
		.amdhsa_system_sgpr_workgroup_id_y 1
		.amdhsa_system_sgpr_workgroup_id_z 1
		.amdhsa_system_sgpr_workgroup_info 0
		.amdhsa_system_vgpr_workitem_id 1
		.amdhsa_next_free_vgpr 38
		.amdhsa_next_free_sgpr 21
		.amdhsa_reserve_vcc 1
		.amdhsa_reserve_flat_scratch 0
		.amdhsa_float_round_mode_32 0
		.amdhsa_float_round_mode_16_64 0
		.amdhsa_float_denorm_mode_32 3
		.amdhsa_float_denorm_mode_16_64 3
		.amdhsa_dx10_clamp 1
		.amdhsa_ieee_mode 1
		.amdhsa_fp16_overflow 0
		.amdhsa_exception_fp_ieee_invalid_op 0
		.amdhsa_exception_fp_denorm_src 0
		.amdhsa_exception_fp_ieee_div_zero 0
		.amdhsa_exception_fp_ieee_overflow 0
		.amdhsa_exception_fp_ieee_underflow 0
		.amdhsa_exception_fp_ieee_inexact 0
		.amdhsa_exception_int_div_zero 0
	.end_amdhsa_kernel
	.section	.text._ZL34rocblas_syrkx_herkx_general_kernelIidLi16ELi32ELi8ELb1ELb0ELc84ELc76EKPKdKPdEviT_T0_PT8_S5_lS8_S5_lS6_PT9_S5_li,"axG",@progbits,_ZL34rocblas_syrkx_herkx_general_kernelIidLi16ELi32ELi8ELb1ELb0ELc84ELc76EKPKdKPdEviT_T0_PT8_S5_lS8_S5_lS6_PT9_S5_li,comdat
.Lfunc_end601:
	.size	_ZL34rocblas_syrkx_herkx_general_kernelIidLi16ELi32ELi8ELb1ELb0ELc84ELc76EKPKdKPdEviT_T0_PT8_S5_lS8_S5_lS6_PT9_S5_li, .Lfunc_end601-_ZL34rocblas_syrkx_herkx_general_kernelIidLi16ELi32ELi8ELb1ELb0ELc84ELc76EKPKdKPdEviT_T0_PT8_S5_lS8_S5_lS6_PT9_S5_li
                                        ; -- End function
	.set _ZL34rocblas_syrkx_herkx_general_kernelIidLi16ELi32ELi8ELb1ELb0ELc84ELc76EKPKdKPdEviT_T0_PT8_S5_lS8_S5_lS6_PT9_S5_li.num_vgpr, 38
	.set _ZL34rocblas_syrkx_herkx_general_kernelIidLi16ELi32ELi8ELb1ELb0ELc84ELc76EKPKdKPdEviT_T0_PT8_S5_lS8_S5_lS6_PT9_S5_li.num_agpr, 0
	.set _ZL34rocblas_syrkx_herkx_general_kernelIidLi16ELi32ELi8ELb1ELb0ELc84ELc76EKPKdKPdEviT_T0_PT8_S5_lS8_S5_lS6_PT9_S5_li.numbered_sgpr, 21
	.set _ZL34rocblas_syrkx_herkx_general_kernelIidLi16ELi32ELi8ELb1ELb0ELc84ELc76EKPKdKPdEviT_T0_PT8_S5_lS8_S5_lS6_PT9_S5_li.num_named_barrier, 0
	.set _ZL34rocblas_syrkx_herkx_general_kernelIidLi16ELi32ELi8ELb1ELb0ELc84ELc76EKPKdKPdEviT_T0_PT8_S5_lS8_S5_lS6_PT9_S5_li.private_seg_size, 0
	.set _ZL34rocblas_syrkx_herkx_general_kernelIidLi16ELi32ELi8ELb1ELb0ELc84ELc76EKPKdKPdEviT_T0_PT8_S5_lS8_S5_lS6_PT9_S5_li.uses_vcc, 1
	.set _ZL34rocblas_syrkx_herkx_general_kernelIidLi16ELi32ELi8ELb1ELb0ELc84ELc76EKPKdKPdEviT_T0_PT8_S5_lS8_S5_lS6_PT9_S5_li.uses_flat_scratch, 0
	.set _ZL34rocblas_syrkx_herkx_general_kernelIidLi16ELi32ELi8ELb1ELb0ELc84ELc76EKPKdKPdEviT_T0_PT8_S5_lS8_S5_lS6_PT9_S5_li.has_dyn_sized_stack, 0
	.set _ZL34rocblas_syrkx_herkx_general_kernelIidLi16ELi32ELi8ELb1ELb0ELc84ELc76EKPKdKPdEviT_T0_PT8_S5_lS8_S5_lS6_PT9_S5_li.has_recursion, 0
	.set _ZL34rocblas_syrkx_herkx_general_kernelIidLi16ELi32ELi8ELb1ELb0ELc84ELc76EKPKdKPdEviT_T0_PT8_S5_lS8_S5_lS6_PT9_S5_li.has_indirect_call, 0
	.section	.AMDGPU.csdata,"",@progbits
; Kernel info:
; codeLenInByte = 1356
; TotalNumSgprs: 25
; NumVgprs: 38
; ScratchSize: 0
; MemoryBound: 0
; FloatMode: 240
; IeeeMode: 1
; LDSByteSize: 4096 bytes/workgroup (compile time only)
; SGPRBlocks: 3
; VGPRBlocks: 9
; NumSGPRsForWavesPerEU: 25
; NumVGPRsForWavesPerEU: 38
; Occupancy: 6
; WaveLimiterHint : 1
; COMPUTE_PGM_RSRC2:SCRATCH_EN: 0
; COMPUTE_PGM_RSRC2:USER_SGPR: 6
; COMPUTE_PGM_RSRC2:TRAP_HANDLER: 0
; COMPUTE_PGM_RSRC2:TGID_X_EN: 1
; COMPUTE_PGM_RSRC2:TGID_Y_EN: 1
; COMPUTE_PGM_RSRC2:TGID_Z_EN: 1
; COMPUTE_PGM_RSRC2:TIDIG_COMP_CNT: 1
	.section	.text._ZL34rocblas_syrkx_herkx_general_kernelIidLi16ELi32ELi8ELb1ELb0ELc67ELc76EKPKdKPdEviT_T0_PT8_S5_lS8_S5_lS6_PT9_S5_li,"axG",@progbits,_ZL34rocblas_syrkx_herkx_general_kernelIidLi16ELi32ELi8ELb1ELb0ELc67ELc76EKPKdKPdEviT_T0_PT8_S5_lS8_S5_lS6_PT9_S5_li,comdat
	.globl	_ZL34rocblas_syrkx_herkx_general_kernelIidLi16ELi32ELi8ELb1ELb0ELc67ELc76EKPKdKPdEviT_T0_PT8_S5_lS8_S5_lS6_PT9_S5_li ; -- Begin function _ZL34rocblas_syrkx_herkx_general_kernelIidLi16ELi32ELi8ELb1ELb0ELc67ELc76EKPKdKPdEviT_T0_PT8_S5_lS8_S5_lS6_PT9_S5_li
	.p2align	8
	.type	_ZL34rocblas_syrkx_herkx_general_kernelIidLi16ELi32ELi8ELb1ELb0ELc67ELc76EKPKdKPdEviT_T0_PT8_S5_lS8_S5_lS6_PT9_S5_li,@function
_ZL34rocblas_syrkx_herkx_general_kernelIidLi16ELi32ELi8ELb1ELb0ELc67ELc76EKPKdKPdEviT_T0_PT8_S5_lS8_S5_lS6_PT9_S5_li: ; @_ZL34rocblas_syrkx_herkx_general_kernelIidLi16ELi32ELi8ELb1ELb0ELc67ELc76EKPKdKPdEviT_T0_PT8_S5_lS8_S5_lS6_PT9_S5_li
; %bb.0:
	s_load_dwordx2 s[2:3], s[4:5], 0x48
	s_load_dwordx2 s[16:17], s[4:5], 0x0
	s_load_dwordx4 s[12:15], s[4:5], 0x8
	s_mov_b32 s9, 0
	s_lshl_b64 s[0:1], s[8:9], 3
	s_waitcnt lgkmcnt(0)
	s_add_u32 s2, s2, s0
	s_addc_u32 s3, s3, s1
	s_load_dwordx2 s[10:11], s[2:3], 0x0
	s_lshl_b32 s6, s6, 5
	s_lshl_b32 s7, s7, 5
	s_cmp_lt_i32 s17, 1
	s_cbranch_scc1 .LBB602_7
; %bb.1:
	s_load_dword s8, s[4:5], 0x18
	s_load_dwordx2 s[2:3], s[4:5], 0x28
	s_load_dword s20, s[4:5], 0x30
	v_lshl_add_u32 v2, v1, 4, v0
	v_lshrrev_b32_e32 v17, 5, v2
	v_lshrrev_b32_e32 v3, 3, v2
	v_and_b32_e32 v2, 31, v2
	v_and_b32_e32 v16, 7, v0
	v_or_b32_e32 v5, s6, v2
	s_waitcnt lgkmcnt(0)
	s_add_u32 s2, s2, s0
	s_addc_u32 s3, s3, s1
	v_cmp_gt_i32_e32 vcc, s16, v5
	v_lshlrev_b32_e32 v5, 3, v2
	v_lshlrev_b32_e32 v6, 3, v16
	v_add_u32_e32 v2, s6, v2
	v_add_u32_e32 v4, s7, v3
	s_load_dwordx2 s[18:19], s[2:3], 0x0
	v_lshl_or_b32 v18, v17, 8, v5
	v_lshl_or_b32 v5, v3, 6, v6
	v_mad_i64_i32 v[2:3], s[2:3], s8, v2, 0
	s_add_u32 s0, s14, s0
	s_addc_u32 s1, s15, s1
	v_lshlrev_b64 v[2:3], 3, v[2:3]
	v_add_u32_e32 v19, 0x800, v5
	v_lshlrev_b32_e32 v5, 3, v17
	s_load_dwordx2 s[14:15], s[0:1], 0x0
	v_add_co_u32_e64 v5, s[2:3], v2, v5
	v_addc_co_u32_e64 v7, s[2:3], 0, v3, s[2:3]
	v_mad_i64_i32 v[2:3], s[2:3], s20, v4, 0
	v_cmp_gt_i32_e64 s[0:1], s16, v4
	s_waitcnt lgkmcnt(0)
	v_mov_b32_e32 v8, s15
	v_add_co_u32_e64 v4, s[2:3], s14, v5
	v_lshlrev_b64 v[2:3], 3, v[2:3]
	v_addc_co_u32_e64 v5, s[2:3], v8, v7, s[2:3]
	v_add_co_u32_e64 v2, s[2:3], v2, v6
	v_addc_co_u32_e64 v3, s[2:3], 0, v3, s[2:3]
	v_mov_b32_e32 v7, s19
	v_add_co_u32_e64 v6, s[2:3], s18, v2
	v_mov_b32_e32 v14, 0x800
	v_addc_co_u32_e64 v7, s[2:3], v7, v3, s[2:3]
	v_mov_b32_e32 v2, 0
	v_mov_b32_e32 v8, 0
	;; [unrolled: 1-line block ×4, first 2 shown]
	v_lshlrev_b32_e32 v20, 3, v0
	v_mov_b32_e32 v3, 0
	v_mov_b32_e32 v9, 0
	v_mov_b32_e32 v11, 0
	v_mov_b32_e32 v13, 0
	v_lshl_add_u32 v21, v1, 6, v14
	s_branch .LBB602_3
.LBB602_2:                              ;   in Loop: Header=BB602_3 Depth=1
	s_or_b64 exec, exec, s[2:3]
	s_waitcnt vmcnt(0) lgkmcnt(0)
	ds_write_b64 v19, v[14:15]
	s_waitcnt lgkmcnt(0)
	s_barrier
	ds_read2_b64 v[22:25], v20 offset1:16
	ds_read_b128 v[26:29], v21
	ds_read_b128 v[30:33], v21 offset:1024
	ds_read_b128 v[34:37], v21 offset:16
	v_add_co_u32_e64 v4, s[2:3], 64, v4
	s_waitcnt lgkmcnt(2)
	v_fma_f64 v[14:15], v[22:23], v[26:27], v[12:13]
	v_fma_f64 v[26:27], v[24:25], v[26:27], v[10:11]
	s_waitcnt lgkmcnt(1)
	v_fma_f64 v[8:9], v[22:23], v[30:31], v[8:9]
	v_fma_f64 v[2:3], v[24:25], v[30:31], v[2:3]
	ds_read2_b64 v[22:25], v20 offset0:32 offset1:48
	ds_read_b128 v[10:13], v21 offset:1040
	v_addc_co_u32_e64 v5, s[2:3], 0, v5, s[2:3]
	s_add_i32 s9, s9, 8
	s_waitcnt lgkmcnt(1)
	v_fma_f64 v[14:15], v[22:23], v[28:29], v[14:15]
	v_fma_f64 v[26:27], v[24:25], v[28:29], v[26:27]
	;; [unrolled: 1-line block ×4, first 2 shown]
	ds_read2_b64 v[22:25], v20 offset0:64 offset1:80
	v_add_co_u32_e64 v6, s[2:3], 64, v6
	s_cmp_ge_i32 s9, s17
	v_addc_co_u32_e64 v7, s[2:3], 0, v7, s[2:3]
	s_waitcnt lgkmcnt(0)
	v_fma_f64 v[14:15], v[22:23], v[34:35], v[14:15]
	v_fma_f64 v[30:31], v[24:25], v[34:35], v[26:27]
	;; [unrolled: 1-line block ×4, first 2 shown]
	ds_read2_b64 v[26:29], v20 offset0:96 offset1:112
	ds_read2_b64 v[8:11], v20 offset0:128 offset1:144
	ds_read_b128 v[22:25], v21 offset:32
	s_waitcnt lgkmcnt(2)
	v_fma_f64 v[34:35], v[26:27], v[36:37], v[14:15]
	v_fma_f64 v[30:31], v[28:29], v[36:37], v[30:31]
	;; [unrolled: 1-line block ×4, first 2 shown]
	ds_read_b128 v[12:15], v21 offset:1056
	ds_read_b128 v[26:29], v21 offset:48
	s_waitcnt lgkmcnt(2)
	v_fma_f64 v[34:35], v[8:9], v[22:23], v[34:35]
	v_fma_f64 v[22:23], v[10:11], v[22:23], v[30:31]
	s_waitcnt lgkmcnt(1)
	v_fma_f64 v[36:37], v[8:9], v[12:13], v[36:37]
	v_fma_f64 v[2:3], v[10:11], v[12:13], v[2:3]
	ds_read2_b64 v[8:11], v20 offset0:160 offset1:176
	ds_read_b128 v[30:33], v21 offset:1072
	s_waitcnt lgkmcnt(1)
	v_fma_f64 v[12:13], v[8:9], v[24:25], v[34:35]
	v_fma_f64 v[34:35], v[10:11], v[24:25], v[22:23]
	;; [unrolled: 1-line block ×4, first 2 shown]
	ds_read2_b64 v[8:11], v20 offset0:192 offset1:208
	ds_read2_b64 v[22:25], v20 offset0:224 offset1:240
	s_waitcnt lgkmcnt(0)
	s_barrier
	v_fma_f64 v[12:13], v[8:9], v[26:27], v[12:13]
	v_fma_f64 v[14:15], v[10:11], v[26:27], v[34:35]
	;; [unrolled: 1-line block ×8, first 2 shown]
	s_cbranch_scc1 .LBB602_8
.LBB602_3:                              ; =>This Inner Loop Header: Depth=1
	v_add_u32_e32 v14, s9, v17
	v_cmp_gt_i32_e64 s[2:3], s17, v14
	v_mov_b32_e32 v14, 0
	v_mov_b32_e32 v15, 0
	s_and_b64 s[14:15], vcc, s[2:3]
	s_and_saveexec_b64 s[2:3], s[14:15]
	s_cbranch_execz .LBB602_5
; %bb.4:                                ;   in Loop: Header=BB602_3 Depth=1
	flat_load_dwordx2 v[14:15], v[4:5]
.LBB602_5:                              ;   in Loop: Header=BB602_3 Depth=1
	s_or_b64 exec, exec, s[2:3]
	s_waitcnt vmcnt(0) lgkmcnt(0)
	ds_write_b64 v18, v[14:15]
	v_add_u32_e32 v14, s9, v16
	v_cmp_gt_i32_e64 s[2:3], s17, v14
	v_mov_b32_e32 v14, 0
	v_mov_b32_e32 v15, 0
	s_and_b64 s[14:15], s[2:3], s[0:1]
	s_and_saveexec_b64 s[2:3], s[14:15]
	s_cbranch_execz .LBB602_2
; %bb.6:                                ;   in Loop: Header=BB602_3 Depth=1
	flat_load_dwordx2 v[14:15], v[6:7]
	s_branch .LBB602_2
.LBB602_7:
	v_mov_b32_e32 v12, 0
	v_mov_b32_e32 v10, 0
	;; [unrolled: 1-line block ×8, first 2 shown]
.LBB602_8:
	s_load_dword s8, s[4:5], 0x50
	v_add_u32_e32 v6, s7, v1
	s_waitcnt lgkmcnt(0)
	v_mov_b32_e32 v1, s11
	v_add_u32_e32 v0, s6, v0
	v_mad_i64_i32 v[4:5], s[0:1], v6, s8, 0
	v_cmp_le_i32_e64 s[0:1], v6, v0
	v_lshlrev_b64 v[4:5], 3, v[4:5]
	v_add_co_u32_e32 v7, vcc, s10, v4
	v_addc_co_u32_e32 v14, vcc, v1, v5, vcc
	v_cmp_gt_i32_e32 vcc, s16, v0
	s_and_b64 s[0:1], s[0:1], vcc
	s_and_saveexec_b64 s[2:3], s[0:1]
	s_cbranch_execz .LBB602_10
; %bb.9:
	v_mul_f64 v[4:5], s[12:13], v[12:13]
	v_ashrrev_i32_e32 v1, 31, v0
	v_lshlrev_b64 v[12:13], 3, v[0:1]
	v_add_co_u32_e64 v12, s[0:1], v7, v12
	v_addc_co_u32_e64 v13, s[0:1], v14, v13, s[0:1]
	flat_store_dwordx2 v[12:13], v[4:5]
.LBB602_10:
	s_or_b64 exec, exec, s[2:3]
	v_add_u32_e32 v4, 16, v0
	v_cmp_le_i32_e64 s[2:3], v6, v4
	v_cmp_gt_i32_e64 s[0:1], s16, v4
	s_and_b64 s[2:3], s[2:3], s[0:1]
	s_and_saveexec_b64 s[4:5], s[2:3]
	s_cbranch_execz .LBB602_12
; %bb.11:
	v_mul_f64 v[10:11], s[12:13], v[10:11]
	v_ashrrev_i32_e32 v5, 31, v4
	v_lshlrev_b64 v[12:13], 3, v[4:5]
	v_add_co_u32_e64 v12, s[2:3], v7, v12
	v_addc_co_u32_e64 v13, s[2:3], v14, v13, s[2:3]
	flat_store_dwordx2 v[12:13], v[10:11]
.LBB602_12:
	s_or_b64 exec, exec, s[4:5]
	v_add_u32_e32 v5, 16, v6
	v_mad_i64_i32 v[6:7], s[2:3], v5, s8, 0
	v_mov_b32_e32 v1, s11
	v_lshlrev_b64 v[6:7], 3, v[6:7]
	v_add_co_u32_e64 v6, s[2:3], s10, v6
	v_addc_co_u32_e64 v7, s[2:3], v1, v7, s[2:3]
	v_cmp_le_i32_e64 s[2:3], v5, v0
	s_and_b64 s[4:5], s[2:3], vcc
	s_and_saveexec_b64 s[2:3], s[4:5]
	s_cbranch_execz .LBB602_14
; %bb.13:
	v_mul_f64 v[8:9], s[12:13], v[8:9]
	v_ashrrev_i32_e32 v1, 31, v0
	v_lshlrev_b64 v[0:1], 3, v[0:1]
	v_add_co_u32_e32 v0, vcc, v6, v0
	v_addc_co_u32_e32 v1, vcc, v7, v1, vcc
	flat_store_dwordx2 v[0:1], v[8:9]
.LBB602_14:
	s_or_b64 exec, exec, s[2:3]
	v_cmp_le_i32_e32 vcc, v5, v4
	s_and_b64 s[0:1], vcc, s[0:1]
	s_and_saveexec_b64 s[2:3], s[0:1]
	s_cbranch_execz .LBB602_16
; %bb.15:
	v_mul_f64 v[0:1], s[12:13], v[2:3]
	v_ashrrev_i32_e32 v5, 31, v4
	v_lshlrev_b64 v[2:3], 3, v[4:5]
	v_add_co_u32_e32 v2, vcc, v6, v2
	v_addc_co_u32_e32 v3, vcc, v7, v3, vcc
	flat_store_dwordx2 v[2:3], v[0:1]
.LBB602_16:
	s_endpgm
	.section	.rodata,"a",@progbits
	.p2align	6, 0x0
	.amdhsa_kernel _ZL34rocblas_syrkx_herkx_general_kernelIidLi16ELi32ELi8ELb1ELb0ELc67ELc76EKPKdKPdEviT_T0_PT8_S5_lS8_S5_lS6_PT9_S5_li
		.amdhsa_group_segment_fixed_size 4096
		.amdhsa_private_segment_fixed_size 0
		.amdhsa_kernarg_size 100
		.amdhsa_user_sgpr_count 6
		.amdhsa_user_sgpr_private_segment_buffer 1
		.amdhsa_user_sgpr_dispatch_ptr 0
		.amdhsa_user_sgpr_queue_ptr 0
		.amdhsa_user_sgpr_kernarg_segment_ptr 1
		.amdhsa_user_sgpr_dispatch_id 0
		.amdhsa_user_sgpr_flat_scratch_init 0
		.amdhsa_user_sgpr_private_segment_size 0
		.amdhsa_uses_dynamic_stack 0
		.amdhsa_system_sgpr_private_segment_wavefront_offset 0
		.amdhsa_system_sgpr_workgroup_id_x 1
		.amdhsa_system_sgpr_workgroup_id_y 1
		.amdhsa_system_sgpr_workgroup_id_z 1
		.amdhsa_system_sgpr_workgroup_info 0
		.amdhsa_system_vgpr_workitem_id 1
		.amdhsa_next_free_vgpr 38
		.amdhsa_next_free_sgpr 21
		.amdhsa_reserve_vcc 1
		.amdhsa_reserve_flat_scratch 0
		.amdhsa_float_round_mode_32 0
		.amdhsa_float_round_mode_16_64 0
		.amdhsa_float_denorm_mode_32 3
		.amdhsa_float_denorm_mode_16_64 3
		.amdhsa_dx10_clamp 1
		.amdhsa_ieee_mode 1
		.amdhsa_fp16_overflow 0
		.amdhsa_exception_fp_ieee_invalid_op 0
		.amdhsa_exception_fp_denorm_src 0
		.amdhsa_exception_fp_ieee_div_zero 0
		.amdhsa_exception_fp_ieee_overflow 0
		.amdhsa_exception_fp_ieee_underflow 0
		.amdhsa_exception_fp_ieee_inexact 0
		.amdhsa_exception_int_div_zero 0
	.end_amdhsa_kernel
	.section	.text._ZL34rocblas_syrkx_herkx_general_kernelIidLi16ELi32ELi8ELb1ELb0ELc67ELc76EKPKdKPdEviT_T0_PT8_S5_lS8_S5_lS6_PT9_S5_li,"axG",@progbits,_ZL34rocblas_syrkx_herkx_general_kernelIidLi16ELi32ELi8ELb1ELb0ELc67ELc76EKPKdKPdEviT_T0_PT8_S5_lS8_S5_lS6_PT9_S5_li,comdat
.Lfunc_end602:
	.size	_ZL34rocblas_syrkx_herkx_general_kernelIidLi16ELi32ELi8ELb1ELb0ELc67ELc76EKPKdKPdEviT_T0_PT8_S5_lS8_S5_lS6_PT9_S5_li, .Lfunc_end602-_ZL34rocblas_syrkx_herkx_general_kernelIidLi16ELi32ELi8ELb1ELb0ELc67ELc76EKPKdKPdEviT_T0_PT8_S5_lS8_S5_lS6_PT9_S5_li
                                        ; -- End function
	.set _ZL34rocblas_syrkx_herkx_general_kernelIidLi16ELi32ELi8ELb1ELb0ELc67ELc76EKPKdKPdEviT_T0_PT8_S5_lS8_S5_lS6_PT9_S5_li.num_vgpr, 38
	.set _ZL34rocblas_syrkx_herkx_general_kernelIidLi16ELi32ELi8ELb1ELb0ELc67ELc76EKPKdKPdEviT_T0_PT8_S5_lS8_S5_lS6_PT9_S5_li.num_agpr, 0
	.set _ZL34rocblas_syrkx_herkx_general_kernelIidLi16ELi32ELi8ELb1ELb0ELc67ELc76EKPKdKPdEviT_T0_PT8_S5_lS8_S5_lS6_PT9_S5_li.numbered_sgpr, 21
	.set _ZL34rocblas_syrkx_herkx_general_kernelIidLi16ELi32ELi8ELb1ELb0ELc67ELc76EKPKdKPdEviT_T0_PT8_S5_lS8_S5_lS6_PT9_S5_li.num_named_barrier, 0
	.set _ZL34rocblas_syrkx_herkx_general_kernelIidLi16ELi32ELi8ELb1ELb0ELc67ELc76EKPKdKPdEviT_T0_PT8_S5_lS8_S5_lS6_PT9_S5_li.private_seg_size, 0
	.set _ZL34rocblas_syrkx_herkx_general_kernelIidLi16ELi32ELi8ELb1ELb0ELc67ELc76EKPKdKPdEviT_T0_PT8_S5_lS8_S5_lS6_PT9_S5_li.uses_vcc, 1
	.set _ZL34rocblas_syrkx_herkx_general_kernelIidLi16ELi32ELi8ELb1ELb0ELc67ELc76EKPKdKPdEviT_T0_PT8_S5_lS8_S5_lS6_PT9_S5_li.uses_flat_scratch, 0
	.set _ZL34rocblas_syrkx_herkx_general_kernelIidLi16ELi32ELi8ELb1ELb0ELc67ELc76EKPKdKPdEviT_T0_PT8_S5_lS8_S5_lS6_PT9_S5_li.has_dyn_sized_stack, 0
	.set _ZL34rocblas_syrkx_herkx_general_kernelIidLi16ELi32ELi8ELb1ELb0ELc67ELc76EKPKdKPdEviT_T0_PT8_S5_lS8_S5_lS6_PT9_S5_li.has_recursion, 0
	.set _ZL34rocblas_syrkx_herkx_general_kernelIidLi16ELi32ELi8ELb1ELb0ELc67ELc76EKPKdKPdEviT_T0_PT8_S5_lS8_S5_lS6_PT9_S5_li.has_indirect_call, 0
	.section	.AMDGPU.csdata,"",@progbits
; Kernel info:
; codeLenInByte = 1356
; TotalNumSgprs: 25
; NumVgprs: 38
; ScratchSize: 0
; MemoryBound: 0
; FloatMode: 240
; IeeeMode: 1
; LDSByteSize: 4096 bytes/workgroup (compile time only)
; SGPRBlocks: 3
; VGPRBlocks: 9
; NumSGPRsForWavesPerEU: 25
; NumVGPRsForWavesPerEU: 38
; Occupancy: 6
; WaveLimiterHint : 1
; COMPUTE_PGM_RSRC2:SCRATCH_EN: 0
; COMPUTE_PGM_RSRC2:USER_SGPR: 6
; COMPUTE_PGM_RSRC2:TRAP_HANDLER: 0
; COMPUTE_PGM_RSRC2:TGID_X_EN: 1
; COMPUTE_PGM_RSRC2:TGID_Y_EN: 1
; COMPUTE_PGM_RSRC2:TGID_Z_EN: 1
; COMPUTE_PGM_RSRC2:TIDIG_COMP_CNT: 1
	.section	.text._ZL34rocblas_syrkx_herkx_general_kernelIidLi16ELi32ELi8ELb1ELb0ELc78ELc76EKPKdKPdEviT_T0_PT8_S5_lS8_S5_lS6_PT9_S5_li,"axG",@progbits,_ZL34rocblas_syrkx_herkx_general_kernelIidLi16ELi32ELi8ELb1ELb0ELc78ELc76EKPKdKPdEviT_T0_PT8_S5_lS8_S5_lS6_PT9_S5_li,comdat
	.globl	_ZL34rocblas_syrkx_herkx_general_kernelIidLi16ELi32ELi8ELb1ELb0ELc78ELc76EKPKdKPdEviT_T0_PT8_S5_lS8_S5_lS6_PT9_S5_li ; -- Begin function _ZL34rocblas_syrkx_herkx_general_kernelIidLi16ELi32ELi8ELb1ELb0ELc78ELc76EKPKdKPdEviT_T0_PT8_S5_lS8_S5_lS6_PT9_S5_li
	.p2align	8
	.type	_ZL34rocblas_syrkx_herkx_general_kernelIidLi16ELi32ELi8ELb1ELb0ELc78ELc76EKPKdKPdEviT_T0_PT8_S5_lS8_S5_lS6_PT9_S5_li,@function
_ZL34rocblas_syrkx_herkx_general_kernelIidLi16ELi32ELi8ELb1ELb0ELc78ELc76EKPKdKPdEviT_T0_PT8_S5_lS8_S5_lS6_PT9_S5_li: ; @_ZL34rocblas_syrkx_herkx_general_kernelIidLi16ELi32ELi8ELb1ELb0ELc78ELc76EKPKdKPdEviT_T0_PT8_S5_lS8_S5_lS6_PT9_S5_li
; %bb.0:
	s_load_dwordx2 s[2:3], s[4:5], 0x48
	s_load_dwordx2 s[16:17], s[4:5], 0x0
	s_load_dwordx4 s[12:15], s[4:5], 0x8
	s_mov_b32 s9, 0
	s_lshl_b64 s[0:1], s[8:9], 3
	s_waitcnt lgkmcnt(0)
	s_add_u32 s2, s2, s0
	s_addc_u32 s3, s3, s1
	s_load_dwordx2 s[10:11], s[2:3], 0x0
	s_lshl_b32 s8, s6, 5
	s_lshl_b32 s18, s7, 5
	s_cmp_lt_i32 s17, 1
	s_cbranch_scc1 .LBB603_7
; %bb.1:
	s_load_dword s6, s[4:5], 0x18
	s_load_dword s20, s[4:5], 0x30
	s_load_dwordx2 s[2:3], s[4:5], 0x28
	v_lshl_add_u32 v2, v1, 4, v0
	v_and_b32_e32 v6, 31, v2
	v_lshrrev_b32_e32 v17, 5, v2
	v_lshrrev_b32_e32 v3, 3, v2
	v_or_b32_e32 v2, s8, v6
	s_waitcnt lgkmcnt(0)
	s_ashr_i32 s7, s6, 31
	s_ashr_i32 s21, s20, 31
	v_and_b32_e32 v16, 7, v0
	v_cmp_gt_i32_e32 vcc, s16, v2
	v_lshlrev_b32_e32 v2, 3, v6
	s_add_u32 s2, s2, s0
	v_lshl_or_b32 v18, v17, 8, v2
	v_lshlrev_b32_e32 v2, 3, v16
	s_addc_u32 s3, s3, s1
	v_lshl_or_b32 v2, v3, 6, v2
	v_add_u32_e32 v4, s18, v3
	s_load_dwordx2 s[22:23], s[2:3], 0x0
	v_add_u32_e32 v19, 0x800, v2
	v_mad_i64_i32 v[2:3], s[2:3], v17, s6, 0
	v_mov_b32_e32 v7, 0x800
	v_add_u32_e32 v6, s8, v6
	v_lshl_add_u32 v21, v1, 6, v7
	v_ashrrev_i32_e32 v7, 31, v6
	s_add_u32 s0, s14, s0
	v_lshlrev_b64 v[2:3], 3, v[2:3]
	v_lshlrev_b64 v[6:7], 3, v[6:7]
	s_addc_u32 s1, s15, s1
	s_load_dwordx2 s[14:15], s[0:1], 0x0
	v_add_co_u32_e64 v2, s[2:3], v2, v6
	v_addc_co_u32_e64 v3, s[2:3], v3, v7, s[2:3]
	v_mad_i64_i32 v[6:7], s[2:3], s20, v16, 0
	v_ashrrev_i32_e32 v5, 31, v4
	v_cmp_gt_i32_e64 s[0:1], s16, v4
	s_waitcnt lgkmcnt(0)
	v_mov_b32_e32 v8, s15
	v_add_co_u32_e64 v2, s[2:3], s14, v2
	v_lshlrev_b64 v[6:7], 3, v[6:7]
	v_lshlrev_b64 v[4:5], 3, v[4:5]
	v_addc_co_u32_e64 v3, s[2:3], v8, v3, s[2:3]
	v_add_co_u32_e64 v4, s[2:3], v6, v4
	v_addc_co_u32_e64 v5, s[2:3], v7, v5, s[2:3]
	v_mov_b32_e32 v7, s23
	v_add_co_u32_e64 v6, s[2:3], s22, v4
	s_lshl_b64 s[6:7], s[6:7], 6
	v_addc_co_u32_e64 v7, s[2:3], v7, v5, s[2:3]
	s_lshl_b64 s[14:15], s[20:21], 6
	v_mov_b32_e32 v4, 0
	v_mov_b32_e32 v8, 0
	;; [unrolled: 1-line block ×4, first 2 shown]
	v_lshlrev_b32_e32 v20, 3, v0
	v_mov_b32_e32 v5, 0
	v_mov_b32_e32 v22, s7
	;; [unrolled: 1-line block ×6, first 2 shown]
	s_branch .LBB603_3
.LBB603_2:                              ;   in Loop: Header=BB603_3 Depth=1
	s_or_b64 exec, exec, s[2:3]
	s_waitcnt vmcnt(0) lgkmcnt(0)
	ds_write_b64 v19, v[14:15]
	s_waitcnt lgkmcnt(0)
	s_barrier
	ds_read2_b64 v[24:27], v20 offset1:16
	ds_read_b128 v[28:31], v21
	ds_read_b128 v[32:35], v21 offset:1024
	ds_read_b128 v[36:39], v21 offset:16
	v_add_co_u32_e64 v2, s[2:3], s6, v2
	s_waitcnt lgkmcnt(2)
	v_fma_f64 v[14:15], v[24:25], v[28:29], v[12:13]
	v_fma_f64 v[28:29], v[26:27], v[28:29], v[10:11]
	s_waitcnt lgkmcnt(1)
	v_fma_f64 v[8:9], v[24:25], v[32:33], v[8:9]
	v_fma_f64 v[4:5], v[26:27], v[32:33], v[4:5]
	ds_read2_b64 v[24:27], v20 offset0:32 offset1:48
	ds_read_b128 v[10:13], v21 offset:1040
	v_addc_co_u32_e64 v3, s[2:3], v3, v22, s[2:3]
	s_add_i32 s9, s9, 8
	s_waitcnt lgkmcnt(1)
	v_fma_f64 v[14:15], v[24:25], v[30:31], v[14:15]
	v_fma_f64 v[28:29], v[26:27], v[30:31], v[28:29]
	v_fma_f64 v[8:9], v[24:25], v[34:35], v[8:9]
	v_fma_f64 v[4:5], v[26:27], v[34:35], v[4:5]
	ds_read2_b64 v[24:27], v20 offset0:64 offset1:80
	v_add_co_u32_e64 v6, s[2:3], s14, v6
	s_cmp_ge_i32 s9, s17
	v_addc_co_u32_e64 v7, s[2:3], v7, v23, s[2:3]
	s_waitcnt lgkmcnt(0)
	v_fma_f64 v[14:15], v[24:25], v[36:37], v[14:15]
	v_fma_f64 v[32:33], v[26:27], v[36:37], v[28:29]
	;; [unrolled: 1-line block ×4, first 2 shown]
	ds_read2_b64 v[28:31], v20 offset0:96 offset1:112
	ds_read2_b64 v[8:11], v20 offset0:128 offset1:144
	ds_read_b128 v[24:27], v21 offset:32
	s_waitcnt lgkmcnt(2)
	v_fma_f64 v[36:37], v[28:29], v[38:39], v[14:15]
	v_fma_f64 v[32:33], v[30:31], v[38:39], v[32:33]
	;; [unrolled: 1-line block ×4, first 2 shown]
	ds_read_b128 v[12:15], v21 offset:1056
	ds_read_b128 v[28:31], v21 offset:48
	s_waitcnt lgkmcnt(2)
	v_fma_f64 v[36:37], v[8:9], v[24:25], v[36:37]
	v_fma_f64 v[24:25], v[10:11], v[24:25], v[32:33]
	s_waitcnt lgkmcnt(1)
	v_fma_f64 v[38:39], v[8:9], v[12:13], v[38:39]
	v_fma_f64 v[4:5], v[10:11], v[12:13], v[4:5]
	ds_read2_b64 v[8:11], v20 offset0:160 offset1:176
	ds_read_b128 v[32:35], v21 offset:1072
	s_waitcnt lgkmcnt(1)
	v_fma_f64 v[12:13], v[8:9], v[26:27], v[36:37]
	v_fma_f64 v[36:37], v[10:11], v[26:27], v[24:25]
	;; [unrolled: 1-line block ×4, first 2 shown]
	ds_read2_b64 v[8:11], v20 offset0:192 offset1:208
	ds_read2_b64 v[24:27], v20 offset0:224 offset1:240
	s_waitcnt lgkmcnt(0)
	s_barrier
	v_fma_f64 v[12:13], v[8:9], v[28:29], v[12:13]
	v_fma_f64 v[14:15], v[10:11], v[28:29], v[36:37]
	;; [unrolled: 1-line block ×8, first 2 shown]
	s_cbranch_scc1 .LBB603_8
.LBB603_3:                              ; =>This Inner Loop Header: Depth=1
	v_add_u32_e32 v14, s9, v17
	v_cmp_gt_i32_e64 s[2:3], s17, v14
	v_mov_b32_e32 v14, 0
	v_mov_b32_e32 v15, 0
	s_and_b64 s[20:21], vcc, s[2:3]
	s_and_saveexec_b64 s[2:3], s[20:21]
	s_cbranch_execz .LBB603_5
; %bb.4:                                ;   in Loop: Header=BB603_3 Depth=1
	flat_load_dwordx2 v[14:15], v[2:3]
.LBB603_5:                              ;   in Loop: Header=BB603_3 Depth=1
	s_or_b64 exec, exec, s[2:3]
	s_waitcnt vmcnt(0) lgkmcnt(0)
	ds_write_b64 v18, v[14:15]
	v_add_u32_e32 v14, s9, v16
	v_cmp_gt_i32_e64 s[2:3], s17, v14
	v_mov_b32_e32 v14, 0
	v_mov_b32_e32 v15, 0
	s_and_b64 s[20:21], s[2:3], s[0:1]
	s_and_saveexec_b64 s[2:3], s[20:21]
	s_cbranch_execz .LBB603_2
; %bb.6:                                ;   in Loop: Header=BB603_3 Depth=1
	flat_load_dwordx2 v[14:15], v[6:7]
	s_branch .LBB603_2
.LBB603_7:
	v_mov_b32_e32 v12, 0
	v_mov_b32_e32 v10, 0
	;; [unrolled: 1-line block ×8, first 2 shown]
.LBB603_8:
	s_load_dword s6, s[4:5], 0x50
	v_add_u32_e32 v6, s18, v1
	s_waitcnt lgkmcnt(0)
	v_mov_b32_e32 v3, s11
	v_add_u32_e32 v0, s8, v0
	v_mad_i64_i32 v[1:2], s[0:1], v6, s6, 0
	v_cmp_le_i32_e64 s[0:1], v6, v0
	v_lshlrev_b64 v[1:2], 3, v[1:2]
	v_add_co_u32_e32 v7, vcc, s10, v1
	v_addc_co_u32_e32 v14, vcc, v3, v2, vcc
	v_cmp_gt_i32_e32 vcc, s16, v0
	s_and_b64 s[0:1], s[0:1], vcc
	s_and_saveexec_b64 s[2:3], s[0:1]
	s_cbranch_execz .LBB603_10
; %bb.9:
	v_mul_f64 v[2:3], s[12:13], v[12:13]
	v_ashrrev_i32_e32 v1, 31, v0
	v_lshlrev_b64 v[12:13], 3, v[0:1]
	v_add_co_u32_e64 v12, s[0:1], v7, v12
	v_addc_co_u32_e64 v13, s[0:1], v14, v13, s[0:1]
	flat_store_dwordx2 v[12:13], v[2:3]
.LBB603_10:
	s_or_b64 exec, exec, s[2:3]
	v_add_u32_e32 v2, 16, v0
	v_cmp_le_i32_e64 s[2:3], v6, v2
	v_cmp_gt_i32_e64 s[0:1], s16, v2
	s_and_b64 s[2:3], s[2:3], s[0:1]
	s_and_saveexec_b64 s[4:5], s[2:3]
	s_cbranch_execz .LBB603_12
; %bb.11:
	v_mul_f64 v[10:11], s[12:13], v[10:11]
	v_ashrrev_i32_e32 v3, 31, v2
	v_lshlrev_b64 v[12:13], 3, v[2:3]
	v_add_co_u32_e64 v12, s[2:3], v7, v12
	v_addc_co_u32_e64 v13, s[2:3], v14, v13, s[2:3]
	flat_store_dwordx2 v[12:13], v[10:11]
.LBB603_12:
	s_or_b64 exec, exec, s[4:5]
	v_add_u32_e32 v3, 16, v6
	v_mad_i64_i32 v[6:7], s[2:3], v3, s6, 0
	v_mov_b32_e32 v1, s11
	v_lshlrev_b64 v[6:7], 3, v[6:7]
	v_add_co_u32_e64 v6, s[2:3], s10, v6
	v_addc_co_u32_e64 v7, s[2:3], v1, v7, s[2:3]
	v_cmp_le_i32_e64 s[2:3], v3, v0
	s_and_b64 s[4:5], s[2:3], vcc
	s_and_saveexec_b64 s[2:3], s[4:5]
	s_cbranch_execz .LBB603_14
; %bb.13:
	v_mul_f64 v[8:9], s[12:13], v[8:9]
	v_ashrrev_i32_e32 v1, 31, v0
	v_lshlrev_b64 v[0:1], 3, v[0:1]
	v_add_co_u32_e32 v0, vcc, v6, v0
	v_addc_co_u32_e32 v1, vcc, v7, v1, vcc
	flat_store_dwordx2 v[0:1], v[8:9]
.LBB603_14:
	s_or_b64 exec, exec, s[2:3]
	v_cmp_le_i32_e32 vcc, v3, v2
	s_and_b64 s[0:1], vcc, s[0:1]
	s_and_saveexec_b64 s[2:3], s[0:1]
	s_cbranch_execz .LBB603_16
; %bb.15:
	v_mul_f64 v[0:1], s[12:13], v[4:5]
	v_ashrrev_i32_e32 v3, 31, v2
	v_lshlrev_b64 v[2:3], 3, v[2:3]
	v_add_co_u32_e32 v2, vcc, v6, v2
	v_addc_co_u32_e32 v3, vcc, v7, v3, vcc
	flat_store_dwordx2 v[2:3], v[0:1]
.LBB603_16:
	s_endpgm
	.section	.rodata,"a",@progbits
	.p2align	6, 0x0
	.amdhsa_kernel _ZL34rocblas_syrkx_herkx_general_kernelIidLi16ELi32ELi8ELb1ELb0ELc78ELc76EKPKdKPdEviT_T0_PT8_S5_lS8_S5_lS6_PT9_S5_li
		.amdhsa_group_segment_fixed_size 4096
		.amdhsa_private_segment_fixed_size 0
		.amdhsa_kernarg_size 100
		.amdhsa_user_sgpr_count 6
		.amdhsa_user_sgpr_private_segment_buffer 1
		.amdhsa_user_sgpr_dispatch_ptr 0
		.amdhsa_user_sgpr_queue_ptr 0
		.amdhsa_user_sgpr_kernarg_segment_ptr 1
		.amdhsa_user_sgpr_dispatch_id 0
		.amdhsa_user_sgpr_flat_scratch_init 0
		.amdhsa_user_sgpr_private_segment_size 0
		.amdhsa_uses_dynamic_stack 0
		.amdhsa_system_sgpr_private_segment_wavefront_offset 0
		.amdhsa_system_sgpr_workgroup_id_x 1
		.amdhsa_system_sgpr_workgroup_id_y 1
		.amdhsa_system_sgpr_workgroup_id_z 1
		.amdhsa_system_sgpr_workgroup_info 0
		.amdhsa_system_vgpr_workitem_id 1
		.amdhsa_next_free_vgpr 40
		.amdhsa_next_free_sgpr 24
		.amdhsa_reserve_vcc 1
		.amdhsa_reserve_flat_scratch 0
		.amdhsa_float_round_mode_32 0
		.amdhsa_float_round_mode_16_64 0
		.amdhsa_float_denorm_mode_32 3
		.amdhsa_float_denorm_mode_16_64 3
		.amdhsa_dx10_clamp 1
		.amdhsa_ieee_mode 1
		.amdhsa_fp16_overflow 0
		.amdhsa_exception_fp_ieee_invalid_op 0
		.amdhsa_exception_fp_denorm_src 0
		.amdhsa_exception_fp_ieee_div_zero 0
		.amdhsa_exception_fp_ieee_overflow 0
		.amdhsa_exception_fp_ieee_underflow 0
		.amdhsa_exception_fp_ieee_inexact 0
		.amdhsa_exception_int_div_zero 0
	.end_amdhsa_kernel
	.section	.text._ZL34rocblas_syrkx_herkx_general_kernelIidLi16ELi32ELi8ELb1ELb0ELc78ELc76EKPKdKPdEviT_T0_PT8_S5_lS8_S5_lS6_PT9_S5_li,"axG",@progbits,_ZL34rocblas_syrkx_herkx_general_kernelIidLi16ELi32ELi8ELb1ELb0ELc78ELc76EKPKdKPdEviT_T0_PT8_S5_lS8_S5_lS6_PT9_S5_li,comdat
.Lfunc_end603:
	.size	_ZL34rocblas_syrkx_herkx_general_kernelIidLi16ELi32ELi8ELb1ELb0ELc78ELc76EKPKdKPdEviT_T0_PT8_S5_lS8_S5_lS6_PT9_S5_li, .Lfunc_end603-_ZL34rocblas_syrkx_herkx_general_kernelIidLi16ELi32ELi8ELb1ELb0ELc78ELc76EKPKdKPdEviT_T0_PT8_S5_lS8_S5_lS6_PT9_S5_li
                                        ; -- End function
	.set _ZL34rocblas_syrkx_herkx_general_kernelIidLi16ELi32ELi8ELb1ELb0ELc78ELc76EKPKdKPdEviT_T0_PT8_S5_lS8_S5_lS6_PT9_S5_li.num_vgpr, 40
	.set _ZL34rocblas_syrkx_herkx_general_kernelIidLi16ELi32ELi8ELb1ELb0ELc78ELc76EKPKdKPdEviT_T0_PT8_S5_lS8_S5_lS6_PT9_S5_li.num_agpr, 0
	.set _ZL34rocblas_syrkx_herkx_general_kernelIidLi16ELi32ELi8ELb1ELb0ELc78ELc76EKPKdKPdEviT_T0_PT8_S5_lS8_S5_lS6_PT9_S5_li.numbered_sgpr, 24
	.set _ZL34rocblas_syrkx_herkx_general_kernelIidLi16ELi32ELi8ELb1ELb0ELc78ELc76EKPKdKPdEviT_T0_PT8_S5_lS8_S5_lS6_PT9_S5_li.num_named_barrier, 0
	.set _ZL34rocblas_syrkx_herkx_general_kernelIidLi16ELi32ELi8ELb1ELb0ELc78ELc76EKPKdKPdEviT_T0_PT8_S5_lS8_S5_lS6_PT9_S5_li.private_seg_size, 0
	.set _ZL34rocblas_syrkx_herkx_general_kernelIidLi16ELi32ELi8ELb1ELb0ELc78ELc76EKPKdKPdEviT_T0_PT8_S5_lS8_S5_lS6_PT9_S5_li.uses_vcc, 1
	.set _ZL34rocblas_syrkx_herkx_general_kernelIidLi16ELi32ELi8ELb1ELb0ELc78ELc76EKPKdKPdEviT_T0_PT8_S5_lS8_S5_lS6_PT9_S5_li.uses_flat_scratch, 0
	.set _ZL34rocblas_syrkx_herkx_general_kernelIidLi16ELi32ELi8ELb1ELb0ELc78ELc76EKPKdKPdEviT_T0_PT8_S5_lS8_S5_lS6_PT9_S5_li.has_dyn_sized_stack, 0
	.set _ZL34rocblas_syrkx_herkx_general_kernelIidLi16ELi32ELi8ELb1ELb0ELc78ELc76EKPKdKPdEviT_T0_PT8_S5_lS8_S5_lS6_PT9_S5_li.has_recursion, 0
	.set _ZL34rocblas_syrkx_herkx_general_kernelIidLi16ELi32ELi8ELb1ELb0ELc78ELc76EKPKdKPdEviT_T0_PT8_S5_lS8_S5_lS6_PT9_S5_li.has_indirect_call, 0
	.section	.AMDGPU.csdata,"",@progbits
; Kernel info:
; codeLenInByte = 1400
; TotalNumSgprs: 28
; NumVgprs: 40
; ScratchSize: 0
; MemoryBound: 0
; FloatMode: 240
; IeeeMode: 1
; LDSByteSize: 4096 bytes/workgroup (compile time only)
; SGPRBlocks: 3
; VGPRBlocks: 9
; NumSGPRsForWavesPerEU: 28
; NumVGPRsForWavesPerEU: 40
; Occupancy: 6
; WaveLimiterHint : 1
; COMPUTE_PGM_RSRC2:SCRATCH_EN: 0
; COMPUTE_PGM_RSRC2:USER_SGPR: 6
; COMPUTE_PGM_RSRC2:TRAP_HANDLER: 0
; COMPUTE_PGM_RSRC2:TGID_X_EN: 1
; COMPUTE_PGM_RSRC2:TGID_Y_EN: 1
; COMPUTE_PGM_RSRC2:TGID_Z_EN: 1
; COMPUTE_PGM_RSRC2:TIDIG_COMP_CNT: 1
	.section	.text._ZL34rocblas_syrkx_herkx_general_kernelIidLi16ELi32ELi8ELb1ELb0ELc84ELc85EKPKdKPdEviT_T0_PT8_S5_lS8_S5_lS6_PT9_S5_li,"axG",@progbits,_ZL34rocblas_syrkx_herkx_general_kernelIidLi16ELi32ELi8ELb1ELb0ELc84ELc85EKPKdKPdEviT_T0_PT8_S5_lS8_S5_lS6_PT9_S5_li,comdat
	.globl	_ZL34rocblas_syrkx_herkx_general_kernelIidLi16ELi32ELi8ELb1ELb0ELc84ELc85EKPKdKPdEviT_T0_PT8_S5_lS8_S5_lS6_PT9_S5_li ; -- Begin function _ZL34rocblas_syrkx_herkx_general_kernelIidLi16ELi32ELi8ELb1ELb0ELc84ELc85EKPKdKPdEviT_T0_PT8_S5_lS8_S5_lS6_PT9_S5_li
	.p2align	8
	.type	_ZL34rocblas_syrkx_herkx_general_kernelIidLi16ELi32ELi8ELb1ELb0ELc84ELc85EKPKdKPdEviT_T0_PT8_S5_lS8_S5_lS6_PT9_S5_li,@function
_ZL34rocblas_syrkx_herkx_general_kernelIidLi16ELi32ELi8ELb1ELb0ELc84ELc85EKPKdKPdEviT_T0_PT8_S5_lS8_S5_lS6_PT9_S5_li: ; @_ZL34rocblas_syrkx_herkx_general_kernelIidLi16ELi32ELi8ELb1ELb0ELc84ELc85EKPKdKPdEviT_T0_PT8_S5_lS8_S5_lS6_PT9_S5_li
; %bb.0:
	s_load_dwordx2 s[2:3], s[4:5], 0x48
	s_load_dwordx2 s[10:11], s[4:5], 0x0
	s_load_dwordx4 s[12:15], s[4:5], 0x8
	s_mov_b32 s9, 0
	s_lshl_b64 s[0:1], s[8:9], 3
	s_waitcnt lgkmcnt(0)
	s_add_u32 s2, s2, s0
	s_addc_u32 s3, s3, s1
	s_load_dwordx2 s[16:17], s[2:3], 0x0
	s_lshl_b32 s6, s6, 5
	s_lshl_b32 s7, s7, 5
	s_cmp_lt_i32 s11, 1
	s_cbranch_scc1 .LBB604_7
; %bb.1:
	s_load_dword s8, s[4:5], 0x18
	s_load_dwordx2 s[2:3], s[4:5], 0x28
	s_load_dword s20, s[4:5], 0x30
	v_lshl_add_u32 v2, v1, 4, v0
	v_lshrrev_b32_e32 v17, 5, v2
	v_lshrrev_b32_e32 v3, 3, v2
	v_and_b32_e32 v2, 31, v2
	v_and_b32_e32 v16, 7, v0
	v_or_b32_e32 v5, s6, v2
	s_waitcnt lgkmcnt(0)
	s_add_u32 s2, s2, s0
	s_addc_u32 s3, s3, s1
	v_cmp_gt_i32_e32 vcc, s10, v5
	v_lshlrev_b32_e32 v5, 3, v2
	v_lshlrev_b32_e32 v6, 3, v16
	v_add_u32_e32 v2, s6, v2
	v_add_u32_e32 v4, s7, v3
	s_load_dwordx2 s[18:19], s[2:3], 0x0
	v_lshl_or_b32 v18, v17, 8, v5
	v_lshl_or_b32 v5, v3, 6, v6
	v_mad_i64_i32 v[2:3], s[2:3], s8, v2, 0
	s_add_u32 s0, s14, s0
	s_addc_u32 s1, s15, s1
	v_lshlrev_b64 v[2:3], 3, v[2:3]
	v_add_u32_e32 v19, 0x800, v5
	v_lshlrev_b32_e32 v5, 3, v17
	s_load_dwordx2 s[14:15], s[0:1], 0x0
	v_add_co_u32_e64 v5, s[2:3], v2, v5
	v_addc_co_u32_e64 v7, s[2:3], 0, v3, s[2:3]
	v_mad_i64_i32 v[2:3], s[2:3], s20, v4, 0
	v_cmp_gt_i32_e64 s[0:1], s10, v4
	s_waitcnt lgkmcnt(0)
	v_mov_b32_e32 v8, s15
	v_add_co_u32_e64 v4, s[2:3], s14, v5
	v_lshlrev_b64 v[2:3], 3, v[2:3]
	v_addc_co_u32_e64 v5, s[2:3], v8, v7, s[2:3]
	v_add_co_u32_e64 v2, s[2:3], v2, v6
	v_addc_co_u32_e64 v3, s[2:3], 0, v3, s[2:3]
	v_mov_b32_e32 v7, s19
	v_add_co_u32_e64 v6, s[2:3], s18, v2
	v_mov_b32_e32 v14, 0x800
	v_addc_co_u32_e64 v7, s[2:3], v7, v3, s[2:3]
	v_mov_b32_e32 v2, 0
	v_mov_b32_e32 v8, 0
	;; [unrolled: 1-line block ×4, first 2 shown]
	v_lshlrev_b32_e32 v20, 3, v0
	v_mov_b32_e32 v3, 0
	v_mov_b32_e32 v9, 0
	v_mov_b32_e32 v11, 0
	v_mov_b32_e32 v13, 0
	v_lshl_add_u32 v21, v1, 6, v14
	s_branch .LBB604_3
.LBB604_2:                              ;   in Loop: Header=BB604_3 Depth=1
	s_or_b64 exec, exec, s[2:3]
	s_waitcnt vmcnt(0) lgkmcnt(0)
	ds_write_b64 v19, v[14:15]
	s_waitcnt lgkmcnt(0)
	s_barrier
	ds_read2_b64 v[22:25], v20 offset1:16
	ds_read_b128 v[26:29], v21
	ds_read_b128 v[30:33], v21 offset:1024
	ds_read_b128 v[34:37], v21 offset:16
	v_add_co_u32_e64 v4, s[2:3], 64, v4
	s_waitcnt lgkmcnt(2)
	v_fma_f64 v[14:15], v[22:23], v[26:27], v[12:13]
	v_fma_f64 v[26:27], v[24:25], v[26:27], v[10:11]
	s_waitcnt lgkmcnt(1)
	v_fma_f64 v[8:9], v[22:23], v[30:31], v[8:9]
	v_fma_f64 v[2:3], v[24:25], v[30:31], v[2:3]
	ds_read2_b64 v[22:25], v20 offset0:32 offset1:48
	ds_read_b128 v[10:13], v21 offset:1040
	v_addc_co_u32_e64 v5, s[2:3], 0, v5, s[2:3]
	s_add_i32 s9, s9, 8
	s_waitcnt lgkmcnt(1)
	v_fma_f64 v[14:15], v[22:23], v[28:29], v[14:15]
	v_fma_f64 v[26:27], v[24:25], v[28:29], v[26:27]
	;; [unrolled: 1-line block ×4, first 2 shown]
	ds_read2_b64 v[22:25], v20 offset0:64 offset1:80
	v_add_co_u32_e64 v6, s[2:3], 64, v6
	s_cmp_ge_i32 s9, s11
	v_addc_co_u32_e64 v7, s[2:3], 0, v7, s[2:3]
	s_waitcnt lgkmcnt(0)
	v_fma_f64 v[14:15], v[22:23], v[34:35], v[14:15]
	v_fma_f64 v[30:31], v[24:25], v[34:35], v[26:27]
	;; [unrolled: 1-line block ×4, first 2 shown]
	ds_read2_b64 v[26:29], v20 offset0:96 offset1:112
	ds_read2_b64 v[8:11], v20 offset0:128 offset1:144
	ds_read_b128 v[22:25], v21 offset:32
	s_waitcnt lgkmcnt(2)
	v_fma_f64 v[34:35], v[26:27], v[36:37], v[14:15]
	v_fma_f64 v[30:31], v[28:29], v[36:37], v[30:31]
	;; [unrolled: 1-line block ×4, first 2 shown]
	ds_read_b128 v[12:15], v21 offset:1056
	ds_read_b128 v[26:29], v21 offset:48
	s_waitcnt lgkmcnt(2)
	v_fma_f64 v[34:35], v[8:9], v[22:23], v[34:35]
	v_fma_f64 v[22:23], v[10:11], v[22:23], v[30:31]
	s_waitcnt lgkmcnt(1)
	v_fma_f64 v[36:37], v[8:9], v[12:13], v[36:37]
	v_fma_f64 v[2:3], v[10:11], v[12:13], v[2:3]
	ds_read2_b64 v[8:11], v20 offset0:160 offset1:176
	ds_read_b128 v[30:33], v21 offset:1072
	s_waitcnt lgkmcnt(1)
	v_fma_f64 v[12:13], v[8:9], v[24:25], v[34:35]
	v_fma_f64 v[34:35], v[10:11], v[24:25], v[22:23]
	;; [unrolled: 1-line block ×4, first 2 shown]
	ds_read2_b64 v[8:11], v20 offset0:192 offset1:208
	ds_read2_b64 v[22:25], v20 offset0:224 offset1:240
	s_waitcnt lgkmcnt(0)
	s_barrier
	v_fma_f64 v[12:13], v[8:9], v[26:27], v[12:13]
	v_fma_f64 v[14:15], v[10:11], v[26:27], v[34:35]
	;; [unrolled: 1-line block ×8, first 2 shown]
	s_cbranch_scc1 .LBB604_8
.LBB604_3:                              ; =>This Inner Loop Header: Depth=1
	v_add_u32_e32 v14, s9, v17
	v_cmp_gt_i32_e64 s[2:3], s11, v14
	v_mov_b32_e32 v14, 0
	v_mov_b32_e32 v15, 0
	s_and_b64 s[14:15], vcc, s[2:3]
	s_and_saveexec_b64 s[2:3], s[14:15]
	s_cbranch_execz .LBB604_5
; %bb.4:                                ;   in Loop: Header=BB604_3 Depth=1
	flat_load_dwordx2 v[14:15], v[4:5]
.LBB604_5:                              ;   in Loop: Header=BB604_3 Depth=1
	s_or_b64 exec, exec, s[2:3]
	s_waitcnt vmcnt(0) lgkmcnt(0)
	ds_write_b64 v18, v[14:15]
	v_add_u32_e32 v14, s9, v16
	v_cmp_gt_i32_e64 s[2:3], s11, v14
	v_mov_b32_e32 v14, 0
	v_mov_b32_e32 v15, 0
	s_and_b64 s[14:15], s[2:3], s[0:1]
	s_and_saveexec_b64 s[2:3], s[14:15]
	s_cbranch_execz .LBB604_2
; %bb.6:                                ;   in Loop: Header=BB604_3 Depth=1
	flat_load_dwordx2 v[14:15], v[6:7]
	s_branch .LBB604_2
.LBB604_7:
	v_mov_b32_e32 v12, 0
	v_mov_b32_e32 v10, 0
	;; [unrolled: 1-line block ×8, first 2 shown]
.LBB604_8:
	s_load_dword s4, s[4:5], 0x50
	v_add_u32_e32 v6, s7, v1
	s_waitcnt lgkmcnt(0)
	v_mov_b32_e32 v1, s17
	v_add_u32_e32 v0, s6, v0
	v_cmp_gt_i32_e32 vcc, s10, v6
	v_mad_i64_i32 v[4:5], s[0:1], v6, s4, 0
	v_lshlrev_b64 v[4:5], 3, v[4:5]
	v_add_co_u32_e64 v7, s[0:1], s16, v4
	v_addc_co_u32_e64 v14, s[0:1], v1, v5, s[0:1]
	v_cmp_le_i32_e64 s[0:1], v0, v6
	s_and_b64 s[0:1], vcc, s[0:1]
	s_and_saveexec_b64 s[2:3], s[0:1]
	s_cbranch_execz .LBB604_10
; %bb.9:
	v_mul_f64 v[4:5], s[12:13], v[12:13]
	v_ashrrev_i32_e32 v1, 31, v0
	v_lshlrev_b64 v[12:13], 3, v[0:1]
	v_add_co_u32_e64 v12, s[0:1], v7, v12
	v_addc_co_u32_e64 v13, s[0:1], v14, v13, s[0:1]
	flat_store_dwordx2 v[12:13], v[4:5]
.LBB604_10:
	s_or_b64 exec, exec, s[2:3]
	v_add_u32_e32 v4, 16, v0
	v_cmp_le_i32_e64 s[0:1], v4, v6
	s_and_b64 s[2:3], vcc, s[0:1]
	s_and_saveexec_b64 s[0:1], s[2:3]
	s_cbranch_execz .LBB604_12
; %bb.11:
	v_mul_f64 v[10:11], s[12:13], v[10:11]
	v_ashrrev_i32_e32 v5, 31, v4
	v_lshlrev_b64 v[12:13], 3, v[4:5]
	v_add_co_u32_e32 v12, vcc, v7, v12
	v_addc_co_u32_e32 v13, vcc, v14, v13, vcc
	flat_store_dwordx2 v[12:13], v[10:11]
.LBB604_12:
	s_or_b64 exec, exec, s[0:1]
	v_add_u32_e32 v5, 16, v6
	v_mad_i64_i32 v[6:7], s[0:1], v5, s4, 0
	v_mov_b32_e32 v1, s17
	v_cmp_gt_i32_e32 vcc, s10, v5
	v_lshlrev_b64 v[6:7], 3, v[6:7]
	v_add_co_u32_e64 v6, s[0:1], s16, v6
	v_addc_co_u32_e64 v7, s[0:1], v1, v7, s[0:1]
	v_cmp_le_i32_e64 s[0:1], v0, v5
	s_and_b64 s[0:1], vcc, s[0:1]
	s_and_saveexec_b64 s[2:3], s[0:1]
	s_cbranch_execz .LBB604_14
; %bb.13:
	v_mul_f64 v[8:9], s[12:13], v[8:9]
	v_ashrrev_i32_e32 v1, 31, v0
	v_lshlrev_b64 v[0:1], 3, v[0:1]
	v_add_co_u32_e64 v0, s[0:1], v6, v0
	v_addc_co_u32_e64 v1, s[0:1], v7, v1, s[0:1]
	flat_store_dwordx2 v[0:1], v[8:9]
.LBB604_14:
	s_or_b64 exec, exec, s[2:3]
	v_cmp_le_i32_e64 s[0:1], v4, v5
	s_and_b64 s[0:1], vcc, s[0:1]
	s_and_saveexec_b64 s[2:3], s[0:1]
	s_cbranch_execz .LBB604_16
; %bb.15:
	v_mul_f64 v[0:1], s[12:13], v[2:3]
	v_ashrrev_i32_e32 v5, 31, v4
	v_lshlrev_b64 v[2:3], 3, v[4:5]
	v_add_co_u32_e32 v2, vcc, v6, v2
	v_addc_co_u32_e32 v3, vcc, v7, v3, vcc
	flat_store_dwordx2 v[2:3], v[0:1]
.LBB604_16:
	s_endpgm
	.section	.rodata,"a",@progbits
	.p2align	6, 0x0
	.amdhsa_kernel _ZL34rocblas_syrkx_herkx_general_kernelIidLi16ELi32ELi8ELb1ELb0ELc84ELc85EKPKdKPdEviT_T0_PT8_S5_lS8_S5_lS6_PT9_S5_li
		.amdhsa_group_segment_fixed_size 4096
		.amdhsa_private_segment_fixed_size 0
		.amdhsa_kernarg_size 100
		.amdhsa_user_sgpr_count 6
		.amdhsa_user_sgpr_private_segment_buffer 1
		.amdhsa_user_sgpr_dispatch_ptr 0
		.amdhsa_user_sgpr_queue_ptr 0
		.amdhsa_user_sgpr_kernarg_segment_ptr 1
		.amdhsa_user_sgpr_dispatch_id 0
		.amdhsa_user_sgpr_flat_scratch_init 0
		.amdhsa_user_sgpr_private_segment_size 0
		.amdhsa_uses_dynamic_stack 0
		.amdhsa_system_sgpr_private_segment_wavefront_offset 0
		.amdhsa_system_sgpr_workgroup_id_x 1
		.amdhsa_system_sgpr_workgroup_id_y 1
		.amdhsa_system_sgpr_workgroup_id_z 1
		.amdhsa_system_sgpr_workgroup_info 0
		.amdhsa_system_vgpr_workitem_id 1
		.amdhsa_next_free_vgpr 38
		.amdhsa_next_free_sgpr 21
		.amdhsa_reserve_vcc 1
		.amdhsa_reserve_flat_scratch 0
		.amdhsa_float_round_mode_32 0
		.amdhsa_float_round_mode_16_64 0
		.amdhsa_float_denorm_mode_32 3
		.amdhsa_float_denorm_mode_16_64 3
		.amdhsa_dx10_clamp 1
		.amdhsa_ieee_mode 1
		.amdhsa_fp16_overflow 0
		.amdhsa_exception_fp_ieee_invalid_op 0
		.amdhsa_exception_fp_denorm_src 0
		.amdhsa_exception_fp_ieee_div_zero 0
		.amdhsa_exception_fp_ieee_overflow 0
		.amdhsa_exception_fp_ieee_underflow 0
		.amdhsa_exception_fp_ieee_inexact 0
		.amdhsa_exception_int_div_zero 0
	.end_amdhsa_kernel
	.section	.text._ZL34rocblas_syrkx_herkx_general_kernelIidLi16ELi32ELi8ELb1ELb0ELc84ELc85EKPKdKPdEviT_T0_PT8_S5_lS8_S5_lS6_PT9_S5_li,"axG",@progbits,_ZL34rocblas_syrkx_herkx_general_kernelIidLi16ELi32ELi8ELb1ELb0ELc84ELc85EKPKdKPdEviT_T0_PT8_S5_lS8_S5_lS6_PT9_S5_li,comdat
.Lfunc_end604:
	.size	_ZL34rocblas_syrkx_herkx_general_kernelIidLi16ELi32ELi8ELb1ELb0ELc84ELc85EKPKdKPdEviT_T0_PT8_S5_lS8_S5_lS6_PT9_S5_li, .Lfunc_end604-_ZL34rocblas_syrkx_herkx_general_kernelIidLi16ELi32ELi8ELb1ELb0ELc84ELc85EKPKdKPdEviT_T0_PT8_S5_lS8_S5_lS6_PT9_S5_li
                                        ; -- End function
	.set _ZL34rocblas_syrkx_herkx_general_kernelIidLi16ELi32ELi8ELb1ELb0ELc84ELc85EKPKdKPdEviT_T0_PT8_S5_lS8_S5_lS6_PT9_S5_li.num_vgpr, 38
	.set _ZL34rocblas_syrkx_herkx_general_kernelIidLi16ELi32ELi8ELb1ELb0ELc84ELc85EKPKdKPdEviT_T0_PT8_S5_lS8_S5_lS6_PT9_S5_li.num_agpr, 0
	.set _ZL34rocblas_syrkx_herkx_general_kernelIidLi16ELi32ELi8ELb1ELb0ELc84ELc85EKPKdKPdEviT_T0_PT8_S5_lS8_S5_lS6_PT9_S5_li.numbered_sgpr, 21
	.set _ZL34rocblas_syrkx_herkx_general_kernelIidLi16ELi32ELi8ELb1ELb0ELc84ELc85EKPKdKPdEviT_T0_PT8_S5_lS8_S5_lS6_PT9_S5_li.num_named_barrier, 0
	.set _ZL34rocblas_syrkx_herkx_general_kernelIidLi16ELi32ELi8ELb1ELb0ELc84ELc85EKPKdKPdEviT_T0_PT8_S5_lS8_S5_lS6_PT9_S5_li.private_seg_size, 0
	.set _ZL34rocblas_syrkx_herkx_general_kernelIidLi16ELi32ELi8ELb1ELb0ELc84ELc85EKPKdKPdEviT_T0_PT8_S5_lS8_S5_lS6_PT9_S5_li.uses_vcc, 1
	.set _ZL34rocblas_syrkx_herkx_general_kernelIidLi16ELi32ELi8ELb1ELb0ELc84ELc85EKPKdKPdEviT_T0_PT8_S5_lS8_S5_lS6_PT9_S5_li.uses_flat_scratch, 0
	.set _ZL34rocblas_syrkx_herkx_general_kernelIidLi16ELi32ELi8ELb1ELb0ELc84ELc85EKPKdKPdEviT_T0_PT8_S5_lS8_S5_lS6_PT9_S5_li.has_dyn_sized_stack, 0
	.set _ZL34rocblas_syrkx_herkx_general_kernelIidLi16ELi32ELi8ELb1ELb0ELc84ELc85EKPKdKPdEviT_T0_PT8_S5_lS8_S5_lS6_PT9_S5_li.has_recursion, 0
	.set _ZL34rocblas_syrkx_herkx_general_kernelIidLi16ELi32ELi8ELb1ELb0ELc84ELc85EKPKdKPdEviT_T0_PT8_S5_lS8_S5_lS6_PT9_S5_li.has_indirect_call, 0
	.section	.AMDGPU.csdata,"",@progbits
; Kernel info:
; codeLenInByte = 1364
; TotalNumSgprs: 25
; NumVgprs: 38
; ScratchSize: 0
; MemoryBound: 0
; FloatMode: 240
; IeeeMode: 1
; LDSByteSize: 4096 bytes/workgroup (compile time only)
; SGPRBlocks: 3
; VGPRBlocks: 9
; NumSGPRsForWavesPerEU: 25
; NumVGPRsForWavesPerEU: 38
; Occupancy: 6
; WaveLimiterHint : 1
; COMPUTE_PGM_RSRC2:SCRATCH_EN: 0
; COMPUTE_PGM_RSRC2:USER_SGPR: 6
; COMPUTE_PGM_RSRC2:TRAP_HANDLER: 0
; COMPUTE_PGM_RSRC2:TGID_X_EN: 1
; COMPUTE_PGM_RSRC2:TGID_Y_EN: 1
; COMPUTE_PGM_RSRC2:TGID_Z_EN: 1
; COMPUTE_PGM_RSRC2:TIDIG_COMP_CNT: 1
	.section	.text._ZL34rocblas_syrkx_herkx_general_kernelIidLi16ELi32ELi8ELb1ELb0ELc67ELc85EKPKdKPdEviT_T0_PT8_S5_lS8_S5_lS6_PT9_S5_li,"axG",@progbits,_ZL34rocblas_syrkx_herkx_general_kernelIidLi16ELi32ELi8ELb1ELb0ELc67ELc85EKPKdKPdEviT_T0_PT8_S5_lS8_S5_lS6_PT9_S5_li,comdat
	.globl	_ZL34rocblas_syrkx_herkx_general_kernelIidLi16ELi32ELi8ELb1ELb0ELc67ELc85EKPKdKPdEviT_T0_PT8_S5_lS8_S5_lS6_PT9_S5_li ; -- Begin function _ZL34rocblas_syrkx_herkx_general_kernelIidLi16ELi32ELi8ELb1ELb0ELc67ELc85EKPKdKPdEviT_T0_PT8_S5_lS8_S5_lS6_PT9_S5_li
	.p2align	8
	.type	_ZL34rocblas_syrkx_herkx_general_kernelIidLi16ELi32ELi8ELb1ELb0ELc67ELc85EKPKdKPdEviT_T0_PT8_S5_lS8_S5_lS6_PT9_S5_li,@function
_ZL34rocblas_syrkx_herkx_general_kernelIidLi16ELi32ELi8ELb1ELb0ELc67ELc85EKPKdKPdEviT_T0_PT8_S5_lS8_S5_lS6_PT9_S5_li: ; @_ZL34rocblas_syrkx_herkx_general_kernelIidLi16ELi32ELi8ELb1ELb0ELc67ELc85EKPKdKPdEviT_T0_PT8_S5_lS8_S5_lS6_PT9_S5_li
; %bb.0:
	s_load_dwordx2 s[2:3], s[4:5], 0x48
	s_load_dwordx2 s[10:11], s[4:5], 0x0
	s_load_dwordx4 s[12:15], s[4:5], 0x8
	s_mov_b32 s9, 0
	s_lshl_b64 s[0:1], s[8:9], 3
	s_waitcnt lgkmcnt(0)
	s_add_u32 s2, s2, s0
	s_addc_u32 s3, s3, s1
	s_load_dwordx2 s[16:17], s[2:3], 0x0
	s_lshl_b32 s6, s6, 5
	s_lshl_b32 s7, s7, 5
	s_cmp_lt_i32 s11, 1
	s_cbranch_scc1 .LBB605_7
; %bb.1:
	s_load_dword s8, s[4:5], 0x18
	s_load_dwordx2 s[2:3], s[4:5], 0x28
	s_load_dword s20, s[4:5], 0x30
	v_lshl_add_u32 v2, v1, 4, v0
	v_lshrrev_b32_e32 v17, 5, v2
	v_lshrrev_b32_e32 v3, 3, v2
	v_and_b32_e32 v2, 31, v2
	v_and_b32_e32 v16, 7, v0
	v_or_b32_e32 v5, s6, v2
	s_waitcnt lgkmcnt(0)
	s_add_u32 s2, s2, s0
	s_addc_u32 s3, s3, s1
	v_cmp_gt_i32_e32 vcc, s10, v5
	v_lshlrev_b32_e32 v5, 3, v2
	v_lshlrev_b32_e32 v6, 3, v16
	v_add_u32_e32 v2, s6, v2
	v_add_u32_e32 v4, s7, v3
	s_load_dwordx2 s[18:19], s[2:3], 0x0
	v_lshl_or_b32 v18, v17, 8, v5
	v_lshl_or_b32 v5, v3, 6, v6
	v_mad_i64_i32 v[2:3], s[2:3], s8, v2, 0
	s_add_u32 s0, s14, s0
	s_addc_u32 s1, s15, s1
	v_lshlrev_b64 v[2:3], 3, v[2:3]
	v_add_u32_e32 v19, 0x800, v5
	v_lshlrev_b32_e32 v5, 3, v17
	s_load_dwordx2 s[14:15], s[0:1], 0x0
	v_add_co_u32_e64 v5, s[2:3], v2, v5
	v_addc_co_u32_e64 v7, s[2:3], 0, v3, s[2:3]
	v_mad_i64_i32 v[2:3], s[2:3], s20, v4, 0
	v_cmp_gt_i32_e64 s[0:1], s10, v4
	s_waitcnt lgkmcnt(0)
	v_mov_b32_e32 v8, s15
	v_add_co_u32_e64 v4, s[2:3], s14, v5
	v_lshlrev_b64 v[2:3], 3, v[2:3]
	v_addc_co_u32_e64 v5, s[2:3], v8, v7, s[2:3]
	v_add_co_u32_e64 v2, s[2:3], v2, v6
	v_addc_co_u32_e64 v3, s[2:3], 0, v3, s[2:3]
	v_mov_b32_e32 v7, s19
	v_add_co_u32_e64 v6, s[2:3], s18, v2
	v_mov_b32_e32 v14, 0x800
	v_addc_co_u32_e64 v7, s[2:3], v7, v3, s[2:3]
	v_mov_b32_e32 v2, 0
	v_mov_b32_e32 v8, 0
	v_mov_b32_e32 v10, 0
	v_mov_b32_e32 v12, 0
	v_lshlrev_b32_e32 v20, 3, v0
	v_mov_b32_e32 v3, 0
	v_mov_b32_e32 v9, 0
	;; [unrolled: 1-line block ×4, first 2 shown]
	v_lshl_add_u32 v21, v1, 6, v14
	s_branch .LBB605_3
.LBB605_2:                              ;   in Loop: Header=BB605_3 Depth=1
	s_or_b64 exec, exec, s[2:3]
	s_waitcnt vmcnt(0) lgkmcnt(0)
	ds_write_b64 v19, v[14:15]
	s_waitcnt lgkmcnt(0)
	s_barrier
	ds_read2_b64 v[22:25], v20 offset1:16
	ds_read_b128 v[26:29], v21
	ds_read_b128 v[30:33], v21 offset:1024
	ds_read_b128 v[34:37], v21 offset:16
	v_add_co_u32_e64 v4, s[2:3], 64, v4
	s_waitcnt lgkmcnt(2)
	v_fma_f64 v[14:15], v[22:23], v[26:27], v[12:13]
	v_fma_f64 v[26:27], v[24:25], v[26:27], v[10:11]
	s_waitcnt lgkmcnt(1)
	v_fma_f64 v[8:9], v[22:23], v[30:31], v[8:9]
	v_fma_f64 v[2:3], v[24:25], v[30:31], v[2:3]
	ds_read2_b64 v[22:25], v20 offset0:32 offset1:48
	ds_read_b128 v[10:13], v21 offset:1040
	v_addc_co_u32_e64 v5, s[2:3], 0, v5, s[2:3]
	s_add_i32 s9, s9, 8
	s_waitcnt lgkmcnt(1)
	v_fma_f64 v[14:15], v[22:23], v[28:29], v[14:15]
	v_fma_f64 v[26:27], v[24:25], v[28:29], v[26:27]
	;; [unrolled: 1-line block ×4, first 2 shown]
	ds_read2_b64 v[22:25], v20 offset0:64 offset1:80
	v_add_co_u32_e64 v6, s[2:3], 64, v6
	s_cmp_ge_i32 s9, s11
	v_addc_co_u32_e64 v7, s[2:3], 0, v7, s[2:3]
	s_waitcnt lgkmcnt(0)
	v_fma_f64 v[14:15], v[22:23], v[34:35], v[14:15]
	v_fma_f64 v[30:31], v[24:25], v[34:35], v[26:27]
	;; [unrolled: 1-line block ×4, first 2 shown]
	ds_read2_b64 v[26:29], v20 offset0:96 offset1:112
	ds_read2_b64 v[8:11], v20 offset0:128 offset1:144
	ds_read_b128 v[22:25], v21 offset:32
	s_waitcnt lgkmcnt(2)
	v_fma_f64 v[34:35], v[26:27], v[36:37], v[14:15]
	v_fma_f64 v[30:31], v[28:29], v[36:37], v[30:31]
	v_fma_f64 v[36:37], v[26:27], v[12:13], v[32:33]
	v_fma_f64 v[2:3], v[28:29], v[12:13], v[2:3]
	ds_read_b128 v[12:15], v21 offset:1056
	ds_read_b128 v[26:29], v21 offset:48
	s_waitcnt lgkmcnt(2)
	v_fma_f64 v[34:35], v[8:9], v[22:23], v[34:35]
	v_fma_f64 v[22:23], v[10:11], v[22:23], v[30:31]
	s_waitcnt lgkmcnt(1)
	v_fma_f64 v[36:37], v[8:9], v[12:13], v[36:37]
	v_fma_f64 v[2:3], v[10:11], v[12:13], v[2:3]
	ds_read2_b64 v[8:11], v20 offset0:160 offset1:176
	ds_read_b128 v[30:33], v21 offset:1072
	s_waitcnt lgkmcnt(1)
	v_fma_f64 v[12:13], v[8:9], v[24:25], v[34:35]
	v_fma_f64 v[34:35], v[10:11], v[24:25], v[22:23]
	;; [unrolled: 1-line block ×4, first 2 shown]
	ds_read2_b64 v[8:11], v20 offset0:192 offset1:208
	ds_read2_b64 v[22:25], v20 offset0:224 offset1:240
	s_waitcnt lgkmcnt(0)
	s_barrier
	v_fma_f64 v[12:13], v[8:9], v[26:27], v[12:13]
	v_fma_f64 v[14:15], v[10:11], v[26:27], v[34:35]
	v_fma_f64 v[8:9], v[8:9], v[30:31], v[36:37]
	v_fma_f64 v[2:3], v[10:11], v[30:31], v[2:3]
	v_fma_f64 v[12:13], v[22:23], v[28:29], v[12:13]
	v_fma_f64 v[10:11], v[24:25], v[28:29], v[14:15]
	v_fma_f64 v[8:9], v[22:23], v[32:33], v[8:9]
	v_fma_f64 v[2:3], v[24:25], v[32:33], v[2:3]
	s_cbranch_scc1 .LBB605_8
.LBB605_3:                              ; =>This Inner Loop Header: Depth=1
	v_add_u32_e32 v14, s9, v17
	v_cmp_gt_i32_e64 s[2:3], s11, v14
	v_mov_b32_e32 v14, 0
	v_mov_b32_e32 v15, 0
	s_and_b64 s[14:15], vcc, s[2:3]
	s_and_saveexec_b64 s[2:3], s[14:15]
	s_cbranch_execz .LBB605_5
; %bb.4:                                ;   in Loop: Header=BB605_3 Depth=1
	flat_load_dwordx2 v[14:15], v[4:5]
.LBB605_5:                              ;   in Loop: Header=BB605_3 Depth=1
	s_or_b64 exec, exec, s[2:3]
	s_waitcnt vmcnt(0) lgkmcnt(0)
	ds_write_b64 v18, v[14:15]
	v_add_u32_e32 v14, s9, v16
	v_cmp_gt_i32_e64 s[2:3], s11, v14
	v_mov_b32_e32 v14, 0
	v_mov_b32_e32 v15, 0
	s_and_b64 s[14:15], s[2:3], s[0:1]
	s_and_saveexec_b64 s[2:3], s[14:15]
	s_cbranch_execz .LBB605_2
; %bb.6:                                ;   in Loop: Header=BB605_3 Depth=1
	flat_load_dwordx2 v[14:15], v[6:7]
	s_branch .LBB605_2
.LBB605_7:
	v_mov_b32_e32 v12, 0
	v_mov_b32_e32 v10, 0
	v_mov_b32_e32 v8, 0
	v_mov_b32_e32 v2, 0
	v_mov_b32_e32 v13, 0
	v_mov_b32_e32 v11, 0
	v_mov_b32_e32 v9, 0
	v_mov_b32_e32 v3, 0
.LBB605_8:
	s_load_dword s4, s[4:5], 0x50
	v_add_u32_e32 v6, s7, v1
	s_waitcnt lgkmcnt(0)
	v_mov_b32_e32 v1, s17
	v_add_u32_e32 v0, s6, v0
	v_cmp_gt_i32_e32 vcc, s10, v6
	v_mad_i64_i32 v[4:5], s[0:1], v6, s4, 0
	v_lshlrev_b64 v[4:5], 3, v[4:5]
	v_add_co_u32_e64 v7, s[0:1], s16, v4
	v_addc_co_u32_e64 v14, s[0:1], v1, v5, s[0:1]
	v_cmp_le_i32_e64 s[0:1], v0, v6
	s_and_b64 s[0:1], vcc, s[0:1]
	s_and_saveexec_b64 s[2:3], s[0:1]
	s_cbranch_execz .LBB605_10
; %bb.9:
	v_mul_f64 v[4:5], s[12:13], v[12:13]
	v_ashrrev_i32_e32 v1, 31, v0
	v_lshlrev_b64 v[12:13], 3, v[0:1]
	v_add_co_u32_e64 v12, s[0:1], v7, v12
	v_addc_co_u32_e64 v13, s[0:1], v14, v13, s[0:1]
	flat_store_dwordx2 v[12:13], v[4:5]
.LBB605_10:
	s_or_b64 exec, exec, s[2:3]
	v_add_u32_e32 v4, 16, v0
	v_cmp_le_i32_e64 s[0:1], v4, v6
	s_and_b64 s[2:3], vcc, s[0:1]
	s_and_saveexec_b64 s[0:1], s[2:3]
	s_cbranch_execz .LBB605_12
; %bb.11:
	v_mul_f64 v[10:11], s[12:13], v[10:11]
	v_ashrrev_i32_e32 v5, 31, v4
	v_lshlrev_b64 v[12:13], 3, v[4:5]
	v_add_co_u32_e32 v12, vcc, v7, v12
	v_addc_co_u32_e32 v13, vcc, v14, v13, vcc
	flat_store_dwordx2 v[12:13], v[10:11]
.LBB605_12:
	s_or_b64 exec, exec, s[0:1]
	v_add_u32_e32 v5, 16, v6
	v_mad_i64_i32 v[6:7], s[0:1], v5, s4, 0
	v_mov_b32_e32 v1, s17
	v_cmp_gt_i32_e32 vcc, s10, v5
	v_lshlrev_b64 v[6:7], 3, v[6:7]
	v_add_co_u32_e64 v6, s[0:1], s16, v6
	v_addc_co_u32_e64 v7, s[0:1], v1, v7, s[0:1]
	v_cmp_le_i32_e64 s[0:1], v0, v5
	s_and_b64 s[0:1], vcc, s[0:1]
	s_and_saveexec_b64 s[2:3], s[0:1]
	s_cbranch_execz .LBB605_14
; %bb.13:
	v_mul_f64 v[8:9], s[12:13], v[8:9]
	v_ashrrev_i32_e32 v1, 31, v0
	v_lshlrev_b64 v[0:1], 3, v[0:1]
	v_add_co_u32_e64 v0, s[0:1], v6, v0
	v_addc_co_u32_e64 v1, s[0:1], v7, v1, s[0:1]
	flat_store_dwordx2 v[0:1], v[8:9]
.LBB605_14:
	s_or_b64 exec, exec, s[2:3]
	v_cmp_le_i32_e64 s[0:1], v4, v5
	s_and_b64 s[0:1], vcc, s[0:1]
	s_and_saveexec_b64 s[2:3], s[0:1]
	s_cbranch_execz .LBB605_16
; %bb.15:
	v_mul_f64 v[0:1], s[12:13], v[2:3]
	v_ashrrev_i32_e32 v5, 31, v4
	v_lshlrev_b64 v[2:3], 3, v[4:5]
	v_add_co_u32_e32 v2, vcc, v6, v2
	v_addc_co_u32_e32 v3, vcc, v7, v3, vcc
	flat_store_dwordx2 v[2:3], v[0:1]
.LBB605_16:
	s_endpgm
	.section	.rodata,"a",@progbits
	.p2align	6, 0x0
	.amdhsa_kernel _ZL34rocblas_syrkx_herkx_general_kernelIidLi16ELi32ELi8ELb1ELb0ELc67ELc85EKPKdKPdEviT_T0_PT8_S5_lS8_S5_lS6_PT9_S5_li
		.amdhsa_group_segment_fixed_size 4096
		.amdhsa_private_segment_fixed_size 0
		.amdhsa_kernarg_size 100
		.amdhsa_user_sgpr_count 6
		.amdhsa_user_sgpr_private_segment_buffer 1
		.amdhsa_user_sgpr_dispatch_ptr 0
		.amdhsa_user_sgpr_queue_ptr 0
		.amdhsa_user_sgpr_kernarg_segment_ptr 1
		.amdhsa_user_sgpr_dispatch_id 0
		.amdhsa_user_sgpr_flat_scratch_init 0
		.amdhsa_user_sgpr_private_segment_size 0
		.amdhsa_uses_dynamic_stack 0
		.amdhsa_system_sgpr_private_segment_wavefront_offset 0
		.amdhsa_system_sgpr_workgroup_id_x 1
		.amdhsa_system_sgpr_workgroup_id_y 1
		.amdhsa_system_sgpr_workgroup_id_z 1
		.amdhsa_system_sgpr_workgroup_info 0
		.amdhsa_system_vgpr_workitem_id 1
		.amdhsa_next_free_vgpr 38
		.amdhsa_next_free_sgpr 21
		.amdhsa_reserve_vcc 1
		.amdhsa_reserve_flat_scratch 0
		.amdhsa_float_round_mode_32 0
		.amdhsa_float_round_mode_16_64 0
		.amdhsa_float_denorm_mode_32 3
		.amdhsa_float_denorm_mode_16_64 3
		.amdhsa_dx10_clamp 1
		.amdhsa_ieee_mode 1
		.amdhsa_fp16_overflow 0
		.amdhsa_exception_fp_ieee_invalid_op 0
		.amdhsa_exception_fp_denorm_src 0
		.amdhsa_exception_fp_ieee_div_zero 0
		.amdhsa_exception_fp_ieee_overflow 0
		.amdhsa_exception_fp_ieee_underflow 0
		.amdhsa_exception_fp_ieee_inexact 0
		.amdhsa_exception_int_div_zero 0
	.end_amdhsa_kernel
	.section	.text._ZL34rocblas_syrkx_herkx_general_kernelIidLi16ELi32ELi8ELb1ELb0ELc67ELc85EKPKdKPdEviT_T0_PT8_S5_lS8_S5_lS6_PT9_S5_li,"axG",@progbits,_ZL34rocblas_syrkx_herkx_general_kernelIidLi16ELi32ELi8ELb1ELb0ELc67ELc85EKPKdKPdEviT_T0_PT8_S5_lS8_S5_lS6_PT9_S5_li,comdat
.Lfunc_end605:
	.size	_ZL34rocblas_syrkx_herkx_general_kernelIidLi16ELi32ELi8ELb1ELb0ELc67ELc85EKPKdKPdEviT_T0_PT8_S5_lS8_S5_lS6_PT9_S5_li, .Lfunc_end605-_ZL34rocblas_syrkx_herkx_general_kernelIidLi16ELi32ELi8ELb1ELb0ELc67ELc85EKPKdKPdEviT_T0_PT8_S5_lS8_S5_lS6_PT9_S5_li
                                        ; -- End function
	.set _ZL34rocblas_syrkx_herkx_general_kernelIidLi16ELi32ELi8ELb1ELb0ELc67ELc85EKPKdKPdEviT_T0_PT8_S5_lS8_S5_lS6_PT9_S5_li.num_vgpr, 38
	.set _ZL34rocblas_syrkx_herkx_general_kernelIidLi16ELi32ELi8ELb1ELb0ELc67ELc85EKPKdKPdEviT_T0_PT8_S5_lS8_S5_lS6_PT9_S5_li.num_agpr, 0
	.set _ZL34rocblas_syrkx_herkx_general_kernelIidLi16ELi32ELi8ELb1ELb0ELc67ELc85EKPKdKPdEviT_T0_PT8_S5_lS8_S5_lS6_PT9_S5_li.numbered_sgpr, 21
	.set _ZL34rocblas_syrkx_herkx_general_kernelIidLi16ELi32ELi8ELb1ELb0ELc67ELc85EKPKdKPdEviT_T0_PT8_S5_lS8_S5_lS6_PT9_S5_li.num_named_barrier, 0
	.set _ZL34rocblas_syrkx_herkx_general_kernelIidLi16ELi32ELi8ELb1ELb0ELc67ELc85EKPKdKPdEviT_T0_PT8_S5_lS8_S5_lS6_PT9_S5_li.private_seg_size, 0
	.set _ZL34rocblas_syrkx_herkx_general_kernelIidLi16ELi32ELi8ELb1ELb0ELc67ELc85EKPKdKPdEviT_T0_PT8_S5_lS8_S5_lS6_PT9_S5_li.uses_vcc, 1
	.set _ZL34rocblas_syrkx_herkx_general_kernelIidLi16ELi32ELi8ELb1ELb0ELc67ELc85EKPKdKPdEviT_T0_PT8_S5_lS8_S5_lS6_PT9_S5_li.uses_flat_scratch, 0
	.set _ZL34rocblas_syrkx_herkx_general_kernelIidLi16ELi32ELi8ELb1ELb0ELc67ELc85EKPKdKPdEviT_T0_PT8_S5_lS8_S5_lS6_PT9_S5_li.has_dyn_sized_stack, 0
	.set _ZL34rocblas_syrkx_herkx_general_kernelIidLi16ELi32ELi8ELb1ELb0ELc67ELc85EKPKdKPdEviT_T0_PT8_S5_lS8_S5_lS6_PT9_S5_li.has_recursion, 0
	.set _ZL34rocblas_syrkx_herkx_general_kernelIidLi16ELi32ELi8ELb1ELb0ELc67ELc85EKPKdKPdEviT_T0_PT8_S5_lS8_S5_lS6_PT9_S5_li.has_indirect_call, 0
	.section	.AMDGPU.csdata,"",@progbits
; Kernel info:
; codeLenInByte = 1364
; TotalNumSgprs: 25
; NumVgprs: 38
; ScratchSize: 0
; MemoryBound: 0
; FloatMode: 240
; IeeeMode: 1
; LDSByteSize: 4096 bytes/workgroup (compile time only)
; SGPRBlocks: 3
; VGPRBlocks: 9
; NumSGPRsForWavesPerEU: 25
; NumVGPRsForWavesPerEU: 38
; Occupancy: 6
; WaveLimiterHint : 1
; COMPUTE_PGM_RSRC2:SCRATCH_EN: 0
; COMPUTE_PGM_RSRC2:USER_SGPR: 6
; COMPUTE_PGM_RSRC2:TRAP_HANDLER: 0
; COMPUTE_PGM_RSRC2:TGID_X_EN: 1
; COMPUTE_PGM_RSRC2:TGID_Y_EN: 1
; COMPUTE_PGM_RSRC2:TGID_Z_EN: 1
; COMPUTE_PGM_RSRC2:TIDIG_COMP_CNT: 1
	.section	.text._ZL34rocblas_syrkx_herkx_general_kernelIidLi16ELi32ELi8ELb1ELb0ELc78ELc85EKPKdKPdEviT_T0_PT8_S5_lS8_S5_lS6_PT9_S5_li,"axG",@progbits,_ZL34rocblas_syrkx_herkx_general_kernelIidLi16ELi32ELi8ELb1ELb0ELc78ELc85EKPKdKPdEviT_T0_PT8_S5_lS8_S5_lS6_PT9_S5_li,comdat
	.globl	_ZL34rocblas_syrkx_herkx_general_kernelIidLi16ELi32ELi8ELb1ELb0ELc78ELc85EKPKdKPdEviT_T0_PT8_S5_lS8_S5_lS6_PT9_S5_li ; -- Begin function _ZL34rocblas_syrkx_herkx_general_kernelIidLi16ELi32ELi8ELb1ELb0ELc78ELc85EKPKdKPdEviT_T0_PT8_S5_lS8_S5_lS6_PT9_S5_li
	.p2align	8
	.type	_ZL34rocblas_syrkx_herkx_general_kernelIidLi16ELi32ELi8ELb1ELb0ELc78ELc85EKPKdKPdEviT_T0_PT8_S5_lS8_S5_lS6_PT9_S5_li,@function
_ZL34rocblas_syrkx_herkx_general_kernelIidLi16ELi32ELi8ELb1ELb0ELc78ELc85EKPKdKPdEviT_T0_PT8_S5_lS8_S5_lS6_PT9_S5_li: ; @_ZL34rocblas_syrkx_herkx_general_kernelIidLi16ELi32ELi8ELb1ELb0ELc78ELc85EKPKdKPdEviT_T0_PT8_S5_lS8_S5_lS6_PT9_S5_li
; %bb.0:
	s_load_dwordx2 s[2:3], s[4:5], 0x48
	s_load_dwordx2 s[10:11], s[4:5], 0x0
	s_load_dwordx4 s[12:15], s[4:5], 0x8
	s_mov_b32 s9, 0
	s_lshl_b64 s[0:1], s[8:9], 3
	s_waitcnt lgkmcnt(0)
	s_add_u32 s2, s2, s0
	s_addc_u32 s3, s3, s1
	s_load_dwordx2 s[16:17], s[2:3], 0x0
	s_lshl_b32 s8, s6, 5
	s_lshl_b32 s18, s7, 5
	s_cmp_lt_i32 s11, 1
	s_cbranch_scc1 .LBB606_7
; %bb.1:
	s_load_dword s6, s[4:5], 0x18
	s_load_dword s20, s[4:5], 0x30
	s_load_dwordx2 s[2:3], s[4:5], 0x28
	v_lshl_add_u32 v2, v1, 4, v0
	v_and_b32_e32 v6, 31, v2
	v_lshrrev_b32_e32 v17, 5, v2
	v_lshrrev_b32_e32 v3, 3, v2
	v_or_b32_e32 v2, s8, v6
	s_waitcnt lgkmcnt(0)
	s_ashr_i32 s7, s6, 31
	s_ashr_i32 s21, s20, 31
	v_and_b32_e32 v16, 7, v0
	v_cmp_gt_i32_e32 vcc, s10, v2
	v_lshlrev_b32_e32 v2, 3, v6
	s_add_u32 s2, s2, s0
	v_lshl_or_b32 v18, v17, 8, v2
	v_lshlrev_b32_e32 v2, 3, v16
	s_addc_u32 s3, s3, s1
	v_lshl_or_b32 v2, v3, 6, v2
	v_add_u32_e32 v4, s18, v3
	s_load_dwordx2 s[22:23], s[2:3], 0x0
	v_add_u32_e32 v19, 0x800, v2
	v_mad_i64_i32 v[2:3], s[2:3], v17, s6, 0
	v_mov_b32_e32 v7, 0x800
	v_add_u32_e32 v6, s8, v6
	v_lshl_add_u32 v21, v1, 6, v7
	v_ashrrev_i32_e32 v7, 31, v6
	s_add_u32 s0, s14, s0
	v_lshlrev_b64 v[2:3], 3, v[2:3]
	v_lshlrev_b64 v[6:7], 3, v[6:7]
	s_addc_u32 s1, s15, s1
	s_load_dwordx2 s[14:15], s[0:1], 0x0
	v_add_co_u32_e64 v2, s[2:3], v2, v6
	v_addc_co_u32_e64 v3, s[2:3], v3, v7, s[2:3]
	v_mad_i64_i32 v[6:7], s[2:3], s20, v16, 0
	v_ashrrev_i32_e32 v5, 31, v4
	v_cmp_gt_i32_e64 s[0:1], s10, v4
	s_waitcnt lgkmcnt(0)
	v_mov_b32_e32 v8, s15
	v_add_co_u32_e64 v2, s[2:3], s14, v2
	v_lshlrev_b64 v[6:7], 3, v[6:7]
	v_lshlrev_b64 v[4:5], 3, v[4:5]
	v_addc_co_u32_e64 v3, s[2:3], v8, v3, s[2:3]
	v_add_co_u32_e64 v4, s[2:3], v6, v4
	v_addc_co_u32_e64 v5, s[2:3], v7, v5, s[2:3]
	v_mov_b32_e32 v7, s23
	v_add_co_u32_e64 v6, s[2:3], s22, v4
	s_lshl_b64 s[6:7], s[6:7], 6
	v_addc_co_u32_e64 v7, s[2:3], v7, v5, s[2:3]
	s_lshl_b64 s[14:15], s[20:21], 6
	v_mov_b32_e32 v4, 0
	v_mov_b32_e32 v8, 0
	;; [unrolled: 1-line block ×4, first 2 shown]
	v_lshlrev_b32_e32 v20, 3, v0
	v_mov_b32_e32 v5, 0
	v_mov_b32_e32 v22, s7
	v_mov_b32_e32 v9, 0
	v_mov_b32_e32 v11, 0
	v_mov_b32_e32 v13, 0
	v_mov_b32_e32 v23, s15
	s_branch .LBB606_3
.LBB606_2:                              ;   in Loop: Header=BB606_3 Depth=1
	s_or_b64 exec, exec, s[2:3]
	s_waitcnt vmcnt(0) lgkmcnt(0)
	ds_write_b64 v19, v[14:15]
	s_waitcnt lgkmcnt(0)
	s_barrier
	ds_read2_b64 v[24:27], v20 offset1:16
	ds_read_b128 v[28:31], v21
	ds_read_b128 v[32:35], v21 offset:1024
	ds_read_b128 v[36:39], v21 offset:16
	v_add_co_u32_e64 v2, s[2:3], s6, v2
	s_waitcnt lgkmcnt(2)
	v_fma_f64 v[14:15], v[24:25], v[28:29], v[12:13]
	v_fma_f64 v[28:29], v[26:27], v[28:29], v[10:11]
	s_waitcnt lgkmcnt(1)
	v_fma_f64 v[8:9], v[24:25], v[32:33], v[8:9]
	v_fma_f64 v[4:5], v[26:27], v[32:33], v[4:5]
	ds_read2_b64 v[24:27], v20 offset0:32 offset1:48
	ds_read_b128 v[10:13], v21 offset:1040
	v_addc_co_u32_e64 v3, s[2:3], v3, v22, s[2:3]
	s_add_i32 s9, s9, 8
	s_waitcnt lgkmcnt(1)
	v_fma_f64 v[14:15], v[24:25], v[30:31], v[14:15]
	v_fma_f64 v[28:29], v[26:27], v[30:31], v[28:29]
	;; [unrolled: 1-line block ×4, first 2 shown]
	ds_read2_b64 v[24:27], v20 offset0:64 offset1:80
	v_add_co_u32_e64 v6, s[2:3], s14, v6
	s_cmp_ge_i32 s9, s11
	v_addc_co_u32_e64 v7, s[2:3], v7, v23, s[2:3]
	s_waitcnt lgkmcnt(0)
	v_fma_f64 v[14:15], v[24:25], v[36:37], v[14:15]
	v_fma_f64 v[32:33], v[26:27], v[36:37], v[28:29]
	;; [unrolled: 1-line block ×4, first 2 shown]
	ds_read2_b64 v[28:31], v20 offset0:96 offset1:112
	ds_read2_b64 v[8:11], v20 offset0:128 offset1:144
	ds_read_b128 v[24:27], v21 offset:32
	s_waitcnt lgkmcnt(2)
	v_fma_f64 v[36:37], v[28:29], v[38:39], v[14:15]
	v_fma_f64 v[32:33], v[30:31], v[38:39], v[32:33]
	;; [unrolled: 1-line block ×4, first 2 shown]
	ds_read_b128 v[12:15], v21 offset:1056
	ds_read_b128 v[28:31], v21 offset:48
	s_waitcnt lgkmcnt(2)
	v_fma_f64 v[36:37], v[8:9], v[24:25], v[36:37]
	v_fma_f64 v[24:25], v[10:11], v[24:25], v[32:33]
	s_waitcnt lgkmcnt(1)
	v_fma_f64 v[38:39], v[8:9], v[12:13], v[38:39]
	v_fma_f64 v[4:5], v[10:11], v[12:13], v[4:5]
	ds_read2_b64 v[8:11], v20 offset0:160 offset1:176
	ds_read_b128 v[32:35], v21 offset:1072
	s_waitcnt lgkmcnt(1)
	v_fma_f64 v[12:13], v[8:9], v[26:27], v[36:37]
	v_fma_f64 v[36:37], v[10:11], v[26:27], v[24:25]
	v_fma_f64 v[38:39], v[8:9], v[14:15], v[38:39]
	v_fma_f64 v[4:5], v[10:11], v[14:15], v[4:5]
	ds_read2_b64 v[8:11], v20 offset0:192 offset1:208
	ds_read2_b64 v[24:27], v20 offset0:224 offset1:240
	s_waitcnt lgkmcnt(0)
	s_barrier
	v_fma_f64 v[12:13], v[8:9], v[28:29], v[12:13]
	v_fma_f64 v[14:15], v[10:11], v[28:29], v[36:37]
	;; [unrolled: 1-line block ×8, first 2 shown]
	s_cbranch_scc1 .LBB606_8
.LBB606_3:                              ; =>This Inner Loop Header: Depth=1
	v_add_u32_e32 v14, s9, v17
	v_cmp_gt_i32_e64 s[2:3], s11, v14
	v_mov_b32_e32 v14, 0
	v_mov_b32_e32 v15, 0
	s_and_b64 s[20:21], vcc, s[2:3]
	s_and_saveexec_b64 s[2:3], s[20:21]
	s_cbranch_execz .LBB606_5
; %bb.4:                                ;   in Loop: Header=BB606_3 Depth=1
	flat_load_dwordx2 v[14:15], v[2:3]
.LBB606_5:                              ;   in Loop: Header=BB606_3 Depth=1
	s_or_b64 exec, exec, s[2:3]
	s_waitcnt vmcnt(0) lgkmcnt(0)
	ds_write_b64 v18, v[14:15]
	v_add_u32_e32 v14, s9, v16
	v_cmp_gt_i32_e64 s[2:3], s11, v14
	v_mov_b32_e32 v14, 0
	v_mov_b32_e32 v15, 0
	s_and_b64 s[20:21], s[2:3], s[0:1]
	s_and_saveexec_b64 s[2:3], s[20:21]
	s_cbranch_execz .LBB606_2
; %bb.6:                                ;   in Loop: Header=BB606_3 Depth=1
	flat_load_dwordx2 v[14:15], v[6:7]
	s_branch .LBB606_2
.LBB606_7:
	v_mov_b32_e32 v12, 0
	v_mov_b32_e32 v10, 0
	;; [unrolled: 1-line block ×8, first 2 shown]
.LBB606_8:
	s_load_dword s4, s[4:5], 0x50
	v_add_u32_e32 v6, s18, v1
	s_waitcnt lgkmcnt(0)
	v_mov_b32_e32 v3, s17
	v_add_u32_e32 v0, s8, v0
	v_cmp_gt_i32_e32 vcc, s10, v6
	v_mad_i64_i32 v[1:2], s[0:1], v6, s4, 0
	v_lshlrev_b64 v[1:2], 3, v[1:2]
	v_add_co_u32_e64 v7, s[0:1], s16, v1
	v_addc_co_u32_e64 v14, s[0:1], v3, v2, s[0:1]
	v_cmp_le_i32_e64 s[0:1], v0, v6
	s_and_b64 s[0:1], vcc, s[0:1]
	s_and_saveexec_b64 s[2:3], s[0:1]
	s_cbranch_execz .LBB606_10
; %bb.9:
	v_mul_f64 v[2:3], s[12:13], v[12:13]
	v_ashrrev_i32_e32 v1, 31, v0
	v_lshlrev_b64 v[12:13], 3, v[0:1]
	v_add_co_u32_e64 v12, s[0:1], v7, v12
	v_addc_co_u32_e64 v13, s[0:1], v14, v13, s[0:1]
	flat_store_dwordx2 v[12:13], v[2:3]
.LBB606_10:
	s_or_b64 exec, exec, s[2:3]
	v_add_u32_e32 v2, 16, v0
	v_cmp_le_i32_e64 s[0:1], v2, v6
	s_and_b64 s[2:3], vcc, s[0:1]
	s_and_saveexec_b64 s[0:1], s[2:3]
	s_cbranch_execz .LBB606_12
; %bb.11:
	v_mul_f64 v[10:11], s[12:13], v[10:11]
	v_ashrrev_i32_e32 v3, 31, v2
	v_lshlrev_b64 v[12:13], 3, v[2:3]
	v_add_co_u32_e32 v12, vcc, v7, v12
	v_addc_co_u32_e32 v13, vcc, v14, v13, vcc
	flat_store_dwordx2 v[12:13], v[10:11]
.LBB606_12:
	s_or_b64 exec, exec, s[0:1]
	v_add_u32_e32 v3, 16, v6
	v_mad_i64_i32 v[6:7], s[0:1], v3, s4, 0
	v_mov_b32_e32 v1, s17
	v_cmp_gt_i32_e32 vcc, s10, v3
	v_lshlrev_b64 v[6:7], 3, v[6:7]
	v_add_co_u32_e64 v6, s[0:1], s16, v6
	v_addc_co_u32_e64 v7, s[0:1], v1, v7, s[0:1]
	v_cmp_le_i32_e64 s[0:1], v0, v3
	s_and_b64 s[0:1], vcc, s[0:1]
	s_and_saveexec_b64 s[2:3], s[0:1]
	s_cbranch_execz .LBB606_14
; %bb.13:
	v_mul_f64 v[8:9], s[12:13], v[8:9]
	v_ashrrev_i32_e32 v1, 31, v0
	v_lshlrev_b64 v[0:1], 3, v[0:1]
	v_add_co_u32_e64 v0, s[0:1], v6, v0
	v_addc_co_u32_e64 v1, s[0:1], v7, v1, s[0:1]
	flat_store_dwordx2 v[0:1], v[8:9]
.LBB606_14:
	s_or_b64 exec, exec, s[2:3]
	v_cmp_le_i32_e64 s[0:1], v2, v3
	s_and_b64 s[0:1], vcc, s[0:1]
	s_and_saveexec_b64 s[2:3], s[0:1]
	s_cbranch_execz .LBB606_16
; %bb.15:
	v_mul_f64 v[0:1], s[12:13], v[4:5]
	v_ashrrev_i32_e32 v3, 31, v2
	v_lshlrev_b64 v[2:3], 3, v[2:3]
	v_add_co_u32_e32 v2, vcc, v6, v2
	v_addc_co_u32_e32 v3, vcc, v7, v3, vcc
	flat_store_dwordx2 v[2:3], v[0:1]
.LBB606_16:
	s_endpgm
	.section	.rodata,"a",@progbits
	.p2align	6, 0x0
	.amdhsa_kernel _ZL34rocblas_syrkx_herkx_general_kernelIidLi16ELi32ELi8ELb1ELb0ELc78ELc85EKPKdKPdEviT_T0_PT8_S5_lS8_S5_lS6_PT9_S5_li
		.amdhsa_group_segment_fixed_size 4096
		.amdhsa_private_segment_fixed_size 0
		.amdhsa_kernarg_size 100
		.amdhsa_user_sgpr_count 6
		.amdhsa_user_sgpr_private_segment_buffer 1
		.amdhsa_user_sgpr_dispatch_ptr 0
		.amdhsa_user_sgpr_queue_ptr 0
		.amdhsa_user_sgpr_kernarg_segment_ptr 1
		.amdhsa_user_sgpr_dispatch_id 0
		.amdhsa_user_sgpr_flat_scratch_init 0
		.amdhsa_user_sgpr_private_segment_size 0
		.amdhsa_uses_dynamic_stack 0
		.amdhsa_system_sgpr_private_segment_wavefront_offset 0
		.amdhsa_system_sgpr_workgroup_id_x 1
		.amdhsa_system_sgpr_workgroup_id_y 1
		.amdhsa_system_sgpr_workgroup_id_z 1
		.amdhsa_system_sgpr_workgroup_info 0
		.amdhsa_system_vgpr_workitem_id 1
		.amdhsa_next_free_vgpr 40
		.amdhsa_next_free_sgpr 24
		.amdhsa_reserve_vcc 1
		.amdhsa_reserve_flat_scratch 0
		.amdhsa_float_round_mode_32 0
		.amdhsa_float_round_mode_16_64 0
		.amdhsa_float_denorm_mode_32 3
		.amdhsa_float_denorm_mode_16_64 3
		.amdhsa_dx10_clamp 1
		.amdhsa_ieee_mode 1
		.amdhsa_fp16_overflow 0
		.amdhsa_exception_fp_ieee_invalid_op 0
		.amdhsa_exception_fp_denorm_src 0
		.amdhsa_exception_fp_ieee_div_zero 0
		.amdhsa_exception_fp_ieee_overflow 0
		.amdhsa_exception_fp_ieee_underflow 0
		.amdhsa_exception_fp_ieee_inexact 0
		.amdhsa_exception_int_div_zero 0
	.end_amdhsa_kernel
	.section	.text._ZL34rocblas_syrkx_herkx_general_kernelIidLi16ELi32ELi8ELb1ELb0ELc78ELc85EKPKdKPdEviT_T0_PT8_S5_lS8_S5_lS6_PT9_S5_li,"axG",@progbits,_ZL34rocblas_syrkx_herkx_general_kernelIidLi16ELi32ELi8ELb1ELb0ELc78ELc85EKPKdKPdEviT_T0_PT8_S5_lS8_S5_lS6_PT9_S5_li,comdat
.Lfunc_end606:
	.size	_ZL34rocblas_syrkx_herkx_general_kernelIidLi16ELi32ELi8ELb1ELb0ELc78ELc85EKPKdKPdEviT_T0_PT8_S5_lS8_S5_lS6_PT9_S5_li, .Lfunc_end606-_ZL34rocblas_syrkx_herkx_general_kernelIidLi16ELi32ELi8ELb1ELb0ELc78ELc85EKPKdKPdEviT_T0_PT8_S5_lS8_S5_lS6_PT9_S5_li
                                        ; -- End function
	.set _ZL34rocblas_syrkx_herkx_general_kernelIidLi16ELi32ELi8ELb1ELb0ELc78ELc85EKPKdKPdEviT_T0_PT8_S5_lS8_S5_lS6_PT9_S5_li.num_vgpr, 40
	.set _ZL34rocblas_syrkx_herkx_general_kernelIidLi16ELi32ELi8ELb1ELb0ELc78ELc85EKPKdKPdEviT_T0_PT8_S5_lS8_S5_lS6_PT9_S5_li.num_agpr, 0
	.set _ZL34rocblas_syrkx_herkx_general_kernelIidLi16ELi32ELi8ELb1ELb0ELc78ELc85EKPKdKPdEviT_T0_PT8_S5_lS8_S5_lS6_PT9_S5_li.numbered_sgpr, 24
	.set _ZL34rocblas_syrkx_herkx_general_kernelIidLi16ELi32ELi8ELb1ELb0ELc78ELc85EKPKdKPdEviT_T0_PT8_S5_lS8_S5_lS6_PT9_S5_li.num_named_barrier, 0
	.set _ZL34rocblas_syrkx_herkx_general_kernelIidLi16ELi32ELi8ELb1ELb0ELc78ELc85EKPKdKPdEviT_T0_PT8_S5_lS8_S5_lS6_PT9_S5_li.private_seg_size, 0
	.set _ZL34rocblas_syrkx_herkx_general_kernelIidLi16ELi32ELi8ELb1ELb0ELc78ELc85EKPKdKPdEviT_T0_PT8_S5_lS8_S5_lS6_PT9_S5_li.uses_vcc, 1
	.set _ZL34rocblas_syrkx_herkx_general_kernelIidLi16ELi32ELi8ELb1ELb0ELc78ELc85EKPKdKPdEviT_T0_PT8_S5_lS8_S5_lS6_PT9_S5_li.uses_flat_scratch, 0
	.set _ZL34rocblas_syrkx_herkx_general_kernelIidLi16ELi32ELi8ELb1ELb0ELc78ELc85EKPKdKPdEviT_T0_PT8_S5_lS8_S5_lS6_PT9_S5_li.has_dyn_sized_stack, 0
	.set _ZL34rocblas_syrkx_herkx_general_kernelIidLi16ELi32ELi8ELb1ELb0ELc78ELc85EKPKdKPdEviT_T0_PT8_S5_lS8_S5_lS6_PT9_S5_li.has_recursion, 0
	.set _ZL34rocblas_syrkx_herkx_general_kernelIidLi16ELi32ELi8ELb1ELb0ELc78ELc85EKPKdKPdEviT_T0_PT8_S5_lS8_S5_lS6_PT9_S5_li.has_indirect_call, 0
	.section	.AMDGPU.csdata,"",@progbits
; Kernel info:
; codeLenInByte = 1408
; TotalNumSgprs: 28
; NumVgprs: 40
; ScratchSize: 0
; MemoryBound: 0
; FloatMode: 240
; IeeeMode: 1
; LDSByteSize: 4096 bytes/workgroup (compile time only)
; SGPRBlocks: 3
; VGPRBlocks: 9
; NumSGPRsForWavesPerEU: 28
; NumVGPRsForWavesPerEU: 40
; Occupancy: 6
; WaveLimiterHint : 1
; COMPUTE_PGM_RSRC2:SCRATCH_EN: 0
; COMPUTE_PGM_RSRC2:USER_SGPR: 6
; COMPUTE_PGM_RSRC2:TRAP_HANDLER: 0
; COMPUTE_PGM_RSRC2:TGID_X_EN: 1
; COMPUTE_PGM_RSRC2:TGID_Y_EN: 1
; COMPUTE_PGM_RSRC2:TGID_Z_EN: 1
; COMPUTE_PGM_RSRC2:TIDIG_COMP_CNT: 1
	.section	.text._ZL34rocblas_syrkx_herkx_general_kernelIidLi16ELi32ELi8ELb0ELb0ELc84ELc76EKPKdKPdEviT_T0_PT8_S5_lS8_S5_lS6_PT9_S5_li,"axG",@progbits,_ZL34rocblas_syrkx_herkx_general_kernelIidLi16ELi32ELi8ELb0ELb0ELc84ELc76EKPKdKPdEviT_T0_PT8_S5_lS8_S5_lS6_PT9_S5_li,comdat
	.globl	_ZL34rocblas_syrkx_herkx_general_kernelIidLi16ELi32ELi8ELb0ELb0ELc84ELc76EKPKdKPdEviT_T0_PT8_S5_lS8_S5_lS6_PT9_S5_li ; -- Begin function _ZL34rocblas_syrkx_herkx_general_kernelIidLi16ELi32ELi8ELb0ELb0ELc84ELc76EKPKdKPdEviT_T0_PT8_S5_lS8_S5_lS6_PT9_S5_li
	.p2align	8
	.type	_ZL34rocblas_syrkx_herkx_general_kernelIidLi16ELi32ELi8ELb0ELb0ELc84ELc76EKPKdKPdEviT_T0_PT8_S5_lS8_S5_lS6_PT9_S5_li,@function
_ZL34rocblas_syrkx_herkx_general_kernelIidLi16ELi32ELi8ELb0ELb0ELc84ELc76EKPKdKPdEviT_T0_PT8_S5_lS8_S5_lS6_PT9_S5_li: ; @_ZL34rocblas_syrkx_herkx_general_kernelIidLi16ELi32ELi8ELb0ELb0ELc84ELc76EKPKdKPdEviT_T0_PT8_S5_lS8_S5_lS6_PT9_S5_li
; %bb.0:
	s_load_dwordx4 s[12:15], s[4:5], 0x40
	s_load_dwordx2 s[20:21], s[4:5], 0x0
	s_load_dwordx4 s[16:19], s[4:5], 0x8
	s_mov_b32 s9, 0
	s_lshl_b64 s[0:1], s[8:9], 3
	s_waitcnt lgkmcnt(0)
	s_add_u32 s2, s14, s0
	s_addc_u32 s3, s15, s1
	s_load_dwordx2 s[10:11], s[2:3], 0x0
	s_lshl_b32 s6, s6, 5
	s_lshl_b32 s7, s7, 5
	s_cmp_lt_i32 s21, 1
	s_cbranch_scc1 .LBB607_7
; %bb.1:
	s_load_dword s8, s[4:5], 0x18
	s_load_dwordx2 s[2:3], s[4:5], 0x28
	s_load_dword s22, s[4:5], 0x30
	v_lshl_add_u32 v2, v1, 4, v0
	v_lshrrev_b32_e32 v17, 5, v2
	v_lshrrev_b32_e32 v3, 3, v2
	v_and_b32_e32 v2, 31, v2
	v_and_b32_e32 v16, 7, v0
	v_or_b32_e32 v5, s6, v2
	s_waitcnt lgkmcnt(0)
	s_add_u32 s2, s2, s0
	s_addc_u32 s3, s3, s1
	v_cmp_gt_i32_e32 vcc, s20, v5
	v_lshlrev_b32_e32 v5, 3, v2
	v_lshlrev_b32_e32 v6, 3, v16
	v_add_u32_e32 v2, s6, v2
	v_add_u32_e32 v4, s7, v3
	s_load_dwordx2 s[14:15], s[2:3], 0x0
	v_lshl_or_b32 v18, v17, 8, v5
	v_lshl_or_b32 v5, v3, 6, v6
	v_mad_i64_i32 v[2:3], s[2:3], s8, v2, 0
	s_add_u32 s0, s18, s0
	s_addc_u32 s1, s19, s1
	v_lshlrev_b64 v[2:3], 3, v[2:3]
	v_add_u32_e32 v19, 0x800, v5
	v_lshlrev_b32_e32 v5, 3, v17
	s_load_dwordx2 s[18:19], s[0:1], 0x0
	v_add_co_u32_e64 v5, s[2:3], v2, v5
	v_addc_co_u32_e64 v7, s[2:3], 0, v3, s[2:3]
	v_mad_i64_i32 v[2:3], s[2:3], s22, v4, 0
	v_cmp_gt_i32_e64 s[0:1], s20, v4
	s_waitcnt lgkmcnt(0)
	v_mov_b32_e32 v8, s19
	v_add_co_u32_e64 v4, s[2:3], s18, v5
	v_lshlrev_b64 v[2:3], 3, v[2:3]
	v_addc_co_u32_e64 v5, s[2:3], v8, v7, s[2:3]
	v_add_co_u32_e64 v2, s[2:3], v2, v6
	v_addc_co_u32_e64 v3, s[2:3], 0, v3, s[2:3]
	v_mov_b32_e32 v6, s15
	v_add_co_u32_e64 v8, s[2:3], s14, v2
	v_mov_b32_e32 v14, 0x800
	v_addc_co_u32_e64 v9, s[2:3], v6, v3, s[2:3]
	v_mov_b32_e32 v2, 0
	v_mov_b32_e32 v6, 0
	;; [unrolled: 1-line block ×4, first 2 shown]
	v_lshlrev_b32_e32 v20, 3, v0
	v_mov_b32_e32 v3, 0
	v_mov_b32_e32 v7, 0
	;; [unrolled: 1-line block ×4, first 2 shown]
	v_lshl_add_u32 v21, v1, 6, v14
	s_branch .LBB607_3
.LBB607_2:                              ;   in Loop: Header=BB607_3 Depth=1
	s_or_b64 exec, exec, s[2:3]
	s_waitcnt vmcnt(0) lgkmcnt(0)
	ds_write_b64 v19, v[14:15]
	s_waitcnt lgkmcnt(0)
	s_barrier
	ds_read2_b64 v[22:25], v20 offset1:16
	ds_read_b128 v[26:29], v21
	ds_read_b128 v[30:33], v21 offset:1024
	ds_read_b128 v[34:37], v21 offset:16
	v_add_co_u32_e64 v4, s[2:3], 64, v4
	s_waitcnt lgkmcnt(2)
	v_fma_f64 v[14:15], v[22:23], v[26:27], v[12:13]
	v_fma_f64 v[26:27], v[24:25], v[26:27], v[10:11]
	s_waitcnt lgkmcnt(1)
	v_fma_f64 v[6:7], v[22:23], v[30:31], v[6:7]
	v_fma_f64 v[2:3], v[24:25], v[30:31], v[2:3]
	ds_read2_b64 v[22:25], v20 offset0:32 offset1:48
	ds_read_b128 v[10:13], v21 offset:1040
	v_addc_co_u32_e64 v5, s[2:3], 0, v5, s[2:3]
	s_add_i32 s9, s9, 8
	s_waitcnt lgkmcnt(1)
	v_fma_f64 v[26:27], v[24:25], v[28:29], v[26:27]
	v_fma_f64 v[14:15], v[22:23], v[28:29], v[14:15]
	;; [unrolled: 1-line block ×4, first 2 shown]
	ds_read2_b64 v[22:25], v20 offset0:64 offset1:80
	v_add_co_u32_e64 v8, s[2:3], 64, v8
	s_cmp_ge_i32 s9, s21
	v_addc_co_u32_e64 v9, s[2:3], 0, v9, s[2:3]
	s_waitcnt lgkmcnt(0)
	v_fma_f64 v[30:31], v[24:25], v[34:35], v[26:27]
	ds_read2_b64 v[26:29], v20 offset0:96 offset1:112
	v_fma_f64 v[14:15], v[22:23], v[34:35], v[14:15]
	s_waitcnt lgkmcnt(0)
	v_fma_f64 v[34:35], v[28:29], v[36:37], v[30:31]
	ds_read_b128 v[30:33], v21 offset:32
	v_fma_f64 v[6:7], v[22:23], v[10:11], v[6:7]
	v_fma_f64 v[2:3], v[24:25], v[10:11], v[2:3]
	;; [unrolled: 1-line block ×3, first 2 shown]
	ds_read2_b64 v[22:25], v20 offset0:128 offset1:144
	v_fma_f64 v[6:7], v[26:27], v[12:13], v[6:7]
	v_fma_f64 v[2:3], v[28:29], v[12:13], v[2:3]
	ds_read_b128 v[10:13], v21 offset:1056
	ds_read_b128 v[26:29], v21 offset:48
	s_waitcnt lgkmcnt(2)
	v_fma_f64 v[14:15], v[22:23], v[30:31], v[14:15]
	v_fma_f64 v[30:31], v[24:25], v[30:31], v[34:35]
	ds_read_b128 v[34:37], v21 offset:1072
	s_waitcnt lgkmcnt(2)
	v_fma_f64 v[6:7], v[22:23], v[10:11], v[6:7]
	v_fma_f64 v[2:3], v[24:25], v[10:11], v[2:3]
	ds_read2_b64 v[22:25], v20 offset0:160 offset1:176
	s_waitcnt lgkmcnt(0)
	v_fma_f64 v[14:15], v[22:23], v[32:33], v[14:15]
	v_fma_f64 v[30:31], v[24:25], v[32:33], v[30:31]
	v_fma_f64 v[6:7], v[22:23], v[12:13], v[6:7]
	v_fma_f64 v[2:3], v[24:25], v[12:13], v[2:3]
	ds_read2_b64 v[10:13], v20 offset0:192 offset1:208
	ds_read2_b64 v[22:25], v20 offset0:224 offset1:240
	s_waitcnt lgkmcnt(0)
	s_barrier
	v_fma_f64 v[14:15], v[10:11], v[26:27], v[14:15]
	v_fma_f64 v[26:27], v[12:13], v[26:27], v[30:31]
	;; [unrolled: 1-line block ×8, first 2 shown]
	s_cbranch_scc1 .LBB607_8
.LBB607_3:                              ; =>This Inner Loop Header: Depth=1
	v_add_u32_e32 v14, s9, v17
	v_cmp_gt_i32_e64 s[2:3], s21, v14
	v_mov_b32_e32 v14, 0
	v_mov_b32_e32 v15, 0
	s_and_b64 s[14:15], vcc, s[2:3]
	s_and_saveexec_b64 s[2:3], s[14:15]
	s_cbranch_execz .LBB607_5
; %bb.4:                                ;   in Loop: Header=BB607_3 Depth=1
	flat_load_dwordx2 v[14:15], v[4:5]
.LBB607_5:                              ;   in Loop: Header=BB607_3 Depth=1
	s_or_b64 exec, exec, s[2:3]
	s_waitcnt vmcnt(0) lgkmcnt(0)
	ds_write_b64 v18, v[14:15]
	v_add_u32_e32 v14, s9, v16
	v_cmp_gt_i32_e64 s[2:3], s21, v14
	v_mov_b32_e32 v14, 0
	v_mov_b32_e32 v15, 0
	s_and_b64 s[14:15], s[2:3], s[0:1]
	s_and_saveexec_b64 s[2:3], s[14:15]
	s_cbranch_execz .LBB607_2
; %bb.6:                                ;   in Loop: Header=BB607_3 Depth=1
	flat_load_dwordx2 v[14:15], v[8:9]
	s_branch .LBB607_2
.LBB607_7:
	v_mov_b32_e32 v12, 0
	v_mov_b32_e32 v10, 0
	v_mov_b32_e32 v6, 0
	v_mov_b32_e32 v2, 0
	v_mov_b32_e32 v13, 0
	v_mov_b32_e32 v11, 0
	v_mov_b32_e32 v7, 0
	v_mov_b32_e32 v3, 0
.LBB607_8:
	s_load_dword s8, s[4:5], 0x50
	v_add_u32_e32 v8, s7, v1
	s_waitcnt lgkmcnt(0)
	v_mov_b32_e32 v1, s11
	v_add_u32_e32 v0, s6, v0
	v_mad_i64_i32 v[4:5], s[0:1], v8, s8, 0
	v_cmp_le_i32_e64 s[0:1], v8, v0
	v_lshlrev_b64 v[4:5], 3, v[4:5]
	v_add_co_u32_e32 v9, vcc, s10, v4
	v_addc_co_u32_e32 v14, vcc, v1, v5, vcc
	v_cmp_gt_i32_e32 vcc, s20, v0
	s_and_b64 s[0:1], s[0:1], vcc
	s_and_saveexec_b64 s[2:3], s[0:1]
	s_cbranch_execz .LBB607_10
; %bb.9:
	v_ashrrev_i32_e32 v1, 31, v0
	v_lshlrev_b64 v[4:5], 3, v[0:1]
	v_add_co_u32_e64 v4, s[0:1], v9, v4
	v_addc_co_u32_e64 v5, s[0:1], v14, v5, s[0:1]
	flat_load_dwordx2 v[15:16], v[4:5]
	s_waitcnt vmcnt(0) lgkmcnt(0)
	v_mul_f64 v[15:16], s[12:13], v[15:16]
	v_fma_f64 v[12:13], s[16:17], v[12:13], v[15:16]
	flat_store_dwordx2 v[4:5], v[12:13]
.LBB607_10:
	s_or_b64 exec, exec, s[2:3]
	v_add_u32_e32 v4, 16, v0
	v_cmp_le_i32_e64 s[2:3], v8, v4
	v_cmp_gt_i32_e64 s[0:1], s20, v4
	s_and_b64 s[2:3], s[2:3], s[0:1]
	s_and_saveexec_b64 s[4:5], s[2:3]
	s_cbranch_execz .LBB607_12
; %bb.11:
	v_ashrrev_i32_e32 v5, 31, v4
	v_lshlrev_b64 v[12:13], 3, v[4:5]
	v_add_co_u32_e64 v12, s[2:3], v9, v12
	v_addc_co_u32_e64 v13, s[2:3], v14, v13, s[2:3]
	flat_load_dwordx2 v[14:15], v[12:13]
	s_waitcnt vmcnt(0) lgkmcnt(0)
	v_mul_f64 v[14:15], s[12:13], v[14:15]
	v_fma_f64 v[9:10], s[16:17], v[10:11], v[14:15]
	flat_store_dwordx2 v[12:13], v[9:10]
.LBB607_12:
	s_or_b64 exec, exec, s[4:5]
	v_add_u32_e32 v5, 16, v8
	v_mad_i64_i32 v[8:9], s[2:3], v5, s8, 0
	v_mov_b32_e32 v1, s11
	v_lshlrev_b64 v[8:9], 3, v[8:9]
	v_add_co_u32_e64 v8, s[2:3], s10, v8
	v_addc_co_u32_e64 v9, s[2:3], v1, v9, s[2:3]
	v_cmp_le_i32_e64 s[2:3], v5, v0
	s_and_b64 s[4:5], s[2:3], vcc
	s_and_saveexec_b64 s[2:3], s[4:5]
	s_cbranch_execz .LBB607_14
; %bb.13:
	v_ashrrev_i32_e32 v1, 31, v0
	v_lshlrev_b64 v[0:1], 3, v[0:1]
	v_add_co_u32_e32 v0, vcc, v8, v0
	v_addc_co_u32_e32 v1, vcc, v9, v1, vcc
	flat_load_dwordx2 v[10:11], v[0:1]
	s_waitcnt vmcnt(0) lgkmcnt(0)
	v_mul_f64 v[10:11], s[12:13], v[10:11]
	v_fma_f64 v[6:7], s[16:17], v[6:7], v[10:11]
	flat_store_dwordx2 v[0:1], v[6:7]
.LBB607_14:
	s_or_b64 exec, exec, s[2:3]
	v_cmp_le_i32_e32 vcc, v5, v4
	s_and_b64 s[0:1], vcc, s[0:1]
	s_and_saveexec_b64 s[2:3], s[0:1]
	s_cbranch_execz .LBB607_16
; %bb.15:
	v_ashrrev_i32_e32 v5, 31, v4
	v_lshlrev_b64 v[0:1], 3, v[4:5]
	v_add_co_u32_e32 v0, vcc, v8, v0
	v_addc_co_u32_e32 v1, vcc, v9, v1, vcc
	flat_load_dwordx2 v[4:5], v[0:1]
	s_waitcnt vmcnt(0) lgkmcnt(0)
	v_mul_f64 v[4:5], s[12:13], v[4:5]
	v_fma_f64 v[2:3], s[16:17], v[2:3], v[4:5]
	flat_store_dwordx2 v[0:1], v[2:3]
.LBB607_16:
	s_endpgm
	.section	.rodata,"a",@progbits
	.p2align	6, 0x0
	.amdhsa_kernel _ZL34rocblas_syrkx_herkx_general_kernelIidLi16ELi32ELi8ELb0ELb0ELc84ELc76EKPKdKPdEviT_T0_PT8_S5_lS8_S5_lS6_PT9_S5_li
		.amdhsa_group_segment_fixed_size 4096
		.amdhsa_private_segment_fixed_size 0
		.amdhsa_kernarg_size 100
		.amdhsa_user_sgpr_count 6
		.amdhsa_user_sgpr_private_segment_buffer 1
		.amdhsa_user_sgpr_dispatch_ptr 0
		.amdhsa_user_sgpr_queue_ptr 0
		.amdhsa_user_sgpr_kernarg_segment_ptr 1
		.amdhsa_user_sgpr_dispatch_id 0
		.amdhsa_user_sgpr_flat_scratch_init 0
		.amdhsa_user_sgpr_private_segment_size 0
		.amdhsa_uses_dynamic_stack 0
		.amdhsa_system_sgpr_private_segment_wavefront_offset 0
		.amdhsa_system_sgpr_workgroup_id_x 1
		.amdhsa_system_sgpr_workgroup_id_y 1
		.amdhsa_system_sgpr_workgroup_id_z 1
		.amdhsa_system_sgpr_workgroup_info 0
		.amdhsa_system_vgpr_workitem_id 1
		.amdhsa_next_free_vgpr 38
		.amdhsa_next_free_sgpr 23
		.amdhsa_reserve_vcc 1
		.amdhsa_reserve_flat_scratch 0
		.amdhsa_float_round_mode_32 0
		.amdhsa_float_round_mode_16_64 0
		.amdhsa_float_denorm_mode_32 3
		.amdhsa_float_denorm_mode_16_64 3
		.amdhsa_dx10_clamp 1
		.amdhsa_ieee_mode 1
		.amdhsa_fp16_overflow 0
		.amdhsa_exception_fp_ieee_invalid_op 0
		.amdhsa_exception_fp_denorm_src 0
		.amdhsa_exception_fp_ieee_div_zero 0
		.amdhsa_exception_fp_ieee_overflow 0
		.amdhsa_exception_fp_ieee_underflow 0
		.amdhsa_exception_fp_ieee_inexact 0
		.amdhsa_exception_int_div_zero 0
	.end_amdhsa_kernel
	.section	.text._ZL34rocblas_syrkx_herkx_general_kernelIidLi16ELi32ELi8ELb0ELb0ELc84ELc76EKPKdKPdEviT_T0_PT8_S5_lS8_S5_lS6_PT9_S5_li,"axG",@progbits,_ZL34rocblas_syrkx_herkx_general_kernelIidLi16ELi32ELi8ELb0ELb0ELc84ELc76EKPKdKPdEviT_T0_PT8_S5_lS8_S5_lS6_PT9_S5_li,comdat
.Lfunc_end607:
	.size	_ZL34rocblas_syrkx_herkx_general_kernelIidLi16ELi32ELi8ELb0ELb0ELc84ELc76EKPKdKPdEviT_T0_PT8_S5_lS8_S5_lS6_PT9_S5_li, .Lfunc_end607-_ZL34rocblas_syrkx_herkx_general_kernelIidLi16ELi32ELi8ELb0ELb0ELc84ELc76EKPKdKPdEviT_T0_PT8_S5_lS8_S5_lS6_PT9_S5_li
                                        ; -- End function
	.set _ZL34rocblas_syrkx_herkx_general_kernelIidLi16ELi32ELi8ELb0ELb0ELc84ELc76EKPKdKPdEviT_T0_PT8_S5_lS8_S5_lS6_PT9_S5_li.num_vgpr, 38
	.set _ZL34rocblas_syrkx_herkx_general_kernelIidLi16ELi32ELi8ELb0ELb0ELc84ELc76EKPKdKPdEviT_T0_PT8_S5_lS8_S5_lS6_PT9_S5_li.num_agpr, 0
	.set _ZL34rocblas_syrkx_herkx_general_kernelIidLi16ELi32ELi8ELb0ELb0ELc84ELc76EKPKdKPdEviT_T0_PT8_S5_lS8_S5_lS6_PT9_S5_li.numbered_sgpr, 23
	.set _ZL34rocblas_syrkx_herkx_general_kernelIidLi16ELi32ELi8ELb0ELb0ELc84ELc76EKPKdKPdEviT_T0_PT8_S5_lS8_S5_lS6_PT9_S5_li.num_named_barrier, 0
	.set _ZL34rocblas_syrkx_herkx_general_kernelIidLi16ELi32ELi8ELb0ELb0ELc84ELc76EKPKdKPdEviT_T0_PT8_S5_lS8_S5_lS6_PT9_S5_li.private_seg_size, 0
	.set _ZL34rocblas_syrkx_herkx_general_kernelIidLi16ELi32ELi8ELb0ELb0ELc84ELc76EKPKdKPdEviT_T0_PT8_S5_lS8_S5_lS6_PT9_S5_li.uses_vcc, 1
	.set _ZL34rocblas_syrkx_herkx_general_kernelIidLi16ELi32ELi8ELb0ELb0ELc84ELc76EKPKdKPdEviT_T0_PT8_S5_lS8_S5_lS6_PT9_S5_li.uses_flat_scratch, 0
	.set _ZL34rocblas_syrkx_herkx_general_kernelIidLi16ELi32ELi8ELb0ELb0ELc84ELc76EKPKdKPdEviT_T0_PT8_S5_lS8_S5_lS6_PT9_S5_li.has_dyn_sized_stack, 0
	.set _ZL34rocblas_syrkx_herkx_general_kernelIidLi16ELi32ELi8ELb0ELb0ELc84ELc76EKPKdKPdEviT_T0_PT8_S5_lS8_S5_lS6_PT9_S5_li.has_recursion, 0
	.set _ZL34rocblas_syrkx_herkx_general_kernelIidLi16ELi32ELi8ELb0ELb0ELc84ELc76EKPKdKPdEviT_T0_PT8_S5_lS8_S5_lS6_PT9_S5_li.has_indirect_call, 0
	.section	.AMDGPU.csdata,"",@progbits
; Kernel info:
; codeLenInByte = 1436
; TotalNumSgprs: 27
; NumVgprs: 38
; ScratchSize: 0
; MemoryBound: 0
; FloatMode: 240
; IeeeMode: 1
; LDSByteSize: 4096 bytes/workgroup (compile time only)
; SGPRBlocks: 3
; VGPRBlocks: 9
; NumSGPRsForWavesPerEU: 27
; NumVGPRsForWavesPerEU: 38
; Occupancy: 6
; WaveLimiterHint : 1
; COMPUTE_PGM_RSRC2:SCRATCH_EN: 0
; COMPUTE_PGM_RSRC2:USER_SGPR: 6
; COMPUTE_PGM_RSRC2:TRAP_HANDLER: 0
; COMPUTE_PGM_RSRC2:TGID_X_EN: 1
; COMPUTE_PGM_RSRC2:TGID_Y_EN: 1
; COMPUTE_PGM_RSRC2:TGID_Z_EN: 1
; COMPUTE_PGM_RSRC2:TIDIG_COMP_CNT: 1
	.section	.text._ZL34rocblas_syrkx_herkx_general_kernelIidLi16ELi32ELi8ELb0ELb0ELc67ELc76EKPKdKPdEviT_T0_PT8_S5_lS8_S5_lS6_PT9_S5_li,"axG",@progbits,_ZL34rocblas_syrkx_herkx_general_kernelIidLi16ELi32ELi8ELb0ELb0ELc67ELc76EKPKdKPdEviT_T0_PT8_S5_lS8_S5_lS6_PT9_S5_li,comdat
	.globl	_ZL34rocblas_syrkx_herkx_general_kernelIidLi16ELi32ELi8ELb0ELb0ELc67ELc76EKPKdKPdEviT_T0_PT8_S5_lS8_S5_lS6_PT9_S5_li ; -- Begin function _ZL34rocblas_syrkx_herkx_general_kernelIidLi16ELi32ELi8ELb0ELb0ELc67ELc76EKPKdKPdEviT_T0_PT8_S5_lS8_S5_lS6_PT9_S5_li
	.p2align	8
	.type	_ZL34rocblas_syrkx_herkx_general_kernelIidLi16ELi32ELi8ELb0ELb0ELc67ELc76EKPKdKPdEviT_T0_PT8_S5_lS8_S5_lS6_PT9_S5_li,@function
_ZL34rocblas_syrkx_herkx_general_kernelIidLi16ELi32ELi8ELb0ELb0ELc67ELc76EKPKdKPdEviT_T0_PT8_S5_lS8_S5_lS6_PT9_S5_li: ; @_ZL34rocblas_syrkx_herkx_general_kernelIidLi16ELi32ELi8ELb0ELb0ELc67ELc76EKPKdKPdEviT_T0_PT8_S5_lS8_S5_lS6_PT9_S5_li
; %bb.0:
	s_load_dwordx4 s[12:15], s[4:5], 0x40
	s_load_dwordx2 s[20:21], s[4:5], 0x0
	s_load_dwordx4 s[16:19], s[4:5], 0x8
	s_mov_b32 s9, 0
	s_lshl_b64 s[0:1], s[8:9], 3
	s_waitcnt lgkmcnt(0)
	s_add_u32 s2, s14, s0
	s_addc_u32 s3, s15, s1
	s_load_dwordx2 s[10:11], s[2:3], 0x0
	s_lshl_b32 s6, s6, 5
	s_lshl_b32 s7, s7, 5
	s_cmp_lt_i32 s21, 1
	s_cbranch_scc1 .LBB608_7
; %bb.1:
	s_load_dword s8, s[4:5], 0x18
	s_load_dwordx2 s[2:3], s[4:5], 0x28
	s_load_dword s22, s[4:5], 0x30
	v_lshl_add_u32 v2, v1, 4, v0
	v_lshrrev_b32_e32 v17, 5, v2
	v_lshrrev_b32_e32 v3, 3, v2
	v_and_b32_e32 v2, 31, v2
	v_and_b32_e32 v16, 7, v0
	v_or_b32_e32 v5, s6, v2
	s_waitcnt lgkmcnt(0)
	s_add_u32 s2, s2, s0
	s_addc_u32 s3, s3, s1
	v_cmp_gt_i32_e32 vcc, s20, v5
	v_lshlrev_b32_e32 v5, 3, v2
	v_lshlrev_b32_e32 v6, 3, v16
	v_add_u32_e32 v2, s6, v2
	v_add_u32_e32 v4, s7, v3
	s_load_dwordx2 s[14:15], s[2:3], 0x0
	v_lshl_or_b32 v18, v17, 8, v5
	v_lshl_or_b32 v5, v3, 6, v6
	v_mad_i64_i32 v[2:3], s[2:3], s8, v2, 0
	s_add_u32 s0, s18, s0
	s_addc_u32 s1, s19, s1
	v_lshlrev_b64 v[2:3], 3, v[2:3]
	v_add_u32_e32 v19, 0x800, v5
	v_lshlrev_b32_e32 v5, 3, v17
	s_load_dwordx2 s[18:19], s[0:1], 0x0
	v_add_co_u32_e64 v5, s[2:3], v2, v5
	v_addc_co_u32_e64 v7, s[2:3], 0, v3, s[2:3]
	v_mad_i64_i32 v[2:3], s[2:3], s22, v4, 0
	v_cmp_gt_i32_e64 s[0:1], s20, v4
	s_waitcnt lgkmcnt(0)
	v_mov_b32_e32 v8, s19
	v_add_co_u32_e64 v4, s[2:3], s18, v5
	v_lshlrev_b64 v[2:3], 3, v[2:3]
	v_addc_co_u32_e64 v5, s[2:3], v8, v7, s[2:3]
	v_add_co_u32_e64 v2, s[2:3], v2, v6
	v_addc_co_u32_e64 v3, s[2:3], 0, v3, s[2:3]
	v_mov_b32_e32 v6, s15
	v_add_co_u32_e64 v8, s[2:3], s14, v2
	v_mov_b32_e32 v14, 0x800
	v_addc_co_u32_e64 v9, s[2:3], v6, v3, s[2:3]
	v_mov_b32_e32 v2, 0
	v_mov_b32_e32 v6, 0
	;; [unrolled: 1-line block ×4, first 2 shown]
	v_lshlrev_b32_e32 v20, 3, v0
	v_mov_b32_e32 v3, 0
	v_mov_b32_e32 v7, 0
	;; [unrolled: 1-line block ×4, first 2 shown]
	v_lshl_add_u32 v21, v1, 6, v14
	s_branch .LBB608_3
.LBB608_2:                              ;   in Loop: Header=BB608_3 Depth=1
	s_or_b64 exec, exec, s[2:3]
	s_waitcnt vmcnt(0) lgkmcnt(0)
	ds_write_b64 v19, v[14:15]
	s_waitcnt lgkmcnt(0)
	s_barrier
	ds_read2_b64 v[22:25], v20 offset1:16
	ds_read_b128 v[26:29], v21
	ds_read_b128 v[30:33], v21 offset:1024
	ds_read_b128 v[34:37], v21 offset:16
	v_add_co_u32_e64 v4, s[2:3], 64, v4
	s_waitcnt lgkmcnt(2)
	v_fma_f64 v[14:15], v[22:23], v[26:27], v[12:13]
	v_fma_f64 v[26:27], v[24:25], v[26:27], v[10:11]
	s_waitcnt lgkmcnt(1)
	v_fma_f64 v[6:7], v[22:23], v[30:31], v[6:7]
	v_fma_f64 v[2:3], v[24:25], v[30:31], v[2:3]
	ds_read2_b64 v[22:25], v20 offset0:32 offset1:48
	ds_read_b128 v[10:13], v21 offset:1040
	v_addc_co_u32_e64 v5, s[2:3], 0, v5, s[2:3]
	s_add_i32 s9, s9, 8
	s_waitcnt lgkmcnt(1)
	v_fma_f64 v[26:27], v[24:25], v[28:29], v[26:27]
	v_fma_f64 v[14:15], v[22:23], v[28:29], v[14:15]
	;; [unrolled: 1-line block ×4, first 2 shown]
	ds_read2_b64 v[22:25], v20 offset0:64 offset1:80
	v_add_co_u32_e64 v8, s[2:3], 64, v8
	s_cmp_ge_i32 s9, s21
	v_addc_co_u32_e64 v9, s[2:3], 0, v9, s[2:3]
	s_waitcnt lgkmcnt(0)
	v_fma_f64 v[30:31], v[24:25], v[34:35], v[26:27]
	ds_read2_b64 v[26:29], v20 offset0:96 offset1:112
	v_fma_f64 v[14:15], v[22:23], v[34:35], v[14:15]
	s_waitcnt lgkmcnt(0)
	v_fma_f64 v[34:35], v[28:29], v[36:37], v[30:31]
	ds_read_b128 v[30:33], v21 offset:32
	v_fma_f64 v[6:7], v[22:23], v[10:11], v[6:7]
	v_fma_f64 v[2:3], v[24:25], v[10:11], v[2:3]
	;; [unrolled: 1-line block ×3, first 2 shown]
	ds_read2_b64 v[22:25], v20 offset0:128 offset1:144
	v_fma_f64 v[6:7], v[26:27], v[12:13], v[6:7]
	v_fma_f64 v[2:3], v[28:29], v[12:13], v[2:3]
	ds_read_b128 v[10:13], v21 offset:1056
	ds_read_b128 v[26:29], v21 offset:48
	s_waitcnt lgkmcnt(2)
	v_fma_f64 v[14:15], v[22:23], v[30:31], v[14:15]
	v_fma_f64 v[30:31], v[24:25], v[30:31], v[34:35]
	ds_read_b128 v[34:37], v21 offset:1072
	s_waitcnt lgkmcnt(2)
	v_fma_f64 v[6:7], v[22:23], v[10:11], v[6:7]
	v_fma_f64 v[2:3], v[24:25], v[10:11], v[2:3]
	ds_read2_b64 v[22:25], v20 offset0:160 offset1:176
	s_waitcnt lgkmcnt(0)
	v_fma_f64 v[14:15], v[22:23], v[32:33], v[14:15]
	v_fma_f64 v[30:31], v[24:25], v[32:33], v[30:31]
	;; [unrolled: 1-line block ×4, first 2 shown]
	ds_read2_b64 v[10:13], v20 offset0:192 offset1:208
	ds_read2_b64 v[22:25], v20 offset0:224 offset1:240
	s_waitcnt lgkmcnt(0)
	s_barrier
	v_fma_f64 v[14:15], v[10:11], v[26:27], v[14:15]
	v_fma_f64 v[26:27], v[12:13], v[26:27], v[30:31]
	;; [unrolled: 1-line block ×8, first 2 shown]
	s_cbranch_scc1 .LBB608_8
.LBB608_3:                              ; =>This Inner Loop Header: Depth=1
	v_add_u32_e32 v14, s9, v17
	v_cmp_gt_i32_e64 s[2:3], s21, v14
	v_mov_b32_e32 v14, 0
	v_mov_b32_e32 v15, 0
	s_and_b64 s[14:15], vcc, s[2:3]
	s_and_saveexec_b64 s[2:3], s[14:15]
	s_cbranch_execz .LBB608_5
; %bb.4:                                ;   in Loop: Header=BB608_3 Depth=1
	flat_load_dwordx2 v[14:15], v[4:5]
.LBB608_5:                              ;   in Loop: Header=BB608_3 Depth=1
	s_or_b64 exec, exec, s[2:3]
	s_waitcnt vmcnt(0) lgkmcnt(0)
	ds_write_b64 v18, v[14:15]
	v_add_u32_e32 v14, s9, v16
	v_cmp_gt_i32_e64 s[2:3], s21, v14
	v_mov_b32_e32 v14, 0
	v_mov_b32_e32 v15, 0
	s_and_b64 s[14:15], s[2:3], s[0:1]
	s_and_saveexec_b64 s[2:3], s[14:15]
	s_cbranch_execz .LBB608_2
; %bb.6:                                ;   in Loop: Header=BB608_3 Depth=1
	flat_load_dwordx2 v[14:15], v[8:9]
	s_branch .LBB608_2
.LBB608_7:
	v_mov_b32_e32 v12, 0
	v_mov_b32_e32 v10, 0
	;; [unrolled: 1-line block ×8, first 2 shown]
.LBB608_8:
	s_load_dword s8, s[4:5], 0x50
	v_add_u32_e32 v8, s7, v1
	s_waitcnt lgkmcnt(0)
	v_mov_b32_e32 v1, s11
	v_add_u32_e32 v0, s6, v0
	v_mad_i64_i32 v[4:5], s[0:1], v8, s8, 0
	v_cmp_le_i32_e64 s[0:1], v8, v0
	v_lshlrev_b64 v[4:5], 3, v[4:5]
	v_add_co_u32_e32 v9, vcc, s10, v4
	v_addc_co_u32_e32 v14, vcc, v1, v5, vcc
	v_cmp_gt_i32_e32 vcc, s20, v0
	s_and_b64 s[0:1], s[0:1], vcc
	s_and_saveexec_b64 s[2:3], s[0:1]
	s_cbranch_execz .LBB608_10
; %bb.9:
	v_ashrrev_i32_e32 v1, 31, v0
	v_lshlrev_b64 v[4:5], 3, v[0:1]
	v_add_co_u32_e64 v4, s[0:1], v9, v4
	v_addc_co_u32_e64 v5, s[0:1], v14, v5, s[0:1]
	flat_load_dwordx2 v[15:16], v[4:5]
	s_waitcnt vmcnt(0) lgkmcnt(0)
	v_mul_f64 v[15:16], s[12:13], v[15:16]
	v_fma_f64 v[12:13], s[16:17], v[12:13], v[15:16]
	flat_store_dwordx2 v[4:5], v[12:13]
.LBB608_10:
	s_or_b64 exec, exec, s[2:3]
	v_add_u32_e32 v4, 16, v0
	v_cmp_le_i32_e64 s[2:3], v8, v4
	v_cmp_gt_i32_e64 s[0:1], s20, v4
	s_and_b64 s[2:3], s[2:3], s[0:1]
	s_and_saveexec_b64 s[4:5], s[2:3]
	s_cbranch_execz .LBB608_12
; %bb.11:
	v_ashrrev_i32_e32 v5, 31, v4
	v_lshlrev_b64 v[12:13], 3, v[4:5]
	v_add_co_u32_e64 v12, s[2:3], v9, v12
	v_addc_co_u32_e64 v13, s[2:3], v14, v13, s[2:3]
	flat_load_dwordx2 v[14:15], v[12:13]
	s_waitcnt vmcnt(0) lgkmcnt(0)
	v_mul_f64 v[14:15], s[12:13], v[14:15]
	v_fma_f64 v[9:10], s[16:17], v[10:11], v[14:15]
	flat_store_dwordx2 v[12:13], v[9:10]
.LBB608_12:
	s_or_b64 exec, exec, s[4:5]
	v_add_u32_e32 v5, 16, v8
	v_mad_i64_i32 v[8:9], s[2:3], v5, s8, 0
	v_mov_b32_e32 v1, s11
	v_lshlrev_b64 v[8:9], 3, v[8:9]
	v_add_co_u32_e64 v8, s[2:3], s10, v8
	v_addc_co_u32_e64 v9, s[2:3], v1, v9, s[2:3]
	v_cmp_le_i32_e64 s[2:3], v5, v0
	s_and_b64 s[4:5], s[2:3], vcc
	s_and_saveexec_b64 s[2:3], s[4:5]
	s_cbranch_execz .LBB608_14
; %bb.13:
	v_ashrrev_i32_e32 v1, 31, v0
	v_lshlrev_b64 v[0:1], 3, v[0:1]
	v_add_co_u32_e32 v0, vcc, v8, v0
	v_addc_co_u32_e32 v1, vcc, v9, v1, vcc
	flat_load_dwordx2 v[10:11], v[0:1]
	s_waitcnt vmcnt(0) lgkmcnt(0)
	v_mul_f64 v[10:11], s[12:13], v[10:11]
	v_fma_f64 v[6:7], s[16:17], v[6:7], v[10:11]
	flat_store_dwordx2 v[0:1], v[6:7]
.LBB608_14:
	s_or_b64 exec, exec, s[2:3]
	v_cmp_le_i32_e32 vcc, v5, v4
	s_and_b64 s[0:1], vcc, s[0:1]
	s_and_saveexec_b64 s[2:3], s[0:1]
	s_cbranch_execz .LBB608_16
; %bb.15:
	v_ashrrev_i32_e32 v5, 31, v4
	v_lshlrev_b64 v[0:1], 3, v[4:5]
	v_add_co_u32_e32 v0, vcc, v8, v0
	v_addc_co_u32_e32 v1, vcc, v9, v1, vcc
	flat_load_dwordx2 v[4:5], v[0:1]
	s_waitcnt vmcnt(0) lgkmcnt(0)
	v_mul_f64 v[4:5], s[12:13], v[4:5]
	v_fma_f64 v[2:3], s[16:17], v[2:3], v[4:5]
	flat_store_dwordx2 v[0:1], v[2:3]
.LBB608_16:
	s_endpgm
	.section	.rodata,"a",@progbits
	.p2align	6, 0x0
	.amdhsa_kernel _ZL34rocblas_syrkx_herkx_general_kernelIidLi16ELi32ELi8ELb0ELb0ELc67ELc76EKPKdKPdEviT_T0_PT8_S5_lS8_S5_lS6_PT9_S5_li
		.amdhsa_group_segment_fixed_size 4096
		.amdhsa_private_segment_fixed_size 0
		.amdhsa_kernarg_size 100
		.amdhsa_user_sgpr_count 6
		.amdhsa_user_sgpr_private_segment_buffer 1
		.amdhsa_user_sgpr_dispatch_ptr 0
		.amdhsa_user_sgpr_queue_ptr 0
		.amdhsa_user_sgpr_kernarg_segment_ptr 1
		.amdhsa_user_sgpr_dispatch_id 0
		.amdhsa_user_sgpr_flat_scratch_init 0
		.amdhsa_user_sgpr_private_segment_size 0
		.amdhsa_uses_dynamic_stack 0
		.amdhsa_system_sgpr_private_segment_wavefront_offset 0
		.amdhsa_system_sgpr_workgroup_id_x 1
		.amdhsa_system_sgpr_workgroup_id_y 1
		.amdhsa_system_sgpr_workgroup_id_z 1
		.amdhsa_system_sgpr_workgroup_info 0
		.amdhsa_system_vgpr_workitem_id 1
		.amdhsa_next_free_vgpr 38
		.amdhsa_next_free_sgpr 23
		.amdhsa_reserve_vcc 1
		.amdhsa_reserve_flat_scratch 0
		.amdhsa_float_round_mode_32 0
		.amdhsa_float_round_mode_16_64 0
		.amdhsa_float_denorm_mode_32 3
		.amdhsa_float_denorm_mode_16_64 3
		.amdhsa_dx10_clamp 1
		.amdhsa_ieee_mode 1
		.amdhsa_fp16_overflow 0
		.amdhsa_exception_fp_ieee_invalid_op 0
		.amdhsa_exception_fp_denorm_src 0
		.amdhsa_exception_fp_ieee_div_zero 0
		.amdhsa_exception_fp_ieee_overflow 0
		.amdhsa_exception_fp_ieee_underflow 0
		.amdhsa_exception_fp_ieee_inexact 0
		.amdhsa_exception_int_div_zero 0
	.end_amdhsa_kernel
	.section	.text._ZL34rocblas_syrkx_herkx_general_kernelIidLi16ELi32ELi8ELb0ELb0ELc67ELc76EKPKdKPdEviT_T0_PT8_S5_lS8_S5_lS6_PT9_S5_li,"axG",@progbits,_ZL34rocblas_syrkx_herkx_general_kernelIidLi16ELi32ELi8ELb0ELb0ELc67ELc76EKPKdKPdEviT_T0_PT8_S5_lS8_S5_lS6_PT9_S5_li,comdat
.Lfunc_end608:
	.size	_ZL34rocblas_syrkx_herkx_general_kernelIidLi16ELi32ELi8ELb0ELb0ELc67ELc76EKPKdKPdEviT_T0_PT8_S5_lS8_S5_lS6_PT9_S5_li, .Lfunc_end608-_ZL34rocblas_syrkx_herkx_general_kernelIidLi16ELi32ELi8ELb0ELb0ELc67ELc76EKPKdKPdEviT_T0_PT8_S5_lS8_S5_lS6_PT9_S5_li
                                        ; -- End function
	.set _ZL34rocblas_syrkx_herkx_general_kernelIidLi16ELi32ELi8ELb0ELb0ELc67ELc76EKPKdKPdEviT_T0_PT8_S5_lS8_S5_lS6_PT9_S5_li.num_vgpr, 38
	.set _ZL34rocblas_syrkx_herkx_general_kernelIidLi16ELi32ELi8ELb0ELb0ELc67ELc76EKPKdKPdEviT_T0_PT8_S5_lS8_S5_lS6_PT9_S5_li.num_agpr, 0
	.set _ZL34rocblas_syrkx_herkx_general_kernelIidLi16ELi32ELi8ELb0ELb0ELc67ELc76EKPKdKPdEviT_T0_PT8_S5_lS8_S5_lS6_PT9_S5_li.numbered_sgpr, 23
	.set _ZL34rocblas_syrkx_herkx_general_kernelIidLi16ELi32ELi8ELb0ELb0ELc67ELc76EKPKdKPdEviT_T0_PT8_S5_lS8_S5_lS6_PT9_S5_li.num_named_barrier, 0
	.set _ZL34rocblas_syrkx_herkx_general_kernelIidLi16ELi32ELi8ELb0ELb0ELc67ELc76EKPKdKPdEviT_T0_PT8_S5_lS8_S5_lS6_PT9_S5_li.private_seg_size, 0
	.set _ZL34rocblas_syrkx_herkx_general_kernelIidLi16ELi32ELi8ELb0ELb0ELc67ELc76EKPKdKPdEviT_T0_PT8_S5_lS8_S5_lS6_PT9_S5_li.uses_vcc, 1
	.set _ZL34rocblas_syrkx_herkx_general_kernelIidLi16ELi32ELi8ELb0ELb0ELc67ELc76EKPKdKPdEviT_T0_PT8_S5_lS8_S5_lS6_PT9_S5_li.uses_flat_scratch, 0
	.set _ZL34rocblas_syrkx_herkx_general_kernelIidLi16ELi32ELi8ELb0ELb0ELc67ELc76EKPKdKPdEviT_T0_PT8_S5_lS8_S5_lS6_PT9_S5_li.has_dyn_sized_stack, 0
	.set _ZL34rocblas_syrkx_herkx_general_kernelIidLi16ELi32ELi8ELb0ELb0ELc67ELc76EKPKdKPdEviT_T0_PT8_S5_lS8_S5_lS6_PT9_S5_li.has_recursion, 0
	.set _ZL34rocblas_syrkx_herkx_general_kernelIidLi16ELi32ELi8ELb0ELb0ELc67ELc76EKPKdKPdEviT_T0_PT8_S5_lS8_S5_lS6_PT9_S5_li.has_indirect_call, 0
	.section	.AMDGPU.csdata,"",@progbits
; Kernel info:
; codeLenInByte = 1436
; TotalNumSgprs: 27
; NumVgprs: 38
; ScratchSize: 0
; MemoryBound: 0
; FloatMode: 240
; IeeeMode: 1
; LDSByteSize: 4096 bytes/workgroup (compile time only)
; SGPRBlocks: 3
; VGPRBlocks: 9
; NumSGPRsForWavesPerEU: 27
; NumVGPRsForWavesPerEU: 38
; Occupancy: 6
; WaveLimiterHint : 1
; COMPUTE_PGM_RSRC2:SCRATCH_EN: 0
; COMPUTE_PGM_RSRC2:USER_SGPR: 6
; COMPUTE_PGM_RSRC2:TRAP_HANDLER: 0
; COMPUTE_PGM_RSRC2:TGID_X_EN: 1
; COMPUTE_PGM_RSRC2:TGID_Y_EN: 1
; COMPUTE_PGM_RSRC2:TGID_Z_EN: 1
; COMPUTE_PGM_RSRC2:TIDIG_COMP_CNT: 1
	.section	.text._ZL34rocblas_syrkx_herkx_general_kernelIidLi16ELi32ELi8ELb0ELb0ELc78ELc76EKPKdKPdEviT_T0_PT8_S5_lS8_S5_lS6_PT9_S5_li,"axG",@progbits,_ZL34rocblas_syrkx_herkx_general_kernelIidLi16ELi32ELi8ELb0ELb0ELc78ELc76EKPKdKPdEviT_T0_PT8_S5_lS8_S5_lS6_PT9_S5_li,comdat
	.globl	_ZL34rocblas_syrkx_herkx_general_kernelIidLi16ELi32ELi8ELb0ELb0ELc78ELc76EKPKdKPdEviT_T0_PT8_S5_lS8_S5_lS6_PT9_S5_li ; -- Begin function _ZL34rocblas_syrkx_herkx_general_kernelIidLi16ELi32ELi8ELb0ELb0ELc78ELc76EKPKdKPdEviT_T0_PT8_S5_lS8_S5_lS6_PT9_S5_li
	.p2align	8
	.type	_ZL34rocblas_syrkx_herkx_general_kernelIidLi16ELi32ELi8ELb0ELb0ELc78ELc76EKPKdKPdEviT_T0_PT8_S5_lS8_S5_lS6_PT9_S5_li,@function
_ZL34rocblas_syrkx_herkx_general_kernelIidLi16ELi32ELi8ELb0ELb0ELc78ELc76EKPKdKPdEviT_T0_PT8_S5_lS8_S5_lS6_PT9_S5_li: ; @_ZL34rocblas_syrkx_herkx_general_kernelIidLi16ELi32ELi8ELb0ELb0ELc78ELc76EKPKdKPdEviT_T0_PT8_S5_lS8_S5_lS6_PT9_S5_li
; %bb.0:
	s_load_dwordx4 s[12:15], s[4:5], 0x40
	s_load_dwordx2 s[20:21], s[4:5], 0x0
	s_load_dwordx4 s[16:19], s[4:5], 0x8
	s_mov_b32 s9, 0
	s_lshl_b64 s[0:1], s[8:9], 3
	s_waitcnt lgkmcnt(0)
	s_add_u32 s2, s14, s0
	s_addc_u32 s3, s15, s1
	s_load_dwordx2 s[10:11], s[2:3], 0x0
	s_lshl_b32 s8, s6, 5
	s_lshl_b32 s22, s7, 5
	s_cmp_lt_i32 s21, 1
	s_cbranch_scc1 .LBB609_7
; %bb.1:
	s_load_dword s6, s[4:5], 0x18
	s_load_dword s14, s[4:5], 0x30
	s_load_dwordx2 s[2:3], s[4:5], 0x28
	v_lshl_add_u32 v3, v1, 4, v0
	v_and_b32_e32 v6, 31, v3
	s_waitcnt lgkmcnt(0)
	s_ashr_i32 s7, s6, 31
	s_ashr_i32 s15, s14, 31
	v_lshrrev_b32_e32 v17, 5, v3
	v_lshrrev_b32_e32 v4, 3, v3
	v_or_b32_e32 v3, s8, v6
	v_and_b32_e32 v16, 7, v0
	s_add_u32 s2, s2, s0
	v_cmp_gt_i32_e32 vcc, s20, v3
	v_lshlrev_b32_e32 v3, 3, v6
	s_addc_u32 s3, s3, s1
	v_lshl_or_b32 v18, v17, 8, v3
	v_lshlrev_b32_e32 v3, 3, v16
	v_add_u32_e32 v2, s22, v4
	s_load_dwordx2 s[24:25], s[2:3], 0x0
	v_lshl_or_b32 v3, v4, 6, v3
	v_mad_i64_i32 v[4:5], s[2:3], v17, s6, 0
	v_mov_b32_e32 v7, 0x800
	v_add_u32_e32 v6, s8, v6
	v_lshl_add_u32 v21, v1, 6, v7
	v_ashrrev_i32_e32 v7, 31, v6
	s_add_u32 s0, s18, s0
	v_lshlrev_b64 v[4:5], 3, v[4:5]
	v_lshlrev_b64 v[6:7], 3, v[6:7]
	s_addc_u32 s1, s19, s1
	s_load_dwordx2 s[18:19], s[0:1], 0x0
	v_add_co_u32_e64 v4, s[2:3], v4, v6
	v_addc_co_u32_e64 v5, s[2:3], v5, v7, s[2:3]
	v_mad_i64_i32 v[6:7], s[2:3], s14, v16, 0
	v_add_u32_e32 v19, 0x800, v3
	v_ashrrev_i32_e32 v3, 31, v2
	v_cmp_gt_i32_e64 s[0:1], s20, v2
	s_waitcnt lgkmcnt(0)
	v_mov_b32_e32 v8, s19
	v_add_co_u32_e64 v4, s[2:3], s18, v4
	v_lshlrev_b64 v[6:7], 3, v[6:7]
	v_lshlrev_b64 v[2:3], 3, v[2:3]
	v_addc_co_u32_e64 v5, s[2:3], v8, v5, s[2:3]
	v_add_co_u32_e64 v2, s[2:3], v6, v2
	v_addc_co_u32_e64 v3, s[2:3], v7, v3, s[2:3]
	v_mov_b32_e32 v7, s25
	v_add_co_u32_e64 v6, s[2:3], s24, v2
	s_lshl_b64 s[6:7], s[6:7], 6
	v_addc_co_u32_e64 v7, s[2:3], v7, v3, s[2:3]
	s_lshl_b64 s[14:15], s[14:15], 6
	v_mov_b32_e32 v2, 0
	v_mov_b32_e32 v8, 0
	v_mov_b32_e32 v10, 0
	v_mov_b32_e32 v12, 0
	v_lshlrev_b32_e32 v20, 3, v0
	v_mov_b32_e32 v3, 0
	v_mov_b32_e32 v22, s7
	;; [unrolled: 1-line block ×6, first 2 shown]
	s_branch .LBB609_3
.LBB609_2:                              ;   in Loop: Header=BB609_3 Depth=1
	s_or_b64 exec, exec, s[2:3]
	s_waitcnt vmcnt(0) lgkmcnt(0)
	ds_write_b64 v19, v[14:15]
	s_waitcnt lgkmcnt(0)
	s_barrier
	ds_read2_b64 v[24:27], v20 offset1:16
	ds_read_b128 v[28:31], v21
	ds_read_b128 v[32:35], v21 offset:1024
	ds_read_b128 v[36:39], v21 offset:16
	v_add_co_u32_e64 v4, s[2:3], s6, v4
	s_waitcnt lgkmcnt(2)
	v_fma_f64 v[14:15], v[24:25], v[28:29], v[12:13]
	v_fma_f64 v[28:29], v[26:27], v[28:29], v[10:11]
	s_waitcnt lgkmcnt(1)
	v_fma_f64 v[8:9], v[24:25], v[32:33], v[8:9]
	v_fma_f64 v[2:3], v[26:27], v[32:33], v[2:3]
	ds_read2_b64 v[24:27], v20 offset0:32 offset1:48
	ds_read_b128 v[10:13], v21 offset:1040
	v_addc_co_u32_e64 v5, s[2:3], v5, v22, s[2:3]
	s_add_i32 s9, s9, 8
	s_waitcnt lgkmcnt(1)
	v_fma_f64 v[14:15], v[24:25], v[30:31], v[14:15]
	v_fma_f64 v[28:29], v[26:27], v[30:31], v[28:29]
	v_fma_f64 v[8:9], v[24:25], v[34:35], v[8:9]
	v_fma_f64 v[2:3], v[26:27], v[34:35], v[2:3]
	ds_read2_b64 v[24:27], v20 offset0:64 offset1:80
	v_add_co_u32_e64 v6, s[2:3], s14, v6
	s_cmp_ge_i32 s9, s21
	v_addc_co_u32_e64 v7, s[2:3], v7, v23, s[2:3]
	s_waitcnt lgkmcnt(0)
	v_fma_f64 v[14:15], v[24:25], v[36:37], v[14:15]
	v_fma_f64 v[32:33], v[26:27], v[36:37], v[28:29]
	v_fma_f64 v[34:35], v[24:25], v[10:11], v[8:9]
	v_fma_f64 v[2:3], v[26:27], v[10:11], v[2:3]
	ds_read2_b64 v[28:31], v20 offset0:96 offset1:112
	ds_read2_b64 v[8:11], v20 offset0:128 offset1:144
	ds_read_b128 v[24:27], v21 offset:32
	s_waitcnt lgkmcnt(2)
	v_fma_f64 v[36:37], v[28:29], v[38:39], v[14:15]
	v_fma_f64 v[32:33], v[30:31], v[38:39], v[32:33]
	;; [unrolled: 1-line block ×4, first 2 shown]
	ds_read_b128 v[12:15], v21 offset:1056
	ds_read_b128 v[28:31], v21 offset:48
	s_waitcnt lgkmcnt(2)
	v_fma_f64 v[36:37], v[8:9], v[24:25], v[36:37]
	v_fma_f64 v[24:25], v[10:11], v[24:25], v[32:33]
	s_waitcnt lgkmcnt(1)
	v_fma_f64 v[38:39], v[8:9], v[12:13], v[38:39]
	v_fma_f64 v[2:3], v[10:11], v[12:13], v[2:3]
	ds_read2_b64 v[8:11], v20 offset0:160 offset1:176
	ds_read_b128 v[32:35], v21 offset:1072
	s_waitcnt lgkmcnt(1)
	v_fma_f64 v[12:13], v[8:9], v[26:27], v[36:37]
	v_fma_f64 v[36:37], v[10:11], v[26:27], v[24:25]
	;; [unrolled: 1-line block ×4, first 2 shown]
	ds_read2_b64 v[8:11], v20 offset0:192 offset1:208
	ds_read2_b64 v[24:27], v20 offset0:224 offset1:240
	s_waitcnt lgkmcnt(0)
	s_barrier
	v_fma_f64 v[12:13], v[8:9], v[28:29], v[12:13]
	v_fma_f64 v[14:15], v[10:11], v[28:29], v[36:37]
	;; [unrolled: 1-line block ×8, first 2 shown]
	s_cbranch_scc1 .LBB609_8
.LBB609_3:                              ; =>This Inner Loop Header: Depth=1
	v_add_u32_e32 v14, s9, v17
	v_cmp_gt_i32_e64 s[2:3], s21, v14
	v_mov_b32_e32 v14, 0
	v_mov_b32_e32 v15, 0
	s_and_b64 s[18:19], vcc, s[2:3]
	s_and_saveexec_b64 s[2:3], s[18:19]
	s_cbranch_execz .LBB609_5
; %bb.4:                                ;   in Loop: Header=BB609_3 Depth=1
	flat_load_dwordx2 v[14:15], v[4:5]
.LBB609_5:                              ;   in Loop: Header=BB609_3 Depth=1
	s_or_b64 exec, exec, s[2:3]
	s_waitcnt vmcnt(0) lgkmcnt(0)
	ds_write_b64 v18, v[14:15]
	v_add_u32_e32 v14, s9, v16
	v_cmp_gt_i32_e64 s[2:3], s21, v14
	v_mov_b32_e32 v14, 0
	v_mov_b32_e32 v15, 0
	s_and_b64 s[18:19], s[2:3], s[0:1]
	s_and_saveexec_b64 s[2:3], s[18:19]
	s_cbranch_execz .LBB609_2
; %bb.6:                                ;   in Loop: Header=BB609_3 Depth=1
	flat_load_dwordx2 v[14:15], v[6:7]
	s_branch .LBB609_2
.LBB609_7:
	v_mov_b32_e32 v12, 0
	v_mov_b32_e32 v10, 0
	;; [unrolled: 1-line block ×8, first 2 shown]
.LBB609_8:
	s_load_dword s6, s[4:5], 0x50
	v_add_u32_e32 v6, s22, v1
	s_waitcnt lgkmcnt(0)
	v_mov_b32_e32 v1, s11
	v_add_u32_e32 v0, s8, v0
	v_mad_i64_i32 v[4:5], s[0:1], v6, s6, 0
	v_cmp_le_i32_e64 s[0:1], v6, v0
	v_lshlrev_b64 v[4:5], 3, v[4:5]
	v_add_co_u32_e32 v7, vcc, s10, v4
	v_addc_co_u32_e32 v14, vcc, v1, v5, vcc
	v_cmp_gt_i32_e32 vcc, s20, v0
	s_and_b64 s[0:1], s[0:1], vcc
	s_and_saveexec_b64 s[2:3], s[0:1]
	s_cbranch_execz .LBB609_10
; %bb.9:
	v_ashrrev_i32_e32 v1, 31, v0
	v_lshlrev_b64 v[4:5], 3, v[0:1]
	v_add_co_u32_e64 v4, s[0:1], v7, v4
	v_addc_co_u32_e64 v5, s[0:1], v14, v5, s[0:1]
	flat_load_dwordx2 v[15:16], v[4:5]
	s_waitcnt vmcnt(0) lgkmcnt(0)
	v_mul_f64 v[15:16], s[12:13], v[15:16]
	v_fma_f64 v[12:13], s[16:17], v[12:13], v[15:16]
	flat_store_dwordx2 v[4:5], v[12:13]
.LBB609_10:
	s_or_b64 exec, exec, s[2:3]
	v_add_u32_e32 v4, 16, v0
	v_cmp_le_i32_e64 s[2:3], v6, v4
	v_cmp_gt_i32_e64 s[0:1], s20, v4
	s_and_b64 s[2:3], s[2:3], s[0:1]
	s_and_saveexec_b64 s[4:5], s[2:3]
	s_cbranch_execz .LBB609_12
; %bb.11:
	v_ashrrev_i32_e32 v5, 31, v4
	v_lshlrev_b64 v[12:13], 3, v[4:5]
	v_add_co_u32_e64 v12, s[2:3], v7, v12
	v_addc_co_u32_e64 v13, s[2:3], v14, v13, s[2:3]
	flat_load_dwordx2 v[14:15], v[12:13]
	s_waitcnt vmcnt(0) lgkmcnt(0)
	v_mul_f64 v[14:15], s[12:13], v[14:15]
	v_fma_f64 v[10:11], s[16:17], v[10:11], v[14:15]
	flat_store_dwordx2 v[12:13], v[10:11]
.LBB609_12:
	s_or_b64 exec, exec, s[4:5]
	v_add_u32_e32 v5, 16, v6
	v_mad_i64_i32 v[6:7], s[2:3], v5, s6, 0
	v_mov_b32_e32 v1, s11
	v_lshlrev_b64 v[6:7], 3, v[6:7]
	v_add_co_u32_e64 v6, s[2:3], s10, v6
	v_addc_co_u32_e64 v7, s[2:3], v1, v7, s[2:3]
	v_cmp_le_i32_e64 s[2:3], v5, v0
	s_and_b64 s[4:5], s[2:3], vcc
	s_and_saveexec_b64 s[2:3], s[4:5]
	s_cbranch_execz .LBB609_14
; %bb.13:
	v_ashrrev_i32_e32 v1, 31, v0
	v_lshlrev_b64 v[0:1], 3, v[0:1]
	v_add_co_u32_e32 v0, vcc, v6, v0
	v_addc_co_u32_e32 v1, vcc, v7, v1, vcc
	flat_load_dwordx2 v[10:11], v[0:1]
	s_waitcnt vmcnt(0) lgkmcnt(0)
	v_mul_f64 v[10:11], s[12:13], v[10:11]
	v_fma_f64 v[8:9], s[16:17], v[8:9], v[10:11]
	flat_store_dwordx2 v[0:1], v[8:9]
.LBB609_14:
	s_or_b64 exec, exec, s[2:3]
	v_cmp_le_i32_e32 vcc, v5, v4
	s_and_b64 s[0:1], vcc, s[0:1]
	s_and_saveexec_b64 s[2:3], s[0:1]
	s_cbranch_execz .LBB609_16
; %bb.15:
	v_ashrrev_i32_e32 v5, 31, v4
	v_lshlrev_b64 v[0:1], 3, v[4:5]
	v_add_co_u32_e32 v0, vcc, v6, v0
	v_addc_co_u32_e32 v1, vcc, v7, v1, vcc
	flat_load_dwordx2 v[4:5], v[0:1]
	s_waitcnt vmcnt(0) lgkmcnt(0)
	v_mul_f64 v[4:5], s[12:13], v[4:5]
	v_fma_f64 v[2:3], s[16:17], v[2:3], v[4:5]
	flat_store_dwordx2 v[0:1], v[2:3]
.LBB609_16:
	s_endpgm
	.section	.rodata,"a",@progbits
	.p2align	6, 0x0
	.amdhsa_kernel _ZL34rocblas_syrkx_herkx_general_kernelIidLi16ELi32ELi8ELb0ELb0ELc78ELc76EKPKdKPdEviT_T0_PT8_S5_lS8_S5_lS6_PT9_S5_li
		.amdhsa_group_segment_fixed_size 4096
		.amdhsa_private_segment_fixed_size 0
		.amdhsa_kernarg_size 100
		.amdhsa_user_sgpr_count 6
		.amdhsa_user_sgpr_private_segment_buffer 1
		.amdhsa_user_sgpr_dispatch_ptr 0
		.amdhsa_user_sgpr_queue_ptr 0
		.amdhsa_user_sgpr_kernarg_segment_ptr 1
		.amdhsa_user_sgpr_dispatch_id 0
		.amdhsa_user_sgpr_flat_scratch_init 0
		.amdhsa_user_sgpr_private_segment_size 0
		.amdhsa_uses_dynamic_stack 0
		.amdhsa_system_sgpr_private_segment_wavefront_offset 0
		.amdhsa_system_sgpr_workgroup_id_x 1
		.amdhsa_system_sgpr_workgroup_id_y 1
		.amdhsa_system_sgpr_workgroup_id_z 1
		.amdhsa_system_sgpr_workgroup_info 0
		.amdhsa_system_vgpr_workitem_id 1
		.amdhsa_next_free_vgpr 40
		.amdhsa_next_free_sgpr 26
		.amdhsa_reserve_vcc 1
		.amdhsa_reserve_flat_scratch 0
		.amdhsa_float_round_mode_32 0
		.amdhsa_float_round_mode_16_64 0
		.amdhsa_float_denorm_mode_32 3
		.amdhsa_float_denorm_mode_16_64 3
		.amdhsa_dx10_clamp 1
		.amdhsa_ieee_mode 1
		.amdhsa_fp16_overflow 0
		.amdhsa_exception_fp_ieee_invalid_op 0
		.amdhsa_exception_fp_denorm_src 0
		.amdhsa_exception_fp_ieee_div_zero 0
		.amdhsa_exception_fp_ieee_overflow 0
		.amdhsa_exception_fp_ieee_underflow 0
		.amdhsa_exception_fp_ieee_inexact 0
		.amdhsa_exception_int_div_zero 0
	.end_amdhsa_kernel
	.section	.text._ZL34rocblas_syrkx_herkx_general_kernelIidLi16ELi32ELi8ELb0ELb0ELc78ELc76EKPKdKPdEviT_T0_PT8_S5_lS8_S5_lS6_PT9_S5_li,"axG",@progbits,_ZL34rocblas_syrkx_herkx_general_kernelIidLi16ELi32ELi8ELb0ELb0ELc78ELc76EKPKdKPdEviT_T0_PT8_S5_lS8_S5_lS6_PT9_S5_li,comdat
.Lfunc_end609:
	.size	_ZL34rocblas_syrkx_herkx_general_kernelIidLi16ELi32ELi8ELb0ELb0ELc78ELc76EKPKdKPdEviT_T0_PT8_S5_lS8_S5_lS6_PT9_S5_li, .Lfunc_end609-_ZL34rocblas_syrkx_herkx_general_kernelIidLi16ELi32ELi8ELb0ELb0ELc78ELc76EKPKdKPdEviT_T0_PT8_S5_lS8_S5_lS6_PT9_S5_li
                                        ; -- End function
	.set _ZL34rocblas_syrkx_herkx_general_kernelIidLi16ELi32ELi8ELb0ELb0ELc78ELc76EKPKdKPdEviT_T0_PT8_S5_lS8_S5_lS6_PT9_S5_li.num_vgpr, 40
	.set _ZL34rocblas_syrkx_herkx_general_kernelIidLi16ELi32ELi8ELb0ELb0ELc78ELc76EKPKdKPdEviT_T0_PT8_S5_lS8_S5_lS6_PT9_S5_li.num_agpr, 0
	.set _ZL34rocblas_syrkx_herkx_general_kernelIidLi16ELi32ELi8ELb0ELb0ELc78ELc76EKPKdKPdEviT_T0_PT8_S5_lS8_S5_lS6_PT9_S5_li.numbered_sgpr, 26
	.set _ZL34rocblas_syrkx_herkx_general_kernelIidLi16ELi32ELi8ELb0ELb0ELc78ELc76EKPKdKPdEviT_T0_PT8_S5_lS8_S5_lS6_PT9_S5_li.num_named_barrier, 0
	.set _ZL34rocblas_syrkx_herkx_general_kernelIidLi16ELi32ELi8ELb0ELb0ELc78ELc76EKPKdKPdEviT_T0_PT8_S5_lS8_S5_lS6_PT9_S5_li.private_seg_size, 0
	.set _ZL34rocblas_syrkx_herkx_general_kernelIidLi16ELi32ELi8ELb0ELb0ELc78ELc76EKPKdKPdEviT_T0_PT8_S5_lS8_S5_lS6_PT9_S5_li.uses_vcc, 1
	.set _ZL34rocblas_syrkx_herkx_general_kernelIidLi16ELi32ELi8ELb0ELb0ELc78ELc76EKPKdKPdEviT_T0_PT8_S5_lS8_S5_lS6_PT9_S5_li.uses_flat_scratch, 0
	.set _ZL34rocblas_syrkx_herkx_general_kernelIidLi16ELi32ELi8ELb0ELb0ELc78ELc76EKPKdKPdEviT_T0_PT8_S5_lS8_S5_lS6_PT9_S5_li.has_dyn_sized_stack, 0
	.set _ZL34rocblas_syrkx_herkx_general_kernelIidLi16ELi32ELi8ELb0ELb0ELc78ELc76EKPKdKPdEviT_T0_PT8_S5_lS8_S5_lS6_PT9_S5_li.has_recursion, 0
	.set _ZL34rocblas_syrkx_herkx_general_kernelIidLi16ELi32ELi8ELb0ELb0ELc78ELc76EKPKdKPdEviT_T0_PT8_S5_lS8_S5_lS6_PT9_S5_li.has_indirect_call, 0
	.section	.AMDGPU.csdata,"",@progbits
; Kernel info:
; codeLenInByte = 1480
; TotalNumSgprs: 30
; NumVgprs: 40
; ScratchSize: 0
; MemoryBound: 0
; FloatMode: 240
; IeeeMode: 1
; LDSByteSize: 4096 bytes/workgroup (compile time only)
; SGPRBlocks: 3
; VGPRBlocks: 9
; NumSGPRsForWavesPerEU: 30
; NumVGPRsForWavesPerEU: 40
; Occupancy: 6
; WaveLimiterHint : 1
; COMPUTE_PGM_RSRC2:SCRATCH_EN: 0
; COMPUTE_PGM_RSRC2:USER_SGPR: 6
; COMPUTE_PGM_RSRC2:TRAP_HANDLER: 0
; COMPUTE_PGM_RSRC2:TGID_X_EN: 1
; COMPUTE_PGM_RSRC2:TGID_Y_EN: 1
; COMPUTE_PGM_RSRC2:TGID_Z_EN: 1
; COMPUTE_PGM_RSRC2:TIDIG_COMP_CNT: 1
	.section	.text._ZL34rocblas_syrkx_herkx_general_kernelIidLi16ELi32ELi8ELb0ELb0ELc84ELc85EKPKdKPdEviT_T0_PT8_S5_lS8_S5_lS6_PT9_S5_li,"axG",@progbits,_ZL34rocblas_syrkx_herkx_general_kernelIidLi16ELi32ELi8ELb0ELb0ELc84ELc85EKPKdKPdEviT_T0_PT8_S5_lS8_S5_lS6_PT9_S5_li,comdat
	.globl	_ZL34rocblas_syrkx_herkx_general_kernelIidLi16ELi32ELi8ELb0ELb0ELc84ELc85EKPKdKPdEviT_T0_PT8_S5_lS8_S5_lS6_PT9_S5_li ; -- Begin function _ZL34rocblas_syrkx_herkx_general_kernelIidLi16ELi32ELi8ELb0ELb0ELc84ELc85EKPKdKPdEviT_T0_PT8_S5_lS8_S5_lS6_PT9_S5_li
	.p2align	8
	.type	_ZL34rocblas_syrkx_herkx_general_kernelIidLi16ELi32ELi8ELb0ELb0ELc84ELc85EKPKdKPdEviT_T0_PT8_S5_lS8_S5_lS6_PT9_S5_li,@function
_ZL34rocblas_syrkx_herkx_general_kernelIidLi16ELi32ELi8ELb0ELb0ELc84ELc85EKPKdKPdEviT_T0_PT8_S5_lS8_S5_lS6_PT9_S5_li: ; @_ZL34rocblas_syrkx_herkx_general_kernelIidLi16ELi32ELi8ELb0ELb0ELc84ELc85EKPKdKPdEviT_T0_PT8_S5_lS8_S5_lS6_PT9_S5_li
; %bb.0:
	s_load_dwordx4 s[12:15], s[4:5], 0x40
	s_load_dwordx2 s[10:11], s[4:5], 0x0
	s_load_dwordx4 s[16:19], s[4:5], 0x8
	s_mov_b32 s9, 0
	s_lshl_b64 s[0:1], s[8:9], 3
	s_waitcnt lgkmcnt(0)
	s_add_u32 s2, s14, s0
	s_addc_u32 s3, s15, s1
	s_load_dwordx2 s[14:15], s[2:3], 0x0
	s_lshl_b32 s6, s6, 5
	s_lshl_b32 s7, s7, 5
	s_cmp_lt_i32 s11, 1
	s_cbranch_scc1 .LBB610_7
; %bb.1:
	s_load_dword s8, s[4:5], 0x18
	s_load_dwordx2 s[2:3], s[4:5], 0x28
	s_load_dword s22, s[4:5], 0x30
	v_lshl_add_u32 v2, v1, 4, v0
	v_lshrrev_b32_e32 v17, 5, v2
	v_lshrrev_b32_e32 v3, 3, v2
	v_and_b32_e32 v2, 31, v2
	v_and_b32_e32 v16, 7, v0
	v_or_b32_e32 v5, s6, v2
	s_waitcnt lgkmcnt(0)
	s_add_u32 s2, s2, s0
	s_addc_u32 s3, s3, s1
	v_cmp_gt_i32_e32 vcc, s10, v5
	v_lshlrev_b32_e32 v5, 3, v2
	v_lshlrev_b32_e32 v6, 3, v16
	v_add_u32_e32 v2, s6, v2
	v_add_u32_e32 v4, s7, v3
	s_load_dwordx2 s[20:21], s[2:3], 0x0
	v_lshl_or_b32 v18, v17, 8, v5
	v_lshl_or_b32 v5, v3, 6, v6
	v_mad_i64_i32 v[2:3], s[2:3], s8, v2, 0
	s_add_u32 s0, s18, s0
	s_addc_u32 s1, s19, s1
	v_lshlrev_b64 v[2:3], 3, v[2:3]
	v_add_u32_e32 v19, 0x800, v5
	v_lshlrev_b32_e32 v5, 3, v17
	s_load_dwordx2 s[18:19], s[0:1], 0x0
	v_add_co_u32_e64 v5, s[2:3], v2, v5
	v_addc_co_u32_e64 v7, s[2:3], 0, v3, s[2:3]
	v_mad_i64_i32 v[2:3], s[2:3], s22, v4, 0
	v_cmp_gt_i32_e64 s[0:1], s10, v4
	s_waitcnt lgkmcnt(0)
	v_mov_b32_e32 v8, s19
	v_add_co_u32_e64 v4, s[2:3], s18, v5
	v_lshlrev_b64 v[2:3], 3, v[2:3]
	v_addc_co_u32_e64 v5, s[2:3], v8, v7, s[2:3]
	v_add_co_u32_e64 v2, s[2:3], v2, v6
	v_addc_co_u32_e64 v3, s[2:3], 0, v3, s[2:3]
	v_mov_b32_e32 v6, s21
	v_add_co_u32_e64 v8, s[2:3], s20, v2
	v_mov_b32_e32 v14, 0x800
	v_addc_co_u32_e64 v9, s[2:3], v6, v3, s[2:3]
	v_mov_b32_e32 v2, 0
	v_mov_b32_e32 v6, 0
	;; [unrolled: 1-line block ×4, first 2 shown]
	v_lshlrev_b32_e32 v20, 3, v0
	v_mov_b32_e32 v3, 0
	v_mov_b32_e32 v7, 0
	;; [unrolled: 1-line block ×4, first 2 shown]
	v_lshl_add_u32 v21, v1, 6, v14
	s_branch .LBB610_3
.LBB610_2:                              ;   in Loop: Header=BB610_3 Depth=1
	s_or_b64 exec, exec, s[2:3]
	s_waitcnt vmcnt(0) lgkmcnt(0)
	ds_write_b64 v19, v[14:15]
	s_waitcnt lgkmcnt(0)
	s_barrier
	ds_read2_b64 v[22:25], v20 offset1:16
	ds_read_b128 v[26:29], v21
	ds_read_b128 v[30:33], v21 offset:1024
	ds_read_b128 v[34:37], v21 offset:16
	v_add_co_u32_e64 v4, s[2:3], 64, v4
	s_waitcnt lgkmcnt(2)
	v_fma_f64 v[14:15], v[22:23], v[26:27], v[12:13]
	v_fma_f64 v[26:27], v[24:25], v[26:27], v[10:11]
	s_waitcnt lgkmcnt(1)
	v_fma_f64 v[6:7], v[22:23], v[30:31], v[6:7]
	v_fma_f64 v[2:3], v[24:25], v[30:31], v[2:3]
	ds_read2_b64 v[22:25], v20 offset0:32 offset1:48
	ds_read_b128 v[10:13], v21 offset:1040
	v_addc_co_u32_e64 v5, s[2:3], 0, v5, s[2:3]
	s_add_i32 s9, s9, 8
	s_waitcnt lgkmcnt(1)
	v_fma_f64 v[26:27], v[24:25], v[28:29], v[26:27]
	v_fma_f64 v[14:15], v[22:23], v[28:29], v[14:15]
	v_fma_f64 v[6:7], v[22:23], v[32:33], v[6:7]
	v_fma_f64 v[2:3], v[24:25], v[32:33], v[2:3]
	ds_read2_b64 v[22:25], v20 offset0:64 offset1:80
	v_add_co_u32_e64 v8, s[2:3], 64, v8
	s_cmp_ge_i32 s9, s11
	v_addc_co_u32_e64 v9, s[2:3], 0, v9, s[2:3]
	s_waitcnt lgkmcnt(0)
	v_fma_f64 v[30:31], v[24:25], v[34:35], v[26:27]
	ds_read2_b64 v[26:29], v20 offset0:96 offset1:112
	v_fma_f64 v[14:15], v[22:23], v[34:35], v[14:15]
	s_waitcnt lgkmcnt(0)
	v_fma_f64 v[34:35], v[28:29], v[36:37], v[30:31]
	ds_read_b128 v[30:33], v21 offset:32
	v_fma_f64 v[6:7], v[22:23], v[10:11], v[6:7]
	v_fma_f64 v[2:3], v[24:25], v[10:11], v[2:3]
	;; [unrolled: 1-line block ×3, first 2 shown]
	ds_read2_b64 v[22:25], v20 offset0:128 offset1:144
	v_fma_f64 v[6:7], v[26:27], v[12:13], v[6:7]
	v_fma_f64 v[2:3], v[28:29], v[12:13], v[2:3]
	ds_read_b128 v[10:13], v21 offset:1056
	ds_read_b128 v[26:29], v21 offset:48
	s_waitcnt lgkmcnt(2)
	v_fma_f64 v[14:15], v[22:23], v[30:31], v[14:15]
	v_fma_f64 v[30:31], v[24:25], v[30:31], v[34:35]
	ds_read_b128 v[34:37], v21 offset:1072
	s_waitcnt lgkmcnt(2)
	v_fma_f64 v[6:7], v[22:23], v[10:11], v[6:7]
	v_fma_f64 v[2:3], v[24:25], v[10:11], v[2:3]
	ds_read2_b64 v[22:25], v20 offset0:160 offset1:176
	s_waitcnt lgkmcnt(0)
	v_fma_f64 v[14:15], v[22:23], v[32:33], v[14:15]
	v_fma_f64 v[30:31], v[24:25], v[32:33], v[30:31]
	;; [unrolled: 1-line block ×4, first 2 shown]
	ds_read2_b64 v[10:13], v20 offset0:192 offset1:208
	ds_read2_b64 v[22:25], v20 offset0:224 offset1:240
	s_waitcnt lgkmcnt(0)
	s_barrier
	v_fma_f64 v[14:15], v[10:11], v[26:27], v[14:15]
	v_fma_f64 v[26:27], v[12:13], v[26:27], v[30:31]
	;; [unrolled: 1-line block ×8, first 2 shown]
	s_cbranch_scc1 .LBB610_8
.LBB610_3:                              ; =>This Inner Loop Header: Depth=1
	v_add_u32_e32 v14, s9, v17
	v_cmp_gt_i32_e64 s[2:3], s11, v14
	v_mov_b32_e32 v14, 0
	v_mov_b32_e32 v15, 0
	s_and_b64 s[18:19], vcc, s[2:3]
	s_and_saveexec_b64 s[2:3], s[18:19]
	s_cbranch_execz .LBB610_5
; %bb.4:                                ;   in Loop: Header=BB610_3 Depth=1
	flat_load_dwordx2 v[14:15], v[4:5]
.LBB610_5:                              ;   in Loop: Header=BB610_3 Depth=1
	s_or_b64 exec, exec, s[2:3]
	s_waitcnt vmcnt(0) lgkmcnt(0)
	ds_write_b64 v18, v[14:15]
	v_add_u32_e32 v14, s9, v16
	v_cmp_gt_i32_e64 s[2:3], s11, v14
	v_mov_b32_e32 v14, 0
	v_mov_b32_e32 v15, 0
	s_and_b64 s[18:19], s[2:3], s[0:1]
	s_and_saveexec_b64 s[2:3], s[18:19]
	s_cbranch_execz .LBB610_2
; %bb.6:                                ;   in Loop: Header=BB610_3 Depth=1
	flat_load_dwordx2 v[14:15], v[8:9]
	s_branch .LBB610_2
.LBB610_7:
	v_mov_b32_e32 v12, 0
	v_mov_b32_e32 v10, 0
	;; [unrolled: 1-line block ×8, first 2 shown]
.LBB610_8:
	s_load_dword s4, s[4:5], 0x50
	v_add_u32_e32 v8, s7, v1
	s_waitcnt lgkmcnt(0)
	v_mov_b32_e32 v1, s15
	v_add_u32_e32 v0, s6, v0
	v_cmp_gt_i32_e32 vcc, s10, v8
	v_mad_i64_i32 v[4:5], s[0:1], v8, s4, 0
	v_lshlrev_b64 v[4:5], 3, v[4:5]
	v_add_co_u32_e64 v9, s[0:1], s14, v4
	v_addc_co_u32_e64 v14, s[0:1], v1, v5, s[0:1]
	v_cmp_le_i32_e64 s[0:1], v0, v8
	s_and_b64 s[0:1], vcc, s[0:1]
	s_and_saveexec_b64 s[2:3], s[0:1]
	s_cbranch_execz .LBB610_10
; %bb.9:
	v_ashrrev_i32_e32 v1, 31, v0
	v_lshlrev_b64 v[4:5], 3, v[0:1]
	v_add_co_u32_e64 v4, s[0:1], v9, v4
	v_addc_co_u32_e64 v5, s[0:1], v14, v5, s[0:1]
	flat_load_dwordx2 v[15:16], v[4:5]
	s_waitcnt vmcnt(0) lgkmcnt(0)
	v_mul_f64 v[15:16], s[12:13], v[15:16]
	v_fma_f64 v[12:13], s[16:17], v[12:13], v[15:16]
	flat_store_dwordx2 v[4:5], v[12:13]
.LBB610_10:
	s_or_b64 exec, exec, s[2:3]
	v_add_u32_e32 v4, 16, v0
	v_cmp_le_i32_e64 s[0:1], v4, v8
	s_and_b64 s[2:3], vcc, s[0:1]
	s_and_saveexec_b64 s[0:1], s[2:3]
	s_cbranch_execz .LBB610_12
; %bb.11:
	v_ashrrev_i32_e32 v5, 31, v4
	v_lshlrev_b64 v[12:13], 3, v[4:5]
	v_add_co_u32_e32 v12, vcc, v9, v12
	v_addc_co_u32_e32 v13, vcc, v14, v13, vcc
	flat_load_dwordx2 v[14:15], v[12:13]
	s_waitcnt vmcnt(0) lgkmcnt(0)
	v_mul_f64 v[14:15], s[12:13], v[14:15]
	v_fma_f64 v[9:10], s[16:17], v[10:11], v[14:15]
	flat_store_dwordx2 v[12:13], v[9:10]
.LBB610_12:
	s_or_b64 exec, exec, s[0:1]
	v_add_u32_e32 v5, 16, v8
	v_mad_i64_i32 v[8:9], s[0:1], v5, s4, 0
	v_mov_b32_e32 v1, s15
	v_cmp_gt_i32_e32 vcc, s10, v5
	v_lshlrev_b64 v[8:9], 3, v[8:9]
	v_add_co_u32_e64 v8, s[0:1], s14, v8
	v_addc_co_u32_e64 v9, s[0:1], v1, v9, s[0:1]
	v_cmp_le_i32_e64 s[0:1], v0, v5
	s_and_b64 s[0:1], vcc, s[0:1]
	s_and_saveexec_b64 s[2:3], s[0:1]
	s_cbranch_execz .LBB610_14
; %bb.13:
	v_ashrrev_i32_e32 v1, 31, v0
	v_lshlrev_b64 v[0:1], 3, v[0:1]
	v_add_co_u32_e64 v0, s[0:1], v8, v0
	v_addc_co_u32_e64 v1, s[0:1], v9, v1, s[0:1]
	flat_load_dwordx2 v[10:11], v[0:1]
	s_waitcnt vmcnt(0) lgkmcnt(0)
	v_mul_f64 v[10:11], s[12:13], v[10:11]
	v_fma_f64 v[6:7], s[16:17], v[6:7], v[10:11]
	flat_store_dwordx2 v[0:1], v[6:7]
.LBB610_14:
	s_or_b64 exec, exec, s[2:3]
	v_cmp_le_i32_e64 s[0:1], v4, v5
	s_and_b64 s[0:1], vcc, s[0:1]
	s_and_saveexec_b64 s[2:3], s[0:1]
	s_cbranch_execz .LBB610_16
; %bb.15:
	v_ashrrev_i32_e32 v5, 31, v4
	v_lshlrev_b64 v[0:1], 3, v[4:5]
	v_add_co_u32_e32 v0, vcc, v8, v0
	v_addc_co_u32_e32 v1, vcc, v9, v1, vcc
	flat_load_dwordx2 v[4:5], v[0:1]
	s_waitcnt vmcnt(0) lgkmcnt(0)
	v_mul_f64 v[4:5], s[12:13], v[4:5]
	v_fma_f64 v[2:3], s[16:17], v[2:3], v[4:5]
	flat_store_dwordx2 v[0:1], v[2:3]
.LBB610_16:
	s_endpgm
	.section	.rodata,"a",@progbits
	.p2align	6, 0x0
	.amdhsa_kernel _ZL34rocblas_syrkx_herkx_general_kernelIidLi16ELi32ELi8ELb0ELb0ELc84ELc85EKPKdKPdEviT_T0_PT8_S5_lS8_S5_lS6_PT9_S5_li
		.amdhsa_group_segment_fixed_size 4096
		.amdhsa_private_segment_fixed_size 0
		.amdhsa_kernarg_size 100
		.amdhsa_user_sgpr_count 6
		.amdhsa_user_sgpr_private_segment_buffer 1
		.amdhsa_user_sgpr_dispatch_ptr 0
		.amdhsa_user_sgpr_queue_ptr 0
		.amdhsa_user_sgpr_kernarg_segment_ptr 1
		.amdhsa_user_sgpr_dispatch_id 0
		.amdhsa_user_sgpr_flat_scratch_init 0
		.amdhsa_user_sgpr_private_segment_size 0
		.amdhsa_uses_dynamic_stack 0
		.amdhsa_system_sgpr_private_segment_wavefront_offset 0
		.amdhsa_system_sgpr_workgroup_id_x 1
		.amdhsa_system_sgpr_workgroup_id_y 1
		.amdhsa_system_sgpr_workgroup_id_z 1
		.amdhsa_system_sgpr_workgroup_info 0
		.amdhsa_system_vgpr_workitem_id 1
		.amdhsa_next_free_vgpr 38
		.amdhsa_next_free_sgpr 23
		.amdhsa_reserve_vcc 1
		.amdhsa_reserve_flat_scratch 0
		.amdhsa_float_round_mode_32 0
		.amdhsa_float_round_mode_16_64 0
		.amdhsa_float_denorm_mode_32 3
		.amdhsa_float_denorm_mode_16_64 3
		.amdhsa_dx10_clamp 1
		.amdhsa_ieee_mode 1
		.amdhsa_fp16_overflow 0
		.amdhsa_exception_fp_ieee_invalid_op 0
		.amdhsa_exception_fp_denorm_src 0
		.amdhsa_exception_fp_ieee_div_zero 0
		.amdhsa_exception_fp_ieee_overflow 0
		.amdhsa_exception_fp_ieee_underflow 0
		.amdhsa_exception_fp_ieee_inexact 0
		.amdhsa_exception_int_div_zero 0
	.end_amdhsa_kernel
	.section	.text._ZL34rocblas_syrkx_herkx_general_kernelIidLi16ELi32ELi8ELb0ELb0ELc84ELc85EKPKdKPdEviT_T0_PT8_S5_lS8_S5_lS6_PT9_S5_li,"axG",@progbits,_ZL34rocblas_syrkx_herkx_general_kernelIidLi16ELi32ELi8ELb0ELb0ELc84ELc85EKPKdKPdEviT_T0_PT8_S5_lS8_S5_lS6_PT9_S5_li,comdat
.Lfunc_end610:
	.size	_ZL34rocblas_syrkx_herkx_general_kernelIidLi16ELi32ELi8ELb0ELb0ELc84ELc85EKPKdKPdEviT_T0_PT8_S5_lS8_S5_lS6_PT9_S5_li, .Lfunc_end610-_ZL34rocblas_syrkx_herkx_general_kernelIidLi16ELi32ELi8ELb0ELb0ELc84ELc85EKPKdKPdEviT_T0_PT8_S5_lS8_S5_lS6_PT9_S5_li
                                        ; -- End function
	.set _ZL34rocblas_syrkx_herkx_general_kernelIidLi16ELi32ELi8ELb0ELb0ELc84ELc85EKPKdKPdEviT_T0_PT8_S5_lS8_S5_lS6_PT9_S5_li.num_vgpr, 38
	.set _ZL34rocblas_syrkx_herkx_general_kernelIidLi16ELi32ELi8ELb0ELb0ELc84ELc85EKPKdKPdEviT_T0_PT8_S5_lS8_S5_lS6_PT9_S5_li.num_agpr, 0
	.set _ZL34rocblas_syrkx_herkx_general_kernelIidLi16ELi32ELi8ELb0ELb0ELc84ELc85EKPKdKPdEviT_T0_PT8_S5_lS8_S5_lS6_PT9_S5_li.numbered_sgpr, 23
	.set _ZL34rocblas_syrkx_herkx_general_kernelIidLi16ELi32ELi8ELb0ELb0ELc84ELc85EKPKdKPdEviT_T0_PT8_S5_lS8_S5_lS6_PT9_S5_li.num_named_barrier, 0
	.set _ZL34rocblas_syrkx_herkx_general_kernelIidLi16ELi32ELi8ELb0ELb0ELc84ELc85EKPKdKPdEviT_T0_PT8_S5_lS8_S5_lS6_PT9_S5_li.private_seg_size, 0
	.set _ZL34rocblas_syrkx_herkx_general_kernelIidLi16ELi32ELi8ELb0ELb0ELc84ELc85EKPKdKPdEviT_T0_PT8_S5_lS8_S5_lS6_PT9_S5_li.uses_vcc, 1
	.set _ZL34rocblas_syrkx_herkx_general_kernelIidLi16ELi32ELi8ELb0ELb0ELc84ELc85EKPKdKPdEviT_T0_PT8_S5_lS8_S5_lS6_PT9_S5_li.uses_flat_scratch, 0
	.set _ZL34rocblas_syrkx_herkx_general_kernelIidLi16ELi32ELi8ELb0ELb0ELc84ELc85EKPKdKPdEviT_T0_PT8_S5_lS8_S5_lS6_PT9_S5_li.has_dyn_sized_stack, 0
	.set _ZL34rocblas_syrkx_herkx_general_kernelIidLi16ELi32ELi8ELb0ELb0ELc84ELc85EKPKdKPdEviT_T0_PT8_S5_lS8_S5_lS6_PT9_S5_li.has_recursion, 0
	.set _ZL34rocblas_syrkx_herkx_general_kernelIidLi16ELi32ELi8ELb0ELb0ELc84ELc85EKPKdKPdEviT_T0_PT8_S5_lS8_S5_lS6_PT9_S5_li.has_indirect_call, 0
	.section	.AMDGPU.csdata,"",@progbits
; Kernel info:
; codeLenInByte = 1444
; TotalNumSgprs: 27
; NumVgprs: 38
; ScratchSize: 0
; MemoryBound: 0
; FloatMode: 240
; IeeeMode: 1
; LDSByteSize: 4096 bytes/workgroup (compile time only)
; SGPRBlocks: 3
; VGPRBlocks: 9
; NumSGPRsForWavesPerEU: 27
; NumVGPRsForWavesPerEU: 38
; Occupancy: 6
; WaveLimiterHint : 1
; COMPUTE_PGM_RSRC2:SCRATCH_EN: 0
; COMPUTE_PGM_RSRC2:USER_SGPR: 6
; COMPUTE_PGM_RSRC2:TRAP_HANDLER: 0
; COMPUTE_PGM_RSRC2:TGID_X_EN: 1
; COMPUTE_PGM_RSRC2:TGID_Y_EN: 1
; COMPUTE_PGM_RSRC2:TGID_Z_EN: 1
; COMPUTE_PGM_RSRC2:TIDIG_COMP_CNT: 1
	.section	.text._ZL34rocblas_syrkx_herkx_general_kernelIidLi16ELi32ELi8ELb0ELb0ELc67ELc85EKPKdKPdEviT_T0_PT8_S5_lS8_S5_lS6_PT9_S5_li,"axG",@progbits,_ZL34rocblas_syrkx_herkx_general_kernelIidLi16ELi32ELi8ELb0ELb0ELc67ELc85EKPKdKPdEviT_T0_PT8_S5_lS8_S5_lS6_PT9_S5_li,comdat
	.globl	_ZL34rocblas_syrkx_herkx_general_kernelIidLi16ELi32ELi8ELb0ELb0ELc67ELc85EKPKdKPdEviT_T0_PT8_S5_lS8_S5_lS6_PT9_S5_li ; -- Begin function _ZL34rocblas_syrkx_herkx_general_kernelIidLi16ELi32ELi8ELb0ELb0ELc67ELc85EKPKdKPdEviT_T0_PT8_S5_lS8_S5_lS6_PT9_S5_li
	.p2align	8
	.type	_ZL34rocblas_syrkx_herkx_general_kernelIidLi16ELi32ELi8ELb0ELb0ELc67ELc85EKPKdKPdEviT_T0_PT8_S5_lS8_S5_lS6_PT9_S5_li,@function
_ZL34rocblas_syrkx_herkx_general_kernelIidLi16ELi32ELi8ELb0ELb0ELc67ELc85EKPKdKPdEviT_T0_PT8_S5_lS8_S5_lS6_PT9_S5_li: ; @_ZL34rocblas_syrkx_herkx_general_kernelIidLi16ELi32ELi8ELb0ELb0ELc67ELc85EKPKdKPdEviT_T0_PT8_S5_lS8_S5_lS6_PT9_S5_li
; %bb.0:
	s_load_dwordx4 s[12:15], s[4:5], 0x40
	s_load_dwordx2 s[10:11], s[4:5], 0x0
	s_load_dwordx4 s[16:19], s[4:5], 0x8
	s_mov_b32 s9, 0
	s_lshl_b64 s[0:1], s[8:9], 3
	s_waitcnt lgkmcnt(0)
	s_add_u32 s2, s14, s0
	s_addc_u32 s3, s15, s1
	s_load_dwordx2 s[14:15], s[2:3], 0x0
	s_lshl_b32 s6, s6, 5
	s_lshl_b32 s7, s7, 5
	s_cmp_lt_i32 s11, 1
	s_cbranch_scc1 .LBB611_7
; %bb.1:
	s_load_dword s8, s[4:5], 0x18
	s_load_dwordx2 s[2:3], s[4:5], 0x28
	s_load_dword s22, s[4:5], 0x30
	v_lshl_add_u32 v2, v1, 4, v0
	v_lshrrev_b32_e32 v17, 5, v2
	v_lshrrev_b32_e32 v3, 3, v2
	v_and_b32_e32 v2, 31, v2
	v_and_b32_e32 v16, 7, v0
	v_or_b32_e32 v5, s6, v2
	s_waitcnt lgkmcnt(0)
	s_add_u32 s2, s2, s0
	s_addc_u32 s3, s3, s1
	v_cmp_gt_i32_e32 vcc, s10, v5
	v_lshlrev_b32_e32 v5, 3, v2
	v_lshlrev_b32_e32 v6, 3, v16
	v_add_u32_e32 v2, s6, v2
	v_add_u32_e32 v4, s7, v3
	s_load_dwordx2 s[20:21], s[2:3], 0x0
	v_lshl_or_b32 v18, v17, 8, v5
	v_lshl_or_b32 v5, v3, 6, v6
	v_mad_i64_i32 v[2:3], s[2:3], s8, v2, 0
	s_add_u32 s0, s18, s0
	s_addc_u32 s1, s19, s1
	v_lshlrev_b64 v[2:3], 3, v[2:3]
	v_add_u32_e32 v19, 0x800, v5
	v_lshlrev_b32_e32 v5, 3, v17
	s_load_dwordx2 s[18:19], s[0:1], 0x0
	v_add_co_u32_e64 v5, s[2:3], v2, v5
	v_addc_co_u32_e64 v7, s[2:3], 0, v3, s[2:3]
	v_mad_i64_i32 v[2:3], s[2:3], s22, v4, 0
	v_cmp_gt_i32_e64 s[0:1], s10, v4
	s_waitcnt lgkmcnt(0)
	v_mov_b32_e32 v8, s19
	v_add_co_u32_e64 v4, s[2:3], s18, v5
	v_lshlrev_b64 v[2:3], 3, v[2:3]
	v_addc_co_u32_e64 v5, s[2:3], v8, v7, s[2:3]
	v_add_co_u32_e64 v2, s[2:3], v2, v6
	v_addc_co_u32_e64 v3, s[2:3], 0, v3, s[2:3]
	v_mov_b32_e32 v6, s21
	v_add_co_u32_e64 v8, s[2:3], s20, v2
	v_mov_b32_e32 v14, 0x800
	v_addc_co_u32_e64 v9, s[2:3], v6, v3, s[2:3]
	v_mov_b32_e32 v2, 0
	v_mov_b32_e32 v6, 0
	;; [unrolled: 1-line block ×4, first 2 shown]
	v_lshlrev_b32_e32 v20, 3, v0
	v_mov_b32_e32 v3, 0
	v_mov_b32_e32 v7, 0
	;; [unrolled: 1-line block ×4, first 2 shown]
	v_lshl_add_u32 v21, v1, 6, v14
	s_branch .LBB611_3
.LBB611_2:                              ;   in Loop: Header=BB611_3 Depth=1
	s_or_b64 exec, exec, s[2:3]
	s_waitcnt vmcnt(0) lgkmcnt(0)
	ds_write_b64 v19, v[14:15]
	s_waitcnt lgkmcnt(0)
	s_barrier
	ds_read2_b64 v[22:25], v20 offset1:16
	ds_read_b128 v[26:29], v21
	ds_read_b128 v[30:33], v21 offset:1024
	ds_read_b128 v[34:37], v21 offset:16
	v_add_co_u32_e64 v4, s[2:3], 64, v4
	s_waitcnt lgkmcnt(2)
	v_fma_f64 v[14:15], v[22:23], v[26:27], v[12:13]
	v_fma_f64 v[26:27], v[24:25], v[26:27], v[10:11]
	s_waitcnt lgkmcnt(1)
	v_fma_f64 v[6:7], v[22:23], v[30:31], v[6:7]
	v_fma_f64 v[2:3], v[24:25], v[30:31], v[2:3]
	ds_read2_b64 v[22:25], v20 offset0:32 offset1:48
	ds_read_b128 v[10:13], v21 offset:1040
	v_addc_co_u32_e64 v5, s[2:3], 0, v5, s[2:3]
	s_add_i32 s9, s9, 8
	s_waitcnt lgkmcnt(1)
	v_fma_f64 v[26:27], v[24:25], v[28:29], v[26:27]
	v_fma_f64 v[14:15], v[22:23], v[28:29], v[14:15]
	;; [unrolled: 1-line block ×4, first 2 shown]
	ds_read2_b64 v[22:25], v20 offset0:64 offset1:80
	v_add_co_u32_e64 v8, s[2:3], 64, v8
	s_cmp_ge_i32 s9, s11
	v_addc_co_u32_e64 v9, s[2:3], 0, v9, s[2:3]
	s_waitcnt lgkmcnt(0)
	v_fma_f64 v[30:31], v[24:25], v[34:35], v[26:27]
	ds_read2_b64 v[26:29], v20 offset0:96 offset1:112
	v_fma_f64 v[14:15], v[22:23], v[34:35], v[14:15]
	s_waitcnt lgkmcnt(0)
	v_fma_f64 v[34:35], v[28:29], v[36:37], v[30:31]
	ds_read_b128 v[30:33], v21 offset:32
	v_fma_f64 v[6:7], v[22:23], v[10:11], v[6:7]
	v_fma_f64 v[2:3], v[24:25], v[10:11], v[2:3]
	;; [unrolled: 1-line block ×3, first 2 shown]
	ds_read2_b64 v[22:25], v20 offset0:128 offset1:144
	v_fma_f64 v[6:7], v[26:27], v[12:13], v[6:7]
	v_fma_f64 v[2:3], v[28:29], v[12:13], v[2:3]
	ds_read_b128 v[10:13], v21 offset:1056
	ds_read_b128 v[26:29], v21 offset:48
	s_waitcnt lgkmcnt(2)
	v_fma_f64 v[14:15], v[22:23], v[30:31], v[14:15]
	v_fma_f64 v[30:31], v[24:25], v[30:31], v[34:35]
	ds_read_b128 v[34:37], v21 offset:1072
	s_waitcnt lgkmcnt(2)
	v_fma_f64 v[6:7], v[22:23], v[10:11], v[6:7]
	v_fma_f64 v[2:3], v[24:25], v[10:11], v[2:3]
	ds_read2_b64 v[22:25], v20 offset0:160 offset1:176
	s_waitcnt lgkmcnt(0)
	v_fma_f64 v[14:15], v[22:23], v[32:33], v[14:15]
	v_fma_f64 v[30:31], v[24:25], v[32:33], v[30:31]
	v_fma_f64 v[6:7], v[22:23], v[12:13], v[6:7]
	v_fma_f64 v[2:3], v[24:25], v[12:13], v[2:3]
	ds_read2_b64 v[10:13], v20 offset0:192 offset1:208
	ds_read2_b64 v[22:25], v20 offset0:224 offset1:240
	s_waitcnt lgkmcnt(0)
	s_barrier
	v_fma_f64 v[14:15], v[10:11], v[26:27], v[14:15]
	v_fma_f64 v[26:27], v[12:13], v[26:27], v[30:31]
	v_fma_f64 v[6:7], v[10:11], v[34:35], v[6:7]
	v_fma_f64 v[2:3], v[12:13], v[34:35], v[2:3]
	v_fma_f64 v[12:13], v[22:23], v[28:29], v[14:15]
	v_fma_f64 v[10:11], v[24:25], v[28:29], v[26:27]
	v_fma_f64 v[6:7], v[22:23], v[36:37], v[6:7]
	v_fma_f64 v[2:3], v[24:25], v[36:37], v[2:3]
	s_cbranch_scc1 .LBB611_8
.LBB611_3:                              ; =>This Inner Loop Header: Depth=1
	v_add_u32_e32 v14, s9, v17
	v_cmp_gt_i32_e64 s[2:3], s11, v14
	v_mov_b32_e32 v14, 0
	v_mov_b32_e32 v15, 0
	s_and_b64 s[18:19], vcc, s[2:3]
	s_and_saveexec_b64 s[2:3], s[18:19]
	s_cbranch_execz .LBB611_5
; %bb.4:                                ;   in Loop: Header=BB611_3 Depth=1
	flat_load_dwordx2 v[14:15], v[4:5]
.LBB611_5:                              ;   in Loop: Header=BB611_3 Depth=1
	s_or_b64 exec, exec, s[2:3]
	s_waitcnt vmcnt(0) lgkmcnt(0)
	ds_write_b64 v18, v[14:15]
	v_add_u32_e32 v14, s9, v16
	v_cmp_gt_i32_e64 s[2:3], s11, v14
	v_mov_b32_e32 v14, 0
	v_mov_b32_e32 v15, 0
	s_and_b64 s[18:19], s[2:3], s[0:1]
	s_and_saveexec_b64 s[2:3], s[18:19]
	s_cbranch_execz .LBB611_2
; %bb.6:                                ;   in Loop: Header=BB611_3 Depth=1
	flat_load_dwordx2 v[14:15], v[8:9]
	s_branch .LBB611_2
.LBB611_7:
	v_mov_b32_e32 v12, 0
	v_mov_b32_e32 v10, 0
	;; [unrolled: 1-line block ×8, first 2 shown]
.LBB611_8:
	s_load_dword s4, s[4:5], 0x50
	v_add_u32_e32 v8, s7, v1
	s_waitcnt lgkmcnt(0)
	v_mov_b32_e32 v1, s15
	v_add_u32_e32 v0, s6, v0
	v_cmp_gt_i32_e32 vcc, s10, v8
	v_mad_i64_i32 v[4:5], s[0:1], v8, s4, 0
	v_lshlrev_b64 v[4:5], 3, v[4:5]
	v_add_co_u32_e64 v9, s[0:1], s14, v4
	v_addc_co_u32_e64 v14, s[0:1], v1, v5, s[0:1]
	v_cmp_le_i32_e64 s[0:1], v0, v8
	s_and_b64 s[0:1], vcc, s[0:1]
	s_and_saveexec_b64 s[2:3], s[0:1]
	s_cbranch_execz .LBB611_10
; %bb.9:
	v_ashrrev_i32_e32 v1, 31, v0
	v_lshlrev_b64 v[4:5], 3, v[0:1]
	v_add_co_u32_e64 v4, s[0:1], v9, v4
	v_addc_co_u32_e64 v5, s[0:1], v14, v5, s[0:1]
	flat_load_dwordx2 v[15:16], v[4:5]
	s_waitcnt vmcnt(0) lgkmcnt(0)
	v_mul_f64 v[15:16], s[12:13], v[15:16]
	v_fma_f64 v[12:13], s[16:17], v[12:13], v[15:16]
	flat_store_dwordx2 v[4:5], v[12:13]
.LBB611_10:
	s_or_b64 exec, exec, s[2:3]
	v_add_u32_e32 v4, 16, v0
	v_cmp_le_i32_e64 s[0:1], v4, v8
	s_and_b64 s[2:3], vcc, s[0:1]
	s_and_saveexec_b64 s[0:1], s[2:3]
	s_cbranch_execz .LBB611_12
; %bb.11:
	v_ashrrev_i32_e32 v5, 31, v4
	v_lshlrev_b64 v[12:13], 3, v[4:5]
	v_add_co_u32_e32 v12, vcc, v9, v12
	v_addc_co_u32_e32 v13, vcc, v14, v13, vcc
	flat_load_dwordx2 v[14:15], v[12:13]
	s_waitcnt vmcnt(0) lgkmcnt(0)
	v_mul_f64 v[14:15], s[12:13], v[14:15]
	v_fma_f64 v[9:10], s[16:17], v[10:11], v[14:15]
	flat_store_dwordx2 v[12:13], v[9:10]
.LBB611_12:
	s_or_b64 exec, exec, s[0:1]
	v_add_u32_e32 v5, 16, v8
	v_mad_i64_i32 v[8:9], s[0:1], v5, s4, 0
	v_mov_b32_e32 v1, s15
	v_cmp_gt_i32_e32 vcc, s10, v5
	v_lshlrev_b64 v[8:9], 3, v[8:9]
	v_add_co_u32_e64 v8, s[0:1], s14, v8
	v_addc_co_u32_e64 v9, s[0:1], v1, v9, s[0:1]
	v_cmp_le_i32_e64 s[0:1], v0, v5
	s_and_b64 s[0:1], vcc, s[0:1]
	s_and_saveexec_b64 s[2:3], s[0:1]
	s_cbranch_execz .LBB611_14
; %bb.13:
	v_ashrrev_i32_e32 v1, 31, v0
	v_lshlrev_b64 v[0:1], 3, v[0:1]
	v_add_co_u32_e64 v0, s[0:1], v8, v0
	v_addc_co_u32_e64 v1, s[0:1], v9, v1, s[0:1]
	flat_load_dwordx2 v[10:11], v[0:1]
	s_waitcnt vmcnt(0) lgkmcnt(0)
	v_mul_f64 v[10:11], s[12:13], v[10:11]
	v_fma_f64 v[6:7], s[16:17], v[6:7], v[10:11]
	flat_store_dwordx2 v[0:1], v[6:7]
.LBB611_14:
	s_or_b64 exec, exec, s[2:3]
	v_cmp_le_i32_e64 s[0:1], v4, v5
	s_and_b64 s[0:1], vcc, s[0:1]
	s_and_saveexec_b64 s[2:3], s[0:1]
	s_cbranch_execz .LBB611_16
; %bb.15:
	v_ashrrev_i32_e32 v5, 31, v4
	v_lshlrev_b64 v[0:1], 3, v[4:5]
	v_add_co_u32_e32 v0, vcc, v8, v0
	v_addc_co_u32_e32 v1, vcc, v9, v1, vcc
	flat_load_dwordx2 v[4:5], v[0:1]
	s_waitcnt vmcnt(0) lgkmcnt(0)
	v_mul_f64 v[4:5], s[12:13], v[4:5]
	v_fma_f64 v[2:3], s[16:17], v[2:3], v[4:5]
	flat_store_dwordx2 v[0:1], v[2:3]
.LBB611_16:
	s_endpgm
	.section	.rodata,"a",@progbits
	.p2align	6, 0x0
	.amdhsa_kernel _ZL34rocblas_syrkx_herkx_general_kernelIidLi16ELi32ELi8ELb0ELb0ELc67ELc85EKPKdKPdEviT_T0_PT8_S5_lS8_S5_lS6_PT9_S5_li
		.amdhsa_group_segment_fixed_size 4096
		.amdhsa_private_segment_fixed_size 0
		.amdhsa_kernarg_size 100
		.amdhsa_user_sgpr_count 6
		.amdhsa_user_sgpr_private_segment_buffer 1
		.amdhsa_user_sgpr_dispatch_ptr 0
		.amdhsa_user_sgpr_queue_ptr 0
		.amdhsa_user_sgpr_kernarg_segment_ptr 1
		.amdhsa_user_sgpr_dispatch_id 0
		.amdhsa_user_sgpr_flat_scratch_init 0
		.amdhsa_user_sgpr_private_segment_size 0
		.amdhsa_uses_dynamic_stack 0
		.amdhsa_system_sgpr_private_segment_wavefront_offset 0
		.amdhsa_system_sgpr_workgroup_id_x 1
		.amdhsa_system_sgpr_workgroup_id_y 1
		.amdhsa_system_sgpr_workgroup_id_z 1
		.amdhsa_system_sgpr_workgroup_info 0
		.amdhsa_system_vgpr_workitem_id 1
		.amdhsa_next_free_vgpr 38
		.amdhsa_next_free_sgpr 23
		.amdhsa_reserve_vcc 1
		.amdhsa_reserve_flat_scratch 0
		.amdhsa_float_round_mode_32 0
		.amdhsa_float_round_mode_16_64 0
		.amdhsa_float_denorm_mode_32 3
		.amdhsa_float_denorm_mode_16_64 3
		.amdhsa_dx10_clamp 1
		.amdhsa_ieee_mode 1
		.amdhsa_fp16_overflow 0
		.amdhsa_exception_fp_ieee_invalid_op 0
		.amdhsa_exception_fp_denorm_src 0
		.amdhsa_exception_fp_ieee_div_zero 0
		.amdhsa_exception_fp_ieee_overflow 0
		.amdhsa_exception_fp_ieee_underflow 0
		.amdhsa_exception_fp_ieee_inexact 0
		.amdhsa_exception_int_div_zero 0
	.end_amdhsa_kernel
	.section	.text._ZL34rocblas_syrkx_herkx_general_kernelIidLi16ELi32ELi8ELb0ELb0ELc67ELc85EKPKdKPdEviT_T0_PT8_S5_lS8_S5_lS6_PT9_S5_li,"axG",@progbits,_ZL34rocblas_syrkx_herkx_general_kernelIidLi16ELi32ELi8ELb0ELb0ELc67ELc85EKPKdKPdEviT_T0_PT8_S5_lS8_S5_lS6_PT9_S5_li,comdat
.Lfunc_end611:
	.size	_ZL34rocblas_syrkx_herkx_general_kernelIidLi16ELi32ELi8ELb0ELb0ELc67ELc85EKPKdKPdEviT_T0_PT8_S5_lS8_S5_lS6_PT9_S5_li, .Lfunc_end611-_ZL34rocblas_syrkx_herkx_general_kernelIidLi16ELi32ELi8ELb0ELb0ELc67ELc85EKPKdKPdEviT_T0_PT8_S5_lS8_S5_lS6_PT9_S5_li
                                        ; -- End function
	.set _ZL34rocblas_syrkx_herkx_general_kernelIidLi16ELi32ELi8ELb0ELb0ELc67ELc85EKPKdKPdEviT_T0_PT8_S5_lS8_S5_lS6_PT9_S5_li.num_vgpr, 38
	.set _ZL34rocblas_syrkx_herkx_general_kernelIidLi16ELi32ELi8ELb0ELb0ELc67ELc85EKPKdKPdEviT_T0_PT8_S5_lS8_S5_lS6_PT9_S5_li.num_agpr, 0
	.set _ZL34rocblas_syrkx_herkx_general_kernelIidLi16ELi32ELi8ELb0ELb0ELc67ELc85EKPKdKPdEviT_T0_PT8_S5_lS8_S5_lS6_PT9_S5_li.numbered_sgpr, 23
	.set _ZL34rocblas_syrkx_herkx_general_kernelIidLi16ELi32ELi8ELb0ELb0ELc67ELc85EKPKdKPdEviT_T0_PT8_S5_lS8_S5_lS6_PT9_S5_li.num_named_barrier, 0
	.set _ZL34rocblas_syrkx_herkx_general_kernelIidLi16ELi32ELi8ELb0ELb0ELc67ELc85EKPKdKPdEviT_T0_PT8_S5_lS8_S5_lS6_PT9_S5_li.private_seg_size, 0
	.set _ZL34rocblas_syrkx_herkx_general_kernelIidLi16ELi32ELi8ELb0ELb0ELc67ELc85EKPKdKPdEviT_T0_PT8_S5_lS8_S5_lS6_PT9_S5_li.uses_vcc, 1
	.set _ZL34rocblas_syrkx_herkx_general_kernelIidLi16ELi32ELi8ELb0ELb0ELc67ELc85EKPKdKPdEviT_T0_PT8_S5_lS8_S5_lS6_PT9_S5_li.uses_flat_scratch, 0
	.set _ZL34rocblas_syrkx_herkx_general_kernelIidLi16ELi32ELi8ELb0ELb0ELc67ELc85EKPKdKPdEviT_T0_PT8_S5_lS8_S5_lS6_PT9_S5_li.has_dyn_sized_stack, 0
	.set _ZL34rocblas_syrkx_herkx_general_kernelIidLi16ELi32ELi8ELb0ELb0ELc67ELc85EKPKdKPdEviT_T0_PT8_S5_lS8_S5_lS6_PT9_S5_li.has_recursion, 0
	.set _ZL34rocblas_syrkx_herkx_general_kernelIidLi16ELi32ELi8ELb0ELb0ELc67ELc85EKPKdKPdEviT_T0_PT8_S5_lS8_S5_lS6_PT9_S5_li.has_indirect_call, 0
	.section	.AMDGPU.csdata,"",@progbits
; Kernel info:
; codeLenInByte = 1444
; TotalNumSgprs: 27
; NumVgprs: 38
; ScratchSize: 0
; MemoryBound: 0
; FloatMode: 240
; IeeeMode: 1
; LDSByteSize: 4096 bytes/workgroup (compile time only)
; SGPRBlocks: 3
; VGPRBlocks: 9
; NumSGPRsForWavesPerEU: 27
; NumVGPRsForWavesPerEU: 38
; Occupancy: 6
; WaveLimiterHint : 1
; COMPUTE_PGM_RSRC2:SCRATCH_EN: 0
; COMPUTE_PGM_RSRC2:USER_SGPR: 6
; COMPUTE_PGM_RSRC2:TRAP_HANDLER: 0
; COMPUTE_PGM_RSRC2:TGID_X_EN: 1
; COMPUTE_PGM_RSRC2:TGID_Y_EN: 1
; COMPUTE_PGM_RSRC2:TGID_Z_EN: 1
; COMPUTE_PGM_RSRC2:TIDIG_COMP_CNT: 1
	.section	.text._ZL34rocblas_syrkx_herkx_general_kernelIidLi16ELi32ELi8ELb0ELb0ELc78ELc85EKPKdKPdEviT_T0_PT8_S5_lS8_S5_lS6_PT9_S5_li,"axG",@progbits,_ZL34rocblas_syrkx_herkx_general_kernelIidLi16ELi32ELi8ELb0ELb0ELc78ELc85EKPKdKPdEviT_T0_PT8_S5_lS8_S5_lS6_PT9_S5_li,comdat
	.globl	_ZL34rocblas_syrkx_herkx_general_kernelIidLi16ELi32ELi8ELb0ELb0ELc78ELc85EKPKdKPdEviT_T0_PT8_S5_lS8_S5_lS6_PT9_S5_li ; -- Begin function _ZL34rocblas_syrkx_herkx_general_kernelIidLi16ELi32ELi8ELb0ELb0ELc78ELc85EKPKdKPdEviT_T0_PT8_S5_lS8_S5_lS6_PT9_S5_li
	.p2align	8
	.type	_ZL34rocblas_syrkx_herkx_general_kernelIidLi16ELi32ELi8ELb0ELb0ELc78ELc85EKPKdKPdEviT_T0_PT8_S5_lS8_S5_lS6_PT9_S5_li,@function
_ZL34rocblas_syrkx_herkx_general_kernelIidLi16ELi32ELi8ELb0ELb0ELc78ELc85EKPKdKPdEviT_T0_PT8_S5_lS8_S5_lS6_PT9_S5_li: ; @_ZL34rocblas_syrkx_herkx_general_kernelIidLi16ELi32ELi8ELb0ELb0ELc78ELc85EKPKdKPdEviT_T0_PT8_S5_lS8_S5_lS6_PT9_S5_li
; %bb.0:
	s_load_dwordx4 s[12:15], s[4:5], 0x40
	s_load_dwordx2 s[10:11], s[4:5], 0x0
	s_load_dwordx4 s[16:19], s[4:5], 0x8
	s_mov_b32 s9, 0
	s_lshl_b64 s[0:1], s[8:9], 3
	s_waitcnt lgkmcnt(0)
	s_add_u32 s2, s14, s0
	s_addc_u32 s3, s15, s1
	s_load_dwordx2 s[14:15], s[2:3], 0x0
	s_lshl_b32 s8, s6, 5
	s_lshl_b32 s20, s7, 5
	s_cmp_lt_i32 s11, 1
	s_cbranch_scc1 .LBB612_7
; %bb.1:
	s_load_dword s6, s[4:5], 0x18
	s_load_dword s22, s[4:5], 0x30
	s_load_dwordx2 s[2:3], s[4:5], 0x28
	v_lshl_add_u32 v3, v1, 4, v0
	v_and_b32_e32 v6, 31, v3
	s_waitcnt lgkmcnt(0)
	s_ashr_i32 s7, s6, 31
	s_ashr_i32 s23, s22, 31
	v_lshrrev_b32_e32 v17, 5, v3
	v_lshrrev_b32_e32 v4, 3, v3
	v_or_b32_e32 v3, s8, v6
	v_and_b32_e32 v16, 7, v0
	s_add_u32 s2, s2, s0
	v_cmp_gt_i32_e32 vcc, s10, v3
	v_lshlrev_b32_e32 v3, 3, v6
	s_addc_u32 s3, s3, s1
	v_lshl_or_b32 v18, v17, 8, v3
	v_lshlrev_b32_e32 v3, 3, v16
	v_add_u32_e32 v2, s20, v4
	s_load_dwordx2 s[24:25], s[2:3], 0x0
	v_lshl_or_b32 v3, v4, 6, v3
	v_mad_i64_i32 v[4:5], s[2:3], v17, s6, 0
	v_mov_b32_e32 v7, 0x800
	v_add_u32_e32 v6, s8, v6
	v_lshl_add_u32 v21, v1, 6, v7
	v_ashrrev_i32_e32 v7, 31, v6
	s_add_u32 s0, s18, s0
	v_lshlrev_b64 v[4:5], 3, v[4:5]
	v_lshlrev_b64 v[6:7], 3, v[6:7]
	s_addc_u32 s1, s19, s1
	s_load_dwordx2 s[18:19], s[0:1], 0x0
	v_add_co_u32_e64 v4, s[2:3], v4, v6
	v_addc_co_u32_e64 v5, s[2:3], v5, v7, s[2:3]
	v_mad_i64_i32 v[6:7], s[2:3], s22, v16, 0
	v_add_u32_e32 v19, 0x800, v3
	v_ashrrev_i32_e32 v3, 31, v2
	v_cmp_gt_i32_e64 s[0:1], s10, v2
	s_waitcnt lgkmcnt(0)
	v_mov_b32_e32 v8, s19
	v_add_co_u32_e64 v4, s[2:3], s18, v4
	v_lshlrev_b64 v[6:7], 3, v[6:7]
	v_lshlrev_b64 v[2:3], 3, v[2:3]
	v_addc_co_u32_e64 v5, s[2:3], v8, v5, s[2:3]
	v_add_co_u32_e64 v2, s[2:3], v6, v2
	v_addc_co_u32_e64 v3, s[2:3], v7, v3, s[2:3]
	v_mov_b32_e32 v7, s25
	v_add_co_u32_e64 v6, s[2:3], s24, v2
	s_lshl_b64 s[6:7], s[6:7], 6
	v_addc_co_u32_e64 v7, s[2:3], v7, v3, s[2:3]
	s_lshl_b64 s[18:19], s[22:23], 6
	v_mov_b32_e32 v2, 0
	v_mov_b32_e32 v8, 0
	;; [unrolled: 1-line block ×4, first 2 shown]
	v_lshlrev_b32_e32 v20, 3, v0
	v_mov_b32_e32 v3, 0
	v_mov_b32_e32 v22, s7
	;; [unrolled: 1-line block ×6, first 2 shown]
	s_branch .LBB612_3
.LBB612_2:                              ;   in Loop: Header=BB612_3 Depth=1
	s_or_b64 exec, exec, s[2:3]
	s_waitcnt vmcnt(0) lgkmcnt(0)
	ds_write_b64 v19, v[14:15]
	s_waitcnt lgkmcnt(0)
	s_barrier
	ds_read2_b64 v[24:27], v20 offset1:16
	ds_read_b128 v[28:31], v21
	ds_read_b128 v[32:35], v21 offset:1024
	ds_read_b128 v[36:39], v21 offset:16
	v_add_co_u32_e64 v4, s[2:3], s6, v4
	s_waitcnt lgkmcnt(2)
	v_fma_f64 v[14:15], v[24:25], v[28:29], v[12:13]
	v_fma_f64 v[28:29], v[26:27], v[28:29], v[10:11]
	s_waitcnt lgkmcnt(1)
	v_fma_f64 v[8:9], v[24:25], v[32:33], v[8:9]
	v_fma_f64 v[2:3], v[26:27], v[32:33], v[2:3]
	ds_read2_b64 v[24:27], v20 offset0:32 offset1:48
	ds_read_b128 v[10:13], v21 offset:1040
	v_addc_co_u32_e64 v5, s[2:3], v5, v22, s[2:3]
	s_add_i32 s9, s9, 8
	s_waitcnt lgkmcnt(1)
	v_fma_f64 v[14:15], v[24:25], v[30:31], v[14:15]
	v_fma_f64 v[28:29], v[26:27], v[30:31], v[28:29]
	;; [unrolled: 1-line block ×4, first 2 shown]
	ds_read2_b64 v[24:27], v20 offset0:64 offset1:80
	v_add_co_u32_e64 v6, s[2:3], s18, v6
	s_cmp_ge_i32 s9, s11
	v_addc_co_u32_e64 v7, s[2:3], v7, v23, s[2:3]
	s_waitcnt lgkmcnt(0)
	v_fma_f64 v[14:15], v[24:25], v[36:37], v[14:15]
	v_fma_f64 v[32:33], v[26:27], v[36:37], v[28:29]
	;; [unrolled: 1-line block ×4, first 2 shown]
	ds_read2_b64 v[28:31], v20 offset0:96 offset1:112
	ds_read2_b64 v[8:11], v20 offset0:128 offset1:144
	ds_read_b128 v[24:27], v21 offset:32
	s_waitcnt lgkmcnt(2)
	v_fma_f64 v[36:37], v[28:29], v[38:39], v[14:15]
	v_fma_f64 v[32:33], v[30:31], v[38:39], v[32:33]
	;; [unrolled: 1-line block ×4, first 2 shown]
	ds_read_b128 v[12:15], v21 offset:1056
	ds_read_b128 v[28:31], v21 offset:48
	s_waitcnt lgkmcnt(2)
	v_fma_f64 v[36:37], v[8:9], v[24:25], v[36:37]
	v_fma_f64 v[24:25], v[10:11], v[24:25], v[32:33]
	s_waitcnt lgkmcnt(1)
	v_fma_f64 v[38:39], v[8:9], v[12:13], v[38:39]
	v_fma_f64 v[2:3], v[10:11], v[12:13], v[2:3]
	ds_read2_b64 v[8:11], v20 offset0:160 offset1:176
	ds_read_b128 v[32:35], v21 offset:1072
	s_waitcnt lgkmcnt(1)
	v_fma_f64 v[12:13], v[8:9], v[26:27], v[36:37]
	v_fma_f64 v[36:37], v[10:11], v[26:27], v[24:25]
	;; [unrolled: 1-line block ×4, first 2 shown]
	ds_read2_b64 v[8:11], v20 offset0:192 offset1:208
	ds_read2_b64 v[24:27], v20 offset0:224 offset1:240
	s_waitcnt lgkmcnt(0)
	s_barrier
	v_fma_f64 v[12:13], v[8:9], v[28:29], v[12:13]
	v_fma_f64 v[14:15], v[10:11], v[28:29], v[36:37]
	;; [unrolled: 1-line block ×8, first 2 shown]
	s_cbranch_scc1 .LBB612_8
.LBB612_3:                              ; =>This Inner Loop Header: Depth=1
	v_add_u32_e32 v14, s9, v17
	v_cmp_gt_i32_e64 s[2:3], s11, v14
	v_mov_b32_e32 v14, 0
	v_mov_b32_e32 v15, 0
	s_and_b64 s[22:23], vcc, s[2:3]
	s_and_saveexec_b64 s[2:3], s[22:23]
	s_cbranch_execz .LBB612_5
; %bb.4:                                ;   in Loop: Header=BB612_3 Depth=1
	flat_load_dwordx2 v[14:15], v[4:5]
.LBB612_5:                              ;   in Loop: Header=BB612_3 Depth=1
	s_or_b64 exec, exec, s[2:3]
	s_waitcnt vmcnt(0) lgkmcnt(0)
	ds_write_b64 v18, v[14:15]
	v_add_u32_e32 v14, s9, v16
	v_cmp_gt_i32_e64 s[2:3], s11, v14
	v_mov_b32_e32 v14, 0
	v_mov_b32_e32 v15, 0
	s_and_b64 s[22:23], s[2:3], s[0:1]
	s_and_saveexec_b64 s[2:3], s[22:23]
	s_cbranch_execz .LBB612_2
; %bb.6:                                ;   in Loop: Header=BB612_3 Depth=1
	flat_load_dwordx2 v[14:15], v[6:7]
	s_branch .LBB612_2
.LBB612_7:
	v_mov_b32_e32 v12, 0
	v_mov_b32_e32 v10, 0
	;; [unrolled: 1-line block ×8, first 2 shown]
.LBB612_8:
	s_load_dword s4, s[4:5], 0x50
	v_add_u32_e32 v6, s20, v1
	s_waitcnt lgkmcnt(0)
	v_mov_b32_e32 v1, s15
	v_add_u32_e32 v0, s8, v0
	v_cmp_gt_i32_e32 vcc, s10, v6
	v_mad_i64_i32 v[4:5], s[0:1], v6, s4, 0
	v_lshlrev_b64 v[4:5], 3, v[4:5]
	v_add_co_u32_e64 v7, s[0:1], s14, v4
	v_addc_co_u32_e64 v14, s[0:1], v1, v5, s[0:1]
	v_cmp_le_i32_e64 s[0:1], v0, v6
	s_and_b64 s[0:1], vcc, s[0:1]
	s_and_saveexec_b64 s[2:3], s[0:1]
	s_cbranch_execz .LBB612_10
; %bb.9:
	v_ashrrev_i32_e32 v1, 31, v0
	v_lshlrev_b64 v[4:5], 3, v[0:1]
	v_add_co_u32_e64 v4, s[0:1], v7, v4
	v_addc_co_u32_e64 v5, s[0:1], v14, v5, s[0:1]
	flat_load_dwordx2 v[15:16], v[4:5]
	s_waitcnt vmcnt(0) lgkmcnt(0)
	v_mul_f64 v[15:16], s[12:13], v[15:16]
	v_fma_f64 v[12:13], s[16:17], v[12:13], v[15:16]
	flat_store_dwordx2 v[4:5], v[12:13]
.LBB612_10:
	s_or_b64 exec, exec, s[2:3]
	v_add_u32_e32 v4, 16, v0
	v_cmp_le_i32_e64 s[0:1], v4, v6
	s_and_b64 s[2:3], vcc, s[0:1]
	s_and_saveexec_b64 s[0:1], s[2:3]
	s_cbranch_execz .LBB612_12
; %bb.11:
	v_ashrrev_i32_e32 v5, 31, v4
	v_lshlrev_b64 v[12:13], 3, v[4:5]
	v_add_co_u32_e32 v12, vcc, v7, v12
	v_addc_co_u32_e32 v13, vcc, v14, v13, vcc
	flat_load_dwordx2 v[14:15], v[12:13]
	s_waitcnt vmcnt(0) lgkmcnt(0)
	v_mul_f64 v[14:15], s[12:13], v[14:15]
	v_fma_f64 v[10:11], s[16:17], v[10:11], v[14:15]
	flat_store_dwordx2 v[12:13], v[10:11]
.LBB612_12:
	s_or_b64 exec, exec, s[0:1]
	v_add_u32_e32 v5, 16, v6
	v_mad_i64_i32 v[6:7], s[0:1], v5, s4, 0
	v_mov_b32_e32 v1, s15
	v_cmp_gt_i32_e32 vcc, s10, v5
	v_lshlrev_b64 v[6:7], 3, v[6:7]
	v_add_co_u32_e64 v6, s[0:1], s14, v6
	v_addc_co_u32_e64 v7, s[0:1], v1, v7, s[0:1]
	v_cmp_le_i32_e64 s[0:1], v0, v5
	s_and_b64 s[0:1], vcc, s[0:1]
	s_and_saveexec_b64 s[2:3], s[0:1]
	s_cbranch_execz .LBB612_14
; %bb.13:
	v_ashrrev_i32_e32 v1, 31, v0
	v_lshlrev_b64 v[0:1], 3, v[0:1]
	v_add_co_u32_e64 v0, s[0:1], v6, v0
	v_addc_co_u32_e64 v1, s[0:1], v7, v1, s[0:1]
	flat_load_dwordx2 v[10:11], v[0:1]
	s_waitcnt vmcnt(0) lgkmcnt(0)
	v_mul_f64 v[10:11], s[12:13], v[10:11]
	v_fma_f64 v[8:9], s[16:17], v[8:9], v[10:11]
	flat_store_dwordx2 v[0:1], v[8:9]
.LBB612_14:
	s_or_b64 exec, exec, s[2:3]
	v_cmp_le_i32_e64 s[0:1], v4, v5
	s_and_b64 s[0:1], vcc, s[0:1]
	s_and_saveexec_b64 s[2:3], s[0:1]
	s_cbranch_execz .LBB612_16
; %bb.15:
	v_ashrrev_i32_e32 v5, 31, v4
	v_lshlrev_b64 v[0:1], 3, v[4:5]
	v_add_co_u32_e32 v0, vcc, v6, v0
	v_addc_co_u32_e32 v1, vcc, v7, v1, vcc
	flat_load_dwordx2 v[4:5], v[0:1]
	s_waitcnt vmcnt(0) lgkmcnt(0)
	v_mul_f64 v[4:5], s[12:13], v[4:5]
	v_fma_f64 v[2:3], s[16:17], v[2:3], v[4:5]
	flat_store_dwordx2 v[0:1], v[2:3]
.LBB612_16:
	s_endpgm
	.section	.rodata,"a",@progbits
	.p2align	6, 0x0
	.amdhsa_kernel _ZL34rocblas_syrkx_herkx_general_kernelIidLi16ELi32ELi8ELb0ELb0ELc78ELc85EKPKdKPdEviT_T0_PT8_S5_lS8_S5_lS6_PT9_S5_li
		.amdhsa_group_segment_fixed_size 4096
		.amdhsa_private_segment_fixed_size 0
		.amdhsa_kernarg_size 100
		.amdhsa_user_sgpr_count 6
		.amdhsa_user_sgpr_private_segment_buffer 1
		.amdhsa_user_sgpr_dispatch_ptr 0
		.amdhsa_user_sgpr_queue_ptr 0
		.amdhsa_user_sgpr_kernarg_segment_ptr 1
		.amdhsa_user_sgpr_dispatch_id 0
		.amdhsa_user_sgpr_flat_scratch_init 0
		.amdhsa_user_sgpr_private_segment_size 0
		.amdhsa_uses_dynamic_stack 0
		.amdhsa_system_sgpr_private_segment_wavefront_offset 0
		.amdhsa_system_sgpr_workgroup_id_x 1
		.amdhsa_system_sgpr_workgroup_id_y 1
		.amdhsa_system_sgpr_workgroup_id_z 1
		.amdhsa_system_sgpr_workgroup_info 0
		.amdhsa_system_vgpr_workitem_id 1
		.amdhsa_next_free_vgpr 40
		.amdhsa_next_free_sgpr 26
		.amdhsa_reserve_vcc 1
		.amdhsa_reserve_flat_scratch 0
		.amdhsa_float_round_mode_32 0
		.amdhsa_float_round_mode_16_64 0
		.amdhsa_float_denorm_mode_32 3
		.amdhsa_float_denorm_mode_16_64 3
		.amdhsa_dx10_clamp 1
		.amdhsa_ieee_mode 1
		.amdhsa_fp16_overflow 0
		.amdhsa_exception_fp_ieee_invalid_op 0
		.amdhsa_exception_fp_denorm_src 0
		.amdhsa_exception_fp_ieee_div_zero 0
		.amdhsa_exception_fp_ieee_overflow 0
		.amdhsa_exception_fp_ieee_underflow 0
		.amdhsa_exception_fp_ieee_inexact 0
		.amdhsa_exception_int_div_zero 0
	.end_amdhsa_kernel
	.section	.text._ZL34rocblas_syrkx_herkx_general_kernelIidLi16ELi32ELi8ELb0ELb0ELc78ELc85EKPKdKPdEviT_T0_PT8_S5_lS8_S5_lS6_PT9_S5_li,"axG",@progbits,_ZL34rocblas_syrkx_herkx_general_kernelIidLi16ELi32ELi8ELb0ELb0ELc78ELc85EKPKdKPdEviT_T0_PT8_S5_lS8_S5_lS6_PT9_S5_li,comdat
.Lfunc_end612:
	.size	_ZL34rocblas_syrkx_herkx_general_kernelIidLi16ELi32ELi8ELb0ELb0ELc78ELc85EKPKdKPdEviT_T0_PT8_S5_lS8_S5_lS6_PT9_S5_li, .Lfunc_end612-_ZL34rocblas_syrkx_herkx_general_kernelIidLi16ELi32ELi8ELb0ELb0ELc78ELc85EKPKdKPdEviT_T0_PT8_S5_lS8_S5_lS6_PT9_S5_li
                                        ; -- End function
	.set _ZL34rocblas_syrkx_herkx_general_kernelIidLi16ELi32ELi8ELb0ELb0ELc78ELc85EKPKdKPdEviT_T0_PT8_S5_lS8_S5_lS6_PT9_S5_li.num_vgpr, 40
	.set _ZL34rocblas_syrkx_herkx_general_kernelIidLi16ELi32ELi8ELb0ELb0ELc78ELc85EKPKdKPdEviT_T0_PT8_S5_lS8_S5_lS6_PT9_S5_li.num_agpr, 0
	.set _ZL34rocblas_syrkx_herkx_general_kernelIidLi16ELi32ELi8ELb0ELb0ELc78ELc85EKPKdKPdEviT_T0_PT8_S5_lS8_S5_lS6_PT9_S5_li.numbered_sgpr, 26
	.set _ZL34rocblas_syrkx_herkx_general_kernelIidLi16ELi32ELi8ELb0ELb0ELc78ELc85EKPKdKPdEviT_T0_PT8_S5_lS8_S5_lS6_PT9_S5_li.num_named_barrier, 0
	.set _ZL34rocblas_syrkx_herkx_general_kernelIidLi16ELi32ELi8ELb0ELb0ELc78ELc85EKPKdKPdEviT_T0_PT8_S5_lS8_S5_lS6_PT9_S5_li.private_seg_size, 0
	.set _ZL34rocblas_syrkx_herkx_general_kernelIidLi16ELi32ELi8ELb0ELb0ELc78ELc85EKPKdKPdEviT_T0_PT8_S5_lS8_S5_lS6_PT9_S5_li.uses_vcc, 1
	.set _ZL34rocblas_syrkx_herkx_general_kernelIidLi16ELi32ELi8ELb0ELb0ELc78ELc85EKPKdKPdEviT_T0_PT8_S5_lS8_S5_lS6_PT9_S5_li.uses_flat_scratch, 0
	.set _ZL34rocblas_syrkx_herkx_general_kernelIidLi16ELi32ELi8ELb0ELb0ELc78ELc85EKPKdKPdEviT_T0_PT8_S5_lS8_S5_lS6_PT9_S5_li.has_dyn_sized_stack, 0
	.set _ZL34rocblas_syrkx_herkx_general_kernelIidLi16ELi32ELi8ELb0ELb0ELc78ELc85EKPKdKPdEviT_T0_PT8_S5_lS8_S5_lS6_PT9_S5_li.has_recursion, 0
	.set _ZL34rocblas_syrkx_herkx_general_kernelIidLi16ELi32ELi8ELb0ELb0ELc78ELc85EKPKdKPdEviT_T0_PT8_S5_lS8_S5_lS6_PT9_S5_li.has_indirect_call, 0
	.section	.AMDGPU.csdata,"",@progbits
; Kernel info:
; codeLenInByte = 1488
; TotalNumSgprs: 30
; NumVgprs: 40
; ScratchSize: 0
; MemoryBound: 0
; FloatMode: 240
; IeeeMode: 1
; LDSByteSize: 4096 bytes/workgroup (compile time only)
; SGPRBlocks: 3
; VGPRBlocks: 9
; NumSGPRsForWavesPerEU: 30
; NumVGPRsForWavesPerEU: 40
; Occupancy: 6
; WaveLimiterHint : 1
; COMPUTE_PGM_RSRC2:SCRATCH_EN: 0
; COMPUTE_PGM_RSRC2:USER_SGPR: 6
; COMPUTE_PGM_RSRC2:TRAP_HANDLER: 0
; COMPUTE_PGM_RSRC2:TGID_X_EN: 1
; COMPUTE_PGM_RSRC2:TGID_Y_EN: 1
; COMPUTE_PGM_RSRC2:TGID_Z_EN: 1
; COMPUTE_PGM_RSRC2:TIDIG_COMP_CNT: 1
	.section	.text._ZL26rocblas_syr2k_scale_kernelIiLi128ELi8ELb0EddPKPdEvbiT_T3_T4_T5_S3_li,"axG",@progbits,_ZL26rocblas_syr2k_scale_kernelIiLi128ELi8ELb0EddPKPdEvbiT_T3_T4_T5_S3_li,comdat
	.globl	_ZL26rocblas_syr2k_scale_kernelIiLi128ELi8ELb0EddPKPdEvbiT_T3_T4_T5_S3_li ; -- Begin function _ZL26rocblas_syr2k_scale_kernelIiLi128ELi8ELb0EddPKPdEvbiT_T3_T4_T5_S3_li
	.p2align	8
	.type	_ZL26rocblas_syr2k_scale_kernelIiLi128ELi8ELb0EddPKPdEvbiT_T3_T4_T5_S3_li,@function
_ZL26rocblas_syr2k_scale_kernelIiLi128ELi8ELb0EddPKPdEvbiT_T3_T4_T5_S3_li: ; @_ZL26rocblas_syr2k_scale_kernelIiLi128ELi8ELb0EddPKPdEvbiT_T3_T4_T5_S3_li
; %bb.0:
	s_load_dwordx4 s[12:15], s[4:5], 0x18
	s_waitcnt lgkmcnt(0)
	v_cmp_eq_f64_e64 s[0:1], s[12:13], 1.0
	s_and_b64 vcc, exec, s[0:1]
	s_cbranch_vccnz .LBB613_5
; %bb.1:
	s_load_dwordx2 s[0:1], s[4:5], 0x0
	s_load_dword s2, s[4:5], 0x4c
	s_waitcnt lgkmcnt(0)
	s_bitcmp1_b32 s0, 0
	s_cselect_b64 vcc, -1, 0
	s_lshr_b32 s0, s2, 16
	s_and_b32 s2, s2, 0xffff
	s_mul_i32 s6, s6, s2
	s_mul_i32 s7, s7, s0
	v_add_u32_e32 v0, s6, v0
	v_add_u32_e32 v1, s7, v1
	v_cndmask_b32_e32 v2, v1, v0, vcc
	v_cndmask_b32_e32 v3, v0, v1, vcc
	v_max_u32_e32 v4, v0, v1
	v_cmp_gt_u32_e32 vcc, s1, v4
	v_cmp_le_i32_e64 s[0:1], v2, v3
	s_and_b64 s[0:1], vcc, s[0:1]
	s_and_saveexec_b64 s[2:3], s[0:1]
	s_cbranch_execz .LBB613_5
; %bb.2:
	s_load_dword s6, s[4:5], 0x28
	s_load_dwordx2 s[0:1], s[4:5], 0x30
	s_mov_b32 s9, 0
	s_lshl_b64 s[2:3], s[8:9], 3
	s_waitcnt lgkmcnt(0)
	s_ashr_i32 s7, s6, 31
	s_add_u32 s2, s14, s2
	s_addc_u32 s3, s15, s3
	s_load_dwordx2 s[2:3], s[2:3], 0x0
	v_mad_u64_u32 v[2:3], s[4:5], v1, s6, 0
	s_lshl_b64 s[0:1], s[0:1], 3
	v_mad_u64_u32 v[3:4], s[4:5], v1, s7, v[3:4]
	s_waitcnt lgkmcnt(0)
	s_add_u32 s2, s2, s0
	s_addc_u32 s0, s3, s1
	v_mov_b32_e32 v4, s0
	v_cmp_eq_f64_e64 s[0:1], s[12:13], 0
	v_lshlrev_b64 v[2:3], 3, v[2:3]
	v_mov_b32_e32 v1, 0
	v_add_co_u32_e32 v2, vcc, s2, v2
	v_lshlrev_b64 v[0:1], 3, v[0:1]
	v_addc_co_u32_e32 v3, vcc, v4, v3, vcc
	v_add_co_u32_e32 v0, vcc, v2, v0
	v_addc_co_u32_e32 v1, vcc, v3, v1, vcc
	v_mov_b32_e32 v2, 0
	v_mov_b32_e32 v3, 0
	s_and_b64 vcc, exec, s[0:1]
	s_cbranch_vccnz .LBB613_4
; %bb.3:
	flat_load_dwordx2 v[2:3], v[0:1]
	s_waitcnt vmcnt(0) lgkmcnt(0)
	v_mul_f64 v[2:3], s[12:13], v[2:3]
.LBB613_4:
	flat_store_dwordx2 v[0:1], v[2:3]
.LBB613_5:
	s_endpgm
	.section	.rodata,"a",@progbits
	.p2align	6, 0x0
	.amdhsa_kernel _ZL26rocblas_syr2k_scale_kernelIiLi128ELi8ELb0EddPKPdEvbiT_T3_T4_T5_S3_li
		.amdhsa_group_segment_fixed_size 0
		.amdhsa_private_segment_fixed_size 0
		.amdhsa_kernarg_size 320
		.amdhsa_user_sgpr_count 6
		.amdhsa_user_sgpr_private_segment_buffer 1
		.amdhsa_user_sgpr_dispatch_ptr 0
		.amdhsa_user_sgpr_queue_ptr 0
		.amdhsa_user_sgpr_kernarg_segment_ptr 1
		.amdhsa_user_sgpr_dispatch_id 0
		.amdhsa_user_sgpr_flat_scratch_init 0
		.amdhsa_user_sgpr_private_segment_size 0
		.amdhsa_uses_dynamic_stack 0
		.amdhsa_system_sgpr_private_segment_wavefront_offset 0
		.amdhsa_system_sgpr_workgroup_id_x 1
		.amdhsa_system_sgpr_workgroup_id_y 1
		.amdhsa_system_sgpr_workgroup_id_z 1
		.amdhsa_system_sgpr_workgroup_info 0
		.amdhsa_system_vgpr_workitem_id 1
		.amdhsa_next_free_vgpr 5
		.amdhsa_next_free_sgpr 16
		.amdhsa_reserve_vcc 1
		.amdhsa_reserve_flat_scratch 0
		.amdhsa_float_round_mode_32 0
		.amdhsa_float_round_mode_16_64 0
		.amdhsa_float_denorm_mode_32 3
		.amdhsa_float_denorm_mode_16_64 3
		.amdhsa_dx10_clamp 1
		.amdhsa_ieee_mode 1
		.amdhsa_fp16_overflow 0
		.amdhsa_exception_fp_ieee_invalid_op 0
		.amdhsa_exception_fp_denorm_src 0
		.amdhsa_exception_fp_ieee_div_zero 0
		.amdhsa_exception_fp_ieee_overflow 0
		.amdhsa_exception_fp_ieee_underflow 0
		.amdhsa_exception_fp_ieee_inexact 0
		.amdhsa_exception_int_div_zero 0
	.end_amdhsa_kernel
	.section	.text._ZL26rocblas_syr2k_scale_kernelIiLi128ELi8ELb0EddPKPdEvbiT_T3_T4_T5_S3_li,"axG",@progbits,_ZL26rocblas_syr2k_scale_kernelIiLi128ELi8ELb0EddPKPdEvbiT_T3_T4_T5_S3_li,comdat
.Lfunc_end613:
	.size	_ZL26rocblas_syr2k_scale_kernelIiLi128ELi8ELb0EddPKPdEvbiT_T3_T4_T5_S3_li, .Lfunc_end613-_ZL26rocblas_syr2k_scale_kernelIiLi128ELi8ELb0EddPKPdEvbiT_T3_T4_T5_S3_li
                                        ; -- End function
	.set _ZL26rocblas_syr2k_scale_kernelIiLi128ELi8ELb0EddPKPdEvbiT_T3_T4_T5_S3_li.num_vgpr, 5
	.set _ZL26rocblas_syr2k_scale_kernelIiLi128ELi8ELb0EddPKPdEvbiT_T3_T4_T5_S3_li.num_agpr, 0
	.set _ZL26rocblas_syr2k_scale_kernelIiLi128ELi8ELb0EddPKPdEvbiT_T3_T4_T5_S3_li.numbered_sgpr, 16
	.set _ZL26rocblas_syr2k_scale_kernelIiLi128ELi8ELb0EddPKPdEvbiT_T3_T4_T5_S3_li.num_named_barrier, 0
	.set _ZL26rocblas_syr2k_scale_kernelIiLi128ELi8ELb0EddPKPdEvbiT_T3_T4_T5_S3_li.private_seg_size, 0
	.set _ZL26rocblas_syr2k_scale_kernelIiLi128ELi8ELb0EddPKPdEvbiT_T3_T4_T5_S3_li.uses_vcc, 1
	.set _ZL26rocblas_syr2k_scale_kernelIiLi128ELi8ELb0EddPKPdEvbiT_T3_T4_T5_S3_li.uses_flat_scratch, 0
	.set _ZL26rocblas_syr2k_scale_kernelIiLi128ELi8ELb0EddPKPdEvbiT_T3_T4_T5_S3_li.has_dyn_sized_stack, 0
	.set _ZL26rocblas_syr2k_scale_kernelIiLi128ELi8ELb0EddPKPdEvbiT_T3_T4_T5_S3_li.has_recursion, 0
	.set _ZL26rocblas_syr2k_scale_kernelIiLi128ELi8ELb0EddPKPdEvbiT_T3_T4_T5_S3_li.has_indirect_call, 0
	.section	.AMDGPU.csdata,"",@progbits
; Kernel info:
; codeLenInByte = 296
; TotalNumSgprs: 20
; NumVgprs: 5
; ScratchSize: 0
; MemoryBound: 1
; FloatMode: 240
; IeeeMode: 1
; LDSByteSize: 0 bytes/workgroup (compile time only)
; SGPRBlocks: 2
; VGPRBlocks: 1
; NumSGPRsForWavesPerEU: 20
; NumVGPRsForWavesPerEU: 5
; Occupancy: 10
; WaveLimiterHint : 1
; COMPUTE_PGM_RSRC2:SCRATCH_EN: 0
; COMPUTE_PGM_RSRC2:USER_SGPR: 6
; COMPUTE_PGM_RSRC2:TRAP_HANDLER: 0
; COMPUTE_PGM_RSRC2:TGID_X_EN: 1
; COMPUTE_PGM_RSRC2:TGID_Y_EN: 1
; COMPUTE_PGM_RSRC2:TGID_Z_EN: 1
; COMPUTE_PGM_RSRC2:TIDIG_COMP_CNT: 1
	.section	.text._ZL26rocblas_syr2k_her2k_kernelIiLb0ELb0ELb0ELi32EPKdPKS1_PKPdEvbiT_T4_T5_S7_lS9_S7_lT6_S7_li,"axG",@progbits,_ZL26rocblas_syr2k_her2k_kernelIiLb0ELb0ELb0ELi32EPKdPKS1_PKPdEvbiT_T4_T5_S7_lS9_S7_lT6_S7_li,comdat
	.globl	_ZL26rocblas_syr2k_her2k_kernelIiLb0ELb0ELb0ELi32EPKdPKS1_PKPdEvbiT_T4_T5_S7_lS9_S7_lT6_S7_li ; -- Begin function _ZL26rocblas_syr2k_her2k_kernelIiLb0ELb0ELb0ELi32EPKdPKS1_PKPdEvbiT_T4_T5_S7_lS9_S7_lT6_S7_li
	.p2align	8
	.type	_ZL26rocblas_syr2k_her2k_kernelIiLb0ELb0ELb0ELi32EPKdPKS1_PKPdEvbiT_T4_T5_S7_lS9_S7_lT6_S7_li,@function
_ZL26rocblas_syr2k_her2k_kernelIiLb0ELb0ELb0ELi32EPKdPKS1_PKPdEvbiT_T4_T5_S7_lS9_S7_lT6_S7_li: ; @_ZL26rocblas_syr2k_her2k_kernelIiLb0ELb0ELb0ELi32EPKdPKS1_PKPdEvbiT_T4_T5_S7_lS9_S7_lT6_S7_li
; %bb.0:
	s_load_dwordx4 s[0:3], s[4:5], 0x10
	s_waitcnt lgkmcnt(0)
	s_load_dwordx2 s[10:11], s[0:1], 0x0
	s_waitcnt lgkmcnt(0)
	v_cmp_eq_f64_e64 s[0:1], s[10:11], 0
	s_and_b64 vcc, exec, s[0:1]
	s_cbranch_vccnz .LBB614_11
; %bb.1:
	s_load_dwordx4 s[12:15], s[4:5], 0x0
	s_lshl_b32 s0, s7, 5
	s_lshl_b32 s1, s6, 5
	s_waitcnt lgkmcnt(0)
	s_and_b32 s6, 1, s12
	s_cmp_eq_u32 s6, 1
	s_cselect_b64 vcc, -1, 0
	s_and_b64 s[6:7], vcc, exec
	s_cselect_b32 s6, s1, s0
	s_cselect_b32 s7, s0, s1
	s_cmp_gt_i32 s6, s7
	s_cbranch_scc1 .LBB614_11
; %bb.2:
	s_cmp_lt_i32 s14, 1
	s_cbranch_scc1 .LBB614_11
; %bb.3:
	s_mov_b32 s9, 0
	s_load_dword s12, s[4:5], 0x20
	s_load_dwordx4 s[16:19], s[4:5], 0x28
	s_load_dword s15, s[4:5], 0x38
	s_load_dwordx4 s[20:23], s[4:5], 0x40
	s_load_dword s24, s[4:5], 0x50
	s_load_dwordx2 s[6:7], s[4:5], 0x58
	s_lshl_b64 s[4:5], s[8:9], 3
	s_add_u32 s2, s2, s4
	s_addc_u32 s3, s3, s5
	s_load_dwordx2 s[2:3], s[2:3], 0x0
	s_waitcnt lgkmcnt(0)
	s_add_u32 s18, s18, s4
	s_addc_u32 s19, s19, s5
	s_load_dwordx2 s[18:19], s[18:19], 0x0
	s_add_u32 s4, s22, s4
	v_add_u32_e32 v3, s1, v0
	s_addc_u32 s5, s23, s5
	s_lshl_b64 s[16:17], s[16:17], 3
	v_ashrrev_i32_e32 v4, 31, v3
	s_load_dwordx2 s[4:5], s[4:5], 0x0
	s_add_u32 s8, s2, s16
	v_lshlrev_b64 v[4:5], 3, v[3:4]
	s_addc_u32 s16, s3, s17
	v_add_u32_e32 v2, s0, v1
	s_lshl_b64 s[2:3], s[20:21], 3
	v_cndmask_b32_e32 v16, v3, v2, vcc
	v_cndmask_b32_e32 v17, v2, v3, vcc
	v_cmp_gt_i32_e32 vcc, s13, v3
	v_mov_b32_e32 v3, s16
	v_add_co_u32_e64 v8, s[0:1], s8, v4
	s_waitcnt lgkmcnt(0)
	s_add_u32 s17, s18, s2
	v_addc_co_u32_e64 v9, s[0:1], v3, v5, s[0:1]
	v_ashrrev_i32_e32 v3, 31, v2
	s_addc_u32 s18, s19, s3
	s_lshl_b64 s[2:3], s[6:7], 3
	v_lshlrev_b64 v[6:7], 3, v[2:3]
	s_add_u32 s6, s4, s2
	s_addc_u32 s7, s5, s3
	v_mov_b32_e32 v3, s18
	v_add_co_u32_e64 v12, s[2:3], s17, v6
	v_cmp_gt_i32_e64 s[0:1], s13, v2
	v_addc_co_u32_e64 v13, s[2:3], v3, v7, s[2:3]
	v_mad_i64_i32 v[2:3], s[2:3], s24, v2, 0
	v_cmp_le_i32_e64 s[2:3], v17, v16
	s_and_b64 s[4:5], s[0:1], vcc
	v_lshlrev_b64 v[2:3], 3, v[2:3]
	s_and_b64 s[4:5], s[4:5], s[2:3]
	v_mov_b32_e32 v6, s7
	v_add_co_u32_e64 v2, s[2:3], s6, v2
	v_lshlrev_b32_e32 v10, 8, v0
	v_lshlrev_b32_e32 v14, 3, v1
	v_addc_co_u32_e64 v3, s[2:3], v6, v3, s[2:3]
	v_add_u32_e32 v11, v10, v14
	v_or_b32_e32 v14, 0x2000, v14
	v_add_co_u32_e64 v2, s[2:3], v2, v4
	v_add_u32_e32 v15, v14, v10
	v_addc_co_u32_e64 v3, s[2:3], v3, v5, s[2:3]
	v_add_u32_e32 v16, 0x800, v14
	v_add_u32_e32 v17, 0x1000, v14
	v_add_u32_e32 v18, 0x1800, v14
	s_branch .LBB614_5
.LBB614_4:                              ;   in Loop: Header=BB614_5 Depth=1
	s_or_b64 exec, exec, s[2:3]
	s_add_i32 s9, s9, 32
	s_cmp_lt_i32 s9, s14
	s_waitcnt vmcnt(0) lgkmcnt(0)
	s_barrier
	s_cbranch_scc0 .LBB614_11
.LBB614_5:                              ; =>This Inner Loop Header: Depth=1
	v_add_u32_e32 v19, s9, v1
	v_cmp_gt_i32_e64 s[2:3], s14, v19
	v_mov_b32_e32 v4, 0
	v_mov_b32_e32 v6, 0
	;; [unrolled: 1-line block ×4, first 2 shown]
	s_and_b64 s[2:3], vcc, s[2:3]
	s_and_saveexec_b64 s[6:7], s[2:3]
	s_cbranch_execz .LBB614_7
; %bb.6:                                ;   in Loop: Header=BB614_5 Depth=1
	v_mad_i64_i32 v[6:7], s[2:3], v19, s12, 0
	v_lshlrev_b64 v[6:7], 3, v[6:7]
	v_add_co_u32_e64 v6, s[2:3], v8, v6
	v_addc_co_u32_e64 v7, s[2:3], v9, v7, s[2:3]
	flat_load_dwordx2 v[6:7], v[6:7]
.LBB614_7:                              ;   in Loop: Header=BB614_5 Depth=1
	s_or_b64 exec, exec, s[6:7]
	s_waitcnt vmcnt(0) lgkmcnt(0)
	ds_write_b64 v11, v[6:7]
	v_add_u32_e32 v6, s9, v0
	v_cmp_gt_i32_e64 s[2:3], s14, v6
	s_and_b64 s[2:3], s[0:1], s[2:3]
	s_and_saveexec_b64 s[6:7], s[2:3]
	s_cbranch_execz .LBB614_9
; %bb.8:                                ;   in Loop: Header=BB614_5 Depth=1
	v_mad_i64_i32 v[4:5], s[2:3], v6, s15, 0
	v_lshlrev_b64 v[4:5], 3, v[4:5]
	v_add_co_u32_e64 v4, s[2:3], v12, v4
	v_addc_co_u32_e64 v5, s[2:3], v13, v5, s[2:3]
	flat_load_dwordx2 v[4:5], v[4:5]
.LBB614_9:                              ;   in Loop: Header=BB614_5 Depth=1
	s_or_b64 exec, exec, s[6:7]
	s_waitcnt vmcnt(0) lgkmcnt(0)
	ds_write_b64 v15, v[4:5]
	s_waitcnt lgkmcnt(0)
	s_barrier
	s_and_saveexec_b64 s[2:3], s[4:5]
	s_cbranch_execz .LBB614_4
; %bb.10:                               ;   in Loop: Header=BB614_5 Depth=1
	ds_read2_b64 v[4:7], v14 offset1:32
	ds_read_b128 v[19:22], v10
	s_waitcnt lgkmcnt(0)
	v_fma_f64 v[4:5], v[19:20], v[4:5], 0
	v_fma_f64 v[23:24], v[21:22], v[6:7], v[4:5]
	ds_read_b128 v[4:7], v10 offset:16
	ds_read2_b64 v[19:22], v14 offset0:64 offset1:96
	s_waitcnt lgkmcnt(0)
	v_fma_f64 v[4:5], v[4:5], v[19:20], v[23:24]
	v_fma_f64 v[23:24], v[6:7], v[21:22], v[4:5]
	ds_read2_b64 v[4:7], v14 offset0:128 offset1:160
	ds_read_b128 v[19:22], v10 offset:32
	s_waitcnt lgkmcnt(0)
	v_fma_f64 v[4:5], v[19:20], v[4:5], v[23:24]
	v_fma_f64 v[23:24], v[21:22], v[6:7], v[4:5]
	ds_read_b128 v[4:7], v10 offset:48
	ds_read2_b64 v[19:22], v14 offset0:192 offset1:224
	s_waitcnt lgkmcnt(0)
	v_fma_f64 v[4:5], v[4:5], v[19:20], v[23:24]
	v_fma_f64 v[23:24], v[6:7], v[21:22], v[4:5]
	ds_read2_b64 v[4:7], v16 offset1:32
	ds_read_b128 v[19:22], v10 offset:64
	s_waitcnt lgkmcnt(0)
	v_fma_f64 v[4:5], v[19:20], v[4:5], v[23:24]
	v_fma_f64 v[23:24], v[21:22], v[6:7], v[4:5]
	ds_read_b128 v[4:7], v10 offset:80
	ds_read2_b64 v[19:22], v16 offset0:64 offset1:96
	s_waitcnt lgkmcnt(0)
	v_fma_f64 v[4:5], v[4:5], v[19:20], v[23:24]
	v_fma_f64 v[23:24], v[6:7], v[21:22], v[4:5]
	ds_read2_b64 v[4:7], v16 offset0:128 offset1:160
	ds_read_b128 v[19:22], v10 offset:96
	s_waitcnt lgkmcnt(0)
	v_fma_f64 v[4:5], v[19:20], v[4:5], v[23:24]
	v_fma_f64 v[23:24], v[21:22], v[6:7], v[4:5]
	ds_read_b128 v[4:7], v10 offset:112
	ds_read2_b64 v[19:22], v16 offset0:192 offset1:224
	s_waitcnt lgkmcnt(0)
	v_fma_f64 v[4:5], v[4:5], v[19:20], v[23:24]
	v_fma_f64 v[23:24], v[6:7], v[21:22], v[4:5]
	ds_read2_b64 v[4:7], v17 offset1:32
	ds_read_b128 v[19:22], v10 offset:128
	s_waitcnt lgkmcnt(0)
	v_fma_f64 v[4:5], v[19:20], v[4:5], v[23:24]
	v_fma_f64 v[23:24], v[21:22], v[6:7], v[4:5]
	ds_read_b128 v[4:7], v10 offset:144
	ds_read2_b64 v[19:22], v17 offset0:64 offset1:96
	s_waitcnt lgkmcnt(0)
	v_fma_f64 v[4:5], v[4:5], v[19:20], v[23:24]
	v_fma_f64 v[23:24], v[6:7], v[21:22], v[4:5]
	ds_read2_b64 v[4:7], v17 offset0:128 offset1:160
	ds_read_b128 v[19:22], v10 offset:160
	s_waitcnt lgkmcnt(0)
	v_fma_f64 v[4:5], v[19:20], v[4:5], v[23:24]
	v_fma_f64 v[23:24], v[21:22], v[6:7], v[4:5]
	ds_read_b128 v[4:7], v10 offset:176
	ds_read2_b64 v[19:22], v17 offset0:192 offset1:224
	s_waitcnt lgkmcnt(0)
	v_fma_f64 v[4:5], v[4:5], v[19:20], v[23:24]
	flat_load_dwordx2 v[23:24], v[2:3]
	v_fma_f64 v[25:26], v[6:7], v[21:22], v[4:5]
	ds_read2_b64 v[4:7], v18 offset1:32
	ds_read_b128 v[19:22], v10 offset:192
	s_waitcnt lgkmcnt(0)
	v_fma_f64 v[4:5], v[19:20], v[4:5], v[25:26]
	v_fma_f64 v[25:26], v[21:22], v[6:7], v[4:5]
	ds_read_b128 v[4:7], v10 offset:208
	ds_read2_b64 v[19:22], v18 offset0:64 offset1:96
	s_waitcnt lgkmcnt(0)
	v_fma_f64 v[4:5], v[4:5], v[19:20], v[25:26]
	v_fma_f64 v[25:26], v[6:7], v[21:22], v[4:5]
	ds_read2_b64 v[4:7], v18 offset0:128 offset1:160
	ds_read_b128 v[19:22], v10 offset:224
	s_waitcnt lgkmcnt(0)
	v_fma_f64 v[4:5], v[19:20], v[4:5], v[25:26]
	v_fma_f64 v[25:26], v[21:22], v[6:7], v[4:5]
	ds_read_b128 v[4:7], v10 offset:240
	ds_read2_b64 v[19:22], v18 offset0:192 offset1:224
	s_waitcnt lgkmcnt(0)
	v_fma_f64 v[4:5], v[4:5], v[19:20], v[25:26]
	v_fma_f64 v[4:5], v[6:7], v[21:22], v[4:5]
	s_waitcnt vmcnt(0)
	v_fma_f64 v[4:5], s[10:11], v[4:5], v[23:24]
	flat_store_dwordx2 v[2:3], v[4:5]
	s_branch .LBB614_4
.LBB614_11:
	s_endpgm
	.section	.rodata,"a",@progbits
	.p2align	6, 0x0
	.amdhsa_kernel _ZL26rocblas_syr2k_her2k_kernelIiLb0ELb0ELb0ELi32EPKdPKS1_PKPdEvbiT_T4_T5_S7_lS9_S7_lT6_S7_li
		.amdhsa_group_segment_fixed_size 16384
		.amdhsa_private_segment_fixed_size 0
		.amdhsa_kernarg_size 100
		.amdhsa_user_sgpr_count 6
		.amdhsa_user_sgpr_private_segment_buffer 1
		.amdhsa_user_sgpr_dispatch_ptr 0
		.amdhsa_user_sgpr_queue_ptr 0
		.amdhsa_user_sgpr_kernarg_segment_ptr 1
		.amdhsa_user_sgpr_dispatch_id 0
		.amdhsa_user_sgpr_flat_scratch_init 0
		.amdhsa_user_sgpr_private_segment_size 0
		.amdhsa_uses_dynamic_stack 0
		.amdhsa_system_sgpr_private_segment_wavefront_offset 0
		.amdhsa_system_sgpr_workgroup_id_x 1
		.amdhsa_system_sgpr_workgroup_id_y 1
		.amdhsa_system_sgpr_workgroup_id_z 1
		.amdhsa_system_sgpr_workgroup_info 0
		.amdhsa_system_vgpr_workitem_id 1
		.amdhsa_next_free_vgpr 29
		.amdhsa_next_free_sgpr 61
		.amdhsa_reserve_vcc 1
		.amdhsa_reserve_flat_scratch 0
		.amdhsa_float_round_mode_32 0
		.amdhsa_float_round_mode_16_64 0
		.amdhsa_float_denorm_mode_32 3
		.amdhsa_float_denorm_mode_16_64 3
		.amdhsa_dx10_clamp 1
		.amdhsa_ieee_mode 1
		.amdhsa_fp16_overflow 0
		.amdhsa_exception_fp_ieee_invalid_op 0
		.amdhsa_exception_fp_denorm_src 0
		.amdhsa_exception_fp_ieee_div_zero 0
		.amdhsa_exception_fp_ieee_overflow 0
		.amdhsa_exception_fp_ieee_underflow 0
		.amdhsa_exception_fp_ieee_inexact 0
		.amdhsa_exception_int_div_zero 0
	.end_amdhsa_kernel
	.section	.text._ZL26rocblas_syr2k_her2k_kernelIiLb0ELb0ELb0ELi32EPKdPKS1_PKPdEvbiT_T4_T5_S7_lS9_S7_lT6_S7_li,"axG",@progbits,_ZL26rocblas_syr2k_her2k_kernelIiLb0ELb0ELb0ELi32EPKdPKS1_PKPdEvbiT_T4_T5_S7_lS9_S7_lT6_S7_li,comdat
.Lfunc_end614:
	.size	_ZL26rocblas_syr2k_her2k_kernelIiLb0ELb0ELb0ELi32EPKdPKS1_PKPdEvbiT_T4_T5_S7_lS9_S7_lT6_S7_li, .Lfunc_end614-_ZL26rocblas_syr2k_her2k_kernelIiLb0ELb0ELb0ELi32EPKdPKS1_PKPdEvbiT_T4_T5_S7_lS9_S7_lT6_S7_li
                                        ; -- End function
	.set _ZL26rocblas_syr2k_her2k_kernelIiLb0ELb0ELb0ELi32EPKdPKS1_PKPdEvbiT_T4_T5_S7_lS9_S7_lT6_S7_li.num_vgpr, 27
	.set _ZL26rocblas_syr2k_her2k_kernelIiLb0ELb0ELb0ELi32EPKdPKS1_PKPdEvbiT_T4_T5_S7_lS9_S7_lT6_S7_li.num_agpr, 0
	.set _ZL26rocblas_syr2k_her2k_kernelIiLb0ELb0ELb0ELi32EPKdPKS1_PKPdEvbiT_T4_T5_S7_lS9_S7_lT6_S7_li.numbered_sgpr, 25
	.set _ZL26rocblas_syr2k_her2k_kernelIiLb0ELb0ELb0ELi32EPKdPKS1_PKPdEvbiT_T4_T5_S7_lS9_S7_lT6_S7_li.num_named_barrier, 0
	.set _ZL26rocblas_syr2k_her2k_kernelIiLb0ELb0ELb0ELi32EPKdPKS1_PKPdEvbiT_T4_T5_S7_lS9_S7_lT6_S7_li.private_seg_size, 0
	.set _ZL26rocblas_syr2k_her2k_kernelIiLb0ELb0ELb0ELi32EPKdPKS1_PKPdEvbiT_T4_T5_S7_lS9_S7_lT6_S7_li.uses_vcc, 1
	.set _ZL26rocblas_syr2k_her2k_kernelIiLb0ELb0ELb0ELi32EPKdPKS1_PKPdEvbiT_T4_T5_S7_lS9_S7_lT6_S7_li.uses_flat_scratch, 0
	.set _ZL26rocblas_syr2k_her2k_kernelIiLb0ELb0ELb0ELi32EPKdPKS1_PKPdEvbiT_T4_T5_S7_lS9_S7_lT6_S7_li.has_dyn_sized_stack, 0
	.set _ZL26rocblas_syr2k_her2k_kernelIiLb0ELb0ELb0ELi32EPKdPKS1_PKPdEvbiT_T4_T5_S7_lS9_S7_lT6_S7_li.has_recursion, 0
	.set _ZL26rocblas_syr2k_her2k_kernelIiLb0ELb0ELb0ELi32EPKdPKS1_PKPdEvbiT_T4_T5_S7_lS9_S7_lT6_S7_li.has_indirect_call, 0
	.section	.AMDGPU.csdata,"",@progbits
; Kernel info:
; codeLenInByte = 1288
; TotalNumSgprs: 29
; NumVgprs: 27
; ScratchSize: 0
; MemoryBound: 0
; FloatMode: 240
; IeeeMode: 1
; LDSByteSize: 16384 bytes/workgroup (compile time only)
; SGPRBlocks: 8
; VGPRBlocks: 7
; NumSGPRsForWavesPerEU: 65
; NumVGPRsForWavesPerEU: 29
; Occupancy: 8
; WaveLimiterHint : 1
; COMPUTE_PGM_RSRC2:SCRATCH_EN: 0
; COMPUTE_PGM_RSRC2:USER_SGPR: 6
; COMPUTE_PGM_RSRC2:TRAP_HANDLER: 0
; COMPUTE_PGM_RSRC2:TGID_X_EN: 1
; COMPUTE_PGM_RSRC2:TGID_Y_EN: 1
; COMPUTE_PGM_RSRC2:TGID_Z_EN: 1
; COMPUTE_PGM_RSRC2:TIDIG_COMP_CNT: 1
	.section	.text._ZL26rocblas_syr2k_her2k_kernelIiLb0ELb0ELb1ELi32EPKdPKS1_PKPdEvbiT_T4_T5_S7_lS9_S7_lT6_S7_li,"axG",@progbits,_ZL26rocblas_syr2k_her2k_kernelIiLb0ELb0ELb1ELi32EPKdPKS1_PKPdEvbiT_T4_T5_S7_lS9_S7_lT6_S7_li,comdat
	.globl	_ZL26rocblas_syr2k_her2k_kernelIiLb0ELb0ELb1ELi32EPKdPKS1_PKPdEvbiT_T4_T5_S7_lS9_S7_lT6_S7_li ; -- Begin function _ZL26rocblas_syr2k_her2k_kernelIiLb0ELb0ELb1ELi32EPKdPKS1_PKPdEvbiT_T4_T5_S7_lS9_S7_lT6_S7_li
	.p2align	8
	.type	_ZL26rocblas_syr2k_her2k_kernelIiLb0ELb0ELb1ELi32EPKdPKS1_PKPdEvbiT_T4_T5_S7_lS9_S7_lT6_S7_li,@function
_ZL26rocblas_syr2k_her2k_kernelIiLb0ELb0ELb1ELi32EPKdPKS1_PKPdEvbiT_T4_T5_S7_lS9_S7_lT6_S7_li: ; @_ZL26rocblas_syr2k_her2k_kernelIiLb0ELb0ELb1ELi32EPKdPKS1_PKPdEvbiT_T4_T5_S7_lS9_S7_lT6_S7_li
; %bb.0:
	s_load_dwordx4 s[0:3], s[4:5], 0x10
	s_waitcnt lgkmcnt(0)
	s_load_dwordx2 s[10:11], s[0:1], 0x0
	s_waitcnt lgkmcnt(0)
	v_cmp_eq_f64_e64 s[0:1], s[10:11], 0
	s_and_b64 vcc, exec, s[0:1]
	s_cbranch_vccnz .LBB615_11
; %bb.1:
	s_load_dwordx4 s[12:15], s[4:5], 0x0
	s_lshl_b32 s0, s7, 5
	s_lshl_b32 s1, s6, 5
	s_waitcnt lgkmcnt(0)
	s_and_b32 s6, 1, s12
	s_cmp_eq_u32 s6, 1
	s_cselect_b64 vcc, -1, 0
	s_and_b64 s[6:7], vcc, exec
	s_cselect_b32 s6, s1, s0
	s_cselect_b32 s7, s0, s1
	s_cmp_gt_i32 s6, s7
	s_cbranch_scc1 .LBB615_11
; %bb.2:
	s_cmp_lt_i32 s14, 1
	s_cbranch_scc1 .LBB615_11
; %bb.3:
	s_mov_b32 s9, 0
	s_load_dword s12, s[4:5], 0x20
	s_load_dwordx4 s[16:19], s[4:5], 0x28
	s_load_dword s15, s[4:5], 0x38
	s_load_dwordx4 s[20:23], s[4:5], 0x40
	s_load_dword s24, s[4:5], 0x50
	s_load_dwordx2 s[6:7], s[4:5], 0x58
	s_lshl_b64 s[4:5], s[8:9], 3
	s_add_u32 s2, s2, s4
	s_addc_u32 s3, s3, s5
	s_load_dwordx2 s[2:3], s[2:3], 0x0
	v_add_u32_e32 v2, s1, v0
	s_waitcnt lgkmcnt(0)
	s_add_u32 s18, s18, s4
	v_add_u32_e32 v6, s0, v1
	v_mad_i64_i32 v[4:5], s[0:1], s12, v2, 0
	s_addc_u32 s19, s19, s5
	s_add_u32 s4, s22, s4
	s_addc_u32 s5, s23, s5
	s_lshl_b64 s[16:17], s[16:17], 3
	s_add_u32 s8, s2, s16
	v_lshlrev_b64 v[4:5], 3, v[4:5]
	s_load_dwordx2 s[18:19], s[18:19], 0x0
	s_addc_u32 s16, s3, s17
	v_mov_b32_e32 v10, s16
	v_add_co_u32_e64 v9, s[0:1], s8, v4
	s_load_dwordx2 s[4:5], s[4:5], 0x0
	v_addc_co_u32_e64 v10, s[0:1], v10, v5, s[0:1]
	v_mad_i64_i32 v[4:5], s[0:1], s15, v6, 0
	s_lshl_b64 s[2:3], s[20:21], 3
	s_waitcnt lgkmcnt(0)
	s_add_u32 s17, s18, s2
	s_addc_u32 s18, s19, s3
	s_lshl_b64 s[2:3], s[6:7], 3
	v_lshlrev_b64 v[4:5], 3, v[4:5]
	s_add_u32 s6, s4, s2
	s_addc_u32 s7, s5, s3
	v_mov_b32_e32 v14, s18
	v_add_co_u32_e64 v13, s[2:3], s17, v4
	v_addc_co_u32_e64 v14, s[2:3], v14, v5, s[2:3]
	v_mad_i64_i32 v[4:5], s[2:3], s24, v6, 0
	v_cndmask_b32_e32 v7, v2, v6, vcc
	v_cndmask_b32_e32 v8, v6, v2, vcc
	v_cmp_gt_i32_e32 vcc, s13, v2
	v_cmp_gt_i32_e64 s[0:1], s13, v6
	v_lshlrev_b64 v[4:5], 3, v[4:5]
	v_ashrrev_i32_e32 v3, 31, v2
	v_cmp_le_i32_e64 s[2:3], v8, v7
	s_and_b64 s[4:5], s[0:1], vcc
	s_and_b64 s[4:5], s[4:5], s[2:3]
	v_mov_b32_e32 v6, s7
	v_add_co_u32_e64 v4, s[2:3], s6, v4
	v_lshlrev_b64 v[2:3], 3, v[2:3]
	v_lshlrev_b32_e32 v11, 8, v0
	v_lshlrev_b32_e32 v15, 3, v1
	v_addc_co_u32_e64 v5, s[2:3], v6, v5, s[2:3]
	v_add_u32_e32 v12, v11, v15
	v_or_b32_e32 v15, 0x2000, v15
	v_add_co_u32_e64 v2, s[2:3], v4, v2
	v_add_u32_e32 v16, v15, v11
	v_addc_co_u32_e64 v3, s[2:3], v5, v3, s[2:3]
	v_add_u32_e32 v17, 0x800, v15
	v_add_u32_e32 v18, 0x1000, v15
	;; [unrolled: 1-line block ×3, first 2 shown]
	s_branch .LBB615_5
.LBB615_4:                              ;   in Loop: Header=BB615_5 Depth=1
	s_or_b64 exec, exec, s[2:3]
	s_add_i32 s9, s9, 32
	s_cmp_lt_i32 s9, s14
	s_waitcnt vmcnt(0) lgkmcnt(0)
	s_barrier
	s_cbranch_scc0 .LBB615_11
.LBB615_5:                              ; =>This Inner Loop Header: Depth=1
	v_add_u32_e32 v6, s9, v1
	v_cmp_gt_i32_e64 s[2:3], s14, v6
	v_mov_b32_e32 v4, 0
	v_mov_b32_e32 v7, 0
	;; [unrolled: 1-line block ×4, first 2 shown]
	s_and_b64 s[2:3], vcc, s[2:3]
	s_and_saveexec_b64 s[6:7], s[2:3]
	s_cbranch_execz .LBB615_7
; %bb.6:                                ;   in Loop: Header=BB615_5 Depth=1
	v_ashrrev_i32_e32 v7, 31, v6
	v_lshlrev_b64 v[6:7], 3, v[6:7]
	v_add_co_u32_e64 v6, s[2:3], v9, v6
	v_addc_co_u32_e64 v7, s[2:3], v10, v7, s[2:3]
	flat_load_dwordx2 v[7:8], v[6:7]
.LBB615_7:                              ;   in Loop: Header=BB615_5 Depth=1
	s_or_b64 exec, exec, s[6:7]
	v_add_u32_e32 v6, s9, v0
	v_cmp_gt_i32_e64 s[2:3], s14, v6
	s_and_b64 s[2:3], s[0:1], s[2:3]
	s_waitcnt vmcnt(0) lgkmcnt(0)
	ds_write_b64 v12, v[7:8]
	s_and_saveexec_b64 s[6:7], s[2:3]
	s_cbranch_execz .LBB615_9
; %bb.8:                                ;   in Loop: Header=BB615_5 Depth=1
	v_ashrrev_i32_e32 v7, 31, v6
	v_lshlrev_b64 v[4:5], 3, v[6:7]
	v_add_co_u32_e64 v4, s[2:3], v13, v4
	v_addc_co_u32_e64 v5, s[2:3], v14, v5, s[2:3]
	flat_load_dwordx2 v[4:5], v[4:5]
.LBB615_9:                              ;   in Loop: Header=BB615_5 Depth=1
	s_or_b64 exec, exec, s[6:7]
	s_waitcnt vmcnt(0) lgkmcnt(0)
	ds_write_b64 v16, v[4:5]
	s_waitcnt lgkmcnt(0)
	s_barrier
	s_and_saveexec_b64 s[2:3], s[4:5]
	s_cbranch_execz .LBB615_4
; %bb.10:                               ;   in Loop: Header=BB615_5 Depth=1
	ds_read2_b64 v[4:7], v15 offset1:32
	ds_read_b128 v[20:23], v11
	s_waitcnt lgkmcnt(0)
	v_fma_f64 v[4:5], v[20:21], v[4:5], 0
	v_fma_f64 v[24:25], v[22:23], v[6:7], v[4:5]
	ds_read_b128 v[4:7], v11 offset:16
	ds_read2_b64 v[20:23], v15 offset0:64 offset1:96
	s_waitcnt lgkmcnt(0)
	v_fma_f64 v[4:5], v[4:5], v[20:21], v[24:25]
	v_fma_f64 v[24:25], v[6:7], v[22:23], v[4:5]
	ds_read2_b64 v[4:7], v15 offset0:128 offset1:160
	ds_read_b128 v[20:23], v11 offset:32
	s_waitcnt lgkmcnt(0)
	v_fma_f64 v[4:5], v[20:21], v[4:5], v[24:25]
	v_fma_f64 v[24:25], v[22:23], v[6:7], v[4:5]
	ds_read_b128 v[4:7], v11 offset:48
	ds_read2_b64 v[20:23], v15 offset0:192 offset1:224
	s_waitcnt lgkmcnt(0)
	v_fma_f64 v[4:5], v[4:5], v[20:21], v[24:25]
	v_fma_f64 v[24:25], v[6:7], v[22:23], v[4:5]
	ds_read2_b64 v[4:7], v17 offset1:32
	ds_read_b128 v[20:23], v11 offset:64
	s_waitcnt lgkmcnt(0)
	v_fma_f64 v[4:5], v[20:21], v[4:5], v[24:25]
	v_fma_f64 v[24:25], v[22:23], v[6:7], v[4:5]
	ds_read_b128 v[4:7], v11 offset:80
	ds_read2_b64 v[20:23], v17 offset0:64 offset1:96
	s_waitcnt lgkmcnt(0)
	v_fma_f64 v[4:5], v[4:5], v[20:21], v[24:25]
	v_fma_f64 v[24:25], v[6:7], v[22:23], v[4:5]
	ds_read2_b64 v[4:7], v17 offset0:128 offset1:160
	ds_read_b128 v[20:23], v11 offset:96
	s_waitcnt lgkmcnt(0)
	v_fma_f64 v[4:5], v[20:21], v[4:5], v[24:25]
	v_fma_f64 v[24:25], v[22:23], v[6:7], v[4:5]
	ds_read_b128 v[4:7], v11 offset:112
	ds_read2_b64 v[20:23], v17 offset0:192 offset1:224
	s_waitcnt lgkmcnt(0)
	v_fma_f64 v[4:5], v[4:5], v[20:21], v[24:25]
	v_fma_f64 v[24:25], v[6:7], v[22:23], v[4:5]
	ds_read2_b64 v[4:7], v18 offset1:32
	ds_read_b128 v[20:23], v11 offset:128
	s_waitcnt lgkmcnt(0)
	v_fma_f64 v[4:5], v[20:21], v[4:5], v[24:25]
	v_fma_f64 v[24:25], v[22:23], v[6:7], v[4:5]
	ds_read_b128 v[4:7], v11 offset:144
	ds_read2_b64 v[20:23], v18 offset0:64 offset1:96
	s_waitcnt lgkmcnt(0)
	v_fma_f64 v[4:5], v[4:5], v[20:21], v[24:25]
	v_fma_f64 v[24:25], v[6:7], v[22:23], v[4:5]
	ds_read2_b64 v[4:7], v18 offset0:128 offset1:160
	ds_read_b128 v[20:23], v11 offset:160
	s_waitcnt lgkmcnt(0)
	v_fma_f64 v[4:5], v[20:21], v[4:5], v[24:25]
	v_fma_f64 v[24:25], v[22:23], v[6:7], v[4:5]
	ds_read_b128 v[4:7], v11 offset:176
	ds_read2_b64 v[20:23], v18 offset0:192 offset1:224
	s_waitcnt lgkmcnt(0)
	v_fma_f64 v[4:5], v[4:5], v[20:21], v[24:25]
	flat_load_dwordx2 v[24:25], v[2:3]
	v_fma_f64 v[26:27], v[6:7], v[22:23], v[4:5]
	ds_read2_b64 v[4:7], v19 offset1:32
	ds_read_b128 v[20:23], v11 offset:192
	s_waitcnt lgkmcnt(0)
	v_fma_f64 v[4:5], v[20:21], v[4:5], v[26:27]
	v_fma_f64 v[26:27], v[22:23], v[6:7], v[4:5]
	ds_read_b128 v[4:7], v11 offset:208
	ds_read2_b64 v[20:23], v19 offset0:64 offset1:96
	s_waitcnt lgkmcnt(0)
	v_fma_f64 v[4:5], v[4:5], v[20:21], v[26:27]
	v_fma_f64 v[26:27], v[6:7], v[22:23], v[4:5]
	ds_read2_b64 v[4:7], v19 offset0:128 offset1:160
	ds_read_b128 v[20:23], v11 offset:224
	s_waitcnt lgkmcnt(0)
	v_fma_f64 v[4:5], v[20:21], v[4:5], v[26:27]
	v_fma_f64 v[26:27], v[22:23], v[6:7], v[4:5]
	ds_read_b128 v[4:7], v11 offset:240
	ds_read2_b64 v[20:23], v19 offset0:192 offset1:224
	s_waitcnt lgkmcnt(0)
	v_fma_f64 v[4:5], v[4:5], v[20:21], v[26:27]
	v_fma_f64 v[4:5], v[6:7], v[22:23], v[4:5]
	s_waitcnt vmcnt(0)
	v_fma_f64 v[4:5], s[10:11], v[4:5], v[24:25]
	flat_store_dwordx2 v[2:3], v[4:5]
	s_branch .LBB615_4
.LBB615_11:
	s_endpgm
	.section	.rodata,"a",@progbits
	.p2align	6, 0x0
	.amdhsa_kernel _ZL26rocblas_syr2k_her2k_kernelIiLb0ELb0ELb1ELi32EPKdPKS1_PKPdEvbiT_T4_T5_S7_lS9_S7_lT6_S7_li
		.amdhsa_group_segment_fixed_size 16384
		.amdhsa_private_segment_fixed_size 0
		.amdhsa_kernarg_size 100
		.amdhsa_user_sgpr_count 6
		.amdhsa_user_sgpr_private_segment_buffer 1
		.amdhsa_user_sgpr_dispatch_ptr 0
		.amdhsa_user_sgpr_queue_ptr 0
		.amdhsa_user_sgpr_kernarg_segment_ptr 1
		.amdhsa_user_sgpr_dispatch_id 0
		.amdhsa_user_sgpr_flat_scratch_init 0
		.amdhsa_user_sgpr_private_segment_size 0
		.amdhsa_uses_dynamic_stack 0
		.amdhsa_system_sgpr_private_segment_wavefront_offset 0
		.amdhsa_system_sgpr_workgroup_id_x 1
		.amdhsa_system_sgpr_workgroup_id_y 1
		.amdhsa_system_sgpr_workgroup_id_z 1
		.amdhsa_system_sgpr_workgroup_info 0
		.amdhsa_system_vgpr_workitem_id 1
		.amdhsa_next_free_vgpr 29
		.amdhsa_next_free_sgpr 61
		.amdhsa_reserve_vcc 1
		.amdhsa_reserve_flat_scratch 0
		.amdhsa_float_round_mode_32 0
		.amdhsa_float_round_mode_16_64 0
		.amdhsa_float_denorm_mode_32 3
		.amdhsa_float_denorm_mode_16_64 3
		.amdhsa_dx10_clamp 1
		.amdhsa_ieee_mode 1
		.amdhsa_fp16_overflow 0
		.amdhsa_exception_fp_ieee_invalid_op 0
		.amdhsa_exception_fp_denorm_src 0
		.amdhsa_exception_fp_ieee_div_zero 0
		.amdhsa_exception_fp_ieee_overflow 0
		.amdhsa_exception_fp_ieee_underflow 0
		.amdhsa_exception_fp_ieee_inexact 0
		.amdhsa_exception_int_div_zero 0
	.end_amdhsa_kernel
	.section	.text._ZL26rocblas_syr2k_her2k_kernelIiLb0ELb0ELb1ELi32EPKdPKS1_PKPdEvbiT_T4_T5_S7_lS9_S7_lT6_S7_li,"axG",@progbits,_ZL26rocblas_syr2k_her2k_kernelIiLb0ELb0ELb1ELi32EPKdPKS1_PKPdEvbiT_T4_T5_S7_lS9_S7_lT6_S7_li,comdat
.Lfunc_end615:
	.size	_ZL26rocblas_syr2k_her2k_kernelIiLb0ELb0ELb1ELi32EPKdPKS1_PKPdEvbiT_T4_T5_S7_lS9_S7_lT6_S7_li, .Lfunc_end615-_ZL26rocblas_syr2k_her2k_kernelIiLb0ELb0ELb1ELi32EPKdPKS1_PKPdEvbiT_T4_T5_S7_lS9_S7_lT6_S7_li
                                        ; -- End function
	.set _ZL26rocblas_syr2k_her2k_kernelIiLb0ELb0ELb1ELi32EPKdPKS1_PKPdEvbiT_T4_T5_S7_lS9_S7_lT6_S7_li.num_vgpr, 28
	.set _ZL26rocblas_syr2k_her2k_kernelIiLb0ELb0ELb1ELi32EPKdPKS1_PKPdEvbiT_T4_T5_S7_lS9_S7_lT6_S7_li.num_agpr, 0
	.set _ZL26rocblas_syr2k_her2k_kernelIiLb0ELb0ELb1ELi32EPKdPKS1_PKPdEvbiT_T4_T5_S7_lS9_S7_lT6_S7_li.numbered_sgpr, 25
	.set _ZL26rocblas_syr2k_her2k_kernelIiLb0ELb0ELb1ELi32EPKdPKS1_PKPdEvbiT_T4_T5_S7_lS9_S7_lT6_S7_li.num_named_barrier, 0
	.set _ZL26rocblas_syr2k_her2k_kernelIiLb0ELb0ELb1ELi32EPKdPKS1_PKPdEvbiT_T4_T5_S7_lS9_S7_lT6_S7_li.private_seg_size, 0
	.set _ZL26rocblas_syr2k_her2k_kernelIiLb0ELb0ELb1ELi32EPKdPKS1_PKPdEvbiT_T4_T5_S7_lS9_S7_lT6_S7_li.uses_vcc, 1
	.set _ZL26rocblas_syr2k_her2k_kernelIiLb0ELb0ELb1ELi32EPKdPKS1_PKPdEvbiT_T4_T5_S7_lS9_S7_lT6_S7_li.uses_flat_scratch, 0
	.set _ZL26rocblas_syr2k_her2k_kernelIiLb0ELb0ELb1ELi32EPKdPKS1_PKPdEvbiT_T4_T5_S7_lS9_S7_lT6_S7_li.has_dyn_sized_stack, 0
	.set _ZL26rocblas_syr2k_her2k_kernelIiLb0ELb0ELb1ELi32EPKdPKS1_PKPdEvbiT_T4_T5_S7_lS9_S7_lT6_S7_li.has_recursion, 0
	.set _ZL26rocblas_syr2k_her2k_kernelIiLb0ELb0ELb1ELi32EPKdPKS1_PKPdEvbiT_T4_T5_S7_lS9_S7_lT6_S7_li.has_indirect_call, 0
	.section	.AMDGPU.csdata,"",@progbits
; Kernel info:
; codeLenInByte = 1300
; TotalNumSgprs: 29
; NumVgprs: 28
; ScratchSize: 0
; MemoryBound: 0
; FloatMode: 240
; IeeeMode: 1
; LDSByteSize: 16384 bytes/workgroup (compile time only)
; SGPRBlocks: 8
; VGPRBlocks: 7
; NumSGPRsForWavesPerEU: 65
; NumVGPRsForWavesPerEU: 29
; Occupancy: 8
; WaveLimiterHint : 1
; COMPUTE_PGM_RSRC2:SCRATCH_EN: 0
; COMPUTE_PGM_RSRC2:USER_SGPR: 6
; COMPUTE_PGM_RSRC2:TRAP_HANDLER: 0
; COMPUTE_PGM_RSRC2:TGID_X_EN: 1
; COMPUTE_PGM_RSRC2:TGID_Y_EN: 1
; COMPUTE_PGM_RSRC2:TGID_Z_EN: 1
; COMPUTE_PGM_RSRC2:TIDIG_COMP_CNT: 1
	.section	.text._ZL26rocblas_syr2k_her2k_kernelIiLb0ELb0ELb0ELi32E19rocblas_complex_numIfEPKPKS1_PKPS1_EvbiT_T4_T5_S9_lSB_S9_lT6_S9_li,"axG",@progbits,_ZL26rocblas_syr2k_her2k_kernelIiLb0ELb0ELb0ELi32E19rocblas_complex_numIfEPKPKS1_PKPS1_EvbiT_T4_T5_S9_lSB_S9_lT6_S9_li,comdat
	.globl	_ZL26rocblas_syr2k_her2k_kernelIiLb0ELb0ELb0ELi32E19rocblas_complex_numIfEPKPKS1_PKPS1_EvbiT_T4_T5_S9_lSB_S9_lT6_S9_li ; -- Begin function _ZL26rocblas_syr2k_her2k_kernelIiLb0ELb0ELb0ELi32E19rocblas_complex_numIfEPKPKS1_PKPS1_EvbiT_T4_T5_S9_lSB_S9_lT6_S9_li
	.p2align	8
	.type	_ZL26rocblas_syr2k_her2k_kernelIiLb0ELb0ELb0ELi32E19rocblas_complex_numIfEPKPKS1_PKPS1_EvbiT_T4_T5_S9_lSB_S9_lT6_S9_li,@function
_ZL26rocblas_syr2k_her2k_kernelIiLb0ELb0ELb0ELi32E19rocblas_complex_numIfEPKPKS1_PKPS1_EvbiT_T4_T5_S9_lSB_S9_lT6_S9_li: ; @_ZL26rocblas_syr2k_her2k_kernelIiLb0ELb0ELb0ELi32E19rocblas_complex_numIfEPKPKS1_PKPS1_EvbiT_T4_T5_S9_lSB_S9_lT6_S9_li
; %bb.0:
	s_load_dwordx4 s[12:15], s[4:5], 0x0
	s_load_dword s10, s[4:5], 0x10
	s_waitcnt lgkmcnt(0)
	v_cmp_eq_f32_e64 s[0:1], s15, 0
	v_cmp_eq_f32_e64 s[2:3], s10, 0
	s_and_b64 s[0:1], s[0:1], s[2:3]
	s_and_b64 vcc, exec, s[0:1]
	s_cbranch_vccnz .LBB616_11
; %bb.1:
	s_and_b32 s2, 1, s12
	s_lshl_b32 s0, s7, 5
	s_lshl_b32 s1, s6, 5
	s_cmp_eq_u32 s2, 1
	s_cselect_b64 vcc, -1, 0
	s_and_b64 s[2:3], vcc, exec
	s_cselect_b32 s2, s1, s0
	s_cselect_b32 s3, s0, s1
	s_cmp_gt_i32 s2, s3
	s_cbranch_scc1 .LBB616_11
; %bb.2:
	s_cmp_lt_i32 s14, 1
	s_cbranch_scc1 .LBB616_11
; %bb.3:
	s_mov_b32 s9, 0
	s_load_dwordx2 s[2:3], s[4:5], 0x18
	s_load_dword s11, s[4:5], 0x20
	s_load_dwordx4 s[16:19], s[4:5], 0x28
	s_load_dword s12, s[4:5], 0x38
	s_load_dwordx4 s[20:23], s[4:5], 0x40
	s_load_dword s26, s[4:5], 0x50
	s_lshl_b64 s[6:7], s[8:9], 3
	s_waitcnt lgkmcnt(0)
	s_add_u32 s2, s2, s6
	s_addc_u32 s3, s3, s7
	s_load_dwordx2 s[2:3], s[2:3], 0x0
	s_add_u32 s18, s18, s6
	s_addc_u32 s19, s19, s7
	s_add_u32 s6, s22, s6
	s_load_dwordx2 s[18:19], s[18:19], 0x0
	s_addc_u32 s7, s23, s7
	v_add_u32_e32 v3, s1, v0
	s_load_dwordx2 s[22:23], s[6:7], 0x0
	s_load_dwordx2 s[24:25], s[4:5], 0x58
	s_lshl_b64 s[4:5], s[16:17], 3
	v_ashrrev_i32_e32 v4, 31, v3
	s_waitcnt lgkmcnt(0)
	s_add_u32 s4, s2, s4
	v_lshlrev_b64 v[4:5], 3, v[3:4]
	s_addc_u32 s5, s3, s5
	v_add_u32_e32 v2, s0, v1
	s_lshl_b64 s[2:3], s[20:21], 3
	v_cndmask_b32_e32 v8, v3, v2, vcc
	v_cndmask_b32_e32 v9, v2, v3, vcc
	v_cmp_gt_i32_e32 vcc, s13, v3
	v_mov_b32_e32 v3, s5
	v_add_co_u32_e64 v16, s[0:1], s4, v4
	s_add_u32 s6, s18, s2
	v_addc_co_u32_e64 v17, s[0:1], v3, v5, s[0:1]
	v_ashrrev_i32_e32 v3, 31, v2
	s_addc_u32 s7, s19, s3
	s_lshl_b64 s[2:3], s[24:25], 3
	v_lshlrev_b64 v[6:7], 3, v[2:3]
	s_add_u32 s8, s22, s2
	s_addc_u32 s16, s23, s3
	v_mov_b32_e32 v3, s7
	v_add_co_u32_e64 v20, s[2:3], s6, v6
	v_cmp_gt_i32_e64 s[0:1], s13, v2
	v_addc_co_u32_e64 v21, s[2:3], v3, v7, s[2:3]
	v_mad_i64_i32 v[2:3], s[2:3], s26, v2, 0
	v_cmp_le_i32_e64 s[2:3], v9, v8
	s_and_b64 s[4:5], s[0:1], vcc
	v_lshlrev_b64 v[2:3], 3, v[2:3]
	s_and_b64 s[4:5], s[4:5], s[2:3]
	v_mov_b32_e32 v6, s16
	v_add_co_u32_e64 v2, s[2:3], s8, v2
	v_lshlrev_b32_e32 v10, 3, v1
	v_addc_co_u32_e64 v3, s[2:3], v6, v3, s[2:3]
	v_lshlrev_b32_e32 v18, 8, v0
	v_or_b32_e32 v22, 0x2000, v10
	v_add_co_u32_e64 v14, s[2:3], v2, v4
	v_add_u32_e32 v19, v18, v10
	v_add_u32_e32 v23, v22, v18
	v_addc_co_u32_e64 v15, s[2:3], v3, v5, s[2:3]
	v_add_u32_e32 v24, 0x800, v22
	v_add_u32_e32 v25, 0x1000, v22
	;; [unrolled: 1-line block ×3, first 2 shown]
	s_branch .LBB616_5
.LBB616_4:                              ;   in Loop: Header=BB616_5 Depth=1
	s_or_b64 exec, exec, s[2:3]
	s_add_i32 s9, s9, 32
	s_cmp_lt_i32 s9, s14
	s_waitcnt vmcnt(0) lgkmcnt(0)
	s_barrier
	s_cbranch_scc0 .LBB616_11
.LBB616_5:                              ; =>This Inner Loop Header: Depth=1
	v_add_u32_e32 v5, s9, v1
	v_cmp_gt_i32_e64 s[2:3], s14, v5
	s_and_b64 s[2:3], vcc, s[2:3]
	v_mov_b32_e32 v2, 0
	v_mov_b32_e32 v3, 0
	;; [unrolled: 1-line block ×3, first 2 shown]
	s_and_saveexec_b64 s[6:7], s[2:3]
	s_cbranch_execz .LBB616_7
; %bb.6:                                ;   in Loop: Header=BB616_5 Depth=1
	v_mad_i64_i32 v[3:4], s[2:3], v5, s11, 0
	v_lshlrev_b64 v[3:4], 3, v[3:4]
	v_add_co_u32_e64 v3, s[2:3], v16, v3
	v_addc_co_u32_e64 v4, s[2:3], v17, v4, s[2:3]
	flat_load_dwordx2 v[3:4], v[3:4]
.LBB616_7:                              ;   in Loop: Header=BB616_5 Depth=1
	s_or_b64 exec, exec, s[6:7]
	s_waitcnt vmcnt(0) lgkmcnt(0)
	ds_write_b64 v19, v[3:4]
	v_add_u32_e32 v4, s9, v0
	v_cmp_gt_i32_e64 s[2:3], s14, v4
	s_and_b64 s[2:3], s[0:1], s[2:3]
	v_mov_b32_e32 v3, 0
	s_and_saveexec_b64 s[6:7], s[2:3]
	s_cbranch_execz .LBB616_9
; %bb.8:                                ;   in Loop: Header=BB616_5 Depth=1
	v_mad_i64_i32 v[2:3], s[2:3], v4, s12, 0
	v_lshlrev_b64 v[2:3], 3, v[2:3]
	v_add_co_u32_e64 v2, s[2:3], v20, v2
	v_addc_co_u32_e64 v3, s[2:3], v21, v3, s[2:3]
	flat_load_dwordx2 v[2:3], v[2:3]
.LBB616_9:                              ;   in Loop: Header=BB616_5 Depth=1
	s_or_b64 exec, exec, s[6:7]
	s_waitcnt vmcnt(0) lgkmcnt(0)
	ds_write_b64 v23, v[2:3]
	s_waitcnt lgkmcnt(0)
	s_barrier
	s_and_saveexec_b64 s[2:3], s[4:5]
	s_cbranch_execz .LBB616_4
; %bb.10:                               ;   in Loop: Header=BB616_5 Depth=1
	ds_read2_b64 v[2:5], v22 offset1:32
	ds_read_b128 v[6:9], v18
	ds_read_b128 v[10:13], v18 offset:16
	s_waitcnt lgkmcnt(1)
	v_mul_f32_e32 v27, v3, v7
	v_fma_f32 v32, v2, v6, -v27
	ds_read2_b64 v[27:30], v22 offset0:64 offset1:96
	v_mul_f32_e32 v31, v2, v7
	v_mul_f32_e32 v2, v5, v9
	v_fma_f32 v33, v4, v8, -v2
	v_fmac_f32_e32 v31, v3, v6
	s_waitcnt lgkmcnt(0)
	v_mul_f32_e32 v2, v28, v11
	v_mul_f32_e32 v34, v4, v9
	v_fma_f32 v35, v27, v10, -v2
	v_mul_f32_e32 v27, v27, v11
	v_mul_f32_e32 v2, v30, v13
	v_fmac_f32_e32 v34, v5, v8
	v_fmac_f32_e32 v27, v28, v10
	v_fma_f32 v28, v29, v12, -v2
	v_mul_f32_e32 v29, v29, v13
	v_add_f32_e32 v10, 0, v32
	v_add_f32_e32 v11, 0, v31
	v_fmac_f32_e32 v29, v30, v12
	ds_read_b128 v[2:5], v18 offset:32
	ds_read_b128 v[6:9], v18 offset:48
	v_add_f32_e32 v30, v10, v33
	v_add_f32_e32 v31, v11, v34
	ds_read2_b64 v[10:13], v22 offset0:128 offset1:160
	v_add_f32_e32 v27, v31, v27
	v_add_f32_e32 v30, v30, v35
	;; [unrolled: 1-line block ×4, first 2 shown]
	s_waitcnt lgkmcnt(0)
	v_mul_f32_e32 v29, v11, v3
	v_mul_f32_e32 v3, v10, v3
	v_fma_f32 v29, v10, v2, -v29
	v_fmac_f32_e32 v3, v11, v2
	v_add_f32_e32 v2, v28, v29
	v_add_f32_e32 v3, v27, v3
	ds_read2_b64 v[27:30], v22 offset0:192 offset1:224
	v_mul_f32_e32 v10, v13, v5
	v_mul_f32_e32 v5, v12, v5
	v_fma_f32 v10, v12, v4, -v10
	v_fmac_f32_e32 v5, v13, v4
	s_waitcnt lgkmcnt(0)
	v_mul_f32_e32 v4, v28, v7
	v_add_f32_e32 v2, v2, v10
	v_add_f32_e32 v3, v3, v5
	v_fma_f32 v4, v27, v6, -v4
	v_mul_f32_e32 v5, v27, v7
	v_fmac_f32_e32 v5, v28, v6
	v_add_f32_e32 v6, v2, v4
	v_mul_f32_e32 v2, v30, v9
	v_add_f32_e32 v7, v3, v5
	v_fma_f32 v13, v29, v8, -v2
	v_mul_f32_e32 v27, v29, v9
	ds_read_b128 v[2:5], v18 offset:64
	ds_read2_b64 v[9:12], v24 offset1:32
	v_fmac_f32_e32 v27, v30, v8
	v_add_f32_e32 v6, v6, v13
	v_add_f32_e32 v7, v7, v27
	ds_read_b128 v[27:30], v18 offset:80
	s_waitcnt lgkmcnt(1)
	v_mul_f32_e32 v8, v10, v3
	v_fma_f32 v8, v9, v2, -v8
	v_mul_f32_e32 v3, v9, v3
	v_fmac_f32_e32 v3, v10, v2
	v_add_f32_e32 v2, v6, v8
	v_mul_f32_e32 v6, v12, v5
	v_add_f32_e32 v3, v7, v3
	v_fma_f32 v10, v11, v4, -v6
	ds_read2_b64 v[6:9], v24 offset0:64 offset1:96
	v_mul_f32_e32 v5, v11, v5
	v_fmac_f32_e32 v5, v12, v4
	v_add_f32_e32 v2, v2, v10
	v_add_f32_e32 v3, v3, v5
	s_waitcnt lgkmcnt(0)
	v_mul_f32_e32 v4, v7, v28
	v_fma_f32 v4, v6, v27, -v4
	v_mul_f32_e32 v5, v6, v28
	v_fmac_f32_e32 v5, v7, v27
	v_add_f32_e32 v6, v2, v4
	v_mul_f32_e32 v2, v9, v30
	v_add_f32_e32 v7, v3, v5
	v_fma_f32 v27, v8, v29, -v2
	ds_read_b128 v[2:5], v18 offset:96
	ds_read2_b64 v[10:13], v24 offset0:128 offset1:160
	v_mul_f32_e32 v8, v8, v30
	v_fmac_f32_e32 v8, v9, v29
	v_add_f32_e32 v27, v6, v27
	v_add_f32_e32 v28, v7, v8
	s_waitcnt lgkmcnt(0)
	v_mul_f32_e32 v29, v11, v3
	v_mul_f32_e32 v3, v10, v3
	v_fma_f32 v29, v10, v2, -v29
	v_fmac_f32_e32 v3, v11, v2
	ds_read_b128 v[6:9], v18 offset:112
	v_add_f32_e32 v2, v27, v29
	v_add_f32_e32 v3, v28, v3
	ds_read2_b64 v[27:30], v24 offset0:192 offset1:224
	v_mul_f32_e32 v10, v13, v5
	v_mul_f32_e32 v5, v12, v5
	v_fma_f32 v10, v12, v4, -v10
	v_fmac_f32_e32 v5, v13, v4
	s_waitcnt lgkmcnt(0)
	v_mul_f32_e32 v4, v28, v7
	v_add_f32_e32 v2, v2, v10
	v_add_f32_e32 v3, v3, v5
	v_fma_f32 v4, v27, v6, -v4
	v_mul_f32_e32 v5, v27, v7
	v_fmac_f32_e32 v5, v28, v6
	v_add_f32_e32 v6, v2, v4
	v_mul_f32_e32 v2, v30, v9
	v_add_f32_e32 v7, v3, v5
	v_fma_f32 v13, v29, v8, -v2
	v_mul_f32_e32 v27, v29, v9
	ds_read_b128 v[2:5], v18 offset:128
	ds_read2_b64 v[9:12], v25 offset1:32
	v_fmac_f32_e32 v27, v30, v8
	v_add_f32_e32 v6, v6, v13
	v_add_f32_e32 v7, v7, v27
	ds_read_b128 v[27:30], v18 offset:144
	s_waitcnt lgkmcnt(1)
	v_mul_f32_e32 v8, v10, v3
	v_fma_f32 v8, v9, v2, -v8
	v_mul_f32_e32 v3, v9, v3
	ds_read2_b64 v[31:34], v25 offset0:64 offset1:96
	v_fmac_f32_e32 v3, v10, v2
	v_add_f32_e32 v2, v6, v8
	v_mul_f32_e32 v6, v12, v5
	v_fma_f32 v6, v11, v4, -v6
	v_mul_f32_e32 v5, v11, v5
	v_add_f32_e32 v3, v7, v3
	v_fmac_f32_e32 v5, v12, v4
	v_add_f32_e32 v2, v2, v6
	ds_read_b128 v[6:9], v18 offset:160
	ds_read2_b64 v[10:13], v25 offset0:128 offset1:160
	v_add_f32_e32 v3, v3, v5
	s_waitcnt lgkmcnt(2)
	v_mul_f32_e32 v4, v32, v28
	v_mul_f32_e32 v5, v31, v28
	v_fma_f32 v4, v31, v27, -v4
	v_fmac_f32_e32 v5, v32, v27
	v_add_f32_e32 v2, v2, v4
	v_add_f32_e32 v3, v3, v5
	v_mul_f32_e32 v4, v34, v30
	v_mul_f32_e32 v5, v33, v30
	v_fma_f32 v4, v33, v29, -v4
	v_fmac_f32_e32 v5, v34, v29
	s_waitcnt lgkmcnt(0)
	v_mul_f32_e32 v29, v11, v7
	v_mul_f32_e32 v30, v10, v7
	v_fma_f32 v29, v10, v6, -v29
	v_fmac_f32_e32 v30, v11, v6
	v_mul_f32_e32 v6, v13, v9
	v_fma_f32 v31, v12, v8, -v6
	flat_load_dwordx2 v[6:7], v[14:15]
	v_mul_f32_e32 v12, v12, v9
	v_add_f32_e32 v27, v2, v4
	v_add_f32_e32 v28, v3, v5
	ds_read_b128 v[2:5], v18 offset:176
	v_fmac_f32_e32 v12, v13, v8
	ds_read2_b64 v[8:11], v25 offset0:192 offset1:224
	v_add_f32_e32 v13, v27, v29
	v_add_f32_e32 v27, v28, v30
	;; [unrolled: 1-line block ×4, first 2 shown]
	s_waitcnt lgkmcnt(0)
	v_mul_f32_e32 v27, v9, v3
	v_mul_f32_e32 v28, v8, v3
	v_fma_f32 v27, v8, v2, -v27
	v_fmac_f32_e32 v28, v9, v2
	v_mul_f32_e32 v2, v11, v5
	v_mul_f32_e32 v29, v10, v5
	v_add_f32_e32 v13, v13, v27
	v_fma_f32 v27, v10, v4, -v2
	v_fmac_f32_e32 v29, v11, v4
	ds_read_b128 v[2:5], v18 offset:192
	ds_read2_b64 v[8:11], v26 offset1:32
	v_add_f32_e32 v12, v12, v28
	v_add_f32_e32 v13, v13, v27
	;; [unrolled: 1-line block ×3, first 2 shown]
	ds_read_b128 v[27:30], v18 offset:208
	s_waitcnt lgkmcnt(0)
	v_mul_f32_e32 v31, v9, v3
	v_fma_f32 v31, v8, v2, -v31
	v_mul_f32_e32 v8, v8, v3
	v_fmac_f32_e32 v8, v9, v2
	v_mul_f32_e32 v2, v11, v5
	v_fma_f32 v9, v10, v4, -v2
	v_mul_f32_e32 v10, v10, v5
	v_fmac_f32_e32 v10, v11, v4
	ds_read2_b64 v[2:5], v26 offset0:64 offset1:96
	v_add_f32_e32 v8, v12, v8
	v_add_f32_e32 v11, v13, v31
	;; [unrolled: 1-line block ×4, first 2 shown]
	s_waitcnt lgkmcnt(0)
	v_mul_f32_e32 v8, v3, v28
	v_fma_f32 v8, v2, v27, -v8
	v_mul_f32_e32 v13, v2, v28
	v_mul_f32_e32 v2, v5, v30
	;; [unrolled: 1-line block ×3, first 2 shown]
	v_fmac_f32_e32 v13, v3, v27
	v_add_f32_e32 v27, v9, v8
	v_fma_f32 v28, v4, v29, -v2
	v_fmac_f32_e32 v30, v5, v29
	ds_read_b128 v[2:5], v18 offset:224
	ds_read2_b64 v[8:11], v26 offset0:128 offset1:160
	v_add_f32_e32 v12, v12, v13
	v_add_f32_e32 v13, v27, v28
	;; [unrolled: 1-line block ×3, first 2 shown]
	ds_read_b128 v[27:30], v18 offset:240
	s_waitcnt lgkmcnt(0)
	v_mul_f32_e32 v31, v9, v3
	v_fma_f32 v31, v8, v2, -v31
	v_mul_f32_e32 v8, v8, v3
	v_fmac_f32_e32 v8, v9, v2
	v_mul_f32_e32 v2, v11, v5
	v_fma_f32 v9, v10, v4, -v2
	v_mul_f32_e32 v10, v10, v5
	v_fmac_f32_e32 v10, v11, v4
	ds_read2_b64 v[2:5], v26 offset0:192 offset1:224
	v_add_f32_e32 v8, v12, v8
	v_add_f32_e32 v8, v8, v10
	;; [unrolled: 1-line block ×4, first 2 shown]
	s_waitcnt lgkmcnt(0)
	v_mul_f32_e32 v10, v3, v28
	v_fma_f32 v10, v2, v27, -v10
	v_mul_f32_e32 v2, v2, v28
	v_fmac_f32_e32 v2, v3, v27
	v_add_f32_e32 v2, v8, v2
	v_mul_f32_e32 v8, v5, v30
	v_fma_f32 v8, v4, v29, -v8
	v_mul_f32_e32 v4, v4, v30
	v_fmac_f32_e32 v4, v5, v29
	v_add_f32_e32 v3, v9, v10
	v_add_f32_e32 v2, v2, v4
	;; [unrolled: 1-line block ×3, first 2 shown]
	v_mul_f32_e32 v4, s10, v2
	v_fma_f32 v4, s15, v3, -v4
	v_mul_f32_e32 v3, s10, v3
	v_fmac_f32_e32 v3, s15, v2
	s_waitcnt vmcnt(0)
	v_add_f32_e32 v2, v6, v4
	v_add_f32_e32 v3, v7, v3
	flat_store_dwordx2 v[14:15], v[2:3]
	s_branch .LBB616_4
.LBB616_11:
	s_endpgm
	.section	.rodata,"a",@progbits
	.p2align	6, 0x0
	.amdhsa_kernel _ZL26rocblas_syr2k_her2k_kernelIiLb0ELb0ELb0ELi32E19rocblas_complex_numIfEPKPKS1_PKPS1_EvbiT_T4_T5_S9_lSB_S9_lT6_S9_li
		.amdhsa_group_segment_fixed_size 16384
		.amdhsa_private_segment_fixed_size 0
		.amdhsa_kernarg_size 100
		.amdhsa_user_sgpr_count 6
		.amdhsa_user_sgpr_private_segment_buffer 1
		.amdhsa_user_sgpr_dispatch_ptr 0
		.amdhsa_user_sgpr_queue_ptr 0
		.amdhsa_user_sgpr_kernarg_segment_ptr 1
		.amdhsa_user_sgpr_dispatch_id 0
		.amdhsa_user_sgpr_flat_scratch_init 0
		.amdhsa_user_sgpr_private_segment_size 0
		.amdhsa_uses_dynamic_stack 0
		.amdhsa_system_sgpr_private_segment_wavefront_offset 0
		.amdhsa_system_sgpr_workgroup_id_x 1
		.amdhsa_system_sgpr_workgroup_id_y 1
		.amdhsa_system_sgpr_workgroup_id_z 1
		.amdhsa_system_sgpr_workgroup_info 0
		.amdhsa_system_vgpr_workitem_id 1
		.amdhsa_next_free_vgpr 36
		.amdhsa_next_free_sgpr 61
		.amdhsa_reserve_vcc 1
		.amdhsa_reserve_flat_scratch 0
		.amdhsa_float_round_mode_32 0
		.amdhsa_float_round_mode_16_64 0
		.amdhsa_float_denorm_mode_32 3
		.amdhsa_float_denorm_mode_16_64 3
		.amdhsa_dx10_clamp 1
		.amdhsa_ieee_mode 1
		.amdhsa_fp16_overflow 0
		.amdhsa_exception_fp_ieee_invalid_op 0
		.amdhsa_exception_fp_denorm_src 0
		.amdhsa_exception_fp_ieee_div_zero 0
		.amdhsa_exception_fp_ieee_overflow 0
		.amdhsa_exception_fp_ieee_underflow 0
		.amdhsa_exception_fp_ieee_inexact 0
		.amdhsa_exception_int_div_zero 0
	.end_amdhsa_kernel
	.section	.text._ZL26rocblas_syr2k_her2k_kernelIiLb0ELb0ELb0ELi32E19rocblas_complex_numIfEPKPKS1_PKPS1_EvbiT_T4_T5_S9_lSB_S9_lT6_S9_li,"axG",@progbits,_ZL26rocblas_syr2k_her2k_kernelIiLb0ELb0ELb0ELi32E19rocblas_complex_numIfEPKPKS1_PKPS1_EvbiT_T4_T5_S9_lSB_S9_lT6_S9_li,comdat
.Lfunc_end616:
	.size	_ZL26rocblas_syr2k_her2k_kernelIiLb0ELb0ELb0ELi32E19rocblas_complex_numIfEPKPKS1_PKPS1_EvbiT_T4_T5_S9_lSB_S9_lT6_S9_li, .Lfunc_end616-_ZL26rocblas_syr2k_her2k_kernelIiLb0ELb0ELb0ELi32E19rocblas_complex_numIfEPKPKS1_PKPS1_EvbiT_T4_T5_S9_lSB_S9_lT6_S9_li
                                        ; -- End function
	.set _ZL26rocblas_syr2k_her2k_kernelIiLb0ELb0ELb0ELi32E19rocblas_complex_numIfEPKPKS1_PKPS1_EvbiT_T4_T5_S9_lSB_S9_lT6_S9_li.num_vgpr, 36
	.set _ZL26rocblas_syr2k_her2k_kernelIiLb0ELb0ELb0ELi32E19rocblas_complex_numIfEPKPKS1_PKPS1_EvbiT_T4_T5_S9_lSB_S9_lT6_S9_li.num_agpr, 0
	.set _ZL26rocblas_syr2k_her2k_kernelIiLb0ELb0ELb0ELi32E19rocblas_complex_numIfEPKPKS1_PKPS1_EvbiT_T4_T5_S9_lSB_S9_lT6_S9_li.numbered_sgpr, 27
	.set _ZL26rocblas_syr2k_her2k_kernelIiLb0ELb0ELb0ELi32E19rocblas_complex_numIfEPKPKS1_PKPS1_EvbiT_T4_T5_S9_lSB_S9_lT6_S9_li.num_named_barrier, 0
	.set _ZL26rocblas_syr2k_her2k_kernelIiLb0ELb0ELb0ELi32E19rocblas_complex_numIfEPKPKS1_PKPS1_EvbiT_T4_T5_S9_lSB_S9_lT6_S9_li.private_seg_size, 0
	.set _ZL26rocblas_syr2k_her2k_kernelIiLb0ELb0ELb0ELi32E19rocblas_complex_numIfEPKPKS1_PKPS1_EvbiT_T4_T5_S9_lSB_S9_lT6_S9_li.uses_vcc, 1
	.set _ZL26rocblas_syr2k_her2k_kernelIiLb0ELb0ELb0ELi32E19rocblas_complex_numIfEPKPKS1_PKPS1_EvbiT_T4_T5_S9_lSB_S9_lT6_S9_li.uses_flat_scratch, 0
	.set _ZL26rocblas_syr2k_her2k_kernelIiLb0ELb0ELb0ELi32E19rocblas_complex_numIfEPKPKS1_PKPS1_EvbiT_T4_T5_S9_lSB_S9_lT6_S9_li.has_dyn_sized_stack, 0
	.set _ZL26rocblas_syr2k_her2k_kernelIiLb0ELb0ELb0ELi32E19rocblas_complex_numIfEPKPKS1_PKPS1_EvbiT_T4_T5_S9_lSB_S9_lT6_S9_li.has_recursion, 0
	.set _ZL26rocblas_syr2k_her2k_kernelIiLb0ELb0ELb0ELi32E19rocblas_complex_numIfEPKPKS1_PKPS1_EvbiT_T4_T5_S9_lSB_S9_lT6_S9_li.has_indirect_call, 0
	.section	.AMDGPU.csdata,"",@progbits
; Kernel info:
; codeLenInByte = 1952
; TotalNumSgprs: 31
; NumVgprs: 36
; ScratchSize: 0
; MemoryBound: 0
; FloatMode: 240
; IeeeMode: 1
; LDSByteSize: 16384 bytes/workgroup (compile time only)
; SGPRBlocks: 8
; VGPRBlocks: 8
; NumSGPRsForWavesPerEU: 65
; NumVGPRsForWavesPerEU: 36
; Occupancy: 7
; WaveLimiterHint : 1
; COMPUTE_PGM_RSRC2:SCRATCH_EN: 0
; COMPUTE_PGM_RSRC2:USER_SGPR: 6
; COMPUTE_PGM_RSRC2:TRAP_HANDLER: 0
; COMPUTE_PGM_RSRC2:TGID_X_EN: 1
; COMPUTE_PGM_RSRC2:TGID_Y_EN: 1
; COMPUTE_PGM_RSRC2:TGID_Z_EN: 1
; COMPUTE_PGM_RSRC2:TIDIG_COMP_CNT: 1
	.section	.text._ZL26rocblas_syr2k_her2k_kernelIiLb0ELb0ELb1ELi32E19rocblas_complex_numIfEPKPKS1_PKPS1_EvbiT_T4_T5_S9_lSB_S9_lT6_S9_li,"axG",@progbits,_ZL26rocblas_syr2k_her2k_kernelIiLb0ELb0ELb1ELi32E19rocblas_complex_numIfEPKPKS1_PKPS1_EvbiT_T4_T5_S9_lSB_S9_lT6_S9_li,comdat
	.globl	_ZL26rocblas_syr2k_her2k_kernelIiLb0ELb0ELb1ELi32E19rocblas_complex_numIfEPKPKS1_PKPS1_EvbiT_T4_T5_S9_lSB_S9_lT6_S9_li ; -- Begin function _ZL26rocblas_syr2k_her2k_kernelIiLb0ELb0ELb1ELi32E19rocblas_complex_numIfEPKPKS1_PKPS1_EvbiT_T4_T5_S9_lSB_S9_lT6_S9_li
	.p2align	8
	.type	_ZL26rocblas_syr2k_her2k_kernelIiLb0ELb0ELb1ELi32E19rocblas_complex_numIfEPKPKS1_PKPS1_EvbiT_T4_T5_S9_lSB_S9_lT6_S9_li,@function
_ZL26rocblas_syr2k_her2k_kernelIiLb0ELb0ELb1ELi32E19rocblas_complex_numIfEPKPKS1_PKPS1_EvbiT_T4_T5_S9_lSB_S9_lT6_S9_li: ; @_ZL26rocblas_syr2k_her2k_kernelIiLb0ELb0ELb1ELi32E19rocblas_complex_numIfEPKPKS1_PKPS1_EvbiT_T4_T5_S9_lSB_S9_lT6_S9_li
; %bb.0:
	s_load_dwordx4 s[12:15], s[4:5], 0x0
	s_load_dword s10, s[4:5], 0x10
	s_waitcnt lgkmcnt(0)
	v_cmp_eq_f32_e64 s[0:1], s15, 0
	v_cmp_eq_f32_e64 s[2:3], s10, 0
	s_and_b64 s[0:1], s[0:1], s[2:3]
	s_and_b64 vcc, exec, s[0:1]
	s_cbranch_vccnz .LBB617_11
; %bb.1:
	s_and_b32 s2, 1, s12
	s_lshl_b32 s0, s7, 5
	s_lshl_b32 s1, s6, 5
	s_cmp_eq_u32 s2, 1
	s_cselect_b64 vcc, -1, 0
	s_and_b64 s[2:3], vcc, exec
	s_cselect_b32 s2, s1, s0
	s_cselect_b32 s3, s0, s1
	s_cmp_gt_i32 s2, s3
	s_cbranch_scc1 .LBB617_11
; %bb.2:
	s_cmp_lt_i32 s14, 1
	s_cbranch_scc1 .LBB617_11
; %bb.3:
	s_mov_b32 s9, 0
	s_load_dwordx2 s[2:3], s[4:5], 0x18
	s_load_dword s11, s[4:5], 0x20
	s_load_dwordx4 s[16:19], s[4:5], 0x28
	s_load_dword s12, s[4:5], 0x38
	s_load_dwordx4 s[20:23], s[4:5], 0x40
	s_load_dword s26, s[4:5], 0x50
	s_lshl_b64 s[6:7], s[8:9], 3
	s_waitcnt lgkmcnt(0)
	s_add_u32 s2, s2, s6
	s_addc_u32 s3, s3, s7
	s_load_dwordx2 s[2:3], s[2:3], 0x0
	s_add_u32 s18, s18, s6
	v_add_u32_e32 v2, s1, v0
	s_addc_u32 s19, s19, s7
	v_add_u32_e32 v6, s0, v1
	v_mad_i64_i32 v[4:5], s[0:1], s11, v2, 0
	s_add_u32 s6, s22, s6
	s_addc_u32 s7, s23, s7
	s_load_dwordx2 s[18:19], s[18:19], 0x0
	s_nop 0
	s_load_dwordx2 s[22:23], s[6:7], 0x0
	s_load_dwordx2 s[24:25], s[4:5], 0x58
	s_lshl_b64 s[4:5], s[16:17], 3
	s_waitcnt lgkmcnt(0)
	s_add_u32 s4, s2, s4
	v_lshlrev_b64 v[4:5], 3, v[4:5]
	s_addc_u32 s5, s3, s5
	v_mov_b32_e32 v9, s5
	v_add_co_u32_e64 v16, s[0:1], s4, v4
	v_addc_co_u32_e64 v17, s[0:1], v9, v5, s[0:1]
	v_mad_i64_i32 v[4:5], s[0:1], s12, v6, 0
	s_lshl_b64 s[2:3], s[20:21], 3
	s_add_u32 s6, s18, s2
	s_addc_u32 s7, s19, s3
	s_lshl_b64 s[2:3], s[24:25], 3
	v_lshlrev_b64 v[4:5], 3, v[4:5]
	s_add_u32 s8, s22, s2
	s_addc_u32 s16, s23, s3
	v_mov_b32_e32 v10, s7
	v_add_co_u32_e64 v20, s[2:3], s6, v4
	v_addc_co_u32_e64 v21, s[2:3], v10, v5, s[2:3]
	v_mad_i64_i32 v[4:5], s[2:3], s26, v6, 0
	v_cndmask_b32_e32 v7, v2, v6, vcc
	v_cndmask_b32_e32 v8, v6, v2, vcc
	v_cmp_gt_i32_e32 vcc, s13, v2
	v_cmp_gt_i32_e64 s[0:1], s13, v6
	v_lshlrev_b64 v[4:5], 3, v[4:5]
	v_ashrrev_i32_e32 v3, 31, v2
	v_cmp_le_i32_e64 s[2:3], v8, v7
	s_and_b64 s[4:5], s[0:1], vcc
	s_and_b64 s[4:5], s[4:5], s[2:3]
	v_mov_b32_e32 v6, s16
	v_add_co_u32_e64 v4, s[2:3], s8, v4
	v_lshlrev_b64 v[2:3], 3, v[2:3]
	v_lshlrev_b32_e32 v9, 3, v1
	v_addc_co_u32_e64 v5, s[2:3], v6, v5, s[2:3]
	v_lshlrev_b32_e32 v18, 8, v0
	v_or_b32_e32 v22, 0x2000, v9
	v_add_co_u32_e64 v14, s[2:3], v4, v2
	v_add_u32_e32 v19, v18, v9
	v_add_u32_e32 v23, v22, v18
	v_addc_co_u32_e64 v15, s[2:3], v5, v3, s[2:3]
	v_add_u32_e32 v24, 0x800, v22
	v_add_u32_e32 v25, 0x1000, v22
	;; [unrolled: 1-line block ×3, first 2 shown]
	s_branch .LBB617_5
.LBB617_4:                              ;   in Loop: Header=BB617_5 Depth=1
	s_or_b64 exec, exec, s[2:3]
	s_add_i32 s9, s9, 32
	s_cmp_lt_i32 s9, s14
	s_waitcnt vmcnt(0) lgkmcnt(0)
	s_barrier
	s_cbranch_scc0 .LBB617_11
.LBB617_5:                              ; =>This Inner Loop Header: Depth=1
	v_add_u32_e32 v5, s9, v1
	v_cmp_gt_i32_e64 s[2:3], s14, v5
	s_and_b64 s[2:3], vcc, s[2:3]
	v_mov_b32_e32 v2, 0
	v_mov_b32_e32 v3, 0
	;; [unrolled: 1-line block ×3, first 2 shown]
	s_and_saveexec_b64 s[6:7], s[2:3]
	s_cbranch_execz .LBB617_7
; %bb.6:                                ;   in Loop: Header=BB617_5 Depth=1
	v_ashrrev_i32_e32 v6, 31, v5
	v_lshlrev_b64 v[3:4], 3, v[5:6]
	v_add_co_u32_e64 v3, s[2:3], v16, v3
	v_addc_co_u32_e64 v4, s[2:3], v17, v4, s[2:3]
	flat_load_dwordx2 v[3:4], v[3:4]
.LBB617_7:                              ;   in Loop: Header=BB617_5 Depth=1
	s_or_b64 exec, exec, s[6:7]
	s_waitcnt vmcnt(0) lgkmcnt(0)
	ds_write_b64 v19, v[3:4]
	v_add_u32_e32 v4, s9, v0
	v_cmp_gt_i32_e64 s[2:3], s14, v4
	s_and_b64 s[2:3], s[0:1], s[2:3]
	v_mov_b32_e32 v3, 0
	s_and_saveexec_b64 s[6:7], s[2:3]
	s_cbranch_execz .LBB617_9
; %bb.8:                                ;   in Loop: Header=BB617_5 Depth=1
	v_ashrrev_i32_e32 v5, 31, v4
	v_lshlrev_b64 v[2:3], 3, v[4:5]
	v_add_co_u32_e64 v2, s[2:3], v20, v2
	v_addc_co_u32_e64 v3, s[2:3], v21, v3, s[2:3]
	flat_load_dwordx2 v[2:3], v[2:3]
.LBB617_9:                              ;   in Loop: Header=BB617_5 Depth=1
	s_or_b64 exec, exec, s[6:7]
	s_waitcnt vmcnt(0) lgkmcnt(0)
	ds_write_b64 v23, v[2:3]
	s_waitcnt lgkmcnt(0)
	s_barrier
	s_and_saveexec_b64 s[2:3], s[4:5]
	s_cbranch_execz .LBB617_4
; %bb.10:                               ;   in Loop: Header=BB617_5 Depth=1
	ds_read2_b64 v[2:5], v22 offset1:32
	ds_read_b128 v[6:9], v18
	ds_read_b128 v[10:13], v18 offset:16
	s_waitcnt lgkmcnt(1)
	v_mul_f32_e32 v27, v3, v7
	v_fma_f32 v32, v2, v6, -v27
	ds_read2_b64 v[27:30], v22 offset0:64 offset1:96
	v_mul_f32_e32 v31, v2, v7
	v_mul_f32_e32 v2, v5, v9
	v_fma_f32 v33, v4, v8, -v2
	v_fmac_f32_e32 v31, v3, v6
	s_waitcnt lgkmcnt(0)
	v_mul_f32_e32 v2, v28, v11
	v_mul_f32_e32 v34, v4, v9
	v_fma_f32 v35, v27, v10, -v2
	v_mul_f32_e32 v27, v27, v11
	v_mul_f32_e32 v2, v30, v13
	v_fmac_f32_e32 v34, v5, v8
	v_fmac_f32_e32 v27, v28, v10
	v_fma_f32 v28, v29, v12, -v2
	v_mul_f32_e32 v29, v29, v13
	v_add_f32_e32 v10, 0, v32
	v_add_f32_e32 v11, 0, v31
	v_fmac_f32_e32 v29, v30, v12
	ds_read_b128 v[2:5], v18 offset:32
	ds_read_b128 v[6:9], v18 offset:48
	v_add_f32_e32 v30, v10, v33
	v_add_f32_e32 v31, v11, v34
	ds_read2_b64 v[10:13], v22 offset0:128 offset1:160
	v_add_f32_e32 v27, v31, v27
	v_add_f32_e32 v30, v30, v35
	v_add_f32_e32 v27, v27, v29
	v_add_f32_e32 v28, v30, v28
	s_waitcnt lgkmcnt(0)
	v_mul_f32_e32 v29, v11, v3
	v_mul_f32_e32 v3, v10, v3
	v_fma_f32 v29, v10, v2, -v29
	v_fmac_f32_e32 v3, v11, v2
	v_add_f32_e32 v2, v28, v29
	v_add_f32_e32 v3, v27, v3
	ds_read2_b64 v[27:30], v22 offset0:192 offset1:224
	v_mul_f32_e32 v10, v13, v5
	v_mul_f32_e32 v5, v12, v5
	v_fma_f32 v10, v12, v4, -v10
	v_fmac_f32_e32 v5, v13, v4
	s_waitcnt lgkmcnt(0)
	v_mul_f32_e32 v4, v28, v7
	v_add_f32_e32 v2, v2, v10
	v_add_f32_e32 v3, v3, v5
	v_fma_f32 v4, v27, v6, -v4
	v_mul_f32_e32 v5, v27, v7
	v_fmac_f32_e32 v5, v28, v6
	v_add_f32_e32 v6, v2, v4
	v_mul_f32_e32 v2, v30, v9
	v_add_f32_e32 v7, v3, v5
	v_fma_f32 v13, v29, v8, -v2
	v_mul_f32_e32 v27, v29, v9
	ds_read_b128 v[2:5], v18 offset:64
	ds_read2_b64 v[9:12], v24 offset1:32
	v_fmac_f32_e32 v27, v30, v8
	v_add_f32_e32 v6, v6, v13
	v_add_f32_e32 v7, v7, v27
	ds_read_b128 v[27:30], v18 offset:80
	s_waitcnt lgkmcnt(1)
	v_mul_f32_e32 v8, v10, v3
	v_fma_f32 v8, v9, v2, -v8
	v_mul_f32_e32 v3, v9, v3
	v_fmac_f32_e32 v3, v10, v2
	v_add_f32_e32 v2, v6, v8
	v_mul_f32_e32 v6, v12, v5
	v_add_f32_e32 v3, v7, v3
	v_fma_f32 v10, v11, v4, -v6
	ds_read2_b64 v[6:9], v24 offset0:64 offset1:96
	v_mul_f32_e32 v5, v11, v5
	v_fmac_f32_e32 v5, v12, v4
	v_add_f32_e32 v2, v2, v10
	v_add_f32_e32 v3, v3, v5
	s_waitcnt lgkmcnt(0)
	v_mul_f32_e32 v4, v7, v28
	v_fma_f32 v4, v6, v27, -v4
	v_mul_f32_e32 v5, v6, v28
	v_fmac_f32_e32 v5, v7, v27
	v_add_f32_e32 v6, v2, v4
	v_mul_f32_e32 v2, v9, v30
	v_add_f32_e32 v7, v3, v5
	v_fma_f32 v27, v8, v29, -v2
	ds_read_b128 v[2:5], v18 offset:96
	ds_read2_b64 v[10:13], v24 offset0:128 offset1:160
	v_mul_f32_e32 v8, v8, v30
	v_fmac_f32_e32 v8, v9, v29
	v_add_f32_e32 v27, v6, v27
	v_add_f32_e32 v28, v7, v8
	s_waitcnt lgkmcnt(0)
	v_mul_f32_e32 v29, v11, v3
	v_mul_f32_e32 v3, v10, v3
	v_fma_f32 v29, v10, v2, -v29
	v_fmac_f32_e32 v3, v11, v2
	ds_read_b128 v[6:9], v18 offset:112
	v_add_f32_e32 v2, v27, v29
	v_add_f32_e32 v3, v28, v3
	ds_read2_b64 v[27:30], v24 offset0:192 offset1:224
	v_mul_f32_e32 v10, v13, v5
	v_mul_f32_e32 v5, v12, v5
	v_fma_f32 v10, v12, v4, -v10
	v_fmac_f32_e32 v5, v13, v4
	s_waitcnt lgkmcnt(0)
	v_mul_f32_e32 v4, v28, v7
	v_add_f32_e32 v2, v2, v10
	v_add_f32_e32 v3, v3, v5
	v_fma_f32 v4, v27, v6, -v4
	v_mul_f32_e32 v5, v27, v7
	v_fmac_f32_e32 v5, v28, v6
	v_add_f32_e32 v6, v2, v4
	v_mul_f32_e32 v2, v30, v9
	v_add_f32_e32 v7, v3, v5
	v_fma_f32 v13, v29, v8, -v2
	v_mul_f32_e32 v27, v29, v9
	ds_read_b128 v[2:5], v18 offset:128
	ds_read2_b64 v[9:12], v25 offset1:32
	v_fmac_f32_e32 v27, v30, v8
	v_add_f32_e32 v6, v6, v13
	v_add_f32_e32 v7, v7, v27
	ds_read_b128 v[27:30], v18 offset:144
	s_waitcnt lgkmcnt(1)
	v_mul_f32_e32 v8, v10, v3
	v_fma_f32 v8, v9, v2, -v8
	v_mul_f32_e32 v3, v9, v3
	ds_read2_b64 v[31:34], v25 offset0:64 offset1:96
	v_fmac_f32_e32 v3, v10, v2
	v_add_f32_e32 v2, v6, v8
	v_mul_f32_e32 v6, v12, v5
	v_fma_f32 v6, v11, v4, -v6
	v_mul_f32_e32 v5, v11, v5
	v_add_f32_e32 v3, v7, v3
	v_fmac_f32_e32 v5, v12, v4
	v_add_f32_e32 v2, v2, v6
	ds_read_b128 v[6:9], v18 offset:160
	ds_read2_b64 v[10:13], v25 offset0:128 offset1:160
	v_add_f32_e32 v3, v3, v5
	s_waitcnt lgkmcnt(2)
	v_mul_f32_e32 v4, v32, v28
	v_mul_f32_e32 v5, v31, v28
	v_fma_f32 v4, v31, v27, -v4
	v_fmac_f32_e32 v5, v32, v27
	v_add_f32_e32 v2, v2, v4
	v_add_f32_e32 v3, v3, v5
	v_mul_f32_e32 v4, v34, v30
	v_mul_f32_e32 v5, v33, v30
	v_fma_f32 v4, v33, v29, -v4
	v_fmac_f32_e32 v5, v34, v29
	s_waitcnt lgkmcnt(0)
	v_mul_f32_e32 v29, v11, v7
	v_mul_f32_e32 v30, v10, v7
	v_fma_f32 v29, v10, v6, -v29
	v_fmac_f32_e32 v30, v11, v6
	v_mul_f32_e32 v6, v13, v9
	v_fma_f32 v31, v12, v8, -v6
	flat_load_dwordx2 v[6:7], v[14:15]
	v_mul_f32_e32 v12, v12, v9
	v_add_f32_e32 v27, v2, v4
	v_add_f32_e32 v28, v3, v5
	ds_read_b128 v[2:5], v18 offset:176
	v_fmac_f32_e32 v12, v13, v8
	ds_read2_b64 v[8:11], v25 offset0:192 offset1:224
	v_add_f32_e32 v13, v27, v29
	v_add_f32_e32 v27, v28, v30
	;; [unrolled: 1-line block ×4, first 2 shown]
	s_waitcnt lgkmcnt(0)
	v_mul_f32_e32 v27, v9, v3
	v_mul_f32_e32 v28, v8, v3
	v_fma_f32 v27, v8, v2, -v27
	v_fmac_f32_e32 v28, v9, v2
	v_mul_f32_e32 v2, v11, v5
	v_mul_f32_e32 v29, v10, v5
	v_add_f32_e32 v13, v13, v27
	v_fma_f32 v27, v10, v4, -v2
	v_fmac_f32_e32 v29, v11, v4
	ds_read_b128 v[2:5], v18 offset:192
	ds_read2_b64 v[8:11], v26 offset1:32
	v_add_f32_e32 v12, v12, v28
	v_add_f32_e32 v13, v13, v27
	;; [unrolled: 1-line block ×3, first 2 shown]
	ds_read_b128 v[27:30], v18 offset:208
	s_waitcnt lgkmcnt(0)
	v_mul_f32_e32 v31, v9, v3
	v_fma_f32 v31, v8, v2, -v31
	v_mul_f32_e32 v8, v8, v3
	v_fmac_f32_e32 v8, v9, v2
	v_mul_f32_e32 v2, v11, v5
	v_fma_f32 v9, v10, v4, -v2
	v_mul_f32_e32 v10, v10, v5
	v_fmac_f32_e32 v10, v11, v4
	ds_read2_b64 v[2:5], v26 offset0:64 offset1:96
	v_add_f32_e32 v8, v12, v8
	v_add_f32_e32 v11, v13, v31
	;; [unrolled: 1-line block ×4, first 2 shown]
	s_waitcnt lgkmcnt(0)
	v_mul_f32_e32 v8, v3, v28
	v_fma_f32 v8, v2, v27, -v8
	v_mul_f32_e32 v13, v2, v28
	v_mul_f32_e32 v2, v5, v30
	;; [unrolled: 1-line block ×3, first 2 shown]
	v_fmac_f32_e32 v13, v3, v27
	v_add_f32_e32 v27, v9, v8
	v_fma_f32 v28, v4, v29, -v2
	v_fmac_f32_e32 v30, v5, v29
	ds_read_b128 v[2:5], v18 offset:224
	ds_read2_b64 v[8:11], v26 offset0:128 offset1:160
	v_add_f32_e32 v12, v12, v13
	v_add_f32_e32 v13, v27, v28
	;; [unrolled: 1-line block ×3, first 2 shown]
	ds_read_b128 v[27:30], v18 offset:240
	s_waitcnt lgkmcnt(0)
	v_mul_f32_e32 v31, v9, v3
	v_fma_f32 v31, v8, v2, -v31
	v_mul_f32_e32 v8, v8, v3
	v_fmac_f32_e32 v8, v9, v2
	v_mul_f32_e32 v2, v11, v5
	v_fma_f32 v9, v10, v4, -v2
	v_mul_f32_e32 v10, v10, v5
	v_fmac_f32_e32 v10, v11, v4
	ds_read2_b64 v[2:5], v26 offset0:192 offset1:224
	v_add_f32_e32 v8, v12, v8
	v_add_f32_e32 v8, v8, v10
	;; [unrolled: 1-line block ×4, first 2 shown]
	s_waitcnt lgkmcnt(0)
	v_mul_f32_e32 v10, v3, v28
	v_fma_f32 v10, v2, v27, -v10
	v_mul_f32_e32 v2, v2, v28
	v_fmac_f32_e32 v2, v3, v27
	v_add_f32_e32 v2, v8, v2
	v_mul_f32_e32 v8, v5, v30
	v_fma_f32 v8, v4, v29, -v8
	v_mul_f32_e32 v4, v4, v30
	v_fmac_f32_e32 v4, v5, v29
	v_add_f32_e32 v3, v9, v10
	v_add_f32_e32 v2, v2, v4
	;; [unrolled: 1-line block ×3, first 2 shown]
	v_mul_f32_e32 v4, s10, v2
	v_fma_f32 v4, s15, v3, -v4
	v_mul_f32_e32 v3, s10, v3
	v_fmac_f32_e32 v3, s15, v2
	s_waitcnt vmcnt(0)
	v_add_f32_e32 v2, v6, v4
	v_add_f32_e32 v3, v7, v3
	flat_store_dwordx2 v[14:15], v[2:3]
	s_branch .LBB617_4
.LBB617_11:
	s_endpgm
	.section	.rodata,"a",@progbits
	.p2align	6, 0x0
	.amdhsa_kernel _ZL26rocblas_syr2k_her2k_kernelIiLb0ELb0ELb1ELi32E19rocblas_complex_numIfEPKPKS1_PKPS1_EvbiT_T4_T5_S9_lSB_S9_lT6_S9_li
		.amdhsa_group_segment_fixed_size 16384
		.amdhsa_private_segment_fixed_size 0
		.amdhsa_kernarg_size 100
		.amdhsa_user_sgpr_count 6
		.amdhsa_user_sgpr_private_segment_buffer 1
		.amdhsa_user_sgpr_dispatch_ptr 0
		.amdhsa_user_sgpr_queue_ptr 0
		.amdhsa_user_sgpr_kernarg_segment_ptr 1
		.amdhsa_user_sgpr_dispatch_id 0
		.amdhsa_user_sgpr_flat_scratch_init 0
		.amdhsa_user_sgpr_private_segment_size 0
		.amdhsa_uses_dynamic_stack 0
		.amdhsa_system_sgpr_private_segment_wavefront_offset 0
		.amdhsa_system_sgpr_workgroup_id_x 1
		.amdhsa_system_sgpr_workgroup_id_y 1
		.amdhsa_system_sgpr_workgroup_id_z 1
		.amdhsa_system_sgpr_workgroup_info 0
		.amdhsa_system_vgpr_workitem_id 1
		.amdhsa_next_free_vgpr 36
		.amdhsa_next_free_sgpr 61
		.amdhsa_reserve_vcc 1
		.amdhsa_reserve_flat_scratch 0
		.amdhsa_float_round_mode_32 0
		.amdhsa_float_round_mode_16_64 0
		.amdhsa_float_denorm_mode_32 3
		.amdhsa_float_denorm_mode_16_64 3
		.amdhsa_dx10_clamp 1
		.amdhsa_ieee_mode 1
		.amdhsa_fp16_overflow 0
		.amdhsa_exception_fp_ieee_invalid_op 0
		.amdhsa_exception_fp_denorm_src 0
		.amdhsa_exception_fp_ieee_div_zero 0
		.amdhsa_exception_fp_ieee_overflow 0
		.amdhsa_exception_fp_ieee_underflow 0
		.amdhsa_exception_fp_ieee_inexact 0
		.amdhsa_exception_int_div_zero 0
	.end_amdhsa_kernel
	.section	.text._ZL26rocblas_syr2k_her2k_kernelIiLb0ELb0ELb1ELi32E19rocblas_complex_numIfEPKPKS1_PKPS1_EvbiT_T4_T5_S9_lSB_S9_lT6_S9_li,"axG",@progbits,_ZL26rocblas_syr2k_her2k_kernelIiLb0ELb0ELb1ELi32E19rocblas_complex_numIfEPKPKS1_PKPS1_EvbiT_T4_T5_S9_lSB_S9_lT6_S9_li,comdat
.Lfunc_end617:
	.size	_ZL26rocblas_syr2k_her2k_kernelIiLb0ELb0ELb1ELi32E19rocblas_complex_numIfEPKPKS1_PKPS1_EvbiT_T4_T5_S9_lSB_S9_lT6_S9_li, .Lfunc_end617-_ZL26rocblas_syr2k_her2k_kernelIiLb0ELb0ELb1ELi32E19rocblas_complex_numIfEPKPKS1_PKPS1_EvbiT_T4_T5_S9_lSB_S9_lT6_S9_li
                                        ; -- End function
	.set _ZL26rocblas_syr2k_her2k_kernelIiLb0ELb0ELb1ELi32E19rocblas_complex_numIfEPKPKS1_PKPS1_EvbiT_T4_T5_S9_lSB_S9_lT6_S9_li.num_vgpr, 36
	.set _ZL26rocblas_syr2k_her2k_kernelIiLb0ELb0ELb1ELi32E19rocblas_complex_numIfEPKPKS1_PKPS1_EvbiT_T4_T5_S9_lSB_S9_lT6_S9_li.num_agpr, 0
	.set _ZL26rocblas_syr2k_her2k_kernelIiLb0ELb0ELb1ELi32E19rocblas_complex_numIfEPKPKS1_PKPS1_EvbiT_T4_T5_S9_lSB_S9_lT6_S9_li.numbered_sgpr, 27
	.set _ZL26rocblas_syr2k_her2k_kernelIiLb0ELb0ELb1ELi32E19rocblas_complex_numIfEPKPKS1_PKPS1_EvbiT_T4_T5_S9_lSB_S9_lT6_S9_li.num_named_barrier, 0
	.set _ZL26rocblas_syr2k_her2k_kernelIiLb0ELb0ELb1ELi32E19rocblas_complex_numIfEPKPKS1_PKPS1_EvbiT_T4_T5_S9_lSB_S9_lT6_S9_li.private_seg_size, 0
	.set _ZL26rocblas_syr2k_her2k_kernelIiLb0ELb0ELb1ELi32E19rocblas_complex_numIfEPKPKS1_PKPS1_EvbiT_T4_T5_S9_lSB_S9_lT6_S9_li.uses_vcc, 1
	.set _ZL26rocblas_syr2k_her2k_kernelIiLb0ELb0ELb1ELi32E19rocblas_complex_numIfEPKPKS1_PKPS1_EvbiT_T4_T5_S9_lSB_S9_lT6_S9_li.uses_flat_scratch, 0
	.set _ZL26rocblas_syr2k_her2k_kernelIiLb0ELb0ELb1ELi32E19rocblas_complex_numIfEPKPKS1_PKPS1_EvbiT_T4_T5_S9_lSB_S9_lT6_S9_li.has_dyn_sized_stack, 0
	.set _ZL26rocblas_syr2k_her2k_kernelIiLb0ELb0ELb1ELi32E19rocblas_complex_numIfEPKPKS1_PKPS1_EvbiT_T4_T5_S9_lSB_S9_lT6_S9_li.has_recursion, 0
	.set _ZL26rocblas_syr2k_her2k_kernelIiLb0ELb0ELb1ELi32E19rocblas_complex_numIfEPKPKS1_PKPS1_EvbiT_T4_T5_S9_lSB_S9_lT6_S9_li.has_indirect_call, 0
	.section	.AMDGPU.csdata,"",@progbits
; Kernel info:
; codeLenInByte = 1968
; TotalNumSgprs: 31
; NumVgprs: 36
; ScratchSize: 0
; MemoryBound: 0
; FloatMode: 240
; IeeeMode: 1
; LDSByteSize: 16384 bytes/workgroup (compile time only)
; SGPRBlocks: 8
; VGPRBlocks: 8
; NumSGPRsForWavesPerEU: 65
; NumVGPRsForWavesPerEU: 36
; Occupancy: 7
; WaveLimiterHint : 1
; COMPUTE_PGM_RSRC2:SCRATCH_EN: 0
; COMPUTE_PGM_RSRC2:USER_SGPR: 6
; COMPUTE_PGM_RSRC2:TRAP_HANDLER: 0
; COMPUTE_PGM_RSRC2:TGID_X_EN: 1
; COMPUTE_PGM_RSRC2:TGID_Y_EN: 1
; COMPUTE_PGM_RSRC2:TGID_Z_EN: 1
; COMPUTE_PGM_RSRC2:TIDIG_COMP_CNT: 1
	.section	.text._ZL37rocblas_syrkx_herkx_restricted_kernelIi19rocblas_complex_numIfELi16ELi32ELi8ELi1ELi1ELb0ELc84ELc76EKPKS1_KPS1_EviT_PT9_S7_lS9_S7_lPT10_S7_li,"axG",@progbits,_ZL37rocblas_syrkx_herkx_restricted_kernelIi19rocblas_complex_numIfELi16ELi32ELi8ELi1ELi1ELb0ELc84ELc76EKPKS1_KPS1_EviT_PT9_S7_lS9_S7_lPT10_S7_li,comdat
	.globl	_ZL37rocblas_syrkx_herkx_restricted_kernelIi19rocblas_complex_numIfELi16ELi32ELi8ELi1ELi1ELb0ELc84ELc76EKPKS1_KPS1_EviT_PT9_S7_lS9_S7_lPT10_S7_li ; -- Begin function _ZL37rocblas_syrkx_herkx_restricted_kernelIi19rocblas_complex_numIfELi16ELi32ELi8ELi1ELi1ELb0ELc84ELc76EKPKS1_KPS1_EviT_PT9_S7_lS9_S7_lPT10_S7_li
	.p2align	8
	.type	_ZL37rocblas_syrkx_herkx_restricted_kernelIi19rocblas_complex_numIfELi16ELi32ELi8ELi1ELi1ELb0ELc84ELc76EKPKS1_KPS1_EviT_PT9_S7_lS9_S7_lPT10_S7_li,@function
_ZL37rocblas_syrkx_herkx_restricted_kernelIi19rocblas_complex_numIfELi16ELi32ELi8ELi1ELi1ELb0ELc84ELc76EKPKS1_KPS1_EviT_PT9_S7_lS9_S7_lPT10_S7_li: ; @_ZL37rocblas_syrkx_herkx_restricted_kernelIi19rocblas_complex_numIfELi16ELi32ELi8ELi1ELi1ELb0ELc84ELc76EKPKS1_KPS1_EviT_PT9_S7_lS9_S7_lPT10_S7_li
; %bb.0:
	s_load_dwordx2 s[2:3], s[4:5], 0x38
	s_load_dwordx2 s[12:13], s[4:5], 0x0
	s_mov_b32 s9, 0
	s_lshl_b64 s[0:1], s[8:9], 3
	s_waitcnt lgkmcnt(0)
	s_add_u32 s2, s2, s0
	s_addc_u32 s3, s3, s1
	s_load_dwordx2 s[10:11], s[2:3], 0x0
	s_lshl_b32 s2, s6, 5
	s_lshl_b32 s3, s7, 5
	s_cmp_lt_i32 s13, 1
	s_cbranch_scc1 .LBB618_3
; %bb.1:
	v_lshl_add_u32 v4, v1, 4, v0
	s_load_dwordx2 s[6:7], s[4:5], 0x8
	s_load_dword s8, s[4:5], 0x10
	s_load_dwordx2 s[14:15], s[4:5], 0x20
	s_load_dword s16, s[4:5], 0x28
	v_and_b32_e32 v7, 31, v4
	v_lshrrev_b32_e32 v6, 3, v4
	v_and_b32_e32 v9, 7, v0
	v_lshrrev_b32_e32 v4, 5, v4
	v_lshlrev_b32_e32 v8, 3, v7
	s_waitcnt lgkmcnt(0)
	s_add_u32 s6, s6, s0
	v_lshl_or_b32 v11, v4, 8, v8
	v_lshlrev_b32_e32 v8, 3, v9
	s_addc_u32 s7, s7, s1
	v_add_u32_e32 v2, s3, v6
	v_mov_b32_e32 v10, 0
	v_lshl_or_b32 v6, v6, 6, v8
	s_add_u32 s0, s14, s0
	v_mov_b32_e32 v5, v10
	v_add_u32_e32 v12, 0x800, v6
	v_add_u32_e32 v6, s2, v7
	s_addc_u32 s1, s15, s1
	v_mad_i64_i32 v[4:5], s[14:15], s8, v6, v[4:5]
	s_load_dwordx2 s[6:7], s[6:7], 0x0
	v_mad_i64_i32 v[2:3], s[14:15], s16, v2, v[9:10]
	s_load_dwordx2 s[0:1], s[0:1], 0x0
	v_lshlrev_b64 v[4:5], 3, v[4:5]
	v_mov_b32_e32 v6, 0x800
	v_lshl_add_u32 v14, v1, 6, v6
	s_waitcnt lgkmcnt(0)
	v_mov_b32_e32 v7, s7
	v_add_co_u32_e32 v6, vcc, s6, v4
	v_lshlrev_b64 v[2:3], 3, v[2:3]
	v_addc_co_u32_e32 v7, vcc, v7, v5, vcc
	v_mov_b32_e32 v4, s1
	v_add_co_u32_e32 v8, vcc, s0, v2
	v_lshlrev_b32_e32 v13, 3, v0
	v_addc_co_u32_e32 v9, vcc, v4, v3, vcc
	v_mov_b32_e32 v15, v10
	v_mov_b32_e32 v16, v10
	;; [unrolled: 1-line block ×7, first 2 shown]
.LBB618_2:                              ; =>This Inner Loop Header: Depth=1
	flat_load_dwordx2 v[2:3], v[6:7]
	v_add_co_u32_e32 v6, vcc, 64, v6
	v_addc_co_u32_e32 v7, vcc, 0, v7, vcc
	s_add_i32 s9, s9, 8
	s_cmp_ge_i32 s9, s13
	s_waitcnt vmcnt(0) lgkmcnt(0)
	ds_write_b64 v11, v[2:3]
	flat_load_dwordx2 v[2:3], v[8:9]
	v_add_co_u32_e32 v8, vcc, 64, v8
	v_addc_co_u32_e32 v9, vcc, 0, v9, vcc
	s_waitcnt vmcnt(0) lgkmcnt(0)
	ds_write_b64 v12, v[2:3]
	s_waitcnt lgkmcnt(0)
	s_barrier
	ds_read_b128 v[22:25], v14
	ds_read_b128 v[26:29], v14 offset:16
	ds_read_b128 v[30:33], v14 offset:32
	ds_read_b128 v[2:5], v14 offset:48
	ds_read2_b64 v[34:37], v13 offset1:16
	s_waitcnt lgkmcnt(0)
	v_mul_f32_e32 v38, v23, v35
	v_mul_f32_e32 v39, v22, v35
	v_fma_f32 v38, v22, v34, -v38
	v_fmac_f32_e32 v39, v23, v34
	v_add_f32_e32 v38, v20, v38
	v_add_f32_e32 v39, v21, v39
	v_mul_f32_e32 v20, v23, v37
	v_mul_f32_e32 v21, v22, v37
	v_fma_f32 v20, v22, v36, -v20
	v_fmac_f32_e32 v21, v23, v36
	v_add_f32_e32 v22, v19, v20
	v_add_f32_e32 v23, v18, v21
	ds_read_b128 v[18:21], v14 offset:1024
	s_waitcnt lgkmcnt(0)
	v_mul_f32_e32 v40, v19, v35
	v_mul_f32_e32 v35, v18, v35
	v_fma_f32 v40, v18, v34, -v40
	v_fmac_f32_e32 v35, v19, v34
	v_add_f32_e32 v34, v17, v40
	v_add_f32_e32 v35, v16, v35
	v_mul_f32_e32 v16, v19, v37
	v_mul_f32_e32 v17, v18, v37
	v_fma_f32 v16, v18, v36, -v16
	v_fmac_f32_e32 v17, v19, v36
	v_add_f32_e32 v19, v15, v16
	v_add_f32_e32 v10, v10, v17
	ds_read2_b64 v[15:18], v13 offset0:32 offset1:48
	s_waitcnt lgkmcnt(0)
	v_mul_f32_e32 v36, v25, v16
	v_fma_f32 v36, v24, v15, -v36
	v_add_f32_e32 v36, v38, v36
	v_mul_f32_e32 v38, v25, v18
	v_mul_f32_e32 v37, v24, v16
	v_fma_f32 v38, v24, v17, -v38
	v_mul_f32_e32 v24, v24, v18
	v_fmac_f32_e32 v24, v25, v17
	v_add_f32_e32 v23, v23, v24
	v_mul_f32_e32 v24, v21, v16
	v_mul_f32_e32 v16, v20, v16
	v_fmac_f32_e32 v16, v21, v15
	v_fmac_f32_e32 v37, v25, v15
	v_fma_f32 v24, v20, v15, -v24
	v_add_f32_e32 v25, v35, v16
	v_mul_f32_e32 v15, v21, v18
	v_mul_f32_e32 v16, v20, v18
	v_fma_f32 v15, v20, v17, -v15
	v_fmac_f32_e32 v16, v21, v17
	v_add_f32_e32 v24, v34, v24
	v_add_f32_e32 v34, v19, v15
	;; [unrolled: 1-line block ×3, first 2 shown]
	ds_read2_b64 v[15:18], v13 offset0:64 offset1:80
	v_add_f32_e32 v37, v39, v37
	v_add_f32_e32 v22, v22, v38
	s_waitcnt lgkmcnt(0)
	v_mul_f32_e32 v19, v27, v16
	v_mul_f32_e32 v20, v26, v16
	v_fma_f32 v19, v26, v15, -v19
	v_fmac_f32_e32 v20, v27, v15
	v_add_f32_e32 v35, v36, v19
	v_add_f32_e32 v36, v37, v20
	v_mul_f32_e32 v19, v27, v18
	v_mul_f32_e32 v20, v26, v18
	v_fma_f32 v19, v26, v17, -v19
	v_fmac_f32_e32 v20, v27, v17
	v_add_f32_e32 v26, v22, v19
	v_add_f32_e32 v23, v23, v20
	ds_read_b128 v[19:22], v14 offset:1040
	s_waitcnt lgkmcnt(0)
	v_mul_f32_e32 v27, v20, v16
	v_mul_f32_e32 v16, v19, v16
	v_fmac_f32_e32 v16, v20, v15
	v_fma_f32 v27, v19, v15, -v27
	v_add_f32_e32 v25, v25, v16
	v_mul_f32_e32 v15, v20, v18
	v_mul_f32_e32 v16, v19, v18
	v_fma_f32 v15, v19, v17, -v15
	v_fmac_f32_e32 v16, v20, v17
	v_add_f32_e32 v19, v34, v15
	v_add_f32_e32 v10, v10, v16
	ds_read2_b64 v[15:18], v13 offset0:96 offset1:112
	v_add_f32_e32 v24, v24, v27
	s_waitcnt lgkmcnt(0)
	v_mul_f32_e32 v20, v29, v16
	v_mul_f32_e32 v34, v29, v18
	v_fma_f32 v20, v28, v15, -v20
	v_mul_f32_e32 v27, v28, v16
	v_fma_f32 v34, v28, v17, -v34
	v_mul_f32_e32 v28, v28, v18
	v_fmac_f32_e32 v28, v29, v17
	v_add_f32_e32 v23, v23, v28
	v_mul_f32_e32 v28, v22, v16
	v_mul_f32_e32 v16, v21, v16
	v_fmac_f32_e32 v16, v22, v15
	v_fmac_f32_e32 v27, v29, v15
	v_fma_f32 v28, v21, v15, -v28
	v_add_f32_e32 v25, v25, v16
	v_mul_f32_e32 v15, v22, v18
	v_mul_f32_e32 v16, v21, v18
	v_fma_f32 v15, v21, v17, -v15
	v_fmac_f32_e32 v16, v22, v17
	v_add_f32_e32 v24, v24, v28
	v_add_f32_e32 v28, v19, v15
	;; [unrolled: 1-line block ×3, first 2 shown]
	ds_read2_b64 v[15:18], v13 offset0:128 offset1:144
	v_add_f32_e32 v20, v35, v20
	v_add_f32_e32 v27, v36, v27
	;; [unrolled: 1-line block ×3, first 2 shown]
	s_waitcnt lgkmcnt(0)
	v_mul_f32_e32 v19, v31, v16
	v_fma_f32 v19, v30, v15, -v19
	v_mul_f32_e32 v21, v30, v16
	v_add_f32_e32 v29, v20, v19
	v_mul_f32_e32 v19, v31, v18
	v_mul_f32_e32 v20, v30, v18
	v_fmac_f32_e32 v21, v31, v15
	v_fma_f32 v19, v30, v17, -v19
	v_fmac_f32_e32 v20, v31, v17
	v_add_f32_e32 v27, v27, v21
	v_add_f32_e32 v26, v26, v19
	;; [unrolled: 1-line block ×3, first 2 shown]
	ds_read_b128 v[19:22], v14 offset:1056
	s_waitcnt lgkmcnt(0)
	v_mul_f32_e32 v30, v20, v16
	v_mul_f32_e32 v16, v19, v16
	v_fmac_f32_e32 v16, v20, v15
	v_fma_f32 v30, v19, v15, -v30
	v_add_f32_e32 v25, v25, v16
	v_mul_f32_e32 v15, v20, v18
	v_mul_f32_e32 v16, v19, v18
	v_fma_f32 v15, v19, v17, -v15
	v_fmac_f32_e32 v16, v20, v17
	v_add_f32_e32 v19, v28, v15
	v_add_f32_e32 v10, v10, v16
	ds_read2_b64 v[15:18], v13 offset0:160 offset1:176
	v_add_f32_e32 v24, v24, v30
	s_waitcnt lgkmcnt(0)
	v_mul_f32_e32 v28, v32, v16
	v_fmac_f32_e32 v28, v33, v15
	v_add_f32_e32 v27, v27, v28
	v_mul_f32_e32 v28, v33, v18
	v_fma_f32 v28, v32, v17, -v28
	v_mul_f32_e32 v20, v33, v16
	v_add_f32_e32 v26, v26, v28
	v_mul_f32_e32 v28, v22, v16
	v_mul_f32_e32 v16, v21, v16
	v_fmac_f32_e32 v16, v22, v15
	v_fma_f32 v20, v32, v15, -v20
	v_fma_f32 v28, v21, v15, -v28
	v_add_f32_e32 v25, v25, v16
	v_mul_f32_e32 v15, v22, v18
	v_mul_f32_e32 v16, v21, v18
	v_add_f32_e32 v20, v29, v20
	v_mul_f32_e32 v29, v32, v18
	v_fma_f32 v15, v21, v17, -v15
	v_fmac_f32_e32 v16, v22, v17
	v_fmac_f32_e32 v29, v33, v17
	v_add_f32_e32 v19, v19, v15
	v_add_f32_e32 v10, v10, v16
	ds_read2_b64 v[15:18], v13 offset0:192 offset1:208
	v_add_f32_e32 v24, v24, v28
	v_add_f32_e32 v23, v23, v29
	s_waitcnt lgkmcnt(0)
	v_mul_f32_e32 v21, v3, v16
	v_fma_f32 v21, v2, v15, -v21
	v_add_f32_e32 v28, v20, v21
	v_mul_f32_e32 v20, v3, v18
	v_mul_f32_e32 v22, v2, v16
	v_fma_f32 v20, v2, v17, -v20
	v_mul_f32_e32 v2, v2, v18
	v_fmac_f32_e32 v22, v3, v15
	v_fmac_f32_e32 v2, v3, v17
	v_add_f32_e32 v29, v27, v22
	v_add_f32_e32 v3, v26, v20
	;; [unrolled: 1-line block ×3, first 2 shown]
	ds_read_b128 v[20:23], v14 offset:1072
	s_waitcnt lgkmcnt(0)
	v_mul_f32_e32 v26, v21, v16
	v_fma_f32 v26, v20, v15, -v26
	v_mul_f32_e32 v16, v20, v16
	v_fmac_f32_e32 v16, v21, v15
	v_add_f32_e32 v15, v24, v26
	v_mul_f32_e32 v24, v21, v18
	v_fma_f32 v24, v20, v17, -v24
	v_add_f32_e32 v16, v25, v16
	v_add_f32_e32 v30, v19, v24
	ds_read2_b64 v[24:27], v13 offset0:224 offset1:240
	v_mul_f32_e32 v18, v20, v18
	v_fmac_f32_e32 v18, v21, v17
	v_add_f32_e32 v10, v10, v18
	s_waitcnt lgkmcnt(0)
	v_mul_f32_e32 v17, v5, v25
	v_fma_f32 v17, v4, v24, -v17
	v_add_f32_e32 v20, v28, v17
	v_mul_f32_e32 v17, v5, v27
	v_mul_f32_e32 v18, v4, v25
	v_fma_f32 v17, v4, v26, -v17
	v_mul_f32_e32 v4, v4, v27
	v_fmac_f32_e32 v18, v5, v24
	v_fmac_f32_e32 v4, v5, v26
	v_add_f32_e32 v21, v29, v18
	v_add_f32_e32 v19, v3, v17
	;; [unrolled: 1-line block ×3, first 2 shown]
	v_mul_f32_e32 v2, v23, v25
	v_mul_f32_e32 v3, v22, v25
	v_fma_f32 v2, v22, v24, -v2
	v_fmac_f32_e32 v3, v23, v24
	v_add_f32_e32 v17, v15, v2
	v_add_f32_e32 v16, v16, v3
	v_mul_f32_e32 v2, v23, v27
	v_mul_f32_e32 v3, v22, v27
	v_fma_f32 v2, v22, v26, -v2
	v_fmac_f32_e32 v3, v23, v26
	v_add_f32_e32 v15, v30, v2
	v_add_f32_e32 v10, v10, v3
	s_barrier
	s_cbranch_scc0 .LBB618_2
	s_branch .LBB618_4
.LBB618_3:
	v_mov_b32_e32 v20, 0
	v_mov_b32_e32 v21, 0
	;; [unrolled: 1-line block ×8, first 2 shown]
.LBB618_4:
	s_load_dword s6, s[4:5], 0x40
	v_add_u32_e32 v4, s3, v1
	s_waitcnt lgkmcnt(0)
	v_mov_b32_e32 v3, s11
	v_add_u32_e32 v0, s2, v0
	v_mad_i64_i32 v[1:2], s[0:1], v4, s6, 0
	v_cmp_le_i32_e64 s[0:1], v4, v0
	v_lshlrev_b64 v[1:2], 3, v[1:2]
	v_add_co_u32_e32 v5, vcc, s10, v1
	v_addc_co_u32_e32 v6, vcc, v3, v2, vcc
	v_cmp_gt_i32_e32 vcc, s12, v0
	s_and_b64 s[0:1], s[0:1], vcc
	s_and_saveexec_b64 s[2:3], s[0:1]
	s_cbranch_execz .LBB618_6
; %bb.5:
	v_ashrrev_i32_e32 v1, 31, v0
	v_lshlrev_b64 v[1:2], 3, v[0:1]
	v_add_co_u32_e64 v1, s[0:1], v5, v1
	v_addc_co_u32_e64 v2, s[0:1], v6, v2, s[0:1]
	flat_load_dwordx2 v[7:8], v[1:2]
	s_waitcnt vmcnt(0) lgkmcnt(0)
	v_add_f32_e32 v7, v20, v7
	v_add_f32_e32 v8, v21, v8
	flat_store_dwordx2 v[1:2], v[7:8]
.LBB618_6:
	s_or_b64 exec, exec, s[2:3]
	v_add_u32_e32 v2, 16, v0
	v_cmp_le_i32_e64 s[2:3], v4, v2
	v_cmp_gt_i32_e64 s[0:1], s12, v2
	s_and_b64 s[2:3], s[2:3], s[0:1]
	s_and_saveexec_b64 s[4:5], s[2:3]
	s_cbranch_execz .LBB618_8
; %bb.7:
	v_ashrrev_i32_e32 v3, 31, v2
	v_lshlrev_b64 v[7:8], 3, v[2:3]
	v_add_co_u32_e64 v5, s[2:3], v5, v7
	v_addc_co_u32_e64 v6, s[2:3], v6, v8, s[2:3]
	flat_load_dwordx2 v[7:8], v[5:6]
	s_waitcnt vmcnt(0) lgkmcnt(0)
	v_add_f32_e32 v7, v19, v7
	v_add_f32_e32 v8, v18, v8
	flat_store_dwordx2 v[5:6], v[7:8]
.LBB618_8:
	s_or_b64 exec, exec, s[4:5]
	v_add_u32_e32 v3, 16, v4
	v_mad_i64_i32 v[4:5], s[2:3], v3, s6, 0
	v_mov_b32_e32 v1, s11
	v_lshlrev_b64 v[4:5], 3, v[4:5]
	v_add_co_u32_e64 v4, s[2:3], s10, v4
	v_addc_co_u32_e64 v5, s[2:3], v1, v5, s[2:3]
	v_cmp_le_i32_e64 s[2:3], v3, v0
	s_and_b64 s[4:5], s[2:3], vcc
	s_and_saveexec_b64 s[2:3], s[4:5]
	s_cbranch_execz .LBB618_10
; %bb.9:
	v_ashrrev_i32_e32 v1, 31, v0
	v_lshlrev_b64 v[0:1], 3, v[0:1]
	v_add_co_u32_e32 v0, vcc, v4, v0
	v_addc_co_u32_e32 v1, vcc, v5, v1, vcc
	flat_load_dwordx2 v[6:7], v[0:1]
	s_waitcnt vmcnt(0) lgkmcnt(0)
	v_add_f32_e32 v6, v17, v6
	v_add_f32_e32 v7, v16, v7
	flat_store_dwordx2 v[0:1], v[6:7]
.LBB618_10:
	s_or_b64 exec, exec, s[2:3]
	v_cmp_le_i32_e32 vcc, v3, v2
	s_and_b64 s[0:1], vcc, s[0:1]
	s_and_saveexec_b64 s[2:3], s[0:1]
	s_cbranch_execz .LBB618_12
; %bb.11:
	v_ashrrev_i32_e32 v3, 31, v2
	v_lshlrev_b64 v[0:1], 3, v[2:3]
	v_add_co_u32_e32 v0, vcc, v4, v0
	v_addc_co_u32_e32 v1, vcc, v5, v1, vcc
	flat_load_dwordx2 v[2:3], v[0:1]
	s_waitcnt vmcnt(0) lgkmcnt(0)
	v_add_f32_e32 v2, v15, v2
	v_add_f32_e32 v3, v10, v3
	flat_store_dwordx2 v[0:1], v[2:3]
.LBB618_12:
	s_endpgm
	.section	.rodata,"a",@progbits
	.p2align	6, 0x0
	.amdhsa_kernel _ZL37rocblas_syrkx_herkx_restricted_kernelIi19rocblas_complex_numIfELi16ELi32ELi8ELi1ELi1ELb0ELc84ELc76EKPKS1_KPS1_EviT_PT9_S7_lS9_S7_lPT10_S7_li
		.amdhsa_group_segment_fixed_size 4096
		.amdhsa_private_segment_fixed_size 0
		.amdhsa_kernarg_size 84
		.amdhsa_user_sgpr_count 6
		.amdhsa_user_sgpr_private_segment_buffer 1
		.amdhsa_user_sgpr_dispatch_ptr 0
		.amdhsa_user_sgpr_queue_ptr 0
		.amdhsa_user_sgpr_kernarg_segment_ptr 1
		.amdhsa_user_sgpr_dispatch_id 0
		.amdhsa_user_sgpr_flat_scratch_init 0
		.amdhsa_user_sgpr_private_segment_size 0
		.amdhsa_uses_dynamic_stack 0
		.amdhsa_system_sgpr_private_segment_wavefront_offset 0
		.amdhsa_system_sgpr_workgroup_id_x 1
		.amdhsa_system_sgpr_workgroup_id_y 1
		.amdhsa_system_sgpr_workgroup_id_z 1
		.amdhsa_system_sgpr_workgroup_info 0
		.amdhsa_system_vgpr_workitem_id 1
		.amdhsa_next_free_vgpr 41
		.amdhsa_next_free_sgpr 17
		.amdhsa_reserve_vcc 1
		.amdhsa_reserve_flat_scratch 0
		.amdhsa_float_round_mode_32 0
		.amdhsa_float_round_mode_16_64 0
		.amdhsa_float_denorm_mode_32 3
		.amdhsa_float_denorm_mode_16_64 3
		.amdhsa_dx10_clamp 1
		.amdhsa_ieee_mode 1
		.amdhsa_fp16_overflow 0
		.amdhsa_exception_fp_ieee_invalid_op 0
		.amdhsa_exception_fp_denorm_src 0
		.amdhsa_exception_fp_ieee_div_zero 0
		.amdhsa_exception_fp_ieee_overflow 0
		.amdhsa_exception_fp_ieee_underflow 0
		.amdhsa_exception_fp_ieee_inexact 0
		.amdhsa_exception_int_div_zero 0
	.end_amdhsa_kernel
	.section	.text._ZL37rocblas_syrkx_herkx_restricted_kernelIi19rocblas_complex_numIfELi16ELi32ELi8ELi1ELi1ELb0ELc84ELc76EKPKS1_KPS1_EviT_PT9_S7_lS9_S7_lPT10_S7_li,"axG",@progbits,_ZL37rocblas_syrkx_herkx_restricted_kernelIi19rocblas_complex_numIfELi16ELi32ELi8ELi1ELi1ELb0ELc84ELc76EKPKS1_KPS1_EviT_PT9_S7_lS9_S7_lPT10_S7_li,comdat
.Lfunc_end618:
	.size	_ZL37rocblas_syrkx_herkx_restricted_kernelIi19rocblas_complex_numIfELi16ELi32ELi8ELi1ELi1ELb0ELc84ELc76EKPKS1_KPS1_EviT_PT9_S7_lS9_S7_lPT10_S7_li, .Lfunc_end618-_ZL37rocblas_syrkx_herkx_restricted_kernelIi19rocblas_complex_numIfELi16ELi32ELi8ELi1ELi1ELb0ELc84ELc76EKPKS1_KPS1_EviT_PT9_S7_lS9_S7_lPT10_S7_li
                                        ; -- End function
	.set _ZL37rocblas_syrkx_herkx_restricted_kernelIi19rocblas_complex_numIfELi16ELi32ELi8ELi1ELi1ELb0ELc84ELc76EKPKS1_KPS1_EviT_PT9_S7_lS9_S7_lPT10_S7_li.num_vgpr, 41
	.set _ZL37rocblas_syrkx_herkx_restricted_kernelIi19rocblas_complex_numIfELi16ELi32ELi8ELi1ELi1ELb0ELc84ELc76EKPKS1_KPS1_EviT_PT9_S7_lS9_S7_lPT10_S7_li.num_agpr, 0
	.set _ZL37rocblas_syrkx_herkx_restricted_kernelIi19rocblas_complex_numIfELi16ELi32ELi8ELi1ELi1ELb0ELc84ELc76EKPKS1_KPS1_EviT_PT9_S7_lS9_S7_lPT10_S7_li.numbered_sgpr, 17
	.set _ZL37rocblas_syrkx_herkx_restricted_kernelIi19rocblas_complex_numIfELi16ELi32ELi8ELi1ELi1ELb0ELc84ELc76EKPKS1_KPS1_EviT_PT9_S7_lS9_S7_lPT10_S7_li.num_named_barrier, 0
	.set _ZL37rocblas_syrkx_herkx_restricted_kernelIi19rocblas_complex_numIfELi16ELi32ELi8ELi1ELi1ELb0ELc84ELc76EKPKS1_KPS1_EviT_PT9_S7_lS9_S7_lPT10_S7_li.private_seg_size, 0
	.set _ZL37rocblas_syrkx_herkx_restricted_kernelIi19rocblas_complex_numIfELi16ELi32ELi8ELi1ELi1ELb0ELc84ELc76EKPKS1_KPS1_EviT_PT9_S7_lS9_S7_lPT10_S7_li.uses_vcc, 1
	.set _ZL37rocblas_syrkx_herkx_restricted_kernelIi19rocblas_complex_numIfELi16ELi32ELi8ELi1ELi1ELb0ELc84ELc76EKPKS1_KPS1_EviT_PT9_S7_lS9_S7_lPT10_S7_li.uses_flat_scratch, 0
	.set _ZL37rocblas_syrkx_herkx_restricted_kernelIi19rocblas_complex_numIfELi16ELi32ELi8ELi1ELi1ELb0ELc84ELc76EKPKS1_KPS1_EviT_PT9_S7_lS9_S7_lPT10_S7_li.has_dyn_sized_stack, 0
	.set _ZL37rocblas_syrkx_herkx_restricted_kernelIi19rocblas_complex_numIfELi16ELi32ELi8ELi1ELi1ELb0ELc84ELc76EKPKS1_KPS1_EviT_PT9_S7_lS9_S7_lPT10_S7_li.has_recursion, 0
	.set _ZL37rocblas_syrkx_herkx_restricted_kernelIi19rocblas_complex_numIfELi16ELi32ELi8ELi1ELi1ELb0ELc84ELc76EKPKS1_KPS1_EviT_PT9_S7_lS9_S7_lPT10_S7_li.has_indirect_call, 0
	.section	.AMDGPU.csdata,"",@progbits
; Kernel info:
; codeLenInByte = 1900
; TotalNumSgprs: 21
; NumVgprs: 41
; ScratchSize: 0
; MemoryBound: 0
; FloatMode: 240
; IeeeMode: 1
; LDSByteSize: 4096 bytes/workgroup (compile time only)
; SGPRBlocks: 2
; VGPRBlocks: 10
; NumSGPRsForWavesPerEU: 21
; NumVGPRsForWavesPerEU: 41
; Occupancy: 5
; WaveLimiterHint : 1
; COMPUTE_PGM_RSRC2:SCRATCH_EN: 0
; COMPUTE_PGM_RSRC2:USER_SGPR: 6
; COMPUTE_PGM_RSRC2:TRAP_HANDLER: 0
; COMPUTE_PGM_RSRC2:TGID_X_EN: 1
; COMPUTE_PGM_RSRC2:TGID_Y_EN: 1
; COMPUTE_PGM_RSRC2:TGID_Z_EN: 1
; COMPUTE_PGM_RSRC2:TIDIG_COMP_CNT: 1
	.section	.text._ZL37rocblas_syrkx_herkx_restricted_kernelIi19rocblas_complex_numIfELi16ELi32ELi8ELi1ELi1ELb0ELc67ELc76EKPKS1_KPS1_EviT_PT9_S7_lS9_S7_lPT10_S7_li,"axG",@progbits,_ZL37rocblas_syrkx_herkx_restricted_kernelIi19rocblas_complex_numIfELi16ELi32ELi8ELi1ELi1ELb0ELc67ELc76EKPKS1_KPS1_EviT_PT9_S7_lS9_S7_lPT10_S7_li,comdat
	.globl	_ZL37rocblas_syrkx_herkx_restricted_kernelIi19rocblas_complex_numIfELi16ELi32ELi8ELi1ELi1ELb0ELc67ELc76EKPKS1_KPS1_EviT_PT9_S7_lS9_S7_lPT10_S7_li ; -- Begin function _ZL37rocblas_syrkx_herkx_restricted_kernelIi19rocblas_complex_numIfELi16ELi32ELi8ELi1ELi1ELb0ELc67ELc76EKPKS1_KPS1_EviT_PT9_S7_lS9_S7_lPT10_S7_li
	.p2align	8
	.type	_ZL37rocblas_syrkx_herkx_restricted_kernelIi19rocblas_complex_numIfELi16ELi32ELi8ELi1ELi1ELb0ELc67ELc76EKPKS1_KPS1_EviT_PT9_S7_lS9_S7_lPT10_S7_li,@function
_ZL37rocblas_syrkx_herkx_restricted_kernelIi19rocblas_complex_numIfELi16ELi32ELi8ELi1ELi1ELb0ELc67ELc76EKPKS1_KPS1_EviT_PT9_S7_lS9_S7_lPT10_S7_li: ; @_ZL37rocblas_syrkx_herkx_restricted_kernelIi19rocblas_complex_numIfELi16ELi32ELi8ELi1ELi1ELb0ELc67ELc76EKPKS1_KPS1_EviT_PT9_S7_lS9_S7_lPT10_S7_li
; %bb.0:
	s_load_dwordx2 s[2:3], s[4:5], 0x38
	s_load_dwordx2 s[12:13], s[4:5], 0x0
	s_mov_b32 s9, 0
	s_lshl_b64 s[0:1], s[8:9], 3
	s_waitcnt lgkmcnt(0)
	s_add_u32 s2, s2, s0
	s_addc_u32 s3, s3, s1
	s_load_dwordx2 s[10:11], s[2:3], 0x0
	s_lshl_b32 s2, s6, 5
	s_lshl_b32 s3, s7, 5
	s_cmp_lt_i32 s13, 1
	s_cbranch_scc1 .LBB619_3
; %bb.1:
	v_lshl_add_u32 v4, v1, 4, v0
	s_load_dwordx2 s[6:7], s[4:5], 0x8
	s_load_dword s8, s[4:5], 0x10
	s_load_dwordx2 s[14:15], s[4:5], 0x20
	s_load_dword s16, s[4:5], 0x28
	v_and_b32_e32 v7, 31, v4
	v_lshrrev_b32_e32 v6, 3, v4
	v_and_b32_e32 v9, 7, v0
	v_lshrrev_b32_e32 v4, 5, v4
	v_lshlrev_b32_e32 v8, 3, v7
	s_waitcnt lgkmcnt(0)
	s_add_u32 s6, s6, s0
	v_lshl_or_b32 v11, v4, 8, v8
	v_lshlrev_b32_e32 v8, 3, v9
	s_addc_u32 s7, s7, s1
	v_add_u32_e32 v2, s3, v6
	v_mov_b32_e32 v10, 0
	v_lshl_or_b32 v6, v6, 6, v8
	s_add_u32 s0, s14, s0
	v_mov_b32_e32 v5, v10
	v_add_u32_e32 v12, 0x800, v6
	v_add_u32_e32 v6, s2, v7
	s_addc_u32 s1, s15, s1
	v_mad_i64_i32 v[4:5], s[14:15], s8, v6, v[4:5]
	s_load_dwordx2 s[6:7], s[6:7], 0x0
	v_mad_i64_i32 v[2:3], s[14:15], s16, v2, v[9:10]
	s_load_dwordx2 s[0:1], s[0:1], 0x0
	v_lshlrev_b64 v[4:5], 3, v[4:5]
	v_mov_b32_e32 v6, 0x800
	v_lshl_add_u32 v14, v1, 6, v6
	s_waitcnt lgkmcnt(0)
	v_mov_b32_e32 v7, s7
	v_add_co_u32_e32 v6, vcc, s6, v4
	v_lshlrev_b64 v[2:3], 3, v[2:3]
	v_addc_co_u32_e32 v7, vcc, v7, v5, vcc
	v_mov_b32_e32 v4, s1
	v_add_co_u32_e32 v8, vcc, s0, v2
	v_lshlrev_b32_e32 v13, 3, v0
	v_addc_co_u32_e32 v9, vcc, v4, v3, vcc
	v_mov_b32_e32 v15, v10
	v_mov_b32_e32 v16, v10
	;; [unrolled: 1-line block ×7, first 2 shown]
.LBB619_2:                              ; =>This Inner Loop Header: Depth=1
	flat_load_dwordx2 v[2:3], v[6:7]
	v_add_co_u32_e32 v6, vcc, 64, v6
	v_addc_co_u32_e32 v7, vcc, 0, v7, vcc
	s_add_i32 s9, s9, 8
	s_cmp_ge_i32 s9, s13
	s_waitcnt vmcnt(0) lgkmcnt(0)
	ds_write_b64 v11, v[2:3]
	flat_load_dwordx2 v[2:3], v[8:9]
	v_add_co_u32_e32 v8, vcc, 64, v8
	v_addc_co_u32_e32 v9, vcc, 0, v9, vcc
	s_waitcnt vmcnt(0) lgkmcnt(0)
	ds_write_b64 v12, v[2:3]
	s_waitcnt lgkmcnt(0)
	s_barrier
	ds_read_b128 v[22:25], v14
	ds_read_b128 v[26:29], v14 offset:16
	ds_read_b128 v[30:33], v14 offset:32
	;; [unrolled: 1-line block ×3, first 2 shown]
	ds_read2_b64 v[34:37], v13 offset1:16
	s_waitcnt lgkmcnt(0)
	v_mul_f32_e32 v38, v23, v35
	v_mul_f32_e32 v39, v22, v35
	v_fma_f32 v38, v22, v34, -v38
	v_fmac_f32_e32 v39, v23, v34
	v_add_f32_e32 v38, v20, v38
	v_add_f32_e32 v39, v21, v39
	v_mul_f32_e32 v20, v23, v37
	v_mul_f32_e32 v21, v22, v37
	v_fma_f32 v20, v22, v36, -v20
	v_fmac_f32_e32 v21, v23, v36
	v_add_f32_e32 v22, v19, v20
	v_add_f32_e32 v23, v18, v21
	ds_read_b128 v[18:21], v14 offset:1024
	s_waitcnt lgkmcnt(0)
	v_mul_f32_e32 v40, v19, v35
	v_mul_f32_e32 v35, v18, v35
	v_fma_f32 v40, v18, v34, -v40
	v_fmac_f32_e32 v35, v19, v34
	v_add_f32_e32 v34, v17, v40
	v_add_f32_e32 v35, v16, v35
	v_mul_f32_e32 v16, v19, v37
	v_mul_f32_e32 v17, v18, v37
	v_fma_f32 v16, v18, v36, -v16
	v_fmac_f32_e32 v17, v19, v36
	v_add_f32_e32 v19, v15, v16
	v_add_f32_e32 v10, v10, v17
	ds_read2_b64 v[15:18], v13 offset0:32 offset1:48
	s_waitcnt lgkmcnt(0)
	v_mul_f32_e32 v36, v25, v16
	v_fma_f32 v36, v24, v15, -v36
	v_add_f32_e32 v36, v38, v36
	v_mul_f32_e32 v38, v25, v18
	v_mul_f32_e32 v37, v24, v16
	v_fma_f32 v38, v24, v17, -v38
	v_mul_f32_e32 v24, v24, v18
	v_fmac_f32_e32 v24, v25, v17
	v_add_f32_e32 v23, v23, v24
	v_mul_f32_e32 v24, v21, v16
	v_mul_f32_e32 v16, v20, v16
	v_fmac_f32_e32 v16, v21, v15
	v_fmac_f32_e32 v37, v25, v15
	v_fma_f32 v24, v20, v15, -v24
	v_add_f32_e32 v25, v35, v16
	v_mul_f32_e32 v15, v21, v18
	v_mul_f32_e32 v16, v20, v18
	v_fma_f32 v15, v20, v17, -v15
	v_fmac_f32_e32 v16, v21, v17
	v_add_f32_e32 v24, v34, v24
	v_add_f32_e32 v34, v19, v15
	;; [unrolled: 1-line block ×3, first 2 shown]
	ds_read2_b64 v[15:18], v13 offset0:64 offset1:80
	v_add_f32_e32 v37, v39, v37
	v_add_f32_e32 v22, v22, v38
	s_waitcnt lgkmcnt(0)
	v_mul_f32_e32 v19, v27, v16
	v_mul_f32_e32 v20, v26, v16
	v_fma_f32 v19, v26, v15, -v19
	v_fmac_f32_e32 v20, v27, v15
	v_add_f32_e32 v35, v36, v19
	v_add_f32_e32 v36, v37, v20
	v_mul_f32_e32 v19, v27, v18
	v_mul_f32_e32 v20, v26, v18
	v_fma_f32 v19, v26, v17, -v19
	v_fmac_f32_e32 v20, v27, v17
	v_add_f32_e32 v26, v22, v19
	v_add_f32_e32 v23, v23, v20
	ds_read_b128 v[19:22], v14 offset:1040
	s_waitcnt lgkmcnt(0)
	v_mul_f32_e32 v27, v20, v16
	v_mul_f32_e32 v16, v19, v16
	v_fmac_f32_e32 v16, v20, v15
	v_fma_f32 v27, v19, v15, -v27
	v_add_f32_e32 v25, v25, v16
	v_mul_f32_e32 v15, v20, v18
	v_mul_f32_e32 v16, v19, v18
	v_fma_f32 v15, v19, v17, -v15
	v_fmac_f32_e32 v16, v20, v17
	v_add_f32_e32 v19, v34, v15
	v_add_f32_e32 v10, v10, v16
	ds_read2_b64 v[15:18], v13 offset0:96 offset1:112
	v_add_f32_e32 v24, v24, v27
	s_waitcnt lgkmcnt(0)
	v_mul_f32_e32 v20, v29, v16
	v_mul_f32_e32 v34, v29, v18
	v_fma_f32 v20, v28, v15, -v20
	v_mul_f32_e32 v27, v28, v16
	v_fma_f32 v34, v28, v17, -v34
	v_mul_f32_e32 v28, v28, v18
	v_fmac_f32_e32 v28, v29, v17
	v_add_f32_e32 v23, v23, v28
	v_mul_f32_e32 v28, v22, v16
	v_mul_f32_e32 v16, v21, v16
	v_fmac_f32_e32 v16, v22, v15
	v_fmac_f32_e32 v27, v29, v15
	v_fma_f32 v28, v21, v15, -v28
	v_add_f32_e32 v25, v25, v16
	v_mul_f32_e32 v15, v22, v18
	v_mul_f32_e32 v16, v21, v18
	v_fma_f32 v15, v21, v17, -v15
	v_fmac_f32_e32 v16, v22, v17
	v_add_f32_e32 v24, v24, v28
	v_add_f32_e32 v28, v19, v15
	v_add_f32_e32 v10, v10, v16
	ds_read2_b64 v[15:18], v13 offset0:128 offset1:144
	v_add_f32_e32 v20, v35, v20
	v_add_f32_e32 v27, v36, v27
	;; [unrolled: 1-line block ×3, first 2 shown]
	s_waitcnt lgkmcnt(0)
	v_mul_f32_e32 v19, v31, v16
	v_fma_f32 v19, v30, v15, -v19
	v_mul_f32_e32 v21, v30, v16
	v_add_f32_e32 v29, v20, v19
	v_mul_f32_e32 v19, v31, v18
	v_mul_f32_e32 v20, v30, v18
	v_fmac_f32_e32 v21, v31, v15
	v_fma_f32 v19, v30, v17, -v19
	v_fmac_f32_e32 v20, v31, v17
	v_add_f32_e32 v27, v27, v21
	v_add_f32_e32 v26, v26, v19
	v_add_f32_e32 v23, v23, v20
	ds_read_b128 v[19:22], v14 offset:1056
	s_waitcnt lgkmcnt(0)
	v_mul_f32_e32 v30, v20, v16
	v_mul_f32_e32 v16, v19, v16
	v_fmac_f32_e32 v16, v20, v15
	v_fma_f32 v30, v19, v15, -v30
	v_add_f32_e32 v25, v25, v16
	v_mul_f32_e32 v15, v20, v18
	v_mul_f32_e32 v16, v19, v18
	v_fma_f32 v15, v19, v17, -v15
	v_fmac_f32_e32 v16, v20, v17
	v_add_f32_e32 v19, v28, v15
	v_add_f32_e32 v10, v10, v16
	ds_read2_b64 v[15:18], v13 offset0:160 offset1:176
	v_add_f32_e32 v24, v24, v30
	s_waitcnt lgkmcnt(0)
	v_mul_f32_e32 v28, v32, v16
	v_fmac_f32_e32 v28, v33, v15
	v_add_f32_e32 v27, v27, v28
	v_mul_f32_e32 v28, v33, v18
	v_fma_f32 v28, v32, v17, -v28
	v_mul_f32_e32 v20, v33, v16
	v_add_f32_e32 v26, v26, v28
	v_mul_f32_e32 v28, v22, v16
	v_mul_f32_e32 v16, v21, v16
	v_fmac_f32_e32 v16, v22, v15
	v_fma_f32 v20, v32, v15, -v20
	v_fma_f32 v28, v21, v15, -v28
	v_add_f32_e32 v25, v25, v16
	v_mul_f32_e32 v15, v22, v18
	v_mul_f32_e32 v16, v21, v18
	v_add_f32_e32 v20, v29, v20
	v_mul_f32_e32 v29, v32, v18
	v_fma_f32 v15, v21, v17, -v15
	v_fmac_f32_e32 v16, v22, v17
	v_fmac_f32_e32 v29, v33, v17
	v_add_f32_e32 v19, v19, v15
	v_add_f32_e32 v10, v10, v16
	ds_read2_b64 v[15:18], v13 offset0:192 offset1:208
	v_add_f32_e32 v24, v24, v28
	v_add_f32_e32 v23, v23, v29
	s_waitcnt lgkmcnt(0)
	v_mul_f32_e32 v21, v3, v16
	v_fma_f32 v21, v2, v15, -v21
	v_add_f32_e32 v28, v20, v21
	v_mul_f32_e32 v20, v3, v18
	v_mul_f32_e32 v22, v2, v16
	v_fma_f32 v20, v2, v17, -v20
	v_mul_f32_e32 v2, v2, v18
	v_fmac_f32_e32 v22, v3, v15
	v_fmac_f32_e32 v2, v3, v17
	v_add_f32_e32 v29, v27, v22
	v_add_f32_e32 v3, v26, v20
	v_add_f32_e32 v2, v23, v2
	ds_read_b128 v[20:23], v14 offset:1072
	s_waitcnt lgkmcnt(0)
	v_mul_f32_e32 v26, v21, v16
	v_fma_f32 v26, v20, v15, -v26
	v_mul_f32_e32 v16, v20, v16
	v_fmac_f32_e32 v16, v21, v15
	v_add_f32_e32 v15, v24, v26
	v_mul_f32_e32 v24, v21, v18
	v_fma_f32 v24, v20, v17, -v24
	v_add_f32_e32 v16, v25, v16
	v_add_f32_e32 v30, v19, v24
	ds_read2_b64 v[24:27], v13 offset0:224 offset1:240
	v_mul_f32_e32 v18, v20, v18
	v_fmac_f32_e32 v18, v21, v17
	v_add_f32_e32 v10, v10, v18
	s_waitcnt lgkmcnt(0)
	v_mul_f32_e32 v17, v5, v25
	v_fma_f32 v17, v4, v24, -v17
	v_add_f32_e32 v20, v28, v17
	v_mul_f32_e32 v17, v5, v27
	v_mul_f32_e32 v18, v4, v25
	v_fma_f32 v17, v4, v26, -v17
	v_mul_f32_e32 v4, v4, v27
	v_fmac_f32_e32 v18, v5, v24
	v_fmac_f32_e32 v4, v5, v26
	v_add_f32_e32 v21, v29, v18
	v_add_f32_e32 v19, v3, v17
	v_add_f32_e32 v18, v2, v4
	v_mul_f32_e32 v2, v23, v25
	v_mul_f32_e32 v3, v22, v25
	v_fma_f32 v2, v22, v24, -v2
	v_fmac_f32_e32 v3, v23, v24
	v_add_f32_e32 v17, v15, v2
	v_add_f32_e32 v16, v16, v3
	v_mul_f32_e32 v2, v23, v27
	v_mul_f32_e32 v3, v22, v27
	v_fma_f32 v2, v22, v26, -v2
	v_fmac_f32_e32 v3, v23, v26
	v_add_f32_e32 v15, v30, v2
	v_add_f32_e32 v10, v10, v3
	s_barrier
	s_cbranch_scc0 .LBB619_2
	s_branch .LBB619_4
.LBB619_3:
	v_mov_b32_e32 v20, 0
	v_mov_b32_e32 v21, 0
	;; [unrolled: 1-line block ×8, first 2 shown]
.LBB619_4:
	s_load_dword s6, s[4:5], 0x40
	v_add_u32_e32 v4, s3, v1
	s_waitcnt lgkmcnt(0)
	v_mov_b32_e32 v3, s11
	v_add_u32_e32 v0, s2, v0
	v_mad_i64_i32 v[1:2], s[0:1], v4, s6, 0
	v_cmp_le_i32_e64 s[0:1], v4, v0
	v_lshlrev_b64 v[1:2], 3, v[1:2]
	v_add_co_u32_e32 v5, vcc, s10, v1
	v_addc_co_u32_e32 v6, vcc, v3, v2, vcc
	v_cmp_gt_i32_e32 vcc, s12, v0
	s_and_b64 s[0:1], s[0:1], vcc
	s_and_saveexec_b64 s[2:3], s[0:1]
	s_cbranch_execz .LBB619_6
; %bb.5:
	v_ashrrev_i32_e32 v1, 31, v0
	v_lshlrev_b64 v[1:2], 3, v[0:1]
	v_add_co_u32_e64 v1, s[0:1], v5, v1
	v_addc_co_u32_e64 v2, s[0:1], v6, v2, s[0:1]
	flat_load_dwordx2 v[7:8], v[1:2]
	s_waitcnt vmcnt(0) lgkmcnt(0)
	v_add_f32_e32 v7, v20, v7
	v_add_f32_e32 v8, v21, v8
	flat_store_dwordx2 v[1:2], v[7:8]
.LBB619_6:
	s_or_b64 exec, exec, s[2:3]
	v_add_u32_e32 v2, 16, v0
	v_cmp_le_i32_e64 s[2:3], v4, v2
	v_cmp_gt_i32_e64 s[0:1], s12, v2
	s_and_b64 s[2:3], s[2:3], s[0:1]
	s_and_saveexec_b64 s[4:5], s[2:3]
	s_cbranch_execz .LBB619_8
; %bb.7:
	v_ashrrev_i32_e32 v3, 31, v2
	v_lshlrev_b64 v[7:8], 3, v[2:3]
	v_add_co_u32_e64 v5, s[2:3], v5, v7
	v_addc_co_u32_e64 v6, s[2:3], v6, v8, s[2:3]
	flat_load_dwordx2 v[7:8], v[5:6]
	s_waitcnt vmcnt(0) lgkmcnt(0)
	v_add_f32_e32 v7, v19, v7
	v_add_f32_e32 v8, v18, v8
	flat_store_dwordx2 v[5:6], v[7:8]
.LBB619_8:
	s_or_b64 exec, exec, s[4:5]
	v_add_u32_e32 v3, 16, v4
	v_mad_i64_i32 v[4:5], s[2:3], v3, s6, 0
	v_mov_b32_e32 v1, s11
	v_lshlrev_b64 v[4:5], 3, v[4:5]
	v_add_co_u32_e64 v4, s[2:3], s10, v4
	v_addc_co_u32_e64 v5, s[2:3], v1, v5, s[2:3]
	v_cmp_le_i32_e64 s[2:3], v3, v0
	s_and_b64 s[4:5], s[2:3], vcc
	s_and_saveexec_b64 s[2:3], s[4:5]
	s_cbranch_execz .LBB619_10
; %bb.9:
	v_ashrrev_i32_e32 v1, 31, v0
	v_lshlrev_b64 v[0:1], 3, v[0:1]
	v_add_co_u32_e32 v0, vcc, v4, v0
	v_addc_co_u32_e32 v1, vcc, v5, v1, vcc
	flat_load_dwordx2 v[6:7], v[0:1]
	s_waitcnt vmcnt(0) lgkmcnt(0)
	v_add_f32_e32 v6, v17, v6
	v_add_f32_e32 v7, v16, v7
	flat_store_dwordx2 v[0:1], v[6:7]
.LBB619_10:
	s_or_b64 exec, exec, s[2:3]
	v_cmp_le_i32_e32 vcc, v3, v2
	s_and_b64 s[0:1], vcc, s[0:1]
	s_and_saveexec_b64 s[2:3], s[0:1]
	s_cbranch_execz .LBB619_12
; %bb.11:
	v_ashrrev_i32_e32 v3, 31, v2
	v_lshlrev_b64 v[0:1], 3, v[2:3]
	v_add_co_u32_e32 v0, vcc, v4, v0
	v_addc_co_u32_e32 v1, vcc, v5, v1, vcc
	flat_load_dwordx2 v[2:3], v[0:1]
	s_waitcnt vmcnt(0) lgkmcnt(0)
	v_add_f32_e32 v2, v15, v2
	v_add_f32_e32 v3, v10, v3
	flat_store_dwordx2 v[0:1], v[2:3]
.LBB619_12:
	s_endpgm
	.section	.rodata,"a",@progbits
	.p2align	6, 0x0
	.amdhsa_kernel _ZL37rocblas_syrkx_herkx_restricted_kernelIi19rocblas_complex_numIfELi16ELi32ELi8ELi1ELi1ELb0ELc67ELc76EKPKS1_KPS1_EviT_PT9_S7_lS9_S7_lPT10_S7_li
		.amdhsa_group_segment_fixed_size 4096
		.amdhsa_private_segment_fixed_size 0
		.amdhsa_kernarg_size 84
		.amdhsa_user_sgpr_count 6
		.amdhsa_user_sgpr_private_segment_buffer 1
		.amdhsa_user_sgpr_dispatch_ptr 0
		.amdhsa_user_sgpr_queue_ptr 0
		.amdhsa_user_sgpr_kernarg_segment_ptr 1
		.amdhsa_user_sgpr_dispatch_id 0
		.amdhsa_user_sgpr_flat_scratch_init 0
		.amdhsa_user_sgpr_private_segment_size 0
		.amdhsa_uses_dynamic_stack 0
		.amdhsa_system_sgpr_private_segment_wavefront_offset 0
		.amdhsa_system_sgpr_workgroup_id_x 1
		.amdhsa_system_sgpr_workgroup_id_y 1
		.amdhsa_system_sgpr_workgroup_id_z 1
		.amdhsa_system_sgpr_workgroup_info 0
		.amdhsa_system_vgpr_workitem_id 1
		.amdhsa_next_free_vgpr 41
		.amdhsa_next_free_sgpr 17
		.amdhsa_reserve_vcc 1
		.amdhsa_reserve_flat_scratch 0
		.amdhsa_float_round_mode_32 0
		.amdhsa_float_round_mode_16_64 0
		.amdhsa_float_denorm_mode_32 3
		.amdhsa_float_denorm_mode_16_64 3
		.amdhsa_dx10_clamp 1
		.amdhsa_ieee_mode 1
		.amdhsa_fp16_overflow 0
		.amdhsa_exception_fp_ieee_invalid_op 0
		.amdhsa_exception_fp_denorm_src 0
		.amdhsa_exception_fp_ieee_div_zero 0
		.amdhsa_exception_fp_ieee_overflow 0
		.amdhsa_exception_fp_ieee_underflow 0
		.amdhsa_exception_fp_ieee_inexact 0
		.amdhsa_exception_int_div_zero 0
	.end_amdhsa_kernel
	.section	.text._ZL37rocblas_syrkx_herkx_restricted_kernelIi19rocblas_complex_numIfELi16ELi32ELi8ELi1ELi1ELb0ELc67ELc76EKPKS1_KPS1_EviT_PT9_S7_lS9_S7_lPT10_S7_li,"axG",@progbits,_ZL37rocblas_syrkx_herkx_restricted_kernelIi19rocblas_complex_numIfELi16ELi32ELi8ELi1ELi1ELb0ELc67ELc76EKPKS1_KPS1_EviT_PT9_S7_lS9_S7_lPT10_S7_li,comdat
.Lfunc_end619:
	.size	_ZL37rocblas_syrkx_herkx_restricted_kernelIi19rocblas_complex_numIfELi16ELi32ELi8ELi1ELi1ELb0ELc67ELc76EKPKS1_KPS1_EviT_PT9_S7_lS9_S7_lPT10_S7_li, .Lfunc_end619-_ZL37rocblas_syrkx_herkx_restricted_kernelIi19rocblas_complex_numIfELi16ELi32ELi8ELi1ELi1ELb0ELc67ELc76EKPKS1_KPS1_EviT_PT9_S7_lS9_S7_lPT10_S7_li
                                        ; -- End function
	.set _ZL37rocblas_syrkx_herkx_restricted_kernelIi19rocblas_complex_numIfELi16ELi32ELi8ELi1ELi1ELb0ELc67ELc76EKPKS1_KPS1_EviT_PT9_S7_lS9_S7_lPT10_S7_li.num_vgpr, 41
	.set _ZL37rocblas_syrkx_herkx_restricted_kernelIi19rocblas_complex_numIfELi16ELi32ELi8ELi1ELi1ELb0ELc67ELc76EKPKS1_KPS1_EviT_PT9_S7_lS9_S7_lPT10_S7_li.num_agpr, 0
	.set _ZL37rocblas_syrkx_herkx_restricted_kernelIi19rocblas_complex_numIfELi16ELi32ELi8ELi1ELi1ELb0ELc67ELc76EKPKS1_KPS1_EviT_PT9_S7_lS9_S7_lPT10_S7_li.numbered_sgpr, 17
	.set _ZL37rocblas_syrkx_herkx_restricted_kernelIi19rocblas_complex_numIfELi16ELi32ELi8ELi1ELi1ELb0ELc67ELc76EKPKS1_KPS1_EviT_PT9_S7_lS9_S7_lPT10_S7_li.num_named_barrier, 0
	.set _ZL37rocblas_syrkx_herkx_restricted_kernelIi19rocblas_complex_numIfELi16ELi32ELi8ELi1ELi1ELb0ELc67ELc76EKPKS1_KPS1_EviT_PT9_S7_lS9_S7_lPT10_S7_li.private_seg_size, 0
	.set _ZL37rocblas_syrkx_herkx_restricted_kernelIi19rocblas_complex_numIfELi16ELi32ELi8ELi1ELi1ELb0ELc67ELc76EKPKS1_KPS1_EviT_PT9_S7_lS9_S7_lPT10_S7_li.uses_vcc, 1
	.set _ZL37rocblas_syrkx_herkx_restricted_kernelIi19rocblas_complex_numIfELi16ELi32ELi8ELi1ELi1ELb0ELc67ELc76EKPKS1_KPS1_EviT_PT9_S7_lS9_S7_lPT10_S7_li.uses_flat_scratch, 0
	.set _ZL37rocblas_syrkx_herkx_restricted_kernelIi19rocblas_complex_numIfELi16ELi32ELi8ELi1ELi1ELb0ELc67ELc76EKPKS1_KPS1_EviT_PT9_S7_lS9_S7_lPT10_S7_li.has_dyn_sized_stack, 0
	.set _ZL37rocblas_syrkx_herkx_restricted_kernelIi19rocblas_complex_numIfELi16ELi32ELi8ELi1ELi1ELb0ELc67ELc76EKPKS1_KPS1_EviT_PT9_S7_lS9_S7_lPT10_S7_li.has_recursion, 0
	.set _ZL37rocblas_syrkx_herkx_restricted_kernelIi19rocblas_complex_numIfELi16ELi32ELi8ELi1ELi1ELb0ELc67ELc76EKPKS1_KPS1_EviT_PT9_S7_lS9_S7_lPT10_S7_li.has_indirect_call, 0
	.section	.AMDGPU.csdata,"",@progbits
; Kernel info:
; codeLenInByte = 1900
; TotalNumSgprs: 21
; NumVgprs: 41
; ScratchSize: 0
; MemoryBound: 0
; FloatMode: 240
; IeeeMode: 1
; LDSByteSize: 4096 bytes/workgroup (compile time only)
; SGPRBlocks: 2
; VGPRBlocks: 10
; NumSGPRsForWavesPerEU: 21
; NumVGPRsForWavesPerEU: 41
; Occupancy: 5
; WaveLimiterHint : 1
; COMPUTE_PGM_RSRC2:SCRATCH_EN: 0
; COMPUTE_PGM_RSRC2:USER_SGPR: 6
; COMPUTE_PGM_RSRC2:TRAP_HANDLER: 0
; COMPUTE_PGM_RSRC2:TGID_X_EN: 1
; COMPUTE_PGM_RSRC2:TGID_Y_EN: 1
; COMPUTE_PGM_RSRC2:TGID_Z_EN: 1
; COMPUTE_PGM_RSRC2:TIDIG_COMP_CNT: 1
	.section	.text._ZL37rocblas_syrkx_herkx_restricted_kernelIi19rocblas_complex_numIfELi16ELi32ELi8ELi1ELi1ELb0ELc78ELc76EKPKS1_KPS1_EviT_PT9_S7_lS9_S7_lPT10_S7_li,"axG",@progbits,_ZL37rocblas_syrkx_herkx_restricted_kernelIi19rocblas_complex_numIfELi16ELi32ELi8ELi1ELi1ELb0ELc78ELc76EKPKS1_KPS1_EviT_PT9_S7_lS9_S7_lPT10_S7_li,comdat
	.globl	_ZL37rocblas_syrkx_herkx_restricted_kernelIi19rocblas_complex_numIfELi16ELi32ELi8ELi1ELi1ELb0ELc78ELc76EKPKS1_KPS1_EviT_PT9_S7_lS9_S7_lPT10_S7_li ; -- Begin function _ZL37rocblas_syrkx_herkx_restricted_kernelIi19rocblas_complex_numIfELi16ELi32ELi8ELi1ELi1ELb0ELc78ELc76EKPKS1_KPS1_EviT_PT9_S7_lS9_S7_lPT10_S7_li
	.p2align	8
	.type	_ZL37rocblas_syrkx_herkx_restricted_kernelIi19rocblas_complex_numIfELi16ELi32ELi8ELi1ELi1ELb0ELc78ELc76EKPKS1_KPS1_EviT_PT9_S7_lS9_S7_lPT10_S7_li,@function
_ZL37rocblas_syrkx_herkx_restricted_kernelIi19rocblas_complex_numIfELi16ELi32ELi8ELi1ELi1ELb0ELc78ELc76EKPKS1_KPS1_EviT_PT9_S7_lS9_S7_lPT10_S7_li: ; @_ZL37rocblas_syrkx_herkx_restricted_kernelIi19rocblas_complex_numIfELi16ELi32ELi8ELi1ELi1ELb0ELc78ELc76EKPKS1_KPS1_EviT_PT9_S7_lS9_S7_lPT10_S7_li
; %bb.0:
	s_load_dwordx2 s[2:3], s[4:5], 0x38
	s_load_dwordx2 s[12:13], s[4:5], 0x0
	s_mov_b32 s9, 0
	s_lshl_b64 s[0:1], s[8:9], 3
	s_waitcnt lgkmcnt(0)
	s_add_u32 s2, s2, s0
	s_addc_u32 s3, s3, s1
	s_load_dwordx2 s[10:11], s[2:3], 0x0
	s_lshl_b32 s6, s6, 5
	s_lshl_b32 s7, s7, 5
	s_cmp_lt_i32 s13, 1
	s_cbranch_scc1 .LBB620_3
; %bb.1:
	s_load_dword s2, s[4:5], 0x10
	s_load_dword s14, s[4:5], 0x28
	s_load_dwordx2 s[16:17], s[4:5], 0x20
	s_load_dwordx2 s[18:19], s[4:5], 0x8
	v_lshl_add_u32 v5, v1, 4, v0
	s_waitcnt lgkmcnt(0)
	s_ashr_i32 s3, s2, 31
	s_ashr_i32 s15, s14, 31
	v_lshrrev_b32_e32 v6, 3, v5
	s_add_u32 s18, s18, s0
	s_addc_u32 s19, s19, s1
	s_add_u32 s0, s16, s0
	v_add_u32_e32 v2, s7, v6
	s_addc_u32 s1, s17, s1
	v_and_b32_e32 v4, 7, v0
	v_ashrrev_i32_e32 v3, 31, v2
	s_load_dwordx2 s[16:17], s[0:1], 0x0
	v_mad_i64_i32 v[2:3], s[0:1], s14, v4, v[2:3]
	v_lshlrev_b32_e32 v4, 3, v4
	v_lshrrev_b32_e32 v7, 5, v5
	v_and_b32_e32 v5, 31, v5
	v_lshl_or_b32 v4, v6, 6, v4
	v_add_u32_e32 v11, 0x800, v4
	v_add_u32_e32 v4, s6, v5
	v_lshlrev_b32_e32 v8, 3, v5
	v_ashrrev_i32_e32 v5, 31, v4
	v_mad_i64_i32 v[4:5], s[0:1], s2, v7, v[4:5]
	s_load_dwordx2 s[18:19], s[18:19], 0x0
	v_mov_b32_e32 v6, 0x800
	v_lshlrev_b64 v[4:5], 3, v[4:5]
	v_lshl_or_b32 v10, v7, 8, v8
	v_lshl_add_u32 v13, v1, 6, v6
	s_waitcnt lgkmcnt(0)
	v_mov_b32_e32 v7, s19
	v_add_co_u32_e32 v6, vcc, s18, v4
	v_lshlrev_b64 v[2:3], 3, v[2:3]
	v_addc_co_u32_e32 v7, vcc, v7, v5, vcc
	s_lshl_b64 s[0:1], s[2:3], 6
	v_mov_b32_e32 v4, s17
	v_add_co_u32_e32 v8, vcc, s16, v2
	s_lshl_b64 s[2:3], s[14:15], 6
	v_lshlrev_b32_e32 v12, 3, v0
	v_addc_co_u32_e32 v9, vcc, v4, v3, vcc
	v_mov_b32_e32 v16, 0
	v_mov_b32_e32 v14, s1
	;; [unrolled: 1-line block ×10, first 2 shown]
.LBB620_2:                              ; =>This Inner Loop Header: Depth=1
	flat_load_dwordx2 v[2:3], v[6:7]
	v_add_co_u32_e32 v6, vcc, s0, v6
	v_addc_co_u32_e32 v7, vcc, v7, v14, vcc
	s_add_i32 s9, s9, 8
	s_cmp_ge_i32 s9, s13
	s_waitcnt vmcnt(0) lgkmcnt(0)
	ds_write_b64 v10, v[2:3]
	flat_load_dwordx2 v[2:3], v[8:9]
	v_add_co_u32_e32 v8, vcc, s2, v8
	v_addc_co_u32_e32 v9, vcc, v9, v15, vcc
	s_waitcnt vmcnt(0) lgkmcnt(0)
	ds_write_b64 v11, v[2:3]
	s_waitcnt lgkmcnt(0)
	s_barrier
	ds_read_b128 v[24:27], v13
	ds_read_b128 v[28:31], v13 offset:16
	ds_read_b128 v[32:35], v13 offset:32
	;; [unrolled: 1-line block ×3, first 2 shown]
	ds_read2_b64 v[36:39], v12 offset1:16
	s_waitcnt lgkmcnt(0)
	v_mul_f32_e32 v40, v25, v37
	v_mul_f32_e32 v41, v24, v37
	v_fma_f32 v40, v24, v36, -v40
	v_fmac_f32_e32 v41, v25, v36
	v_add_f32_e32 v40, v22, v40
	v_add_f32_e32 v41, v23, v41
	v_mul_f32_e32 v22, v25, v39
	v_mul_f32_e32 v23, v24, v39
	v_fma_f32 v22, v24, v38, -v22
	v_fmac_f32_e32 v23, v25, v38
	v_add_f32_e32 v24, v21, v22
	v_add_f32_e32 v25, v20, v23
	ds_read_b128 v[20:23], v13 offset:1024
	s_waitcnt lgkmcnt(0)
	v_mul_f32_e32 v42, v21, v37
	v_mul_f32_e32 v37, v20, v37
	v_fma_f32 v42, v20, v36, -v42
	v_fmac_f32_e32 v37, v21, v36
	v_add_f32_e32 v36, v19, v42
	v_add_f32_e32 v37, v18, v37
	v_mul_f32_e32 v18, v21, v39
	v_mul_f32_e32 v19, v20, v39
	v_fma_f32 v18, v20, v38, -v18
	v_fmac_f32_e32 v19, v21, v38
	v_add_f32_e32 v20, v17, v18
	v_add_f32_e32 v21, v16, v19
	ds_read2_b64 v[16:19], v12 offset0:32 offset1:48
	s_waitcnt lgkmcnt(0)
	v_mul_f32_e32 v38, v27, v17
	v_fma_f32 v38, v26, v16, -v38
	v_add_f32_e32 v38, v40, v38
	v_mul_f32_e32 v40, v27, v19
	v_mul_f32_e32 v39, v26, v17
	v_fma_f32 v40, v26, v18, -v40
	v_mul_f32_e32 v26, v26, v19
	v_fmac_f32_e32 v26, v27, v18
	v_add_f32_e32 v25, v25, v26
	v_mul_f32_e32 v26, v23, v17
	v_mul_f32_e32 v17, v22, v17
	v_fmac_f32_e32 v17, v23, v16
	v_fmac_f32_e32 v39, v27, v16
	v_fma_f32 v26, v22, v16, -v26
	v_add_f32_e32 v27, v37, v17
	v_mul_f32_e32 v16, v23, v19
	v_mul_f32_e32 v17, v22, v19
	v_fma_f32 v16, v22, v18, -v16
	v_fmac_f32_e32 v17, v23, v18
	v_add_f32_e32 v26, v36, v26
	v_add_f32_e32 v36, v20, v16
	;; [unrolled: 1-line block ×3, first 2 shown]
	ds_read2_b64 v[16:19], v12 offset0:64 offset1:80
	v_add_f32_e32 v39, v41, v39
	v_add_f32_e32 v24, v24, v40
	s_waitcnt lgkmcnt(0)
	v_mul_f32_e32 v20, v29, v17
	v_mul_f32_e32 v21, v28, v17
	v_fma_f32 v20, v28, v16, -v20
	v_fmac_f32_e32 v21, v29, v16
	v_add_f32_e32 v38, v38, v20
	v_add_f32_e32 v39, v39, v21
	v_mul_f32_e32 v20, v29, v19
	v_mul_f32_e32 v21, v28, v19
	v_fma_f32 v20, v28, v18, -v20
	v_fmac_f32_e32 v21, v29, v18
	v_add_f32_e32 v24, v24, v20
	v_add_f32_e32 v25, v25, v21
	ds_read_b128 v[20:23], v13 offset:1040
	s_waitcnt lgkmcnt(0)
	v_mul_f32_e32 v28, v21, v17
	v_mul_f32_e32 v17, v20, v17
	v_fmac_f32_e32 v17, v21, v16
	v_fma_f32 v28, v20, v16, -v28
	v_add_f32_e32 v27, v27, v17
	v_mul_f32_e32 v16, v21, v19
	v_mul_f32_e32 v17, v20, v19
	v_fma_f32 v16, v20, v18, -v16
	v_fmac_f32_e32 v17, v21, v18
	v_add_f32_e32 v20, v36, v16
	v_add_f32_e32 v21, v37, v17
	ds_read2_b64 v[16:19], v12 offset0:96 offset1:112
	v_add_f32_e32 v26, v26, v28
	s_waitcnt lgkmcnt(0)
	v_mul_f32_e32 v28, v31, v17
	v_mul_f32_e32 v36, v31, v19
	v_fma_f32 v28, v30, v16, -v28
	v_mul_f32_e32 v29, v30, v17
	v_fma_f32 v36, v30, v18, -v36
	v_mul_f32_e32 v30, v30, v19
	v_fmac_f32_e32 v30, v31, v18
	v_add_f32_e32 v25, v25, v30
	v_mul_f32_e32 v30, v23, v17
	v_mul_f32_e32 v17, v22, v17
	v_fmac_f32_e32 v17, v23, v16
	v_fmac_f32_e32 v29, v31, v16
	v_fma_f32 v30, v22, v16, -v30
	v_add_f32_e32 v27, v27, v17
	v_mul_f32_e32 v16, v23, v19
	v_mul_f32_e32 v17, v22, v19
	v_fma_f32 v16, v22, v18, -v16
	v_fmac_f32_e32 v17, v23, v18
	v_add_f32_e32 v26, v26, v30
	v_add_f32_e32 v30, v20, v16
	;; [unrolled: 1-line block ×3, first 2 shown]
	ds_read2_b64 v[16:19], v12 offset0:128 offset1:144
	v_add_f32_e32 v28, v38, v28
	v_add_f32_e32 v29, v39, v29
	;; [unrolled: 1-line block ×3, first 2 shown]
	s_waitcnt lgkmcnt(0)
	v_mul_f32_e32 v20, v33, v17
	v_mul_f32_e32 v21, v32, v17
	v_fma_f32 v20, v32, v16, -v20
	v_fmac_f32_e32 v21, v33, v16
	v_add_f32_e32 v28, v28, v20
	v_add_f32_e32 v29, v29, v21
	v_mul_f32_e32 v20, v33, v19
	v_mul_f32_e32 v21, v32, v19
	v_fma_f32 v20, v32, v18, -v20
	v_fmac_f32_e32 v21, v33, v18
	v_add_f32_e32 v24, v24, v20
	v_add_f32_e32 v25, v25, v21
	ds_read_b128 v[20:23], v13 offset:1056
	s_waitcnt lgkmcnt(0)
	v_mul_f32_e32 v32, v21, v17
	v_mul_f32_e32 v17, v20, v17
	v_fmac_f32_e32 v17, v21, v16
	v_fma_f32 v32, v20, v16, -v32
	v_add_f32_e32 v27, v27, v17
	v_mul_f32_e32 v16, v21, v19
	v_mul_f32_e32 v17, v20, v19
	v_fma_f32 v16, v20, v18, -v16
	v_fmac_f32_e32 v17, v21, v18
	v_add_f32_e32 v20, v30, v16
	v_add_f32_e32 v21, v31, v17
	ds_read2_b64 v[16:19], v12 offset0:160 offset1:176
	v_add_f32_e32 v26, v26, v32
	s_waitcnt lgkmcnt(0)
	v_mul_f32_e32 v30, v35, v17
	v_fma_f32 v30, v34, v16, -v30
	v_add_f32_e32 v28, v28, v30
	v_mul_f32_e32 v30, v35, v19
	v_fma_f32 v30, v34, v18, -v30
	v_mul_f32_e32 v31, v34, v17
	v_add_f32_e32 v24, v24, v30
	v_mul_f32_e32 v30, v23, v17
	v_mul_f32_e32 v17, v22, v17
	v_fmac_f32_e32 v17, v23, v16
	v_fmac_f32_e32 v31, v35, v16
	v_fma_f32 v30, v22, v16, -v30
	v_add_f32_e32 v27, v27, v17
	v_mul_f32_e32 v16, v23, v19
	v_mul_f32_e32 v17, v22, v19
	v_add_f32_e32 v29, v29, v31
	v_mul_f32_e32 v31, v34, v19
	v_fma_f32 v16, v22, v18, -v16
	v_fmac_f32_e32 v17, v23, v18
	v_fmac_f32_e32 v31, v35, v18
	v_add_f32_e32 v20, v20, v16
	v_add_f32_e32 v21, v21, v17
	ds_read2_b64 v[16:19], v12 offset0:192 offset1:208
	v_add_f32_e32 v26, v26, v30
	v_add_f32_e32 v25, v25, v31
	s_waitcnt lgkmcnt(0)
	v_mul_f32_e32 v22, v3, v17
	v_fma_f32 v22, v2, v16, -v22
	v_add_f32_e32 v30, v28, v22
	v_mul_f32_e32 v22, v3, v19
	v_mul_f32_e32 v23, v2, v17
	v_fma_f32 v22, v2, v18, -v22
	v_mul_f32_e32 v2, v2, v19
	v_fmac_f32_e32 v23, v3, v16
	v_fmac_f32_e32 v2, v3, v18
	v_add_f32_e32 v31, v29, v23
	v_add_f32_e32 v3, v24, v22
	;; [unrolled: 1-line block ×3, first 2 shown]
	ds_read_b128 v[22:25], v13 offset:1072
	s_waitcnt lgkmcnt(0)
	v_mul_f32_e32 v28, v23, v17
	v_fma_f32 v28, v22, v16, -v28
	v_mul_f32_e32 v17, v22, v17
	v_fmac_f32_e32 v17, v23, v16
	v_add_f32_e32 v16, v26, v28
	v_mul_f32_e32 v26, v23, v19
	v_fma_f32 v26, v22, v18, -v26
	v_add_f32_e32 v17, v27, v17
	v_add_f32_e32 v32, v20, v26
	ds_read2_b64 v[26:29], v12 offset0:224 offset1:240
	v_mul_f32_e32 v19, v22, v19
	v_fmac_f32_e32 v19, v23, v18
	v_add_f32_e32 v33, v21, v19
	s_waitcnt lgkmcnt(0)
	v_mul_f32_e32 v18, v5, v27
	v_fma_f32 v18, v4, v26, -v18
	v_add_f32_e32 v22, v30, v18
	v_mul_f32_e32 v18, v5, v29
	v_mul_f32_e32 v19, v4, v27
	v_fma_f32 v18, v4, v28, -v18
	v_mul_f32_e32 v4, v4, v29
	v_fmac_f32_e32 v4, v5, v28
	v_add_f32_e32 v21, v3, v18
	v_add_f32_e32 v20, v2, v4
	v_mul_f32_e32 v2, v25, v27
	v_mul_f32_e32 v3, v24, v27
	v_fmac_f32_e32 v19, v5, v26
	v_fma_f32 v2, v24, v26, -v2
	v_fmac_f32_e32 v3, v25, v26
	v_add_f32_e32 v23, v31, v19
	v_add_f32_e32 v19, v16, v2
	;; [unrolled: 1-line block ×3, first 2 shown]
	v_mul_f32_e32 v2, v25, v29
	v_mul_f32_e32 v3, v24, v29
	v_fma_f32 v2, v24, v28, -v2
	v_fmac_f32_e32 v3, v25, v28
	v_add_f32_e32 v17, v32, v2
	v_add_f32_e32 v16, v33, v3
	s_barrier
	s_cbranch_scc0 .LBB620_2
	s_branch .LBB620_4
.LBB620_3:
	v_mov_b32_e32 v22, 0
	v_mov_b32_e32 v23, 0
	;; [unrolled: 1-line block ×8, first 2 shown]
.LBB620_4:
	s_load_dword s8, s[4:5], 0x40
	v_add_u32_e32 v4, s7, v1
	s_waitcnt lgkmcnt(0)
	v_mov_b32_e32 v3, s11
	v_add_u32_e32 v0, s6, v0
	v_mad_i64_i32 v[1:2], s[0:1], v4, s8, 0
	v_cmp_le_i32_e64 s[0:1], v4, v0
	v_lshlrev_b64 v[1:2], 3, v[1:2]
	v_add_co_u32_e32 v5, vcc, s10, v1
	v_addc_co_u32_e32 v6, vcc, v3, v2, vcc
	v_cmp_gt_i32_e32 vcc, s12, v0
	s_and_b64 s[0:1], s[0:1], vcc
	s_and_saveexec_b64 s[2:3], s[0:1]
	s_cbranch_execz .LBB620_6
; %bb.5:
	v_ashrrev_i32_e32 v1, 31, v0
	v_lshlrev_b64 v[1:2], 3, v[0:1]
	v_add_co_u32_e64 v1, s[0:1], v5, v1
	v_addc_co_u32_e64 v2, s[0:1], v6, v2, s[0:1]
	flat_load_dwordx2 v[7:8], v[1:2]
	s_waitcnt vmcnt(0) lgkmcnt(0)
	v_add_f32_e32 v7, v22, v7
	v_add_f32_e32 v8, v23, v8
	flat_store_dwordx2 v[1:2], v[7:8]
.LBB620_6:
	s_or_b64 exec, exec, s[2:3]
	v_add_u32_e32 v2, 16, v0
	v_cmp_le_i32_e64 s[2:3], v4, v2
	v_cmp_gt_i32_e64 s[0:1], s12, v2
	s_and_b64 s[2:3], s[2:3], s[0:1]
	s_and_saveexec_b64 s[4:5], s[2:3]
	s_cbranch_execz .LBB620_8
; %bb.7:
	v_ashrrev_i32_e32 v3, 31, v2
	v_lshlrev_b64 v[7:8], 3, v[2:3]
	v_add_co_u32_e64 v5, s[2:3], v5, v7
	v_addc_co_u32_e64 v6, s[2:3], v6, v8, s[2:3]
	flat_load_dwordx2 v[7:8], v[5:6]
	s_waitcnt vmcnt(0) lgkmcnt(0)
	v_add_f32_e32 v7, v21, v7
	v_add_f32_e32 v8, v20, v8
	flat_store_dwordx2 v[5:6], v[7:8]
.LBB620_8:
	s_or_b64 exec, exec, s[4:5]
	v_add_u32_e32 v3, 16, v4
	v_mad_i64_i32 v[4:5], s[2:3], v3, s8, 0
	v_mov_b32_e32 v1, s11
	v_lshlrev_b64 v[4:5], 3, v[4:5]
	v_add_co_u32_e64 v4, s[2:3], s10, v4
	v_addc_co_u32_e64 v5, s[2:3], v1, v5, s[2:3]
	v_cmp_le_i32_e64 s[2:3], v3, v0
	s_and_b64 s[4:5], s[2:3], vcc
	s_and_saveexec_b64 s[2:3], s[4:5]
	s_cbranch_execz .LBB620_10
; %bb.9:
	v_ashrrev_i32_e32 v1, 31, v0
	v_lshlrev_b64 v[0:1], 3, v[0:1]
	v_add_co_u32_e32 v0, vcc, v4, v0
	v_addc_co_u32_e32 v1, vcc, v5, v1, vcc
	flat_load_dwordx2 v[6:7], v[0:1]
	s_waitcnt vmcnt(0) lgkmcnt(0)
	v_add_f32_e32 v6, v19, v6
	v_add_f32_e32 v7, v18, v7
	flat_store_dwordx2 v[0:1], v[6:7]
.LBB620_10:
	s_or_b64 exec, exec, s[2:3]
	v_cmp_le_i32_e32 vcc, v3, v2
	s_and_b64 s[0:1], vcc, s[0:1]
	s_and_saveexec_b64 s[2:3], s[0:1]
	s_cbranch_execz .LBB620_12
; %bb.11:
	v_ashrrev_i32_e32 v3, 31, v2
	v_lshlrev_b64 v[0:1], 3, v[2:3]
	v_add_co_u32_e32 v0, vcc, v4, v0
	v_addc_co_u32_e32 v1, vcc, v5, v1, vcc
	flat_load_dwordx2 v[2:3], v[0:1]
	s_waitcnt vmcnt(0) lgkmcnt(0)
	v_add_f32_e32 v2, v17, v2
	v_add_f32_e32 v3, v16, v3
	flat_store_dwordx2 v[0:1], v[2:3]
.LBB620_12:
	s_endpgm
	.section	.rodata,"a",@progbits
	.p2align	6, 0x0
	.amdhsa_kernel _ZL37rocblas_syrkx_herkx_restricted_kernelIi19rocblas_complex_numIfELi16ELi32ELi8ELi1ELi1ELb0ELc78ELc76EKPKS1_KPS1_EviT_PT9_S7_lS9_S7_lPT10_S7_li
		.amdhsa_group_segment_fixed_size 4096
		.amdhsa_private_segment_fixed_size 0
		.amdhsa_kernarg_size 84
		.amdhsa_user_sgpr_count 6
		.amdhsa_user_sgpr_private_segment_buffer 1
		.amdhsa_user_sgpr_dispatch_ptr 0
		.amdhsa_user_sgpr_queue_ptr 0
		.amdhsa_user_sgpr_kernarg_segment_ptr 1
		.amdhsa_user_sgpr_dispatch_id 0
		.amdhsa_user_sgpr_flat_scratch_init 0
		.amdhsa_user_sgpr_private_segment_size 0
		.amdhsa_uses_dynamic_stack 0
		.amdhsa_system_sgpr_private_segment_wavefront_offset 0
		.amdhsa_system_sgpr_workgroup_id_x 1
		.amdhsa_system_sgpr_workgroup_id_y 1
		.amdhsa_system_sgpr_workgroup_id_z 1
		.amdhsa_system_sgpr_workgroup_info 0
		.amdhsa_system_vgpr_workitem_id 1
		.amdhsa_next_free_vgpr 43
		.amdhsa_next_free_sgpr 20
		.amdhsa_reserve_vcc 1
		.amdhsa_reserve_flat_scratch 0
		.amdhsa_float_round_mode_32 0
		.amdhsa_float_round_mode_16_64 0
		.amdhsa_float_denorm_mode_32 3
		.amdhsa_float_denorm_mode_16_64 3
		.amdhsa_dx10_clamp 1
		.amdhsa_ieee_mode 1
		.amdhsa_fp16_overflow 0
		.amdhsa_exception_fp_ieee_invalid_op 0
		.amdhsa_exception_fp_denorm_src 0
		.amdhsa_exception_fp_ieee_div_zero 0
		.amdhsa_exception_fp_ieee_overflow 0
		.amdhsa_exception_fp_ieee_underflow 0
		.amdhsa_exception_fp_ieee_inexact 0
		.amdhsa_exception_int_div_zero 0
	.end_amdhsa_kernel
	.section	.text._ZL37rocblas_syrkx_herkx_restricted_kernelIi19rocblas_complex_numIfELi16ELi32ELi8ELi1ELi1ELb0ELc78ELc76EKPKS1_KPS1_EviT_PT9_S7_lS9_S7_lPT10_S7_li,"axG",@progbits,_ZL37rocblas_syrkx_herkx_restricted_kernelIi19rocblas_complex_numIfELi16ELi32ELi8ELi1ELi1ELb0ELc78ELc76EKPKS1_KPS1_EviT_PT9_S7_lS9_S7_lPT10_S7_li,comdat
.Lfunc_end620:
	.size	_ZL37rocblas_syrkx_herkx_restricted_kernelIi19rocblas_complex_numIfELi16ELi32ELi8ELi1ELi1ELb0ELc78ELc76EKPKS1_KPS1_EviT_PT9_S7_lS9_S7_lPT10_S7_li, .Lfunc_end620-_ZL37rocblas_syrkx_herkx_restricted_kernelIi19rocblas_complex_numIfELi16ELi32ELi8ELi1ELi1ELb0ELc78ELc76EKPKS1_KPS1_EviT_PT9_S7_lS9_S7_lPT10_S7_li
                                        ; -- End function
	.set _ZL37rocblas_syrkx_herkx_restricted_kernelIi19rocblas_complex_numIfELi16ELi32ELi8ELi1ELi1ELb0ELc78ELc76EKPKS1_KPS1_EviT_PT9_S7_lS9_S7_lPT10_S7_li.num_vgpr, 43
	.set _ZL37rocblas_syrkx_herkx_restricted_kernelIi19rocblas_complex_numIfELi16ELi32ELi8ELi1ELi1ELb0ELc78ELc76EKPKS1_KPS1_EviT_PT9_S7_lS9_S7_lPT10_S7_li.num_agpr, 0
	.set _ZL37rocblas_syrkx_herkx_restricted_kernelIi19rocblas_complex_numIfELi16ELi32ELi8ELi1ELi1ELb0ELc78ELc76EKPKS1_KPS1_EviT_PT9_S7_lS9_S7_lPT10_S7_li.numbered_sgpr, 20
	.set _ZL37rocblas_syrkx_herkx_restricted_kernelIi19rocblas_complex_numIfELi16ELi32ELi8ELi1ELi1ELb0ELc78ELc76EKPKS1_KPS1_EviT_PT9_S7_lS9_S7_lPT10_S7_li.num_named_barrier, 0
	.set _ZL37rocblas_syrkx_herkx_restricted_kernelIi19rocblas_complex_numIfELi16ELi32ELi8ELi1ELi1ELb0ELc78ELc76EKPKS1_KPS1_EviT_PT9_S7_lS9_S7_lPT10_S7_li.private_seg_size, 0
	.set _ZL37rocblas_syrkx_herkx_restricted_kernelIi19rocblas_complex_numIfELi16ELi32ELi8ELi1ELi1ELb0ELc78ELc76EKPKS1_KPS1_EviT_PT9_S7_lS9_S7_lPT10_S7_li.uses_vcc, 1
	.set _ZL37rocblas_syrkx_herkx_restricted_kernelIi19rocblas_complex_numIfELi16ELi32ELi8ELi1ELi1ELb0ELc78ELc76EKPKS1_KPS1_EviT_PT9_S7_lS9_S7_lPT10_S7_li.uses_flat_scratch, 0
	.set _ZL37rocblas_syrkx_herkx_restricted_kernelIi19rocblas_complex_numIfELi16ELi32ELi8ELi1ELi1ELb0ELc78ELc76EKPKS1_KPS1_EviT_PT9_S7_lS9_S7_lPT10_S7_li.has_dyn_sized_stack, 0
	.set _ZL37rocblas_syrkx_herkx_restricted_kernelIi19rocblas_complex_numIfELi16ELi32ELi8ELi1ELi1ELb0ELc78ELc76EKPKS1_KPS1_EviT_PT9_S7_lS9_S7_lPT10_S7_li.has_recursion, 0
	.set _ZL37rocblas_syrkx_herkx_restricted_kernelIi19rocblas_complex_numIfELi16ELi32ELi8ELi1ELi1ELb0ELc78ELc76EKPKS1_KPS1_EviT_PT9_S7_lS9_S7_lPT10_S7_li.has_indirect_call, 0
	.section	.AMDGPU.csdata,"",@progbits
; Kernel info:
; codeLenInByte = 1928
; TotalNumSgprs: 24
; NumVgprs: 43
; ScratchSize: 0
; MemoryBound: 0
; FloatMode: 240
; IeeeMode: 1
; LDSByteSize: 4096 bytes/workgroup (compile time only)
; SGPRBlocks: 2
; VGPRBlocks: 10
; NumSGPRsForWavesPerEU: 24
; NumVGPRsForWavesPerEU: 43
; Occupancy: 5
; WaveLimiterHint : 1
; COMPUTE_PGM_RSRC2:SCRATCH_EN: 0
; COMPUTE_PGM_RSRC2:USER_SGPR: 6
; COMPUTE_PGM_RSRC2:TRAP_HANDLER: 0
; COMPUTE_PGM_RSRC2:TGID_X_EN: 1
; COMPUTE_PGM_RSRC2:TGID_Y_EN: 1
; COMPUTE_PGM_RSRC2:TGID_Z_EN: 1
; COMPUTE_PGM_RSRC2:TIDIG_COMP_CNT: 1
	.section	.text._ZL37rocblas_syrkx_herkx_restricted_kernelIi19rocblas_complex_numIfELi16ELi32ELi8ELi1ELi1ELb0ELc84ELc85EKPKS1_KPS1_EviT_PT9_S7_lS9_S7_lPT10_S7_li,"axG",@progbits,_ZL37rocblas_syrkx_herkx_restricted_kernelIi19rocblas_complex_numIfELi16ELi32ELi8ELi1ELi1ELb0ELc84ELc85EKPKS1_KPS1_EviT_PT9_S7_lS9_S7_lPT10_S7_li,comdat
	.globl	_ZL37rocblas_syrkx_herkx_restricted_kernelIi19rocblas_complex_numIfELi16ELi32ELi8ELi1ELi1ELb0ELc84ELc85EKPKS1_KPS1_EviT_PT9_S7_lS9_S7_lPT10_S7_li ; -- Begin function _ZL37rocblas_syrkx_herkx_restricted_kernelIi19rocblas_complex_numIfELi16ELi32ELi8ELi1ELi1ELb0ELc84ELc85EKPKS1_KPS1_EviT_PT9_S7_lS9_S7_lPT10_S7_li
	.p2align	8
	.type	_ZL37rocblas_syrkx_herkx_restricted_kernelIi19rocblas_complex_numIfELi16ELi32ELi8ELi1ELi1ELb0ELc84ELc85EKPKS1_KPS1_EviT_PT9_S7_lS9_S7_lPT10_S7_li,@function
_ZL37rocblas_syrkx_herkx_restricted_kernelIi19rocblas_complex_numIfELi16ELi32ELi8ELi1ELi1ELb0ELc84ELc85EKPKS1_KPS1_EviT_PT9_S7_lS9_S7_lPT10_S7_li: ; @_ZL37rocblas_syrkx_herkx_restricted_kernelIi19rocblas_complex_numIfELi16ELi32ELi8ELi1ELi1ELb0ELc84ELc85EKPKS1_KPS1_EviT_PT9_S7_lS9_S7_lPT10_S7_li
; %bb.0:
	s_load_dwordx2 s[10:11], s[4:5], 0x38
	s_load_dwordx2 s[2:3], s[4:5], 0x0
	s_mov_b32 s9, 0
	s_lshl_b64 s[0:1], s[8:9], 3
	s_waitcnt lgkmcnt(0)
	s_add_u32 s10, s10, s0
	s_addc_u32 s11, s11, s1
	s_load_dwordx2 s[10:11], s[10:11], 0x0
	s_lshl_b32 s6, s6, 5
	s_lshl_b32 s7, s7, 5
	s_cmp_lt_i32 s3, 1
	s_cbranch_scc1 .LBB621_3
; %bb.1:
	v_lshl_add_u32 v4, v1, 4, v0
	s_load_dwordx2 s[12:13], s[4:5], 0x8
	s_load_dword s8, s[4:5], 0x10
	s_load_dwordx2 s[14:15], s[4:5], 0x20
	s_load_dword s16, s[4:5], 0x28
	v_and_b32_e32 v7, 31, v4
	v_lshrrev_b32_e32 v6, 3, v4
	v_and_b32_e32 v9, 7, v0
	v_lshrrev_b32_e32 v4, 5, v4
	v_lshlrev_b32_e32 v8, 3, v7
	s_waitcnt lgkmcnt(0)
	s_add_u32 s12, s12, s0
	v_lshl_or_b32 v11, v4, 8, v8
	v_lshlrev_b32_e32 v8, 3, v9
	s_addc_u32 s13, s13, s1
	v_add_u32_e32 v2, s7, v6
	v_mov_b32_e32 v10, 0
	v_lshl_or_b32 v6, v6, 6, v8
	s_add_u32 s0, s14, s0
	v_mov_b32_e32 v5, v10
	v_add_u32_e32 v12, 0x800, v6
	v_add_u32_e32 v6, s6, v7
	s_addc_u32 s1, s15, s1
	v_mad_i64_i32 v[4:5], s[14:15], s8, v6, v[4:5]
	s_load_dwordx2 s[12:13], s[12:13], 0x0
	v_mad_i64_i32 v[2:3], s[14:15], s16, v2, v[9:10]
	s_load_dwordx2 s[0:1], s[0:1], 0x0
	v_lshlrev_b64 v[4:5], 3, v[4:5]
	v_mov_b32_e32 v6, 0x800
	v_lshl_add_u32 v14, v1, 6, v6
	s_waitcnt lgkmcnt(0)
	v_mov_b32_e32 v7, s13
	v_add_co_u32_e32 v6, vcc, s12, v4
	v_lshlrev_b64 v[2:3], 3, v[2:3]
	v_addc_co_u32_e32 v7, vcc, v7, v5, vcc
	v_mov_b32_e32 v4, s1
	v_add_co_u32_e32 v8, vcc, s0, v2
	v_lshlrev_b32_e32 v13, 3, v0
	v_addc_co_u32_e32 v9, vcc, v4, v3, vcc
	v_mov_b32_e32 v15, v10
	v_mov_b32_e32 v16, v10
	;; [unrolled: 1-line block ×7, first 2 shown]
.LBB621_2:                              ; =>This Inner Loop Header: Depth=1
	flat_load_dwordx2 v[2:3], v[6:7]
	v_add_co_u32_e32 v6, vcc, 64, v6
	v_addc_co_u32_e32 v7, vcc, 0, v7, vcc
	s_add_i32 s9, s9, 8
	s_cmp_ge_i32 s9, s3
	s_waitcnt vmcnt(0) lgkmcnt(0)
	ds_write_b64 v11, v[2:3]
	flat_load_dwordx2 v[2:3], v[8:9]
	v_add_co_u32_e32 v8, vcc, 64, v8
	v_addc_co_u32_e32 v9, vcc, 0, v9, vcc
	s_waitcnt vmcnt(0) lgkmcnt(0)
	ds_write_b64 v12, v[2:3]
	s_waitcnt lgkmcnt(0)
	s_barrier
	ds_read_b128 v[22:25], v14
	ds_read_b128 v[26:29], v14 offset:16
	ds_read_b128 v[30:33], v14 offset:32
	;; [unrolled: 1-line block ×3, first 2 shown]
	ds_read2_b64 v[34:37], v13 offset1:16
	s_waitcnt lgkmcnt(0)
	v_mul_f32_e32 v38, v23, v35
	v_mul_f32_e32 v39, v22, v35
	v_fma_f32 v38, v22, v34, -v38
	v_fmac_f32_e32 v39, v23, v34
	v_add_f32_e32 v38, v20, v38
	v_add_f32_e32 v39, v21, v39
	v_mul_f32_e32 v20, v23, v37
	v_mul_f32_e32 v21, v22, v37
	v_fma_f32 v20, v22, v36, -v20
	v_fmac_f32_e32 v21, v23, v36
	v_add_f32_e32 v22, v19, v20
	v_add_f32_e32 v23, v18, v21
	ds_read_b128 v[18:21], v14 offset:1024
	s_waitcnt lgkmcnt(0)
	v_mul_f32_e32 v40, v19, v35
	v_mul_f32_e32 v35, v18, v35
	v_fma_f32 v40, v18, v34, -v40
	v_fmac_f32_e32 v35, v19, v34
	v_add_f32_e32 v34, v17, v40
	v_add_f32_e32 v35, v16, v35
	v_mul_f32_e32 v16, v19, v37
	v_mul_f32_e32 v17, v18, v37
	v_fma_f32 v16, v18, v36, -v16
	v_fmac_f32_e32 v17, v19, v36
	v_add_f32_e32 v19, v15, v16
	v_add_f32_e32 v10, v10, v17
	ds_read2_b64 v[15:18], v13 offset0:32 offset1:48
	s_waitcnt lgkmcnt(0)
	v_mul_f32_e32 v36, v25, v16
	v_fma_f32 v36, v24, v15, -v36
	v_add_f32_e32 v36, v38, v36
	v_mul_f32_e32 v38, v25, v18
	v_mul_f32_e32 v37, v24, v16
	v_fma_f32 v38, v24, v17, -v38
	v_mul_f32_e32 v24, v24, v18
	v_fmac_f32_e32 v24, v25, v17
	v_add_f32_e32 v23, v23, v24
	v_mul_f32_e32 v24, v21, v16
	v_mul_f32_e32 v16, v20, v16
	v_fmac_f32_e32 v16, v21, v15
	v_fmac_f32_e32 v37, v25, v15
	v_fma_f32 v24, v20, v15, -v24
	v_add_f32_e32 v25, v35, v16
	v_mul_f32_e32 v15, v21, v18
	v_mul_f32_e32 v16, v20, v18
	v_fma_f32 v15, v20, v17, -v15
	v_fmac_f32_e32 v16, v21, v17
	v_add_f32_e32 v24, v34, v24
	v_add_f32_e32 v34, v19, v15
	;; [unrolled: 1-line block ×3, first 2 shown]
	ds_read2_b64 v[15:18], v13 offset0:64 offset1:80
	v_add_f32_e32 v37, v39, v37
	v_add_f32_e32 v22, v22, v38
	s_waitcnt lgkmcnt(0)
	v_mul_f32_e32 v19, v27, v16
	v_mul_f32_e32 v20, v26, v16
	v_fma_f32 v19, v26, v15, -v19
	v_fmac_f32_e32 v20, v27, v15
	v_add_f32_e32 v35, v36, v19
	v_add_f32_e32 v36, v37, v20
	v_mul_f32_e32 v19, v27, v18
	v_mul_f32_e32 v20, v26, v18
	v_fma_f32 v19, v26, v17, -v19
	v_fmac_f32_e32 v20, v27, v17
	v_add_f32_e32 v26, v22, v19
	v_add_f32_e32 v23, v23, v20
	ds_read_b128 v[19:22], v14 offset:1040
	s_waitcnt lgkmcnt(0)
	v_mul_f32_e32 v27, v20, v16
	v_mul_f32_e32 v16, v19, v16
	v_fmac_f32_e32 v16, v20, v15
	v_fma_f32 v27, v19, v15, -v27
	v_add_f32_e32 v25, v25, v16
	v_mul_f32_e32 v15, v20, v18
	v_mul_f32_e32 v16, v19, v18
	v_fma_f32 v15, v19, v17, -v15
	v_fmac_f32_e32 v16, v20, v17
	v_add_f32_e32 v19, v34, v15
	v_add_f32_e32 v10, v10, v16
	ds_read2_b64 v[15:18], v13 offset0:96 offset1:112
	v_add_f32_e32 v24, v24, v27
	s_waitcnt lgkmcnt(0)
	v_mul_f32_e32 v20, v29, v16
	v_mul_f32_e32 v34, v29, v18
	v_fma_f32 v20, v28, v15, -v20
	v_mul_f32_e32 v27, v28, v16
	v_fma_f32 v34, v28, v17, -v34
	v_mul_f32_e32 v28, v28, v18
	v_fmac_f32_e32 v28, v29, v17
	v_add_f32_e32 v23, v23, v28
	v_mul_f32_e32 v28, v22, v16
	v_mul_f32_e32 v16, v21, v16
	v_fmac_f32_e32 v16, v22, v15
	v_fmac_f32_e32 v27, v29, v15
	v_fma_f32 v28, v21, v15, -v28
	v_add_f32_e32 v25, v25, v16
	v_mul_f32_e32 v15, v22, v18
	v_mul_f32_e32 v16, v21, v18
	v_fma_f32 v15, v21, v17, -v15
	v_fmac_f32_e32 v16, v22, v17
	v_add_f32_e32 v24, v24, v28
	v_add_f32_e32 v28, v19, v15
	v_add_f32_e32 v10, v10, v16
	ds_read2_b64 v[15:18], v13 offset0:128 offset1:144
	v_add_f32_e32 v20, v35, v20
	v_add_f32_e32 v27, v36, v27
	;; [unrolled: 1-line block ×3, first 2 shown]
	s_waitcnt lgkmcnt(0)
	v_mul_f32_e32 v19, v31, v16
	v_fma_f32 v19, v30, v15, -v19
	v_mul_f32_e32 v21, v30, v16
	v_add_f32_e32 v29, v20, v19
	v_mul_f32_e32 v19, v31, v18
	v_mul_f32_e32 v20, v30, v18
	v_fmac_f32_e32 v21, v31, v15
	v_fma_f32 v19, v30, v17, -v19
	v_fmac_f32_e32 v20, v31, v17
	v_add_f32_e32 v27, v27, v21
	v_add_f32_e32 v26, v26, v19
	;; [unrolled: 1-line block ×3, first 2 shown]
	ds_read_b128 v[19:22], v14 offset:1056
	s_waitcnt lgkmcnt(0)
	v_mul_f32_e32 v30, v20, v16
	v_mul_f32_e32 v16, v19, v16
	v_fmac_f32_e32 v16, v20, v15
	v_fma_f32 v30, v19, v15, -v30
	v_add_f32_e32 v25, v25, v16
	v_mul_f32_e32 v15, v20, v18
	v_mul_f32_e32 v16, v19, v18
	v_fma_f32 v15, v19, v17, -v15
	v_fmac_f32_e32 v16, v20, v17
	v_add_f32_e32 v19, v28, v15
	v_add_f32_e32 v10, v10, v16
	ds_read2_b64 v[15:18], v13 offset0:160 offset1:176
	v_add_f32_e32 v24, v24, v30
	s_waitcnt lgkmcnt(0)
	v_mul_f32_e32 v28, v32, v16
	v_fmac_f32_e32 v28, v33, v15
	v_add_f32_e32 v27, v27, v28
	v_mul_f32_e32 v28, v33, v18
	v_fma_f32 v28, v32, v17, -v28
	v_mul_f32_e32 v20, v33, v16
	v_add_f32_e32 v26, v26, v28
	v_mul_f32_e32 v28, v22, v16
	v_mul_f32_e32 v16, v21, v16
	v_fmac_f32_e32 v16, v22, v15
	v_fma_f32 v20, v32, v15, -v20
	v_fma_f32 v28, v21, v15, -v28
	v_add_f32_e32 v25, v25, v16
	v_mul_f32_e32 v15, v22, v18
	v_mul_f32_e32 v16, v21, v18
	v_add_f32_e32 v20, v29, v20
	v_mul_f32_e32 v29, v32, v18
	v_fma_f32 v15, v21, v17, -v15
	v_fmac_f32_e32 v16, v22, v17
	v_fmac_f32_e32 v29, v33, v17
	v_add_f32_e32 v19, v19, v15
	v_add_f32_e32 v10, v10, v16
	ds_read2_b64 v[15:18], v13 offset0:192 offset1:208
	v_add_f32_e32 v24, v24, v28
	v_add_f32_e32 v23, v23, v29
	s_waitcnt lgkmcnt(0)
	v_mul_f32_e32 v21, v3, v16
	v_fma_f32 v21, v2, v15, -v21
	v_add_f32_e32 v28, v20, v21
	v_mul_f32_e32 v20, v3, v18
	v_mul_f32_e32 v22, v2, v16
	v_fma_f32 v20, v2, v17, -v20
	v_mul_f32_e32 v2, v2, v18
	v_fmac_f32_e32 v22, v3, v15
	v_fmac_f32_e32 v2, v3, v17
	v_add_f32_e32 v29, v27, v22
	v_add_f32_e32 v3, v26, v20
	;; [unrolled: 1-line block ×3, first 2 shown]
	ds_read_b128 v[20:23], v14 offset:1072
	s_waitcnt lgkmcnt(0)
	v_mul_f32_e32 v26, v21, v16
	v_fma_f32 v26, v20, v15, -v26
	v_mul_f32_e32 v16, v20, v16
	v_fmac_f32_e32 v16, v21, v15
	v_add_f32_e32 v15, v24, v26
	v_mul_f32_e32 v24, v21, v18
	v_fma_f32 v24, v20, v17, -v24
	v_add_f32_e32 v16, v25, v16
	v_add_f32_e32 v30, v19, v24
	ds_read2_b64 v[24:27], v13 offset0:224 offset1:240
	v_mul_f32_e32 v18, v20, v18
	v_fmac_f32_e32 v18, v21, v17
	v_add_f32_e32 v10, v10, v18
	s_waitcnt lgkmcnt(0)
	v_mul_f32_e32 v17, v5, v25
	v_fma_f32 v17, v4, v24, -v17
	v_add_f32_e32 v20, v28, v17
	v_mul_f32_e32 v17, v5, v27
	v_mul_f32_e32 v18, v4, v25
	v_fma_f32 v17, v4, v26, -v17
	v_mul_f32_e32 v4, v4, v27
	v_fmac_f32_e32 v18, v5, v24
	v_fmac_f32_e32 v4, v5, v26
	v_add_f32_e32 v21, v29, v18
	v_add_f32_e32 v19, v3, v17
	;; [unrolled: 1-line block ×3, first 2 shown]
	v_mul_f32_e32 v2, v23, v25
	v_mul_f32_e32 v3, v22, v25
	v_fma_f32 v2, v22, v24, -v2
	v_fmac_f32_e32 v3, v23, v24
	v_add_f32_e32 v17, v15, v2
	v_add_f32_e32 v16, v16, v3
	v_mul_f32_e32 v2, v23, v27
	v_mul_f32_e32 v3, v22, v27
	v_fma_f32 v2, v22, v26, -v2
	v_fmac_f32_e32 v3, v23, v26
	v_add_f32_e32 v15, v30, v2
	v_add_f32_e32 v10, v10, v3
	s_barrier
	s_cbranch_scc0 .LBB621_2
	s_branch .LBB621_4
.LBB621_3:
	v_mov_b32_e32 v20, 0
	v_mov_b32_e32 v21, 0
	;; [unrolled: 1-line block ×8, first 2 shown]
.LBB621_4:
	s_load_dword s3, s[4:5], 0x40
	v_add_u32_e32 v4, s7, v1
	s_waitcnt lgkmcnt(0)
	v_mov_b32_e32 v3, s11
	v_add_u32_e32 v0, s6, v0
	v_cmp_gt_i32_e32 vcc, s2, v4
	v_mad_i64_i32 v[1:2], s[0:1], v4, s3, 0
	v_lshlrev_b64 v[1:2], 3, v[1:2]
	v_add_co_u32_e64 v5, s[0:1], s10, v1
	v_addc_co_u32_e64 v6, s[0:1], v3, v2, s[0:1]
	v_cmp_le_i32_e64 s[0:1], v0, v4
	s_and_b64 s[0:1], vcc, s[0:1]
	s_and_saveexec_b64 s[4:5], s[0:1]
	s_cbranch_execz .LBB621_6
; %bb.5:
	v_ashrrev_i32_e32 v1, 31, v0
	v_lshlrev_b64 v[1:2], 3, v[0:1]
	v_add_co_u32_e64 v1, s[0:1], v5, v1
	v_addc_co_u32_e64 v2, s[0:1], v6, v2, s[0:1]
	flat_load_dwordx2 v[7:8], v[1:2]
	s_waitcnt vmcnt(0) lgkmcnt(0)
	v_add_f32_e32 v7, v20, v7
	v_add_f32_e32 v8, v21, v8
	flat_store_dwordx2 v[1:2], v[7:8]
.LBB621_6:
	s_or_b64 exec, exec, s[4:5]
	v_add_u32_e32 v2, 16, v0
	v_cmp_le_i32_e64 s[0:1], v2, v4
	s_and_b64 s[4:5], vcc, s[0:1]
	s_and_saveexec_b64 s[0:1], s[4:5]
	s_cbranch_execz .LBB621_8
; %bb.7:
	v_ashrrev_i32_e32 v3, 31, v2
	v_lshlrev_b64 v[7:8], 3, v[2:3]
	v_add_co_u32_e32 v5, vcc, v5, v7
	v_addc_co_u32_e32 v6, vcc, v6, v8, vcc
	flat_load_dwordx2 v[7:8], v[5:6]
	s_waitcnt vmcnt(0) lgkmcnt(0)
	v_add_f32_e32 v7, v19, v7
	v_add_f32_e32 v8, v18, v8
	flat_store_dwordx2 v[5:6], v[7:8]
.LBB621_8:
	s_or_b64 exec, exec, s[0:1]
	v_add_u32_e32 v3, 16, v4
	v_mad_i64_i32 v[4:5], s[0:1], v3, s3, 0
	v_mov_b32_e32 v1, s11
	v_cmp_gt_i32_e32 vcc, s2, v3
	v_lshlrev_b64 v[4:5], 3, v[4:5]
	v_add_co_u32_e64 v4, s[0:1], s10, v4
	v_addc_co_u32_e64 v5, s[0:1], v1, v5, s[0:1]
	v_cmp_le_i32_e64 s[0:1], v0, v3
	s_and_b64 s[0:1], vcc, s[0:1]
	s_and_saveexec_b64 s[2:3], s[0:1]
	s_cbranch_execz .LBB621_10
; %bb.9:
	v_ashrrev_i32_e32 v1, 31, v0
	v_lshlrev_b64 v[0:1], 3, v[0:1]
	v_add_co_u32_e64 v0, s[0:1], v4, v0
	v_addc_co_u32_e64 v1, s[0:1], v5, v1, s[0:1]
	flat_load_dwordx2 v[6:7], v[0:1]
	s_waitcnt vmcnt(0) lgkmcnt(0)
	v_add_f32_e32 v6, v17, v6
	v_add_f32_e32 v7, v16, v7
	flat_store_dwordx2 v[0:1], v[6:7]
.LBB621_10:
	s_or_b64 exec, exec, s[2:3]
	v_cmp_le_i32_e64 s[0:1], v2, v3
	s_and_b64 s[0:1], vcc, s[0:1]
	s_and_saveexec_b64 s[2:3], s[0:1]
	s_cbranch_execz .LBB621_12
; %bb.11:
	v_ashrrev_i32_e32 v3, 31, v2
	v_lshlrev_b64 v[0:1], 3, v[2:3]
	v_add_co_u32_e32 v0, vcc, v4, v0
	v_addc_co_u32_e32 v1, vcc, v5, v1, vcc
	flat_load_dwordx2 v[2:3], v[0:1]
	s_waitcnt vmcnt(0) lgkmcnt(0)
	v_add_f32_e32 v2, v15, v2
	v_add_f32_e32 v3, v10, v3
	flat_store_dwordx2 v[0:1], v[2:3]
.LBB621_12:
	s_endpgm
	.section	.rodata,"a",@progbits
	.p2align	6, 0x0
	.amdhsa_kernel _ZL37rocblas_syrkx_herkx_restricted_kernelIi19rocblas_complex_numIfELi16ELi32ELi8ELi1ELi1ELb0ELc84ELc85EKPKS1_KPS1_EviT_PT9_S7_lS9_S7_lPT10_S7_li
		.amdhsa_group_segment_fixed_size 4096
		.amdhsa_private_segment_fixed_size 0
		.amdhsa_kernarg_size 84
		.amdhsa_user_sgpr_count 6
		.amdhsa_user_sgpr_private_segment_buffer 1
		.amdhsa_user_sgpr_dispatch_ptr 0
		.amdhsa_user_sgpr_queue_ptr 0
		.amdhsa_user_sgpr_kernarg_segment_ptr 1
		.amdhsa_user_sgpr_dispatch_id 0
		.amdhsa_user_sgpr_flat_scratch_init 0
		.amdhsa_user_sgpr_private_segment_size 0
		.amdhsa_uses_dynamic_stack 0
		.amdhsa_system_sgpr_private_segment_wavefront_offset 0
		.amdhsa_system_sgpr_workgroup_id_x 1
		.amdhsa_system_sgpr_workgroup_id_y 1
		.amdhsa_system_sgpr_workgroup_id_z 1
		.amdhsa_system_sgpr_workgroup_info 0
		.amdhsa_system_vgpr_workitem_id 1
		.amdhsa_next_free_vgpr 41
		.amdhsa_next_free_sgpr 17
		.amdhsa_reserve_vcc 1
		.amdhsa_reserve_flat_scratch 0
		.amdhsa_float_round_mode_32 0
		.amdhsa_float_round_mode_16_64 0
		.amdhsa_float_denorm_mode_32 3
		.amdhsa_float_denorm_mode_16_64 3
		.amdhsa_dx10_clamp 1
		.amdhsa_ieee_mode 1
		.amdhsa_fp16_overflow 0
		.amdhsa_exception_fp_ieee_invalid_op 0
		.amdhsa_exception_fp_denorm_src 0
		.amdhsa_exception_fp_ieee_div_zero 0
		.amdhsa_exception_fp_ieee_overflow 0
		.amdhsa_exception_fp_ieee_underflow 0
		.amdhsa_exception_fp_ieee_inexact 0
		.amdhsa_exception_int_div_zero 0
	.end_amdhsa_kernel
	.section	.text._ZL37rocblas_syrkx_herkx_restricted_kernelIi19rocblas_complex_numIfELi16ELi32ELi8ELi1ELi1ELb0ELc84ELc85EKPKS1_KPS1_EviT_PT9_S7_lS9_S7_lPT10_S7_li,"axG",@progbits,_ZL37rocblas_syrkx_herkx_restricted_kernelIi19rocblas_complex_numIfELi16ELi32ELi8ELi1ELi1ELb0ELc84ELc85EKPKS1_KPS1_EviT_PT9_S7_lS9_S7_lPT10_S7_li,comdat
.Lfunc_end621:
	.size	_ZL37rocblas_syrkx_herkx_restricted_kernelIi19rocblas_complex_numIfELi16ELi32ELi8ELi1ELi1ELb0ELc84ELc85EKPKS1_KPS1_EviT_PT9_S7_lS9_S7_lPT10_S7_li, .Lfunc_end621-_ZL37rocblas_syrkx_herkx_restricted_kernelIi19rocblas_complex_numIfELi16ELi32ELi8ELi1ELi1ELb0ELc84ELc85EKPKS1_KPS1_EviT_PT9_S7_lS9_S7_lPT10_S7_li
                                        ; -- End function
	.set _ZL37rocblas_syrkx_herkx_restricted_kernelIi19rocblas_complex_numIfELi16ELi32ELi8ELi1ELi1ELb0ELc84ELc85EKPKS1_KPS1_EviT_PT9_S7_lS9_S7_lPT10_S7_li.num_vgpr, 41
	.set _ZL37rocblas_syrkx_herkx_restricted_kernelIi19rocblas_complex_numIfELi16ELi32ELi8ELi1ELi1ELb0ELc84ELc85EKPKS1_KPS1_EviT_PT9_S7_lS9_S7_lPT10_S7_li.num_agpr, 0
	.set _ZL37rocblas_syrkx_herkx_restricted_kernelIi19rocblas_complex_numIfELi16ELi32ELi8ELi1ELi1ELb0ELc84ELc85EKPKS1_KPS1_EviT_PT9_S7_lS9_S7_lPT10_S7_li.numbered_sgpr, 17
	.set _ZL37rocblas_syrkx_herkx_restricted_kernelIi19rocblas_complex_numIfELi16ELi32ELi8ELi1ELi1ELb0ELc84ELc85EKPKS1_KPS1_EviT_PT9_S7_lS9_S7_lPT10_S7_li.num_named_barrier, 0
	.set _ZL37rocblas_syrkx_herkx_restricted_kernelIi19rocblas_complex_numIfELi16ELi32ELi8ELi1ELi1ELb0ELc84ELc85EKPKS1_KPS1_EviT_PT9_S7_lS9_S7_lPT10_S7_li.private_seg_size, 0
	.set _ZL37rocblas_syrkx_herkx_restricted_kernelIi19rocblas_complex_numIfELi16ELi32ELi8ELi1ELi1ELb0ELc84ELc85EKPKS1_KPS1_EviT_PT9_S7_lS9_S7_lPT10_S7_li.uses_vcc, 1
	.set _ZL37rocblas_syrkx_herkx_restricted_kernelIi19rocblas_complex_numIfELi16ELi32ELi8ELi1ELi1ELb0ELc84ELc85EKPKS1_KPS1_EviT_PT9_S7_lS9_S7_lPT10_S7_li.uses_flat_scratch, 0
	.set _ZL37rocblas_syrkx_herkx_restricted_kernelIi19rocblas_complex_numIfELi16ELi32ELi8ELi1ELi1ELb0ELc84ELc85EKPKS1_KPS1_EviT_PT9_S7_lS9_S7_lPT10_S7_li.has_dyn_sized_stack, 0
	.set _ZL37rocblas_syrkx_herkx_restricted_kernelIi19rocblas_complex_numIfELi16ELi32ELi8ELi1ELi1ELb0ELc84ELc85EKPKS1_KPS1_EviT_PT9_S7_lS9_S7_lPT10_S7_li.has_recursion, 0
	.set _ZL37rocblas_syrkx_herkx_restricted_kernelIi19rocblas_complex_numIfELi16ELi32ELi8ELi1ELi1ELb0ELc84ELc85EKPKS1_KPS1_EviT_PT9_S7_lS9_S7_lPT10_S7_li.has_indirect_call, 0
	.section	.AMDGPU.csdata,"",@progbits
; Kernel info:
; codeLenInByte = 1908
; TotalNumSgprs: 21
; NumVgprs: 41
; ScratchSize: 0
; MemoryBound: 0
; FloatMode: 240
; IeeeMode: 1
; LDSByteSize: 4096 bytes/workgroup (compile time only)
; SGPRBlocks: 2
; VGPRBlocks: 10
; NumSGPRsForWavesPerEU: 21
; NumVGPRsForWavesPerEU: 41
; Occupancy: 5
; WaveLimiterHint : 1
; COMPUTE_PGM_RSRC2:SCRATCH_EN: 0
; COMPUTE_PGM_RSRC2:USER_SGPR: 6
; COMPUTE_PGM_RSRC2:TRAP_HANDLER: 0
; COMPUTE_PGM_RSRC2:TGID_X_EN: 1
; COMPUTE_PGM_RSRC2:TGID_Y_EN: 1
; COMPUTE_PGM_RSRC2:TGID_Z_EN: 1
; COMPUTE_PGM_RSRC2:TIDIG_COMP_CNT: 1
	.section	.text._ZL37rocblas_syrkx_herkx_restricted_kernelIi19rocblas_complex_numIfELi16ELi32ELi8ELi1ELi1ELb0ELc67ELc85EKPKS1_KPS1_EviT_PT9_S7_lS9_S7_lPT10_S7_li,"axG",@progbits,_ZL37rocblas_syrkx_herkx_restricted_kernelIi19rocblas_complex_numIfELi16ELi32ELi8ELi1ELi1ELb0ELc67ELc85EKPKS1_KPS1_EviT_PT9_S7_lS9_S7_lPT10_S7_li,comdat
	.globl	_ZL37rocblas_syrkx_herkx_restricted_kernelIi19rocblas_complex_numIfELi16ELi32ELi8ELi1ELi1ELb0ELc67ELc85EKPKS1_KPS1_EviT_PT9_S7_lS9_S7_lPT10_S7_li ; -- Begin function _ZL37rocblas_syrkx_herkx_restricted_kernelIi19rocblas_complex_numIfELi16ELi32ELi8ELi1ELi1ELb0ELc67ELc85EKPKS1_KPS1_EviT_PT9_S7_lS9_S7_lPT10_S7_li
	.p2align	8
	.type	_ZL37rocblas_syrkx_herkx_restricted_kernelIi19rocblas_complex_numIfELi16ELi32ELi8ELi1ELi1ELb0ELc67ELc85EKPKS1_KPS1_EviT_PT9_S7_lS9_S7_lPT10_S7_li,@function
_ZL37rocblas_syrkx_herkx_restricted_kernelIi19rocblas_complex_numIfELi16ELi32ELi8ELi1ELi1ELb0ELc67ELc85EKPKS1_KPS1_EviT_PT9_S7_lS9_S7_lPT10_S7_li: ; @_ZL37rocblas_syrkx_herkx_restricted_kernelIi19rocblas_complex_numIfELi16ELi32ELi8ELi1ELi1ELb0ELc67ELc85EKPKS1_KPS1_EviT_PT9_S7_lS9_S7_lPT10_S7_li
; %bb.0:
	s_load_dwordx2 s[10:11], s[4:5], 0x38
	s_load_dwordx2 s[2:3], s[4:5], 0x0
	s_mov_b32 s9, 0
	s_lshl_b64 s[0:1], s[8:9], 3
	s_waitcnt lgkmcnt(0)
	s_add_u32 s10, s10, s0
	s_addc_u32 s11, s11, s1
	s_load_dwordx2 s[10:11], s[10:11], 0x0
	s_lshl_b32 s6, s6, 5
	s_lshl_b32 s7, s7, 5
	s_cmp_lt_i32 s3, 1
	s_cbranch_scc1 .LBB622_3
; %bb.1:
	v_lshl_add_u32 v4, v1, 4, v0
	s_load_dwordx2 s[12:13], s[4:5], 0x8
	s_load_dword s8, s[4:5], 0x10
	s_load_dwordx2 s[14:15], s[4:5], 0x20
	s_load_dword s16, s[4:5], 0x28
	v_and_b32_e32 v7, 31, v4
	v_lshrrev_b32_e32 v6, 3, v4
	v_and_b32_e32 v9, 7, v0
	v_lshrrev_b32_e32 v4, 5, v4
	v_lshlrev_b32_e32 v8, 3, v7
	s_waitcnt lgkmcnt(0)
	s_add_u32 s12, s12, s0
	v_lshl_or_b32 v11, v4, 8, v8
	v_lshlrev_b32_e32 v8, 3, v9
	s_addc_u32 s13, s13, s1
	v_add_u32_e32 v2, s7, v6
	v_mov_b32_e32 v10, 0
	v_lshl_or_b32 v6, v6, 6, v8
	s_add_u32 s0, s14, s0
	v_mov_b32_e32 v5, v10
	v_add_u32_e32 v12, 0x800, v6
	v_add_u32_e32 v6, s6, v7
	s_addc_u32 s1, s15, s1
	v_mad_i64_i32 v[4:5], s[14:15], s8, v6, v[4:5]
	s_load_dwordx2 s[12:13], s[12:13], 0x0
	v_mad_i64_i32 v[2:3], s[14:15], s16, v2, v[9:10]
	s_load_dwordx2 s[0:1], s[0:1], 0x0
	v_lshlrev_b64 v[4:5], 3, v[4:5]
	v_mov_b32_e32 v6, 0x800
	v_lshl_add_u32 v14, v1, 6, v6
	s_waitcnt lgkmcnt(0)
	v_mov_b32_e32 v7, s13
	v_add_co_u32_e32 v6, vcc, s12, v4
	v_lshlrev_b64 v[2:3], 3, v[2:3]
	v_addc_co_u32_e32 v7, vcc, v7, v5, vcc
	v_mov_b32_e32 v4, s1
	v_add_co_u32_e32 v8, vcc, s0, v2
	v_lshlrev_b32_e32 v13, 3, v0
	v_addc_co_u32_e32 v9, vcc, v4, v3, vcc
	v_mov_b32_e32 v15, v10
	v_mov_b32_e32 v16, v10
	;; [unrolled: 1-line block ×7, first 2 shown]
.LBB622_2:                              ; =>This Inner Loop Header: Depth=1
	flat_load_dwordx2 v[2:3], v[6:7]
	v_add_co_u32_e32 v6, vcc, 64, v6
	v_addc_co_u32_e32 v7, vcc, 0, v7, vcc
	s_add_i32 s9, s9, 8
	s_cmp_ge_i32 s9, s3
	s_waitcnt vmcnt(0) lgkmcnt(0)
	ds_write_b64 v11, v[2:3]
	flat_load_dwordx2 v[2:3], v[8:9]
	v_add_co_u32_e32 v8, vcc, 64, v8
	v_addc_co_u32_e32 v9, vcc, 0, v9, vcc
	s_waitcnt vmcnt(0) lgkmcnt(0)
	ds_write_b64 v12, v[2:3]
	s_waitcnt lgkmcnt(0)
	s_barrier
	ds_read_b128 v[22:25], v14
	ds_read_b128 v[26:29], v14 offset:16
	ds_read_b128 v[30:33], v14 offset:32
	;; [unrolled: 1-line block ×3, first 2 shown]
	ds_read2_b64 v[34:37], v13 offset1:16
	s_waitcnt lgkmcnt(0)
	v_mul_f32_e32 v38, v23, v35
	v_mul_f32_e32 v39, v22, v35
	v_fma_f32 v38, v22, v34, -v38
	v_fmac_f32_e32 v39, v23, v34
	v_add_f32_e32 v38, v20, v38
	v_add_f32_e32 v39, v21, v39
	v_mul_f32_e32 v20, v23, v37
	v_mul_f32_e32 v21, v22, v37
	v_fma_f32 v20, v22, v36, -v20
	v_fmac_f32_e32 v21, v23, v36
	v_add_f32_e32 v22, v19, v20
	v_add_f32_e32 v23, v18, v21
	ds_read_b128 v[18:21], v14 offset:1024
	s_waitcnt lgkmcnt(0)
	v_mul_f32_e32 v40, v19, v35
	v_mul_f32_e32 v35, v18, v35
	v_fma_f32 v40, v18, v34, -v40
	v_fmac_f32_e32 v35, v19, v34
	v_add_f32_e32 v34, v17, v40
	v_add_f32_e32 v35, v16, v35
	v_mul_f32_e32 v16, v19, v37
	v_mul_f32_e32 v17, v18, v37
	v_fma_f32 v16, v18, v36, -v16
	v_fmac_f32_e32 v17, v19, v36
	v_add_f32_e32 v19, v15, v16
	v_add_f32_e32 v10, v10, v17
	ds_read2_b64 v[15:18], v13 offset0:32 offset1:48
	s_waitcnt lgkmcnt(0)
	v_mul_f32_e32 v36, v25, v16
	v_fma_f32 v36, v24, v15, -v36
	v_add_f32_e32 v36, v38, v36
	v_mul_f32_e32 v38, v25, v18
	v_mul_f32_e32 v37, v24, v16
	v_fma_f32 v38, v24, v17, -v38
	v_mul_f32_e32 v24, v24, v18
	v_fmac_f32_e32 v24, v25, v17
	v_add_f32_e32 v23, v23, v24
	v_mul_f32_e32 v24, v21, v16
	v_mul_f32_e32 v16, v20, v16
	v_fmac_f32_e32 v16, v21, v15
	v_fmac_f32_e32 v37, v25, v15
	v_fma_f32 v24, v20, v15, -v24
	v_add_f32_e32 v25, v35, v16
	v_mul_f32_e32 v15, v21, v18
	v_mul_f32_e32 v16, v20, v18
	v_fma_f32 v15, v20, v17, -v15
	v_fmac_f32_e32 v16, v21, v17
	v_add_f32_e32 v24, v34, v24
	v_add_f32_e32 v34, v19, v15
	;; [unrolled: 1-line block ×3, first 2 shown]
	ds_read2_b64 v[15:18], v13 offset0:64 offset1:80
	v_add_f32_e32 v37, v39, v37
	v_add_f32_e32 v22, v22, v38
	s_waitcnt lgkmcnt(0)
	v_mul_f32_e32 v19, v27, v16
	v_mul_f32_e32 v20, v26, v16
	v_fma_f32 v19, v26, v15, -v19
	v_fmac_f32_e32 v20, v27, v15
	v_add_f32_e32 v35, v36, v19
	v_add_f32_e32 v36, v37, v20
	v_mul_f32_e32 v19, v27, v18
	v_mul_f32_e32 v20, v26, v18
	v_fma_f32 v19, v26, v17, -v19
	v_fmac_f32_e32 v20, v27, v17
	v_add_f32_e32 v26, v22, v19
	v_add_f32_e32 v23, v23, v20
	ds_read_b128 v[19:22], v14 offset:1040
	s_waitcnt lgkmcnt(0)
	v_mul_f32_e32 v27, v20, v16
	v_mul_f32_e32 v16, v19, v16
	v_fmac_f32_e32 v16, v20, v15
	v_fma_f32 v27, v19, v15, -v27
	v_add_f32_e32 v25, v25, v16
	v_mul_f32_e32 v15, v20, v18
	v_mul_f32_e32 v16, v19, v18
	v_fma_f32 v15, v19, v17, -v15
	v_fmac_f32_e32 v16, v20, v17
	v_add_f32_e32 v19, v34, v15
	v_add_f32_e32 v10, v10, v16
	ds_read2_b64 v[15:18], v13 offset0:96 offset1:112
	v_add_f32_e32 v24, v24, v27
	s_waitcnt lgkmcnt(0)
	v_mul_f32_e32 v20, v29, v16
	v_mul_f32_e32 v34, v29, v18
	v_fma_f32 v20, v28, v15, -v20
	v_mul_f32_e32 v27, v28, v16
	v_fma_f32 v34, v28, v17, -v34
	v_mul_f32_e32 v28, v28, v18
	v_fmac_f32_e32 v28, v29, v17
	v_add_f32_e32 v23, v23, v28
	v_mul_f32_e32 v28, v22, v16
	v_mul_f32_e32 v16, v21, v16
	v_fmac_f32_e32 v16, v22, v15
	v_fmac_f32_e32 v27, v29, v15
	v_fma_f32 v28, v21, v15, -v28
	v_add_f32_e32 v25, v25, v16
	v_mul_f32_e32 v15, v22, v18
	v_mul_f32_e32 v16, v21, v18
	v_fma_f32 v15, v21, v17, -v15
	v_fmac_f32_e32 v16, v22, v17
	v_add_f32_e32 v24, v24, v28
	v_add_f32_e32 v28, v19, v15
	;; [unrolled: 1-line block ×3, first 2 shown]
	ds_read2_b64 v[15:18], v13 offset0:128 offset1:144
	v_add_f32_e32 v20, v35, v20
	v_add_f32_e32 v27, v36, v27
	;; [unrolled: 1-line block ×3, first 2 shown]
	s_waitcnt lgkmcnt(0)
	v_mul_f32_e32 v19, v31, v16
	v_fma_f32 v19, v30, v15, -v19
	v_mul_f32_e32 v21, v30, v16
	v_add_f32_e32 v29, v20, v19
	v_mul_f32_e32 v19, v31, v18
	v_mul_f32_e32 v20, v30, v18
	v_fmac_f32_e32 v21, v31, v15
	v_fma_f32 v19, v30, v17, -v19
	v_fmac_f32_e32 v20, v31, v17
	v_add_f32_e32 v27, v27, v21
	v_add_f32_e32 v26, v26, v19
	;; [unrolled: 1-line block ×3, first 2 shown]
	ds_read_b128 v[19:22], v14 offset:1056
	s_waitcnt lgkmcnt(0)
	v_mul_f32_e32 v30, v20, v16
	v_mul_f32_e32 v16, v19, v16
	v_fmac_f32_e32 v16, v20, v15
	v_fma_f32 v30, v19, v15, -v30
	v_add_f32_e32 v25, v25, v16
	v_mul_f32_e32 v15, v20, v18
	v_mul_f32_e32 v16, v19, v18
	v_fma_f32 v15, v19, v17, -v15
	v_fmac_f32_e32 v16, v20, v17
	v_add_f32_e32 v19, v28, v15
	v_add_f32_e32 v10, v10, v16
	ds_read2_b64 v[15:18], v13 offset0:160 offset1:176
	v_add_f32_e32 v24, v24, v30
	s_waitcnt lgkmcnt(0)
	v_mul_f32_e32 v28, v32, v16
	v_fmac_f32_e32 v28, v33, v15
	v_add_f32_e32 v27, v27, v28
	v_mul_f32_e32 v28, v33, v18
	v_fma_f32 v28, v32, v17, -v28
	v_mul_f32_e32 v20, v33, v16
	v_add_f32_e32 v26, v26, v28
	v_mul_f32_e32 v28, v22, v16
	v_mul_f32_e32 v16, v21, v16
	v_fmac_f32_e32 v16, v22, v15
	v_fma_f32 v20, v32, v15, -v20
	v_fma_f32 v28, v21, v15, -v28
	v_add_f32_e32 v25, v25, v16
	v_mul_f32_e32 v15, v22, v18
	v_mul_f32_e32 v16, v21, v18
	v_add_f32_e32 v20, v29, v20
	v_mul_f32_e32 v29, v32, v18
	v_fma_f32 v15, v21, v17, -v15
	v_fmac_f32_e32 v16, v22, v17
	v_fmac_f32_e32 v29, v33, v17
	v_add_f32_e32 v19, v19, v15
	v_add_f32_e32 v10, v10, v16
	ds_read2_b64 v[15:18], v13 offset0:192 offset1:208
	v_add_f32_e32 v24, v24, v28
	v_add_f32_e32 v23, v23, v29
	s_waitcnt lgkmcnt(0)
	v_mul_f32_e32 v21, v3, v16
	v_fma_f32 v21, v2, v15, -v21
	v_add_f32_e32 v28, v20, v21
	v_mul_f32_e32 v20, v3, v18
	v_mul_f32_e32 v22, v2, v16
	v_fma_f32 v20, v2, v17, -v20
	v_mul_f32_e32 v2, v2, v18
	v_fmac_f32_e32 v22, v3, v15
	v_fmac_f32_e32 v2, v3, v17
	v_add_f32_e32 v29, v27, v22
	v_add_f32_e32 v3, v26, v20
	;; [unrolled: 1-line block ×3, first 2 shown]
	ds_read_b128 v[20:23], v14 offset:1072
	s_waitcnt lgkmcnt(0)
	v_mul_f32_e32 v26, v21, v16
	v_fma_f32 v26, v20, v15, -v26
	v_mul_f32_e32 v16, v20, v16
	v_fmac_f32_e32 v16, v21, v15
	v_add_f32_e32 v15, v24, v26
	v_mul_f32_e32 v24, v21, v18
	v_fma_f32 v24, v20, v17, -v24
	v_add_f32_e32 v16, v25, v16
	v_add_f32_e32 v30, v19, v24
	ds_read2_b64 v[24:27], v13 offset0:224 offset1:240
	v_mul_f32_e32 v18, v20, v18
	v_fmac_f32_e32 v18, v21, v17
	v_add_f32_e32 v10, v10, v18
	s_waitcnt lgkmcnt(0)
	v_mul_f32_e32 v17, v5, v25
	v_fma_f32 v17, v4, v24, -v17
	v_add_f32_e32 v20, v28, v17
	v_mul_f32_e32 v17, v5, v27
	v_mul_f32_e32 v18, v4, v25
	v_fma_f32 v17, v4, v26, -v17
	v_mul_f32_e32 v4, v4, v27
	v_fmac_f32_e32 v18, v5, v24
	v_fmac_f32_e32 v4, v5, v26
	v_add_f32_e32 v21, v29, v18
	v_add_f32_e32 v19, v3, v17
	;; [unrolled: 1-line block ×3, first 2 shown]
	v_mul_f32_e32 v2, v23, v25
	v_mul_f32_e32 v3, v22, v25
	v_fma_f32 v2, v22, v24, -v2
	v_fmac_f32_e32 v3, v23, v24
	v_add_f32_e32 v17, v15, v2
	v_add_f32_e32 v16, v16, v3
	v_mul_f32_e32 v2, v23, v27
	v_mul_f32_e32 v3, v22, v27
	v_fma_f32 v2, v22, v26, -v2
	v_fmac_f32_e32 v3, v23, v26
	v_add_f32_e32 v15, v30, v2
	v_add_f32_e32 v10, v10, v3
	s_barrier
	s_cbranch_scc0 .LBB622_2
	s_branch .LBB622_4
.LBB622_3:
	v_mov_b32_e32 v20, 0
	v_mov_b32_e32 v21, 0
	;; [unrolled: 1-line block ×8, first 2 shown]
.LBB622_4:
	s_load_dword s3, s[4:5], 0x40
	v_add_u32_e32 v4, s7, v1
	s_waitcnt lgkmcnt(0)
	v_mov_b32_e32 v3, s11
	v_add_u32_e32 v0, s6, v0
	v_cmp_gt_i32_e32 vcc, s2, v4
	v_mad_i64_i32 v[1:2], s[0:1], v4, s3, 0
	v_lshlrev_b64 v[1:2], 3, v[1:2]
	v_add_co_u32_e64 v5, s[0:1], s10, v1
	v_addc_co_u32_e64 v6, s[0:1], v3, v2, s[0:1]
	v_cmp_le_i32_e64 s[0:1], v0, v4
	s_and_b64 s[0:1], vcc, s[0:1]
	s_and_saveexec_b64 s[4:5], s[0:1]
	s_cbranch_execz .LBB622_6
; %bb.5:
	v_ashrrev_i32_e32 v1, 31, v0
	v_lshlrev_b64 v[1:2], 3, v[0:1]
	v_add_co_u32_e64 v1, s[0:1], v5, v1
	v_addc_co_u32_e64 v2, s[0:1], v6, v2, s[0:1]
	flat_load_dwordx2 v[7:8], v[1:2]
	s_waitcnt vmcnt(0) lgkmcnt(0)
	v_add_f32_e32 v7, v20, v7
	v_add_f32_e32 v8, v21, v8
	flat_store_dwordx2 v[1:2], v[7:8]
.LBB622_6:
	s_or_b64 exec, exec, s[4:5]
	v_add_u32_e32 v2, 16, v0
	v_cmp_le_i32_e64 s[0:1], v2, v4
	s_and_b64 s[4:5], vcc, s[0:1]
	s_and_saveexec_b64 s[0:1], s[4:5]
	s_cbranch_execz .LBB622_8
; %bb.7:
	v_ashrrev_i32_e32 v3, 31, v2
	v_lshlrev_b64 v[7:8], 3, v[2:3]
	v_add_co_u32_e32 v5, vcc, v5, v7
	v_addc_co_u32_e32 v6, vcc, v6, v8, vcc
	flat_load_dwordx2 v[7:8], v[5:6]
	s_waitcnt vmcnt(0) lgkmcnt(0)
	v_add_f32_e32 v7, v19, v7
	v_add_f32_e32 v8, v18, v8
	flat_store_dwordx2 v[5:6], v[7:8]
.LBB622_8:
	s_or_b64 exec, exec, s[0:1]
	v_add_u32_e32 v3, 16, v4
	v_mad_i64_i32 v[4:5], s[0:1], v3, s3, 0
	v_mov_b32_e32 v1, s11
	v_cmp_gt_i32_e32 vcc, s2, v3
	v_lshlrev_b64 v[4:5], 3, v[4:5]
	v_add_co_u32_e64 v4, s[0:1], s10, v4
	v_addc_co_u32_e64 v5, s[0:1], v1, v5, s[0:1]
	v_cmp_le_i32_e64 s[0:1], v0, v3
	s_and_b64 s[0:1], vcc, s[0:1]
	s_and_saveexec_b64 s[2:3], s[0:1]
	s_cbranch_execz .LBB622_10
; %bb.9:
	v_ashrrev_i32_e32 v1, 31, v0
	v_lshlrev_b64 v[0:1], 3, v[0:1]
	v_add_co_u32_e64 v0, s[0:1], v4, v0
	v_addc_co_u32_e64 v1, s[0:1], v5, v1, s[0:1]
	flat_load_dwordx2 v[6:7], v[0:1]
	s_waitcnt vmcnt(0) lgkmcnt(0)
	v_add_f32_e32 v6, v17, v6
	v_add_f32_e32 v7, v16, v7
	flat_store_dwordx2 v[0:1], v[6:7]
.LBB622_10:
	s_or_b64 exec, exec, s[2:3]
	v_cmp_le_i32_e64 s[0:1], v2, v3
	s_and_b64 s[0:1], vcc, s[0:1]
	s_and_saveexec_b64 s[2:3], s[0:1]
	s_cbranch_execz .LBB622_12
; %bb.11:
	v_ashrrev_i32_e32 v3, 31, v2
	v_lshlrev_b64 v[0:1], 3, v[2:3]
	v_add_co_u32_e32 v0, vcc, v4, v0
	v_addc_co_u32_e32 v1, vcc, v5, v1, vcc
	flat_load_dwordx2 v[2:3], v[0:1]
	s_waitcnt vmcnt(0) lgkmcnt(0)
	v_add_f32_e32 v2, v15, v2
	v_add_f32_e32 v3, v10, v3
	flat_store_dwordx2 v[0:1], v[2:3]
.LBB622_12:
	s_endpgm
	.section	.rodata,"a",@progbits
	.p2align	6, 0x0
	.amdhsa_kernel _ZL37rocblas_syrkx_herkx_restricted_kernelIi19rocblas_complex_numIfELi16ELi32ELi8ELi1ELi1ELb0ELc67ELc85EKPKS1_KPS1_EviT_PT9_S7_lS9_S7_lPT10_S7_li
		.amdhsa_group_segment_fixed_size 4096
		.amdhsa_private_segment_fixed_size 0
		.amdhsa_kernarg_size 84
		.amdhsa_user_sgpr_count 6
		.amdhsa_user_sgpr_private_segment_buffer 1
		.amdhsa_user_sgpr_dispatch_ptr 0
		.amdhsa_user_sgpr_queue_ptr 0
		.amdhsa_user_sgpr_kernarg_segment_ptr 1
		.amdhsa_user_sgpr_dispatch_id 0
		.amdhsa_user_sgpr_flat_scratch_init 0
		.amdhsa_user_sgpr_private_segment_size 0
		.amdhsa_uses_dynamic_stack 0
		.amdhsa_system_sgpr_private_segment_wavefront_offset 0
		.amdhsa_system_sgpr_workgroup_id_x 1
		.amdhsa_system_sgpr_workgroup_id_y 1
		.amdhsa_system_sgpr_workgroup_id_z 1
		.amdhsa_system_sgpr_workgroup_info 0
		.amdhsa_system_vgpr_workitem_id 1
		.amdhsa_next_free_vgpr 41
		.amdhsa_next_free_sgpr 17
		.amdhsa_reserve_vcc 1
		.amdhsa_reserve_flat_scratch 0
		.amdhsa_float_round_mode_32 0
		.amdhsa_float_round_mode_16_64 0
		.amdhsa_float_denorm_mode_32 3
		.amdhsa_float_denorm_mode_16_64 3
		.amdhsa_dx10_clamp 1
		.amdhsa_ieee_mode 1
		.amdhsa_fp16_overflow 0
		.amdhsa_exception_fp_ieee_invalid_op 0
		.amdhsa_exception_fp_denorm_src 0
		.amdhsa_exception_fp_ieee_div_zero 0
		.amdhsa_exception_fp_ieee_overflow 0
		.amdhsa_exception_fp_ieee_underflow 0
		.amdhsa_exception_fp_ieee_inexact 0
		.amdhsa_exception_int_div_zero 0
	.end_amdhsa_kernel
	.section	.text._ZL37rocblas_syrkx_herkx_restricted_kernelIi19rocblas_complex_numIfELi16ELi32ELi8ELi1ELi1ELb0ELc67ELc85EKPKS1_KPS1_EviT_PT9_S7_lS9_S7_lPT10_S7_li,"axG",@progbits,_ZL37rocblas_syrkx_herkx_restricted_kernelIi19rocblas_complex_numIfELi16ELi32ELi8ELi1ELi1ELb0ELc67ELc85EKPKS1_KPS1_EviT_PT9_S7_lS9_S7_lPT10_S7_li,comdat
.Lfunc_end622:
	.size	_ZL37rocblas_syrkx_herkx_restricted_kernelIi19rocblas_complex_numIfELi16ELi32ELi8ELi1ELi1ELb0ELc67ELc85EKPKS1_KPS1_EviT_PT9_S7_lS9_S7_lPT10_S7_li, .Lfunc_end622-_ZL37rocblas_syrkx_herkx_restricted_kernelIi19rocblas_complex_numIfELi16ELi32ELi8ELi1ELi1ELb0ELc67ELc85EKPKS1_KPS1_EviT_PT9_S7_lS9_S7_lPT10_S7_li
                                        ; -- End function
	.set _ZL37rocblas_syrkx_herkx_restricted_kernelIi19rocblas_complex_numIfELi16ELi32ELi8ELi1ELi1ELb0ELc67ELc85EKPKS1_KPS1_EviT_PT9_S7_lS9_S7_lPT10_S7_li.num_vgpr, 41
	.set _ZL37rocblas_syrkx_herkx_restricted_kernelIi19rocblas_complex_numIfELi16ELi32ELi8ELi1ELi1ELb0ELc67ELc85EKPKS1_KPS1_EviT_PT9_S7_lS9_S7_lPT10_S7_li.num_agpr, 0
	.set _ZL37rocblas_syrkx_herkx_restricted_kernelIi19rocblas_complex_numIfELi16ELi32ELi8ELi1ELi1ELb0ELc67ELc85EKPKS1_KPS1_EviT_PT9_S7_lS9_S7_lPT10_S7_li.numbered_sgpr, 17
	.set _ZL37rocblas_syrkx_herkx_restricted_kernelIi19rocblas_complex_numIfELi16ELi32ELi8ELi1ELi1ELb0ELc67ELc85EKPKS1_KPS1_EviT_PT9_S7_lS9_S7_lPT10_S7_li.num_named_barrier, 0
	.set _ZL37rocblas_syrkx_herkx_restricted_kernelIi19rocblas_complex_numIfELi16ELi32ELi8ELi1ELi1ELb0ELc67ELc85EKPKS1_KPS1_EviT_PT9_S7_lS9_S7_lPT10_S7_li.private_seg_size, 0
	.set _ZL37rocblas_syrkx_herkx_restricted_kernelIi19rocblas_complex_numIfELi16ELi32ELi8ELi1ELi1ELb0ELc67ELc85EKPKS1_KPS1_EviT_PT9_S7_lS9_S7_lPT10_S7_li.uses_vcc, 1
	.set _ZL37rocblas_syrkx_herkx_restricted_kernelIi19rocblas_complex_numIfELi16ELi32ELi8ELi1ELi1ELb0ELc67ELc85EKPKS1_KPS1_EviT_PT9_S7_lS9_S7_lPT10_S7_li.uses_flat_scratch, 0
	.set _ZL37rocblas_syrkx_herkx_restricted_kernelIi19rocblas_complex_numIfELi16ELi32ELi8ELi1ELi1ELb0ELc67ELc85EKPKS1_KPS1_EviT_PT9_S7_lS9_S7_lPT10_S7_li.has_dyn_sized_stack, 0
	.set _ZL37rocblas_syrkx_herkx_restricted_kernelIi19rocblas_complex_numIfELi16ELi32ELi8ELi1ELi1ELb0ELc67ELc85EKPKS1_KPS1_EviT_PT9_S7_lS9_S7_lPT10_S7_li.has_recursion, 0
	.set _ZL37rocblas_syrkx_herkx_restricted_kernelIi19rocblas_complex_numIfELi16ELi32ELi8ELi1ELi1ELb0ELc67ELc85EKPKS1_KPS1_EviT_PT9_S7_lS9_S7_lPT10_S7_li.has_indirect_call, 0
	.section	.AMDGPU.csdata,"",@progbits
; Kernel info:
; codeLenInByte = 1908
; TotalNumSgprs: 21
; NumVgprs: 41
; ScratchSize: 0
; MemoryBound: 0
; FloatMode: 240
; IeeeMode: 1
; LDSByteSize: 4096 bytes/workgroup (compile time only)
; SGPRBlocks: 2
; VGPRBlocks: 10
; NumSGPRsForWavesPerEU: 21
; NumVGPRsForWavesPerEU: 41
; Occupancy: 5
; WaveLimiterHint : 1
; COMPUTE_PGM_RSRC2:SCRATCH_EN: 0
; COMPUTE_PGM_RSRC2:USER_SGPR: 6
; COMPUTE_PGM_RSRC2:TRAP_HANDLER: 0
; COMPUTE_PGM_RSRC2:TGID_X_EN: 1
; COMPUTE_PGM_RSRC2:TGID_Y_EN: 1
; COMPUTE_PGM_RSRC2:TGID_Z_EN: 1
; COMPUTE_PGM_RSRC2:TIDIG_COMP_CNT: 1
	.section	.text._ZL37rocblas_syrkx_herkx_restricted_kernelIi19rocblas_complex_numIfELi16ELi32ELi8ELi1ELi1ELb0ELc78ELc85EKPKS1_KPS1_EviT_PT9_S7_lS9_S7_lPT10_S7_li,"axG",@progbits,_ZL37rocblas_syrkx_herkx_restricted_kernelIi19rocblas_complex_numIfELi16ELi32ELi8ELi1ELi1ELb0ELc78ELc85EKPKS1_KPS1_EviT_PT9_S7_lS9_S7_lPT10_S7_li,comdat
	.globl	_ZL37rocblas_syrkx_herkx_restricted_kernelIi19rocblas_complex_numIfELi16ELi32ELi8ELi1ELi1ELb0ELc78ELc85EKPKS1_KPS1_EviT_PT9_S7_lS9_S7_lPT10_S7_li ; -- Begin function _ZL37rocblas_syrkx_herkx_restricted_kernelIi19rocblas_complex_numIfELi16ELi32ELi8ELi1ELi1ELb0ELc78ELc85EKPKS1_KPS1_EviT_PT9_S7_lS9_S7_lPT10_S7_li
	.p2align	8
	.type	_ZL37rocblas_syrkx_herkx_restricted_kernelIi19rocblas_complex_numIfELi16ELi32ELi8ELi1ELi1ELb0ELc78ELc85EKPKS1_KPS1_EviT_PT9_S7_lS9_S7_lPT10_S7_li,@function
_ZL37rocblas_syrkx_herkx_restricted_kernelIi19rocblas_complex_numIfELi16ELi32ELi8ELi1ELi1ELb0ELc78ELc85EKPKS1_KPS1_EviT_PT9_S7_lS9_S7_lPT10_S7_li: ; @_ZL37rocblas_syrkx_herkx_restricted_kernelIi19rocblas_complex_numIfELi16ELi32ELi8ELi1ELi1ELb0ELc78ELc85EKPKS1_KPS1_EviT_PT9_S7_lS9_S7_lPT10_S7_li
; %bb.0:
	s_load_dwordx2 s[10:11], s[4:5], 0x38
	s_load_dwordx2 s[2:3], s[4:5], 0x0
	s_mov_b32 s9, 0
	s_lshl_b64 s[0:1], s[8:9], 3
	s_waitcnt lgkmcnt(0)
	s_add_u32 s10, s10, s0
	s_addc_u32 s11, s11, s1
	s_load_dwordx2 s[10:11], s[10:11], 0x0
	s_lshl_b32 s8, s6, 5
	s_lshl_b32 s12, s7, 5
	s_cmp_lt_i32 s3, 1
	s_cbranch_scc1 .LBB623_3
; %bb.1:
	s_load_dword s6, s[4:5], 0x10
	s_load_dword s14, s[4:5], 0x28
	s_load_dwordx2 s[16:17], s[4:5], 0x20
	s_load_dwordx2 s[18:19], s[4:5], 0x8
	v_lshl_add_u32 v5, v1, 4, v0
	s_waitcnt lgkmcnt(0)
	s_ashr_i32 s7, s6, 31
	s_ashr_i32 s15, s14, 31
	v_lshrrev_b32_e32 v6, 3, v5
	s_add_u32 s18, s18, s0
	s_addc_u32 s19, s19, s1
	s_add_u32 s0, s16, s0
	v_add_u32_e32 v2, s12, v6
	s_addc_u32 s1, s17, s1
	v_and_b32_e32 v4, 7, v0
	v_ashrrev_i32_e32 v3, 31, v2
	s_load_dwordx2 s[16:17], s[0:1], 0x0
	v_mad_i64_i32 v[2:3], s[0:1], s14, v4, v[2:3]
	v_lshlrev_b32_e32 v4, 3, v4
	v_lshrrev_b32_e32 v7, 5, v5
	v_and_b32_e32 v5, 31, v5
	v_lshl_or_b32 v4, v6, 6, v4
	v_add_u32_e32 v11, 0x800, v4
	v_add_u32_e32 v4, s8, v5
	v_lshlrev_b32_e32 v8, 3, v5
	v_ashrrev_i32_e32 v5, 31, v4
	v_mad_i64_i32 v[4:5], s[0:1], s6, v7, v[4:5]
	s_load_dwordx2 s[18:19], s[18:19], 0x0
	v_mov_b32_e32 v6, 0x800
	v_lshlrev_b64 v[4:5], 3, v[4:5]
	v_lshl_or_b32 v10, v7, 8, v8
	v_lshl_add_u32 v13, v1, 6, v6
	s_waitcnt lgkmcnt(0)
	v_mov_b32_e32 v7, s19
	v_add_co_u32_e32 v6, vcc, s18, v4
	v_lshlrev_b64 v[2:3], 3, v[2:3]
	v_addc_co_u32_e32 v7, vcc, v7, v5, vcc
	s_lshl_b64 s[0:1], s[6:7], 6
	v_mov_b32_e32 v4, s17
	v_add_co_u32_e32 v8, vcc, s16, v2
	s_lshl_b64 s[6:7], s[14:15], 6
	v_lshlrev_b32_e32 v12, 3, v0
	v_addc_co_u32_e32 v9, vcc, v4, v3, vcc
	v_mov_b32_e32 v16, 0
	v_mov_b32_e32 v14, s1
	;; [unrolled: 1-line block ×10, first 2 shown]
.LBB623_2:                              ; =>This Inner Loop Header: Depth=1
	flat_load_dwordx2 v[2:3], v[6:7]
	v_add_co_u32_e32 v6, vcc, s0, v6
	v_addc_co_u32_e32 v7, vcc, v7, v14, vcc
	s_add_i32 s9, s9, 8
	s_cmp_ge_i32 s9, s3
	s_waitcnt vmcnt(0) lgkmcnt(0)
	ds_write_b64 v10, v[2:3]
	flat_load_dwordx2 v[2:3], v[8:9]
	v_add_co_u32_e32 v8, vcc, s6, v8
	v_addc_co_u32_e32 v9, vcc, v9, v15, vcc
	s_waitcnt vmcnt(0) lgkmcnt(0)
	ds_write_b64 v11, v[2:3]
	s_waitcnt lgkmcnt(0)
	s_barrier
	ds_read_b128 v[24:27], v13
	ds_read_b128 v[28:31], v13 offset:16
	ds_read_b128 v[32:35], v13 offset:32
	;; [unrolled: 1-line block ×3, first 2 shown]
	ds_read2_b64 v[36:39], v12 offset1:16
	s_waitcnt lgkmcnt(0)
	v_mul_f32_e32 v40, v25, v37
	v_mul_f32_e32 v41, v24, v37
	v_fma_f32 v40, v24, v36, -v40
	v_fmac_f32_e32 v41, v25, v36
	v_add_f32_e32 v40, v22, v40
	v_add_f32_e32 v41, v23, v41
	v_mul_f32_e32 v22, v25, v39
	v_mul_f32_e32 v23, v24, v39
	v_fma_f32 v22, v24, v38, -v22
	v_fmac_f32_e32 v23, v25, v38
	v_add_f32_e32 v24, v21, v22
	v_add_f32_e32 v25, v20, v23
	ds_read_b128 v[20:23], v13 offset:1024
	s_waitcnt lgkmcnt(0)
	v_mul_f32_e32 v42, v21, v37
	v_mul_f32_e32 v37, v20, v37
	v_fma_f32 v42, v20, v36, -v42
	v_fmac_f32_e32 v37, v21, v36
	v_add_f32_e32 v36, v19, v42
	v_add_f32_e32 v37, v18, v37
	v_mul_f32_e32 v18, v21, v39
	v_mul_f32_e32 v19, v20, v39
	v_fma_f32 v18, v20, v38, -v18
	v_fmac_f32_e32 v19, v21, v38
	v_add_f32_e32 v20, v17, v18
	v_add_f32_e32 v21, v16, v19
	ds_read2_b64 v[16:19], v12 offset0:32 offset1:48
	s_waitcnt lgkmcnt(0)
	v_mul_f32_e32 v38, v27, v17
	v_fma_f32 v38, v26, v16, -v38
	v_add_f32_e32 v38, v40, v38
	v_mul_f32_e32 v40, v27, v19
	v_mul_f32_e32 v39, v26, v17
	v_fma_f32 v40, v26, v18, -v40
	v_mul_f32_e32 v26, v26, v19
	v_fmac_f32_e32 v26, v27, v18
	v_add_f32_e32 v25, v25, v26
	v_mul_f32_e32 v26, v23, v17
	v_mul_f32_e32 v17, v22, v17
	v_fmac_f32_e32 v17, v23, v16
	v_fmac_f32_e32 v39, v27, v16
	v_fma_f32 v26, v22, v16, -v26
	v_add_f32_e32 v27, v37, v17
	v_mul_f32_e32 v16, v23, v19
	v_mul_f32_e32 v17, v22, v19
	v_fma_f32 v16, v22, v18, -v16
	v_fmac_f32_e32 v17, v23, v18
	v_add_f32_e32 v26, v36, v26
	v_add_f32_e32 v36, v20, v16
	v_add_f32_e32 v37, v21, v17
	ds_read2_b64 v[16:19], v12 offset0:64 offset1:80
	v_add_f32_e32 v39, v41, v39
	v_add_f32_e32 v24, v24, v40
	s_waitcnt lgkmcnt(0)
	v_mul_f32_e32 v20, v29, v17
	v_mul_f32_e32 v21, v28, v17
	v_fma_f32 v20, v28, v16, -v20
	v_fmac_f32_e32 v21, v29, v16
	v_add_f32_e32 v38, v38, v20
	v_add_f32_e32 v39, v39, v21
	v_mul_f32_e32 v20, v29, v19
	v_mul_f32_e32 v21, v28, v19
	v_fma_f32 v20, v28, v18, -v20
	v_fmac_f32_e32 v21, v29, v18
	v_add_f32_e32 v24, v24, v20
	v_add_f32_e32 v25, v25, v21
	ds_read_b128 v[20:23], v13 offset:1040
	s_waitcnt lgkmcnt(0)
	v_mul_f32_e32 v28, v21, v17
	v_mul_f32_e32 v17, v20, v17
	v_fmac_f32_e32 v17, v21, v16
	v_fma_f32 v28, v20, v16, -v28
	v_add_f32_e32 v27, v27, v17
	v_mul_f32_e32 v16, v21, v19
	v_mul_f32_e32 v17, v20, v19
	v_fma_f32 v16, v20, v18, -v16
	v_fmac_f32_e32 v17, v21, v18
	v_add_f32_e32 v20, v36, v16
	v_add_f32_e32 v21, v37, v17
	ds_read2_b64 v[16:19], v12 offset0:96 offset1:112
	v_add_f32_e32 v26, v26, v28
	s_waitcnt lgkmcnt(0)
	v_mul_f32_e32 v28, v31, v17
	v_mul_f32_e32 v36, v31, v19
	v_fma_f32 v28, v30, v16, -v28
	v_mul_f32_e32 v29, v30, v17
	v_fma_f32 v36, v30, v18, -v36
	v_mul_f32_e32 v30, v30, v19
	v_fmac_f32_e32 v30, v31, v18
	v_add_f32_e32 v25, v25, v30
	v_mul_f32_e32 v30, v23, v17
	v_mul_f32_e32 v17, v22, v17
	v_fmac_f32_e32 v17, v23, v16
	v_fmac_f32_e32 v29, v31, v16
	v_fma_f32 v30, v22, v16, -v30
	v_add_f32_e32 v27, v27, v17
	v_mul_f32_e32 v16, v23, v19
	v_mul_f32_e32 v17, v22, v19
	v_fma_f32 v16, v22, v18, -v16
	v_fmac_f32_e32 v17, v23, v18
	v_add_f32_e32 v26, v26, v30
	v_add_f32_e32 v30, v20, v16
	;; [unrolled: 1-line block ×3, first 2 shown]
	ds_read2_b64 v[16:19], v12 offset0:128 offset1:144
	v_add_f32_e32 v28, v38, v28
	v_add_f32_e32 v29, v39, v29
	;; [unrolled: 1-line block ×3, first 2 shown]
	s_waitcnt lgkmcnt(0)
	v_mul_f32_e32 v20, v33, v17
	v_mul_f32_e32 v21, v32, v17
	v_fma_f32 v20, v32, v16, -v20
	v_fmac_f32_e32 v21, v33, v16
	v_add_f32_e32 v28, v28, v20
	v_add_f32_e32 v29, v29, v21
	v_mul_f32_e32 v20, v33, v19
	v_mul_f32_e32 v21, v32, v19
	v_fma_f32 v20, v32, v18, -v20
	v_fmac_f32_e32 v21, v33, v18
	v_add_f32_e32 v24, v24, v20
	v_add_f32_e32 v25, v25, v21
	ds_read_b128 v[20:23], v13 offset:1056
	s_waitcnt lgkmcnt(0)
	v_mul_f32_e32 v32, v21, v17
	v_mul_f32_e32 v17, v20, v17
	v_fmac_f32_e32 v17, v21, v16
	v_fma_f32 v32, v20, v16, -v32
	v_add_f32_e32 v27, v27, v17
	v_mul_f32_e32 v16, v21, v19
	v_mul_f32_e32 v17, v20, v19
	v_fma_f32 v16, v20, v18, -v16
	v_fmac_f32_e32 v17, v21, v18
	v_add_f32_e32 v20, v30, v16
	v_add_f32_e32 v21, v31, v17
	ds_read2_b64 v[16:19], v12 offset0:160 offset1:176
	v_add_f32_e32 v26, v26, v32
	s_waitcnt lgkmcnt(0)
	v_mul_f32_e32 v30, v35, v17
	v_fma_f32 v30, v34, v16, -v30
	v_add_f32_e32 v28, v28, v30
	v_mul_f32_e32 v30, v35, v19
	v_fma_f32 v30, v34, v18, -v30
	v_mul_f32_e32 v31, v34, v17
	v_add_f32_e32 v24, v24, v30
	v_mul_f32_e32 v30, v23, v17
	v_mul_f32_e32 v17, v22, v17
	v_fmac_f32_e32 v17, v23, v16
	v_fmac_f32_e32 v31, v35, v16
	v_fma_f32 v30, v22, v16, -v30
	v_add_f32_e32 v27, v27, v17
	v_mul_f32_e32 v16, v23, v19
	v_mul_f32_e32 v17, v22, v19
	v_add_f32_e32 v29, v29, v31
	v_mul_f32_e32 v31, v34, v19
	v_fma_f32 v16, v22, v18, -v16
	v_fmac_f32_e32 v17, v23, v18
	v_fmac_f32_e32 v31, v35, v18
	v_add_f32_e32 v20, v20, v16
	v_add_f32_e32 v21, v21, v17
	ds_read2_b64 v[16:19], v12 offset0:192 offset1:208
	v_add_f32_e32 v26, v26, v30
	v_add_f32_e32 v25, v25, v31
	s_waitcnt lgkmcnt(0)
	v_mul_f32_e32 v22, v3, v17
	v_fma_f32 v22, v2, v16, -v22
	v_add_f32_e32 v30, v28, v22
	v_mul_f32_e32 v22, v3, v19
	v_mul_f32_e32 v23, v2, v17
	v_fma_f32 v22, v2, v18, -v22
	v_mul_f32_e32 v2, v2, v19
	v_fmac_f32_e32 v23, v3, v16
	v_fmac_f32_e32 v2, v3, v18
	v_add_f32_e32 v31, v29, v23
	v_add_f32_e32 v3, v24, v22
	;; [unrolled: 1-line block ×3, first 2 shown]
	ds_read_b128 v[22:25], v13 offset:1072
	s_waitcnt lgkmcnt(0)
	v_mul_f32_e32 v28, v23, v17
	v_fma_f32 v28, v22, v16, -v28
	v_mul_f32_e32 v17, v22, v17
	v_fmac_f32_e32 v17, v23, v16
	v_add_f32_e32 v16, v26, v28
	v_mul_f32_e32 v26, v23, v19
	v_fma_f32 v26, v22, v18, -v26
	v_add_f32_e32 v17, v27, v17
	v_add_f32_e32 v32, v20, v26
	ds_read2_b64 v[26:29], v12 offset0:224 offset1:240
	v_mul_f32_e32 v19, v22, v19
	v_fmac_f32_e32 v19, v23, v18
	v_add_f32_e32 v33, v21, v19
	s_waitcnt lgkmcnt(0)
	v_mul_f32_e32 v18, v5, v27
	v_fma_f32 v18, v4, v26, -v18
	v_add_f32_e32 v22, v30, v18
	v_mul_f32_e32 v18, v5, v29
	v_mul_f32_e32 v19, v4, v27
	v_fma_f32 v18, v4, v28, -v18
	v_mul_f32_e32 v4, v4, v29
	v_fmac_f32_e32 v4, v5, v28
	v_add_f32_e32 v21, v3, v18
	v_add_f32_e32 v20, v2, v4
	v_mul_f32_e32 v2, v25, v27
	v_mul_f32_e32 v3, v24, v27
	v_fmac_f32_e32 v19, v5, v26
	v_fma_f32 v2, v24, v26, -v2
	v_fmac_f32_e32 v3, v25, v26
	v_add_f32_e32 v23, v31, v19
	v_add_f32_e32 v19, v16, v2
	;; [unrolled: 1-line block ×3, first 2 shown]
	v_mul_f32_e32 v2, v25, v29
	v_mul_f32_e32 v3, v24, v29
	v_fma_f32 v2, v24, v28, -v2
	v_fmac_f32_e32 v3, v25, v28
	v_add_f32_e32 v17, v32, v2
	v_add_f32_e32 v16, v33, v3
	s_barrier
	s_cbranch_scc0 .LBB623_2
	s_branch .LBB623_4
.LBB623_3:
	v_mov_b32_e32 v22, 0
	v_mov_b32_e32 v23, 0
	;; [unrolled: 1-line block ×8, first 2 shown]
.LBB623_4:
	s_load_dword s3, s[4:5], 0x40
	v_add_u32_e32 v4, s12, v1
	s_waitcnt lgkmcnt(0)
	v_mov_b32_e32 v3, s11
	v_add_u32_e32 v0, s8, v0
	v_cmp_gt_i32_e32 vcc, s2, v4
	v_mad_i64_i32 v[1:2], s[0:1], v4, s3, 0
	v_lshlrev_b64 v[1:2], 3, v[1:2]
	v_add_co_u32_e64 v5, s[0:1], s10, v1
	v_addc_co_u32_e64 v6, s[0:1], v3, v2, s[0:1]
	v_cmp_le_i32_e64 s[0:1], v0, v4
	s_and_b64 s[0:1], vcc, s[0:1]
	s_and_saveexec_b64 s[4:5], s[0:1]
	s_cbranch_execz .LBB623_6
; %bb.5:
	v_ashrrev_i32_e32 v1, 31, v0
	v_lshlrev_b64 v[1:2], 3, v[0:1]
	v_add_co_u32_e64 v1, s[0:1], v5, v1
	v_addc_co_u32_e64 v2, s[0:1], v6, v2, s[0:1]
	flat_load_dwordx2 v[7:8], v[1:2]
	s_waitcnt vmcnt(0) lgkmcnt(0)
	v_add_f32_e32 v7, v22, v7
	v_add_f32_e32 v8, v23, v8
	flat_store_dwordx2 v[1:2], v[7:8]
.LBB623_6:
	s_or_b64 exec, exec, s[4:5]
	v_add_u32_e32 v2, 16, v0
	v_cmp_le_i32_e64 s[0:1], v2, v4
	s_and_b64 s[4:5], vcc, s[0:1]
	s_and_saveexec_b64 s[0:1], s[4:5]
	s_cbranch_execz .LBB623_8
; %bb.7:
	v_ashrrev_i32_e32 v3, 31, v2
	v_lshlrev_b64 v[7:8], 3, v[2:3]
	v_add_co_u32_e32 v5, vcc, v5, v7
	v_addc_co_u32_e32 v6, vcc, v6, v8, vcc
	flat_load_dwordx2 v[7:8], v[5:6]
	s_waitcnt vmcnt(0) lgkmcnt(0)
	v_add_f32_e32 v7, v21, v7
	v_add_f32_e32 v8, v20, v8
	flat_store_dwordx2 v[5:6], v[7:8]
.LBB623_8:
	s_or_b64 exec, exec, s[0:1]
	v_add_u32_e32 v3, 16, v4
	v_mad_i64_i32 v[4:5], s[0:1], v3, s3, 0
	v_mov_b32_e32 v1, s11
	v_cmp_gt_i32_e32 vcc, s2, v3
	v_lshlrev_b64 v[4:5], 3, v[4:5]
	v_add_co_u32_e64 v4, s[0:1], s10, v4
	v_addc_co_u32_e64 v5, s[0:1], v1, v5, s[0:1]
	v_cmp_le_i32_e64 s[0:1], v0, v3
	s_and_b64 s[0:1], vcc, s[0:1]
	s_and_saveexec_b64 s[2:3], s[0:1]
	s_cbranch_execz .LBB623_10
; %bb.9:
	v_ashrrev_i32_e32 v1, 31, v0
	v_lshlrev_b64 v[0:1], 3, v[0:1]
	v_add_co_u32_e64 v0, s[0:1], v4, v0
	v_addc_co_u32_e64 v1, s[0:1], v5, v1, s[0:1]
	flat_load_dwordx2 v[6:7], v[0:1]
	s_waitcnt vmcnt(0) lgkmcnt(0)
	v_add_f32_e32 v6, v19, v6
	v_add_f32_e32 v7, v18, v7
	flat_store_dwordx2 v[0:1], v[6:7]
.LBB623_10:
	s_or_b64 exec, exec, s[2:3]
	v_cmp_le_i32_e64 s[0:1], v2, v3
	s_and_b64 s[0:1], vcc, s[0:1]
	s_and_saveexec_b64 s[2:3], s[0:1]
	s_cbranch_execz .LBB623_12
; %bb.11:
	v_ashrrev_i32_e32 v3, 31, v2
	v_lshlrev_b64 v[0:1], 3, v[2:3]
	v_add_co_u32_e32 v0, vcc, v4, v0
	v_addc_co_u32_e32 v1, vcc, v5, v1, vcc
	flat_load_dwordx2 v[2:3], v[0:1]
	s_waitcnt vmcnt(0) lgkmcnt(0)
	v_add_f32_e32 v2, v17, v2
	v_add_f32_e32 v3, v16, v3
	flat_store_dwordx2 v[0:1], v[2:3]
.LBB623_12:
	s_endpgm
	.section	.rodata,"a",@progbits
	.p2align	6, 0x0
	.amdhsa_kernel _ZL37rocblas_syrkx_herkx_restricted_kernelIi19rocblas_complex_numIfELi16ELi32ELi8ELi1ELi1ELb0ELc78ELc85EKPKS1_KPS1_EviT_PT9_S7_lS9_S7_lPT10_S7_li
		.amdhsa_group_segment_fixed_size 4096
		.amdhsa_private_segment_fixed_size 0
		.amdhsa_kernarg_size 84
		.amdhsa_user_sgpr_count 6
		.amdhsa_user_sgpr_private_segment_buffer 1
		.amdhsa_user_sgpr_dispatch_ptr 0
		.amdhsa_user_sgpr_queue_ptr 0
		.amdhsa_user_sgpr_kernarg_segment_ptr 1
		.amdhsa_user_sgpr_dispatch_id 0
		.amdhsa_user_sgpr_flat_scratch_init 0
		.amdhsa_user_sgpr_private_segment_size 0
		.amdhsa_uses_dynamic_stack 0
		.amdhsa_system_sgpr_private_segment_wavefront_offset 0
		.amdhsa_system_sgpr_workgroup_id_x 1
		.amdhsa_system_sgpr_workgroup_id_y 1
		.amdhsa_system_sgpr_workgroup_id_z 1
		.amdhsa_system_sgpr_workgroup_info 0
		.amdhsa_system_vgpr_workitem_id 1
		.amdhsa_next_free_vgpr 43
		.amdhsa_next_free_sgpr 20
		.amdhsa_reserve_vcc 1
		.amdhsa_reserve_flat_scratch 0
		.amdhsa_float_round_mode_32 0
		.amdhsa_float_round_mode_16_64 0
		.amdhsa_float_denorm_mode_32 3
		.amdhsa_float_denorm_mode_16_64 3
		.amdhsa_dx10_clamp 1
		.amdhsa_ieee_mode 1
		.amdhsa_fp16_overflow 0
		.amdhsa_exception_fp_ieee_invalid_op 0
		.amdhsa_exception_fp_denorm_src 0
		.amdhsa_exception_fp_ieee_div_zero 0
		.amdhsa_exception_fp_ieee_overflow 0
		.amdhsa_exception_fp_ieee_underflow 0
		.amdhsa_exception_fp_ieee_inexact 0
		.amdhsa_exception_int_div_zero 0
	.end_amdhsa_kernel
	.section	.text._ZL37rocblas_syrkx_herkx_restricted_kernelIi19rocblas_complex_numIfELi16ELi32ELi8ELi1ELi1ELb0ELc78ELc85EKPKS1_KPS1_EviT_PT9_S7_lS9_S7_lPT10_S7_li,"axG",@progbits,_ZL37rocblas_syrkx_herkx_restricted_kernelIi19rocblas_complex_numIfELi16ELi32ELi8ELi1ELi1ELb0ELc78ELc85EKPKS1_KPS1_EviT_PT9_S7_lS9_S7_lPT10_S7_li,comdat
.Lfunc_end623:
	.size	_ZL37rocblas_syrkx_herkx_restricted_kernelIi19rocblas_complex_numIfELi16ELi32ELi8ELi1ELi1ELb0ELc78ELc85EKPKS1_KPS1_EviT_PT9_S7_lS9_S7_lPT10_S7_li, .Lfunc_end623-_ZL37rocblas_syrkx_herkx_restricted_kernelIi19rocblas_complex_numIfELi16ELi32ELi8ELi1ELi1ELb0ELc78ELc85EKPKS1_KPS1_EviT_PT9_S7_lS9_S7_lPT10_S7_li
                                        ; -- End function
	.set _ZL37rocblas_syrkx_herkx_restricted_kernelIi19rocblas_complex_numIfELi16ELi32ELi8ELi1ELi1ELb0ELc78ELc85EKPKS1_KPS1_EviT_PT9_S7_lS9_S7_lPT10_S7_li.num_vgpr, 43
	.set _ZL37rocblas_syrkx_herkx_restricted_kernelIi19rocblas_complex_numIfELi16ELi32ELi8ELi1ELi1ELb0ELc78ELc85EKPKS1_KPS1_EviT_PT9_S7_lS9_S7_lPT10_S7_li.num_agpr, 0
	.set _ZL37rocblas_syrkx_herkx_restricted_kernelIi19rocblas_complex_numIfELi16ELi32ELi8ELi1ELi1ELb0ELc78ELc85EKPKS1_KPS1_EviT_PT9_S7_lS9_S7_lPT10_S7_li.numbered_sgpr, 20
	.set _ZL37rocblas_syrkx_herkx_restricted_kernelIi19rocblas_complex_numIfELi16ELi32ELi8ELi1ELi1ELb0ELc78ELc85EKPKS1_KPS1_EviT_PT9_S7_lS9_S7_lPT10_S7_li.num_named_barrier, 0
	.set _ZL37rocblas_syrkx_herkx_restricted_kernelIi19rocblas_complex_numIfELi16ELi32ELi8ELi1ELi1ELb0ELc78ELc85EKPKS1_KPS1_EviT_PT9_S7_lS9_S7_lPT10_S7_li.private_seg_size, 0
	.set _ZL37rocblas_syrkx_herkx_restricted_kernelIi19rocblas_complex_numIfELi16ELi32ELi8ELi1ELi1ELb0ELc78ELc85EKPKS1_KPS1_EviT_PT9_S7_lS9_S7_lPT10_S7_li.uses_vcc, 1
	.set _ZL37rocblas_syrkx_herkx_restricted_kernelIi19rocblas_complex_numIfELi16ELi32ELi8ELi1ELi1ELb0ELc78ELc85EKPKS1_KPS1_EviT_PT9_S7_lS9_S7_lPT10_S7_li.uses_flat_scratch, 0
	.set _ZL37rocblas_syrkx_herkx_restricted_kernelIi19rocblas_complex_numIfELi16ELi32ELi8ELi1ELi1ELb0ELc78ELc85EKPKS1_KPS1_EviT_PT9_S7_lS9_S7_lPT10_S7_li.has_dyn_sized_stack, 0
	.set _ZL37rocblas_syrkx_herkx_restricted_kernelIi19rocblas_complex_numIfELi16ELi32ELi8ELi1ELi1ELb0ELc78ELc85EKPKS1_KPS1_EviT_PT9_S7_lS9_S7_lPT10_S7_li.has_recursion, 0
	.set _ZL37rocblas_syrkx_herkx_restricted_kernelIi19rocblas_complex_numIfELi16ELi32ELi8ELi1ELi1ELb0ELc78ELc85EKPKS1_KPS1_EviT_PT9_S7_lS9_S7_lPT10_S7_li.has_indirect_call, 0
	.section	.AMDGPU.csdata,"",@progbits
; Kernel info:
; codeLenInByte = 1936
; TotalNumSgprs: 24
; NumVgprs: 43
; ScratchSize: 0
; MemoryBound: 0
; FloatMode: 240
; IeeeMode: 1
; LDSByteSize: 4096 bytes/workgroup (compile time only)
; SGPRBlocks: 2
; VGPRBlocks: 10
; NumSGPRsForWavesPerEU: 24
; NumVGPRsForWavesPerEU: 43
; Occupancy: 5
; WaveLimiterHint : 1
; COMPUTE_PGM_RSRC2:SCRATCH_EN: 0
; COMPUTE_PGM_RSRC2:USER_SGPR: 6
; COMPUTE_PGM_RSRC2:TRAP_HANDLER: 0
; COMPUTE_PGM_RSRC2:TGID_X_EN: 1
; COMPUTE_PGM_RSRC2:TGID_Y_EN: 1
; COMPUTE_PGM_RSRC2:TGID_Z_EN: 1
; COMPUTE_PGM_RSRC2:TIDIG_COMP_CNT: 1
	.section	.text._ZL37rocblas_syrkx_herkx_restricted_kernelIi19rocblas_complex_numIfELi16ELi32ELi8ELi1ELin1ELb0ELc84ELc76EKPKS1_KPS1_EviT_PT9_S7_lS9_S7_lPT10_S7_li,"axG",@progbits,_ZL37rocblas_syrkx_herkx_restricted_kernelIi19rocblas_complex_numIfELi16ELi32ELi8ELi1ELin1ELb0ELc84ELc76EKPKS1_KPS1_EviT_PT9_S7_lS9_S7_lPT10_S7_li,comdat
	.globl	_ZL37rocblas_syrkx_herkx_restricted_kernelIi19rocblas_complex_numIfELi16ELi32ELi8ELi1ELin1ELb0ELc84ELc76EKPKS1_KPS1_EviT_PT9_S7_lS9_S7_lPT10_S7_li ; -- Begin function _ZL37rocblas_syrkx_herkx_restricted_kernelIi19rocblas_complex_numIfELi16ELi32ELi8ELi1ELin1ELb0ELc84ELc76EKPKS1_KPS1_EviT_PT9_S7_lS9_S7_lPT10_S7_li
	.p2align	8
	.type	_ZL37rocblas_syrkx_herkx_restricted_kernelIi19rocblas_complex_numIfELi16ELi32ELi8ELi1ELin1ELb0ELc84ELc76EKPKS1_KPS1_EviT_PT9_S7_lS9_S7_lPT10_S7_li,@function
_ZL37rocblas_syrkx_herkx_restricted_kernelIi19rocblas_complex_numIfELi16ELi32ELi8ELi1ELin1ELb0ELc84ELc76EKPKS1_KPS1_EviT_PT9_S7_lS9_S7_lPT10_S7_li: ; @_ZL37rocblas_syrkx_herkx_restricted_kernelIi19rocblas_complex_numIfELi16ELi32ELi8ELi1ELin1ELb0ELc84ELc76EKPKS1_KPS1_EviT_PT9_S7_lS9_S7_lPT10_S7_li
; %bb.0:
	s_load_dwordx2 s[2:3], s[4:5], 0x38
	s_load_dwordx2 s[12:13], s[4:5], 0x0
	s_mov_b32 s9, 0
	s_lshl_b64 s[0:1], s[8:9], 3
	s_waitcnt lgkmcnt(0)
	s_add_u32 s2, s2, s0
	s_addc_u32 s3, s3, s1
	s_load_dwordx2 s[10:11], s[2:3], 0x0
	s_lshl_b32 s2, s6, 5
	s_lshl_b32 s3, s7, 5
	s_cmp_lt_i32 s13, 1
	s_cbranch_scc1 .LBB624_3
; %bb.1:
	v_lshl_add_u32 v4, v1, 4, v0
	s_load_dwordx2 s[6:7], s[4:5], 0x8
	s_load_dword s8, s[4:5], 0x10
	s_load_dwordx2 s[14:15], s[4:5], 0x20
	s_load_dword s16, s[4:5], 0x28
	v_and_b32_e32 v7, 31, v4
	v_lshrrev_b32_e32 v6, 3, v4
	v_and_b32_e32 v9, 7, v0
	v_lshrrev_b32_e32 v4, 5, v4
	v_lshlrev_b32_e32 v8, 3, v7
	s_waitcnt lgkmcnt(0)
	s_add_u32 s6, s6, s0
	v_lshl_or_b32 v11, v4, 8, v8
	v_lshlrev_b32_e32 v8, 3, v9
	s_addc_u32 s7, s7, s1
	v_add_u32_e32 v2, s3, v6
	v_mov_b32_e32 v10, 0
	v_lshl_or_b32 v6, v6, 6, v8
	s_add_u32 s0, s14, s0
	v_mov_b32_e32 v5, v10
	v_add_u32_e32 v12, 0x800, v6
	v_add_u32_e32 v6, s2, v7
	s_addc_u32 s1, s15, s1
	v_mad_i64_i32 v[4:5], s[14:15], s8, v6, v[4:5]
	s_load_dwordx2 s[6:7], s[6:7], 0x0
	v_mad_i64_i32 v[2:3], s[14:15], s16, v2, v[9:10]
	s_load_dwordx2 s[0:1], s[0:1], 0x0
	v_lshlrev_b64 v[4:5], 3, v[4:5]
	v_mov_b32_e32 v6, 0x800
	v_lshl_add_u32 v14, v1, 6, v6
	s_waitcnt lgkmcnt(0)
	v_mov_b32_e32 v7, s7
	v_add_co_u32_e32 v6, vcc, s6, v4
	v_lshlrev_b64 v[2:3], 3, v[2:3]
	v_addc_co_u32_e32 v7, vcc, v7, v5, vcc
	v_mov_b32_e32 v4, s1
	v_add_co_u32_e32 v8, vcc, s0, v2
	v_lshlrev_b32_e32 v13, 3, v0
	v_addc_co_u32_e32 v9, vcc, v4, v3, vcc
	v_mov_b32_e32 v15, v10
	v_mov_b32_e32 v16, v10
	;; [unrolled: 1-line block ×7, first 2 shown]
.LBB624_2:                              ; =>This Inner Loop Header: Depth=1
	flat_load_dwordx2 v[2:3], v[6:7]
	v_add_co_u32_e32 v6, vcc, 64, v6
	v_addc_co_u32_e32 v7, vcc, 0, v7, vcc
	s_add_i32 s9, s9, 8
	s_cmp_ge_i32 s9, s13
	s_waitcnt vmcnt(0) lgkmcnt(0)
	ds_write_b64 v11, v[2:3]
	flat_load_dwordx2 v[2:3], v[8:9]
	v_add_co_u32_e32 v8, vcc, 64, v8
	v_addc_co_u32_e32 v9, vcc, 0, v9, vcc
	s_waitcnt vmcnt(0) lgkmcnt(0)
	ds_write_b64 v12, v[2:3]
	s_waitcnt lgkmcnt(0)
	s_barrier
	ds_read_b128 v[22:25], v14
	ds_read_b128 v[26:29], v14 offset:16
	ds_read_b128 v[30:33], v14 offset:32
	;; [unrolled: 1-line block ×3, first 2 shown]
	ds_read2_b64 v[34:37], v13 offset1:16
	s_waitcnt lgkmcnt(0)
	v_mul_f32_e32 v38, v23, v35
	v_mul_f32_e32 v39, v22, v35
	v_fma_f32 v38, v22, v34, -v38
	v_fmac_f32_e32 v39, v23, v34
	v_add_f32_e32 v38, v20, v38
	v_add_f32_e32 v39, v21, v39
	v_mul_f32_e32 v20, v23, v37
	v_mul_f32_e32 v21, v22, v37
	v_fma_f32 v20, v22, v36, -v20
	v_fmac_f32_e32 v21, v23, v36
	v_add_f32_e32 v22, v19, v20
	v_add_f32_e32 v23, v18, v21
	ds_read_b128 v[18:21], v14 offset:1024
	s_waitcnt lgkmcnt(0)
	v_mul_f32_e32 v40, v19, v35
	v_mul_f32_e32 v35, v18, v35
	v_fma_f32 v40, v18, v34, -v40
	v_fmac_f32_e32 v35, v19, v34
	v_add_f32_e32 v34, v17, v40
	v_add_f32_e32 v35, v16, v35
	v_mul_f32_e32 v16, v19, v37
	v_mul_f32_e32 v17, v18, v37
	v_fma_f32 v16, v18, v36, -v16
	v_fmac_f32_e32 v17, v19, v36
	v_add_f32_e32 v19, v15, v16
	v_add_f32_e32 v10, v10, v17
	ds_read2_b64 v[15:18], v13 offset0:32 offset1:48
	s_waitcnt lgkmcnt(0)
	v_mul_f32_e32 v36, v25, v16
	v_fma_f32 v36, v24, v15, -v36
	v_add_f32_e32 v36, v38, v36
	v_mul_f32_e32 v38, v25, v18
	v_mul_f32_e32 v37, v24, v16
	v_fma_f32 v38, v24, v17, -v38
	v_mul_f32_e32 v24, v24, v18
	v_fmac_f32_e32 v24, v25, v17
	v_add_f32_e32 v23, v23, v24
	v_mul_f32_e32 v24, v21, v16
	v_mul_f32_e32 v16, v20, v16
	v_fmac_f32_e32 v16, v21, v15
	v_fmac_f32_e32 v37, v25, v15
	v_fma_f32 v24, v20, v15, -v24
	v_add_f32_e32 v25, v35, v16
	v_mul_f32_e32 v15, v21, v18
	v_mul_f32_e32 v16, v20, v18
	v_fma_f32 v15, v20, v17, -v15
	v_fmac_f32_e32 v16, v21, v17
	v_add_f32_e32 v24, v34, v24
	v_add_f32_e32 v34, v19, v15
	;; [unrolled: 1-line block ×3, first 2 shown]
	ds_read2_b64 v[15:18], v13 offset0:64 offset1:80
	v_add_f32_e32 v37, v39, v37
	v_add_f32_e32 v22, v22, v38
	s_waitcnt lgkmcnt(0)
	v_mul_f32_e32 v19, v27, v16
	v_mul_f32_e32 v20, v26, v16
	v_fma_f32 v19, v26, v15, -v19
	v_fmac_f32_e32 v20, v27, v15
	v_add_f32_e32 v35, v36, v19
	v_add_f32_e32 v36, v37, v20
	v_mul_f32_e32 v19, v27, v18
	v_mul_f32_e32 v20, v26, v18
	v_fma_f32 v19, v26, v17, -v19
	v_fmac_f32_e32 v20, v27, v17
	v_add_f32_e32 v26, v22, v19
	v_add_f32_e32 v23, v23, v20
	ds_read_b128 v[19:22], v14 offset:1040
	s_waitcnt lgkmcnt(0)
	v_mul_f32_e32 v27, v20, v16
	v_mul_f32_e32 v16, v19, v16
	v_fmac_f32_e32 v16, v20, v15
	v_fma_f32 v27, v19, v15, -v27
	v_add_f32_e32 v25, v25, v16
	v_mul_f32_e32 v15, v20, v18
	v_mul_f32_e32 v16, v19, v18
	v_fma_f32 v15, v19, v17, -v15
	v_fmac_f32_e32 v16, v20, v17
	v_add_f32_e32 v19, v34, v15
	v_add_f32_e32 v10, v10, v16
	ds_read2_b64 v[15:18], v13 offset0:96 offset1:112
	v_add_f32_e32 v24, v24, v27
	s_waitcnt lgkmcnt(0)
	v_mul_f32_e32 v20, v29, v16
	v_mul_f32_e32 v34, v29, v18
	v_fma_f32 v20, v28, v15, -v20
	v_mul_f32_e32 v27, v28, v16
	v_fma_f32 v34, v28, v17, -v34
	v_mul_f32_e32 v28, v28, v18
	v_fmac_f32_e32 v28, v29, v17
	v_add_f32_e32 v23, v23, v28
	v_mul_f32_e32 v28, v22, v16
	v_mul_f32_e32 v16, v21, v16
	v_fmac_f32_e32 v16, v22, v15
	v_fmac_f32_e32 v27, v29, v15
	v_fma_f32 v28, v21, v15, -v28
	v_add_f32_e32 v25, v25, v16
	v_mul_f32_e32 v15, v22, v18
	v_mul_f32_e32 v16, v21, v18
	v_fma_f32 v15, v21, v17, -v15
	v_fmac_f32_e32 v16, v22, v17
	v_add_f32_e32 v24, v24, v28
	v_add_f32_e32 v28, v19, v15
	;; [unrolled: 1-line block ×3, first 2 shown]
	ds_read2_b64 v[15:18], v13 offset0:128 offset1:144
	v_add_f32_e32 v20, v35, v20
	v_add_f32_e32 v27, v36, v27
	;; [unrolled: 1-line block ×3, first 2 shown]
	s_waitcnt lgkmcnt(0)
	v_mul_f32_e32 v19, v31, v16
	v_fma_f32 v19, v30, v15, -v19
	v_mul_f32_e32 v21, v30, v16
	v_add_f32_e32 v29, v20, v19
	v_mul_f32_e32 v19, v31, v18
	v_mul_f32_e32 v20, v30, v18
	v_fmac_f32_e32 v21, v31, v15
	v_fma_f32 v19, v30, v17, -v19
	v_fmac_f32_e32 v20, v31, v17
	v_add_f32_e32 v27, v27, v21
	v_add_f32_e32 v26, v26, v19
	;; [unrolled: 1-line block ×3, first 2 shown]
	ds_read_b128 v[19:22], v14 offset:1056
	s_waitcnt lgkmcnt(0)
	v_mul_f32_e32 v30, v20, v16
	v_mul_f32_e32 v16, v19, v16
	v_fmac_f32_e32 v16, v20, v15
	v_fma_f32 v30, v19, v15, -v30
	v_add_f32_e32 v25, v25, v16
	v_mul_f32_e32 v15, v20, v18
	v_mul_f32_e32 v16, v19, v18
	v_fma_f32 v15, v19, v17, -v15
	v_fmac_f32_e32 v16, v20, v17
	v_add_f32_e32 v19, v28, v15
	v_add_f32_e32 v10, v10, v16
	ds_read2_b64 v[15:18], v13 offset0:160 offset1:176
	v_add_f32_e32 v24, v24, v30
	s_waitcnt lgkmcnt(0)
	v_mul_f32_e32 v28, v32, v16
	v_fmac_f32_e32 v28, v33, v15
	v_add_f32_e32 v27, v27, v28
	v_mul_f32_e32 v28, v33, v18
	v_fma_f32 v28, v32, v17, -v28
	v_mul_f32_e32 v20, v33, v16
	v_add_f32_e32 v26, v26, v28
	v_mul_f32_e32 v28, v22, v16
	v_mul_f32_e32 v16, v21, v16
	v_fmac_f32_e32 v16, v22, v15
	v_fma_f32 v20, v32, v15, -v20
	v_fma_f32 v28, v21, v15, -v28
	v_add_f32_e32 v25, v25, v16
	v_mul_f32_e32 v15, v22, v18
	v_mul_f32_e32 v16, v21, v18
	v_add_f32_e32 v20, v29, v20
	v_mul_f32_e32 v29, v32, v18
	v_fma_f32 v15, v21, v17, -v15
	v_fmac_f32_e32 v16, v22, v17
	v_fmac_f32_e32 v29, v33, v17
	v_add_f32_e32 v19, v19, v15
	v_add_f32_e32 v10, v10, v16
	ds_read2_b64 v[15:18], v13 offset0:192 offset1:208
	v_add_f32_e32 v24, v24, v28
	v_add_f32_e32 v23, v23, v29
	s_waitcnt lgkmcnt(0)
	v_mul_f32_e32 v21, v3, v16
	v_fma_f32 v21, v2, v15, -v21
	v_add_f32_e32 v28, v20, v21
	v_mul_f32_e32 v20, v3, v18
	v_mul_f32_e32 v22, v2, v16
	v_fma_f32 v20, v2, v17, -v20
	v_mul_f32_e32 v2, v2, v18
	v_fmac_f32_e32 v22, v3, v15
	v_fmac_f32_e32 v2, v3, v17
	v_add_f32_e32 v29, v27, v22
	v_add_f32_e32 v3, v26, v20
	;; [unrolled: 1-line block ×3, first 2 shown]
	ds_read_b128 v[20:23], v14 offset:1072
	s_waitcnt lgkmcnt(0)
	v_mul_f32_e32 v26, v21, v16
	v_fma_f32 v26, v20, v15, -v26
	v_mul_f32_e32 v16, v20, v16
	v_fmac_f32_e32 v16, v21, v15
	v_add_f32_e32 v15, v24, v26
	v_mul_f32_e32 v24, v21, v18
	v_fma_f32 v24, v20, v17, -v24
	v_add_f32_e32 v16, v25, v16
	v_add_f32_e32 v30, v19, v24
	ds_read2_b64 v[24:27], v13 offset0:224 offset1:240
	v_mul_f32_e32 v18, v20, v18
	v_fmac_f32_e32 v18, v21, v17
	v_add_f32_e32 v10, v10, v18
	s_waitcnt lgkmcnt(0)
	v_mul_f32_e32 v17, v5, v25
	v_fma_f32 v17, v4, v24, -v17
	v_add_f32_e32 v20, v28, v17
	v_mul_f32_e32 v17, v5, v27
	v_mul_f32_e32 v18, v4, v25
	v_fma_f32 v17, v4, v26, -v17
	v_mul_f32_e32 v4, v4, v27
	v_fmac_f32_e32 v18, v5, v24
	v_fmac_f32_e32 v4, v5, v26
	v_add_f32_e32 v21, v29, v18
	v_add_f32_e32 v19, v3, v17
	;; [unrolled: 1-line block ×3, first 2 shown]
	v_mul_f32_e32 v2, v23, v25
	v_mul_f32_e32 v3, v22, v25
	v_fma_f32 v2, v22, v24, -v2
	v_fmac_f32_e32 v3, v23, v24
	v_add_f32_e32 v17, v15, v2
	v_add_f32_e32 v16, v16, v3
	v_mul_f32_e32 v2, v23, v27
	v_mul_f32_e32 v3, v22, v27
	v_fma_f32 v2, v22, v26, -v2
	v_fmac_f32_e32 v3, v23, v26
	v_add_f32_e32 v15, v30, v2
	v_add_f32_e32 v10, v10, v3
	s_barrier
	s_cbranch_scc0 .LBB624_2
	s_branch .LBB624_4
.LBB624_3:
	v_mov_b32_e32 v20, 0
	v_mov_b32_e32 v21, 0
	;; [unrolled: 1-line block ×8, first 2 shown]
.LBB624_4:
	s_load_dword s6, s[4:5], 0x40
	v_add_u32_e32 v4, s3, v1
	s_waitcnt lgkmcnt(0)
	v_mov_b32_e32 v3, s11
	v_add_u32_e32 v0, s2, v0
	v_mad_i64_i32 v[1:2], s[0:1], v4, s6, 0
	v_cmp_le_i32_e64 s[0:1], v4, v0
	v_lshlrev_b64 v[1:2], 3, v[1:2]
	v_add_co_u32_e32 v5, vcc, s10, v1
	v_addc_co_u32_e32 v6, vcc, v3, v2, vcc
	v_cmp_gt_i32_e32 vcc, s12, v0
	s_and_b64 s[0:1], s[0:1], vcc
	s_and_saveexec_b64 s[2:3], s[0:1]
	s_cbranch_execz .LBB624_6
; %bb.5:
	v_ashrrev_i32_e32 v1, 31, v0
	v_lshlrev_b64 v[1:2], 3, v[0:1]
	v_add_co_u32_e64 v1, s[0:1], v5, v1
	v_addc_co_u32_e64 v2, s[0:1], v6, v2, s[0:1]
	flat_load_dwordx2 v[7:8], v[1:2]
	s_waitcnt vmcnt(0) lgkmcnt(0)
	v_sub_f32_e32 v7, v20, v7
	v_sub_f32_e32 v8, v21, v8
	flat_store_dwordx2 v[1:2], v[7:8]
.LBB624_6:
	s_or_b64 exec, exec, s[2:3]
	v_add_u32_e32 v2, 16, v0
	v_cmp_le_i32_e64 s[2:3], v4, v2
	v_cmp_gt_i32_e64 s[0:1], s12, v2
	s_and_b64 s[2:3], s[2:3], s[0:1]
	s_and_saveexec_b64 s[4:5], s[2:3]
	s_cbranch_execz .LBB624_8
; %bb.7:
	v_ashrrev_i32_e32 v3, 31, v2
	v_lshlrev_b64 v[7:8], 3, v[2:3]
	v_add_co_u32_e64 v5, s[2:3], v5, v7
	v_addc_co_u32_e64 v6, s[2:3], v6, v8, s[2:3]
	flat_load_dwordx2 v[7:8], v[5:6]
	s_waitcnt vmcnt(0) lgkmcnt(0)
	v_sub_f32_e32 v7, v19, v7
	v_sub_f32_e32 v8, v18, v8
	flat_store_dwordx2 v[5:6], v[7:8]
.LBB624_8:
	s_or_b64 exec, exec, s[4:5]
	v_add_u32_e32 v3, 16, v4
	v_mad_i64_i32 v[4:5], s[2:3], v3, s6, 0
	v_mov_b32_e32 v1, s11
	v_lshlrev_b64 v[4:5], 3, v[4:5]
	v_add_co_u32_e64 v4, s[2:3], s10, v4
	v_addc_co_u32_e64 v5, s[2:3], v1, v5, s[2:3]
	v_cmp_le_i32_e64 s[2:3], v3, v0
	s_and_b64 s[4:5], s[2:3], vcc
	s_and_saveexec_b64 s[2:3], s[4:5]
	s_cbranch_execz .LBB624_10
; %bb.9:
	v_ashrrev_i32_e32 v1, 31, v0
	v_lshlrev_b64 v[0:1], 3, v[0:1]
	v_add_co_u32_e32 v0, vcc, v4, v0
	v_addc_co_u32_e32 v1, vcc, v5, v1, vcc
	flat_load_dwordx2 v[6:7], v[0:1]
	s_waitcnt vmcnt(0) lgkmcnt(0)
	v_sub_f32_e32 v6, v17, v6
	v_sub_f32_e32 v7, v16, v7
	flat_store_dwordx2 v[0:1], v[6:7]
.LBB624_10:
	s_or_b64 exec, exec, s[2:3]
	v_cmp_le_i32_e32 vcc, v3, v2
	s_and_b64 s[0:1], vcc, s[0:1]
	s_and_saveexec_b64 s[2:3], s[0:1]
	s_cbranch_execz .LBB624_12
; %bb.11:
	v_ashrrev_i32_e32 v3, 31, v2
	v_lshlrev_b64 v[0:1], 3, v[2:3]
	v_add_co_u32_e32 v0, vcc, v4, v0
	v_addc_co_u32_e32 v1, vcc, v5, v1, vcc
	flat_load_dwordx2 v[2:3], v[0:1]
	s_waitcnt vmcnt(0) lgkmcnt(0)
	v_sub_f32_e32 v2, v15, v2
	v_sub_f32_e32 v3, v10, v3
	flat_store_dwordx2 v[0:1], v[2:3]
.LBB624_12:
	s_endpgm
	.section	.rodata,"a",@progbits
	.p2align	6, 0x0
	.amdhsa_kernel _ZL37rocblas_syrkx_herkx_restricted_kernelIi19rocblas_complex_numIfELi16ELi32ELi8ELi1ELin1ELb0ELc84ELc76EKPKS1_KPS1_EviT_PT9_S7_lS9_S7_lPT10_S7_li
		.amdhsa_group_segment_fixed_size 4096
		.amdhsa_private_segment_fixed_size 0
		.amdhsa_kernarg_size 84
		.amdhsa_user_sgpr_count 6
		.amdhsa_user_sgpr_private_segment_buffer 1
		.amdhsa_user_sgpr_dispatch_ptr 0
		.amdhsa_user_sgpr_queue_ptr 0
		.amdhsa_user_sgpr_kernarg_segment_ptr 1
		.amdhsa_user_sgpr_dispatch_id 0
		.amdhsa_user_sgpr_flat_scratch_init 0
		.amdhsa_user_sgpr_private_segment_size 0
		.amdhsa_uses_dynamic_stack 0
		.amdhsa_system_sgpr_private_segment_wavefront_offset 0
		.amdhsa_system_sgpr_workgroup_id_x 1
		.amdhsa_system_sgpr_workgroup_id_y 1
		.amdhsa_system_sgpr_workgroup_id_z 1
		.amdhsa_system_sgpr_workgroup_info 0
		.amdhsa_system_vgpr_workitem_id 1
		.amdhsa_next_free_vgpr 41
		.amdhsa_next_free_sgpr 17
		.amdhsa_reserve_vcc 1
		.amdhsa_reserve_flat_scratch 0
		.amdhsa_float_round_mode_32 0
		.amdhsa_float_round_mode_16_64 0
		.amdhsa_float_denorm_mode_32 3
		.amdhsa_float_denorm_mode_16_64 3
		.amdhsa_dx10_clamp 1
		.amdhsa_ieee_mode 1
		.amdhsa_fp16_overflow 0
		.amdhsa_exception_fp_ieee_invalid_op 0
		.amdhsa_exception_fp_denorm_src 0
		.amdhsa_exception_fp_ieee_div_zero 0
		.amdhsa_exception_fp_ieee_overflow 0
		.amdhsa_exception_fp_ieee_underflow 0
		.amdhsa_exception_fp_ieee_inexact 0
		.amdhsa_exception_int_div_zero 0
	.end_amdhsa_kernel
	.section	.text._ZL37rocblas_syrkx_herkx_restricted_kernelIi19rocblas_complex_numIfELi16ELi32ELi8ELi1ELin1ELb0ELc84ELc76EKPKS1_KPS1_EviT_PT9_S7_lS9_S7_lPT10_S7_li,"axG",@progbits,_ZL37rocblas_syrkx_herkx_restricted_kernelIi19rocblas_complex_numIfELi16ELi32ELi8ELi1ELin1ELb0ELc84ELc76EKPKS1_KPS1_EviT_PT9_S7_lS9_S7_lPT10_S7_li,comdat
.Lfunc_end624:
	.size	_ZL37rocblas_syrkx_herkx_restricted_kernelIi19rocblas_complex_numIfELi16ELi32ELi8ELi1ELin1ELb0ELc84ELc76EKPKS1_KPS1_EviT_PT9_S7_lS9_S7_lPT10_S7_li, .Lfunc_end624-_ZL37rocblas_syrkx_herkx_restricted_kernelIi19rocblas_complex_numIfELi16ELi32ELi8ELi1ELin1ELb0ELc84ELc76EKPKS1_KPS1_EviT_PT9_S7_lS9_S7_lPT10_S7_li
                                        ; -- End function
	.set _ZL37rocblas_syrkx_herkx_restricted_kernelIi19rocblas_complex_numIfELi16ELi32ELi8ELi1ELin1ELb0ELc84ELc76EKPKS1_KPS1_EviT_PT9_S7_lS9_S7_lPT10_S7_li.num_vgpr, 41
	.set _ZL37rocblas_syrkx_herkx_restricted_kernelIi19rocblas_complex_numIfELi16ELi32ELi8ELi1ELin1ELb0ELc84ELc76EKPKS1_KPS1_EviT_PT9_S7_lS9_S7_lPT10_S7_li.num_agpr, 0
	.set _ZL37rocblas_syrkx_herkx_restricted_kernelIi19rocblas_complex_numIfELi16ELi32ELi8ELi1ELin1ELb0ELc84ELc76EKPKS1_KPS1_EviT_PT9_S7_lS9_S7_lPT10_S7_li.numbered_sgpr, 17
	.set _ZL37rocblas_syrkx_herkx_restricted_kernelIi19rocblas_complex_numIfELi16ELi32ELi8ELi1ELin1ELb0ELc84ELc76EKPKS1_KPS1_EviT_PT9_S7_lS9_S7_lPT10_S7_li.num_named_barrier, 0
	.set _ZL37rocblas_syrkx_herkx_restricted_kernelIi19rocblas_complex_numIfELi16ELi32ELi8ELi1ELin1ELb0ELc84ELc76EKPKS1_KPS1_EviT_PT9_S7_lS9_S7_lPT10_S7_li.private_seg_size, 0
	.set _ZL37rocblas_syrkx_herkx_restricted_kernelIi19rocblas_complex_numIfELi16ELi32ELi8ELi1ELin1ELb0ELc84ELc76EKPKS1_KPS1_EviT_PT9_S7_lS9_S7_lPT10_S7_li.uses_vcc, 1
	.set _ZL37rocblas_syrkx_herkx_restricted_kernelIi19rocblas_complex_numIfELi16ELi32ELi8ELi1ELin1ELb0ELc84ELc76EKPKS1_KPS1_EviT_PT9_S7_lS9_S7_lPT10_S7_li.uses_flat_scratch, 0
	.set _ZL37rocblas_syrkx_herkx_restricted_kernelIi19rocblas_complex_numIfELi16ELi32ELi8ELi1ELin1ELb0ELc84ELc76EKPKS1_KPS1_EviT_PT9_S7_lS9_S7_lPT10_S7_li.has_dyn_sized_stack, 0
	.set _ZL37rocblas_syrkx_herkx_restricted_kernelIi19rocblas_complex_numIfELi16ELi32ELi8ELi1ELin1ELb0ELc84ELc76EKPKS1_KPS1_EviT_PT9_S7_lS9_S7_lPT10_S7_li.has_recursion, 0
	.set _ZL37rocblas_syrkx_herkx_restricted_kernelIi19rocblas_complex_numIfELi16ELi32ELi8ELi1ELin1ELb0ELc84ELc76EKPKS1_KPS1_EviT_PT9_S7_lS9_S7_lPT10_S7_li.has_indirect_call, 0
	.section	.AMDGPU.csdata,"",@progbits
; Kernel info:
; codeLenInByte = 1900
; TotalNumSgprs: 21
; NumVgprs: 41
; ScratchSize: 0
; MemoryBound: 0
; FloatMode: 240
; IeeeMode: 1
; LDSByteSize: 4096 bytes/workgroup (compile time only)
; SGPRBlocks: 2
; VGPRBlocks: 10
; NumSGPRsForWavesPerEU: 21
; NumVGPRsForWavesPerEU: 41
; Occupancy: 5
; WaveLimiterHint : 1
; COMPUTE_PGM_RSRC2:SCRATCH_EN: 0
; COMPUTE_PGM_RSRC2:USER_SGPR: 6
; COMPUTE_PGM_RSRC2:TRAP_HANDLER: 0
; COMPUTE_PGM_RSRC2:TGID_X_EN: 1
; COMPUTE_PGM_RSRC2:TGID_Y_EN: 1
; COMPUTE_PGM_RSRC2:TGID_Z_EN: 1
; COMPUTE_PGM_RSRC2:TIDIG_COMP_CNT: 1
	.section	.text._ZL37rocblas_syrkx_herkx_restricted_kernelIi19rocblas_complex_numIfELi16ELi32ELi8ELi1ELin1ELb0ELc67ELc76EKPKS1_KPS1_EviT_PT9_S7_lS9_S7_lPT10_S7_li,"axG",@progbits,_ZL37rocblas_syrkx_herkx_restricted_kernelIi19rocblas_complex_numIfELi16ELi32ELi8ELi1ELin1ELb0ELc67ELc76EKPKS1_KPS1_EviT_PT9_S7_lS9_S7_lPT10_S7_li,comdat
	.globl	_ZL37rocblas_syrkx_herkx_restricted_kernelIi19rocblas_complex_numIfELi16ELi32ELi8ELi1ELin1ELb0ELc67ELc76EKPKS1_KPS1_EviT_PT9_S7_lS9_S7_lPT10_S7_li ; -- Begin function _ZL37rocblas_syrkx_herkx_restricted_kernelIi19rocblas_complex_numIfELi16ELi32ELi8ELi1ELin1ELb0ELc67ELc76EKPKS1_KPS1_EviT_PT9_S7_lS9_S7_lPT10_S7_li
	.p2align	8
	.type	_ZL37rocblas_syrkx_herkx_restricted_kernelIi19rocblas_complex_numIfELi16ELi32ELi8ELi1ELin1ELb0ELc67ELc76EKPKS1_KPS1_EviT_PT9_S7_lS9_S7_lPT10_S7_li,@function
_ZL37rocblas_syrkx_herkx_restricted_kernelIi19rocblas_complex_numIfELi16ELi32ELi8ELi1ELin1ELb0ELc67ELc76EKPKS1_KPS1_EviT_PT9_S7_lS9_S7_lPT10_S7_li: ; @_ZL37rocblas_syrkx_herkx_restricted_kernelIi19rocblas_complex_numIfELi16ELi32ELi8ELi1ELin1ELb0ELc67ELc76EKPKS1_KPS1_EviT_PT9_S7_lS9_S7_lPT10_S7_li
; %bb.0:
	s_load_dwordx2 s[2:3], s[4:5], 0x38
	s_load_dwordx2 s[12:13], s[4:5], 0x0
	s_mov_b32 s9, 0
	s_lshl_b64 s[0:1], s[8:9], 3
	s_waitcnt lgkmcnt(0)
	s_add_u32 s2, s2, s0
	s_addc_u32 s3, s3, s1
	s_load_dwordx2 s[10:11], s[2:3], 0x0
	s_lshl_b32 s2, s6, 5
	s_lshl_b32 s3, s7, 5
	s_cmp_lt_i32 s13, 1
	s_cbranch_scc1 .LBB625_3
; %bb.1:
	v_lshl_add_u32 v4, v1, 4, v0
	s_load_dwordx2 s[6:7], s[4:5], 0x8
	s_load_dword s8, s[4:5], 0x10
	s_load_dwordx2 s[14:15], s[4:5], 0x20
	s_load_dword s16, s[4:5], 0x28
	v_and_b32_e32 v7, 31, v4
	v_lshrrev_b32_e32 v6, 3, v4
	v_and_b32_e32 v9, 7, v0
	v_lshrrev_b32_e32 v4, 5, v4
	v_lshlrev_b32_e32 v8, 3, v7
	s_waitcnt lgkmcnt(0)
	s_add_u32 s6, s6, s0
	v_lshl_or_b32 v11, v4, 8, v8
	v_lshlrev_b32_e32 v8, 3, v9
	s_addc_u32 s7, s7, s1
	v_add_u32_e32 v2, s3, v6
	v_mov_b32_e32 v10, 0
	v_lshl_or_b32 v6, v6, 6, v8
	s_add_u32 s0, s14, s0
	v_mov_b32_e32 v5, v10
	v_add_u32_e32 v12, 0x800, v6
	v_add_u32_e32 v6, s2, v7
	s_addc_u32 s1, s15, s1
	v_mad_i64_i32 v[4:5], s[14:15], s8, v6, v[4:5]
	s_load_dwordx2 s[6:7], s[6:7], 0x0
	v_mad_i64_i32 v[2:3], s[14:15], s16, v2, v[9:10]
	s_load_dwordx2 s[0:1], s[0:1], 0x0
	v_lshlrev_b64 v[4:5], 3, v[4:5]
	v_mov_b32_e32 v6, 0x800
	v_lshl_add_u32 v14, v1, 6, v6
	s_waitcnt lgkmcnt(0)
	v_mov_b32_e32 v7, s7
	v_add_co_u32_e32 v6, vcc, s6, v4
	v_lshlrev_b64 v[2:3], 3, v[2:3]
	v_addc_co_u32_e32 v7, vcc, v7, v5, vcc
	v_mov_b32_e32 v4, s1
	v_add_co_u32_e32 v8, vcc, s0, v2
	v_lshlrev_b32_e32 v13, 3, v0
	v_addc_co_u32_e32 v9, vcc, v4, v3, vcc
	v_mov_b32_e32 v15, v10
	v_mov_b32_e32 v16, v10
	;; [unrolled: 1-line block ×7, first 2 shown]
.LBB625_2:                              ; =>This Inner Loop Header: Depth=1
	flat_load_dwordx2 v[2:3], v[6:7]
	v_add_co_u32_e32 v6, vcc, 64, v6
	v_addc_co_u32_e32 v7, vcc, 0, v7, vcc
	s_add_i32 s9, s9, 8
	s_cmp_ge_i32 s9, s13
	s_waitcnt vmcnt(0) lgkmcnt(0)
	ds_write_b64 v11, v[2:3]
	flat_load_dwordx2 v[2:3], v[8:9]
	v_add_co_u32_e32 v8, vcc, 64, v8
	v_addc_co_u32_e32 v9, vcc, 0, v9, vcc
	s_waitcnt vmcnt(0) lgkmcnt(0)
	ds_write_b64 v12, v[2:3]
	s_waitcnt lgkmcnt(0)
	s_barrier
	ds_read_b128 v[22:25], v14
	ds_read_b128 v[26:29], v14 offset:16
	ds_read_b128 v[30:33], v14 offset:32
	;; [unrolled: 1-line block ×3, first 2 shown]
	ds_read2_b64 v[34:37], v13 offset1:16
	s_waitcnt lgkmcnt(0)
	v_mul_f32_e32 v38, v23, v35
	v_mul_f32_e32 v39, v22, v35
	v_fma_f32 v38, v22, v34, -v38
	v_fmac_f32_e32 v39, v23, v34
	v_add_f32_e32 v38, v20, v38
	v_add_f32_e32 v39, v21, v39
	v_mul_f32_e32 v20, v23, v37
	v_mul_f32_e32 v21, v22, v37
	v_fma_f32 v20, v22, v36, -v20
	v_fmac_f32_e32 v21, v23, v36
	v_add_f32_e32 v22, v19, v20
	v_add_f32_e32 v23, v18, v21
	ds_read_b128 v[18:21], v14 offset:1024
	s_waitcnt lgkmcnt(0)
	v_mul_f32_e32 v40, v19, v35
	v_mul_f32_e32 v35, v18, v35
	v_fma_f32 v40, v18, v34, -v40
	v_fmac_f32_e32 v35, v19, v34
	v_add_f32_e32 v34, v17, v40
	v_add_f32_e32 v35, v16, v35
	v_mul_f32_e32 v16, v19, v37
	v_mul_f32_e32 v17, v18, v37
	v_fma_f32 v16, v18, v36, -v16
	v_fmac_f32_e32 v17, v19, v36
	v_add_f32_e32 v19, v15, v16
	v_add_f32_e32 v10, v10, v17
	ds_read2_b64 v[15:18], v13 offset0:32 offset1:48
	s_waitcnt lgkmcnt(0)
	v_mul_f32_e32 v36, v25, v16
	v_fma_f32 v36, v24, v15, -v36
	v_add_f32_e32 v36, v38, v36
	v_mul_f32_e32 v38, v25, v18
	v_mul_f32_e32 v37, v24, v16
	v_fma_f32 v38, v24, v17, -v38
	v_mul_f32_e32 v24, v24, v18
	v_fmac_f32_e32 v24, v25, v17
	v_add_f32_e32 v23, v23, v24
	v_mul_f32_e32 v24, v21, v16
	v_mul_f32_e32 v16, v20, v16
	v_fmac_f32_e32 v16, v21, v15
	v_fmac_f32_e32 v37, v25, v15
	v_fma_f32 v24, v20, v15, -v24
	v_add_f32_e32 v25, v35, v16
	v_mul_f32_e32 v15, v21, v18
	v_mul_f32_e32 v16, v20, v18
	v_fma_f32 v15, v20, v17, -v15
	v_fmac_f32_e32 v16, v21, v17
	v_add_f32_e32 v24, v34, v24
	v_add_f32_e32 v34, v19, v15
	;; [unrolled: 1-line block ×3, first 2 shown]
	ds_read2_b64 v[15:18], v13 offset0:64 offset1:80
	v_add_f32_e32 v37, v39, v37
	v_add_f32_e32 v22, v22, v38
	s_waitcnt lgkmcnt(0)
	v_mul_f32_e32 v19, v27, v16
	v_mul_f32_e32 v20, v26, v16
	v_fma_f32 v19, v26, v15, -v19
	v_fmac_f32_e32 v20, v27, v15
	v_add_f32_e32 v35, v36, v19
	v_add_f32_e32 v36, v37, v20
	v_mul_f32_e32 v19, v27, v18
	v_mul_f32_e32 v20, v26, v18
	v_fma_f32 v19, v26, v17, -v19
	v_fmac_f32_e32 v20, v27, v17
	v_add_f32_e32 v26, v22, v19
	v_add_f32_e32 v23, v23, v20
	ds_read_b128 v[19:22], v14 offset:1040
	s_waitcnt lgkmcnt(0)
	v_mul_f32_e32 v27, v20, v16
	v_mul_f32_e32 v16, v19, v16
	v_fmac_f32_e32 v16, v20, v15
	v_fma_f32 v27, v19, v15, -v27
	v_add_f32_e32 v25, v25, v16
	v_mul_f32_e32 v15, v20, v18
	v_mul_f32_e32 v16, v19, v18
	v_fma_f32 v15, v19, v17, -v15
	v_fmac_f32_e32 v16, v20, v17
	v_add_f32_e32 v19, v34, v15
	v_add_f32_e32 v10, v10, v16
	ds_read2_b64 v[15:18], v13 offset0:96 offset1:112
	v_add_f32_e32 v24, v24, v27
	s_waitcnt lgkmcnt(0)
	v_mul_f32_e32 v20, v29, v16
	v_mul_f32_e32 v34, v29, v18
	v_fma_f32 v20, v28, v15, -v20
	v_mul_f32_e32 v27, v28, v16
	v_fma_f32 v34, v28, v17, -v34
	v_mul_f32_e32 v28, v28, v18
	v_fmac_f32_e32 v28, v29, v17
	v_add_f32_e32 v23, v23, v28
	v_mul_f32_e32 v28, v22, v16
	v_mul_f32_e32 v16, v21, v16
	v_fmac_f32_e32 v16, v22, v15
	v_fmac_f32_e32 v27, v29, v15
	v_fma_f32 v28, v21, v15, -v28
	v_add_f32_e32 v25, v25, v16
	v_mul_f32_e32 v15, v22, v18
	v_mul_f32_e32 v16, v21, v18
	v_fma_f32 v15, v21, v17, -v15
	v_fmac_f32_e32 v16, v22, v17
	v_add_f32_e32 v24, v24, v28
	v_add_f32_e32 v28, v19, v15
	;; [unrolled: 1-line block ×3, first 2 shown]
	ds_read2_b64 v[15:18], v13 offset0:128 offset1:144
	v_add_f32_e32 v20, v35, v20
	v_add_f32_e32 v27, v36, v27
	;; [unrolled: 1-line block ×3, first 2 shown]
	s_waitcnt lgkmcnt(0)
	v_mul_f32_e32 v19, v31, v16
	v_fma_f32 v19, v30, v15, -v19
	v_mul_f32_e32 v21, v30, v16
	v_add_f32_e32 v29, v20, v19
	v_mul_f32_e32 v19, v31, v18
	v_mul_f32_e32 v20, v30, v18
	v_fmac_f32_e32 v21, v31, v15
	v_fma_f32 v19, v30, v17, -v19
	v_fmac_f32_e32 v20, v31, v17
	v_add_f32_e32 v27, v27, v21
	v_add_f32_e32 v26, v26, v19
	;; [unrolled: 1-line block ×3, first 2 shown]
	ds_read_b128 v[19:22], v14 offset:1056
	s_waitcnt lgkmcnt(0)
	v_mul_f32_e32 v30, v20, v16
	v_mul_f32_e32 v16, v19, v16
	v_fmac_f32_e32 v16, v20, v15
	v_fma_f32 v30, v19, v15, -v30
	v_add_f32_e32 v25, v25, v16
	v_mul_f32_e32 v15, v20, v18
	v_mul_f32_e32 v16, v19, v18
	v_fma_f32 v15, v19, v17, -v15
	v_fmac_f32_e32 v16, v20, v17
	v_add_f32_e32 v19, v28, v15
	v_add_f32_e32 v10, v10, v16
	ds_read2_b64 v[15:18], v13 offset0:160 offset1:176
	v_add_f32_e32 v24, v24, v30
	s_waitcnt lgkmcnt(0)
	v_mul_f32_e32 v28, v32, v16
	v_fmac_f32_e32 v28, v33, v15
	v_add_f32_e32 v27, v27, v28
	v_mul_f32_e32 v28, v33, v18
	v_fma_f32 v28, v32, v17, -v28
	v_mul_f32_e32 v20, v33, v16
	v_add_f32_e32 v26, v26, v28
	v_mul_f32_e32 v28, v22, v16
	v_mul_f32_e32 v16, v21, v16
	v_fmac_f32_e32 v16, v22, v15
	v_fma_f32 v20, v32, v15, -v20
	v_fma_f32 v28, v21, v15, -v28
	v_add_f32_e32 v25, v25, v16
	v_mul_f32_e32 v15, v22, v18
	v_mul_f32_e32 v16, v21, v18
	v_add_f32_e32 v20, v29, v20
	v_mul_f32_e32 v29, v32, v18
	v_fma_f32 v15, v21, v17, -v15
	v_fmac_f32_e32 v16, v22, v17
	v_fmac_f32_e32 v29, v33, v17
	v_add_f32_e32 v19, v19, v15
	v_add_f32_e32 v10, v10, v16
	ds_read2_b64 v[15:18], v13 offset0:192 offset1:208
	v_add_f32_e32 v24, v24, v28
	v_add_f32_e32 v23, v23, v29
	s_waitcnt lgkmcnt(0)
	v_mul_f32_e32 v21, v3, v16
	v_fma_f32 v21, v2, v15, -v21
	v_add_f32_e32 v28, v20, v21
	v_mul_f32_e32 v20, v3, v18
	v_mul_f32_e32 v22, v2, v16
	v_fma_f32 v20, v2, v17, -v20
	v_mul_f32_e32 v2, v2, v18
	v_fmac_f32_e32 v22, v3, v15
	v_fmac_f32_e32 v2, v3, v17
	v_add_f32_e32 v29, v27, v22
	v_add_f32_e32 v3, v26, v20
	;; [unrolled: 1-line block ×3, first 2 shown]
	ds_read_b128 v[20:23], v14 offset:1072
	s_waitcnt lgkmcnt(0)
	v_mul_f32_e32 v26, v21, v16
	v_fma_f32 v26, v20, v15, -v26
	v_mul_f32_e32 v16, v20, v16
	v_fmac_f32_e32 v16, v21, v15
	v_add_f32_e32 v15, v24, v26
	v_mul_f32_e32 v24, v21, v18
	v_fma_f32 v24, v20, v17, -v24
	v_add_f32_e32 v16, v25, v16
	v_add_f32_e32 v30, v19, v24
	ds_read2_b64 v[24:27], v13 offset0:224 offset1:240
	v_mul_f32_e32 v18, v20, v18
	v_fmac_f32_e32 v18, v21, v17
	v_add_f32_e32 v10, v10, v18
	s_waitcnt lgkmcnt(0)
	v_mul_f32_e32 v17, v5, v25
	v_fma_f32 v17, v4, v24, -v17
	v_add_f32_e32 v20, v28, v17
	v_mul_f32_e32 v17, v5, v27
	v_mul_f32_e32 v18, v4, v25
	v_fma_f32 v17, v4, v26, -v17
	v_mul_f32_e32 v4, v4, v27
	v_fmac_f32_e32 v18, v5, v24
	v_fmac_f32_e32 v4, v5, v26
	v_add_f32_e32 v21, v29, v18
	v_add_f32_e32 v19, v3, v17
	;; [unrolled: 1-line block ×3, first 2 shown]
	v_mul_f32_e32 v2, v23, v25
	v_mul_f32_e32 v3, v22, v25
	v_fma_f32 v2, v22, v24, -v2
	v_fmac_f32_e32 v3, v23, v24
	v_add_f32_e32 v17, v15, v2
	v_add_f32_e32 v16, v16, v3
	v_mul_f32_e32 v2, v23, v27
	v_mul_f32_e32 v3, v22, v27
	v_fma_f32 v2, v22, v26, -v2
	v_fmac_f32_e32 v3, v23, v26
	v_add_f32_e32 v15, v30, v2
	v_add_f32_e32 v10, v10, v3
	s_barrier
	s_cbranch_scc0 .LBB625_2
	s_branch .LBB625_4
.LBB625_3:
	v_mov_b32_e32 v20, 0
	v_mov_b32_e32 v21, 0
	;; [unrolled: 1-line block ×8, first 2 shown]
.LBB625_4:
	s_load_dword s6, s[4:5], 0x40
	v_add_u32_e32 v4, s3, v1
	s_waitcnt lgkmcnt(0)
	v_mov_b32_e32 v3, s11
	v_add_u32_e32 v0, s2, v0
	v_mad_i64_i32 v[1:2], s[0:1], v4, s6, 0
	v_cmp_le_i32_e64 s[0:1], v4, v0
	v_lshlrev_b64 v[1:2], 3, v[1:2]
	v_add_co_u32_e32 v5, vcc, s10, v1
	v_addc_co_u32_e32 v6, vcc, v3, v2, vcc
	v_cmp_gt_i32_e32 vcc, s12, v0
	s_and_b64 s[0:1], s[0:1], vcc
	s_and_saveexec_b64 s[2:3], s[0:1]
	s_cbranch_execz .LBB625_6
; %bb.5:
	v_ashrrev_i32_e32 v1, 31, v0
	v_lshlrev_b64 v[1:2], 3, v[0:1]
	v_add_co_u32_e64 v1, s[0:1], v5, v1
	v_addc_co_u32_e64 v2, s[0:1], v6, v2, s[0:1]
	flat_load_dwordx2 v[7:8], v[1:2]
	s_waitcnt vmcnt(0) lgkmcnt(0)
	v_sub_f32_e32 v7, v20, v7
	v_sub_f32_e32 v8, v21, v8
	flat_store_dwordx2 v[1:2], v[7:8]
.LBB625_6:
	s_or_b64 exec, exec, s[2:3]
	v_add_u32_e32 v2, 16, v0
	v_cmp_le_i32_e64 s[2:3], v4, v2
	v_cmp_gt_i32_e64 s[0:1], s12, v2
	s_and_b64 s[2:3], s[2:3], s[0:1]
	s_and_saveexec_b64 s[4:5], s[2:3]
	s_cbranch_execz .LBB625_8
; %bb.7:
	v_ashrrev_i32_e32 v3, 31, v2
	v_lshlrev_b64 v[7:8], 3, v[2:3]
	v_add_co_u32_e64 v5, s[2:3], v5, v7
	v_addc_co_u32_e64 v6, s[2:3], v6, v8, s[2:3]
	flat_load_dwordx2 v[7:8], v[5:6]
	s_waitcnt vmcnt(0) lgkmcnt(0)
	v_sub_f32_e32 v7, v19, v7
	v_sub_f32_e32 v8, v18, v8
	flat_store_dwordx2 v[5:6], v[7:8]
.LBB625_8:
	s_or_b64 exec, exec, s[4:5]
	v_add_u32_e32 v3, 16, v4
	v_mad_i64_i32 v[4:5], s[2:3], v3, s6, 0
	v_mov_b32_e32 v1, s11
	v_lshlrev_b64 v[4:5], 3, v[4:5]
	v_add_co_u32_e64 v4, s[2:3], s10, v4
	v_addc_co_u32_e64 v5, s[2:3], v1, v5, s[2:3]
	v_cmp_le_i32_e64 s[2:3], v3, v0
	s_and_b64 s[4:5], s[2:3], vcc
	s_and_saveexec_b64 s[2:3], s[4:5]
	s_cbranch_execz .LBB625_10
; %bb.9:
	v_ashrrev_i32_e32 v1, 31, v0
	v_lshlrev_b64 v[0:1], 3, v[0:1]
	v_add_co_u32_e32 v0, vcc, v4, v0
	v_addc_co_u32_e32 v1, vcc, v5, v1, vcc
	flat_load_dwordx2 v[6:7], v[0:1]
	s_waitcnt vmcnt(0) lgkmcnt(0)
	v_sub_f32_e32 v6, v17, v6
	v_sub_f32_e32 v7, v16, v7
	flat_store_dwordx2 v[0:1], v[6:7]
.LBB625_10:
	s_or_b64 exec, exec, s[2:3]
	v_cmp_le_i32_e32 vcc, v3, v2
	s_and_b64 s[0:1], vcc, s[0:1]
	s_and_saveexec_b64 s[2:3], s[0:1]
	s_cbranch_execz .LBB625_12
; %bb.11:
	v_ashrrev_i32_e32 v3, 31, v2
	v_lshlrev_b64 v[0:1], 3, v[2:3]
	v_add_co_u32_e32 v0, vcc, v4, v0
	v_addc_co_u32_e32 v1, vcc, v5, v1, vcc
	flat_load_dwordx2 v[2:3], v[0:1]
	s_waitcnt vmcnt(0) lgkmcnt(0)
	v_sub_f32_e32 v2, v15, v2
	v_sub_f32_e32 v3, v10, v3
	flat_store_dwordx2 v[0:1], v[2:3]
.LBB625_12:
	s_endpgm
	.section	.rodata,"a",@progbits
	.p2align	6, 0x0
	.amdhsa_kernel _ZL37rocblas_syrkx_herkx_restricted_kernelIi19rocblas_complex_numIfELi16ELi32ELi8ELi1ELin1ELb0ELc67ELc76EKPKS1_KPS1_EviT_PT9_S7_lS9_S7_lPT10_S7_li
		.amdhsa_group_segment_fixed_size 4096
		.amdhsa_private_segment_fixed_size 0
		.amdhsa_kernarg_size 84
		.amdhsa_user_sgpr_count 6
		.amdhsa_user_sgpr_private_segment_buffer 1
		.amdhsa_user_sgpr_dispatch_ptr 0
		.amdhsa_user_sgpr_queue_ptr 0
		.amdhsa_user_sgpr_kernarg_segment_ptr 1
		.amdhsa_user_sgpr_dispatch_id 0
		.amdhsa_user_sgpr_flat_scratch_init 0
		.amdhsa_user_sgpr_private_segment_size 0
		.amdhsa_uses_dynamic_stack 0
		.amdhsa_system_sgpr_private_segment_wavefront_offset 0
		.amdhsa_system_sgpr_workgroup_id_x 1
		.amdhsa_system_sgpr_workgroup_id_y 1
		.amdhsa_system_sgpr_workgroup_id_z 1
		.amdhsa_system_sgpr_workgroup_info 0
		.amdhsa_system_vgpr_workitem_id 1
		.amdhsa_next_free_vgpr 41
		.amdhsa_next_free_sgpr 17
		.amdhsa_reserve_vcc 1
		.amdhsa_reserve_flat_scratch 0
		.amdhsa_float_round_mode_32 0
		.amdhsa_float_round_mode_16_64 0
		.amdhsa_float_denorm_mode_32 3
		.amdhsa_float_denorm_mode_16_64 3
		.amdhsa_dx10_clamp 1
		.amdhsa_ieee_mode 1
		.amdhsa_fp16_overflow 0
		.amdhsa_exception_fp_ieee_invalid_op 0
		.amdhsa_exception_fp_denorm_src 0
		.amdhsa_exception_fp_ieee_div_zero 0
		.amdhsa_exception_fp_ieee_overflow 0
		.amdhsa_exception_fp_ieee_underflow 0
		.amdhsa_exception_fp_ieee_inexact 0
		.amdhsa_exception_int_div_zero 0
	.end_amdhsa_kernel
	.section	.text._ZL37rocblas_syrkx_herkx_restricted_kernelIi19rocblas_complex_numIfELi16ELi32ELi8ELi1ELin1ELb0ELc67ELc76EKPKS1_KPS1_EviT_PT9_S7_lS9_S7_lPT10_S7_li,"axG",@progbits,_ZL37rocblas_syrkx_herkx_restricted_kernelIi19rocblas_complex_numIfELi16ELi32ELi8ELi1ELin1ELb0ELc67ELc76EKPKS1_KPS1_EviT_PT9_S7_lS9_S7_lPT10_S7_li,comdat
.Lfunc_end625:
	.size	_ZL37rocblas_syrkx_herkx_restricted_kernelIi19rocblas_complex_numIfELi16ELi32ELi8ELi1ELin1ELb0ELc67ELc76EKPKS1_KPS1_EviT_PT9_S7_lS9_S7_lPT10_S7_li, .Lfunc_end625-_ZL37rocblas_syrkx_herkx_restricted_kernelIi19rocblas_complex_numIfELi16ELi32ELi8ELi1ELin1ELb0ELc67ELc76EKPKS1_KPS1_EviT_PT9_S7_lS9_S7_lPT10_S7_li
                                        ; -- End function
	.set _ZL37rocblas_syrkx_herkx_restricted_kernelIi19rocblas_complex_numIfELi16ELi32ELi8ELi1ELin1ELb0ELc67ELc76EKPKS1_KPS1_EviT_PT9_S7_lS9_S7_lPT10_S7_li.num_vgpr, 41
	.set _ZL37rocblas_syrkx_herkx_restricted_kernelIi19rocblas_complex_numIfELi16ELi32ELi8ELi1ELin1ELb0ELc67ELc76EKPKS1_KPS1_EviT_PT9_S7_lS9_S7_lPT10_S7_li.num_agpr, 0
	.set _ZL37rocblas_syrkx_herkx_restricted_kernelIi19rocblas_complex_numIfELi16ELi32ELi8ELi1ELin1ELb0ELc67ELc76EKPKS1_KPS1_EviT_PT9_S7_lS9_S7_lPT10_S7_li.numbered_sgpr, 17
	.set _ZL37rocblas_syrkx_herkx_restricted_kernelIi19rocblas_complex_numIfELi16ELi32ELi8ELi1ELin1ELb0ELc67ELc76EKPKS1_KPS1_EviT_PT9_S7_lS9_S7_lPT10_S7_li.num_named_barrier, 0
	.set _ZL37rocblas_syrkx_herkx_restricted_kernelIi19rocblas_complex_numIfELi16ELi32ELi8ELi1ELin1ELb0ELc67ELc76EKPKS1_KPS1_EviT_PT9_S7_lS9_S7_lPT10_S7_li.private_seg_size, 0
	.set _ZL37rocblas_syrkx_herkx_restricted_kernelIi19rocblas_complex_numIfELi16ELi32ELi8ELi1ELin1ELb0ELc67ELc76EKPKS1_KPS1_EviT_PT9_S7_lS9_S7_lPT10_S7_li.uses_vcc, 1
	.set _ZL37rocblas_syrkx_herkx_restricted_kernelIi19rocblas_complex_numIfELi16ELi32ELi8ELi1ELin1ELb0ELc67ELc76EKPKS1_KPS1_EviT_PT9_S7_lS9_S7_lPT10_S7_li.uses_flat_scratch, 0
	.set _ZL37rocblas_syrkx_herkx_restricted_kernelIi19rocblas_complex_numIfELi16ELi32ELi8ELi1ELin1ELb0ELc67ELc76EKPKS1_KPS1_EviT_PT9_S7_lS9_S7_lPT10_S7_li.has_dyn_sized_stack, 0
	.set _ZL37rocblas_syrkx_herkx_restricted_kernelIi19rocblas_complex_numIfELi16ELi32ELi8ELi1ELin1ELb0ELc67ELc76EKPKS1_KPS1_EviT_PT9_S7_lS9_S7_lPT10_S7_li.has_recursion, 0
	.set _ZL37rocblas_syrkx_herkx_restricted_kernelIi19rocblas_complex_numIfELi16ELi32ELi8ELi1ELin1ELb0ELc67ELc76EKPKS1_KPS1_EviT_PT9_S7_lS9_S7_lPT10_S7_li.has_indirect_call, 0
	.section	.AMDGPU.csdata,"",@progbits
; Kernel info:
; codeLenInByte = 1900
; TotalNumSgprs: 21
; NumVgprs: 41
; ScratchSize: 0
; MemoryBound: 0
; FloatMode: 240
; IeeeMode: 1
; LDSByteSize: 4096 bytes/workgroup (compile time only)
; SGPRBlocks: 2
; VGPRBlocks: 10
; NumSGPRsForWavesPerEU: 21
; NumVGPRsForWavesPerEU: 41
; Occupancy: 5
; WaveLimiterHint : 1
; COMPUTE_PGM_RSRC2:SCRATCH_EN: 0
; COMPUTE_PGM_RSRC2:USER_SGPR: 6
; COMPUTE_PGM_RSRC2:TRAP_HANDLER: 0
; COMPUTE_PGM_RSRC2:TGID_X_EN: 1
; COMPUTE_PGM_RSRC2:TGID_Y_EN: 1
; COMPUTE_PGM_RSRC2:TGID_Z_EN: 1
; COMPUTE_PGM_RSRC2:TIDIG_COMP_CNT: 1
	.section	.text._ZL37rocblas_syrkx_herkx_restricted_kernelIi19rocblas_complex_numIfELi16ELi32ELi8ELi1ELin1ELb0ELc78ELc76EKPKS1_KPS1_EviT_PT9_S7_lS9_S7_lPT10_S7_li,"axG",@progbits,_ZL37rocblas_syrkx_herkx_restricted_kernelIi19rocblas_complex_numIfELi16ELi32ELi8ELi1ELin1ELb0ELc78ELc76EKPKS1_KPS1_EviT_PT9_S7_lS9_S7_lPT10_S7_li,comdat
	.globl	_ZL37rocblas_syrkx_herkx_restricted_kernelIi19rocblas_complex_numIfELi16ELi32ELi8ELi1ELin1ELb0ELc78ELc76EKPKS1_KPS1_EviT_PT9_S7_lS9_S7_lPT10_S7_li ; -- Begin function _ZL37rocblas_syrkx_herkx_restricted_kernelIi19rocblas_complex_numIfELi16ELi32ELi8ELi1ELin1ELb0ELc78ELc76EKPKS1_KPS1_EviT_PT9_S7_lS9_S7_lPT10_S7_li
	.p2align	8
	.type	_ZL37rocblas_syrkx_herkx_restricted_kernelIi19rocblas_complex_numIfELi16ELi32ELi8ELi1ELin1ELb0ELc78ELc76EKPKS1_KPS1_EviT_PT9_S7_lS9_S7_lPT10_S7_li,@function
_ZL37rocblas_syrkx_herkx_restricted_kernelIi19rocblas_complex_numIfELi16ELi32ELi8ELi1ELin1ELb0ELc78ELc76EKPKS1_KPS1_EviT_PT9_S7_lS9_S7_lPT10_S7_li: ; @_ZL37rocblas_syrkx_herkx_restricted_kernelIi19rocblas_complex_numIfELi16ELi32ELi8ELi1ELin1ELb0ELc78ELc76EKPKS1_KPS1_EviT_PT9_S7_lS9_S7_lPT10_S7_li
; %bb.0:
	s_load_dwordx2 s[2:3], s[4:5], 0x38
	s_load_dwordx2 s[12:13], s[4:5], 0x0
	s_mov_b32 s9, 0
	s_lshl_b64 s[0:1], s[8:9], 3
	s_waitcnt lgkmcnt(0)
	s_add_u32 s2, s2, s0
	s_addc_u32 s3, s3, s1
	s_load_dwordx2 s[10:11], s[2:3], 0x0
	s_lshl_b32 s6, s6, 5
	s_lshl_b32 s7, s7, 5
	s_cmp_lt_i32 s13, 1
	s_cbranch_scc1 .LBB626_3
; %bb.1:
	s_load_dword s2, s[4:5], 0x10
	s_load_dword s14, s[4:5], 0x28
	s_load_dwordx2 s[16:17], s[4:5], 0x20
	s_load_dwordx2 s[18:19], s[4:5], 0x8
	v_lshl_add_u32 v5, v1, 4, v0
	s_waitcnt lgkmcnt(0)
	s_ashr_i32 s3, s2, 31
	s_ashr_i32 s15, s14, 31
	v_lshrrev_b32_e32 v6, 3, v5
	s_add_u32 s18, s18, s0
	s_addc_u32 s19, s19, s1
	s_add_u32 s0, s16, s0
	v_add_u32_e32 v2, s7, v6
	s_addc_u32 s1, s17, s1
	v_and_b32_e32 v4, 7, v0
	v_ashrrev_i32_e32 v3, 31, v2
	s_load_dwordx2 s[16:17], s[0:1], 0x0
	v_mad_i64_i32 v[2:3], s[0:1], s14, v4, v[2:3]
	v_lshlrev_b32_e32 v4, 3, v4
	v_lshrrev_b32_e32 v7, 5, v5
	v_and_b32_e32 v5, 31, v5
	v_lshl_or_b32 v4, v6, 6, v4
	v_add_u32_e32 v11, 0x800, v4
	v_add_u32_e32 v4, s6, v5
	v_lshlrev_b32_e32 v8, 3, v5
	v_ashrrev_i32_e32 v5, 31, v4
	v_mad_i64_i32 v[4:5], s[0:1], s2, v7, v[4:5]
	s_load_dwordx2 s[18:19], s[18:19], 0x0
	v_mov_b32_e32 v6, 0x800
	v_lshlrev_b64 v[4:5], 3, v[4:5]
	v_lshl_or_b32 v10, v7, 8, v8
	v_lshl_add_u32 v13, v1, 6, v6
	s_waitcnt lgkmcnt(0)
	v_mov_b32_e32 v7, s19
	v_add_co_u32_e32 v6, vcc, s18, v4
	v_lshlrev_b64 v[2:3], 3, v[2:3]
	v_addc_co_u32_e32 v7, vcc, v7, v5, vcc
	s_lshl_b64 s[0:1], s[2:3], 6
	v_mov_b32_e32 v4, s17
	v_add_co_u32_e32 v8, vcc, s16, v2
	s_lshl_b64 s[2:3], s[14:15], 6
	v_lshlrev_b32_e32 v12, 3, v0
	v_addc_co_u32_e32 v9, vcc, v4, v3, vcc
	v_mov_b32_e32 v16, 0
	v_mov_b32_e32 v14, s1
	;; [unrolled: 1-line block ×10, first 2 shown]
.LBB626_2:                              ; =>This Inner Loop Header: Depth=1
	flat_load_dwordx2 v[2:3], v[6:7]
	v_add_co_u32_e32 v6, vcc, s0, v6
	v_addc_co_u32_e32 v7, vcc, v7, v14, vcc
	s_add_i32 s9, s9, 8
	s_cmp_ge_i32 s9, s13
	s_waitcnt vmcnt(0) lgkmcnt(0)
	ds_write_b64 v10, v[2:3]
	flat_load_dwordx2 v[2:3], v[8:9]
	v_add_co_u32_e32 v8, vcc, s2, v8
	v_addc_co_u32_e32 v9, vcc, v9, v15, vcc
	s_waitcnt vmcnt(0) lgkmcnt(0)
	ds_write_b64 v11, v[2:3]
	s_waitcnt lgkmcnt(0)
	s_barrier
	ds_read_b128 v[24:27], v13
	ds_read_b128 v[28:31], v13 offset:16
	ds_read_b128 v[32:35], v13 offset:32
	;; [unrolled: 1-line block ×3, first 2 shown]
	ds_read2_b64 v[36:39], v12 offset1:16
	s_waitcnt lgkmcnt(0)
	v_mul_f32_e32 v40, v25, v37
	v_mul_f32_e32 v41, v24, v37
	v_fma_f32 v40, v24, v36, -v40
	v_fmac_f32_e32 v41, v25, v36
	v_add_f32_e32 v40, v22, v40
	v_add_f32_e32 v41, v23, v41
	v_mul_f32_e32 v22, v25, v39
	v_mul_f32_e32 v23, v24, v39
	v_fma_f32 v22, v24, v38, -v22
	v_fmac_f32_e32 v23, v25, v38
	v_add_f32_e32 v24, v21, v22
	v_add_f32_e32 v25, v20, v23
	ds_read_b128 v[20:23], v13 offset:1024
	s_waitcnt lgkmcnt(0)
	v_mul_f32_e32 v42, v21, v37
	v_mul_f32_e32 v37, v20, v37
	v_fma_f32 v42, v20, v36, -v42
	v_fmac_f32_e32 v37, v21, v36
	v_add_f32_e32 v36, v19, v42
	v_add_f32_e32 v37, v18, v37
	v_mul_f32_e32 v18, v21, v39
	v_mul_f32_e32 v19, v20, v39
	v_fma_f32 v18, v20, v38, -v18
	v_fmac_f32_e32 v19, v21, v38
	v_add_f32_e32 v20, v17, v18
	v_add_f32_e32 v21, v16, v19
	ds_read2_b64 v[16:19], v12 offset0:32 offset1:48
	s_waitcnt lgkmcnt(0)
	v_mul_f32_e32 v38, v27, v17
	v_fma_f32 v38, v26, v16, -v38
	v_add_f32_e32 v38, v40, v38
	v_mul_f32_e32 v40, v27, v19
	v_mul_f32_e32 v39, v26, v17
	v_fma_f32 v40, v26, v18, -v40
	v_mul_f32_e32 v26, v26, v19
	v_fmac_f32_e32 v26, v27, v18
	v_add_f32_e32 v25, v25, v26
	v_mul_f32_e32 v26, v23, v17
	v_mul_f32_e32 v17, v22, v17
	v_fmac_f32_e32 v17, v23, v16
	v_fmac_f32_e32 v39, v27, v16
	v_fma_f32 v26, v22, v16, -v26
	v_add_f32_e32 v27, v37, v17
	v_mul_f32_e32 v16, v23, v19
	v_mul_f32_e32 v17, v22, v19
	v_fma_f32 v16, v22, v18, -v16
	v_fmac_f32_e32 v17, v23, v18
	v_add_f32_e32 v26, v36, v26
	v_add_f32_e32 v36, v20, v16
	;; [unrolled: 1-line block ×3, first 2 shown]
	ds_read2_b64 v[16:19], v12 offset0:64 offset1:80
	v_add_f32_e32 v39, v41, v39
	v_add_f32_e32 v24, v24, v40
	s_waitcnt lgkmcnt(0)
	v_mul_f32_e32 v20, v29, v17
	v_mul_f32_e32 v21, v28, v17
	v_fma_f32 v20, v28, v16, -v20
	v_fmac_f32_e32 v21, v29, v16
	v_add_f32_e32 v38, v38, v20
	v_add_f32_e32 v39, v39, v21
	v_mul_f32_e32 v20, v29, v19
	v_mul_f32_e32 v21, v28, v19
	v_fma_f32 v20, v28, v18, -v20
	v_fmac_f32_e32 v21, v29, v18
	v_add_f32_e32 v24, v24, v20
	v_add_f32_e32 v25, v25, v21
	ds_read_b128 v[20:23], v13 offset:1040
	s_waitcnt lgkmcnt(0)
	v_mul_f32_e32 v28, v21, v17
	v_mul_f32_e32 v17, v20, v17
	v_fmac_f32_e32 v17, v21, v16
	v_fma_f32 v28, v20, v16, -v28
	v_add_f32_e32 v27, v27, v17
	v_mul_f32_e32 v16, v21, v19
	v_mul_f32_e32 v17, v20, v19
	v_fma_f32 v16, v20, v18, -v16
	v_fmac_f32_e32 v17, v21, v18
	v_add_f32_e32 v20, v36, v16
	v_add_f32_e32 v21, v37, v17
	ds_read2_b64 v[16:19], v12 offset0:96 offset1:112
	v_add_f32_e32 v26, v26, v28
	s_waitcnt lgkmcnt(0)
	v_mul_f32_e32 v28, v31, v17
	v_mul_f32_e32 v36, v31, v19
	v_fma_f32 v28, v30, v16, -v28
	v_mul_f32_e32 v29, v30, v17
	v_fma_f32 v36, v30, v18, -v36
	v_mul_f32_e32 v30, v30, v19
	v_fmac_f32_e32 v30, v31, v18
	v_add_f32_e32 v25, v25, v30
	v_mul_f32_e32 v30, v23, v17
	v_mul_f32_e32 v17, v22, v17
	v_fmac_f32_e32 v17, v23, v16
	v_fmac_f32_e32 v29, v31, v16
	v_fma_f32 v30, v22, v16, -v30
	v_add_f32_e32 v27, v27, v17
	v_mul_f32_e32 v16, v23, v19
	v_mul_f32_e32 v17, v22, v19
	v_fma_f32 v16, v22, v18, -v16
	v_fmac_f32_e32 v17, v23, v18
	v_add_f32_e32 v26, v26, v30
	v_add_f32_e32 v30, v20, v16
	;; [unrolled: 1-line block ×3, first 2 shown]
	ds_read2_b64 v[16:19], v12 offset0:128 offset1:144
	v_add_f32_e32 v28, v38, v28
	v_add_f32_e32 v29, v39, v29
	;; [unrolled: 1-line block ×3, first 2 shown]
	s_waitcnt lgkmcnt(0)
	v_mul_f32_e32 v20, v33, v17
	v_mul_f32_e32 v21, v32, v17
	v_fma_f32 v20, v32, v16, -v20
	v_fmac_f32_e32 v21, v33, v16
	v_add_f32_e32 v28, v28, v20
	v_add_f32_e32 v29, v29, v21
	v_mul_f32_e32 v20, v33, v19
	v_mul_f32_e32 v21, v32, v19
	v_fma_f32 v20, v32, v18, -v20
	v_fmac_f32_e32 v21, v33, v18
	v_add_f32_e32 v24, v24, v20
	v_add_f32_e32 v25, v25, v21
	ds_read_b128 v[20:23], v13 offset:1056
	s_waitcnt lgkmcnt(0)
	v_mul_f32_e32 v32, v21, v17
	v_mul_f32_e32 v17, v20, v17
	v_fmac_f32_e32 v17, v21, v16
	v_fma_f32 v32, v20, v16, -v32
	v_add_f32_e32 v27, v27, v17
	v_mul_f32_e32 v16, v21, v19
	v_mul_f32_e32 v17, v20, v19
	v_fma_f32 v16, v20, v18, -v16
	v_fmac_f32_e32 v17, v21, v18
	v_add_f32_e32 v20, v30, v16
	v_add_f32_e32 v21, v31, v17
	ds_read2_b64 v[16:19], v12 offset0:160 offset1:176
	v_add_f32_e32 v26, v26, v32
	s_waitcnt lgkmcnt(0)
	v_mul_f32_e32 v30, v35, v17
	v_fma_f32 v30, v34, v16, -v30
	v_add_f32_e32 v28, v28, v30
	v_mul_f32_e32 v30, v35, v19
	v_fma_f32 v30, v34, v18, -v30
	v_mul_f32_e32 v31, v34, v17
	v_add_f32_e32 v24, v24, v30
	v_mul_f32_e32 v30, v23, v17
	v_mul_f32_e32 v17, v22, v17
	v_fmac_f32_e32 v17, v23, v16
	v_fmac_f32_e32 v31, v35, v16
	v_fma_f32 v30, v22, v16, -v30
	v_add_f32_e32 v27, v27, v17
	v_mul_f32_e32 v16, v23, v19
	v_mul_f32_e32 v17, v22, v19
	v_add_f32_e32 v29, v29, v31
	v_mul_f32_e32 v31, v34, v19
	v_fma_f32 v16, v22, v18, -v16
	v_fmac_f32_e32 v17, v23, v18
	v_fmac_f32_e32 v31, v35, v18
	v_add_f32_e32 v20, v20, v16
	v_add_f32_e32 v21, v21, v17
	ds_read2_b64 v[16:19], v12 offset0:192 offset1:208
	v_add_f32_e32 v26, v26, v30
	v_add_f32_e32 v25, v25, v31
	s_waitcnt lgkmcnt(0)
	v_mul_f32_e32 v22, v3, v17
	v_fma_f32 v22, v2, v16, -v22
	v_add_f32_e32 v30, v28, v22
	v_mul_f32_e32 v22, v3, v19
	v_mul_f32_e32 v23, v2, v17
	v_fma_f32 v22, v2, v18, -v22
	v_mul_f32_e32 v2, v2, v19
	v_fmac_f32_e32 v23, v3, v16
	v_fmac_f32_e32 v2, v3, v18
	v_add_f32_e32 v31, v29, v23
	v_add_f32_e32 v3, v24, v22
	;; [unrolled: 1-line block ×3, first 2 shown]
	ds_read_b128 v[22:25], v13 offset:1072
	s_waitcnt lgkmcnt(0)
	v_mul_f32_e32 v28, v23, v17
	v_fma_f32 v28, v22, v16, -v28
	v_mul_f32_e32 v17, v22, v17
	v_fmac_f32_e32 v17, v23, v16
	v_add_f32_e32 v16, v26, v28
	v_mul_f32_e32 v26, v23, v19
	v_fma_f32 v26, v22, v18, -v26
	v_add_f32_e32 v17, v27, v17
	v_add_f32_e32 v32, v20, v26
	ds_read2_b64 v[26:29], v12 offset0:224 offset1:240
	v_mul_f32_e32 v19, v22, v19
	v_fmac_f32_e32 v19, v23, v18
	v_add_f32_e32 v33, v21, v19
	s_waitcnt lgkmcnt(0)
	v_mul_f32_e32 v18, v5, v27
	v_fma_f32 v18, v4, v26, -v18
	v_add_f32_e32 v22, v30, v18
	v_mul_f32_e32 v18, v5, v29
	v_mul_f32_e32 v19, v4, v27
	v_fma_f32 v18, v4, v28, -v18
	v_mul_f32_e32 v4, v4, v29
	v_fmac_f32_e32 v4, v5, v28
	v_add_f32_e32 v21, v3, v18
	v_add_f32_e32 v20, v2, v4
	v_mul_f32_e32 v2, v25, v27
	v_mul_f32_e32 v3, v24, v27
	v_fmac_f32_e32 v19, v5, v26
	v_fma_f32 v2, v24, v26, -v2
	v_fmac_f32_e32 v3, v25, v26
	v_add_f32_e32 v23, v31, v19
	v_add_f32_e32 v19, v16, v2
	;; [unrolled: 1-line block ×3, first 2 shown]
	v_mul_f32_e32 v2, v25, v29
	v_mul_f32_e32 v3, v24, v29
	v_fma_f32 v2, v24, v28, -v2
	v_fmac_f32_e32 v3, v25, v28
	v_add_f32_e32 v17, v32, v2
	v_add_f32_e32 v16, v33, v3
	s_barrier
	s_cbranch_scc0 .LBB626_2
	s_branch .LBB626_4
.LBB626_3:
	v_mov_b32_e32 v22, 0
	v_mov_b32_e32 v23, 0
	;; [unrolled: 1-line block ×8, first 2 shown]
.LBB626_4:
	s_load_dword s8, s[4:5], 0x40
	v_add_u32_e32 v4, s7, v1
	s_waitcnt lgkmcnt(0)
	v_mov_b32_e32 v3, s11
	v_add_u32_e32 v0, s6, v0
	v_mad_i64_i32 v[1:2], s[0:1], v4, s8, 0
	v_cmp_le_i32_e64 s[0:1], v4, v0
	v_lshlrev_b64 v[1:2], 3, v[1:2]
	v_add_co_u32_e32 v5, vcc, s10, v1
	v_addc_co_u32_e32 v6, vcc, v3, v2, vcc
	v_cmp_gt_i32_e32 vcc, s12, v0
	s_and_b64 s[0:1], s[0:1], vcc
	s_and_saveexec_b64 s[2:3], s[0:1]
	s_cbranch_execz .LBB626_6
; %bb.5:
	v_ashrrev_i32_e32 v1, 31, v0
	v_lshlrev_b64 v[1:2], 3, v[0:1]
	v_add_co_u32_e64 v1, s[0:1], v5, v1
	v_addc_co_u32_e64 v2, s[0:1], v6, v2, s[0:1]
	flat_load_dwordx2 v[7:8], v[1:2]
	s_waitcnt vmcnt(0) lgkmcnt(0)
	v_sub_f32_e32 v7, v22, v7
	v_sub_f32_e32 v8, v23, v8
	flat_store_dwordx2 v[1:2], v[7:8]
.LBB626_6:
	s_or_b64 exec, exec, s[2:3]
	v_add_u32_e32 v2, 16, v0
	v_cmp_le_i32_e64 s[2:3], v4, v2
	v_cmp_gt_i32_e64 s[0:1], s12, v2
	s_and_b64 s[2:3], s[2:3], s[0:1]
	s_and_saveexec_b64 s[4:5], s[2:3]
	s_cbranch_execz .LBB626_8
; %bb.7:
	v_ashrrev_i32_e32 v3, 31, v2
	v_lshlrev_b64 v[7:8], 3, v[2:3]
	v_add_co_u32_e64 v5, s[2:3], v5, v7
	v_addc_co_u32_e64 v6, s[2:3], v6, v8, s[2:3]
	flat_load_dwordx2 v[7:8], v[5:6]
	s_waitcnt vmcnt(0) lgkmcnt(0)
	v_sub_f32_e32 v7, v21, v7
	v_sub_f32_e32 v8, v20, v8
	flat_store_dwordx2 v[5:6], v[7:8]
.LBB626_8:
	s_or_b64 exec, exec, s[4:5]
	v_add_u32_e32 v3, 16, v4
	v_mad_i64_i32 v[4:5], s[2:3], v3, s8, 0
	v_mov_b32_e32 v1, s11
	v_lshlrev_b64 v[4:5], 3, v[4:5]
	v_add_co_u32_e64 v4, s[2:3], s10, v4
	v_addc_co_u32_e64 v5, s[2:3], v1, v5, s[2:3]
	v_cmp_le_i32_e64 s[2:3], v3, v0
	s_and_b64 s[4:5], s[2:3], vcc
	s_and_saveexec_b64 s[2:3], s[4:5]
	s_cbranch_execz .LBB626_10
; %bb.9:
	v_ashrrev_i32_e32 v1, 31, v0
	v_lshlrev_b64 v[0:1], 3, v[0:1]
	v_add_co_u32_e32 v0, vcc, v4, v0
	v_addc_co_u32_e32 v1, vcc, v5, v1, vcc
	flat_load_dwordx2 v[6:7], v[0:1]
	s_waitcnt vmcnt(0) lgkmcnt(0)
	v_sub_f32_e32 v6, v19, v6
	v_sub_f32_e32 v7, v18, v7
	flat_store_dwordx2 v[0:1], v[6:7]
.LBB626_10:
	s_or_b64 exec, exec, s[2:3]
	v_cmp_le_i32_e32 vcc, v3, v2
	s_and_b64 s[0:1], vcc, s[0:1]
	s_and_saveexec_b64 s[2:3], s[0:1]
	s_cbranch_execz .LBB626_12
; %bb.11:
	v_ashrrev_i32_e32 v3, 31, v2
	v_lshlrev_b64 v[0:1], 3, v[2:3]
	v_add_co_u32_e32 v0, vcc, v4, v0
	v_addc_co_u32_e32 v1, vcc, v5, v1, vcc
	flat_load_dwordx2 v[2:3], v[0:1]
	s_waitcnt vmcnt(0) lgkmcnt(0)
	v_sub_f32_e32 v2, v17, v2
	v_sub_f32_e32 v3, v16, v3
	flat_store_dwordx2 v[0:1], v[2:3]
.LBB626_12:
	s_endpgm
	.section	.rodata,"a",@progbits
	.p2align	6, 0x0
	.amdhsa_kernel _ZL37rocblas_syrkx_herkx_restricted_kernelIi19rocblas_complex_numIfELi16ELi32ELi8ELi1ELin1ELb0ELc78ELc76EKPKS1_KPS1_EviT_PT9_S7_lS9_S7_lPT10_S7_li
		.amdhsa_group_segment_fixed_size 4096
		.amdhsa_private_segment_fixed_size 0
		.amdhsa_kernarg_size 84
		.amdhsa_user_sgpr_count 6
		.amdhsa_user_sgpr_private_segment_buffer 1
		.amdhsa_user_sgpr_dispatch_ptr 0
		.amdhsa_user_sgpr_queue_ptr 0
		.amdhsa_user_sgpr_kernarg_segment_ptr 1
		.amdhsa_user_sgpr_dispatch_id 0
		.amdhsa_user_sgpr_flat_scratch_init 0
		.amdhsa_user_sgpr_private_segment_size 0
		.amdhsa_uses_dynamic_stack 0
		.amdhsa_system_sgpr_private_segment_wavefront_offset 0
		.amdhsa_system_sgpr_workgroup_id_x 1
		.amdhsa_system_sgpr_workgroup_id_y 1
		.amdhsa_system_sgpr_workgroup_id_z 1
		.amdhsa_system_sgpr_workgroup_info 0
		.amdhsa_system_vgpr_workitem_id 1
		.amdhsa_next_free_vgpr 43
		.amdhsa_next_free_sgpr 20
		.amdhsa_reserve_vcc 1
		.amdhsa_reserve_flat_scratch 0
		.amdhsa_float_round_mode_32 0
		.amdhsa_float_round_mode_16_64 0
		.amdhsa_float_denorm_mode_32 3
		.amdhsa_float_denorm_mode_16_64 3
		.amdhsa_dx10_clamp 1
		.amdhsa_ieee_mode 1
		.amdhsa_fp16_overflow 0
		.amdhsa_exception_fp_ieee_invalid_op 0
		.amdhsa_exception_fp_denorm_src 0
		.amdhsa_exception_fp_ieee_div_zero 0
		.amdhsa_exception_fp_ieee_overflow 0
		.amdhsa_exception_fp_ieee_underflow 0
		.amdhsa_exception_fp_ieee_inexact 0
		.amdhsa_exception_int_div_zero 0
	.end_amdhsa_kernel
	.section	.text._ZL37rocblas_syrkx_herkx_restricted_kernelIi19rocblas_complex_numIfELi16ELi32ELi8ELi1ELin1ELb0ELc78ELc76EKPKS1_KPS1_EviT_PT9_S7_lS9_S7_lPT10_S7_li,"axG",@progbits,_ZL37rocblas_syrkx_herkx_restricted_kernelIi19rocblas_complex_numIfELi16ELi32ELi8ELi1ELin1ELb0ELc78ELc76EKPKS1_KPS1_EviT_PT9_S7_lS9_S7_lPT10_S7_li,comdat
.Lfunc_end626:
	.size	_ZL37rocblas_syrkx_herkx_restricted_kernelIi19rocblas_complex_numIfELi16ELi32ELi8ELi1ELin1ELb0ELc78ELc76EKPKS1_KPS1_EviT_PT9_S7_lS9_S7_lPT10_S7_li, .Lfunc_end626-_ZL37rocblas_syrkx_herkx_restricted_kernelIi19rocblas_complex_numIfELi16ELi32ELi8ELi1ELin1ELb0ELc78ELc76EKPKS1_KPS1_EviT_PT9_S7_lS9_S7_lPT10_S7_li
                                        ; -- End function
	.set _ZL37rocblas_syrkx_herkx_restricted_kernelIi19rocblas_complex_numIfELi16ELi32ELi8ELi1ELin1ELb0ELc78ELc76EKPKS1_KPS1_EviT_PT9_S7_lS9_S7_lPT10_S7_li.num_vgpr, 43
	.set _ZL37rocblas_syrkx_herkx_restricted_kernelIi19rocblas_complex_numIfELi16ELi32ELi8ELi1ELin1ELb0ELc78ELc76EKPKS1_KPS1_EviT_PT9_S7_lS9_S7_lPT10_S7_li.num_agpr, 0
	.set _ZL37rocblas_syrkx_herkx_restricted_kernelIi19rocblas_complex_numIfELi16ELi32ELi8ELi1ELin1ELb0ELc78ELc76EKPKS1_KPS1_EviT_PT9_S7_lS9_S7_lPT10_S7_li.numbered_sgpr, 20
	.set _ZL37rocblas_syrkx_herkx_restricted_kernelIi19rocblas_complex_numIfELi16ELi32ELi8ELi1ELin1ELb0ELc78ELc76EKPKS1_KPS1_EviT_PT9_S7_lS9_S7_lPT10_S7_li.num_named_barrier, 0
	.set _ZL37rocblas_syrkx_herkx_restricted_kernelIi19rocblas_complex_numIfELi16ELi32ELi8ELi1ELin1ELb0ELc78ELc76EKPKS1_KPS1_EviT_PT9_S7_lS9_S7_lPT10_S7_li.private_seg_size, 0
	.set _ZL37rocblas_syrkx_herkx_restricted_kernelIi19rocblas_complex_numIfELi16ELi32ELi8ELi1ELin1ELb0ELc78ELc76EKPKS1_KPS1_EviT_PT9_S7_lS9_S7_lPT10_S7_li.uses_vcc, 1
	.set _ZL37rocblas_syrkx_herkx_restricted_kernelIi19rocblas_complex_numIfELi16ELi32ELi8ELi1ELin1ELb0ELc78ELc76EKPKS1_KPS1_EviT_PT9_S7_lS9_S7_lPT10_S7_li.uses_flat_scratch, 0
	.set _ZL37rocblas_syrkx_herkx_restricted_kernelIi19rocblas_complex_numIfELi16ELi32ELi8ELi1ELin1ELb0ELc78ELc76EKPKS1_KPS1_EviT_PT9_S7_lS9_S7_lPT10_S7_li.has_dyn_sized_stack, 0
	.set _ZL37rocblas_syrkx_herkx_restricted_kernelIi19rocblas_complex_numIfELi16ELi32ELi8ELi1ELin1ELb0ELc78ELc76EKPKS1_KPS1_EviT_PT9_S7_lS9_S7_lPT10_S7_li.has_recursion, 0
	.set _ZL37rocblas_syrkx_herkx_restricted_kernelIi19rocblas_complex_numIfELi16ELi32ELi8ELi1ELin1ELb0ELc78ELc76EKPKS1_KPS1_EviT_PT9_S7_lS9_S7_lPT10_S7_li.has_indirect_call, 0
	.section	.AMDGPU.csdata,"",@progbits
; Kernel info:
; codeLenInByte = 1928
; TotalNumSgprs: 24
; NumVgprs: 43
; ScratchSize: 0
; MemoryBound: 0
; FloatMode: 240
; IeeeMode: 1
; LDSByteSize: 4096 bytes/workgroup (compile time only)
; SGPRBlocks: 2
; VGPRBlocks: 10
; NumSGPRsForWavesPerEU: 24
; NumVGPRsForWavesPerEU: 43
; Occupancy: 5
; WaveLimiterHint : 1
; COMPUTE_PGM_RSRC2:SCRATCH_EN: 0
; COMPUTE_PGM_RSRC2:USER_SGPR: 6
; COMPUTE_PGM_RSRC2:TRAP_HANDLER: 0
; COMPUTE_PGM_RSRC2:TGID_X_EN: 1
; COMPUTE_PGM_RSRC2:TGID_Y_EN: 1
; COMPUTE_PGM_RSRC2:TGID_Z_EN: 1
; COMPUTE_PGM_RSRC2:TIDIG_COMP_CNT: 1
	.section	.text._ZL37rocblas_syrkx_herkx_restricted_kernelIi19rocblas_complex_numIfELi16ELi32ELi8ELi1ELin1ELb0ELc84ELc85EKPKS1_KPS1_EviT_PT9_S7_lS9_S7_lPT10_S7_li,"axG",@progbits,_ZL37rocblas_syrkx_herkx_restricted_kernelIi19rocblas_complex_numIfELi16ELi32ELi8ELi1ELin1ELb0ELc84ELc85EKPKS1_KPS1_EviT_PT9_S7_lS9_S7_lPT10_S7_li,comdat
	.globl	_ZL37rocblas_syrkx_herkx_restricted_kernelIi19rocblas_complex_numIfELi16ELi32ELi8ELi1ELin1ELb0ELc84ELc85EKPKS1_KPS1_EviT_PT9_S7_lS9_S7_lPT10_S7_li ; -- Begin function _ZL37rocblas_syrkx_herkx_restricted_kernelIi19rocblas_complex_numIfELi16ELi32ELi8ELi1ELin1ELb0ELc84ELc85EKPKS1_KPS1_EviT_PT9_S7_lS9_S7_lPT10_S7_li
	.p2align	8
	.type	_ZL37rocblas_syrkx_herkx_restricted_kernelIi19rocblas_complex_numIfELi16ELi32ELi8ELi1ELin1ELb0ELc84ELc85EKPKS1_KPS1_EviT_PT9_S7_lS9_S7_lPT10_S7_li,@function
_ZL37rocblas_syrkx_herkx_restricted_kernelIi19rocblas_complex_numIfELi16ELi32ELi8ELi1ELin1ELb0ELc84ELc85EKPKS1_KPS1_EviT_PT9_S7_lS9_S7_lPT10_S7_li: ; @_ZL37rocblas_syrkx_herkx_restricted_kernelIi19rocblas_complex_numIfELi16ELi32ELi8ELi1ELin1ELb0ELc84ELc85EKPKS1_KPS1_EviT_PT9_S7_lS9_S7_lPT10_S7_li
; %bb.0:
	s_load_dwordx2 s[10:11], s[4:5], 0x38
	s_load_dwordx2 s[2:3], s[4:5], 0x0
	s_mov_b32 s9, 0
	s_lshl_b64 s[0:1], s[8:9], 3
	s_waitcnt lgkmcnt(0)
	s_add_u32 s10, s10, s0
	s_addc_u32 s11, s11, s1
	s_load_dwordx2 s[10:11], s[10:11], 0x0
	s_lshl_b32 s6, s6, 5
	s_lshl_b32 s7, s7, 5
	s_cmp_lt_i32 s3, 1
	s_cbranch_scc1 .LBB627_3
; %bb.1:
	v_lshl_add_u32 v4, v1, 4, v0
	s_load_dwordx2 s[12:13], s[4:5], 0x8
	s_load_dword s8, s[4:5], 0x10
	s_load_dwordx2 s[14:15], s[4:5], 0x20
	s_load_dword s16, s[4:5], 0x28
	v_and_b32_e32 v7, 31, v4
	v_lshrrev_b32_e32 v6, 3, v4
	v_and_b32_e32 v9, 7, v0
	v_lshrrev_b32_e32 v4, 5, v4
	v_lshlrev_b32_e32 v8, 3, v7
	s_waitcnt lgkmcnt(0)
	s_add_u32 s12, s12, s0
	v_lshl_or_b32 v11, v4, 8, v8
	v_lshlrev_b32_e32 v8, 3, v9
	s_addc_u32 s13, s13, s1
	v_add_u32_e32 v2, s7, v6
	v_mov_b32_e32 v10, 0
	v_lshl_or_b32 v6, v6, 6, v8
	s_add_u32 s0, s14, s0
	v_mov_b32_e32 v5, v10
	v_add_u32_e32 v12, 0x800, v6
	v_add_u32_e32 v6, s6, v7
	s_addc_u32 s1, s15, s1
	v_mad_i64_i32 v[4:5], s[14:15], s8, v6, v[4:5]
	s_load_dwordx2 s[12:13], s[12:13], 0x0
	v_mad_i64_i32 v[2:3], s[14:15], s16, v2, v[9:10]
	s_load_dwordx2 s[0:1], s[0:1], 0x0
	v_lshlrev_b64 v[4:5], 3, v[4:5]
	v_mov_b32_e32 v6, 0x800
	v_lshl_add_u32 v14, v1, 6, v6
	s_waitcnt lgkmcnt(0)
	v_mov_b32_e32 v7, s13
	v_add_co_u32_e32 v6, vcc, s12, v4
	v_lshlrev_b64 v[2:3], 3, v[2:3]
	v_addc_co_u32_e32 v7, vcc, v7, v5, vcc
	v_mov_b32_e32 v4, s1
	v_add_co_u32_e32 v8, vcc, s0, v2
	v_lshlrev_b32_e32 v13, 3, v0
	v_addc_co_u32_e32 v9, vcc, v4, v3, vcc
	v_mov_b32_e32 v15, v10
	v_mov_b32_e32 v16, v10
	v_mov_b32_e32 v17, v10
	v_mov_b32_e32 v18, v10
	v_mov_b32_e32 v19, v10
	v_mov_b32_e32 v21, v10
	v_mov_b32_e32 v20, v10
.LBB627_2:                              ; =>This Inner Loop Header: Depth=1
	flat_load_dwordx2 v[2:3], v[6:7]
	v_add_co_u32_e32 v6, vcc, 64, v6
	v_addc_co_u32_e32 v7, vcc, 0, v7, vcc
	s_add_i32 s9, s9, 8
	s_cmp_ge_i32 s9, s3
	s_waitcnt vmcnt(0) lgkmcnt(0)
	ds_write_b64 v11, v[2:3]
	flat_load_dwordx2 v[2:3], v[8:9]
	v_add_co_u32_e32 v8, vcc, 64, v8
	v_addc_co_u32_e32 v9, vcc, 0, v9, vcc
	s_waitcnt vmcnt(0) lgkmcnt(0)
	ds_write_b64 v12, v[2:3]
	s_waitcnt lgkmcnt(0)
	s_barrier
	ds_read_b128 v[22:25], v14
	ds_read_b128 v[26:29], v14 offset:16
	ds_read_b128 v[30:33], v14 offset:32
	;; [unrolled: 1-line block ×3, first 2 shown]
	ds_read2_b64 v[34:37], v13 offset1:16
	s_waitcnt lgkmcnt(0)
	v_mul_f32_e32 v38, v23, v35
	v_mul_f32_e32 v39, v22, v35
	v_fma_f32 v38, v22, v34, -v38
	v_fmac_f32_e32 v39, v23, v34
	v_add_f32_e32 v38, v20, v38
	v_add_f32_e32 v39, v21, v39
	v_mul_f32_e32 v20, v23, v37
	v_mul_f32_e32 v21, v22, v37
	v_fma_f32 v20, v22, v36, -v20
	v_fmac_f32_e32 v21, v23, v36
	v_add_f32_e32 v22, v19, v20
	v_add_f32_e32 v23, v18, v21
	ds_read_b128 v[18:21], v14 offset:1024
	s_waitcnt lgkmcnt(0)
	v_mul_f32_e32 v40, v19, v35
	v_mul_f32_e32 v35, v18, v35
	v_fma_f32 v40, v18, v34, -v40
	v_fmac_f32_e32 v35, v19, v34
	v_add_f32_e32 v34, v17, v40
	v_add_f32_e32 v35, v16, v35
	v_mul_f32_e32 v16, v19, v37
	v_mul_f32_e32 v17, v18, v37
	v_fma_f32 v16, v18, v36, -v16
	v_fmac_f32_e32 v17, v19, v36
	v_add_f32_e32 v19, v15, v16
	v_add_f32_e32 v10, v10, v17
	ds_read2_b64 v[15:18], v13 offset0:32 offset1:48
	s_waitcnt lgkmcnt(0)
	v_mul_f32_e32 v36, v25, v16
	v_fma_f32 v36, v24, v15, -v36
	v_add_f32_e32 v36, v38, v36
	v_mul_f32_e32 v38, v25, v18
	v_mul_f32_e32 v37, v24, v16
	v_fma_f32 v38, v24, v17, -v38
	v_mul_f32_e32 v24, v24, v18
	v_fmac_f32_e32 v24, v25, v17
	v_add_f32_e32 v23, v23, v24
	v_mul_f32_e32 v24, v21, v16
	v_mul_f32_e32 v16, v20, v16
	v_fmac_f32_e32 v16, v21, v15
	v_fmac_f32_e32 v37, v25, v15
	v_fma_f32 v24, v20, v15, -v24
	v_add_f32_e32 v25, v35, v16
	v_mul_f32_e32 v15, v21, v18
	v_mul_f32_e32 v16, v20, v18
	v_fma_f32 v15, v20, v17, -v15
	v_fmac_f32_e32 v16, v21, v17
	v_add_f32_e32 v24, v34, v24
	v_add_f32_e32 v34, v19, v15
	;; [unrolled: 1-line block ×3, first 2 shown]
	ds_read2_b64 v[15:18], v13 offset0:64 offset1:80
	v_add_f32_e32 v37, v39, v37
	v_add_f32_e32 v22, v22, v38
	s_waitcnt lgkmcnt(0)
	v_mul_f32_e32 v19, v27, v16
	v_mul_f32_e32 v20, v26, v16
	v_fma_f32 v19, v26, v15, -v19
	v_fmac_f32_e32 v20, v27, v15
	v_add_f32_e32 v35, v36, v19
	v_add_f32_e32 v36, v37, v20
	v_mul_f32_e32 v19, v27, v18
	v_mul_f32_e32 v20, v26, v18
	v_fma_f32 v19, v26, v17, -v19
	v_fmac_f32_e32 v20, v27, v17
	v_add_f32_e32 v26, v22, v19
	v_add_f32_e32 v23, v23, v20
	ds_read_b128 v[19:22], v14 offset:1040
	s_waitcnt lgkmcnt(0)
	v_mul_f32_e32 v27, v20, v16
	v_mul_f32_e32 v16, v19, v16
	v_fmac_f32_e32 v16, v20, v15
	v_fma_f32 v27, v19, v15, -v27
	v_add_f32_e32 v25, v25, v16
	v_mul_f32_e32 v15, v20, v18
	v_mul_f32_e32 v16, v19, v18
	v_fma_f32 v15, v19, v17, -v15
	v_fmac_f32_e32 v16, v20, v17
	v_add_f32_e32 v19, v34, v15
	v_add_f32_e32 v10, v10, v16
	ds_read2_b64 v[15:18], v13 offset0:96 offset1:112
	v_add_f32_e32 v24, v24, v27
	s_waitcnt lgkmcnt(0)
	v_mul_f32_e32 v20, v29, v16
	v_mul_f32_e32 v34, v29, v18
	v_fma_f32 v20, v28, v15, -v20
	v_mul_f32_e32 v27, v28, v16
	v_fma_f32 v34, v28, v17, -v34
	v_mul_f32_e32 v28, v28, v18
	v_fmac_f32_e32 v28, v29, v17
	v_add_f32_e32 v23, v23, v28
	v_mul_f32_e32 v28, v22, v16
	v_mul_f32_e32 v16, v21, v16
	v_fmac_f32_e32 v16, v22, v15
	v_fmac_f32_e32 v27, v29, v15
	v_fma_f32 v28, v21, v15, -v28
	v_add_f32_e32 v25, v25, v16
	v_mul_f32_e32 v15, v22, v18
	v_mul_f32_e32 v16, v21, v18
	v_fma_f32 v15, v21, v17, -v15
	v_fmac_f32_e32 v16, v22, v17
	v_add_f32_e32 v24, v24, v28
	v_add_f32_e32 v28, v19, v15
	;; [unrolled: 1-line block ×3, first 2 shown]
	ds_read2_b64 v[15:18], v13 offset0:128 offset1:144
	v_add_f32_e32 v20, v35, v20
	v_add_f32_e32 v27, v36, v27
	;; [unrolled: 1-line block ×3, first 2 shown]
	s_waitcnt lgkmcnt(0)
	v_mul_f32_e32 v19, v31, v16
	v_fma_f32 v19, v30, v15, -v19
	v_mul_f32_e32 v21, v30, v16
	v_add_f32_e32 v29, v20, v19
	v_mul_f32_e32 v19, v31, v18
	v_mul_f32_e32 v20, v30, v18
	v_fmac_f32_e32 v21, v31, v15
	v_fma_f32 v19, v30, v17, -v19
	v_fmac_f32_e32 v20, v31, v17
	v_add_f32_e32 v27, v27, v21
	v_add_f32_e32 v26, v26, v19
	;; [unrolled: 1-line block ×3, first 2 shown]
	ds_read_b128 v[19:22], v14 offset:1056
	s_waitcnt lgkmcnt(0)
	v_mul_f32_e32 v30, v20, v16
	v_mul_f32_e32 v16, v19, v16
	v_fmac_f32_e32 v16, v20, v15
	v_fma_f32 v30, v19, v15, -v30
	v_add_f32_e32 v25, v25, v16
	v_mul_f32_e32 v15, v20, v18
	v_mul_f32_e32 v16, v19, v18
	v_fma_f32 v15, v19, v17, -v15
	v_fmac_f32_e32 v16, v20, v17
	v_add_f32_e32 v19, v28, v15
	v_add_f32_e32 v10, v10, v16
	ds_read2_b64 v[15:18], v13 offset0:160 offset1:176
	v_add_f32_e32 v24, v24, v30
	s_waitcnt lgkmcnt(0)
	v_mul_f32_e32 v28, v32, v16
	v_fmac_f32_e32 v28, v33, v15
	v_add_f32_e32 v27, v27, v28
	v_mul_f32_e32 v28, v33, v18
	v_fma_f32 v28, v32, v17, -v28
	v_mul_f32_e32 v20, v33, v16
	v_add_f32_e32 v26, v26, v28
	v_mul_f32_e32 v28, v22, v16
	v_mul_f32_e32 v16, v21, v16
	v_fmac_f32_e32 v16, v22, v15
	v_fma_f32 v20, v32, v15, -v20
	v_fma_f32 v28, v21, v15, -v28
	v_add_f32_e32 v25, v25, v16
	v_mul_f32_e32 v15, v22, v18
	v_mul_f32_e32 v16, v21, v18
	v_add_f32_e32 v20, v29, v20
	v_mul_f32_e32 v29, v32, v18
	v_fma_f32 v15, v21, v17, -v15
	v_fmac_f32_e32 v16, v22, v17
	v_fmac_f32_e32 v29, v33, v17
	v_add_f32_e32 v19, v19, v15
	v_add_f32_e32 v10, v10, v16
	ds_read2_b64 v[15:18], v13 offset0:192 offset1:208
	v_add_f32_e32 v24, v24, v28
	v_add_f32_e32 v23, v23, v29
	s_waitcnt lgkmcnt(0)
	v_mul_f32_e32 v21, v3, v16
	v_fma_f32 v21, v2, v15, -v21
	v_add_f32_e32 v28, v20, v21
	v_mul_f32_e32 v20, v3, v18
	v_mul_f32_e32 v22, v2, v16
	v_fma_f32 v20, v2, v17, -v20
	v_mul_f32_e32 v2, v2, v18
	v_fmac_f32_e32 v22, v3, v15
	v_fmac_f32_e32 v2, v3, v17
	v_add_f32_e32 v29, v27, v22
	v_add_f32_e32 v3, v26, v20
	;; [unrolled: 1-line block ×3, first 2 shown]
	ds_read_b128 v[20:23], v14 offset:1072
	s_waitcnt lgkmcnt(0)
	v_mul_f32_e32 v26, v21, v16
	v_fma_f32 v26, v20, v15, -v26
	v_mul_f32_e32 v16, v20, v16
	v_fmac_f32_e32 v16, v21, v15
	v_add_f32_e32 v15, v24, v26
	v_mul_f32_e32 v24, v21, v18
	v_fma_f32 v24, v20, v17, -v24
	v_add_f32_e32 v16, v25, v16
	v_add_f32_e32 v30, v19, v24
	ds_read2_b64 v[24:27], v13 offset0:224 offset1:240
	v_mul_f32_e32 v18, v20, v18
	v_fmac_f32_e32 v18, v21, v17
	v_add_f32_e32 v10, v10, v18
	s_waitcnt lgkmcnt(0)
	v_mul_f32_e32 v17, v5, v25
	v_fma_f32 v17, v4, v24, -v17
	v_add_f32_e32 v20, v28, v17
	v_mul_f32_e32 v17, v5, v27
	v_mul_f32_e32 v18, v4, v25
	v_fma_f32 v17, v4, v26, -v17
	v_mul_f32_e32 v4, v4, v27
	v_fmac_f32_e32 v18, v5, v24
	v_fmac_f32_e32 v4, v5, v26
	v_add_f32_e32 v21, v29, v18
	v_add_f32_e32 v19, v3, v17
	;; [unrolled: 1-line block ×3, first 2 shown]
	v_mul_f32_e32 v2, v23, v25
	v_mul_f32_e32 v3, v22, v25
	v_fma_f32 v2, v22, v24, -v2
	v_fmac_f32_e32 v3, v23, v24
	v_add_f32_e32 v17, v15, v2
	v_add_f32_e32 v16, v16, v3
	v_mul_f32_e32 v2, v23, v27
	v_mul_f32_e32 v3, v22, v27
	v_fma_f32 v2, v22, v26, -v2
	v_fmac_f32_e32 v3, v23, v26
	v_add_f32_e32 v15, v30, v2
	v_add_f32_e32 v10, v10, v3
	s_barrier
	s_cbranch_scc0 .LBB627_2
	s_branch .LBB627_4
.LBB627_3:
	v_mov_b32_e32 v20, 0
	v_mov_b32_e32 v21, 0
	;; [unrolled: 1-line block ×8, first 2 shown]
.LBB627_4:
	s_load_dword s3, s[4:5], 0x40
	v_add_u32_e32 v4, s7, v1
	s_waitcnt lgkmcnt(0)
	v_mov_b32_e32 v3, s11
	v_add_u32_e32 v0, s6, v0
	v_cmp_gt_i32_e32 vcc, s2, v4
	v_mad_i64_i32 v[1:2], s[0:1], v4, s3, 0
	v_lshlrev_b64 v[1:2], 3, v[1:2]
	v_add_co_u32_e64 v5, s[0:1], s10, v1
	v_addc_co_u32_e64 v6, s[0:1], v3, v2, s[0:1]
	v_cmp_le_i32_e64 s[0:1], v0, v4
	s_and_b64 s[0:1], vcc, s[0:1]
	s_and_saveexec_b64 s[4:5], s[0:1]
	s_cbranch_execz .LBB627_6
; %bb.5:
	v_ashrrev_i32_e32 v1, 31, v0
	v_lshlrev_b64 v[1:2], 3, v[0:1]
	v_add_co_u32_e64 v1, s[0:1], v5, v1
	v_addc_co_u32_e64 v2, s[0:1], v6, v2, s[0:1]
	flat_load_dwordx2 v[7:8], v[1:2]
	s_waitcnt vmcnt(0) lgkmcnt(0)
	v_sub_f32_e32 v7, v20, v7
	v_sub_f32_e32 v8, v21, v8
	flat_store_dwordx2 v[1:2], v[7:8]
.LBB627_6:
	s_or_b64 exec, exec, s[4:5]
	v_add_u32_e32 v2, 16, v0
	v_cmp_le_i32_e64 s[0:1], v2, v4
	s_and_b64 s[4:5], vcc, s[0:1]
	s_and_saveexec_b64 s[0:1], s[4:5]
	s_cbranch_execz .LBB627_8
; %bb.7:
	v_ashrrev_i32_e32 v3, 31, v2
	v_lshlrev_b64 v[7:8], 3, v[2:3]
	v_add_co_u32_e32 v5, vcc, v5, v7
	v_addc_co_u32_e32 v6, vcc, v6, v8, vcc
	flat_load_dwordx2 v[7:8], v[5:6]
	s_waitcnt vmcnt(0) lgkmcnt(0)
	v_sub_f32_e32 v7, v19, v7
	v_sub_f32_e32 v8, v18, v8
	flat_store_dwordx2 v[5:6], v[7:8]
.LBB627_8:
	s_or_b64 exec, exec, s[0:1]
	v_add_u32_e32 v3, 16, v4
	v_mad_i64_i32 v[4:5], s[0:1], v3, s3, 0
	v_mov_b32_e32 v1, s11
	v_cmp_gt_i32_e32 vcc, s2, v3
	v_lshlrev_b64 v[4:5], 3, v[4:5]
	v_add_co_u32_e64 v4, s[0:1], s10, v4
	v_addc_co_u32_e64 v5, s[0:1], v1, v5, s[0:1]
	v_cmp_le_i32_e64 s[0:1], v0, v3
	s_and_b64 s[0:1], vcc, s[0:1]
	s_and_saveexec_b64 s[2:3], s[0:1]
	s_cbranch_execz .LBB627_10
; %bb.9:
	v_ashrrev_i32_e32 v1, 31, v0
	v_lshlrev_b64 v[0:1], 3, v[0:1]
	v_add_co_u32_e64 v0, s[0:1], v4, v0
	v_addc_co_u32_e64 v1, s[0:1], v5, v1, s[0:1]
	flat_load_dwordx2 v[6:7], v[0:1]
	s_waitcnt vmcnt(0) lgkmcnt(0)
	v_sub_f32_e32 v6, v17, v6
	v_sub_f32_e32 v7, v16, v7
	flat_store_dwordx2 v[0:1], v[6:7]
.LBB627_10:
	s_or_b64 exec, exec, s[2:3]
	v_cmp_le_i32_e64 s[0:1], v2, v3
	s_and_b64 s[0:1], vcc, s[0:1]
	s_and_saveexec_b64 s[2:3], s[0:1]
	s_cbranch_execz .LBB627_12
; %bb.11:
	v_ashrrev_i32_e32 v3, 31, v2
	v_lshlrev_b64 v[0:1], 3, v[2:3]
	v_add_co_u32_e32 v0, vcc, v4, v0
	v_addc_co_u32_e32 v1, vcc, v5, v1, vcc
	flat_load_dwordx2 v[2:3], v[0:1]
	s_waitcnt vmcnt(0) lgkmcnt(0)
	v_sub_f32_e32 v2, v15, v2
	v_sub_f32_e32 v3, v10, v3
	flat_store_dwordx2 v[0:1], v[2:3]
.LBB627_12:
	s_endpgm
	.section	.rodata,"a",@progbits
	.p2align	6, 0x0
	.amdhsa_kernel _ZL37rocblas_syrkx_herkx_restricted_kernelIi19rocblas_complex_numIfELi16ELi32ELi8ELi1ELin1ELb0ELc84ELc85EKPKS1_KPS1_EviT_PT9_S7_lS9_S7_lPT10_S7_li
		.amdhsa_group_segment_fixed_size 4096
		.amdhsa_private_segment_fixed_size 0
		.amdhsa_kernarg_size 84
		.amdhsa_user_sgpr_count 6
		.amdhsa_user_sgpr_private_segment_buffer 1
		.amdhsa_user_sgpr_dispatch_ptr 0
		.amdhsa_user_sgpr_queue_ptr 0
		.amdhsa_user_sgpr_kernarg_segment_ptr 1
		.amdhsa_user_sgpr_dispatch_id 0
		.amdhsa_user_sgpr_flat_scratch_init 0
		.amdhsa_user_sgpr_private_segment_size 0
		.amdhsa_uses_dynamic_stack 0
		.amdhsa_system_sgpr_private_segment_wavefront_offset 0
		.amdhsa_system_sgpr_workgroup_id_x 1
		.amdhsa_system_sgpr_workgroup_id_y 1
		.amdhsa_system_sgpr_workgroup_id_z 1
		.amdhsa_system_sgpr_workgroup_info 0
		.amdhsa_system_vgpr_workitem_id 1
		.amdhsa_next_free_vgpr 41
		.amdhsa_next_free_sgpr 17
		.amdhsa_reserve_vcc 1
		.amdhsa_reserve_flat_scratch 0
		.amdhsa_float_round_mode_32 0
		.amdhsa_float_round_mode_16_64 0
		.amdhsa_float_denorm_mode_32 3
		.amdhsa_float_denorm_mode_16_64 3
		.amdhsa_dx10_clamp 1
		.amdhsa_ieee_mode 1
		.amdhsa_fp16_overflow 0
		.amdhsa_exception_fp_ieee_invalid_op 0
		.amdhsa_exception_fp_denorm_src 0
		.amdhsa_exception_fp_ieee_div_zero 0
		.amdhsa_exception_fp_ieee_overflow 0
		.amdhsa_exception_fp_ieee_underflow 0
		.amdhsa_exception_fp_ieee_inexact 0
		.amdhsa_exception_int_div_zero 0
	.end_amdhsa_kernel
	.section	.text._ZL37rocblas_syrkx_herkx_restricted_kernelIi19rocblas_complex_numIfELi16ELi32ELi8ELi1ELin1ELb0ELc84ELc85EKPKS1_KPS1_EviT_PT9_S7_lS9_S7_lPT10_S7_li,"axG",@progbits,_ZL37rocblas_syrkx_herkx_restricted_kernelIi19rocblas_complex_numIfELi16ELi32ELi8ELi1ELin1ELb0ELc84ELc85EKPKS1_KPS1_EviT_PT9_S7_lS9_S7_lPT10_S7_li,comdat
.Lfunc_end627:
	.size	_ZL37rocblas_syrkx_herkx_restricted_kernelIi19rocblas_complex_numIfELi16ELi32ELi8ELi1ELin1ELb0ELc84ELc85EKPKS1_KPS1_EviT_PT9_S7_lS9_S7_lPT10_S7_li, .Lfunc_end627-_ZL37rocblas_syrkx_herkx_restricted_kernelIi19rocblas_complex_numIfELi16ELi32ELi8ELi1ELin1ELb0ELc84ELc85EKPKS1_KPS1_EviT_PT9_S7_lS9_S7_lPT10_S7_li
                                        ; -- End function
	.set _ZL37rocblas_syrkx_herkx_restricted_kernelIi19rocblas_complex_numIfELi16ELi32ELi8ELi1ELin1ELb0ELc84ELc85EKPKS1_KPS1_EviT_PT9_S7_lS9_S7_lPT10_S7_li.num_vgpr, 41
	.set _ZL37rocblas_syrkx_herkx_restricted_kernelIi19rocblas_complex_numIfELi16ELi32ELi8ELi1ELin1ELb0ELc84ELc85EKPKS1_KPS1_EviT_PT9_S7_lS9_S7_lPT10_S7_li.num_agpr, 0
	.set _ZL37rocblas_syrkx_herkx_restricted_kernelIi19rocblas_complex_numIfELi16ELi32ELi8ELi1ELin1ELb0ELc84ELc85EKPKS1_KPS1_EviT_PT9_S7_lS9_S7_lPT10_S7_li.numbered_sgpr, 17
	.set _ZL37rocblas_syrkx_herkx_restricted_kernelIi19rocblas_complex_numIfELi16ELi32ELi8ELi1ELin1ELb0ELc84ELc85EKPKS1_KPS1_EviT_PT9_S7_lS9_S7_lPT10_S7_li.num_named_barrier, 0
	.set _ZL37rocblas_syrkx_herkx_restricted_kernelIi19rocblas_complex_numIfELi16ELi32ELi8ELi1ELin1ELb0ELc84ELc85EKPKS1_KPS1_EviT_PT9_S7_lS9_S7_lPT10_S7_li.private_seg_size, 0
	.set _ZL37rocblas_syrkx_herkx_restricted_kernelIi19rocblas_complex_numIfELi16ELi32ELi8ELi1ELin1ELb0ELc84ELc85EKPKS1_KPS1_EviT_PT9_S7_lS9_S7_lPT10_S7_li.uses_vcc, 1
	.set _ZL37rocblas_syrkx_herkx_restricted_kernelIi19rocblas_complex_numIfELi16ELi32ELi8ELi1ELin1ELb0ELc84ELc85EKPKS1_KPS1_EviT_PT9_S7_lS9_S7_lPT10_S7_li.uses_flat_scratch, 0
	.set _ZL37rocblas_syrkx_herkx_restricted_kernelIi19rocblas_complex_numIfELi16ELi32ELi8ELi1ELin1ELb0ELc84ELc85EKPKS1_KPS1_EviT_PT9_S7_lS9_S7_lPT10_S7_li.has_dyn_sized_stack, 0
	.set _ZL37rocblas_syrkx_herkx_restricted_kernelIi19rocblas_complex_numIfELi16ELi32ELi8ELi1ELin1ELb0ELc84ELc85EKPKS1_KPS1_EviT_PT9_S7_lS9_S7_lPT10_S7_li.has_recursion, 0
	.set _ZL37rocblas_syrkx_herkx_restricted_kernelIi19rocblas_complex_numIfELi16ELi32ELi8ELi1ELin1ELb0ELc84ELc85EKPKS1_KPS1_EviT_PT9_S7_lS9_S7_lPT10_S7_li.has_indirect_call, 0
	.section	.AMDGPU.csdata,"",@progbits
; Kernel info:
; codeLenInByte = 1908
; TotalNumSgprs: 21
; NumVgprs: 41
; ScratchSize: 0
; MemoryBound: 0
; FloatMode: 240
; IeeeMode: 1
; LDSByteSize: 4096 bytes/workgroup (compile time only)
; SGPRBlocks: 2
; VGPRBlocks: 10
; NumSGPRsForWavesPerEU: 21
; NumVGPRsForWavesPerEU: 41
; Occupancy: 5
; WaveLimiterHint : 1
; COMPUTE_PGM_RSRC2:SCRATCH_EN: 0
; COMPUTE_PGM_RSRC2:USER_SGPR: 6
; COMPUTE_PGM_RSRC2:TRAP_HANDLER: 0
; COMPUTE_PGM_RSRC2:TGID_X_EN: 1
; COMPUTE_PGM_RSRC2:TGID_Y_EN: 1
; COMPUTE_PGM_RSRC2:TGID_Z_EN: 1
; COMPUTE_PGM_RSRC2:TIDIG_COMP_CNT: 1
	.section	.text._ZL37rocblas_syrkx_herkx_restricted_kernelIi19rocblas_complex_numIfELi16ELi32ELi8ELi1ELin1ELb0ELc67ELc85EKPKS1_KPS1_EviT_PT9_S7_lS9_S7_lPT10_S7_li,"axG",@progbits,_ZL37rocblas_syrkx_herkx_restricted_kernelIi19rocblas_complex_numIfELi16ELi32ELi8ELi1ELin1ELb0ELc67ELc85EKPKS1_KPS1_EviT_PT9_S7_lS9_S7_lPT10_S7_li,comdat
	.globl	_ZL37rocblas_syrkx_herkx_restricted_kernelIi19rocblas_complex_numIfELi16ELi32ELi8ELi1ELin1ELb0ELc67ELc85EKPKS1_KPS1_EviT_PT9_S7_lS9_S7_lPT10_S7_li ; -- Begin function _ZL37rocblas_syrkx_herkx_restricted_kernelIi19rocblas_complex_numIfELi16ELi32ELi8ELi1ELin1ELb0ELc67ELc85EKPKS1_KPS1_EviT_PT9_S7_lS9_S7_lPT10_S7_li
	.p2align	8
	.type	_ZL37rocblas_syrkx_herkx_restricted_kernelIi19rocblas_complex_numIfELi16ELi32ELi8ELi1ELin1ELb0ELc67ELc85EKPKS1_KPS1_EviT_PT9_S7_lS9_S7_lPT10_S7_li,@function
_ZL37rocblas_syrkx_herkx_restricted_kernelIi19rocblas_complex_numIfELi16ELi32ELi8ELi1ELin1ELb0ELc67ELc85EKPKS1_KPS1_EviT_PT9_S7_lS9_S7_lPT10_S7_li: ; @_ZL37rocblas_syrkx_herkx_restricted_kernelIi19rocblas_complex_numIfELi16ELi32ELi8ELi1ELin1ELb0ELc67ELc85EKPKS1_KPS1_EviT_PT9_S7_lS9_S7_lPT10_S7_li
; %bb.0:
	s_load_dwordx2 s[10:11], s[4:5], 0x38
	s_load_dwordx2 s[2:3], s[4:5], 0x0
	s_mov_b32 s9, 0
	s_lshl_b64 s[0:1], s[8:9], 3
	s_waitcnt lgkmcnt(0)
	s_add_u32 s10, s10, s0
	s_addc_u32 s11, s11, s1
	s_load_dwordx2 s[10:11], s[10:11], 0x0
	s_lshl_b32 s6, s6, 5
	s_lshl_b32 s7, s7, 5
	s_cmp_lt_i32 s3, 1
	s_cbranch_scc1 .LBB628_3
; %bb.1:
	v_lshl_add_u32 v4, v1, 4, v0
	s_load_dwordx2 s[12:13], s[4:5], 0x8
	s_load_dword s8, s[4:5], 0x10
	s_load_dwordx2 s[14:15], s[4:5], 0x20
	s_load_dword s16, s[4:5], 0x28
	v_and_b32_e32 v7, 31, v4
	v_lshrrev_b32_e32 v6, 3, v4
	v_and_b32_e32 v9, 7, v0
	v_lshrrev_b32_e32 v4, 5, v4
	v_lshlrev_b32_e32 v8, 3, v7
	s_waitcnt lgkmcnt(0)
	s_add_u32 s12, s12, s0
	v_lshl_or_b32 v11, v4, 8, v8
	v_lshlrev_b32_e32 v8, 3, v9
	s_addc_u32 s13, s13, s1
	v_add_u32_e32 v2, s7, v6
	v_mov_b32_e32 v10, 0
	v_lshl_or_b32 v6, v6, 6, v8
	s_add_u32 s0, s14, s0
	v_mov_b32_e32 v5, v10
	v_add_u32_e32 v12, 0x800, v6
	v_add_u32_e32 v6, s6, v7
	s_addc_u32 s1, s15, s1
	v_mad_i64_i32 v[4:5], s[14:15], s8, v6, v[4:5]
	s_load_dwordx2 s[12:13], s[12:13], 0x0
	v_mad_i64_i32 v[2:3], s[14:15], s16, v2, v[9:10]
	s_load_dwordx2 s[0:1], s[0:1], 0x0
	v_lshlrev_b64 v[4:5], 3, v[4:5]
	v_mov_b32_e32 v6, 0x800
	v_lshl_add_u32 v14, v1, 6, v6
	s_waitcnt lgkmcnt(0)
	v_mov_b32_e32 v7, s13
	v_add_co_u32_e32 v6, vcc, s12, v4
	v_lshlrev_b64 v[2:3], 3, v[2:3]
	v_addc_co_u32_e32 v7, vcc, v7, v5, vcc
	v_mov_b32_e32 v4, s1
	v_add_co_u32_e32 v8, vcc, s0, v2
	v_lshlrev_b32_e32 v13, 3, v0
	v_addc_co_u32_e32 v9, vcc, v4, v3, vcc
	v_mov_b32_e32 v15, v10
	v_mov_b32_e32 v16, v10
	;; [unrolled: 1-line block ×7, first 2 shown]
.LBB628_2:                              ; =>This Inner Loop Header: Depth=1
	flat_load_dwordx2 v[2:3], v[6:7]
	v_add_co_u32_e32 v6, vcc, 64, v6
	v_addc_co_u32_e32 v7, vcc, 0, v7, vcc
	s_add_i32 s9, s9, 8
	s_cmp_ge_i32 s9, s3
	s_waitcnt vmcnt(0) lgkmcnt(0)
	ds_write_b64 v11, v[2:3]
	flat_load_dwordx2 v[2:3], v[8:9]
	v_add_co_u32_e32 v8, vcc, 64, v8
	v_addc_co_u32_e32 v9, vcc, 0, v9, vcc
	s_waitcnt vmcnt(0) lgkmcnt(0)
	ds_write_b64 v12, v[2:3]
	s_waitcnt lgkmcnt(0)
	s_barrier
	ds_read_b128 v[22:25], v14
	ds_read_b128 v[26:29], v14 offset:16
	ds_read_b128 v[30:33], v14 offset:32
	;; [unrolled: 1-line block ×3, first 2 shown]
	ds_read2_b64 v[34:37], v13 offset1:16
	s_waitcnt lgkmcnt(0)
	v_mul_f32_e32 v38, v23, v35
	v_mul_f32_e32 v39, v22, v35
	v_fma_f32 v38, v22, v34, -v38
	v_fmac_f32_e32 v39, v23, v34
	v_add_f32_e32 v38, v20, v38
	v_add_f32_e32 v39, v21, v39
	v_mul_f32_e32 v20, v23, v37
	v_mul_f32_e32 v21, v22, v37
	v_fma_f32 v20, v22, v36, -v20
	v_fmac_f32_e32 v21, v23, v36
	v_add_f32_e32 v22, v19, v20
	v_add_f32_e32 v23, v18, v21
	ds_read_b128 v[18:21], v14 offset:1024
	s_waitcnt lgkmcnt(0)
	v_mul_f32_e32 v40, v19, v35
	v_mul_f32_e32 v35, v18, v35
	v_fma_f32 v40, v18, v34, -v40
	v_fmac_f32_e32 v35, v19, v34
	v_add_f32_e32 v34, v17, v40
	v_add_f32_e32 v35, v16, v35
	v_mul_f32_e32 v16, v19, v37
	v_mul_f32_e32 v17, v18, v37
	v_fma_f32 v16, v18, v36, -v16
	v_fmac_f32_e32 v17, v19, v36
	v_add_f32_e32 v19, v15, v16
	v_add_f32_e32 v10, v10, v17
	ds_read2_b64 v[15:18], v13 offset0:32 offset1:48
	s_waitcnt lgkmcnt(0)
	v_mul_f32_e32 v36, v25, v16
	v_fma_f32 v36, v24, v15, -v36
	v_add_f32_e32 v36, v38, v36
	v_mul_f32_e32 v38, v25, v18
	v_mul_f32_e32 v37, v24, v16
	v_fma_f32 v38, v24, v17, -v38
	v_mul_f32_e32 v24, v24, v18
	v_fmac_f32_e32 v24, v25, v17
	v_add_f32_e32 v23, v23, v24
	v_mul_f32_e32 v24, v21, v16
	v_mul_f32_e32 v16, v20, v16
	v_fmac_f32_e32 v16, v21, v15
	v_fmac_f32_e32 v37, v25, v15
	v_fma_f32 v24, v20, v15, -v24
	v_add_f32_e32 v25, v35, v16
	v_mul_f32_e32 v15, v21, v18
	v_mul_f32_e32 v16, v20, v18
	v_fma_f32 v15, v20, v17, -v15
	v_fmac_f32_e32 v16, v21, v17
	v_add_f32_e32 v24, v34, v24
	v_add_f32_e32 v34, v19, v15
	;; [unrolled: 1-line block ×3, first 2 shown]
	ds_read2_b64 v[15:18], v13 offset0:64 offset1:80
	v_add_f32_e32 v37, v39, v37
	v_add_f32_e32 v22, v22, v38
	s_waitcnt lgkmcnt(0)
	v_mul_f32_e32 v19, v27, v16
	v_mul_f32_e32 v20, v26, v16
	v_fma_f32 v19, v26, v15, -v19
	v_fmac_f32_e32 v20, v27, v15
	v_add_f32_e32 v35, v36, v19
	v_add_f32_e32 v36, v37, v20
	v_mul_f32_e32 v19, v27, v18
	v_mul_f32_e32 v20, v26, v18
	v_fma_f32 v19, v26, v17, -v19
	v_fmac_f32_e32 v20, v27, v17
	v_add_f32_e32 v26, v22, v19
	v_add_f32_e32 v23, v23, v20
	ds_read_b128 v[19:22], v14 offset:1040
	s_waitcnt lgkmcnt(0)
	v_mul_f32_e32 v27, v20, v16
	v_mul_f32_e32 v16, v19, v16
	v_fmac_f32_e32 v16, v20, v15
	v_fma_f32 v27, v19, v15, -v27
	v_add_f32_e32 v25, v25, v16
	v_mul_f32_e32 v15, v20, v18
	v_mul_f32_e32 v16, v19, v18
	v_fma_f32 v15, v19, v17, -v15
	v_fmac_f32_e32 v16, v20, v17
	v_add_f32_e32 v19, v34, v15
	v_add_f32_e32 v10, v10, v16
	ds_read2_b64 v[15:18], v13 offset0:96 offset1:112
	v_add_f32_e32 v24, v24, v27
	s_waitcnt lgkmcnt(0)
	v_mul_f32_e32 v20, v29, v16
	v_mul_f32_e32 v34, v29, v18
	v_fma_f32 v20, v28, v15, -v20
	v_mul_f32_e32 v27, v28, v16
	v_fma_f32 v34, v28, v17, -v34
	v_mul_f32_e32 v28, v28, v18
	v_fmac_f32_e32 v28, v29, v17
	v_add_f32_e32 v23, v23, v28
	v_mul_f32_e32 v28, v22, v16
	v_mul_f32_e32 v16, v21, v16
	v_fmac_f32_e32 v16, v22, v15
	v_fmac_f32_e32 v27, v29, v15
	v_fma_f32 v28, v21, v15, -v28
	v_add_f32_e32 v25, v25, v16
	v_mul_f32_e32 v15, v22, v18
	v_mul_f32_e32 v16, v21, v18
	v_fma_f32 v15, v21, v17, -v15
	v_fmac_f32_e32 v16, v22, v17
	v_add_f32_e32 v24, v24, v28
	v_add_f32_e32 v28, v19, v15
	;; [unrolled: 1-line block ×3, first 2 shown]
	ds_read2_b64 v[15:18], v13 offset0:128 offset1:144
	v_add_f32_e32 v20, v35, v20
	v_add_f32_e32 v27, v36, v27
	;; [unrolled: 1-line block ×3, first 2 shown]
	s_waitcnt lgkmcnt(0)
	v_mul_f32_e32 v19, v31, v16
	v_fma_f32 v19, v30, v15, -v19
	v_mul_f32_e32 v21, v30, v16
	v_add_f32_e32 v29, v20, v19
	v_mul_f32_e32 v19, v31, v18
	v_mul_f32_e32 v20, v30, v18
	v_fmac_f32_e32 v21, v31, v15
	v_fma_f32 v19, v30, v17, -v19
	v_fmac_f32_e32 v20, v31, v17
	v_add_f32_e32 v27, v27, v21
	v_add_f32_e32 v26, v26, v19
	;; [unrolled: 1-line block ×3, first 2 shown]
	ds_read_b128 v[19:22], v14 offset:1056
	s_waitcnt lgkmcnt(0)
	v_mul_f32_e32 v30, v20, v16
	v_mul_f32_e32 v16, v19, v16
	v_fmac_f32_e32 v16, v20, v15
	v_fma_f32 v30, v19, v15, -v30
	v_add_f32_e32 v25, v25, v16
	v_mul_f32_e32 v15, v20, v18
	v_mul_f32_e32 v16, v19, v18
	v_fma_f32 v15, v19, v17, -v15
	v_fmac_f32_e32 v16, v20, v17
	v_add_f32_e32 v19, v28, v15
	v_add_f32_e32 v10, v10, v16
	ds_read2_b64 v[15:18], v13 offset0:160 offset1:176
	v_add_f32_e32 v24, v24, v30
	s_waitcnt lgkmcnt(0)
	v_mul_f32_e32 v28, v32, v16
	v_fmac_f32_e32 v28, v33, v15
	v_add_f32_e32 v27, v27, v28
	v_mul_f32_e32 v28, v33, v18
	v_fma_f32 v28, v32, v17, -v28
	v_mul_f32_e32 v20, v33, v16
	v_add_f32_e32 v26, v26, v28
	v_mul_f32_e32 v28, v22, v16
	v_mul_f32_e32 v16, v21, v16
	v_fmac_f32_e32 v16, v22, v15
	v_fma_f32 v20, v32, v15, -v20
	v_fma_f32 v28, v21, v15, -v28
	v_add_f32_e32 v25, v25, v16
	v_mul_f32_e32 v15, v22, v18
	v_mul_f32_e32 v16, v21, v18
	v_add_f32_e32 v20, v29, v20
	v_mul_f32_e32 v29, v32, v18
	v_fma_f32 v15, v21, v17, -v15
	v_fmac_f32_e32 v16, v22, v17
	v_fmac_f32_e32 v29, v33, v17
	v_add_f32_e32 v19, v19, v15
	v_add_f32_e32 v10, v10, v16
	ds_read2_b64 v[15:18], v13 offset0:192 offset1:208
	v_add_f32_e32 v24, v24, v28
	v_add_f32_e32 v23, v23, v29
	s_waitcnt lgkmcnt(0)
	v_mul_f32_e32 v21, v3, v16
	v_fma_f32 v21, v2, v15, -v21
	v_add_f32_e32 v28, v20, v21
	v_mul_f32_e32 v20, v3, v18
	v_mul_f32_e32 v22, v2, v16
	v_fma_f32 v20, v2, v17, -v20
	v_mul_f32_e32 v2, v2, v18
	v_fmac_f32_e32 v22, v3, v15
	v_fmac_f32_e32 v2, v3, v17
	v_add_f32_e32 v29, v27, v22
	v_add_f32_e32 v3, v26, v20
	;; [unrolled: 1-line block ×3, first 2 shown]
	ds_read_b128 v[20:23], v14 offset:1072
	s_waitcnt lgkmcnt(0)
	v_mul_f32_e32 v26, v21, v16
	v_fma_f32 v26, v20, v15, -v26
	v_mul_f32_e32 v16, v20, v16
	v_fmac_f32_e32 v16, v21, v15
	v_add_f32_e32 v15, v24, v26
	v_mul_f32_e32 v24, v21, v18
	v_fma_f32 v24, v20, v17, -v24
	v_add_f32_e32 v16, v25, v16
	v_add_f32_e32 v30, v19, v24
	ds_read2_b64 v[24:27], v13 offset0:224 offset1:240
	v_mul_f32_e32 v18, v20, v18
	v_fmac_f32_e32 v18, v21, v17
	v_add_f32_e32 v10, v10, v18
	s_waitcnt lgkmcnt(0)
	v_mul_f32_e32 v17, v5, v25
	v_fma_f32 v17, v4, v24, -v17
	v_add_f32_e32 v20, v28, v17
	v_mul_f32_e32 v17, v5, v27
	v_mul_f32_e32 v18, v4, v25
	v_fma_f32 v17, v4, v26, -v17
	v_mul_f32_e32 v4, v4, v27
	v_fmac_f32_e32 v18, v5, v24
	v_fmac_f32_e32 v4, v5, v26
	v_add_f32_e32 v21, v29, v18
	v_add_f32_e32 v19, v3, v17
	;; [unrolled: 1-line block ×3, first 2 shown]
	v_mul_f32_e32 v2, v23, v25
	v_mul_f32_e32 v3, v22, v25
	v_fma_f32 v2, v22, v24, -v2
	v_fmac_f32_e32 v3, v23, v24
	v_add_f32_e32 v17, v15, v2
	v_add_f32_e32 v16, v16, v3
	v_mul_f32_e32 v2, v23, v27
	v_mul_f32_e32 v3, v22, v27
	v_fma_f32 v2, v22, v26, -v2
	v_fmac_f32_e32 v3, v23, v26
	v_add_f32_e32 v15, v30, v2
	v_add_f32_e32 v10, v10, v3
	s_barrier
	s_cbranch_scc0 .LBB628_2
	s_branch .LBB628_4
.LBB628_3:
	v_mov_b32_e32 v20, 0
	v_mov_b32_e32 v21, 0
	;; [unrolled: 1-line block ×8, first 2 shown]
.LBB628_4:
	s_load_dword s3, s[4:5], 0x40
	v_add_u32_e32 v4, s7, v1
	s_waitcnt lgkmcnt(0)
	v_mov_b32_e32 v3, s11
	v_add_u32_e32 v0, s6, v0
	v_cmp_gt_i32_e32 vcc, s2, v4
	v_mad_i64_i32 v[1:2], s[0:1], v4, s3, 0
	v_lshlrev_b64 v[1:2], 3, v[1:2]
	v_add_co_u32_e64 v5, s[0:1], s10, v1
	v_addc_co_u32_e64 v6, s[0:1], v3, v2, s[0:1]
	v_cmp_le_i32_e64 s[0:1], v0, v4
	s_and_b64 s[0:1], vcc, s[0:1]
	s_and_saveexec_b64 s[4:5], s[0:1]
	s_cbranch_execz .LBB628_6
; %bb.5:
	v_ashrrev_i32_e32 v1, 31, v0
	v_lshlrev_b64 v[1:2], 3, v[0:1]
	v_add_co_u32_e64 v1, s[0:1], v5, v1
	v_addc_co_u32_e64 v2, s[0:1], v6, v2, s[0:1]
	flat_load_dwordx2 v[7:8], v[1:2]
	s_waitcnt vmcnt(0) lgkmcnt(0)
	v_sub_f32_e32 v7, v20, v7
	v_sub_f32_e32 v8, v21, v8
	flat_store_dwordx2 v[1:2], v[7:8]
.LBB628_6:
	s_or_b64 exec, exec, s[4:5]
	v_add_u32_e32 v2, 16, v0
	v_cmp_le_i32_e64 s[0:1], v2, v4
	s_and_b64 s[4:5], vcc, s[0:1]
	s_and_saveexec_b64 s[0:1], s[4:5]
	s_cbranch_execz .LBB628_8
; %bb.7:
	v_ashrrev_i32_e32 v3, 31, v2
	v_lshlrev_b64 v[7:8], 3, v[2:3]
	v_add_co_u32_e32 v5, vcc, v5, v7
	v_addc_co_u32_e32 v6, vcc, v6, v8, vcc
	flat_load_dwordx2 v[7:8], v[5:6]
	s_waitcnt vmcnt(0) lgkmcnt(0)
	v_sub_f32_e32 v7, v19, v7
	v_sub_f32_e32 v8, v18, v8
	flat_store_dwordx2 v[5:6], v[7:8]
.LBB628_8:
	s_or_b64 exec, exec, s[0:1]
	v_add_u32_e32 v3, 16, v4
	v_mad_i64_i32 v[4:5], s[0:1], v3, s3, 0
	v_mov_b32_e32 v1, s11
	v_cmp_gt_i32_e32 vcc, s2, v3
	v_lshlrev_b64 v[4:5], 3, v[4:5]
	v_add_co_u32_e64 v4, s[0:1], s10, v4
	v_addc_co_u32_e64 v5, s[0:1], v1, v5, s[0:1]
	v_cmp_le_i32_e64 s[0:1], v0, v3
	s_and_b64 s[0:1], vcc, s[0:1]
	s_and_saveexec_b64 s[2:3], s[0:1]
	s_cbranch_execz .LBB628_10
; %bb.9:
	v_ashrrev_i32_e32 v1, 31, v0
	v_lshlrev_b64 v[0:1], 3, v[0:1]
	v_add_co_u32_e64 v0, s[0:1], v4, v0
	v_addc_co_u32_e64 v1, s[0:1], v5, v1, s[0:1]
	flat_load_dwordx2 v[6:7], v[0:1]
	s_waitcnt vmcnt(0) lgkmcnt(0)
	v_sub_f32_e32 v6, v17, v6
	v_sub_f32_e32 v7, v16, v7
	flat_store_dwordx2 v[0:1], v[6:7]
.LBB628_10:
	s_or_b64 exec, exec, s[2:3]
	v_cmp_le_i32_e64 s[0:1], v2, v3
	s_and_b64 s[0:1], vcc, s[0:1]
	s_and_saveexec_b64 s[2:3], s[0:1]
	s_cbranch_execz .LBB628_12
; %bb.11:
	v_ashrrev_i32_e32 v3, 31, v2
	v_lshlrev_b64 v[0:1], 3, v[2:3]
	v_add_co_u32_e32 v0, vcc, v4, v0
	v_addc_co_u32_e32 v1, vcc, v5, v1, vcc
	flat_load_dwordx2 v[2:3], v[0:1]
	s_waitcnt vmcnt(0) lgkmcnt(0)
	v_sub_f32_e32 v2, v15, v2
	v_sub_f32_e32 v3, v10, v3
	flat_store_dwordx2 v[0:1], v[2:3]
.LBB628_12:
	s_endpgm
	.section	.rodata,"a",@progbits
	.p2align	6, 0x0
	.amdhsa_kernel _ZL37rocblas_syrkx_herkx_restricted_kernelIi19rocblas_complex_numIfELi16ELi32ELi8ELi1ELin1ELb0ELc67ELc85EKPKS1_KPS1_EviT_PT9_S7_lS9_S7_lPT10_S7_li
		.amdhsa_group_segment_fixed_size 4096
		.amdhsa_private_segment_fixed_size 0
		.amdhsa_kernarg_size 84
		.amdhsa_user_sgpr_count 6
		.amdhsa_user_sgpr_private_segment_buffer 1
		.amdhsa_user_sgpr_dispatch_ptr 0
		.amdhsa_user_sgpr_queue_ptr 0
		.amdhsa_user_sgpr_kernarg_segment_ptr 1
		.amdhsa_user_sgpr_dispatch_id 0
		.amdhsa_user_sgpr_flat_scratch_init 0
		.amdhsa_user_sgpr_private_segment_size 0
		.amdhsa_uses_dynamic_stack 0
		.amdhsa_system_sgpr_private_segment_wavefront_offset 0
		.amdhsa_system_sgpr_workgroup_id_x 1
		.amdhsa_system_sgpr_workgroup_id_y 1
		.amdhsa_system_sgpr_workgroup_id_z 1
		.amdhsa_system_sgpr_workgroup_info 0
		.amdhsa_system_vgpr_workitem_id 1
		.amdhsa_next_free_vgpr 41
		.amdhsa_next_free_sgpr 17
		.amdhsa_reserve_vcc 1
		.amdhsa_reserve_flat_scratch 0
		.amdhsa_float_round_mode_32 0
		.amdhsa_float_round_mode_16_64 0
		.amdhsa_float_denorm_mode_32 3
		.amdhsa_float_denorm_mode_16_64 3
		.amdhsa_dx10_clamp 1
		.amdhsa_ieee_mode 1
		.amdhsa_fp16_overflow 0
		.amdhsa_exception_fp_ieee_invalid_op 0
		.amdhsa_exception_fp_denorm_src 0
		.amdhsa_exception_fp_ieee_div_zero 0
		.amdhsa_exception_fp_ieee_overflow 0
		.amdhsa_exception_fp_ieee_underflow 0
		.amdhsa_exception_fp_ieee_inexact 0
		.amdhsa_exception_int_div_zero 0
	.end_amdhsa_kernel
	.section	.text._ZL37rocblas_syrkx_herkx_restricted_kernelIi19rocblas_complex_numIfELi16ELi32ELi8ELi1ELin1ELb0ELc67ELc85EKPKS1_KPS1_EviT_PT9_S7_lS9_S7_lPT10_S7_li,"axG",@progbits,_ZL37rocblas_syrkx_herkx_restricted_kernelIi19rocblas_complex_numIfELi16ELi32ELi8ELi1ELin1ELb0ELc67ELc85EKPKS1_KPS1_EviT_PT9_S7_lS9_S7_lPT10_S7_li,comdat
.Lfunc_end628:
	.size	_ZL37rocblas_syrkx_herkx_restricted_kernelIi19rocblas_complex_numIfELi16ELi32ELi8ELi1ELin1ELb0ELc67ELc85EKPKS1_KPS1_EviT_PT9_S7_lS9_S7_lPT10_S7_li, .Lfunc_end628-_ZL37rocblas_syrkx_herkx_restricted_kernelIi19rocblas_complex_numIfELi16ELi32ELi8ELi1ELin1ELb0ELc67ELc85EKPKS1_KPS1_EviT_PT9_S7_lS9_S7_lPT10_S7_li
                                        ; -- End function
	.set _ZL37rocblas_syrkx_herkx_restricted_kernelIi19rocblas_complex_numIfELi16ELi32ELi8ELi1ELin1ELb0ELc67ELc85EKPKS1_KPS1_EviT_PT9_S7_lS9_S7_lPT10_S7_li.num_vgpr, 41
	.set _ZL37rocblas_syrkx_herkx_restricted_kernelIi19rocblas_complex_numIfELi16ELi32ELi8ELi1ELin1ELb0ELc67ELc85EKPKS1_KPS1_EviT_PT9_S7_lS9_S7_lPT10_S7_li.num_agpr, 0
	.set _ZL37rocblas_syrkx_herkx_restricted_kernelIi19rocblas_complex_numIfELi16ELi32ELi8ELi1ELin1ELb0ELc67ELc85EKPKS1_KPS1_EviT_PT9_S7_lS9_S7_lPT10_S7_li.numbered_sgpr, 17
	.set _ZL37rocblas_syrkx_herkx_restricted_kernelIi19rocblas_complex_numIfELi16ELi32ELi8ELi1ELin1ELb0ELc67ELc85EKPKS1_KPS1_EviT_PT9_S7_lS9_S7_lPT10_S7_li.num_named_barrier, 0
	.set _ZL37rocblas_syrkx_herkx_restricted_kernelIi19rocblas_complex_numIfELi16ELi32ELi8ELi1ELin1ELb0ELc67ELc85EKPKS1_KPS1_EviT_PT9_S7_lS9_S7_lPT10_S7_li.private_seg_size, 0
	.set _ZL37rocblas_syrkx_herkx_restricted_kernelIi19rocblas_complex_numIfELi16ELi32ELi8ELi1ELin1ELb0ELc67ELc85EKPKS1_KPS1_EviT_PT9_S7_lS9_S7_lPT10_S7_li.uses_vcc, 1
	.set _ZL37rocblas_syrkx_herkx_restricted_kernelIi19rocblas_complex_numIfELi16ELi32ELi8ELi1ELin1ELb0ELc67ELc85EKPKS1_KPS1_EviT_PT9_S7_lS9_S7_lPT10_S7_li.uses_flat_scratch, 0
	.set _ZL37rocblas_syrkx_herkx_restricted_kernelIi19rocblas_complex_numIfELi16ELi32ELi8ELi1ELin1ELb0ELc67ELc85EKPKS1_KPS1_EviT_PT9_S7_lS9_S7_lPT10_S7_li.has_dyn_sized_stack, 0
	.set _ZL37rocblas_syrkx_herkx_restricted_kernelIi19rocblas_complex_numIfELi16ELi32ELi8ELi1ELin1ELb0ELc67ELc85EKPKS1_KPS1_EviT_PT9_S7_lS9_S7_lPT10_S7_li.has_recursion, 0
	.set _ZL37rocblas_syrkx_herkx_restricted_kernelIi19rocblas_complex_numIfELi16ELi32ELi8ELi1ELin1ELb0ELc67ELc85EKPKS1_KPS1_EviT_PT9_S7_lS9_S7_lPT10_S7_li.has_indirect_call, 0
	.section	.AMDGPU.csdata,"",@progbits
; Kernel info:
; codeLenInByte = 1908
; TotalNumSgprs: 21
; NumVgprs: 41
; ScratchSize: 0
; MemoryBound: 0
; FloatMode: 240
; IeeeMode: 1
; LDSByteSize: 4096 bytes/workgroup (compile time only)
; SGPRBlocks: 2
; VGPRBlocks: 10
; NumSGPRsForWavesPerEU: 21
; NumVGPRsForWavesPerEU: 41
; Occupancy: 5
; WaveLimiterHint : 1
; COMPUTE_PGM_RSRC2:SCRATCH_EN: 0
; COMPUTE_PGM_RSRC2:USER_SGPR: 6
; COMPUTE_PGM_RSRC2:TRAP_HANDLER: 0
; COMPUTE_PGM_RSRC2:TGID_X_EN: 1
; COMPUTE_PGM_RSRC2:TGID_Y_EN: 1
; COMPUTE_PGM_RSRC2:TGID_Z_EN: 1
; COMPUTE_PGM_RSRC2:TIDIG_COMP_CNT: 1
	.section	.text._ZL37rocblas_syrkx_herkx_restricted_kernelIi19rocblas_complex_numIfELi16ELi32ELi8ELi1ELin1ELb0ELc78ELc85EKPKS1_KPS1_EviT_PT9_S7_lS9_S7_lPT10_S7_li,"axG",@progbits,_ZL37rocblas_syrkx_herkx_restricted_kernelIi19rocblas_complex_numIfELi16ELi32ELi8ELi1ELin1ELb0ELc78ELc85EKPKS1_KPS1_EviT_PT9_S7_lS9_S7_lPT10_S7_li,comdat
	.globl	_ZL37rocblas_syrkx_herkx_restricted_kernelIi19rocblas_complex_numIfELi16ELi32ELi8ELi1ELin1ELb0ELc78ELc85EKPKS1_KPS1_EviT_PT9_S7_lS9_S7_lPT10_S7_li ; -- Begin function _ZL37rocblas_syrkx_herkx_restricted_kernelIi19rocblas_complex_numIfELi16ELi32ELi8ELi1ELin1ELb0ELc78ELc85EKPKS1_KPS1_EviT_PT9_S7_lS9_S7_lPT10_S7_li
	.p2align	8
	.type	_ZL37rocblas_syrkx_herkx_restricted_kernelIi19rocblas_complex_numIfELi16ELi32ELi8ELi1ELin1ELb0ELc78ELc85EKPKS1_KPS1_EviT_PT9_S7_lS9_S7_lPT10_S7_li,@function
_ZL37rocblas_syrkx_herkx_restricted_kernelIi19rocblas_complex_numIfELi16ELi32ELi8ELi1ELin1ELb0ELc78ELc85EKPKS1_KPS1_EviT_PT9_S7_lS9_S7_lPT10_S7_li: ; @_ZL37rocblas_syrkx_herkx_restricted_kernelIi19rocblas_complex_numIfELi16ELi32ELi8ELi1ELin1ELb0ELc78ELc85EKPKS1_KPS1_EviT_PT9_S7_lS9_S7_lPT10_S7_li
; %bb.0:
	s_load_dwordx2 s[10:11], s[4:5], 0x38
	s_load_dwordx2 s[2:3], s[4:5], 0x0
	s_mov_b32 s9, 0
	s_lshl_b64 s[0:1], s[8:9], 3
	s_waitcnt lgkmcnt(0)
	s_add_u32 s10, s10, s0
	s_addc_u32 s11, s11, s1
	s_load_dwordx2 s[10:11], s[10:11], 0x0
	s_lshl_b32 s8, s6, 5
	s_lshl_b32 s12, s7, 5
	s_cmp_lt_i32 s3, 1
	s_cbranch_scc1 .LBB629_3
; %bb.1:
	s_load_dword s6, s[4:5], 0x10
	s_load_dword s14, s[4:5], 0x28
	s_load_dwordx2 s[16:17], s[4:5], 0x20
	s_load_dwordx2 s[18:19], s[4:5], 0x8
	v_lshl_add_u32 v5, v1, 4, v0
	s_waitcnt lgkmcnt(0)
	s_ashr_i32 s7, s6, 31
	s_ashr_i32 s15, s14, 31
	v_lshrrev_b32_e32 v6, 3, v5
	s_add_u32 s18, s18, s0
	s_addc_u32 s19, s19, s1
	s_add_u32 s0, s16, s0
	v_add_u32_e32 v2, s12, v6
	s_addc_u32 s1, s17, s1
	v_and_b32_e32 v4, 7, v0
	v_ashrrev_i32_e32 v3, 31, v2
	s_load_dwordx2 s[16:17], s[0:1], 0x0
	v_mad_i64_i32 v[2:3], s[0:1], s14, v4, v[2:3]
	v_lshlrev_b32_e32 v4, 3, v4
	v_lshrrev_b32_e32 v7, 5, v5
	v_and_b32_e32 v5, 31, v5
	v_lshl_or_b32 v4, v6, 6, v4
	v_add_u32_e32 v11, 0x800, v4
	v_add_u32_e32 v4, s8, v5
	v_lshlrev_b32_e32 v8, 3, v5
	v_ashrrev_i32_e32 v5, 31, v4
	v_mad_i64_i32 v[4:5], s[0:1], s6, v7, v[4:5]
	s_load_dwordx2 s[18:19], s[18:19], 0x0
	v_mov_b32_e32 v6, 0x800
	v_lshlrev_b64 v[4:5], 3, v[4:5]
	v_lshl_or_b32 v10, v7, 8, v8
	v_lshl_add_u32 v13, v1, 6, v6
	s_waitcnt lgkmcnt(0)
	v_mov_b32_e32 v7, s19
	v_add_co_u32_e32 v6, vcc, s18, v4
	v_lshlrev_b64 v[2:3], 3, v[2:3]
	v_addc_co_u32_e32 v7, vcc, v7, v5, vcc
	s_lshl_b64 s[0:1], s[6:7], 6
	v_mov_b32_e32 v4, s17
	v_add_co_u32_e32 v8, vcc, s16, v2
	s_lshl_b64 s[6:7], s[14:15], 6
	v_lshlrev_b32_e32 v12, 3, v0
	v_addc_co_u32_e32 v9, vcc, v4, v3, vcc
	v_mov_b32_e32 v16, 0
	v_mov_b32_e32 v14, s1
	;; [unrolled: 1-line block ×10, first 2 shown]
.LBB629_2:                              ; =>This Inner Loop Header: Depth=1
	flat_load_dwordx2 v[2:3], v[6:7]
	v_add_co_u32_e32 v6, vcc, s0, v6
	v_addc_co_u32_e32 v7, vcc, v7, v14, vcc
	s_add_i32 s9, s9, 8
	s_cmp_ge_i32 s9, s3
	s_waitcnt vmcnt(0) lgkmcnt(0)
	ds_write_b64 v10, v[2:3]
	flat_load_dwordx2 v[2:3], v[8:9]
	v_add_co_u32_e32 v8, vcc, s6, v8
	v_addc_co_u32_e32 v9, vcc, v9, v15, vcc
	s_waitcnt vmcnt(0) lgkmcnt(0)
	ds_write_b64 v11, v[2:3]
	s_waitcnt lgkmcnt(0)
	s_barrier
	ds_read_b128 v[24:27], v13
	ds_read_b128 v[28:31], v13 offset:16
	ds_read_b128 v[32:35], v13 offset:32
	;; [unrolled: 1-line block ×3, first 2 shown]
	ds_read2_b64 v[36:39], v12 offset1:16
	s_waitcnt lgkmcnt(0)
	v_mul_f32_e32 v40, v25, v37
	v_mul_f32_e32 v41, v24, v37
	v_fma_f32 v40, v24, v36, -v40
	v_fmac_f32_e32 v41, v25, v36
	v_add_f32_e32 v40, v22, v40
	v_add_f32_e32 v41, v23, v41
	v_mul_f32_e32 v22, v25, v39
	v_mul_f32_e32 v23, v24, v39
	v_fma_f32 v22, v24, v38, -v22
	v_fmac_f32_e32 v23, v25, v38
	v_add_f32_e32 v24, v21, v22
	v_add_f32_e32 v25, v20, v23
	ds_read_b128 v[20:23], v13 offset:1024
	s_waitcnt lgkmcnt(0)
	v_mul_f32_e32 v42, v21, v37
	v_mul_f32_e32 v37, v20, v37
	v_fma_f32 v42, v20, v36, -v42
	v_fmac_f32_e32 v37, v21, v36
	v_add_f32_e32 v36, v19, v42
	v_add_f32_e32 v37, v18, v37
	v_mul_f32_e32 v18, v21, v39
	v_mul_f32_e32 v19, v20, v39
	v_fma_f32 v18, v20, v38, -v18
	v_fmac_f32_e32 v19, v21, v38
	v_add_f32_e32 v20, v17, v18
	v_add_f32_e32 v21, v16, v19
	ds_read2_b64 v[16:19], v12 offset0:32 offset1:48
	s_waitcnt lgkmcnt(0)
	v_mul_f32_e32 v38, v27, v17
	v_fma_f32 v38, v26, v16, -v38
	v_add_f32_e32 v38, v40, v38
	v_mul_f32_e32 v40, v27, v19
	v_mul_f32_e32 v39, v26, v17
	v_fma_f32 v40, v26, v18, -v40
	v_mul_f32_e32 v26, v26, v19
	v_fmac_f32_e32 v26, v27, v18
	v_add_f32_e32 v25, v25, v26
	v_mul_f32_e32 v26, v23, v17
	v_mul_f32_e32 v17, v22, v17
	v_fmac_f32_e32 v17, v23, v16
	v_fmac_f32_e32 v39, v27, v16
	v_fma_f32 v26, v22, v16, -v26
	v_add_f32_e32 v27, v37, v17
	v_mul_f32_e32 v16, v23, v19
	v_mul_f32_e32 v17, v22, v19
	v_fma_f32 v16, v22, v18, -v16
	v_fmac_f32_e32 v17, v23, v18
	v_add_f32_e32 v26, v36, v26
	v_add_f32_e32 v36, v20, v16
	;; [unrolled: 1-line block ×3, first 2 shown]
	ds_read2_b64 v[16:19], v12 offset0:64 offset1:80
	v_add_f32_e32 v39, v41, v39
	v_add_f32_e32 v24, v24, v40
	s_waitcnt lgkmcnt(0)
	v_mul_f32_e32 v20, v29, v17
	v_mul_f32_e32 v21, v28, v17
	v_fma_f32 v20, v28, v16, -v20
	v_fmac_f32_e32 v21, v29, v16
	v_add_f32_e32 v38, v38, v20
	v_add_f32_e32 v39, v39, v21
	v_mul_f32_e32 v20, v29, v19
	v_mul_f32_e32 v21, v28, v19
	v_fma_f32 v20, v28, v18, -v20
	v_fmac_f32_e32 v21, v29, v18
	v_add_f32_e32 v24, v24, v20
	v_add_f32_e32 v25, v25, v21
	ds_read_b128 v[20:23], v13 offset:1040
	s_waitcnt lgkmcnt(0)
	v_mul_f32_e32 v28, v21, v17
	v_mul_f32_e32 v17, v20, v17
	v_fmac_f32_e32 v17, v21, v16
	v_fma_f32 v28, v20, v16, -v28
	v_add_f32_e32 v27, v27, v17
	v_mul_f32_e32 v16, v21, v19
	v_mul_f32_e32 v17, v20, v19
	v_fma_f32 v16, v20, v18, -v16
	v_fmac_f32_e32 v17, v21, v18
	v_add_f32_e32 v20, v36, v16
	v_add_f32_e32 v21, v37, v17
	ds_read2_b64 v[16:19], v12 offset0:96 offset1:112
	v_add_f32_e32 v26, v26, v28
	s_waitcnt lgkmcnt(0)
	v_mul_f32_e32 v28, v31, v17
	v_mul_f32_e32 v36, v31, v19
	v_fma_f32 v28, v30, v16, -v28
	v_mul_f32_e32 v29, v30, v17
	v_fma_f32 v36, v30, v18, -v36
	v_mul_f32_e32 v30, v30, v19
	v_fmac_f32_e32 v30, v31, v18
	v_add_f32_e32 v25, v25, v30
	v_mul_f32_e32 v30, v23, v17
	v_mul_f32_e32 v17, v22, v17
	v_fmac_f32_e32 v17, v23, v16
	v_fmac_f32_e32 v29, v31, v16
	v_fma_f32 v30, v22, v16, -v30
	v_add_f32_e32 v27, v27, v17
	v_mul_f32_e32 v16, v23, v19
	v_mul_f32_e32 v17, v22, v19
	v_fma_f32 v16, v22, v18, -v16
	v_fmac_f32_e32 v17, v23, v18
	v_add_f32_e32 v26, v26, v30
	v_add_f32_e32 v30, v20, v16
	;; [unrolled: 1-line block ×3, first 2 shown]
	ds_read2_b64 v[16:19], v12 offset0:128 offset1:144
	v_add_f32_e32 v28, v38, v28
	v_add_f32_e32 v29, v39, v29
	;; [unrolled: 1-line block ×3, first 2 shown]
	s_waitcnt lgkmcnt(0)
	v_mul_f32_e32 v20, v33, v17
	v_mul_f32_e32 v21, v32, v17
	v_fma_f32 v20, v32, v16, -v20
	v_fmac_f32_e32 v21, v33, v16
	v_add_f32_e32 v28, v28, v20
	v_add_f32_e32 v29, v29, v21
	v_mul_f32_e32 v20, v33, v19
	v_mul_f32_e32 v21, v32, v19
	v_fma_f32 v20, v32, v18, -v20
	v_fmac_f32_e32 v21, v33, v18
	v_add_f32_e32 v24, v24, v20
	v_add_f32_e32 v25, v25, v21
	ds_read_b128 v[20:23], v13 offset:1056
	s_waitcnt lgkmcnt(0)
	v_mul_f32_e32 v32, v21, v17
	v_mul_f32_e32 v17, v20, v17
	v_fmac_f32_e32 v17, v21, v16
	v_fma_f32 v32, v20, v16, -v32
	v_add_f32_e32 v27, v27, v17
	v_mul_f32_e32 v16, v21, v19
	v_mul_f32_e32 v17, v20, v19
	v_fma_f32 v16, v20, v18, -v16
	v_fmac_f32_e32 v17, v21, v18
	v_add_f32_e32 v20, v30, v16
	v_add_f32_e32 v21, v31, v17
	ds_read2_b64 v[16:19], v12 offset0:160 offset1:176
	v_add_f32_e32 v26, v26, v32
	s_waitcnt lgkmcnt(0)
	v_mul_f32_e32 v30, v35, v17
	v_fma_f32 v30, v34, v16, -v30
	v_add_f32_e32 v28, v28, v30
	v_mul_f32_e32 v30, v35, v19
	v_fma_f32 v30, v34, v18, -v30
	v_mul_f32_e32 v31, v34, v17
	v_add_f32_e32 v24, v24, v30
	v_mul_f32_e32 v30, v23, v17
	v_mul_f32_e32 v17, v22, v17
	v_fmac_f32_e32 v17, v23, v16
	v_fmac_f32_e32 v31, v35, v16
	v_fma_f32 v30, v22, v16, -v30
	v_add_f32_e32 v27, v27, v17
	v_mul_f32_e32 v16, v23, v19
	v_mul_f32_e32 v17, v22, v19
	v_add_f32_e32 v29, v29, v31
	v_mul_f32_e32 v31, v34, v19
	v_fma_f32 v16, v22, v18, -v16
	v_fmac_f32_e32 v17, v23, v18
	v_fmac_f32_e32 v31, v35, v18
	v_add_f32_e32 v20, v20, v16
	v_add_f32_e32 v21, v21, v17
	ds_read2_b64 v[16:19], v12 offset0:192 offset1:208
	v_add_f32_e32 v26, v26, v30
	v_add_f32_e32 v25, v25, v31
	s_waitcnt lgkmcnt(0)
	v_mul_f32_e32 v22, v3, v17
	v_fma_f32 v22, v2, v16, -v22
	v_add_f32_e32 v30, v28, v22
	v_mul_f32_e32 v22, v3, v19
	v_mul_f32_e32 v23, v2, v17
	v_fma_f32 v22, v2, v18, -v22
	v_mul_f32_e32 v2, v2, v19
	v_fmac_f32_e32 v23, v3, v16
	v_fmac_f32_e32 v2, v3, v18
	v_add_f32_e32 v31, v29, v23
	v_add_f32_e32 v3, v24, v22
	;; [unrolled: 1-line block ×3, first 2 shown]
	ds_read_b128 v[22:25], v13 offset:1072
	s_waitcnt lgkmcnt(0)
	v_mul_f32_e32 v28, v23, v17
	v_fma_f32 v28, v22, v16, -v28
	v_mul_f32_e32 v17, v22, v17
	v_fmac_f32_e32 v17, v23, v16
	v_add_f32_e32 v16, v26, v28
	v_mul_f32_e32 v26, v23, v19
	v_fma_f32 v26, v22, v18, -v26
	v_add_f32_e32 v17, v27, v17
	v_add_f32_e32 v32, v20, v26
	ds_read2_b64 v[26:29], v12 offset0:224 offset1:240
	v_mul_f32_e32 v19, v22, v19
	v_fmac_f32_e32 v19, v23, v18
	v_add_f32_e32 v33, v21, v19
	s_waitcnt lgkmcnt(0)
	v_mul_f32_e32 v18, v5, v27
	v_fma_f32 v18, v4, v26, -v18
	v_add_f32_e32 v22, v30, v18
	v_mul_f32_e32 v18, v5, v29
	v_mul_f32_e32 v19, v4, v27
	v_fma_f32 v18, v4, v28, -v18
	v_mul_f32_e32 v4, v4, v29
	v_fmac_f32_e32 v4, v5, v28
	v_add_f32_e32 v21, v3, v18
	v_add_f32_e32 v20, v2, v4
	v_mul_f32_e32 v2, v25, v27
	v_mul_f32_e32 v3, v24, v27
	v_fmac_f32_e32 v19, v5, v26
	v_fma_f32 v2, v24, v26, -v2
	v_fmac_f32_e32 v3, v25, v26
	v_add_f32_e32 v23, v31, v19
	v_add_f32_e32 v19, v16, v2
	;; [unrolled: 1-line block ×3, first 2 shown]
	v_mul_f32_e32 v2, v25, v29
	v_mul_f32_e32 v3, v24, v29
	v_fma_f32 v2, v24, v28, -v2
	v_fmac_f32_e32 v3, v25, v28
	v_add_f32_e32 v17, v32, v2
	v_add_f32_e32 v16, v33, v3
	s_barrier
	s_cbranch_scc0 .LBB629_2
	s_branch .LBB629_4
.LBB629_3:
	v_mov_b32_e32 v22, 0
	v_mov_b32_e32 v23, 0
	;; [unrolled: 1-line block ×8, first 2 shown]
.LBB629_4:
	s_load_dword s3, s[4:5], 0x40
	v_add_u32_e32 v4, s12, v1
	s_waitcnt lgkmcnt(0)
	v_mov_b32_e32 v3, s11
	v_add_u32_e32 v0, s8, v0
	v_cmp_gt_i32_e32 vcc, s2, v4
	v_mad_i64_i32 v[1:2], s[0:1], v4, s3, 0
	v_lshlrev_b64 v[1:2], 3, v[1:2]
	v_add_co_u32_e64 v5, s[0:1], s10, v1
	v_addc_co_u32_e64 v6, s[0:1], v3, v2, s[0:1]
	v_cmp_le_i32_e64 s[0:1], v0, v4
	s_and_b64 s[0:1], vcc, s[0:1]
	s_and_saveexec_b64 s[4:5], s[0:1]
	s_cbranch_execz .LBB629_6
; %bb.5:
	v_ashrrev_i32_e32 v1, 31, v0
	v_lshlrev_b64 v[1:2], 3, v[0:1]
	v_add_co_u32_e64 v1, s[0:1], v5, v1
	v_addc_co_u32_e64 v2, s[0:1], v6, v2, s[0:1]
	flat_load_dwordx2 v[7:8], v[1:2]
	s_waitcnt vmcnt(0) lgkmcnt(0)
	v_sub_f32_e32 v7, v22, v7
	v_sub_f32_e32 v8, v23, v8
	flat_store_dwordx2 v[1:2], v[7:8]
.LBB629_6:
	s_or_b64 exec, exec, s[4:5]
	v_add_u32_e32 v2, 16, v0
	v_cmp_le_i32_e64 s[0:1], v2, v4
	s_and_b64 s[4:5], vcc, s[0:1]
	s_and_saveexec_b64 s[0:1], s[4:5]
	s_cbranch_execz .LBB629_8
; %bb.7:
	v_ashrrev_i32_e32 v3, 31, v2
	v_lshlrev_b64 v[7:8], 3, v[2:3]
	v_add_co_u32_e32 v5, vcc, v5, v7
	v_addc_co_u32_e32 v6, vcc, v6, v8, vcc
	flat_load_dwordx2 v[7:8], v[5:6]
	s_waitcnt vmcnt(0) lgkmcnt(0)
	v_sub_f32_e32 v7, v21, v7
	v_sub_f32_e32 v8, v20, v8
	flat_store_dwordx2 v[5:6], v[7:8]
.LBB629_8:
	s_or_b64 exec, exec, s[0:1]
	v_add_u32_e32 v3, 16, v4
	v_mad_i64_i32 v[4:5], s[0:1], v3, s3, 0
	v_mov_b32_e32 v1, s11
	v_cmp_gt_i32_e32 vcc, s2, v3
	v_lshlrev_b64 v[4:5], 3, v[4:5]
	v_add_co_u32_e64 v4, s[0:1], s10, v4
	v_addc_co_u32_e64 v5, s[0:1], v1, v5, s[0:1]
	v_cmp_le_i32_e64 s[0:1], v0, v3
	s_and_b64 s[0:1], vcc, s[0:1]
	s_and_saveexec_b64 s[2:3], s[0:1]
	s_cbranch_execz .LBB629_10
; %bb.9:
	v_ashrrev_i32_e32 v1, 31, v0
	v_lshlrev_b64 v[0:1], 3, v[0:1]
	v_add_co_u32_e64 v0, s[0:1], v4, v0
	v_addc_co_u32_e64 v1, s[0:1], v5, v1, s[0:1]
	flat_load_dwordx2 v[6:7], v[0:1]
	s_waitcnt vmcnt(0) lgkmcnt(0)
	v_sub_f32_e32 v6, v19, v6
	v_sub_f32_e32 v7, v18, v7
	flat_store_dwordx2 v[0:1], v[6:7]
.LBB629_10:
	s_or_b64 exec, exec, s[2:3]
	v_cmp_le_i32_e64 s[0:1], v2, v3
	s_and_b64 s[0:1], vcc, s[0:1]
	s_and_saveexec_b64 s[2:3], s[0:1]
	s_cbranch_execz .LBB629_12
; %bb.11:
	v_ashrrev_i32_e32 v3, 31, v2
	v_lshlrev_b64 v[0:1], 3, v[2:3]
	v_add_co_u32_e32 v0, vcc, v4, v0
	v_addc_co_u32_e32 v1, vcc, v5, v1, vcc
	flat_load_dwordx2 v[2:3], v[0:1]
	s_waitcnt vmcnt(0) lgkmcnt(0)
	v_sub_f32_e32 v2, v17, v2
	v_sub_f32_e32 v3, v16, v3
	flat_store_dwordx2 v[0:1], v[2:3]
.LBB629_12:
	s_endpgm
	.section	.rodata,"a",@progbits
	.p2align	6, 0x0
	.amdhsa_kernel _ZL37rocblas_syrkx_herkx_restricted_kernelIi19rocblas_complex_numIfELi16ELi32ELi8ELi1ELin1ELb0ELc78ELc85EKPKS1_KPS1_EviT_PT9_S7_lS9_S7_lPT10_S7_li
		.amdhsa_group_segment_fixed_size 4096
		.amdhsa_private_segment_fixed_size 0
		.amdhsa_kernarg_size 84
		.amdhsa_user_sgpr_count 6
		.amdhsa_user_sgpr_private_segment_buffer 1
		.amdhsa_user_sgpr_dispatch_ptr 0
		.amdhsa_user_sgpr_queue_ptr 0
		.amdhsa_user_sgpr_kernarg_segment_ptr 1
		.amdhsa_user_sgpr_dispatch_id 0
		.amdhsa_user_sgpr_flat_scratch_init 0
		.amdhsa_user_sgpr_private_segment_size 0
		.amdhsa_uses_dynamic_stack 0
		.amdhsa_system_sgpr_private_segment_wavefront_offset 0
		.amdhsa_system_sgpr_workgroup_id_x 1
		.amdhsa_system_sgpr_workgroup_id_y 1
		.amdhsa_system_sgpr_workgroup_id_z 1
		.amdhsa_system_sgpr_workgroup_info 0
		.amdhsa_system_vgpr_workitem_id 1
		.amdhsa_next_free_vgpr 43
		.amdhsa_next_free_sgpr 20
		.amdhsa_reserve_vcc 1
		.amdhsa_reserve_flat_scratch 0
		.amdhsa_float_round_mode_32 0
		.amdhsa_float_round_mode_16_64 0
		.amdhsa_float_denorm_mode_32 3
		.amdhsa_float_denorm_mode_16_64 3
		.amdhsa_dx10_clamp 1
		.amdhsa_ieee_mode 1
		.amdhsa_fp16_overflow 0
		.amdhsa_exception_fp_ieee_invalid_op 0
		.amdhsa_exception_fp_denorm_src 0
		.amdhsa_exception_fp_ieee_div_zero 0
		.amdhsa_exception_fp_ieee_overflow 0
		.amdhsa_exception_fp_ieee_underflow 0
		.amdhsa_exception_fp_ieee_inexact 0
		.amdhsa_exception_int_div_zero 0
	.end_amdhsa_kernel
	.section	.text._ZL37rocblas_syrkx_herkx_restricted_kernelIi19rocblas_complex_numIfELi16ELi32ELi8ELi1ELin1ELb0ELc78ELc85EKPKS1_KPS1_EviT_PT9_S7_lS9_S7_lPT10_S7_li,"axG",@progbits,_ZL37rocblas_syrkx_herkx_restricted_kernelIi19rocblas_complex_numIfELi16ELi32ELi8ELi1ELin1ELb0ELc78ELc85EKPKS1_KPS1_EviT_PT9_S7_lS9_S7_lPT10_S7_li,comdat
.Lfunc_end629:
	.size	_ZL37rocblas_syrkx_herkx_restricted_kernelIi19rocblas_complex_numIfELi16ELi32ELi8ELi1ELin1ELb0ELc78ELc85EKPKS1_KPS1_EviT_PT9_S7_lS9_S7_lPT10_S7_li, .Lfunc_end629-_ZL37rocblas_syrkx_herkx_restricted_kernelIi19rocblas_complex_numIfELi16ELi32ELi8ELi1ELin1ELb0ELc78ELc85EKPKS1_KPS1_EviT_PT9_S7_lS9_S7_lPT10_S7_li
                                        ; -- End function
	.set _ZL37rocblas_syrkx_herkx_restricted_kernelIi19rocblas_complex_numIfELi16ELi32ELi8ELi1ELin1ELb0ELc78ELc85EKPKS1_KPS1_EviT_PT9_S7_lS9_S7_lPT10_S7_li.num_vgpr, 43
	.set _ZL37rocblas_syrkx_herkx_restricted_kernelIi19rocblas_complex_numIfELi16ELi32ELi8ELi1ELin1ELb0ELc78ELc85EKPKS1_KPS1_EviT_PT9_S7_lS9_S7_lPT10_S7_li.num_agpr, 0
	.set _ZL37rocblas_syrkx_herkx_restricted_kernelIi19rocblas_complex_numIfELi16ELi32ELi8ELi1ELin1ELb0ELc78ELc85EKPKS1_KPS1_EviT_PT9_S7_lS9_S7_lPT10_S7_li.numbered_sgpr, 20
	.set _ZL37rocblas_syrkx_herkx_restricted_kernelIi19rocblas_complex_numIfELi16ELi32ELi8ELi1ELin1ELb0ELc78ELc85EKPKS1_KPS1_EviT_PT9_S7_lS9_S7_lPT10_S7_li.num_named_barrier, 0
	.set _ZL37rocblas_syrkx_herkx_restricted_kernelIi19rocblas_complex_numIfELi16ELi32ELi8ELi1ELin1ELb0ELc78ELc85EKPKS1_KPS1_EviT_PT9_S7_lS9_S7_lPT10_S7_li.private_seg_size, 0
	.set _ZL37rocblas_syrkx_herkx_restricted_kernelIi19rocblas_complex_numIfELi16ELi32ELi8ELi1ELin1ELb0ELc78ELc85EKPKS1_KPS1_EviT_PT9_S7_lS9_S7_lPT10_S7_li.uses_vcc, 1
	.set _ZL37rocblas_syrkx_herkx_restricted_kernelIi19rocblas_complex_numIfELi16ELi32ELi8ELi1ELin1ELb0ELc78ELc85EKPKS1_KPS1_EviT_PT9_S7_lS9_S7_lPT10_S7_li.uses_flat_scratch, 0
	.set _ZL37rocblas_syrkx_herkx_restricted_kernelIi19rocblas_complex_numIfELi16ELi32ELi8ELi1ELin1ELb0ELc78ELc85EKPKS1_KPS1_EviT_PT9_S7_lS9_S7_lPT10_S7_li.has_dyn_sized_stack, 0
	.set _ZL37rocblas_syrkx_herkx_restricted_kernelIi19rocblas_complex_numIfELi16ELi32ELi8ELi1ELin1ELb0ELc78ELc85EKPKS1_KPS1_EviT_PT9_S7_lS9_S7_lPT10_S7_li.has_recursion, 0
	.set _ZL37rocblas_syrkx_herkx_restricted_kernelIi19rocblas_complex_numIfELi16ELi32ELi8ELi1ELin1ELb0ELc78ELc85EKPKS1_KPS1_EviT_PT9_S7_lS9_S7_lPT10_S7_li.has_indirect_call, 0
	.section	.AMDGPU.csdata,"",@progbits
; Kernel info:
; codeLenInByte = 1936
; TotalNumSgprs: 24
; NumVgprs: 43
; ScratchSize: 0
; MemoryBound: 0
; FloatMode: 240
; IeeeMode: 1
; LDSByteSize: 4096 bytes/workgroup (compile time only)
; SGPRBlocks: 2
; VGPRBlocks: 10
; NumSGPRsForWavesPerEU: 24
; NumVGPRsForWavesPerEU: 43
; Occupancy: 5
; WaveLimiterHint : 1
; COMPUTE_PGM_RSRC2:SCRATCH_EN: 0
; COMPUTE_PGM_RSRC2:USER_SGPR: 6
; COMPUTE_PGM_RSRC2:TRAP_HANDLER: 0
; COMPUTE_PGM_RSRC2:TGID_X_EN: 1
; COMPUTE_PGM_RSRC2:TGID_Y_EN: 1
; COMPUTE_PGM_RSRC2:TGID_Z_EN: 1
; COMPUTE_PGM_RSRC2:TIDIG_COMP_CNT: 1
	.section	.text._ZL37rocblas_syrkx_herkx_restricted_kernelIi19rocblas_complex_numIfELi16ELi32ELi8ELi1ELi0ELb0ELc84ELc76EKPKS1_KPS1_EviT_PT9_S7_lS9_S7_lPT10_S7_li,"axG",@progbits,_ZL37rocblas_syrkx_herkx_restricted_kernelIi19rocblas_complex_numIfELi16ELi32ELi8ELi1ELi0ELb0ELc84ELc76EKPKS1_KPS1_EviT_PT9_S7_lS9_S7_lPT10_S7_li,comdat
	.globl	_ZL37rocblas_syrkx_herkx_restricted_kernelIi19rocblas_complex_numIfELi16ELi32ELi8ELi1ELi0ELb0ELc84ELc76EKPKS1_KPS1_EviT_PT9_S7_lS9_S7_lPT10_S7_li ; -- Begin function _ZL37rocblas_syrkx_herkx_restricted_kernelIi19rocblas_complex_numIfELi16ELi32ELi8ELi1ELi0ELb0ELc84ELc76EKPKS1_KPS1_EviT_PT9_S7_lS9_S7_lPT10_S7_li
	.p2align	8
	.type	_ZL37rocblas_syrkx_herkx_restricted_kernelIi19rocblas_complex_numIfELi16ELi32ELi8ELi1ELi0ELb0ELc84ELc76EKPKS1_KPS1_EviT_PT9_S7_lS9_S7_lPT10_S7_li,@function
_ZL37rocblas_syrkx_herkx_restricted_kernelIi19rocblas_complex_numIfELi16ELi32ELi8ELi1ELi0ELb0ELc84ELc76EKPKS1_KPS1_EviT_PT9_S7_lS9_S7_lPT10_S7_li: ; @_ZL37rocblas_syrkx_herkx_restricted_kernelIi19rocblas_complex_numIfELi16ELi32ELi8ELi1ELi0ELb0ELc84ELc76EKPKS1_KPS1_EviT_PT9_S7_lS9_S7_lPT10_S7_li
; %bb.0:
	s_load_dwordx2 s[2:3], s[4:5], 0x38
	s_load_dwordx2 s[12:13], s[4:5], 0x0
	s_mov_b32 s9, 0
	s_lshl_b64 s[0:1], s[8:9], 3
	s_waitcnt lgkmcnt(0)
	s_add_u32 s2, s2, s0
	s_addc_u32 s3, s3, s1
	s_load_dwordx2 s[10:11], s[2:3], 0x0
	s_lshl_b32 s2, s6, 5
	s_lshl_b32 s3, s7, 5
	s_cmp_lt_i32 s13, 1
	s_cbranch_scc1 .LBB630_3
; %bb.1:
	v_lshl_add_u32 v4, v1, 4, v0
	s_load_dwordx2 s[6:7], s[4:5], 0x8
	s_load_dword s8, s[4:5], 0x10
	s_load_dwordx2 s[14:15], s[4:5], 0x20
	s_load_dword s16, s[4:5], 0x28
	v_and_b32_e32 v7, 31, v4
	v_lshrrev_b32_e32 v6, 3, v4
	v_and_b32_e32 v10, 7, v0
	v_lshrrev_b32_e32 v4, 5, v4
	v_lshlrev_b32_e32 v8, 3, v7
	s_waitcnt lgkmcnt(0)
	s_add_u32 s6, s6, s0
	v_lshl_or_b32 v18, v4, 8, v8
	v_lshlrev_b32_e32 v8, 3, v10
	s_addc_u32 s7, s7, s1
	v_add_u32_e32 v2, s3, v6
	v_mov_b32_e32 v11, 0
	v_lshl_or_b32 v6, v6, 6, v8
	s_add_u32 s0, s14, s0
	v_mov_b32_e32 v5, v11
	v_add_u32_e32 v19, 0x800, v6
	v_add_u32_e32 v6, s2, v7
	s_addc_u32 s1, s15, s1
	v_mad_i64_i32 v[4:5], s[14:15], s8, v6, v[4:5]
	s_load_dwordx2 s[6:7], s[6:7], 0x0
	v_mad_i64_i32 v[2:3], s[14:15], s16, v2, v[10:11]
	s_load_dwordx2 s[0:1], s[0:1], 0x0
	v_lshlrev_b64 v[4:5], 3, v[4:5]
	v_mov_b32_e32 v6, 0x800
	v_lshl_add_u32 v21, v1, 6, v6
	s_waitcnt lgkmcnt(0)
	v_mov_b32_e32 v7, s7
	v_add_co_u32_e32 v6, vcc, s6, v4
	v_lshlrev_b64 v[2:3], 3, v[2:3]
	v_addc_co_u32_e32 v7, vcc, v7, v5, vcc
	v_mov_b32_e32 v4, s1
	v_add_co_u32_e32 v8, vcc, s0, v2
	v_lshlrev_b32_e32 v20, 3, v0
	v_addc_co_u32_e32 v9, vcc, v4, v3, vcc
	v_mov_b32_e32 v10, v11
	v_mov_b32_e32 v13, v11
	;; [unrolled: 1-line block ×7, first 2 shown]
.LBB630_2:                              ; =>This Inner Loop Header: Depth=1
	flat_load_dwordx2 v[2:3], v[6:7]
	v_add_co_u32_e32 v6, vcc, 64, v6
	v_addc_co_u32_e32 v7, vcc, 0, v7, vcc
	s_add_i32 s9, s9, 8
	s_cmp_ge_i32 s9, s13
	s_waitcnt vmcnt(0) lgkmcnt(0)
	ds_write_b64 v18, v[2:3]
	flat_load_dwordx2 v[2:3], v[8:9]
	v_add_co_u32_e32 v8, vcc, 64, v8
	v_addc_co_u32_e32 v9, vcc, 0, v9, vcc
	s_waitcnt vmcnt(0) lgkmcnt(0)
	ds_write_b64 v19, v[2:3]
	s_waitcnt lgkmcnt(0)
	s_barrier
	ds_read_b128 v[22:25], v21
	ds_read_b128 v[26:29], v21 offset:16
	ds_read_b128 v[30:33], v21 offset:32
	;; [unrolled: 1-line block ×3, first 2 shown]
	ds_read2_b64 v[34:37], v20 offset1:16
	s_waitcnt lgkmcnt(0)
	v_mul_f32_e32 v38, v23, v35
	v_mul_f32_e32 v39, v22, v35
	v_fma_f32 v38, v22, v34, -v38
	v_fmac_f32_e32 v39, v23, v34
	v_add_f32_e32 v38, v16, v38
	v_add_f32_e32 v39, v17, v39
	v_mul_f32_e32 v16, v23, v37
	v_mul_f32_e32 v17, v22, v37
	v_fma_f32 v16, v22, v36, -v16
	v_fmac_f32_e32 v17, v23, v36
	v_add_f32_e32 v22, v14, v16
	v_add_f32_e32 v23, v15, v17
	ds_read_b128 v[14:17], v21 offset:1024
	s_waitcnt lgkmcnt(0)
	v_mul_f32_e32 v40, v15, v35
	v_mul_f32_e32 v35, v14, v35
	v_fma_f32 v40, v14, v34, -v40
	v_fmac_f32_e32 v35, v15, v34
	v_add_f32_e32 v34, v12, v40
	v_add_f32_e32 v35, v13, v35
	v_mul_f32_e32 v12, v15, v37
	v_mul_f32_e32 v13, v14, v37
	v_fma_f32 v12, v14, v36, -v12
	v_fmac_f32_e32 v13, v15, v36
	v_add_f32_e32 v14, v10, v12
	v_add_f32_e32 v15, v11, v13
	ds_read2_b64 v[10:13], v20 offset0:32 offset1:48
	s_waitcnt lgkmcnt(0)
	v_mul_f32_e32 v36, v25, v11
	v_fma_f32 v36, v24, v10, -v36
	v_add_f32_e32 v36, v38, v36
	v_mul_f32_e32 v38, v25, v13
	v_mul_f32_e32 v37, v24, v11
	v_fma_f32 v38, v24, v12, -v38
	v_mul_f32_e32 v24, v24, v13
	v_fmac_f32_e32 v24, v25, v12
	v_add_f32_e32 v23, v23, v24
	v_mul_f32_e32 v24, v17, v11
	v_mul_f32_e32 v11, v16, v11
	v_fmac_f32_e32 v11, v17, v10
	v_fmac_f32_e32 v37, v25, v10
	v_fma_f32 v24, v16, v10, -v24
	v_add_f32_e32 v25, v35, v11
	v_mul_f32_e32 v10, v17, v13
	v_mul_f32_e32 v11, v16, v13
	v_fma_f32 v10, v16, v12, -v10
	v_fmac_f32_e32 v11, v17, v12
	v_add_f32_e32 v24, v34, v24
	v_add_f32_e32 v34, v14, v10
	v_add_f32_e32 v35, v15, v11
	ds_read2_b64 v[10:13], v20 offset0:64 offset1:80
	v_add_f32_e32 v37, v39, v37
	v_add_f32_e32 v22, v22, v38
	s_waitcnt lgkmcnt(0)
	v_mul_f32_e32 v14, v27, v11
	v_mul_f32_e32 v15, v26, v11
	v_fma_f32 v14, v26, v10, -v14
	v_fmac_f32_e32 v15, v27, v10
	v_add_f32_e32 v36, v36, v14
	v_add_f32_e32 v37, v37, v15
	v_mul_f32_e32 v14, v27, v13
	v_mul_f32_e32 v15, v26, v13
	v_fma_f32 v14, v26, v12, -v14
	v_fmac_f32_e32 v15, v27, v12
	v_add_f32_e32 v22, v22, v14
	v_add_f32_e32 v23, v23, v15
	ds_read_b128 v[14:17], v21 offset:1040
	s_waitcnt lgkmcnt(0)
	v_mul_f32_e32 v26, v15, v11
	v_mul_f32_e32 v11, v14, v11
	v_fmac_f32_e32 v11, v15, v10
	v_fma_f32 v26, v14, v10, -v26
	v_add_f32_e32 v25, v25, v11
	v_mul_f32_e32 v10, v15, v13
	v_mul_f32_e32 v11, v14, v13
	v_fma_f32 v10, v14, v12, -v10
	v_fmac_f32_e32 v11, v15, v12
	v_add_f32_e32 v14, v34, v10
	v_add_f32_e32 v15, v35, v11
	ds_read2_b64 v[10:13], v20 offset0:96 offset1:112
	v_add_f32_e32 v24, v24, v26
	s_waitcnt lgkmcnt(0)
	v_mul_f32_e32 v26, v29, v11
	v_mul_f32_e32 v34, v29, v13
	v_fma_f32 v26, v28, v10, -v26
	v_mul_f32_e32 v27, v28, v11
	v_fma_f32 v34, v28, v12, -v34
	v_mul_f32_e32 v28, v28, v13
	v_fmac_f32_e32 v28, v29, v12
	v_add_f32_e32 v23, v23, v28
	v_mul_f32_e32 v28, v17, v11
	v_mul_f32_e32 v11, v16, v11
	v_fmac_f32_e32 v11, v17, v10
	v_fmac_f32_e32 v27, v29, v10
	v_fma_f32 v28, v16, v10, -v28
	v_add_f32_e32 v25, v25, v11
	v_mul_f32_e32 v10, v17, v13
	v_mul_f32_e32 v11, v16, v13
	v_fma_f32 v10, v16, v12, -v10
	v_fmac_f32_e32 v11, v17, v12
	v_add_f32_e32 v24, v24, v28
	v_add_f32_e32 v28, v14, v10
	;; [unrolled: 1-line block ×3, first 2 shown]
	ds_read2_b64 v[10:13], v20 offset0:128 offset1:144
	v_add_f32_e32 v26, v36, v26
	v_add_f32_e32 v27, v37, v27
	v_add_f32_e32 v22, v22, v34
	s_waitcnt lgkmcnt(0)
	v_mul_f32_e32 v14, v31, v11
	v_mul_f32_e32 v15, v30, v11
	v_fma_f32 v14, v30, v10, -v14
	v_fmac_f32_e32 v15, v31, v10
	v_add_f32_e32 v26, v26, v14
	v_add_f32_e32 v27, v27, v15
	v_mul_f32_e32 v14, v31, v13
	v_mul_f32_e32 v15, v30, v13
	v_fma_f32 v14, v30, v12, -v14
	v_fmac_f32_e32 v15, v31, v12
	v_add_f32_e32 v22, v22, v14
	v_add_f32_e32 v23, v23, v15
	ds_read_b128 v[14:17], v21 offset:1056
	s_waitcnt lgkmcnt(0)
	v_mul_f32_e32 v30, v15, v11
	v_mul_f32_e32 v11, v14, v11
	v_fmac_f32_e32 v11, v15, v10
	v_fma_f32 v30, v14, v10, -v30
	v_add_f32_e32 v25, v25, v11
	v_mul_f32_e32 v10, v15, v13
	v_mul_f32_e32 v11, v14, v13
	v_fma_f32 v10, v14, v12, -v10
	v_fmac_f32_e32 v11, v15, v12
	v_add_f32_e32 v14, v28, v10
	v_add_f32_e32 v15, v29, v11
	ds_read2_b64 v[10:13], v20 offset0:160 offset1:176
	v_add_f32_e32 v24, v24, v30
	s_waitcnt lgkmcnt(0)
	v_mul_f32_e32 v28, v33, v11
	v_fma_f32 v28, v32, v10, -v28
	v_mul_f32_e32 v29, v32, v11
	v_add_f32_e32 v26, v26, v28
	v_mul_f32_e32 v28, v33, v13
	v_fmac_f32_e32 v29, v33, v10
	v_fma_f32 v28, v32, v12, -v28
	v_add_f32_e32 v27, v27, v29
	v_mul_f32_e32 v29, v32, v13
	v_add_f32_e32 v22, v22, v28
	v_mul_f32_e32 v28, v17, v11
	v_mul_f32_e32 v11, v16, v11
	v_fmac_f32_e32 v29, v33, v12
	v_fmac_f32_e32 v11, v17, v10
	v_add_f32_e32 v23, v23, v29
	v_fma_f32 v28, v16, v10, -v28
	v_add_f32_e32 v29, v25, v11
	v_mul_f32_e32 v10, v17, v13
	v_mul_f32_e32 v11, v16, v13
	v_fma_f32 v10, v16, v12, -v10
	v_fmac_f32_e32 v11, v17, v12
	v_add_f32_e32 v14, v14, v10
	v_add_f32_e32 v15, v15, v11
	ds_read2_b64 v[10:13], v20 offset0:192 offset1:208
	v_add_f32_e32 v28, v24, v28
	s_waitcnt lgkmcnt(0)
	v_mul_f32_e32 v16, v3, v11
	v_mul_f32_e32 v24, v3, v13
	v_fma_f32 v16, v2, v10, -v16
	v_mul_f32_e32 v17, v2, v11
	v_fma_f32 v24, v2, v12, -v24
	v_mul_f32_e32 v2, v2, v13
	v_fmac_f32_e32 v2, v3, v12
	v_fmac_f32_e32 v17, v3, v10
	v_add_f32_e32 v3, v22, v24
	v_add_f32_e32 v2, v23, v2
	ds_read_b128 v[22:25], v21 offset:1072
	v_add_f32_e32 v16, v26, v16
	v_add_f32_e32 v17, v27, v17
	s_waitcnt lgkmcnt(0)
	v_mul_f32_e32 v26, v23, v11
	v_fma_f32 v26, v22, v10, -v26
	v_mul_f32_e32 v11, v22, v11
	v_fmac_f32_e32 v11, v23, v10
	v_add_f32_e32 v10, v28, v26
	v_mul_f32_e32 v26, v23, v13
	v_fma_f32 v26, v22, v12, -v26
	v_add_f32_e32 v11, v29, v11
	v_mul_f32_e32 v13, v22, v13
	v_add_f32_e32 v22, v14, v26
	ds_read2_b64 v[26:29], v20 offset0:224 offset1:240
	v_fmac_f32_e32 v13, v23, v12
	v_add_f32_e32 v23, v15, v13
	s_waitcnt lgkmcnt(0)
	s_barrier
	v_mul_f32_e32 v12, v5, v27
	v_fma_f32 v12, v4, v26, -v12
	v_add_f32_e32 v16, v16, v12
	v_mul_f32_e32 v12, v5, v29
	v_mul_f32_e32 v13, v4, v27
	v_fma_f32 v12, v4, v28, -v12
	v_mul_f32_e32 v4, v4, v29
	v_fmac_f32_e32 v4, v5, v28
	v_add_f32_e32 v14, v3, v12
	v_add_f32_e32 v15, v2, v4
	v_mul_f32_e32 v2, v25, v27
	v_mul_f32_e32 v3, v24, v27
	v_fmac_f32_e32 v13, v5, v26
	v_fma_f32 v2, v24, v26, -v2
	v_fmac_f32_e32 v3, v25, v26
	v_add_f32_e32 v17, v17, v13
	v_add_f32_e32 v12, v10, v2
	;; [unrolled: 1-line block ×3, first 2 shown]
	v_mul_f32_e32 v2, v25, v29
	v_mul_f32_e32 v3, v24, v29
	v_fma_f32 v2, v24, v28, -v2
	v_fmac_f32_e32 v3, v25, v28
	v_add_f32_e32 v10, v22, v2
	v_add_f32_e32 v11, v23, v3
	s_cbranch_scc0 .LBB630_2
	s_branch .LBB630_4
.LBB630_3:
	v_mov_b32_e32 v16, 0
	v_mov_b32_e32 v17, 0
	;; [unrolled: 1-line block ×8, first 2 shown]
.LBB630_4:
	s_load_dword s6, s[4:5], 0x40
	v_add_u32_e32 v4, s3, v1
	s_waitcnt lgkmcnt(0)
	v_mov_b32_e32 v3, s11
	v_add_u32_e32 v0, s2, v0
	v_mad_i64_i32 v[1:2], s[0:1], v4, s6, 0
	v_cmp_le_i32_e64 s[0:1], v4, v0
	v_lshlrev_b64 v[1:2], 3, v[1:2]
	v_add_co_u32_e32 v5, vcc, s10, v1
	v_addc_co_u32_e32 v6, vcc, v3, v2, vcc
	v_cmp_gt_i32_e32 vcc, s12, v0
	s_and_b64 s[0:1], s[0:1], vcc
	s_and_saveexec_b64 s[2:3], s[0:1]
	s_cbranch_execz .LBB630_6
; %bb.5:
	v_ashrrev_i32_e32 v1, 31, v0
	v_lshlrev_b64 v[1:2], 3, v[0:1]
	v_add_co_u32_e64 v1, s[0:1], v5, v1
	v_addc_co_u32_e64 v2, s[0:1], v6, v2, s[0:1]
	flat_store_dwordx2 v[1:2], v[16:17]
.LBB630_6:
	s_or_b64 exec, exec, s[2:3]
	v_add_u32_e32 v2, 16, v0
	v_cmp_le_i32_e64 s[2:3], v4, v2
	v_cmp_gt_i32_e64 s[0:1], s12, v2
	s_and_b64 s[2:3], s[2:3], s[0:1]
	s_and_saveexec_b64 s[4:5], s[2:3]
	s_cbranch_execz .LBB630_8
; %bb.7:
	v_ashrrev_i32_e32 v3, 31, v2
	v_lshlrev_b64 v[7:8], 3, v[2:3]
	v_add_co_u32_e64 v5, s[2:3], v5, v7
	v_addc_co_u32_e64 v6, s[2:3], v6, v8, s[2:3]
	flat_store_dwordx2 v[5:6], v[14:15]
.LBB630_8:
	s_or_b64 exec, exec, s[4:5]
	v_add_u32_e32 v3, 16, v4
	v_mad_i64_i32 v[4:5], s[2:3], v3, s6, 0
	v_mov_b32_e32 v1, s11
	v_lshlrev_b64 v[4:5], 3, v[4:5]
	v_add_co_u32_e64 v4, s[2:3], s10, v4
	v_addc_co_u32_e64 v5, s[2:3], v1, v5, s[2:3]
	v_cmp_le_i32_e64 s[2:3], v3, v0
	s_and_b64 s[4:5], s[2:3], vcc
	s_and_saveexec_b64 s[2:3], s[4:5]
	s_cbranch_execz .LBB630_10
; %bb.9:
	v_ashrrev_i32_e32 v1, 31, v0
	v_lshlrev_b64 v[0:1], 3, v[0:1]
	v_add_co_u32_e32 v0, vcc, v4, v0
	v_addc_co_u32_e32 v1, vcc, v5, v1, vcc
	flat_store_dwordx2 v[0:1], v[12:13]
.LBB630_10:
	s_or_b64 exec, exec, s[2:3]
	v_cmp_le_i32_e32 vcc, v3, v2
	s_and_b64 s[0:1], vcc, s[0:1]
	s_and_saveexec_b64 s[2:3], s[0:1]
	s_cbranch_execz .LBB630_12
; %bb.11:
	v_ashrrev_i32_e32 v3, 31, v2
	v_lshlrev_b64 v[0:1], 3, v[2:3]
	v_add_co_u32_e32 v0, vcc, v4, v0
	v_addc_co_u32_e32 v1, vcc, v5, v1, vcc
	flat_store_dwordx2 v[0:1], v[10:11]
.LBB630_12:
	s_endpgm
	.section	.rodata,"a",@progbits
	.p2align	6, 0x0
	.amdhsa_kernel _ZL37rocblas_syrkx_herkx_restricted_kernelIi19rocblas_complex_numIfELi16ELi32ELi8ELi1ELi0ELb0ELc84ELc76EKPKS1_KPS1_EviT_PT9_S7_lS9_S7_lPT10_S7_li
		.amdhsa_group_segment_fixed_size 4096
		.amdhsa_private_segment_fixed_size 0
		.amdhsa_kernarg_size 84
		.amdhsa_user_sgpr_count 6
		.amdhsa_user_sgpr_private_segment_buffer 1
		.amdhsa_user_sgpr_dispatch_ptr 0
		.amdhsa_user_sgpr_queue_ptr 0
		.amdhsa_user_sgpr_kernarg_segment_ptr 1
		.amdhsa_user_sgpr_dispatch_id 0
		.amdhsa_user_sgpr_flat_scratch_init 0
		.amdhsa_user_sgpr_private_segment_size 0
		.amdhsa_uses_dynamic_stack 0
		.amdhsa_system_sgpr_private_segment_wavefront_offset 0
		.amdhsa_system_sgpr_workgroup_id_x 1
		.amdhsa_system_sgpr_workgroup_id_y 1
		.amdhsa_system_sgpr_workgroup_id_z 1
		.amdhsa_system_sgpr_workgroup_info 0
		.amdhsa_system_vgpr_workitem_id 1
		.amdhsa_next_free_vgpr 41
		.amdhsa_next_free_sgpr 17
		.amdhsa_reserve_vcc 1
		.amdhsa_reserve_flat_scratch 0
		.amdhsa_float_round_mode_32 0
		.amdhsa_float_round_mode_16_64 0
		.amdhsa_float_denorm_mode_32 3
		.amdhsa_float_denorm_mode_16_64 3
		.amdhsa_dx10_clamp 1
		.amdhsa_ieee_mode 1
		.amdhsa_fp16_overflow 0
		.amdhsa_exception_fp_ieee_invalid_op 0
		.amdhsa_exception_fp_denorm_src 0
		.amdhsa_exception_fp_ieee_div_zero 0
		.amdhsa_exception_fp_ieee_overflow 0
		.amdhsa_exception_fp_ieee_underflow 0
		.amdhsa_exception_fp_ieee_inexact 0
		.amdhsa_exception_int_div_zero 0
	.end_amdhsa_kernel
	.section	.text._ZL37rocblas_syrkx_herkx_restricted_kernelIi19rocblas_complex_numIfELi16ELi32ELi8ELi1ELi0ELb0ELc84ELc76EKPKS1_KPS1_EviT_PT9_S7_lS9_S7_lPT10_S7_li,"axG",@progbits,_ZL37rocblas_syrkx_herkx_restricted_kernelIi19rocblas_complex_numIfELi16ELi32ELi8ELi1ELi0ELb0ELc84ELc76EKPKS1_KPS1_EviT_PT9_S7_lS9_S7_lPT10_S7_li,comdat
.Lfunc_end630:
	.size	_ZL37rocblas_syrkx_herkx_restricted_kernelIi19rocblas_complex_numIfELi16ELi32ELi8ELi1ELi0ELb0ELc84ELc76EKPKS1_KPS1_EviT_PT9_S7_lS9_S7_lPT10_S7_li, .Lfunc_end630-_ZL37rocblas_syrkx_herkx_restricted_kernelIi19rocblas_complex_numIfELi16ELi32ELi8ELi1ELi0ELb0ELc84ELc76EKPKS1_KPS1_EviT_PT9_S7_lS9_S7_lPT10_S7_li
                                        ; -- End function
	.set _ZL37rocblas_syrkx_herkx_restricted_kernelIi19rocblas_complex_numIfELi16ELi32ELi8ELi1ELi0ELb0ELc84ELc76EKPKS1_KPS1_EviT_PT9_S7_lS9_S7_lPT10_S7_li.num_vgpr, 41
	.set _ZL37rocblas_syrkx_herkx_restricted_kernelIi19rocblas_complex_numIfELi16ELi32ELi8ELi1ELi0ELb0ELc84ELc76EKPKS1_KPS1_EviT_PT9_S7_lS9_S7_lPT10_S7_li.num_agpr, 0
	.set _ZL37rocblas_syrkx_herkx_restricted_kernelIi19rocblas_complex_numIfELi16ELi32ELi8ELi1ELi0ELb0ELc84ELc76EKPKS1_KPS1_EviT_PT9_S7_lS9_S7_lPT10_S7_li.numbered_sgpr, 17
	.set _ZL37rocblas_syrkx_herkx_restricted_kernelIi19rocblas_complex_numIfELi16ELi32ELi8ELi1ELi0ELb0ELc84ELc76EKPKS1_KPS1_EviT_PT9_S7_lS9_S7_lPT10_S7_li.num_named_barrier, 0
	.set _ZL37rocblas_syrkx_herkx_restricted_kernelIi19rocblas_complex_numIfELi16ELi32ELi8ELi1ELi0ELb0ELc84ELc76EKPKS1_KPS1_EviT_PT9_S7_lS9_S7_lPT10_S7_li.private_seg_size, 0
	.set _ZL37rocblas_syrkx_herkx_restricted_kernelIi19rocblas_complex_numIfELi16ELi32ELi8ELi1ELi0ELb0ELc84ELc76EKPKS1_KPS1_EviT_PT9_S7_lS9_S7_lPT10_S7_li.uses_vcc, 1
	.set _ZL37rocblas_syrkx_herkx_restricted_kernelIi19rocblas_complex_numIfELi16ELi32ELi8ELi1ELi0ELb0ELc84ELc76EKPKS1_KPS1_EviT_PT9_S7_lS9_S7_lPT10_S7_li.uses_flat_scratch, 0
	.set _ZL37rocblas_syrkx_herkx_restricted_kernelIi19rocblas_complex_numIfELi16ELi32ELi8ELi1ELi0ELb0ELc84ELc76EKPKS1_KPS1_EviT_PT9_S7_lS9_S7_lPT10_S7_li.has_dyn_sized_stack, 0
	.set _ZL37rocblas_syrkx_herkx_restricted_kernelIi19rocblas_complex_numIfELi16ELi32ELi8ELi1ELi0ELb0ELc84ELc76EKPKS1_KPS1_EviT_PT9_S7_lS9_S7_lPT10_S7_li.has_recursion, 0
	.set _ZL37rocblas_syrkx_herkx_restricted_kernelIi19rocblas_complex_numIfELi16ELi32ELi8ELi1ELi0ELb0ELc84ELc76EKPKS1_KPS1_EviT_PT9_S7_lS9_S7_lPT10_S7_li.has_indirect_call, 0
	.section	.AMDGPU.csdata,"",@progbits
; Kernel info:
; codeLenInByte = 1820
; TotalNumSgprs: 21
; NumVgprs: 41
; ScratchSize: 0
; MemoryBound: 0
; FloatMode: 240
; IeeeMode: 1
; LDSByteSize: 4096 bytes/workgroup (compile time only)
; SGPRBlocks: 2
; VGPRBlocks: 10
; NumSGPRsForWavesPerEU: 21
; NumVGPRsForWavesPerEU: 41
; Occupancy: 5
; WaveLimiterHint : 1
; COMPUTE_PGM_RSRC2:SCRATCH_EN: 0
; COMPUTE_PGM_RSRC2:USER_SGPR: 6
; COMPUTE_PGM_RSRC2:TRAP_HANDLER: 0
; COMPUTE_PGM_RSRC2:TGID_X_EN: 1
; COMPUTE_PGM_RSRC2:TGID_Y_EN: 1
; COMPUTE_PGM_RSRC2:TGID_Z_EN: 1
; COMPUTE_PGM_RSRC2:TIDIG_COMP_CNT: 1
	.section	.text._ZL37rocblas_syrkx_herkx_restricted_kernelIi19rocblas_complex_numIfELi16ELi32ELi8ELi1ELi0ELb0ELc67ELc76EKPKS1_KPS1_EviT_PT9_S7_lS9_S7_lPT10_S7_li,"axG",@progbits,_ZL37rocblas_syrkx_herkx_restricted_kernelIi19rocblas_complex_numIfELi16ELi32ELi8ELi1ELi0ELb0ELc67ELc76EKPKS1_KPS1_EviT_PT9_S7_lS9_S7_lPT10_S7_li,comdat
	.globl	_ZL37rocblas_syrkx_herkx_restricted_kernelIi19rocblas_complex_numIfELi16ELi32ELi8ELi1ELi0ELb0ELc67ELc76EKPKS1_KPS1_EviT_PT9_S7_lS9_S7_lPT10_S7_li ; -- Begin function _ZL37rocblas_syrkx_herkx_restricted_kernelIi19rocblas_complex_numIfELi16ELi32ELi8ELi1ELi0ELb0ELc67ELc76EKPKS1_KPS1_EviT_PT9_S7_lS9_S7_lPT10_S7_li
	.p2align	8
	.type	_ZL37rocblas_syrkx_herkx_restricted_kernelIi19rocblas_complex_numIfELi16ELi32ELi8ELi1ELi0ELb0ELc67ELc76EKPKS1_KPS1_EviT_PT9_S7_lS9_S7_lPT10_S7_li,@function
_ZL37rocblas_syrkx_herkx_restricted_kernelIi19rocblas_complex_numIfELi16ELi32ELi8ELi1ELi0ELb0ELc67ELc76EKPKS1_KPS1_EviT_PT9_S7_lS9_S7_lPT10_S7_li: ; @_ZL37rocblas_syrkx_herkx_restricted_kernelIi19rocblas_complex_numIfELi16ELi32ELi8ELi1ELi0ELb0ELc67ELc76EKPKS1_KPS1_EviT_PT9_S7_lS9_S7_lPT10_S7_li
; %bb.0:
	s_load_dwordx2 s[2:3], s[4:5], 0x38
	s_load_dwordx2 s[12:13], s[4:5], 0x0
	s_mov_b32 s9, 0
	s_lshl_b64 s[0:1], s[8:9], 3
	s_waitcnt lgkmcnt(0)
	s_add_u32 s2, s2, s0
	s_addc_u32 s3, s3, s1
	s_load_dwordx2 s[10:11], s[2:3], 0x0
	s_lshl_b32 s2, s6, 5
	s_lshl_b32 s3, s7, 5
	s_cmp_lt_i32 s13, 1
	s_cbranch_scc1 .LBB631_3
; %bb.1:
	v_lshl_add_u32 v4, v1, 4, v0
	s_load_dwordx2 s[6:7], s[4:5], 0x8
	s_load_dword s8, s[4:5], 0x10
	s_load_dwordx2 s[14:15], s[4:5], 0x20
	s_load_dword s16, s[4:5], 0x28
	v_and_b32_e32 v7, 31, v4
	v_lshrrev_b32_e32 v6, 3, v4
	v_and_b32_e32 v10, 7, v0
	v_lshrrev_b32_e32 v4, 5, v4
	v_lshlrev_b32_e32 v8, 3, v7
	s_waitcnt lgkmcnt(0)
	s_add_u32 s6, s6, s0
	v_lshl_or_b32 v18, v4, 8, v8
	v_lshlrev_b32_e32 v8, 3, v10
	s_addc_u32 s7, s7, s1
	v_add_u32_e32 v2, s3, v6
	v_mov_b32_e32 v11, 0
	v_lshl_or_b32 v6, v6, 6, v8
	s_add_u32 s0, s14, s0
	v_mov_b32_e32 v5, v11
	v_add_u32_e32 v19, 0x800, v6
	v_add_u32_e32 v6, s2, v7
	s_addc_u32 s1, s15, s1
	v_mad_i64_i32 v[4:5], s[14:15], s8, v6, v[4:5]
	s_load_dwordx2 s[6:7], s[6:7], 0x0
	v_mad_i64_i32 v[2:3], s[14:15], s16, v2, v[10:11]
	s_load_dwordx2 s[0:1], s[0:1], 0x0
	v_lshlrev_b64 v[4:5], 3, v[4:5]
	v_mov_b32_e32 v6, 0x800
	v_lshl_add_u32 v21, v1, 6, v6
	s_waitcnt lgkmcnt(0)
	v_mov_b32_e32 v7, s7
	v_add_co_u32_e32 v6, vcc, s6, v4
	v_lshlrev_b64 v[2:3], 3, v[2:3]
	v_addc_co_u32_e32 v7, vcc, v7, v5, vcc
	v_mov_b32_e32 v4, s1
	v_add_co_u32_e32 v8, vcc, s0, v2
	v_lshlrev_b32_e32 v20, 3, v0
	v_addc_co_u32_e32 v9, vcc, v4, v3, vcc
	v_mov_b32_e32 v10, v11
	v_mov_b32_e32 v13, v11
	;; [unrolled: 1-line block ×7, first 2 shown]
.LBB631_2:                              ; =>This Inner Loop Header: Depth=1
	flat_load_dwordx2 v[2:3], v[6:7]
	v_add_co_u32_e32 v6, vcc, 64, v6
	v_addc_co_u32_e32 v7, vcc, 0, v7, vcc
	s_add_i32 s9, s9, 8
	s_cmp_ge_i32 s9, s13
	s_waitcnt vmcnt(0) lgkmcnt(0)
	ds_write_b64 v18, v[2:3]
	flat_load_dwordx2 v[2:3], v[8:9]
	v_add_co_u32_e32 v8, vcc, 64, v8
	v_addc_co_u32_e32 v9, vcc, 0, v9, vcc
	s_waitcnt vmcnt(0) lgkmcnt(0)
	ds_write_b64 v19, v[2:3]
	s_waitcnt lgkmcnt(0)
	s_barrier
	ds_read_b128 v[22:25], v21
	ds_read_b128 v[26:29], v21 offset:16
	ds_read_b128 v[30:33], v21 offset:32
	;; [unrolled: 1-line block ×3, first 2 shown]
	ds_read2_b64 v[34:37], v20 offset1:16
	s_waitcnt lgkmcnt(0)
	v_mul_f32_e32 v38, v23, v35
	v_mul_f32_e32 v39, v22, v35
	v_fma_f32 v38, v22, v34, -v38
	v_fmac_f32_e32 v39, v23, v34
	v_add_f32_e32 v38, v16, v38
	v_add_f32_e32 v39, v17, v39
	v_mul_f32_e32 v16, v23, v37
	v_mul_f32_e32 v17, v22, v37
	v_fma_f32 v16, v22, v36, -v16
	v_fmac_f32_e32 v17, v23, v36
	v_add_f32_e32 v22, v14, v16
	v_add_f32_e32 v23, v15, v17
	ds_read_b128 v[14:17], v21 offset:1024
	s_waitcnt lgkmcnt(0)
	v_mul_f32_e32 v40, v15, v35
	v_mul_f32_e32 v35, v14, v35
	v_fma_f32 v40, v14, v34, -v40
	v_fmac_f32_e32 v35, v15, v34
	v_add_f32_e32 v34, v12, v40
	v_add_f32_e32 v35, v13, v35
	v_mul_f32_e32 v12, v15, v37
	v_mul_f32_e32 v13, v14, v37
	v_fma_f32 v12, v14, v36, -v12
	v_fmac_f32_e32 v13, v15, v36
	v_add_f32_e32 v14, v10, v12
	v_add_f32_e32 v15, v11, v13
	ds_read2_b64 v[10:13], v20 offset0:32 offset1:48
	s_waitcnt lgkmcnt(0)
	v_mul_f32_e32 v36, v25, v11
	v_fma_f32 v36, v24, v10, -v36
	v_add_f32_e32 v36, v38, v36
	v_mul_f32_e32 v38, v25, v13
	v_mul_f32_e32 v37, v24, v11
	v_fma_f32 v38, v24, v12, -v38
	v_mul_f32_e32 v24, v24, v13
	v_fmac_f32_e32 v24, v25, v12
	v_add_f32_e32 v23, v23, v24
	v_mul_f32_e32 v24, v17, v11
	v_mul_f32_e32 v11, v16, v11
	v_fmac_f32_e32 v11, v17, v10
	v_fmac_f32_e32 v37, v25, v10
	v_fma_f32 v24, v16, v10, -v24
	v_add_f32_e32 v25, v35, v11
	v_mul_f32_e32 v10, v17, v13
	v_mul_f32_e32 v11, v16, v13
	v_fma_f32 v10, v16, v12, -v10
	v_fmac_f32_e32 v11, v17, v12
	v_add_f32_e32 v24, v34, v24
	v_add_f32_e32 v34, v14, v10
	;; [unrolled: 1-line block ×3, first 2 shown]
	ds_read2_b64 v[10:13], v20 offset0:64 offset1:80
	v_add_f32_e32 v37, v39, v37
	v_add_f32_e32 v22, v22, v38
	s_waitcnt lgkmcnt(0)
	v_mul_f32_e32 v14, v27, v11
	v_mul_f32_e32 v15, v26, v11
	v_fma_f32 v14, v26, v10, -v14
	v_fmac_f32_e32 v15, v27, v10
	v_add_f32_e32 v36, v36, v14
	v_add_f32_e32 v37, v37, v15
	v_mul_f32_e32 v14, v27, v13
	v_mul_f32_e32 v15, v26, v13
	v_fma_f32 v14, v26, v12, -v14
	v_fmac_f32_e32 v15, v27, v12
	v_add_f32_e32 v22, v22, v14
	v_add_f32_e32 v23, v23, v15
	ds_read_b128 v[14:17], v21 offset:1040
	s_waitcnt lgkmcnt(0)
	v_mul_f32_e32 v26, v15, v11
	v_mul_f32_e32 v11, v14, v11
	v_fmac_f32_e32 v11, v15, v10
	v_fma_f32 v26, v14, v10, -v26
	v_add_f32_e32 v25, v25, v11
	v_mul_f32_e32 v10, v15, v13
	v_mul_f32_e32 v11, v14, v13
	v_fma_f32 v10, v14, v12, -v10
	v_fmac_f32_e32 v11, v15, v12
	v_add_f32_e32 v14, v34, v10
	v_add_f32_e32 v15, v35, v11
	ds_read2_b64 v[10:13], v20 offset0:96 offset1:112
	v_add_f32_e32 v24, v24, v26
	s_waitcnt lgkmcnt(0)
	v_mul_f32_e32 v26, v29, v11
	v_mul_f32_e32 v34, v29, v13
	v_fma_f32 v26, v28, v10, -v26
	v_mul_f32_e32 v27, v28, v11
	v_fma_f32 v34, v28, v12, -v34
	v_mul_f32_e32 v28, v28, v13
	v_fmac_f32_e32 v28, v29, v12
	v_add_f32_e32 v23, v23, v28
	v_mul_f32_e32 v28, v17, v11
	v_mul_f32_e32 v11, v16, v11
	v_fmac_f32_e32 v11, v17, v10
	v_fmac_f32_e32 v27, v29, v10
	v_fma_f32 v28, v16, v10, -v28
	v_add_f32_e32 v25, v25, v11
	v_mul_f32_e32 v10, v17, v13
	v_mul_f32_e32 v11, v16, v13
	v_fma_f32 v10, v16, v12, -v10
	v_fmac_f32_e32 v11, v17, v12
	v_add_f32_e32 v24, v24, v28
	v_add_f32_e32 v28, v14, v10
	;; [unrolled: 1-line block ×3, first 2 shown]
	ds_read2_b64 v[10:13], v20 offset0:128 offset1:144
	v_add_f32_e32 v26, v36, v26
	v_add_f32_e32 v27, v37, v27
	;; [unrolled: 1-line block ×3, first 2 shown]
	s_waitcnt lgkmcnt(0)
	v_mul_f32_e32 v14, v31, v11
	v_mul_f32_e32 v15, v30, v11
	v_fma_f32 v14, v30, v10, -v14
	v_fmac_f32_e32 v15, v31, v10
	v_add_f32_e32 v26, v26, v14
	v_add_f32_e32 v27, v27, v15
	v_mul_f32_e32 v14, v31, v13
	v_mul_f32_e32 v15, v30, v13
	v_fma_f32 v14, v30, v12, -v14
	v_fmac_f32_e32 v15, v31, v12
	v_add_f32_e32 v22, v22, v14
	v_add_f32_e32 v23, v23, v15
	ds_read_b128 v[14:17], v21 offset:1056
	s_waitcnt lgkmcnt(0)
	v_mul_f32_e32 v30, v15, v11
	v_mul_f32_e32 v11, v14, v11
	v_fmac_f32_e32 v11, v15, v10
	v_fma_f32 v30, v14, v10, -v30
	v_add_f32_e32 v25, v25, v11
	v_mul_f32_e32 v10, v15, v13
	v_mul_f32_e32 v11, v14, v13
	v_fma_f32 v10, v14, v12, -v10
	v_fmac_f32_e32 v11, v15, v12
	v_add_f32_e32 v14, v28, v10
	v_add_f32_e32 v15, v29, v11
	ds_read2_b64 v[10:13], v20 offset0:160 offset1:176
	v_add_f32_e32 v24, v24, v30
	s_waitcnt lgkmcnt(0)
	v_mul_f32_e32 v28, v33, v11
	v_fma_f32 v28, v32, v10, -v28
	v_mul_f32_e32 v29, v32, v11
	v_add_f32_e32 v26, v26, v28
	v_mul_f32_e32 v28, v33, v13
	v_fmac_f32_e32 v29, v33, v10
	v_fma_f32 v28, v32, v12, -v28
	v_add_f32_e32 v27, v27, v29
	v_mul_f32_e32 v29, v32, v13
	v_add_f32_e32 v22, v22, v28
	v_mul_f32_e32 v28, v17, v11
	v_mul_f32_e32 v11, v16, v11
	v_fmac_f32_e32 v29, v33, v12
	v_fmac_f32_e32 v11, v17, v10
	v_add_f32_e32 v23, v23, v29
	v_fma_f32 v28, v16, v10, -v28
	v_add_f32_e32 v29, v25, v11
	v_mul_f32_e32 v10, v17, v13
	v_mul_f32_e32 v11, v16, v13
	v_fma_f32 v10, v16, v12, -v10
	v_fmac_f32_e32 v11, v17, v12
	v_add_f32_e32 v14, v14, v10
	v_add_f32_e32 v15, v15, v11
	ds_read2_b64 v[10:13], v20 offset0:192 offset1:208
	v_add_f32_e32 v28, v24, v28
	s_waitcnt lgkmcnt(0)
	v_mul_f32_e32 v16, v3, v11
	v_mul_f32_e32 v24, v3, v13
	v_fma_f32 v16, v2, v10, -v16
	v_mul_f32_e32 v17, v2, v11
	v_fma_f32 v24, v2, v12, -v24
	v_mul_f32_e32 v2, v2, v13
	v_fmac_f32_e32 v2, v3, v12
	v_fmac_f32_e32 v17, v3, v10
	v_add_f32_e32 v3, v22, v24
	v_add_f32_e32 v2, v23, v2
	ds_read_b128 v[22:25], v21 offset:1072
	v_add_f32_e32 v16, v26, v16
	v_add_f32_e32 v17, v27, v17
	s_waitcnt lgkmcnt(0)
	v_mul_f32_e32 v26, v23, v11
	v_fma_f32 v26, v22, v10, -v26
	v_mul_f32_e32 v11, v22, v11
	v_fmac_f32_e32 v11, v23, v10
	v_add_f32_e32 v10, v28, v26
	v_mul_f32_e32 v26, v23, v13
	v_fma_f32 v26, v22, v12, -v26
	v_add_f32_e32 v11, v29, v11
	v_mul_f32_e32 v13, v22, v13
	v_add_f32_e32 v22, v14, v26
	ds_read2_b64 v[26:29], v20 offset0:224 offset1:240
	v_fmac_f32_e32 v13, v23, v12
	v_add_f32_e32 v23, v15, v13
	s_waitcnt lgkmcnt(0)
	s_barrier
	v_mul_f32_e32 v12, v5, v27
	v_fma_f32 v12, v4, v26, -v12
	v_add_f32_e32 v16, v16, v12
	v_mul_f32_e32 v12, v5, v29
	v_mul_f32_e32 v13, v4, v27
	v_fma_f32 v12, v4, v28, -v12
	v_mul_f32_e32 v4, v4, v29
	v_fmac_f32_e32 v4, v5, v28
	v_add_f32_e32 v14, v3, v12
	v_add_f32_e32 v15, v2, v4
	v_mul_f32_e32 v2, v25, v27
	v_mul_f32_e32 v3, v24, v27
	v_fmac_f32_e32 v13, v5, v26
	v_fma_f32 v2, v24, v26, -v2
	v_fmac_f32_e32 v3, v25, v26
	v_add_f32_e32 v17, v17, v13
	v_add_f32_e32 v12, v10, v2
	;; [unrolled: 1-line block ×3, first 2 shown]
	v_mul_f32_e32 v2, v25, v29
	v_mul_f32_e32 v3, v24, v29
	v_fma_f32 v2, v24, v28, -v2
	v_fmac_f32_e32 v3, v25, v28
	v_add_f32_e32 v10, v22, v2
	v_add_f32_e32 v11, v23, v3
	s_cbranch_scc0 .LBB631_2
	s_branch .LBB631_4
.LBB631_3:
	v_mov_b32_e32 v16, 0
	v_mov_b32_e32 v17, 0
	;; [unrolled: 1-line block ×8, first 2 shown]
.LBB631_4:
	s_load_dword s6, s[4:5], 0x40
	v_add_u32_e32 v4, s3, v1
	s_waitcnt lgkmcnt(0)
	v_mov_b32_e32 v3, s11
	v_add_u32_e32 v0, s2, v0
	v_mad_i64_i32 v[1:2], s[0:1], v4, s6, 0
	v_cmp_le_i32_e64 s[0:1], v4, v0
	v_lshlrev_b64 v[1:2], 3, v[1:2]
	v_add_co_u32_e32 v5, vcc, s10, v1
	v_addc_co_u32_e32 v6, vcc, v3, v2, vcc
	v_cmp_gt_i32_e32 vcc, s12, v0
	s_and_b64 s[0:1], s[0:1], vcc
	s_and_saveexec_b64 s[2:3], s[0:1]
	s_cbranch_execz .LBB631_6
; %bb.5:
	v_ashrrev_i32_e32 v1, 31, v0
	v_lshlrev_b64 v[1:2], 3, v[0:1]
	v_add_co_u32_e64 v1, s[0:1], v5, v1
	v_addc_co_u32_e64 v2, s[0:1], v6, v2, s[0:1]
	flat_store_dwordx2 v[1:2], v[16:17]
.LBB631_6:
	s_or_b64 exec, exec, s[2:3]
	v_add_u32_e32 v2, 16, v0
	v_cmp_le_i32_e64 s[2:3], v4, v2
	v_cmp_gt_i32_e64 s[0:1], s12, v2
	s_and_b64 s[2:3], s[2:3], s[0:1]
	s_and_saveexec_b64 s[4:5], s[2:3]
	s_cbranch_execz .LBB631_8
; %bb.7:
	v_ashrrev_i32_e32 v3, 31, v2
	v_lshlrev_b64 v[7:8], 3, v[2:3]
	v_add_co_u32_e64 v5, s[2:3], v5, v7
	v_addc_co_u32_e64 v6, s[2:3], v6, v8, s[2:3]
	flat_store_dwordx2 v[5:6], v[14:15]
.LBB631_8:
	s_or_b64 exec, exec, s[4:5]
	v_add_u32_e32 v3, 16, v4
	v_mad_i64_i32 v[4:5], s[2:3], v3, s6, 0
	v_mov_b32_e32 v1, s11
	v_lshlrev_b64 v[4:5], 3, v[4:5]
	v_add_co_u32_e64 v4, s[2:3], s10, v4
	v_addc_co_u32_e64 v5, s[2:3], v1, v5, s[2:3]
	v_cmp_le_i32_e64 s[2:3], v3, v0
	s_and_b64 s[4:5], s[2:3], vcc
	s_and_saveexec_b64 s[2:3], s[4:5]
	s_cbranch_execz .LBB631_10
; %bb.9:
	v_ashrrev_i32_e32 v1, 31, v0
	v_lshlrev_b64 v[0:1], 3, v[0:1]
	v_add_co_u32_e32 v0, vcc, v4, v0
	v_addc_co_u32_e32 v1, vcc, v5, v1, vcc
	flat_store_dwordx2 v[0:1], v[12:13]
.LBB631_10:
	s_or_b64 exec, exec, s[2:3]
	v_cmp_le_i32_e32 vcc, v3, v2
	s_and_b64 s[0:1], vcc, s[0:1]
	s_and_saveexec_b64 s[2:3], s[0:1]
	s_cbranch_execz .LBB631_12
; %bb.11:
	v_ashrrev_i32_e32 v3, 31, v2
	v_lshlrev_b64 v[0:1], 3, v[2:3]
	v_add_co_u32_e32 v0, vcc, v4, v0
	v_addc_co_u32_e32 v1, vcc, v5, v1, vcc
	flat_store_dwordx2 v[0:1], v[10:11]
.LBB631_12:
	s_endpgm
	.section	.rodata,"a",@progbits
	.p2align	6, 0x0
	.amdhsa_kernel _ZL37rocblas_syrkx_herkx_restricted_kernelIi19rocblas_complex_numIfELi16ELi32ELi8ELi1ELi0ELb0ELc67ELc76EKPKS1_KPS1_EviT_PT9_S7_lS9_S7_lPT10_S7_li
		.amdhsa_group_segment_fixed_size 4096
		.amdhsa_private_segment_fixed_size 0
		.amdhsa_kernarg_size 84
		.amdhsa_user_sgpr_count 6
		.amdhsa_user_sgpr_private_segment_buffer 1
		.amdhsa_user_sgpr_dispatch_ptr 0
		.amdhsa_user_sgpr_queue_ptr 0
		.amdhsa_user_sgpr_kernarg_segment_ptr 1
		.amdhsa_user_sgpr_dispatch_id 0
		.amdhsa_user_sgpr_flat_scratch_init 0
		.amdhsa_user_sgpr_private_segment_size 0
		.amdhsa_uses_dynamic_stack 0
		.amdhsa_system_sgpr_private_segment_wavefront_offset 0
		.amdhsa_system_sgpr_workgroup_id_x 1
		.amdhsa_system_sgpr_workgroup_id_y 1
		.amdhsa_system_sgpr_workgroup_id_z 1
		.amdhsa_system_sgpr_workgroup_info 0
		.amdhsa_system_vgpr_workitem_id 1
		.amdhsa_next_free_vgpr 41
		.amdhsa_next_free_sgpr 17
		.amdhsa_reserve_vcc 1
		.amdhsa_reserve_flat_scratch 0
		.amdhsa_float_round_mode_32 0
		.amdhsa_float_round_mode_16_64 0
		.amdhsa_float_denorm_mode_32 3
		.amdhsa_float_denorm_mode_16_64 3
		.amdhsa_dx10_clamp 1
		.amdhsa_ieee_mode 1
		.amdhsa_fp16_overflow 0
		.amdhsa_exception_fp_ieee_invalid_op 0
		.amdhsa_exception_fp_denorm_src 0
		.amdhsa_exception_fp_ieee_div_zero 0
		.amdhsa_exception_fp_ieee_overflow 0
		.amdhsa_exception_fp_ieee_underflow 0
		.amdhsa_exception_fp_ieee_inexact 0
		.amdhsa_exception_int_div_zero 0
	.end_amdhsa_kernel
	.section	.text._ZL37rocblas_syrkx_herkx_restricted_kernelIi19rocblas_complex_numIfELi16ELi32ELi8ELi1ELi0ELb0ELc67ELc76EKPKS1_KPS1_EviT_PT9_S7_lS9_S7_lPT10_S7_li,"axG",@progbits,_ZL37rocblas_syrkx_herkx_restricted_kernelIi19rocblas_complex_numIfELi16ELi32ELi8ELi1ELi0ELb0ELc67ELc76EKPKS1_KPS1_EviT_PT9_S7_lS9_S7_lPT10_S7_li,comdat
.Lfunc_end631:
	.size	_ZL37rocblas_syrkx_herkx_restricted_kernelIi19rocblas_complex_numIfELi16ELi32ELi8ELi1ELi0ELb0ELc67ELc76EKPKS1_KPS1_EviT_PT9_S7_lS9_S7_lPT10_S7_li, .Lfunc_end631-_ZL37rocblas_syrkx_herkx_restricted_kernelIi19rocblas_complex_numIfELi16ELi32ELi8ELi1ELi0ELb0ELc67ELc76EKPKS1_KPS1_EviT_PT9_S7_lS9_S7_lPT10_S7_li
                                        ; -- End function
	.set _ZL37rocblas_syrkx_herkx_restricted_kernelIi19rocblas_complex_numIfELi16ELi32ELi8ELi1ELi0ELb0ELc67ELc76EKPKS1_KPS1_EviT_PT9_S7_lS9_S7_lPT10_S7_li.num_vgpr, 41
	.set _ZL37rocblas_syrkx_herkx_restricted_kernelIi19rocblas_complex_numIfELi16ELi32ELi8ELi1ELi0ELb0ELc67ELc76EKPKS1_KPS1_EviT_PT9_S7_lS9_S7_lPT10_S7_li.num_agpr, 0
	.set _ZL37rocblas_syrkx_herkx_restricted_kernelIi19rocblas_complex_numIfELi16ELi32ELi8ELi1ELi0ELb0ELc67ELc76EKPKS1_KPS1_EviT_PT9_S7_lS9_S7_lPT10_S7_li.numbered_sgpr, 17
	.set _ZL37rocblas_syrkx_herkx_restricted_kernelIi19rocblas_complex_numIfELi16ELi32ELi8ELi1ELi0ELb0ELc67ELc76EKPKS1_KPS1_EviT_PT9_S7_lS9_S7_lPT10_S7_li.num_named_barrier, 0
	.set _ZL37rocblas_syrkx_herkx_restricted_kernelIi19rocblas_complex_numIfELi16ELi32ELi8ELi1ELi0ELb0ELc67ELc76EKPKS1_KPS1_EviT_PT9_S7_lS9_S7_lPT10_S7_li.private_seg_size, 0
	.set _ZL37rocblas_syrkx_herkx_restricted_kernelIi19rocblas_complex_numIfELi16ELi32ELi8ELi1ELi0ELb0ELc67ELc76EKPKS1_KPS1_EviT_PT9_S7_lS9_S7_lPT10_S7_li.uses_vcc, 1
	.set _ZL37rocblas_syrkx_herkx_restricted_kernelIi19rocblas_complex_numIfELi16ELi32ELi8ELi1ELi0ELb0ELc67ELc76EKPKS1_KPS1_EviT_PT9_S7_lS9_S7_lPT10_S7_li.uses_flat_scratch, 0
	.set _ZL37rocblas_syrkx_herkx_restricted_kernelIi19rocblas_complex_numIfELi16ELi32ELi8ELi1ELi0ELb0ELc67ELc76EKPKS1_KPS1_EviT_PT9_S7_lS9_S7_lPT10_S7_li.has_dyn_sized_stack, 0
	.set _ZL37rocblas_syrkx_herkx_restricted_kernelIi19rocblas_complex_numIfELi16ELi32ELi8ELi1ELi0ELb0ELc67ELc76EKPKS1_KPS1_EviT_PT9_S7_lS9_S7_lPT10_S7_li.has_recursion, 0
	.set _ZL37rocblas_syrkx_herkx_restricted_kernelIi19rocblas_complex_numIfELi16ELi32ELi8ELi1ELi0ELb0ELc67ELc76EKPKS1_KPS1_EviT_PT9_S7_lS9_S7_lPT10_S7_li.has_indirect_call, 0
	.section	.AMDGPU.csdata,"",@progbits
; Kernel info:
; codeLenInByte = 1820
; TotalNumSgprs: 21
; NumVgprs: 41
; ScratchSize: 0
; MemoryBound: 0
; FloatMode: 240
; IeeeMode: 1
; LDSByteSize: 4096 bytes/workgroup (compile time only)
; SGPRBlocks: 2
; VGPRBlocks: 10
; NumSGPRsForWavesPerEU: 21
; NumVGPRsForWavesPerEU: 41
; Occupancy: 5
; WaveLimiterHint : 1
; COMPUTE_PGM_RSRC2:SCRATCH_EN: 0
; COMPUTE_PGM_RSRC2:USER_SGPR: 6
; COMPUTE_PGM_RSRC2:TRAP_HANDLER: 0
; COMPUTE_PGM_RSRC2:TGID_X_EN: 1
; COMPUTE_PGM_RSRC2:TGID_Y_EN: 1
; COMPUTE_PGM_RSRC2:TGID_Z_EN: 1
; COMPUTE_PGM_RSRC2:TIDIG_COMP_CNT: 1
	.section	.text._ZL37rocblas_syrkx_herkx_restricted_kernelIi19rocblas_complex_numIfELi16ELi32ELi8ELi1ELi0ELb0ELc78ELc76EKPKS1_KPS1_EviT_PT9_S7_lS9_S7_lPT10_S7_li,"axG",@progbits,_ZL37rocblas_syrkx_herkx_restricted_kernelIi19rocblas_complex_numIfELi16ELi32ELi8ELi1ELi0ELb0ELc78ELc76EKPKS1_KPS1_EviT_PT9_S7_lS9_S7_lPT10_S7_li,comdat
	.globl	_ZL37rocblas_syrkx_herkx_restricted_kernelIi19rocblas_complex_numIfELi16ELi32ELi8ELi1ELi0ELb0ELc78ELc76EKPKS1_KPS1_EviT_PT9_S7_lS9_S7_lPT10_S7_li ; -- Begin function _ZL37rocblas_syrkx_herkx_restricted_kernelIi19rocblas_complex_numIfELi16ELi32ELi8ELi1ELi0ELb0ELc78ELc76EKPKS1_KPS1_EviT_PT9_S7_lS9_S7_lPT10_S7_li
	.p2align	8
	.type	_ZL37rocblas_syrkx_herkx_restricted_kernelIi19rocblas_complex_numIfELi16ELi32ELi8ELi1ELi0ELb0ELc78ELc76EKPKS1_KPS1_EviT_PT9_S7_lS9_S7_lPT10_S7_li,@function
_ZL37rocblas_syrkx_herkx_restricted_kernelIi19rocblas_complex_numIfELi16ELi32ELi8ELi1ELi0ELb0ELc78ELc76EKPKS1_KPS1_EviT_PT9_S7_lS9_S7_lPT10_S7_li: ; @_ZL37rocblas_syrkx_herkx_restricted_kernelIi19rocblas_complex_numIfELi16ELi32ELi8ELi1ELi0ELb0ELc78ELc76EKPKS1_KPS1_EviT_PT9_S7_lS9_S7_lPT10_S7_li
; %bb.0:
	s_load_dwordx2 s[2:3], s[4:5], 0x38
	s_load_dwordx2 s[12:13], s[4:5], 0x0
	s_mov_b32 s9, 0
	s_lshl_b64 s[0:1], s[8:9], 3
	s_waitcnt lgkmcnt(0)
	s_add_u32 s2, s2, s0
	s_addc_u32 s3, s3, s1
	s_load_dwordx2 s[10:11], s[2:3], 0x0
	s_lshl_b32 s6, s6, 5
	s_lshl_b32 s7, s7, 5
	s_cmp_lt_i32 s13, 1
	s_cbranch_scc1 .LBB632_3
; %bb.1:
	s_load_dword s2, s[4:5], 0x10
	s_load_dword s14, s[4:5], 0x28
	s_load_dwordx2 s[16:17], s[4:5], 0x20
	s_load_dwordx2 s[18:19], s[4:5], 0x8
	v_lshl_add_u32 v5, v1, 4, v0
	s_waitcnt lgkmcnt(0)
	s_ashr_i32 s3, s2, 31
	s_ashr_i32 s15, s14, 31
	v_lshrrev_b32_e32 v6, 3, v5
	s_add_u32 s18, s18, s0
	s_addc_u32 s19, s19, s1
	s_add_u32 s0, s16, s0
	v_add_u32_e32 v2, s7, v6
	s_addc_u32 s1, s17, s1
	v_and_b32_e32 v4, 7, v0
	v_ashrrev_i32_e32 v3, 31, v2
	s_load_dwordx2 s[16:17], s[0:1], 0x0
	v_mad_i64_i32 v[2:3], s[0:1], s14, v4, v[2:3]
	v_lshlrev_b32_e32 v4, 3, v4
	v_lshrrev_b32_e32 v7, 5, v5
	v_and_b32_e32 v5, 31, v5
	v_lshl_or_b32 v4, v6, 6, v4
	v_add_u32_e32 v19, 0x800, v4
	v_add_u32_e32 v4, s6, v5
	v_lshlrev_b32_e32 v8, 3, v5
	v_ashrrev_i32_e32 v5, 31, v4
	v_mad_i64_i32 v[4:5], s[0:1], s2, v7, v[4:5]
	s_load_dwordx2 s[18:19], s[18:19], 0x0
	v_mov_b32_e32 v6, 0x800
	v_lshlrev_b64 v[4:5], 3, v[4:5]
	v_lshl_or_b32 v18, v7, 8, v8
	v_lshl_add_u32 v21, v1, 6, v6
	s_waitcnt lgkmcnt(0)
	v_mov_b32_e32 v7, s19
	v_add_co_u32_e32 v6, vcc, s18, v4
	v_lshlrev_b64 v[2:3], 3, v[2:3]
	v_addc_co_u32_e32 v7, vcc, v7, v5, vcc
	s_lshl_b64 s[0:1], s[2:3], 6
	v_mov_b32_e32 v4, s17
	v_add_co_u32_e32 v8, vcc, s16, v2
	s_lshl_b64 s[2:3], s[14:15], 6
	v_lshlrev_b32_e32 v20, 3, v0
	v_addc_co_u32_e32 v9, vcc, v4, v3, vcc
	v_mov_b32_e32 v11, 0
	v_mov_b32_e32 v22, s1
	;; [unrolled: 1-line block ×10, first 2 shown]
.LBB632_2:                              ; =>This Inner Loop Header: Depth=1
	flat_load_dwordx2 v[2:3], v[6:7]
	v_add_co_u32_e32 v6, vcc, s0, v6
	v_addc_co_u32_e32 v7, vcc, v7, v22, vcc
	s_add_i32 s9, s9, 8
	s_cmp_ge_i32 s9, s13
	s_waitcnt vmcnt(0) lgkmcnt(0)
	ds_write_b64 v18, v[2:3]
	flat_load_dwordx2 v[2:3], v[8:9]
	v_add_co_u32_e32 v8, vcc, s2, v8
	v_addc_co_u32_e32 v9, vcc, v9, v23, vcc
	s_waitcnt vmcnt(0) lgkmcnt(0)
	ds_write_b64 v19, v[2:3]
	s_waitcnt lgkmcnt(0)
	s_barrier
	ds_read_b128 v[24:27], v21
	ds_read_b128 v[28:31], v21 offset:16
	ds_read_b128 v[32:35], v21 offset:32
	;; [unrolled: 1-line block ×3, first 2 shown]
	ds_read2_b64 v[36:39], v20 offset1:16
	s_waitcnt lgkmcnt(0)
	v_mul_f32_e32 v40, v25, v37
	v_mul_f32_e32 v41, v24, v37
	v_fma_f32 v40, v24, v36, -v40
	v_fmac_f32_e32 v41, v25, v36
	v_add_f32_e32 v40, v16, v40
	v_add_f32_e32 v41, v17, v41
	v_mul_f32_e32 v16, v25, v39
	v_mul_f32_e32 v17, v24, v39
	v_fma_f32 v16, v24, v38, -v16
	v_fmac_f32_e32 v17, v25, v38
	v_add_f32_e32 v24, v14, v16
	v_add_f32_e32 v25, v15, v17
	ds_read_b128 v[14:17], v21 offset:1024
	s_waitcnt lgkmcnt(0)
	v_mul_f32_e32 v42, v15, v37
	v_mul_f32_e32 v37, v14, v37
	v_fma_f32 v42, v14, v36, -v42
	v_fmac_f32_e32 v37, v15, v36
	v_add_f32_e32 v36, v12, v42
	v_add_f32_e32 v37, v13, v37
	v_mul_f32_e32 v12, v15, v39
	v_mul_f32_e32 v13, v14, v39
	v_fma_f32 v12, v14, v38, -v12
	v_fmac_f32_e32 v13, v15, v38
	v_add_f32_e32 v14, v10, v12
	v_add_f32_e32 v15, v11, v13
	ds_read2_b64 v[10:13], v20 offset0:32 offset1:48
	s_waitcnt lgkmcnt(0)
	v_mul_f32_e32 v38, v27, v11
	v_fma_f32 v38, v26, v10, -v38
	v_add_f32_e32 v38, v40, v38
	v_mul_f32_e32 v40, v27, v13
	v_mul_f32_e32 v39, v26, v11
	v_fma_f32 v40, v26, v12, -v40
	v_mul_f32_e32 v26, v26, v13
	v_fmac_f32_e32 v26, v27, v12
	v_add_f32_e32 v25, v25, v26
	v_mul_f32_e32 v26, v17, v11
	v_mul_f32_e32 v11, v16, v11
	v_fmac_f32_e32 v11, v17, v10
	v_fmac_f32_e32 v39, v27, v10
	v_fma_f32 v26, v16, v10, -v26
	v_add_f32_e32 v27, v37, v11
	v_mul_f32_e32 v10, v17, v13
	v_mul_f32_e32 v11, v16, v13
	v_fma_f32 v10, v16, v12, -v10
	v_fmac_f32_e32 v11, v17, v12
	v_add_f32_e32 v26, v36, v26
	v_add_f32_e32 v36, v14, v10
	;; [unrolled: 1-line block ×3, first 2 shown]
	ds_read2_b64 v[10:13], v20 offset0:64 offset1:80
	v_add_f32_e32 v39, v41, v39
	v_add_f32_e32 v24, v24, v40
	s_waitcnt lgkmcnt(0)
	v_mul_f32_e32 v14, v29, v11
	v_mul_f32_e32 v15, v28, v11
	v_fma_f32 v14, v28, v10, -v14
	v_fmac_f32_e32 v15, v29, v10
	v_add_f32_e32 v38, v38, v14
	v_add_f32_e32 v39, v39, v15
	v_mul_f32_e32 v14, v29, v13
	v_mul_f32_e32 v15, v28, v13
	v_fma_f32 v14, v28, v12, -v14
	v_fmac_f32_e32 v15, v29, v12
	v_add_f32_e32 v24, v24, v14
	v_add_f32_e32 v25, v25, v15
	ds_read_b128 v[14:17], v21 offset:1040
	s_waitcnt lgkmcnt(0)
	v_mul_f32_e32 v28, v15, v11
	v_mul_f32_e32 v11, v14, v11
	v_fmac_f32_e32 v11, v15, v10
	v_fma_f32 v28, v14, v10, -v28
	v_add_f32_e32 v27, v27, v11
	v_mul_f32_e32 v10, v15, v13
	v_mul_f32_e32 v11, v14, v13
	v_fma_f32 v10, v14, v12, -v10
	v_fmac_f32_e32 v11, v15, v12
	v_add_f32_e32 v14, v36, v10
	v_add_f32_e32 v15, v37, v11
	ds_read2_b64 v[10:13], v20 offset0:96 offset1:112
	v_add_f32_e32 v26, v26, v28
	s_waitcnt lgkmcnt(0)
	v_mul_f32_e32 v28, v31, v11
	v_mul_f32_e32 v36, v31, v13
	v_fma_f32 v28, v30, v10, -v28
	v_mul_f32_e32 v29, v30, v11
	v_fma_f32 v36, v30, v12, -v36
	v_mul_f32_e32 v30, v30, v13
	v_fmac_f32_e32 v30, v31, v12
	v_add_f32_e32 v25, v25, v30
	v_mul_f32_e32 v30, v17, v11
	v_mul_f32_e32 v11, v16, v11
	v_fmac_f32_e32 v11, v17, v10
	v_fmac_f32_e32 v29, v31, v10
	v_fma_f32 v30, v16, v10, -v30
	v_add_f32_e32 v27, v27, v11
	v_mul_f32_e32 v10, v17, v13
	v_mul_f32_e32 v11, v16, v13
	v_fma_f32 v10, v16, v12, -v10
	v_fmac_f32_e32 v11, v17, v12
	v_add_f32_e32 v26, v26, v30
	v_add_f32_e32 v30, v14, v10
	v_add_f32_e32 v31, v15, v11
	ds_read2_b64 v[10:13], v20 offset0:128 offset1:144
	v_add_f32_e32 v28, v38, v28
	v_add_f32_e32 v29, v39, v29
	;; [unrolled: 1-line block ×3, first 2 shown]
	s_waitcnt lgkmcnt(0)
	v_mul_f32_e32 v14, v33, v11
	v_mul_f32_e32 v15, v32, v11
	v_fma_f32 v14, v32, v10, -v14
	v_fmac_f32_e32 v15, v33, v10
	v_add_f32_e32 v28, v28, v14
	v_add_f32_e32 v29, v29, v15
	v_mul_f32_e32 v14, v33, v13
	v_mul_f32_e32 v15, v32, v13
	v_fma_f32 v14, v32, v12, -v14
	v_fmac_f32_e32 v15, v33, v12
	v_add_f32_e32 v24, v24, v14
	v_add_f32_e32 v25, v25, v15
	ds_read_b128 v[14:17], v21 offset:1056
	s_waitcnt lgkmcnt(0)
	v_mul_f32_e32 v32, v15, v11
	v_mul_f32_e32 v11, v14, v11
	v_fmac_f32_e32 v11, v15, v10
	v_fma_f32 v32, v14, v10, -v32
	v_add_f32_e32 v27, v27, v11
	v_mul_f32_e32 v10, v15, v13
	v_mul_f32_e32 v11, v14, v13
	v_fma_f32 v10, v14, v12, -v10
	v_fmac_f32_e32 v11, v15, v12
	v_add_f32_e32 v14, v30, v10
	v_add_f32_e32 v15, v31, v11
	ds_read2_b64 v[10:13], v20 offset0:160 offset1:176
	v_add_f32_e32 v26, v26, v32
	s_waitcnt lgkmcnt(0)
	v_mul_f32_e32 v30, v35, v11
	v_fma_f32 v30, v34, v10, -v30
	v_mul_f32_e32 v31, v34, v11
	v_add_f32_e32 v28, v28, v30
	v_mul_f32_e32 v30, v35, v13
	v_fmac_f32_e32 v31, v35, v10
	v_fma_f32 v30, v34, v12, -v30
	v_add_f32_e32 v29, v29, v31
	v_mul_f32_e32 v31, v34, v13
	v_add_f32_e32 v24, v24, v30
	v_mul_f32_e32 v30, v17, v11
	v_mul_f32_e32 v11, v16, v11
	v_fmac_f32_e32 v31, v35, v12
	v_fmac_f32_e32 v11, v17, v10
	v_add_f32_e32 v25, v25, v31
	v_fma_f32 v30, v16, v10, -v30
	v_add_f32_e32 v31, v27, v11
	v_mul_f32_e32 v10, v17, v13
	v_mul_f32_e32 v11, v16, v13
	v_fma_f32 v10, v16, v12, -v10
	v_fmac_f32_e32 v11, v17, v12
	v_add_f32_e32 v14, v14, v10
	v_add_f32_e32 v15, v15, v11
	ds_read2_b64 v[10:13], v20 offset0:192 offset1:208
	v_add_f32_e32 v30, v26, v30
	s_waitcnt lgkmcnt(0)
	v_mul_f32_e32 v16, v3, v11
	v_mul_f32_e32 v26, v3, v13
	v_fma_f32 v16, v2, v10, -v16
	v_mul_f32_e32 v17, v2, v11
	v_fma_f32 v26, v2, v12, -v26
	v_mul_f32_e32 v2, v2, v13
	v_fmac_f32_e32 v2, v3, v12
	v_fmac_f32_e32 v17, v3, v10
	v_add_f32_e32 v3, v24, v26
	v_add_f32_e32 v2, v25, v2
	ds_read_b128 v[24:27], v21 offset:1072
	v_add_f32_e32 v16, v28, v16
	v_add_f32_e32 v17, v29, v17
	s_waitcnt lgkmcnt(0)
	v_mul_f32_e32 v28, v25, v11
	v_fma_f32 v28, v24, v10, -v28
	v_mul_f32_e32 v11, v24, v11
	v_fmac_f32_e32 v11, v25, v10
	v_add_f32_e32 v10, v30, v28
	v_mul_f32_e32 v28, v25, v13
	v_fma_f32 v28, v24, v12, -v28
	v_add_f32_e32 v11, v31, v11
	v_mul_f32_e32 v13, v24, v13
	v_add_f32_e32 v24, v14, v28
	ds_read2_b64 v[28:31], v20 offset0:224 offset1:240
	v_fmac_f32_e32 v13, v25, v12
	v_add_f32_e32 v25, v15, v13
	s_waitcnt lgkmcnt(0)
	s_barrier
	v_mul_f32_e32 v12, v5, v29
	v_fma_f32 v12, v4, v28, -v12
	v_add_f32_e32 v16, v16, v12
	v_mul_f32_e32 v12, v5, v31
	v_mul_f32_e32 v13, v4, v29
	v_fma_f32 v12, v4, v30, -v12
	v_mul_f32_e32 v4, v4, v31
	v_fmac_f32_e32 v4, v5, v30
	v_add_f32_e32 v14, v3, v12
	v_add_f32_e32 v15, v2, v4
	v_mul_f32_e32 v2, v27, v29
	v_mul_f32_e32 v3, v26, v29
	v_fmac_f32_e32 v13, v5, v28
	v_fma_f32 v2, v26, v28, -v2
	v_fmac_f32_e32 v3, v27, v28
	v_add_f32_e32 v17, v17, v13
	v_add_f32_e32 v12, v10, v2
	;; [unrolled: 1-line block ×3, first 2 shown]
	v_mul_f32_e32 v2, v27, v31
	v_mul_f32_e32 v3, v26, v31
	v_fma_f32 v2, v26, v30, -v2
	v_fmac_f32_e32 v3, v27, v30
	v_add_f32_e32 v10, v24, v2
	v_add_f32_e32 v11, v25, v3
	s_cbranch_scc0 .LBB632_2
	s_branch .LBB632_4
.LBB632_3:
	v_mov_b32_e32 v16, 0
	v_mov_b32_e32 v17, 0
	;; [unrolled: 1-line block ×8, first 2 shown]
.LBB632_4:
	s_load_dword s8, s[4:5], 0x40
	v_add_u32_e32 v4, s7, v1
	s_waitcnt lgkmcnt(0)
	v_mov_b32_e32 v3, s11
	v_add_u32_e32 v0, s6, v0
	v_mad_i64_i32 v[1:2], s[0:1], v4, s8, 0
	v_cmp_le_i32_e64 s[0:1], v4, v0
	v_lshlrev_b64 v[1:2], 3, v[1:2]
	v_add_co_u32_e32 v5, vcc, s10, v1
	v_addc_co_u32_e32 v6, vcc, v3, v2, vcc
	v_cmp_gt_i32_e32 vcc, s12, v0
	s_and_b64 s[0:1], s[0:1], vcc
	s_and_saveexec_b64 s[2:3], s[0:1]
	s_cbranch_execz .LBB632_6
; %bb.5:
	v_ashrrev_i32_e32 v1, 31, v0
	v_lshlrev_b64 v[1:2], 3, v[0:1]
	v_add_co_u32_e64 v1, s[0:1], v5, v1
	v_addc_co_u32_e64 v2, s[0:1], v6, v2, s[0:1]
	flat_store_dwordx2 v[1:2], v[16:17]
.LBB632_6:
	s_or_b64 exec, exec, s[2:3]
	v_add_u32_e32 v2, 16, v0
	v_cmp_le_i32_e64 s[2:3], v4, v2
	v_cmp_gt_i32_e64 s[0:1], s12, v2
	s_and_b64 s[2:3], s[2:3], s[0:1]
	s_and_saveexec_b64 s[4:5], s[2:3]
	s_cbranch_execz .LBB632_8
; %bb.7:
	v_ashrrev_i32_e32 v3, 31, v2
	v_lshlrev_b64 v[7:8], 3, v[2:3]
	v_add_co_u32_e64 v5, s[2:3], v5, v7
	v_addc_co_u32_e64 v6, s[2:3], v6, v8, s[2:3]
	flat_store_dwordx2 v[5:6], v[14:15]
.LBB632_8:
	s_or_b64 exec, exec, s[4:5]
	v_add_u32_e32 v3, 16, v4
	v_mad_i64_i32 v[4:5], s[2:3], v3, s8, 0
	v_mov_b32_e32 v1, s11
	v_lshlrev_b64 v[4:5], 3, v[4:5]
	v_add_co_u32_e64 v4, s[2:3], s10, v4
	v_addc_co_u32_e64 v5, s[2:3], v1, v5, s[2:3]
	v_cmp_le_i32_e64 s[2:3], v3, v0
	s_and_b64 s[4:5], s[2:3], vcc
	s_and_saveexec_b64 s[2:3], s[4:5]
	s_cbranch_execz .LBB632_10
; %bb.9:
	v_ashrrev_i32_e32 v1, 31, v0
	v_lshlrev_b64 v[0:1], 3, v[0:1]
	v_add_co_u32_e32 v0, vcc, v4, v0
	v_addc_co_u32_e32 v1, vcc, v5, v1, vcc
	flat_store_dwordx2 v[0:1], v[12:13]
.LBB632_10:
	s_or_b64 exec, exec, s[2:3]
	v_cmp_le_i32_e32 vcc, v3, v2
	s_and_b64 s[0:1], vcc, s[0:1]
	s_and_saveexec_b64 s[2:3], s[0:1]
	s_cbranch_execz .LBB632_12
; %bb.11:
	v_ashrrev_i32_e32 v3, 31, v2
	v_lshlrev_b64 v[0:1], 3, v[2:3]
	v_add_co_u32_e32 v0, vcc, v4, v0
	v_addc_co_u32_e32 v1, vcc, v5, v1, vcc
	flat_store_dwordx2 v[0:1], v[10:11]
.LBB632_12:
	s_endpgm
	.section	.rodata,"a",@progbits
	.p2align	6, 0x0
	.amdhsa_kernel _ZL37rocblas_syrkx_herkx_restricted_kernelIi19rocblas_complex_numIfELi16ELi32ELi8ELi1ELi0ELb0ELc78ELc76EKPKS1_KPS1_EviT_PT9_S7_lS9_S7_lPT10_S7_li
		.amdhsa_group_segment_fixed_size 4096
		.amdhsa_private_segment_fixed_size 0
		.amdhsa_kernarg_size 84
		.amdhsa_user_sgpr_count 6
		.amdhsa_user_sgpr_private_segment_buffer 1
		.amdhsa_user_sgpr_dispatch_ptr 0
		.amdhsa_user_sgpr_queue_ptr 0
		.amdhsa_user_sgpr_kernarg_segment_ptr 1
		.amdhsa_user_sgpr_dispatch_id 0
		.amdhsa_user_sgpr_flat_scratch_init 0
		.amdhsa_user_sgpr_private_segment_size 0
		.amdhsa_uses_dynamic_stack 0
		.amdhsa_system_sgpr_private_segment_wavefront_offset 0
		.amdhsa_system_sgpr_workgroup_id_x 1
		.amdhsa_system_sgpr_workgroup_id_y 1
		.amdhsa_system_sgpr_workgroup_id_z 1
		.amdhsa_system_sgpr_workgroup_info 0
		.amdhsa_system_vgpr_workitem_id 1
		.amdhsa_next_free_vgpr 43
		.amdhsa_next_free_sgpr 20
		.amdhsa_reserve_vcc 1
		.amdhsa_reserve_flat_scratch 0
		.amdhsa_float_round_mode_32 0
		.amdhsa_float_round_mode_16_64 0
		.amdhsa_float_denorm_mode_32 3
		.amdhsa_float_denorm_mode_16_64 3
		.amdhsa_dx10_clamp 1
		.amdhsa_ieee_mode 1
		.amdhsa_fp16_overflow 0
		.amdhsa_exception_fp_ieee_invalid_op 0
		.amdhsa_exception_fp_denorm_src 0
		.amdhsa_exception_fp_ieee_div_zero 0
		.amdhsa_exception_fp_ieee_overflow 0
		.amdhsa_exception_fp_ieee_underflow 0
		.amdhsa_exception_fp_ieee_inexact 0
		.amdhsa_exception_int_div_zero 0
	.end_amdhsa_kernel
	.section	.text._ZL37rocblas_syrkx_herkx_restricted_kernelIi19rocblas_complex_numIfELi16ELi32ELi8ELi1ELi0ELb0ELc78ELc76EKPKS1_KPS1_EviT_PT9_S7_lS9_S7_lPT10_S7_li,"axG",@progbits,_ZL37rocblas_syrkx_herkx_restricted_kernelIi19rocblas_complex_numIfELi16ELi32ELi8ELi1ELi0ELb0ELc78ELc76EKPKS1_KPS1_EviT_PT9_S7_lS9_S7_lPT10_S7_li,comdat
.Lfunc_end632:
	.size	_ZL37rocblas_syrkx_herkx_restricted_kernelIi19rocblas_complex_numIfELi16ELi32ELi8ELi1ELi0ELb0ELc78ELc76EKPKS1_KPS1_EviT_PT9_S7_lS9_S7_lPT10_S7_li, .Lfunc_end632-_ZL37rocblas_syrkx_herkx_restricted_kernelIi19rocblas_complex_numIfELi16ELi32ELi8ELi1ELi0ELb0ELc78ELc76EKPKS1_KPS1_EviT_PT9_S7_lS9_S7_lPT10_S7_li
                                        ; -- End function
	.set _ZL37rocblas_syrkx_herkx_restricted_kernelIi19rocblas_complex_numIfELi16ELi32ELi8ELi1ELi0ELb0ELc78ELc76EKPKS1_KPS1_EviT_PT9_S7_lS9_S7_lPT10_S7_li.num_vgpr, 43
	.set _ZL37rocblas_syrkx_herkx_restricted_kernelIi19rocblas_complex_numIfELi16ELi32ELi8ELi1ELi0ELb0ELc78ELc76EKPKS1_KPS1_EviT_PT9_S7_lS9_S7_lPT10_S7_li.num_agpr, 0
	.set _ZL37rocblas_syrkx_herkx_restricted_kernelIi19rocblas_complex_numIfELi16ELi32ELi8ELi1ELi0ELb0ELc78ELc76EKPKS1_KPS1_EviT_PT9_S7_lS9_S7_lPT10_S7_li.numbered_sgpr, 20
	.set _ZL37rocblas_syrkx_herkx_restricted_kernelIi19rocblas_complex_numIfELi16ELi32ELi8ELi1ELi0ELb0ELc78ELc76EKPKS1_KPS1_EviT_PT9_S7_lS9_S7_lPT10_S7_li.num_named_barrier, 0
	.set _ZL37rocblas_syrkx_herkx_restricted_kernelIi19rocblas_complex_numIfELi16ELi32ELi8ELi1ELi0ELb0ELc78ELc76EKPKS1_KPS1_EviT_PT9_S7_lS9_S7_lPT10_S7_li.private_seg_size, 0
	.set _ZL37rocblas_syrkx_herkx_restricted_kernelIi19rocblas_complex_numIfELi16ELi32ELi8ELi1ELi0ELb0ELc78ELc76EKPKS1_KPS1_EviT_PT9_S7_lS9_S7_lPT10_S7_li.uses_vcc, 1
	.set _ZL37rocblas_syrkx_herkx_restricted_kernelIi19rocblas_complex_numIfELi16ELi32ELi8ELi1ELi0ELb0ELc78ELc76EKPKS1_KPS1_EviT_PT9_S7_lS9_S7_lPT10_S7_li.uses_flat_scratch, 0
	.set _ZL37rocblas_syrkx_herkx_restricted_kernelIi19rocblas_complex_numIfELi16ELi32ELi8ELi1ELi0ELb0ELc78ELc76EKPKS1_KPS1_EviT_PT9_S7_lS9_S7_lPT10_S7_li.has_dyn_sized_stack, 0
	.set _ZL37rocblas_syrkx_herkx_restricted_kernelIi19rocblas_complex_numIfELi16ELi32ELi8ELi1ELi0ELb0ELc78ELc76EKPKS1_KPS1_EviT_PT9_S7_lS9_S7_lPT10_S7_li.has_recursion, 0
	.set _ZL37rocblas_syrkx_herkx_restricted_kernelIi19rocblas_complex_numIfELi16ELi32ELi8ELi1ELi0ELb0ELc78ELc76EKPKS1_KPS1_EviT_PT9_S7_lS9_S7_lPT10_S7_li.has_indirect_call, 0
	.section	.AMDGPU.csdata,"",@progbits
; Kernel info:
; codeLenInByte = 1848
; TotalNumSgprs: 24
; NumVgprs: 43
; ScratchSize: 0
; MemoryBound: 0
; FloatMode: 240
; IeeeMode: 1
; LDSByteSize: 4096 bytes/workgroup (compile time only)
; SGPRBlocks: 2
; VGPRBlocks: 10
; NumSGPRsForWavesPerEU: 24
; NumVGPRsForWavesPerEU: 43
; Occupancy: 5
; WaveLimiterHint : 1
; COMPUTE_PGM_RSRC2:SCRATCH_EN: 0
; COMPUTE_PGM_RSRC2:USER_SGPR: 6
; COMPUTE_PGM_RSRC2:TRAP_HANDLER: 0
; COMPUTE_PGM_RSRC2:TGID_X_EN: 1
; COMPUTE_PGM_RSRC2:TGID_Y_EN: 1
; COMPUTE_PGM_RSRC2:TGID_Z_EN: 1
; COMPUTE_PGM_RSRC2:TIDIG_COMP_CNT: 1
	.section	.text._ZL37rocblas_syrkx_herkx_restricted_kernelIi19rocblas_complex_numIfELi16ELi32ELi8ELi1ELi0ELb0ELc84ELc85EKPKS1_KPS1_EviT_PT9_S7_lS9_S7_lPT10_S7_li,"axG",@progbits,_ZL37rocblas_syrkx_herkx_restricted_kernelIi19rocblas_complex_numIfELi16ELi32ELi8ELi1ELi0ELb0ELc84ELc85EKPKS1_KPS1_EviT_PT9_S7_lS9_S7_lPT10_S7_li,comdat
	.globl	_ZL37rocblas_syrkx_herkx_restricted_kernelIi19rocblas_complex_numIfELi16ELi32ELi8ELi1ELi0ELb0ELc84ELc85EKPKS1_KPS1_EviT_PT9_S7_lS9_S7_lPT10_S7_li ; -- Begin function _ZL37rocblas_syrkx_herkx_restricted_kernelIi19rocblas_complex_numIfELi16ELi32ELi8ELi1ELi0ELb0ELc84ELc85EKPKS1_KPS1_EviT_PT9_S7_lS9_S7_lPT10_S7_li
	.p2align	8
	.type	_ZL37rocblas_syrkx_herkx_restricted_kernelIi19rocblas_complex_numIfELi16ELi32ELi8ELi1ELi0ELb0ELc84ELc85EKPKS1_KPS1_EviT_PT9_S7_lS9_S7_lPT10_S7_li,@function
_ZL37rocblas_syrkx_herkx_restricted_kernelIi19rocblas_complex_numIfELi16ELi32ELi8ELi1ELi0ELb0ELc84ELc85EKPKS1_KPS1_EviT_PT9_S7_lS9_S7_lPT10_S7_li: ; @_ZL37rocblas_syrkx_herkx_restricted_kernelIi19rocblas_complex_numIfELi16ELi32ELi8ELi1ELi0ELb0ELc84ELc85EKPKS1_KPS1_EviT_PT9_S7_lS9_S7_lPT10_S7_li
; %bb.0:
	s_load_dwordx2 s[10:11], s[4:5], 0x38
	s_load_dwordx2 s[2:3], s[4:5], 0x0
	s_mov_b32 s9, 0
	s_lshl_b64 s[0:1], s[8:9], 3
	s_waitcnt lgkmcnt(0)
	s_add_u32 s10, s10, s0
	s_addc_u32 s11, s11, s1
	s_load_dwordx2 s[10:11], s[10:11], 0x0
	s_lshl_b32 s6, s6, 5
	s_lshl_b32 s7, s7, 5
	s_cmp_lt_i32 s3, 1
	s_cbranch_scc1 .LBB633_3
; %bb.1:
	v_lshl_add_u32 v4, v1, 4, v0
	s_load_dwordx2 s[12:13], s[4:5], 0x8
	s_load_dword s8, s[4:5], 0x10
	s_load_dwordx2 s[14:15], s[4:5], 0x20
	s_load_dword s16, s[4:5], 0x28
	v_and_b32_e32 v7, 31, v4
	v_lshrrev_b32_e32 v6, 3, v4
	v_and_b32_e32 v10, 7, v0
	v_lshrrev_b32_e32 v4, 5, v4
	v_lshlrev_b32_e32 v8, 3, v7
	s_waitcnt lgkmcnt(0)
	s_add_u32 s12, s12, s0
	v_lshl_or_b32 v18, v4, 8, v8
	v_lshlrev_b32_e32 v8, 3, v10
	s_addc_u32 s13, s13, s1
	v_add_u32_e32 v2, s7, v6
	v_mov_b32_e32 v11, 0
	v_lshl_or_b32 v6, v6, 6, v8
	s_add_u32 s0, s14, s0
	v_mov_b32_e32 v5, v11
	v_add_u32_e32 v19, 0x800, v6
	v_add_u32_e32 v6, s6, v7
	s_addc_u32 s1, s15, s1
	v_mad_i64_i32 v[4:5], s[14:15], s8, v6, v[4:5]
	s_load_dwordx2 s[12:13], s[12:13], 0x0
	v_mad_i64_i32 v[2:3], s[14:15], s16, v2, v[10:11]
	s_load_dwordx2 s[0:1], s[0:1], 0x0
	v_lshlrev_b64 v[4:5], 3, v[4:5]
	v_mov_b32_e32 v6, 0x800
	v_lshl_add_u32 v21, v1, 6, v6
	s_waitcnt lgkmcnt(0)
	v_mov_b32_e32 v7, s13
	v_add_co_u32_e32 v6, vcc, s12, v4
	v_lshlrev_b64 v[2:3], 3, v[2:3]
	v_addc_co_u32_e32 v7, vcc, v7, v5, vcc
	v_mov_b32_e32 v4, s1
	v_add_co_u32_e32 v8, vcc, s0, v2
	v_lshlrev_b32_e32 v20, 3, v0
	v_addc_co_u32_e32 v9, vcc, v4, v3, vcc
	v_mov_b32_e32 v10, v11
	v_mov_b32_e32 v13, v11
	;; [unrolled: 1-line block ×7, first 2 shown]
.LBB633_2:                              ; =>This Inner Loop Header: Depth=1
	flat_load_dwordx2 v[2:3], v[6:7]
	v_add_co_u32_e32 v6, vcc, 64, v6
	v_addc_co_u32_e32 v7, vcc, 0, v7, vcc
	s_add_i32 s9, s9, 8
	s_cmp_ge_i32 s9, s3
	s_waitcnt vmcnt(0) lgkmcnt(0)
	ds_write_b64 v18, v[2:3]
	flat_load_dwordx2 v[2:3], v[8:9]
	v_add_co_u32_e32 v8, vcc, 64, v8
	v_addc_co_u32_e32 v9, vcc, 0, v9, vcc
	s_waitcnt vmcnt(0) lgkmcnt(0)
	ds_write_b64 v19, v[2:3]
	s_waitcnt lgkmcnt(0)
	s_barrier
	ds_read_b128 v[22:25], v21
	ds_read_b128 v[26:29], v21 offset:16
	ds_read_b128 v[30:33], v21 offset:32
	ds_read_b128 v[2:5], v21 offset:48
	ds_read2_b64 v[34:37], v20 offset1:16
	s_waitcnt lgkmcnt(0)
	v_mul_f32_e32 v38, v23, v35
	v_mul_f32_e32 v39, v22, v35
	v_fma_f32 v38, v22, v34, -v38
	v_fmac_f32_e32 v39, v23, v34
	v_add_f32_e32 v38, v16, v38
	v_add_f32_e32 v39, v17, v39
	v_mul_f32_e32 v16, v23, v37
	v_mul_f32_e32 v17, v22, v37
	v_fma_f32 v16, v22, v36, -v16
	v_fmac_f32_e32 v17, v23, v36
	v_add_f32_e32 v22, v14, v16
	v_add_f32_e32 v23, v15, v17
	ds_read_b128 v[14:17], v21 offset:1024
	s_waitcnt lgkmcnt(0)
	v_mul_f32_e32 v40, v15, v35
	v_mul_f32_e32 v35, v14, v35
	v_fma_f32 v40, v14, v34, -v40
	v_fmac_f32_e32 v35, v15, v34
	v_add_f32_e32 v34, v12, v40
	v_add_f32_e32 v35, v13, v35
	v_mul_f32_e32 v12, v15, v37
	v_mul_f32_e32 v13, v14, v37
	v_fma_f32 v12, v14, v36, -v12
	v_fmac_f32_e32 v13, v15, v36
	v_add_f32_e32 v14, v10, v12
	v_add_f32_e32 v15, v11, v13
	ds_read2_b64 v[10:13], v20 offset0:32 offset1:48
	s_waitcnt lgkmcnt(0)
	v_mul_f32_e32 v36, v25, v11
	v_fma_f32 v36, v24, v10, -v36
	v_add_f32_e32 v36, v38, v36
	v_mul_f32_e32 v38, v25, v13
	v_mul_f32_e32 v37, v24, v11
	v_fma_f32 v38, v24, v12, -v38
	v_mul_f32_e32 v24, v24, v13
	v_fmac_f32_e32 v24, v25, v12
	v_add_f32_e32 v23, v23, v24
	v_mul_f32_e32 v24, v17, v11
	v_mul_f32_e32 v11, v16, v11
	v_fmac_f32_e32 v11, v17, v10
	v_fmac_f32_e32 v37, v25, v10
	v_fma_f32 v24, v16, v10, -v24
	v_add_f32_e32 v25, v35, v11
	v_mul_f32_e32 v10, v17, v13
	v_mul_f32_e32 v11, v16, v13
	v_fma_f32 v10, v16, v12, -v10
	v_fmac_f32_e32 v11, v17, v12
	v_add_f32_e32 v24, v34, v24
	v_add_f32_e32 v34, v14, v10
	;; [unrolled: 1-line block ×3, first 2 shown]
	ds_read2_b64 v[10:13], v20 offset0:64 offset1:80
	v_add_f32_e32 v37, v39, v37
	v_add_f32_e32 v22, v22, v38
	s_waitcnt lgkmcnt(0)
	v_mul_f32_e32 v14, v27, v11
	v_mul_f32_e32 v15, v26, v11
	v_fma_f32 v14, v26, v10, -v14
	v_fmac_f32_e32 v15, v27, v10
	v_add_f32_e32 v36, v36, v14
	v_add_f32_e32 v37, v37, v15
	v_mul_f32_e32 v14, v27, v13
	v_mul_f32_e32 v15, v26, v13
	v_fma_f32 v14, v26, v12, -v14
	v_fmac_f32_e32 v15, v27, v12
	v_add_f32_e32 v22, v22, v14
	v_add_f32_e32 v23, v23, v15
	ds_read_b128 v[14:17], v21 offset:1040
	s_waitcnt lgkmcnt(0)
	v_mul_f32_e32 v26, v15, v11
	v_mul_f32_e32 v11, v14, v11
	v_fmac_f32_e32 v11, v15, v10
	v_fma_f32 v26, v14, v10, -v26
	v_add_f32_e32 v25, v25, v11
	v_mul_f32_e32 v10, v15, v13
	v_mul_f32_e32 v11, v14, v13
	v_fma_f32 v10, v14, v12, -v10
	v_fmac_f32_e32 v11, v15, v12
	v_add_f32_e32 v14, v34, v10
	v_add_f32_e32 v15, v35, v11
	ds_read2_b64 v[10:13], v20 offset0:96 offset1:112
	v_add_f32_e32 v24, v24, v26
	s_waitcnt lgkmcnt(0)
	v_mul_f32_e32 v26, v29, v11
	v_mul_f32_e32 v34, v29, v13
	v_fma_f32 v26, v28, v10, -v26
	v_mul_f32_e32 v27, v28, v11
	v_fma_f32 v34, v28, v12, -v34
	v_mul_f32_e32 v28, v28, v13
	v_fmac_f32_e32 v28, v29, v12
	v_add_f32_e32 v23, v23, v28
	v_mul_f32_e32 v28, v17, v11
	v_mul_f32_e32 v11, v16, v11
	v_fmac_f32_e32 v11, v17, v10
	v_fmac_f32_e32 v27, v29, v10
	v_fma_f32 v28, v16, v10, -v28
	v_add_f32_e32 v25, v25, v11
	v_mul_f32_e32 v10, v17, v13
	v_mul_f32_e32 v11, v16, v13
	v_fma_f32 v10, v16, v12, -v10
	v_fmac_f32_e32 v11, v17, v12
	v_add_f32_e32 v24, v24, v28
	v_add_f32_e32 v28, v14, v10
	;; [unrolled: 1-line block ×3, first 2 shown]
	ds_read2_b64 v[10:13], v20 offset0:128 offset1:144
	v_add_f32_e32 v26, v36, v26
	v_add_f32_e32 v27, v37, v27
	v_add_f32_e32 v22, v22, v34
	s_waitcnt lgkmcnt(0)
	v_mul_f32_e32 v14, v31, v11
	v_mul_f32_e32 v15, v30, v11
	v_fma_f32 v14, v30, v10, -v14
	v_fmac_f32_e32 v15, v31, v10
	v_add_f32_e32 v26, v26, v14
	v_add_f32_e32 v27, v27, v15
	v_mul_f32_e32 v14, v31, v13
	v_mul_f32_e32 v15, v30, v13
	v_fma_f32 v14, v30, v12, -v14
	v_fmac_f32_e32 v15, v31, v12
	v_add_f32_e32 v22, v22, v14
	v_add_f32_e32 v23, v23, v15
	ds_read_b128 v[14:17], v21 offset:1056
	s_waitcnt lgkmcnt(0)
	v_mul_f32_e32 v30, v15, v11
	v_mul_f32_e32 v11, v14, v11
	v_fmac_f32_e32 v11, v15, v10
	v_fma_f32 v30, v14, v10, -v30
	v_add_f32_e32 v25, v25, v11
	v_mul_f32_e32 v10, v15, v13
	v_mul_f32_e32 v11, v14, v13
	v_fma_f32 v10, v14, v12, -v10
	v_fmac_f32_e32 v11, v15, v12
	v_add_f32_e32 v14, v28, v10
	v_add_f32_e32 v15, v29, v11
	ds_read2_b64 v[10:13], v20 offset0:160 offset1:176
	v_add_f32_e32 v24, v24, v30
	s_waitcnt lgkmcnt(0)
	v_mul_f32_e32 v28, v33, v11
	v_fma_f32 v28, v32, v10, -v28
	v_mul_f32_e32 v29, v32, v11
	v_add_f32_e32 v26, v26, v28
	v_mul_f32_e32 v28, v33, v13
	v_fmac_f32_e32 v29, v33, v10
	v_fma_f32 v28, v32, v12, -v28
	v_add_f32_e32 v27, v27, v29
	v_mul_f32_e32 v29, v32, v13
	v_add_f32_e32 v22, v22, v28
	v_mul_f32_e32 v28, v17, v11
	v_mul_f32_e32 v11, v16, v11
	v_fmac_f32_e32 v29, v33, v12
	v_fmac_f32_e32 v11, v17, v10
	v_add_f32_e32 v23, v23, v29
	v_fma_f32 v28, v16, v10, -v28
	v_add_f32_e32 v29, v25, v11
	v_mul_f32_e32 v10, v17, v13
	v_mul_f32_e32 v11, v16, v13
	v_fma_f32 v10, v16, v12, -v10
	v_fmac_f32_e32 v11, v17, v12
	v_add_f32_e32 v14, v14, v10
	v_add_f32_e32 v15, v15, v11
	ds_read2_b64 v[10:13], v20 offset0:192 offset1:208
	v_add_f32_e32 v28, v24, v28
	s_waitcnt lgkmcnt(0)
	v_mul_f32_e32 v16, v3, v11
	v_mul_f32_e32 v24, v3, v13
	v_fma_f32 v16, v2, v10, -v16
	v_mul_f32_e32 v17, v2, v11
	v_fma_f32 v24, v2, v12, -v24
	v_mul_f32_e32 v2, v2, v13
	v_fmac_f32_e32 v2, v3, v12
	v_fmac_f32_e32 v17, v3, v10
	v_add_f32_e32 v3, v22, v24
	v_add_f32_e32 v2, v23, v2
	ds_read_b128 v[22:25], v21 offset:1072
	v_add_f32_e32 v16, v26, v16
	v_add_f32_e32 v17, v27, v17
	s_waitcnt lgkmcnt(0)
	v_mul_f32_e32 v26, v23, v11
	v_fma_f32 v26, v22, v10, -v26
	v_mul_f32_e32 v11, v22, v11
	v_fmac_f32_e32 v11, v23, v10
	v_add_f32_e32 v10, v28, v26
	v_mul_f32_e32 v26, v23, v13
	v_fma_f32 v26, v22, v12, -v26
	v_add_f32_e32 v11, v29, v11
	v_mul_f32_e32 v13, v22, v13
	v_add_f32_e32 v22, v14, v26
	ds_read2_b64 v[26:29], v20 offset0:224 offset1:240
	v_fmac_f32_e32 v13, v23, v12
	v_add_f32_e32 v23, v15, v13
	s_waitcnt lgkmcnt(0)
	s_barrier
	v_mul_f32_e32 v12, v5, v27
	v_fma_f32 v12, v4, v26, -v12
	v_add_f32_e32 v16, v16, v12
	v_mul_f32_e32 v12, v5, v29
	v_mul_f32_e32 v13, v4, v27
	v_fma_f32 v12, v4, v28, -v12
	v_mul_f32_e32 v4, v4, v29
	v_fmac_f32_e32 v4, v5, v28
	v_add_f32_e32 v14, v3, v12
	v_add_f32_e32 v15, v2, v4
	v_mul_f32_e32 v2, v25, v27
	v_mul_f32_e32 v3, v24, v27
	v_fmac_f32_e32 v13, v5, v26
	v_fma_f32 v2, v24, v26, -v2
	v_fmac_f32_e32 v3, v25, v26
	v_add_f32_e32 v17, v17, v13
	v_add_f32_e32 v12, v10, v2
	;; [unrolled: 1-line block ×3, first 2 shown]
	v_mul_f32_e32 v2, v25, v29
	v_mul_f32_e32 v3, v24, v29
	v_fma_f32 v2, v24, v28, -v2
	v_fmac_f32_e32 v3, v25, v28
	v_add_f32_e32 v10, v22, v2
	v_add_f32_e32 v11, v23, v3
	s_cbranch_scc0 .LBB633_2
	s_branch .LBB633_4
.LBB633_3:
	v_mov_b32_e32 v16, 0
	v_mov_b32_e32 v17, 0
	;; [unrolled: 1-line block ×8, first 2 shown]
.LBB633_4:
	s_load_dword s3, s[4:5], 0x40
	v_add_u32_e32 v4, s7, v1
	s_waitcnt lgkmcnt(0)
	v_mov_b32_e32 v3, s11
	v_add_u32_e32 v0, s6, v0
	v_cmp_gt_i32_e32 vcc, s2, v4
	v_mad_i64_i32 v[1:2], s[0:1], v4, s3, 0
	v_lshlrev_b64 v[1:2], 3, v[1:2]
	v_add_co_u32_e64 v5, s[0:1], s10, v1
	v_addc_co_u32_e64 v6, s[0:1], v3, v2, s[0:1]
	v_cmp_le_i32_e64 s[0:1], v0, v4
	s_and_b64 s[0:1], vcc, s[0:1]
	s_and_saveexec_b64 s[4:5], s[0:1]
	s_cbranch_execz .LBB633_6
; %bb.5:
	v_ashrrev_i32_e32 v1, 31, v0
	v_lshlrev_b64 v[1:2], 3, v[0:1]
	v_add_co_u32_e64 v1, s[0:1], v5, v1
	v_addc_co_u32_e64 v2, s[0:1], v6, v2, s[0:1]
	flat_store_dwordx2 v[1:2], v[16:17]
.LBB633_6:
	s_or_b64 exec, exec, s[4:5]
	v_add_u32_e32 v2, 16, v0
	v_cmp_le_i32_e64 s[0:1], v2, v4
	s_and_b64 s[4:5], vcc, s[0:1]
	s_and_saveexec_b64 s[0:1], s[4:5]
	s_cbranch_execz .LBB633_8
; %bb.7:
	v_ashrrev_i32_e32 v3, 31, v2
	v_lshlrev_b64 v[7:8], 3, v[2:3]
	v_add_co_u32_e32 v5, vcc, v5, v7
	v_addc_co_u32_e32 v6, vcc, v6, v8, vcc
	flat_store_dwordx2 v[5:6], v[14:15]
.LBB633_8:
	s_or_b64 exec, exec, s[0:1]
	v_add_u32_e32 v3, 16, v4
	v_mad_i64_i32 v[4:5], s[0:1], v3, s3, 0
	v_mov_b32_e32 v1, s11
	v_cmp_gt_i32_e32 vcc, s2, v3
	v_lshlrev_b64 v[4:5], 3, v[4:5]
	v_add_co_u32_e64 v4, s[0:1], s10, v4
	v_addc_co_u32_e64 v5, s[0:1], v1, v5, s[0:1]
	v_cmp_le_i32_e64 s[0:1], v0, v3
	s_and_b64 s[0:1], vcc, s[0:1]
	s_and_saveexec_b64 s[2:3], s[0:1]
	s_cbranch_execz .LBB633_10
; %bb.9:
	v_ashrrev_i32_e32 v1, 31, v0
	v_lshlrev_b64 v[0:1], 3, v[0:1]
	v_add_co_u32_e64 v0, s[0:1], v4, v0
	v_addc_co_u32_e64 v1, s[0:1], v5, v1, s[0:1]
	flat_store_dwordx2 v[0:1], v[12:13]
.LBB633_10:
	s_or_b64 exec, exec, s[2:3]
	v_cmp_le_i32_e64 s[0:1], v2, v3
	s_and_b64 s[0:1], vcc, s[0:1]
	s_and_saveexec_b64 s[2:3], s[0:1]
	s_cbranch_execz .LBB633_12
; %bb.11:
	v_ashrrev_i32_e32 v3, 31, v2
	v_lshlrev_b64 v[0:1], 3, v[2:3]
	v_add_co_u32_e32 v0, vcc, v4, v0
	v_addc_co_u32_e32 v1, vcc, v5, v1, vcc
	flat_store_dwordx2 v[0:1], v[10:11]
.LBB633_12:
	s_endpgm
	.section	.rodata,"a",@progbits
	.p2align	6, 0x0
	.amdhsa_kernel _ZL37rocblas_syrkx_herkx_restricted_kernelIi19rocblas_complex_numIfELi16ELi32ELi8ELi1ELi0ELb0ELc84ELc85EKPKS1_KPS1_EviT_PT9_S7_lS9_S7_lPT10_S7_li
		.amdhsa_group_segment_fixed_size 4096
		.amdhsa_private_segment_fixed_size 0
		.amdhsa_kernarg_size 84
		.amdhsa_user_sgpr_count 6
		.amdhsa_user_sgpr_private_segment_buffer 1
		.amdhsa_user_sgpr_dispatch_ptr 0
		.amdhsa_user_sgpr_queue_ptr 0
		.amdhsa_user_sgpr_kernarg_segment_ptr 1
		.amdhsa_user_sgpr_dispatch_id 0
		.amdhsa_user_sgpr_flat_scratch_init 0
		.amdhsa_user_sgpr_private_segment_size 0
		.amdhsa_uses_dynamic_stack 0
		.amdhsa_system_sgpr_private_segment_wavefront_offset 0
		.amdhsa_system_sgpr_workgroup_id_x 1
		.amdhsa_system_sgpr_workgroup_id_y 1
		.amdhsa_system_sgpr_workgroup_id_z 1
		.amdhsa_system_sgpr_workgroup_info 0
		.amdhsa_system_vgpr_workitem_id 1
		.amdhsa_next_free_vgpr 41
		.amdhsa_next_free_sgpr 17
		.amdhsa_reserve_vcc 1
		.amdhsa_reserve_flat_scratch 0
		.amdhsa_float_round_mode_32 0
		.amdhsa_float_round_mode_16_64 0
		.amdhsa_float_denorm_mode_32 3
		.amdhsa_float_denorm_mode_16_64 3
		.amdhsa_dx10_clamp 1
		.amdhsa_ieee_mode 1
		.amdhsa_fp16_overflow 0
		.amdhsa_exception_fp_ieee_invalid_op 0
		.amdhsa_exception_fp_denorm_src 0
		.amdhsa_exception_fp_ieee_div_zero 0
		.amdhsa_exception_fp_ieee_overflow 0
		.amdhsa_exception_fp_ieee_underflow 0
		.amdhsa_exception_fp_ieee_inexact 0
		.amdhsa_exception_int_div_zero 0
	.end_amdhsa_kernel
	.section	.text._ZL37rocblas_syrkx_herkx_restricted_kernelIi19rocblas_complex_numIfELi16ELi32ELi8ELi1ELi0ELb0ELc84ELc85EKPKS1_KPS1_EviT_PT9_S7_lS9_S7_lPT10_S7_li,"axG",@progbits,_ZL37rocblas_syrkx_herkx_restricted_kernelIi19rocblas_complex_numIfELi16ELi32ELi8ELi1ELi0ELb0ELc84ELc85EKPKS1_KPS1_EviT_PT9_S7_lS9_S7_lPT10_S7_li,comdat
.Lfunc_end633:
	.size	_ZL37rocblas_syrkx_herkx_restricted_kernelIi19rocblas_complex_numIfELi16ELi32ELi8ELi1ELi0ELb0ELc84ELc85EKPKS1_KPS1_EviT_PT9_S7_lS9_S7_lPT10_S7_li, .Lfunc_end633-_ZL37rocblas_syrkx_herkx_restricted_kernelIi19rocblas_complex_numIfELi16ELi32ELi8ELi1ELi0ELb0ELc84ELc85EKPKS1_KPS1_EviT_PT9_S7_lS9_S7_lPT10_S7_li
                                        ; -- End function
	.set _ZL37rocblas_syrkx_herkx_restricted_kernelIi19rocblas_complex_numIfELi16ELi32ELi8ELi1ELi0ELb0ELc84ELc85EKPKS1_KPS1_EviT_PT9_S7_lS9_S7_lPT10_S7_li.num_vgpr, 41
	.set _ZL37rocblas_syrkx_herkx_restricted_kernelIi19rocblas_complex_numIfELi16ELi32ELi8ELi1ELi0ELb0ELc84ELc85EKPKS1_KPS1_EviT_PT9_S7_lS9_S7_lPT10_S7_li.num_agpr, 0
	.set _ZL37rocblas_syrkx_herkx_restricted_kernelIi19rocblas_complex_numIfELi16ELi32ELi8ELi1ELi0ELb0ELc84ELc85EKPKS1_KPS1_EviT_PT9_S7_lS9_S7_lPT10_S7_li.numbered_sgpr, 17
	.set _ZL37rocblas_syrkx_herkx_restricted_kernelIi19rocblas_complex_numIfELi16ELi32ELi8ELi1ELi0ELb0ELc84ELc85EKPKS1_KPS1_EviT_PT9_S7_lS9_S7_lPT10_S7_li.num_named_barrier, 0
	.set _ZL37rocblas_syrkx_herkx_restricted_kernelIi19rocblas_complex_numIfELi16ELi32ELi8ELi1ELi0ELb0ELc84ELc85EKPKS1_KPS1_EviT_PT9_S7_lS9_S7_lPT10_S7_li.private_seg_size, 0
	.set _ZL37rocblas_syrkx_herkx_restricted_kernelIi19rocblas_complex_numIfELi16ELi32ELi8ELi1ELi0ELb0ELc84ELc85EKPKS1_KPS1_EviT_PT9_S7_lS9_S7_lPT10_S7_li.uses_vcc, 1
	.set _ZL37rocblas_syrkx_herkx_restricted_kernelIi19rocblas_complex_numIfELi16ELi32ELi8ELi1ELi0ELb0ELc84ELc85EKPKS1_KPS1_EviT_PT9_S7_lS9_S7_lPT10_S7_li.uses_flat_scratch, 0
	.set _ZL37rocblas_syrkx_herkx_restricted_kernelIi19rocblas_complex_numIfELi16ELi32ELi8ELi1ELi0ELb0ELc84ELc85EKPKS1_KPS1_EviT_PT9_S7_lS9_S7_lPT10_S7_li.has_dyn_sized_stack, 0
	.set _ZL37rocblas_syrkx_herkx_restricted_kernelIi19rocblas_complex_numIfELi16ELi32ELi8ELi1ELi0ELb0ELc84ELc85EKPKS1_KPS1_EviT_PT9_S7_lS9_S7_lPT10_S7_li.has_recursion, 0
	.set _ZL37rocblas_syrkx_herkx_restricted_kernelIi19rocblas_complex_numIfELi16ELi32ELi8ELi1ELi0ELb0ELc84ELc85EKPKS1_KPS1_EviT_PT9_S7_lS9_S7_lPT10_S7_li.has_indirect_call, 0
	.section	.AMDGPU.csdata,"",@progbits
; Kernel info:
; codeLenInByte = 1828
; TotalNumSgprs: 21
; NumVgprs: 41
; ScratchSize: 0
; MemoryBound: 0
; FloatMode: 240
; IeeeMode: 1
; LDSByteSize: 4096 bytes/workgroup (compile time only)
; SGPRBlocks: 2
; VGPRBlocks: 10
; NumSGPRsForWavesPerEU: 21
; NumVGPRsForWavesPerEU: 41
; Occupancy: 5
; WaveLimiterHint : 1
; COMPUTE_PGM_RSRC2:SCRATCH_EN: 0
; COMPUTE_PGM_RSRC2:USER_SGPR: 6
; COMPUTE_PGM_RSRC2:TRAP_HANDLER: 0
; COMPUTE_PGM_RSRC2:TGID_X_EN: 1
; COMPUTE_PGM_RSRC2:TGID_Y_EN: 1
; COMPUTE_PGM_RSRC2:TGID_Z_EN: 1
; COMPUTE_PGM_RSRC2:TIDIG_COMP_CNT: 1
	.section	.text._ZL37rocblas_syrkx_herkx_restricted_kernelIi19rocblas_complex_numIfELi16ELi32ELi8ELi1ELi0ELb0ELc67ELc85EKPKS1_KPS1_EviT_PT9_S7_lS9_S7_lPT10_S7_li,"axG",@progbits,_ZL37rocblas_syrkx_herkx_restricted_kernelIi19rocblas_complex_numIfELi16ELi32ELi8ELi1ELi0ELb0ELc67ELc85EKPKS1_KPS1_EviT_PT9_S7_lS9_S7_lPT10_S7_li,comdat
	.globl	_ZL37rocblas_syrkx_herkx_restricted_kernelIi19rocblas_complex_numIfELi16ELi32ELi8ELi1ELi0ELb0ELc67ELc85EKPKS1_KPS1_EviT_PT9_S7_lS9_S7_lPT10_S7_li ; -- Begin function _ZL37rocblas_syrkx_herkx_restricted_kernelIi19rocblas_complex_numIfELi16ELi32ELi8ELi1ELi0ELb0ELc67ELc85EKPKS1_KPS1_EviT_PT9_S7_lS9_S7_lPT10_S7_li
	.p2align	8
	.type	_ZL37rocblas_syrkx_herkx_restricted_kernelIi19rocblas_complex_numIfELi16ELi32ELi8ELi1ELi0ELb0ELc67ELc85EKPKS1_KPS1_EviT_PT9_S7_lS9_S7_lPT10_S7_li,@function
_ZL37rocblas_syrkx_herkx_restricted_kernelIi19rocblas_complex_numIfELi16ELi32ELi8ELi1ELi0ELb0ELc67ELc85EKPKS1_KPS1_EviT_PT9_S7_lS9_S7_lPT10_S7_li: ; @_ZL37rocblas_syrkx_herkx_restricted_kernelIi19rocblas_complex_numIfELi16ELi32ELi8ELi1ELi0ELb0ELc67ELc85EKPKS1_KPS1_EviT_PT9_S7_lS9_S7_lPT10_S7_li
; %bb.0:
	s_load_dwordx2 s[10:11], s[4:5], 0x38
	s_load_dwordx2 s[2:3], s[4:5], 0x0
	s_mov_b32 s9, 0
	s_lshl_b64 s[0:1], s[8:9], 3
	s_waitcnt lgkmcnt(0)
	s_add_u32 s10, s10, s0
	s_addc_u32 s11, s11, s1
	s_load_dwordx2 s[10:11], s[10:11], 0x0
	s_lshl_b32 s6, s6, 5
	s_lshl_b32 s7, s7, 5
	s_cmp_lt_i32 s3, 1
	s_cbranch_scc1 .LBB634_3
; %bb.1:
	v_lshl_add_u32 v4, v1, 4, v0
	s_load_dwordx2 s[12:13], s[4:5], 0x8
	s_load_dword s8, s[4:5], 0x10
	s_load_dwordx2 s[14:15], s[4:5], 0x20
	s_load_dword s16, s[4:5], 0x28
	v_and_b32_e32 v7, 31, v4
	v_lshrrev_b32_e32 v6, 3, v4
	v_and_b32_e32 v10, 7, v0
	v_lshrrev_b32_e32 v4, 5, v4
	v_lshlrev_b32_e32 v8, 3, v7
	s_waitcnt lgkmcnt(0)
	s_add_u32 s12, s12, s0
	v_lshl_or_b32 v18, v4, 8, v8
	v_lshlrev_b32_e32 v8, 3, v10
	s_addc_u32 s13, s13, s1
	v_add_u32_e32 v2, s7, v6
	v_mov_b32_e32 v11, 0
	v_lshl_or_b32 v6, v6, 6, v8
	s_add_u32 s0, s14, s0
	v_mov_b32_e32 v5, v11
	v_add_u32_e32 v19, 0x800, v6
	v_add_u32_e32 v6, s6, v7
	s_addc_u32 s1, s15, s1
	v_mad_i64_i32 v[4:5], s[14:15], s8, v6, v[4:5]
	s_load_dwordx2 s[12:13], s[12:13], 0x0
	v_mad_i64_i32 v[2:3], s[14:15], s16, v2, v[10:11]
	s_load_dwordx2 s[0:1], s[0:1], 0x0
	v_lshlrev_b64 v[4:5], 3, v[4:5]
	v_mov_b32_e32 v6, 0x800
	v_lshl_add_u32 v21, v1, 6, v6
	s_waitcnt lgkmcnt(0)
	v_mov_b32_e32 v7, s13
	v_add_co_u32_e32 v6, vcc, s12, v4
	v_lshlrev_b64 v[2:3], 3, v[2:3]
	v_addc_co_u32_e32 v7, vcc, v7, v5, vcc
	v_mov_b32_e32 v4, s1
	v_add_co_u32_e32 v8, vcc, s0, v2
	v_lshlrev_b32_e32 v20, 3, v0
	v_addc_co_u32_e32 v9, vcc, v4, v3, vcc
	v_mov_b32_e32 v10, v11
	v_mov_b32_e32 v13, v11
	;; [unrolled: 1-line block ×7, first 2 shown]
.LBB634_2:                              ; =>This Inner Loop Header: Depth=1
	flat_load_dwordx2 v[2:3], v[6:7]
	v_add_co_u32_e32 v6, vcc, 64, v6
	v_addc_co_u32_e32 v7, vcc, 0, v7, vcc
	s_add_i32 s9, s9, 8
	s_cmp_ge_i32 s9, s3
	s_waitcnt vmcnt(0) lgkmcnt(0)
	ds_write_b64 v18, v[2:3]
	flat_load_dwordx2 v[2:3], v[8:9]
	v_add_co_u32_e32 v8, vcc, 64, v8
	v_addc_co_u32_e32 v9, vcc, 0, v9, vcc
	s_waitcnt vmcnt(0) lgkmcnt(0)
	ds_write_b64 v19, v[2:3]
	s_waitcnt lgkmcnt(0)
	s_barrier
	ds_read_b128 v[22:25], v21
	ds_read_b128 v[26:29], v21 offset:16
	ds_read_b128 v[30:33], v21 offset:32
	;; [unrolled: 1-line block ×3, first 2 shown]
	ds_read2_b64 v[34:37], v20 offset1:16
	s_waitcnt lgkmcnt(0)
	v_mul_f32_e32 v38, v23, v35
	v_mul_f32_e32 v39, v22, v35
	v_fma_f32 v38, v22, v34, -v38
	v_fmac_f32_e32 v39, v23, v34
	v_add_f32_e32 v38, v16, v38
	v_add_f32_e32 v39, v17, v39
	v_mul_f32_e32 v16, v23, v37
	v_mul_f32_e32 v17, v22, v37
	v_fma_f32 v16, v22, v36, -v16
	v_fmac_f32_e32 v17, v23, v36
	v_add_f32_e32 v22, v14, v16
	v_add_f32_e32 v23, v15, v17
	ds_read_b128 v[14:17], v21 offset:1024
	s_waitcnt lgkmcnt(0)
	v_mul_f32_e32 v40, v15, v35
	v_mul_f32_e32 v35, v14, v35
	v_fma_f32 v40, v14, v34, -v40
	v_fmac_f32_e32 v35, v15, v34
	v_add_f32_e32 v34, v12, v40
	v_add_f32_e32 v35, v13, v35
	v_mul_f32_e32 v12, v15, v37
	v_mul_f32_e32 v13, v14, v37
	v_fma_f32 v12, v14, v36, -v12
	v_fmac_f32_e32 v13, v15, v36
	v_add_f32_e32 v14, v10, v12
	v_add_f32_e32 v15, v11, v13
	ds_read2_b64 v[10:13], v20 offset0:32 offset1:48
	s_waitcnt lgkmcnt(0)
	v_mul_f32_e32 v36, v25, v11
	v_fma_f32 v36, v24, v10, -v36
	v_add_f32_e32 v36, v38, v36
	v_mul_f32_e32 v38, v25, v13
	v_mul_f32_e32 v37, v24, v11
	v_fma_f32 v38, v24, v12, -v38
	v_mul_f32_e32 v24, v24, v13
	v_fmac_f32_e32 v24, v25, v12
	v_add_f32_e32 v23, v23, v24
	v_mul_f32_e32 v24, v17, v11
	v_mul_f32_e32 v11, v16, v11
	v_fmac_f32_e32 v11, v17, v10
	v_fmac_f32_e32 v37, v25, v10
	v_fma_f32 v24, v16, v10, -v24
	v_add_f32_e32 v25, v35, v11
	v_mul_f32_e32 v10, v17, v13
	v_mul_f32_e32 v11, v16, v13
	v_fma_f32 v10, v16, v12, -v10
	v_fmac_f32_e32 v11, v17, v12
	v_add_f32_e32 v24, v34, v24
	v_add_f32_e32 v34, v14, v10
	;; [unrolled: 1-line block ×3, first 2 shown]
	ds_read2_b64 v[10:13], v20 offset0:64 offset1:80
	v_add_f32_e32 v37, v39, v37
	v_add_f32_e32 v22, v22, v38
	s_waitcnt lgkmcnt(0)
	v_mul_f32_e32 v14, v27, v11
	v_mul_f32_e32 v15, v26, v11
	v_fma_f32 v14, v26, v10, -v14
	v_fmac_f32_e32 v15, v27, v10
	v_add_f32_e32 v36, v36, v14
	v_add_f32_e32 v37, v37, v15
	v_mul_f32_e32 v14, v27, v13
	v_mul_f32_e32 v15, v26, v13
	v_fma_f32 v14, v26, v12, -v14
	v_fmac_f32_e32 v15, v27, v12
	v_add_f32_e32 v22, v22, v14
	v_add_f32_e32 v23, v23, v15
	ds_read_b128 v[14:17], v21 offset:1040
	s_waitcnt lgkmcnt(0)
	v_mul_f32_e32 v26, v15, v11
	v_mul_f32_e32 v11, v14, v11
	v_fmac_f32_e32 v11, v15, v10
	v_fma_f32 v26, v14, v10, -v26
	v_add_f32_e32 v25, v25, v11
	v_mul_f32_e32 v10, v15, v13
	v_mul_f32_e32 v11, v14, v13
	v_fma_f32 v10, v14, v12, -v10
	v_fmac_f32_e32 v11, v15, v12
	v_add_f32_e32 v14, v34, v10
	v_add_f32_e32 v15, v35, v11
	ds_read2_b64 v[10:13], v20 offset0:96 offset1:112
	v_add_f32_e32 v24, v24, v26
	s_waitcnt lgkmcnt(0)
	v_mul_f32_e32 v26, v29, v11
	v_mul_f32_e32 v34, v29, v13
	v_fma_f32 v26, v28, v10, -v26
	v_mul_f32_e32 v27, v28, v11
	v_fma_f32 v34, v28, v12, -v34
	v_mul_f32_e32 v28, v28, v13
	v_fmac_f32_e32 v28, v29, v12
	v_add_f32_e32 v23, v23, v28
	v_mul_f32_e32 v28, v17, v11
	v_mul_f32_e32 v11, v16, v11
	v_fmac_f32_e32 v11, v17, v10
	v_fmac_f32_e32 v27, v29, v10
	v_fma_f32 v28, v16, v10, -v28
	v_add_f32_e32 v25, v25, v11
	v_mul_f32_e32 v10, v17, v13
	v_mul_f32_e32 v11, v16, v13
	v_fma_f32 v10, v16, v12, -v10
	v_fmac_f32_e32 v11, v17, v12
	v_add_f32_e32 v24, v24, v28
	v_add_f32_e32 v28, v14, v10
	;; [unrolled: 1-line block ×3, first 2 shown]
	ds_read2_b64 v[10:13], v20 offset0:128 offset1:144
	v_add_f32_e32 v26, v36, v26
	v_add_f32_e32 v27, v37, v27
	;; [unrolled: 1-line block ×3, first 2 shown]
	s_waitcnt lgkmcnt(0)
	v_mul_f32_e32 v14, v31, v11
	v_mul_f32_e32 v15, v30, v11
	v_fma_f32 v14, v30, v10, -v14
	v_fmac_f32_e32 v15, v31, v10
	v_add_f32_e32 v26, v26, v14
	v_add_f32_e32 v27, v27, v15
	v_mul_f32_e32 v14, v31, v13
	v_mul_f32_e32 v15, v30, v13
	v_fma_f32 v14, v30, v12, -v14
	v_fmac_f32_e32 v15, v31, v12
	v_add_f32_e32 v22, v22, v14
	v_add_f32_e32 v23, v23, v15
	ds_read_b128 v[14:17], v21 offset:1056
	s_waitcnt lgkmcnt(0)
	v_mul_f32_e32 v30, v15, v11
	v_mul_f32_e32 v11, v14, v11
	v_fmac_f32_e32 v11, v15, v10
	v_fma_f32 v30, v14, v10, -v30
	v_add_f32_e32 v25, v25, v11
	v_mul_f32_e32 v10, v15, v13
	v_mul_f32_e32 v11, v14, v13
	v_fma_f32 v10, v14, v12, -v10
	v_fmac_f32_e32 v11, v15, v12
	v_add_f32_e32 v14, v28, v10
	v_add_f32_e32 v15, v29, v11
	ds_read2_b64 v[10:13], v20 offset0:160 offset1:176
	v_add_f32_e32 v24, v24, v30
	s_waitcnt lgkmcnt(0)
	v_mul_f32_e32 v28, v33, v11
	v_fma_f32 v28, v32, v10, -v28
	v_mul_f32_e32 v29, v32, v11
	v_add_f32_e32 v26, v26, v28
	v_mul_f32_e32 v28, v33, v13
	v_fmac_f32_e32 v29, v33, v10
	v_fma_f32 v28, v32, v12, -v28
	v_add_f32_e32 v27, v27, v29
	v_mul_f32_e32 v29, v32, v13
	v_add_f32_e32 v22, v22, v28
	v_mul_f32_e32 v28, v17, v11
	v_mul_f32_e32 v11, v16, v11
	v_fmac_f32_e32 v29, v33, v12
	v_fmac_f32_e32 v11, v17, v10
	v_add_f32_e32 v23, v23, v29
	v_fma_f32 v28, v16, v10, -v28
	v_add_f32_e32 v29, v25, v11
	v_mul_f32_e32 v10, v17, v13
	v_mul_f32_e32 v11, v16, v13
	v_fma_f32 v10, v16, v12, -v10
	v_fmac_f32_e32 v11, v17, v12
	v_add_f32_e32 v14, v14, v10
	v_add_f32_e32 v15, v15, v11
	ds_read2_b64 v[10:13], v20 offset0:192 offset1:208
	v_add_f32_e32 v28, v24, v28
	s_waitcnt lgkmcnt(0)
	v_mul_f32_e32 v16, v3, v11
	v_mul_f32_e32 v24, v3, v13
	v_fma_f32 v16, v2, v10, -v16
	v_mul_f32_e32 v17, v2, v11
	v_fma_f32 v24, v2, v12, -v24
	v_mul_f32_e32 v2, v2, v13
	v_fmac_f32_e32 v2, v3, v12
	v_fmac_f32_e32 v17, v3, v10
	v_add_f32_e32 v3, v22, v24
	v_add_f32_e32 v2, v23, v2
	ds_read_b128 v[22:25], v21 offset:1072
	v_add_f32_e32 v16, v26, v16
	v_add_f32_e32 v17, v27, v17
	s_waitcnt lgkmcnt(0)
	v_mul_f32_e32 v26, v23, v11
	v_fma_f32 v26, v22, v10, -v26
	v_mul_f32_e32 v11, v22, v11
	v_fmac_f32_e32 v11, v23, v10
	v_add_f32_e32 v10, v28, v26
	v_mul_f32_e32 v26, v23, v13
	v_fma_f32 v26, v22, v12, -v26
	v_add_f32_e32 v11, v29, v11
	v_mul_f32_e32 v13, v22, v13
	v_add_f32_e32 v22, v14, v26
	ds_read2_b64 v[26:29], v20 offset0:224 offset1:240
	v_fmac_f32_e32 v13, v23, v12
	v_add_f32_e32 v23, v15, v13
	s_waitcnt lgkmcnt(0)
	s_barrier
	v_mul_f32_e32 v12, v5, v27
	v_fma_f32 v12, v4, v26, -v12
	v_add_f32_e32 v16, v16, v12
	v_mul_f32_e32 v12, v5, v29
	v_mul_f32_e32 v13, v4, v27
	v_fma_f32 v12, v4, v28, -v12
	v_mul_f32_e32 v4, v4, v29
	v_fmac_f32_e32 v4, v5, v28
	v_add_f32_e32 v14, v3, v12
	v_add_f32_e32 v15, v2, v4
	v_mul_f32_e32 v2, v25, v27
	v_mul_f32_e32 v3, v24, v27
	v_fmac_f32_e32 v13, v5, v26
	v_fma_f32 v2, v24, v26, -v2
	v_fmac_f32_e32 v3, v25, v26
	v_add_f32_e32 v17, v17, v13
	v_add_f32_e32 v12, v10, v2
	v_add_f32_e32 v13, v11, v3
	v_mul_f32_e32 v2, v25, v29
	v_mul_f32_e32 v3, v24, v29
	v_fma_f32 v2, v24, v28, -v2
	v_fmac_f32_e32 v3, v25, v28
	v_add_f32_e32 v10, v22, v2
	v_add_f32_e32 v11, v23, v3
	s_cbranch_scc0 .LBB634_2
	s_branch .LBB634_4
.LBB634_3:
	v_mov_b32_e32 v16, 0
	v_mov_b32_e32 v17, 0
	;; [unrolled: 1-line block ×8, first 2 shown]
.LBB634_4:
	s_load_dword s3, s[4:5], 0x40
	v_add_u32_e32 v4, s7, v1
	s_waitcnt lgkmcnt(0)
	v_mov_b32_e32 v3, s11
	v_add_u32_e32 v0, s6, v0
	v_cmp_gt_i32_e32 vcc, s2, v4
	v_mad_i64_i32 v[1:2], s[0:1], v4, s3, 0
	v_lshlrev_b64 v[1:2], 3, v[1:2]
	v_add_co_u32_e64 v5, s[0:1], s10, v1
	v_addc_co_u32_e64 v6, s[0:1], v3, v2, s[0:1]
	v_cmp_le_i32_e64 s[0:1], v0, v4
	s_and_b64 s[0:1], vcc, s[0:1]
	s_and_saveexec_b64 s[4:5], s[0:1]
	s_cbranch_execz .LBB634_6
; %bb.5:
	v_ashrrev_i32_e32 v1, 31, v0
	v_lshlrev_b64 v[1:2], 3, v[0:1]
	v_add_co_u32_e64 v1, s[0:1], v5, v1
	v_addc_co_u32_e64 v2, s[0:1], v6, v2, s[0:1]
	flat_store_dwordx2 v[1:2], v[16:17]
.LBB634_6:
	s_or_b64 exec, exec, s[4:5]
	v_add_u32_e32 v2, 16, v0
	v_cmp_le_i32_e64 s[0:1], v2, v4
	s_and_b64 s[4:5], vcc, s[0:1]
	s_and_saveexec_b64 s[0:1], s[4:5]
	s_cbranch_execz .LBB634_8
; %bb.7:
	v_ashrrev_i32_e32 v3, 31, v2
	v_lshlrev_b64 v[7:8], 3, v[2:3]
	v_add_co_u32_e32 v5, vcc, v5, v7
	v_addc_co_u32_e32 v6, vcc, v6, v8, vcc
	flat_store_dwordx2 v[5:6], v[14:15]
.LBB634_8:
	s_or_b64 exec, exec, s[0:1]
	v_add_u32_e32 v3, 16, v4
	v_mad_i64_i32 v[4:5], s[0:1], v3, s3, 0
	v_mov_b32_e32 v1, s11
	v_cmp_gt_i32_e32 vcc, s2, v3
	v_lshlrev_b64 v[4:5], 3, v[4:5]
	v_add_co_u32_e64 v4, s[0:1], s10, v4
	v_addc_co_u32_e64 v5, s[0:1], v1, v5, s[0:1]
	v_cmp_le_i32_e64 s[0:1], v0, v3
	s_and_b64 s[0:1], vcc, s[0:1]
	s_and_saveexec_b64 s[2:3], s[0:1]
	s_cbranch_execz .LBB634_10
; %bb.9:
	v_ashrrev_i32_e32 v1, 31, v0
	v_lshlrev_b64 v[0:1], 3, v[0:1]
	v_add_co_u32_e64 v0, s[0:1], v4, v0
	v_addc_co_u32_e64 v1, s[0:1], v5, v1, s[0:1]
	flat_store_dwordx2 v[0:1], v[12:13]
.LBB634_10:
	s_or_b64 exec, exec, s[2:3]
	v_cmp_le_i32_e64 s[0:1], v2, v3
	s_and_b64 s[0:1], vcc, s[0:1]
	s_and_saveexec_b64 s[2:3], s[0:1]
	s_cbranch_execz .LBB634_12
; %bb.11:
	v_ashrrev_i32_e32 v3, 31, v2
	v_lshlrev_b64 v[0:1], 3, v[2:3]
	v_add_co_u32_e32 v0, vcc, v4, v0
	v_addc_co_u32_e32 v1, vcc, v5, v1, vcc
	flat_store_dwordx2 v[0:1], v[10:11]
.LBB634_12:
	s_endpgm
	.section	.rodata,"a",@progbits
	.p2align	6, 0x0
	.amdhsa_kernel _ZL37rocblas_syrkx_herkx_restricted_kernelIi19rocblas_complex_numIfELi16ELi32ELi8ELi1ELi0ELb0ELc67ELc85EKPKS1_KPS1_EviT_PT9_S7_lS9_S7_lPT10_S7_li
		.amdhsa_group_segment_fixed_size 4096
		.amdhsa_private_segment_fixed_size 0
		.amdhsa_kernarg_size 84
		.amdhsa_user_sgpr_count 6
		.amdhsa_user_sgpr_private_segment_buffer 1
		.amdhsa_user_sgpr_dispatch_ptr 0
		.amdhsa_user_sgpr_queue_ptr 0
		.amdhsa_user_sgpr_kernarg_segment_ptr 1
		.amdhsa_user_sgpr_dispatch_id 0
		.amdhsa_user_sgpr_flat_scratch_init 0
		.amdhsa_user_sgpr_private_segment_size 0
		.amdhsa_uses_dynamic_stack 0
		.amdhsa_system_sgpr_private_segment_wavefront_offset 0
		.amdhsa_system_sgpr_workgroup_id_x 1
		.amdhsa_system_sgpr_workgroup_id_y 1
		.amdhsa_system_sgpr_workgroup_id_z 1
		.amdhsa_system_sgpr_workgroup_info 0
		.amdhsa_system_vgpr_workitem_id 1
		.amdhsa_next_free_vgpr 41
		.amdhsa_next_free_sgpr 17
		.amdhsa_reserve_vcc 1
		.amdhsa_reserve_flat_scratch 0
		.amdhsa_float_round_mode_32 0
		.amdhsa_float_round_mode_16_64 0
		.amdhsa_float_denorm_mode_32 3
		.amdhsa_float_denorm_mode_16_64 3
		.amdhsa_dx10_clamp 1
		.amdhsa_ieee_mode 1
		.amdhsa_fp16_overflow 0
		.amdhsa_exception_fp_ieee_invalid_op 0
		.amdhsa_exception_fp_denorm_src 0
		.amdhsa_exception_fp_ieee_div_zero 0
		.amdhsa_exception_fp_ieee_overflow 0
		.amdhsa_exception_fp_ieee_underflow 0
		.amdhsa_exception_fp_ieee_inexact 0
		.amdhsa_exception_int_div_zero 0
	.end_amdhsa_kernel
	.section	.text._ZL37rocblas_syrkx_herkx_restricted_kernelIi19rocblas_complex_numIfELi16ELi32ELi8ELi1ELi0ELb0ELc67ELc85EKPKS1_KPS1_EviT_PT9_S7_lS9_S7_lPT10_S7_li,"axG",@progbits,_ZL37rocblas_syrkx_herkx_restricted_kernelIi19rocblas_complex_numIfELi16ELi32ELi8ELi1ELi0ELb0ELc67ELc85EKPKS1_KPS1_EviT_PT9_S7_lS9_S7_lPT10_S7_li,comdat
.Lfunc_end634:
	.size	_ZL37rocblas_syrkx_herkx_restricted_kernelIi19rocblas_complex_numIfELi16ELi32ELi8ELi1ELi0ELb0ELc67ELc85EKPKS1_KPS1_EviT_PT9_S7_lS9_S7_lPT10_S7_li, .Lfunc_end634-_ZL37rocblas_syrkx_herkx_restricted_kernelIi19rocblas_complex_numIfELi16ELi32ELi8ELi1ELi0ELb0ELc67ELc85EKPKS1_KPS1_EviT_PT9_S7_lS9_S7_lPT10_S7_li
                                        ; -- End function
	.set _ZL37rocblas_syrkx_herkx_restricted_kernelIi19rocblas_complex_numIfELi16ELi32ELi8ELi1ELi0ELb0ELc67ELc85EKPKS1_KPS1_EviT_PT9_S7_lS9_S7_lPT10_S7_li.num_vgpr, 41
	.set _ZL37rocblas_syrkx_herkx_restricted_kernelIi19rocblas_complex_numIfELi16ELi32ELi8ELi1ELi0ELb0ELc67ELc85EKPKS1_KPS1_EviT_PT9_S7_lS9_S7_lPT10_S7_li.num_agpr, 0
	.set _ZL37rocblas_syrkx_herkx_restricted_kernelIi19rocblas_complex_numIfELi16ELi32ELi8ELi1ELi0ELb0ELc67ELc85EKPKS1_KPS1_EviT_PT9_S7_lS9_S7_lPT10_S7_li.numbered_sgpr, 17
	.set _ZL37rocblas_syrkx_herkx_restricted_kernelIi19rocblas_complex_numIfELi16ELi32ELi8ELi1ELi0ELb0ELc67ELc85EKPKS1_KPS1_EviT_PT9_S7_lS9_S7_lPT10_S7_li.num_named_barrier, 0
	.set _ZL37rocblas_syrkx_herkx_restricted_kernelIi19rocblas_complex_numIfELi16ELi32ELi8ELi1ELi0ELb0ELc67ELc85EKPKS1_KPS1_EviT_PT9_S7_lS9_S7_lPT10_S7_li.private_seg_size, 0
	.set _ZL37rocblas_syrkx_herkx_restricted_kernelIi19rocblas_complex_numIfELi16ELi32ELi8ELi1ELi0ELb0ELc67ELc85EKPKS1_KPS1_EviT_PT9_S7_lS9_S7_lPT10_S7_li.uses_vcc, 1
	.set _ZL37rocblas_syrkx_herkx_restricted_kernelIi19rocblas_complex_numIfELi16ELi32ELi8ELi1ELi0ELb0ELc67ELc85EKPKS1_KPS1_EviT_PT9_S7_lS9_S7_lPT10_S7_li.uses_flat_scratch, 0
	.set _ZL37rocblas_syrkx_herkx_restricted_kernelIi19rocblas_complex_numIfELi16ELi32ELi8ELi1ELi0ELb0ELc67ELc85EKPKS1_KPS1_EviT_PT9_S7_lS9_S7_lPT10_S7_li.has_dyn_sized_stack, 0
	.set _ZL37rocblas_syrkx_herkx_restricted_kernelIi19rocblas_complex_numIfELi16ELi32ELi8ELi1ELi0ELb0ELc67ELc85EKPKS1_KPS1_EviT_PT9_S7_lS9_S7_lPT10_S7_li.has_recursion, 0
	.set _ZL37rocblas_syrkx_herkx_restricted_kernelIi19rocblas_complex_numIfELi16ELi32ELi8ELi1ELi0ELb0ELc67ELc85EKPKS1_KPS1_EviT_PT9_S7_lS9_S7_lPT10_S7_li.has_indirect_call, 0
	.section	.AMDGPU.csdata,"",@progbits
; Kernel info:
; codeLenInByte = 1828
; TotalNumSgprs: 21
; NumVgprs: 41
; ScratchSize: 0
; MemoryBound: 0
; FloatMode: 240
; IeeeMode: 1
; LDSByteSize: 4096 bytes/workgroup (compile time only)
; SGPRBlocks: 2
; VGPRBlocks: 10
; NumSGPRsForWavesPerEU: 21
; NumVGPRsForWavesPerEU: 41
; Occupancy: 5
; WaveLimiterHint : 1
; COMPUTE_PGM_RSRC2:SCRATCH_EN: 0
; COMPUTE_PGM_RSRC2:USER_SGPR: 6
; COMPUTE_PGM_RSRC2:TRAP_HANDLER: 0
; COMPUTE_PGM_RSRC2:TGID_X_EN: 1
; COMPUTE_PGM_RSRC2:TGID_Y_EN: 1
; COMPUTE_PGM_RSRC2:TGID_Z_EN: 1
; COMPUTE_PGM_RSRC2:TIDIG_COMP_CNT: 1
	.section	.text._ZL37rocblas_syrkx_herkx_restricted_kernelIi19rocblas_complex_numIfELi16ELi32ELi8ELi1ELi0ELb0ELc78ELc85EKPKS1_KPS1_EviT_PT9_S7_lS9_S7_lPT10_S7_li,"axG",@progbits,_ZL37rocblas_syrkx_herkx_restricted_kernelIi19rocblas_complex_numIfELi16ELi32ELi8ELi1ELi0ELb0ELc78ELc85EKPKS1_KPS1_EviT_PT9_S7_lS9_S7_lPT10_S7_li,comdat
	.globl	_ZL37rocblas_syrkx_herkx_restricted_kernelIi19rocblas_complex_numIfELi16ELi32ELi8ELi1ELi0ELb0ELc78ELc85EKPKS1_KPS1_EviT_PT9_S7_lS9_S7_lPT10_S7_li ; -- Begin function _ZL37rocblas_syrkx_herkx_restricted_kernelIi19rocblas_complex_numIfELi16ELi32ELi8ELi1ELi0ELb0ELc78ELc85EKPKS1_KPS1_EviT_PT9_S7_lS9_S7_lPT10_S7_li
	.p2align	8
	.type	_ZL37rocblas_syrkx_herkx_restricted_kernelIi19rocblas_complex_numIfELi16ELi32ELi8ELi1ELi0ELb0ELc78ELc85EKPKS1_KPS1_EviT_PT9_S7_lS9_S7_lPT10_S7_li,@function
_ZL37rocblas_syrkx_herkx_restricted_kernelIi19rocblas_complex_numIfELi16ELi32ELi8ELi1ELi0ELb0ELc78ELc85EKPKS1_KPS1_EviT_PT9_S7_lS9_S7_lPT10_S7_li: ; @_ZL37rocblas_syrkx_herkx_restricted_kernelIi19rocblas_complex_numIfELi16ELi32ELi8ELi1ELi0ELb0ELc78ELc85EKPKS1_KPS1_EviT_PT9_S7_lS9_S7_lPT10_S7_li
; %bb.0:
	s_load_dwordx2 s[10:11], s[4:5], 0x38
	s_load_dwordx2 s[2:3], s[4:5], 0x0
	s_mov_b32 s9, 0
	s_lshl_b64 s[0:1], s[8:9], 3
	s_waitcnt lgkmcnt(0)
	s_add_u32 s10, s10, s0
	s_addc_u32 s11, s11, s1
	s_load_dwordx2 s[10:11], s[10:11], 0x0
	s_lshl_b32 s8, s6, 5
	s_lshl_b32 s12, s7, 5
	s_cmp_lt_i32 s3, 1
	s_cbranch_scc1 .LBB635_3
; %bb.1:
	s_load_dword s6, s[4:5], 0x10
	s_load_dword s14, s[4:5], 0x28
	s_load_dwordx2 s[16:17], s[4:5], 0x20
	s_load_dwordx2 s[18:19], s[4:5], 0x8
	v_lshl_add_u32 v5, v1, 4, v0
	s_waitcnt lgkmcnt(0)
	s_ashr_i32 s7, s6, 31
	s_ashr_i32 s15, s14, 31
	v_lshrrev_b32_e32 v6, 3, v5
	s_add_u32 s18, s18, s0
	s_addc_u32 s19, s19, s1
	s_add_u32 s0, s16, s0
	v_add_u32_e32 v2, s12, v6
	s_addc_u32 s1, s17, s1
	v_and_b32_e32 v4, 7, v0
	v_ashrrev_i32_e32 v3, 31, v2
	s_load_dwordx2 s[16:17], s[0:1], 0x0
	v_mad_i64_i32 v[2:3], s[0:1], s14, v4, v[2:3]
	v_lshlrev_b32_e32 v4, 3, v4
	v_lshrrev_b32_e32 v7, 5, v5
	v_and_b32_e32 v5, 31, v5
	v_lshl_or_b32 v4, v6, 6, v4
	v_add_u32_e32 v19, 0x800, v4
	v_add_u32_e32 v4, s8, v5
	v_lshlrev_b32_e32 v8, 3, v5
	v_ashrrev_i32_e32 v5, 31, v4
	v_mad_i64_i32 v[4:5], s[0:1], s6, v7, v[4:5]
	s_load_dwordx2 s[18:19], s[18:19], 0x0
	v_mov_b32_e32 v6, 0x800
	v_lshlrev_b64 v[4:5], 3, v[4:5]
	v_lshl_or_b32 v18, v7, 8, v8
	v_lshl_add_u32 v21, v1, 6, v6
	s_waitcnt lgkmcnt(0)
	v_mov_b32_e32 v7, s19
	v_add_co_u32_e32 v6, vcc, s18, v4
	v_lshlrev_b64 v[2:3], 3, v[2:3]
	v_addc_co_u32_e32 v7, vcc, v7, v5, vcc
	s_lshl_b64 s[0:1], s[6:7], 6
	v_mov_b32_e32 v4, s17
	v_add_co_u32_e32 v8, vcc, s16, v2
	s_lshl_b64 s[6:7], s[14:15], 6
	v_lshlrev_b32_e32 v20, 3, v0
	v_addc_co_u32_e32 v9, vcc, v4, v3, vcc
	v_mov_b32_e32 v11, 0
	v_mov_b32_e32 v22, s1
	;; [unrolled: 1-line block ×10, first 2 shown]
.LBB635_2:                              ; =>This Inner Loop Header: Depth=1
	flat_load_dwordx2 v[2:3], v[6:7]
	v_add_co_u32_e32 v6, vcc, s0, v6
	v_addc_co_u32_e32 v7, vcc, v7, v22, vcc
	s_add_i32 s9, s9, 8
	s_cmp_ge_i32 s9, s3
	s_waitcnt vmcnt(0) lgkmcnt(0)
	ds_write_b64 v18, v[2:3]
	flat_load_dwordx2 v[2:3], v[8:9]
	v_add_co_u32_e32 v8, vcc, s6, v8
	v_addc_co_u32_e32 v9, vcc, v9, v23, vcc
	s_waitcnt vmcnt(0) lgkmcnt(0)
	ds_write_b64 v19, v[2:3]
	s_waitcnt lgkmcnt(0)
	s_barrier
	ds_read_b128 v[24:27], v21
	ds_read_b128 v[28:31], v21 offset:16
	ds_read_b128 v[32:35], v21 offset:32
	;; [unrolled: 1-line block ×3, first 2 shown]
	ds_read2_b64 v[36:39], v20 offset1:16
	s_waitcnt lgkmcnt(0)
	v_mul_f32_e32 v40, v25, v37
	v_mul_f32_e32 v41, v24, v37
	v_fma_f32 v40, v24, v36, -v40
	v_fmac_f32_e32 v41, v25, v36
	v_add_f32_e32 v40, v16, v40
	v_add_f32_e32 v41, v17, v41
	v_mul_f32_e32 v16, v25, v39
	v_mul_f32_e32 v17, v24, v39
	v_fma_f32 v16, v24, v38, -v16
	v_fmac_f32_e32 v17, v25, v38
	v_add_f32_e32 v24, v14, v16
	v_add_f32_e32 v25, v15, v17
	ds_read_b128 v[14:17], v21 offset:1024
	s_waitcnt lgkmcnt(0)
	v_mul_f32_e32 v42, v15, v37
	v_mul_f32_e32 v37, v14, v37
	v_fma_f32 v42, v14, v36, -v42
	v_fmac_f32_e32 v37, v15, v36
	v_add_f32_e32 v36, v12, v42
	v_add_f32_e32 v37, v13, v37
	v_mul_f32_e32 v12, v15, v39
	v_mul_f32_e32 v13, v14, v39
	v_fma_f32 v12, v14, v38, -v12
	v_fmac_f32_e32 v13, v15, v38
	v_add_f32_e32 v14, v10, v12
	v_add_f32_e32 v15, v11, v13
	ds_read2_b64 v[10:13], v20 offset0:32 offset1:48
	s_waitcnt lgkmcnt(0)
	v_mul_f32_e32 v38, v27, v11
	v_fma_f32 v38, v26, v10, -v38
	v_add_f32_e32 v38, v40, v38
	v_mul_f32_e32 v40, v27, v13
	v_mul_f32_e32 v39, v26, v11
	v_fma_f32 v40, v26, v12, -v40
	v_mul_f32_e32 v26, v26, v13
	v_fmac_f32_e32 v26, v27, v12
	v_add_f32_e32 v25, v25, v26
	v_mul_f32_e32 v26, v17, v11
	v_mul_f32_e32 v11, v16, v11
	v_fmac_f32_e32 v11, v17, v10
	v_fmac_f32_e32 v39, v27, v10
	v_fma_f32 v26, v16, v10, -v26
	v_add_f32_e32 v27, v37, v11
	v_mul_f32_e32 v10, v17, v13
	v_mul_f32_e32 v11, v16, v13
	v_fma_f32 v10, v16, v12, -v10
	v_fmac_f32_e32 v11, v17, v12
	v_add_f32_e32 v26, v36, v26
	v_add_f32_e32 v36, v14, v10
	;; [unrolled: 1-line block ×3, first 2 shown]
	ds_read2_b64 v[10:13], v20 offset0:64 offset1:80
	v_add_f32_e32 v39, v41, v39
	v_add_f32_e32 v24, v24, v40
	s_waitcnt lgkmcnt(0)
	v_mul_f32_e32 v14, v29, v11
	v_mul_f32_e32 v15, v28, v11
	v_fma_f32 v14, v28, v10, -v14
	v_fmac_f32_e32 v15, v29, v10
	v_add_f32_e32 v38, v38, v14
	v_add_f32_e32 v39, v39, v15
	v_mul_f32_e32 v14, v29, v13
	v_mul_f32_e32 v15, v28, v13
	v_fma_f32 v14, v28, v12, -v14
	v_fmac_f32_e32 v15, v29, v12
	v_add_f32_e32 v24, v24, v14
	v_add_f32_e32 v25, v25, v15
	ds_read_b128 v[14:17], v21 offset:1040
	s_waitcnt lgkmcnt(0)
	v_mul_f32_e32 v28, v15, v11
	v_mul_f32_e32 v11, v14, v11
	v_fmac_f32_e32 v11, v15, v10
	v_fma_f32 v28, v14, v10, -v28
	v_add_f32_e32 v27, v27, v11
	v_mul_f32_e32 v10, v15, v13
	v_mul_f32_e32 v11, v14, v13
	v_fma_f32 v10, v14, v12, -v10
	v_fmac_f32_e32 v11, v15, v12
	v_add_f32_e32 v14, v36, v10
	v_add_f32_e32 v15, v37, v11
	ds_read2_b64 v[10:13], v20 offset0:96 offset1:112
	v_add_f32_e32 v26, v26, v28
	s_waitcnt lgkmcnt(0)
	v_mul_f32_e32 v28, v31, v11
	v_mul_f32_e32 v36, v31, v13
	v_fma_f32 v28, v30, v10, -v28
	v_mul_f32_e32 v29, v30, v11
	v_fma_f32 v36, v30, v12, -v36
	v_mul_f32_e32 v30, v30, v13
	v_fmac_f32_e32 v30, v31, v12
	v_add_f32_e32 v25, v25, v30
	v_mul_f32_e32 v30, v17, v11
	v_mul_f32_e32 v11, v16, v11
	v_fmac_f32_e32 v11, v17, v10
	v_fmac_f32_e32 v29, v31, v10
	v_fma_f32 v30, v16, v10, -v30
	v_add_f32_e32 v27, v27, v11
	v_mul_f32_e32 v10, v17, v13
	v_mul_f32_e32 v11, v16, v13
	v_fma_f32 v10, v16, v12, -v10
	v_fmac_f32_e32 v11, v17, v12
	v_add_f32_e32 v26, v26, v30
	v_add_f32_e32 v30, v14, v10
	;; [unrolled: 1-line block ×3, first 2 shown]
	ds_read2_b64 v[10:13], v20 offset0:128 offset1:144
	v_add_f32_e32 v28, v38, v28
	v_add_f32_e32 v29, v39, v29
	;; [unrolled: 1-line block ×3, first 2 shown]
	s_waitcnt lgkmcnt(0)
	v_mul_f32_e32 v14, v33, v11
	v_mul_f32_e32 v15, v32, v11
	v_fma_f32 v14, v32, v10, -v14
	v_fmac_f32_e32 v15, v33, v10
	v_add_f32_e32 v28, v28, v14
	v_add_f32_e32 v29, v29, v15
	v_mul_f32_e32 v14, v33, v13
	v_mul_f32_e32 v15, v32, v13
	v_fma_f32 v14, v32, v12, -v14
	v_fmac_f32_e32 v15, v33, v12
	v_add_f32_e32 v24, v24, v14
	v_add_f32_e32 v25, v25, v15
	ds_read_b128 v[14:17], v21 offset:1056
	s_waitcnt lgkmcnt(0)
	v_mul_f32_e32 v32, v15, v11
	v_mul_f32_e32 v11, v14, v11
	v_fmac_f32_e32 v11, v15, v10
	v_fma_f32 v32, v14, v10, -v32
	v_add_f32_e32 v27, v27, v11
	v_mul_f32_e32 v10, v15, v13
	v_mul_f32_e32 v11, v14, v13
	v_fma_f32 v10, v14, v12, -v10
	v_fmac_f32_e32 v11, v15, v12
	v_add_f32_e32 v14, v30, v10
	v_add_f32_e32 v15, v31, v11
	ds_read2_b64 v[10:13], v20 offset0:160 offset1:176
	v_add_f32_e32 v26, v26, v32
	s_waitcnt lgkmcnt(0)
	v_mul_f32_e32 v30, v35, v11
	v_fma_f32 v30, v34, v10, -v30
	v_mul_f32_e32 v31, v34, v11
	v_add_f32_e32 v28, v28, v30
	v_mul_f32_e32 v30, v35, v13
	v_fmac_f32_e32 v31, v35, v10
	v_fma_f32 v30, v34, v12, -v30
	v_add_f32_e32 v29, v29, v31
	v_mul_f32_e32 v31, v34, v13
	v_add_f32_e32 v24, v24, v30
	v_mul_f32_e32 v30, v17, v11
	v_mul_f32_e32 v11, v16, v11
	v_fmac_f32_e32 v31, v35, v12
	v_fmac_f32_e32 v11, v17, v10
	v_add_f32_e32 v25, v25, v31
	v_fma_f32 v30, v16, v10, -v30
	v_add_f32_e32 v31, v27, v11
	v_mul_f32_e32 v10, v17, v13
	v_mul_f32_e32 v11, v16, v13
	v_fma_f32 v10, v16, v12, -v10
	v_fmac_f32_e32 v11, v17, v12
	v_add_f32_e32 v14, v14, v10
	v_add_f32_e32 v15, v15, v11
	ds_read2_b64 v[10:13], v20 offset0:192 offset1:208
	v_add_f32_e32 v30, v26, v30
	s_waitcnt lgkmcnt(0)
	v_mul_f32_e32 v16, v3, v11
	v_mul_f32_e32 v26, v3, v13
	v_fma_f32 v16, v2, v10, -v16
	v_mul_f32_e32 v17, v2, v11
	v_fma_f32 v26, v2, v12, -v26
	v_mul_f32_e32 v2, v2, v13
	v_fmac_f32_e32 v2, v3, v12
	v_fmac_f32_e32 v17, v3, v10
	v_add_f32_e32 v3, v24, v26
	v_add_f32_e32 v2, v25, v2
	ds_read_b128 v[24:27], v21 offset:1072
	v_add_f32_e32 v16, v28, v16
	v_add_f32_e32 v17, v29, v17
	s_waitcnt lgkmcnt(0)
	v_mul_f32_e32 v28, v25, v11
	v_fma_f32 v28, v24, v10, -v28
	v_mul_f32_e32 v11, v24, v11
	v_fmac_f32_e32 v11, v25, v10
	v_add_f32_e32 v10, v30, v28
	v_mul_f32_e32 v28, v25, v13
	v_fma_f32 v28, v24, v12, -v28
	v_add_f32_e32 v11, v31, v11
	v_mul_f32_e32 v13, v24, v13
	v_add_f32_e32 v24, v14, v28
	ds_read2_b64 v[28:31], v20 offset0:224 offset1:240
	v_fmac_f32_e32 v13, v25, v12
	v_add_f32_e32 v25, v15, v13
	s_waitcnt lgkmcnt(0)
	s_barrier
	v_mul_f32_e32 v12, v5, v29
	v_fma_f32 v12, v4, v28, -v12
	v_add_f32_e32 v16, v16, v12
	v_mul_f32_e32 v12, v5, v31
	v_mul_f32_e32 v13, v4, v29
	v_fma_f32 v12, v4, v30, -v12
	v_mul_f32_e32 v4, v4, v31
	v_fmac_f32_e32 v4, v5, v30
	v_add_f32_e32 v14, v3, v12
	v_add_f32_e32 v15, v2, v4
	v_mul_f32_e32 v2, v27, v29
	v_mul_f32_e32 v3, v26, v29
	v_fmac_f32_e32 v13, v5, v28
	v_fma_f32 v2, v26, v28, -v2
	v_fmac_f32_e32 v3, v27, v28
	v_add_f32_e32 v17, v17, v13
	v_add_f32_e32 v12, v10, v2
	;; [unrolled: 1-line block ×3, first 2 shown]
	v_mul_f32_e32 v2, v27, v31
	v_mul_f32_e32 v3, v26, v31
	v_fma_f32 v2, v26, v30, -v2
	v_fmac_f32_e32 v3, v27, v30
	v_add_f32_e32 v10, v24, v2
	v_add_f32_e32 v11, v25, v3
	s_cbranch_scc0 .LBB635_2
	s_branch .LBB635_4
.LBB635_3:
	v_mov_b32_e32 v16, 0
	v_mov_b32_e32 v17, 0
	;; [unrolled: 1-line block ×8, first 2 shown]
.LBB635_4:
	s_load_dword s3, s[4:5], 0x40
	v_add_u32_e32 v4, s12, v1
	s_waitcnt lgkmcnt(0)
	v_mov_b32_e32 v3, s11
	v_add_u32_e32 v0, s8, v0
	v_cmp_gt_i32_e32 vcc, s2, v4
	v_mad_i64_i32 v[1:2], s[0:1], v4, s3, 0
	v_lshlrev_b64 v[1:2], 3, v[1:2]
	v_add_co_u32_e64 v5, s[0:1], s10, v1
	v_addc_co_u32_e64 v6, s[0:1], v3, v2, s[0:1]
	v_cmp_le_i32_e64 s[0:1], v0, v4
	s_and_b64 s[0:1], vcc, s[0:1]
	s_and_saveexec_b64 s[4:5], s[0:1]
	s_cbranch_execz .LBB635_6
; %bb.5:
	v_ashrrev_i32_e32 v1, 31, v0
	v_lshlrev_b64 v[1:2], 3, v[0:1]
	v_add_co_u32_e64 v1, s[0:1], v5, v1
	v_addc_co_u32_e64 v2, s[0:1], v6, v2, s[0:1]
	flat_store_dwordx2 v[1:2], v[16:17]
.LBB635_6:
	s_or_b64 exec, exec, s[4:5]
	v_add_u32_e32 v2, 16, v0
	v_cmp_le_i32_e64 s[0:1], v2, v4
	s_and_b64 s[4:5], vcc, s[0:1]
	s_and_saveexec_b64 s[0:1], s[4:5]
	s_cbranch_execz .LBB635_8
; %bb.7:
	v_ashrrev_i32_e32 v3, 31, v2
	v_lshlrev_b64 v[7:8], 3, v[2:3]
	v_add_co_u32_e32 v5, vcc, v5, v7
	v_addc_co_u32_e32 v6, vcc, v6, v8, vcc
	flat_store_dwordx2 v[5:6], v[14:15]
.LBB635_8:
	s_or_b64 exec, exec, s[0:1]
	v_add_u32_e32 v3, 16, v4
	v_mad_i64_i32 v[4:5], s[0:1], v3, s3, 0
	v_mov_b32_e32 v1, s11
	v_cmp_gt_i32_e32 vcc, s2, v3
	v_lshlrev_b64 v[4:5], 3, v[4:5]
	v_add_co_u32_e64 v4, s[0:1], s10, v4
	v_addc_co_u32_e64 v5, s[0:1], v1, v5, s[0:1]
	v_cmp_le_i32_e64 s[0:1], v0, v3
	s_and_b64 s[0:1], vcc, s[0:1]
	s_and_saveexec_b64 s[2:3], s[0:1]
	s_cbranch_execz .LBB635_10
; %bb.9:
	v_ashrrev_i32_e32 v1, 31, v0
	v_lshlrev_b64 v[0:1], 3, v[0:1]
	v_add_co_u32_e64 v0, s[0:1], v4, v0
	v_addc_co_u32_e64 v1, s[0:1], v5, v1, s[0:1]
	flat_store_dwordx2 v[0:1], v[12:13]
.LBB635_10:
	s_or_b64 exec, exec, s[2:3]
	v_cmp_le_i32_e64 s[0:1], v2, v3
	s_and_b64 s[0:1], vcc, s[0:1]
	s_and_saveexec_b64 s[2:3], s[0:1]
	s_cbranch_execz .LBB635_12
; %bb.11:
	v_ashrrev_i32_e32 v3, 31, v2
	v_lshlrev_b64 v[0:1], 3, v[2:3]
	v_add_co_u32_e32 v0, vcc, v4, v0
	v_addc_co_u32_e32 v1, vcc, v5, v1, vcc
	flat_store_dwordx2 v[0:1], v[10:11]
.LBB635_12:
	s_endpgm
	.section	.rodata,"a",@progbits
	.p2align	6, 0x0
	.amdhsa_kernel _ZL37rocblas_syrkx_herkx_restricted_kernelIi19rocblas_complex_numIfELi16ELi32ELi8ELi1ELi0ELb0ELc78ELc85EKPKS1_KPS1_EviT_PT9_S7_lS9_S7_lPT10_S7_li
		.amdhsa_group_segment_fixed_size 4096
		.amdhsa_private_segment_fixed_size 0
		.amdhsa_kernarg_size 84
		.amdhsa_user_sgpr_count 6
		.amdhsa_user_sgpr_private_segment_buffer 1
		.amdhsa_user_sgpr_dispatch_ptr 0
		.amdhsa_user_sgpr_queue_ptr 0
		.amdhsa_user_sgpr_kernarg_segment_ptr 1
		.amdhsa_user_sgpr_dispatch_id 0
		.amdhsa_user_sgpr_flat_scratch_init 0
		.amdhsa_user_sgpr_private_segment_size 0
		.amdhsa_uses_dynamic_stack 0
		.amdhsa_system_sgpr_private_segment_wavefront_offset 0
		.amdhsa_system_sgpr_workgroup_id_x 1
		.amdhsa_system_sgpr_workgroup_id_y 1
		.amdhsa_system_sgpr_workgroup_id_z 1
		.amdhsa_system_sgpr_workgroup_info 0
		.amdhsa_system_vgpr_workitem_id 1
		.amdhsa_next_free_vgpr 43
		.amdhsa_next_free_sgpr 20
		.amdhsa_reserve_vcc 1
		.amdhsa_reserve_flat_scratch 0
		.amdhsa_float_round_mode_32 0
		.amdhsa_float_round_mode_16_64 0
		.amdhsa_float_denorm_mode_32 3
		.amdhsa_float_denorm_mode_16_64 3
		.amdhsa_dx10_clamp 1
		.amdhsa_ieee_mode 1
		.amdhsa_fp16_overflow 0
		.amdhsa_exception_fp_ieee_invalid_op 0
		.amdhsa_exception_fp_denorm_src 0
		.amdhsa_exception_fp_ieee_div_zero 0
		.amdhsa_exception_fp_ieee_overflow 0
		.amdhsa_exception_fp_ieee_underflow 0
		.amdhsa_exception_fp_ieee_inexact 0
		.amdhsa_exception_int_div_zero 0
	.end_amdhsa_kernel
	.section	.text._ZL37rocblas_syrkx_herkx_restricted_kernelIi19rocblas_complex_numIfELi16ELi32ELi8ELi1ELi0ELb0ELc78ELc85EKPKS1_KPS1_EviT_PT9_S7_lS9_S7_lPT10_S7_li,"axG",@progbits,_ZL37rocblas_syrkx_herkx_restricted_kernelIi19rocblas_complex_numIfELi16ELi32ELi8ELi1ELi0ELb0ELc78ELc85EKPKS1_KPS1_EviT_PT9_S7_lS9_S7_lPT10_S7_li,comdat
.Lfunc_end635:
	.size	_ZL37rocblas_syrkx_herkx_restricted_kernelIi19rocblas_complex_numIfELi16ELi32ELi8ELi1ELi0ELb0ELc78ELc85EKPKS1_KPS1_EviT_PT9_S7_lS9_S7_lPT10_S7_li, .Lfunc_end635-_ZL37rocblas_syrkx_herkx_restricted_kernelIi19rocblas_complex_numIfELi16ELi32ELi8ELi1ELi0ELb0ELc78ELc85EKPKS1_KPS1_EviT_PT9_S7_lS9_S7_lPT10_S7_li
                                        ; -- End function
	.set _ZL37rocblas_syrkx_herkx_restricted_kernelIi19rocblas_complex_numIfELi16ELi32ELi8ELi1ELi0ELb0ELc78ELc85EKPKS1_KPS1_EviT_PT9_S7_lS9_S7_lPT10_S7_li.num_vgpr, 43
	.set _ZL37rocblas_syrkx_herkx_restricted_kernelIi19rocblas_complex_numIfELi16ELi32ELi8ELi1ELi0ELb0ELc78ELc85EKPKS1_KPS1_EviT_PT9_S7_lS9_S7_lPT10_S7_li.num_agpr, 0
	.set _ZL37rocblas_syrkx_herkx_restricted_kernelIi19rocblas_complex_numIfELi16ELi32ELi8ELi1ELi0ELb0ELc78ELc85EKPKS1_KPS1_EviT_PT9_S7_lS9_S7_lPT10_S7_li.numbered_sgpr, 20
	.set _ZL37rocblas_syrkx_herkx_restricted_kernelIi19rocblas_complex_numIfELi16ELi32ELi8ELi1ELi0ELb0ELc78ELc85EKPKS1_KPS1_EviT_PT9_S7_lS9_S7_lPT10_S7_li.num_named_barrier, 0
	.set _ZL37rocblas_syrkx_herkx_restricted_kernelIi19rocblas_complex_numIfELi16ELi32ELi8ELi1ELi0ELb0ELc78ELc85EKPKS1_KPS1_EviT_PT9_S7_lS9_S7_lPT10_S7_li.private_seg_size, 0
	.set _ZL37rocblas_syrkx_herkx_restricted_kernelIi19rocblas_complex_numIfELi16ELi32ELi8ELi1ELi0ELb0ELc78ELc85EKPKS1_KPS1_EviT_PT9_S7_lS9_S7_lPT10_S7_li.uses_vcc, 1
	.set _ZL37rocblas_syrkx_herkx_restricted_kernelIi19rocblas_complex_numIfELi16ELi32ELi8ELi1ELi0ELb0ELc78ELc85EKPKS1_KPS1_EviT_PT9_S7_lS9_S7_lPT10_S7_li.uses_flat_scratch, 0
	.set _ZL37rocblas_syrkx_herkx_restricted_kernelIi19rocblas_complex_numIfELi16ELi32ELi8ELi1ELi0ELb0ELc78ELc85EKPKS1_KPS1_EviT_PT9_S7_lS9_S7_lPT10_S7_li.has_dyn_sized_stack, 0
	.set _ZL37rocblas_syrkx_herkx_restricted_kernelIi19rocblas_complex_numIfELi16ELi32ELi8ELi1ELi0ELb0ELc78ELc85EKPKS1_KPS1_EviT_PT9_S7_lS9_S7_lPT10_S7_li.has_recursion, 0
	.set _ZL37rocblas_syrkx_herkx_restricted_kernelIi19rocblas_complex_numIfELi16ELi32ELi8ELi1ELi0ELb0ELc78ELc85EKPKS1_KPS1_EviT_PT9_S7_lS9_S7_lPT10_S7_li.has_indirect_call, 0
	.section	.AMDGPU.csdata,"",@progbits
; Kernel info:
; codeLenInByte = 1856
; TotalNumSgprs: 24
; NumVgprs: 43
; ScratchSize: 0
; MemoryBound: 0
; FloatMode: 240
; IeeeMode: 1
; LDSByteSize: 4096 bytes/workgroup (compile time only)
; SGPRBlocks: 2
; VGPRBlocks: 10
; NumSGPRsForWavesPerEU: 24
; NumVGPRsForWavesPerEU: 43
; Occupancy: 5
; WaveLimiterHint : 1
; COMPUTE_PGM_RSRC2:SCRATCH_EN: 0
; COMPUTE_PGM_RSRC2:USER_SGPR: 6
; COMPUTE_PGM_RSRC2:TRAP_HANDLER: 0
; COMPUTE_PGM_RSRC2:TGID_X_EN: 1
; COMPUTE_PGM_RSRC2:TGID_Y_EN: 1
; COMPUTE_PGM_RSRC2:TGID_Z_EN: 1
; COMPUTE_PGM_RSRC2:TIDIG_COMP_CNT: 1
	.section	.text._ZL37rocblas_syrkx_herkx_restricted_kernelIi19rocblas_complex_numIfELi16ELi32ELi8ELin1ELi0ELb0ELc84ELc76EKPKS1_KPS1_EviT_PT9_S7_lS9_S7_lPT10_S7_li,"axG",@progbits,_ZL37rocblas_syrkx_herkx_restricted_kernelIi19rocblas_complex_numIfELi16ELi32ELi8ELin1ELi0ELb0ELc84ELc76EKPKS1_KPS1_EviT_PT9_S7_lS9_S7_lPT10_S7_li,comdat
	.globl	_ZL37rocblas_syrkx_herkx_restricted_kernelIi19rocblas_complex_numIfELi16ELi32ELi8ELin1ELi0ELb0ELc84ELc76EKPKS1_KPS1_EviT_PT9_S7_lS9_S7_lPT10_S7_li ; -- Begin function _ZL37rocblas_syrkx_herkx_restricted_kernelIi19rocblas_complex_numIfELi16ELi32ELi8ELin1ELi0ELb0ELc84ELc76EKPKS1_KPS1_EviT_PT9_S7_lS9_S7_lPT10_S7_li
	.p2align	8
	.type	_ZL37rocblas_syrkx_herkx_restricted_kernelIi19rocblas_complex_numIfELi16ELi32ELi8ELin1ELi0ELb0ELc84ELc76EKPKS1_KPS1_EviT_PT9_S7_lS9_S7_lPT10_S7_li,@function
_ZL37rocblas_syrkx_herkx_restricted_kernelIi19rocblas_complex_numIfELi16ELi32ELi8ELin1ELi0ELb0ELc84ELc76EKPKS1_KPS1_EviT_PT9_S7_lS9_S7_lPT10_S7_li: ; @_ZL37rocblas_syrkx_herkx_restricted_kernelIi19rocblas_complex_numIfELi16ELi32ELi8ELin1ELi0ELb0ELc84ELc76EKPKS1_KPS1_EviT_PT9_S7_lS9_S7_lPT10_S7_li
; %bb.0:
	s_load_dwordx2 s[2:3], s[4:5], 0x38
	s_load_dwordx2 s[12:13], s[4:5], 0x0
	s_mov_b32 s9, 0
	s_lshl_b64 s[0:1], s[8:9], 3
	s_waitcnt lgkmcnt(0)
	s_add_u32 s2, s2, s0
	s_addc_u32 s3, s3, s1
	s_load_dwordx2 s[10:11], s[2:3], 0x0
	s_lshl_b32 s2, s6, 5
	s_lshl_b32 s3, s7, 5
	s_cmp_lt_i32 s13, 1
	s_cbranch_scc1 .LBB636_3
; %bb.1:
	v_lshl_add_u32 v4, v1, 4, v0
	s_load_dwordx2 s[6:7], s[4:5], 0x8
	s_load_dword s8, s[4:5], 0x10
	s_load_dwordx2 s[14:15], s[4:5], 0x20
	s_load_dword s16, s[4:5], 0x28
	v_and_b32_e32 v7, 31, v4
	v_lshrrev_b32_e32 v6, 3, v4
	v_and_b32_e32 v9, 7, v0
	v_lshrrev_b32_e32 v4, 5, v4
	v_lshlrev_b32_e32 v8, 3, v7
	s_waitcnt lgkmcnt(0)
	s_add_u32 s6, s6, s0
	v_lshl_or_b32 v11, v4, 8, v8
	v_lshlrev_b32_e32 v8, 3, v9
	s_addc_u32 s7, s7, s1
	v_add_u32_e32 v2, s3, v6
	v_mov_b32_e32 v10, 0
	v_lshl_or_b32 v6, v6, 6, v8
	s_add_u32 s0, s14, s0
	v_mov_b32_e32 v5, v10
	v_add_u32_e32 v12, 0x800, v6
	v_add_u32_e32 v6, s2, v7
	s_addc_u32 s1, s15, s1
	v_mad_i64_i32 v[4:5], s[14:15], s8, v6, v[4:5]
	s_load_dwordx2 s[6:7], s[6:7], 0x0
	v_mad_i64_i32 v[2:3], s[14:15], s16, v2, v[9:10]
	s_load_dwordx2 s[0:1], s[0:1], 0x0
	v_lshlrev_b64 v[4:5], 3, v[4:5]
	v_mov_b32_e32 v6, 0x800
	v_lshl_add_u32 v14, v1, 6, v6
	s_waitcnt lgkmcnt(0)
	v_mov_b32_e32 v7, s7
	v_add_co_u32_e32 v6, vcc, s6, v4
	v_lshlrev_b64 v[2:3], 3, v[2:3]
	v_addc_co_u32_e32 v7, vcc, v7, v5, vcc
	v_mov_b32_e32 v4, s1
	v_add_co_u32_e32 v8, vcc, s0, v2
	v_lshlrev_b32_e32 v13, 3, v0
	v_addc_co_u32_e32 v9, vcc, v4, v3, vcc
	v_mov_b32_e32 v15, v10
	v_mov_b32_e32 v16, v10
	;; [unrolled: 1-line block ×7, first 2 shown]
.LBB636_2:                              ; =>This Inner Loop Header: Depth=1
	flat_load_dwordx2 v[2:3], v[6:7]
	v_add_co_u32_e32 v6, vcc, 64, v6
	v_addc_co_u32_e32 v7, vcc, 0, v7, vcc
	s_add_i32 s9, s9, 8
	s_cmp_ge_i32 s9, s13
	s_waitcnt vmcnt(0) lgkmcnt(0)
	ds_write_b64 v11, v[2:3]
	flat_load_dwordx2 v[2:3], v[8:9]
	v_add_co_u32_e32 v8, vcc, 64, v8
	v_addc_co_u32_e32 v9, vcc, 0, v9, vcc
	s_waitcnt vmcnt(0) lgkmcnt(0)
	ds_write_b64 v12, v[2:3]
	s_waitcnt lgkmcnt(0)
	s_barrier
	ds_read_b128 v[22:25], v14
	ds_read_b128 v[26:29], v14 offset:16
	ds_read_b128 v[30:33], v14 offset:32
	;; [unrolled: 1-line block ×3, first 2 shown]
	ds_read2_b64 v[34:37], v13 offset1:16
	s_waitcnt lgkmcnt(0)
	v_mul_f32_e32 v38, v23, v35
	v_mul_f32_e32 v39, v22, v35
	v_fma_f32 v38, v22, v34, -v38
	v_fmac_f32_e32 v39, v23, v34
	v_add_f32_e32 v38, v20, v38
	v_add_f32_e32 v39, v21, v39
	v_mul_f32_e32 v20, v23, v37
	v_mul_f32_e32 v21, v22, v37
	v_fma_f32 v20, v22, v36, -v20
	v_fmac_f32_e32 v21, v23, v36
	v_add_f32_e32 v22, v19, v20
	v_add_f32_e32 v23, v18, v21
	ds_read_b128 v[18:21], v14 offset:1024
	s_waitcnt lgkmcnt(0)
	v_mul_f32_e32 v40, v19, v35
	v_mul_f32_e32 v35, v18, v35
	v_fma_f32 v40, v18, v34, -v40
	v_fmac_f32_e32 v35, v19, v34
	v_add_f32_e32 v34, v17, v40
	v_add_f32_e32 v35, v16, v35
	v_mul_f32_e32 v16, v19, v37
	v_mul_f32_e32 v17, v18, v37
	v_fma_f32 v16, v18, v36, -v16
	v_fmac_f32_e32 v17, v19, v36
	v_add_f32_e32 v19, v15, v16
	v_add_f32_e32 v10, v10, v17
	ds_read2_b64 v[15:18], v13 offset0:32 offset1:48
	s_waitcnt lgkmcnt(0)
	v_mul_f32_e32 v36, v25, v16
	v_fma_f32 v36, v24, v15, -v36
	v_add_f32_e32 v36, v38, v36
	v_mul_f32_e32 v38, v25, v18
	v_mul_f32_e32 v37, v24, v16
	v_fma_f32 v38, v24, v17, -v38
	v_mul_f32_e32 v24, v24, v18
	v_fmac_f32_e32 v24, v25, v17
	v_add_f32_e32 v23, v23, v24
	v_mul_f32_e32 v24, v21, v16
	v_mul_f32_e32 v16, v20, v16
	v_fmac_f32_e32 v16, v21, v15
	v_fmac_f32_e32 v37, v25, v15
	v_fma_f32 v24, v20, v15, -v24
	v_add_f32_e32 v25, v35, v16
	v_mul_f32_e32 v15, v21, v18
	v_mul_f32_e32 v16, v20, v18
	v_fma_f32 v15, v20, v17, -v15
	v_fmac_f32_e32 v16, v21, v17
	v_add_f32_e32 v24, v34, v24
	v_add_f32_e32 v34, v19, v15
	;; [unrolled: 1-line block ×3, first 2 shown]
	ds_read2_b64 v[15:18], v13 offset0:64 offset1:80
	v_add_f32_e32 v37, v39, v37
	v_add_f32_e32 v22, v22, v38
	s_waitcnt lgkmcnt(0)
	v_mul_f32_e32 v19, v27, v16
	v_mul_f32_e32 v20, v26, v16
	v_fma_f32 v19, v26, v15, -v19
	v_fmac_f32_e32 v20, v27, v15
	v_add_f32_e32 v35, v36, v19
	v_add_f32_e32 v36, v37, v20
	v_mul_f32_e32 v19, v27, v18
	v_mul_f32_e32 v20, v26, v18
	v_fma_f32 v19, v26, v17, -v19
	v_fmac_f32_e32 v20, v27, v17
	v_add_f32_e32 v26, v22, v19
	v_add_f32_e32 v23, v23, v20
	ds_read_b128 v[19:22], v14 offset:1040
	s_waitcnt lgkmcnt(0)
	v_mul_f32_e32 v27, v20, v16
	v_mul_f32_e32 v16, v19, v16
	v_fmac_f32_e32 v16, v20, v15
	v_fma_f32 v27, v19, v15, -v27
	v_add_f32_e32 v25, v25, v16
	v_mul_f32_e32 v15, v20, v18
	v_mul_f32_e32 v16, v19, v18
	v_fma_f32 v15, v19, v17, -v15
	v_fmac_f32_e32 v16, v20, v17
	v_add_f32_e32 v19, v34, v15
	v_add_f32_e32 v10, v10, v16
	ds_read2_b64 v[15:18], v13 offset0:96 offset1:112
	v_add_f32_e32 v24, v24, v27
	s_waitcnt lgkmcnt(0)
	v_mul_f32_e32 v20, v29, v16
	v_mul_f32_e32 v34, v29, v18
	v_fma_f32 v20, v28, v15, -v20
	v_mul_f32_e32 v27, v28, v16
	v_fma_f32 v34, v28, v17, -v34
	v_mul_f32_e32 v28, v28, v18
	v_fmac_f32_e32 v28, v29, v17
	v_add_f32_e32 v23, v23, v28
	v_mul_f32_e32 v28, v22, v16
	v_mul_f32_e32 v16, v21, v16
	v_fmac_f32_e32 v16, v22, v15
	v_fmac_f32_e32 v27, v29, v15
	v_fma_f32 v28, v21, v15, -v28
	v_add_f32_e32 v25, v25, v16
	v_mul_f32_e32 v15, v22, v18
	v_mul_f32_e32 v16, v21, v18
	v_fma_f32 v15, v21, v17, -v15
	v_fmac_f32_e32 v16, v22, v17
	v_add_f32_e32 v24, v24, v28
	v_add_f32_e32 v28, v19, v15
	;; [unrolled: 1-line block ×3, first 2 shown]
	ds_read2_b64 v[15:18], v13 offset0:128 offset1:144
	v_add_f32_e32 v20, v35, v20
	v_add_f32_e32 v27, v36, v27
	;; [unrolled: 1-line block ×3, first 2 shown]
	s_waitcnt lgkmcnt(0)
	v_mul_f32_e32 v19, v31, v16
	v_fma_f32 v19, v30, v15, -v19
	v_mul_f32_e32 v21, v30, v16
	v_add_f32_e32 v29, v20, v19
	v_mul_f32_e32 v19, v31, v18
	v_mul_f32_e32 v20, v30, v18
	v_fmac_f32_e32 v21, v31, v15
	v_fma_f32 v19, v30, v17, -v19
	v_fmac_f32_e32 v20, v31, v17
	v_add_f32_e32 v27, v27, v21
	v_add_f32_e32 v26, v26, v19
	;; [unrolled: 1-line block ×3, first 2 shown]
	ds_read_b128 v[19:22], v14 offset:1056
	s_waitcnt lgkmcnt(0)
	v_mul_f32_e32 v30, v20, v16
	v_mul_f32_e32 v16, v19, v16
	v_fmac_f32_e32 v16, v20, v15
	v_fma_f32 v30, v19, v15, -v30
	v_add_f32_e32 v25, v25, v16
	v_mul_f32_e32 v15, v20, v18
	v_mul_f32_e32 v16, v19, v18
	v_fma_f32 v15, v19, v17, -v15
	v_fmac_f32_e32 v16, v20, v17
	v_add_f32_e32 v19, v28, v15
	v_add_f32_e32 v10, v10, v16
	ds_read2_b64 v[15:18], v13 offset0:160 offset1:176
	v_add_f32_e32 v24, v24, v30
	s_waitcnt lgkmcnt(0)
	v_mul_f32_e32 v28, v32, v16
	v_fmac_f32_e32 v28, v33, v15
	v_add_f32_e32 v27, v27, v28
	v_mul_f32_e32 v28, v33, v18
	v_fma_f32 v28, v32, v17, -v28
	v_mul_f32_e32 v20, v33, v16
	v_add_f32_e32 v26, v26, v28
	v_mul_f32_e32 v28, v22, v16
	v_mul_f32_e32 v16, v21, v16
	v_fmac_f32_e32 v16, v22, v15
	v_fma_f32 v20, v32, v15, -v20
	v_fma_f32 v28, v21, v15, -v28
	v_add_f32_e32 v25, v25, v16
	v_mul_f32_e32 v15, v22, v18
	v_mul_f32_e32 v16, v21, v18
	v_add_f32_e32 v20, v29, v20
	v_mul_f32_e32 v29, v32, v18
	v_fma_f32 v15, v21, v17, -v15
	v_fmac_f32_e32 v16, v22, v17
	v_fmac_f32_e32 v29, v33, v17
	v_add_f32_e32 v19, v19, v15
	v_add_f32_e32 v10, v10, v16
	ds_read2_b64 v[15:18], v13 offset0:192 offset1:208
	v_add_f32_e32 v24, v24, v28
	v_add_f32_e32 v23, v23, v29
	s_waitcnt lgkmcnt(0)
	v_mul_f32_e32 v21, v3, v16
	v_fma_f32 v21, v2, v15, -v21
	v_add_f32_e32 v28, v20, v21
	v_mul_f32_e32 v20, v3, v18
	v_mul_f32_e32 v22, v2, v16
	v_fma_f32 v20, v2, v17, -v20
	v_mul_f32_e32 v2, v2, v18
	v_fmac_f32_e32 v22, v3, v15
	v_fmac_f32_e32 v2, v3, v17
	v_add_f32_e32 v29, v27, v22
	v_add_f32_e32 v3, v26, v20
	;; [unrolled: 1-line block ×3, first 2 shown]
	ds_read_b128 v[20:23], v14 offset:1072
	s_waitcnt lgkmcnt(0)
	v_mul_f32_e32 v26, v21, v16
	v_fma_f32 v26, v20, v15, -v26
	v_mul_f32_e32 v16, v20, v16
	v_fmac_f32_e32 v16, v21, v15
	v_add_f32_e32 v15, v24, v26
	v_mul_f32_e32 v24, v21, v18
	v_fma_f32 v24, v20, v17, -v24
	v_add_f32_e32 v16, v25, v16
	v_add_f32_e32 v30, v19, v24
	ds_read2_b64 v[24:27], v13 offset0:224 offset1:240
	v_mul_f32_e32 v18, v20, v18
	v_fmac_f32_e32 v18, v21, v17
	v_add_f32_e32 v10, v10, v18
	s_waitcnt lgkmcnt(0)
	v_mul_f32_e32 v17, v5, v25
	v_fma_f32 v17, v4, v24, -v17
	v_add_f32_e32 v20, v28, v17
	v_mul_f32_e32 v17, v5, v27
	v_mul_f32_e32 v18, v4, v25
	v_fma_f32 v17, v4, v26, -v17
	v_mul_f32_e32 v4, v4, v27
	v_fmac_f32_e32 v18, v5, v24
	v_fmac_f32_e32 v4, v5, v26
	v_add_f32_e32 v21, v29, v18
	v_add_f32_e32 v19, v3, v17
	;; [unrolled: 1-line block ×3, first 2 shown]
	v_mul_f32_e32 v2, v23, v25
	v_mul_f32_e32 v3, v22, v25
	v_fma_f32 v2, v22, v24, -v2
	v_fmac_f32_e32 v3, v23, v24
	v_add_f32_e32 v17, v15, v2
	v_add_f32_e32 v16, v16, v3
	v_mul_f32_e32 v2, v23, v27
	v_mul_f32_e32 v3, v22, v27
	v_fma_f32 v2, v22, v26, -v2
	v_fmac_f32_e32 v3, v23, v26
	v_add_f32_e32 v15, v30, v2
	v_add_f32_e32 v10, v10, v3
	s_barrier
	s_cbranch_scc0 .LBB636_2
	s_branch .LBB636_4
.LBB636_3:
	v_mov_b32_e32 v20, 0
	v_mov_b32_e32 v21, 0
	;; [unrolled: 1-line block ×8, first 2 shown]
.LBB636_4:
	s_load_dword s6, s[4:5], 0x40
	v_add_u32_e32 v4, s3, v1
	s_waitcnt lgkmcnt(0)
	v_mov_b32_e32 v3, s11
	v_add_u32_e32 v0, s2, v0
	v_mad_i64_i32 v[1:2], s[0:1], v4, s6, 0
	v_cmp_le_i32_e64 s[0:1], v4, v0
	v_lshlrev_b64 v[1:2], 3, v[1:2]
	v_add_co_u32_e32 v5, vcc, s10, v1
	v_addc_co_u32_e32 v6, vcc, v3, v2, vcc
	v_cmp_gt_i32_e32 vcc, s12, v0
	s_and_b64 s[0:1], s[0:1], vcc
	s_and_saveexec_b64 s[2:3], s[0:1]
	s_cbranch_execz .LBB636_6
; %bb.5:
	v_ashrrev_i32_e32 v1, 31, v0
	v_lshlrev_b64 v[7:8], 3, v[0:1]
	v_xor_b32_e32 v2, 0x80000000, v20
	v_add_co_u32_e64 v7, s[0:1], v5, v7
	v_xor_b32_e32 v3, 0x80000000, v21
	v_addc_co_u32_e64 v8, s[0:1], v6, v8, s[0:1]
	flat_store_dwordx2 v[7:8], v[2:3]
.LBB636_6:
	s_or_b64 exec, exec, s[2:3]
	v_add_u32_e32 v2, 16, v0
	v_cmp_le_i32_e64 s[2:3], v4, v2
	v_cmp_gt_i32_e64 s[0:1], s12, v2
	s_and_b64 s[2:3], s[2:3], s[0:1]
	s_and_saveexec_b64 s[4:5], s[2:3]
	s_cbranch_execz .LBB636_8
; %bb.7:
	v_ashrrev_i32_e32 v3, 31, v2
	v_lshlrev_b64 v[11:12], 3, v[2:3]
	v_xor_b32_e32 v7, 0x80000000, v19
	v_add_co_u32_e64 v5, s[2:3], v5, v11
	v_xor_b32_e32 v8, 0x80000000, v18
	v_addc_co_u32_e64 v6, s[2:3], v6, v12, s[2:3]
	flat_store_dwordx2 v[5:6], v[7:8]
.LBB636_8:
	s_or_b64 exec, exec, s[4:5]
	v_add_u32_e32 v3, 16, v4
	v_mad_i64_i32 v[4:5], s[2:3], v3, s6, 0
	v_mov_b32_e32 v1, s11
	v_lshlrev_b64 v[4:5], 3, v[4:5]
	v_add_co_u32_e64 v4, s[2:3], s10, v4
	v_addc_co_u32_e64 v5, s[2:3], v1, v5, s[2:3]
	v_cmp_le_i32_e64 s[2:3], v3, v0
	s_and_b64 s[4:5], s[2:3], vcc
	s_and_saveexec_b64 s[2:3], s[4:5]
	s_cbranch_execz .LBB636_10
; %bb.9:
	v_ashrrev_i32_e32 v1, 31, v0
	v_lshlrev_b64 v[0:1], 3, v[0:1]
	v_xor_b32_e32 v6, 0x80000000, v17
	v_add_co_u32_e32 v0, vcc, v4, v0
	v_xor_b32_e32 v7, 0x80000000, v16
	v_addc_co_u32_e32 v1, vcc, v5, v1, vcc
	flat_store_dwordx2 v[0:1], v[6:7]
.LBB636_10:
	s_or_b64 exec, exec, s[2:3]
	v_cmp_le_i32_e32 vcc, v3, v2
	s_and_b64 s[0:1], vcc, s[0:1]
	s_and_saveexec_b64 s[2:3], s[0:1]
	s_cbranch_execz .LBB636_12
; %bb.11:
	v_ashrrev_i32_e32 v3, 31, v2
	v_lshlrev_b64 v[2:3], 3, v[2:3]
	v_xor_b32_e32 v0, 0x80000000, v15
	v_add_co_u32_e32 v2, vcc, v4, v2
	v_xor_b32_e32 v1, 0x80000000, v10
	v_addc_co_u32_e32 v3, vcc, v5, v3, vcc
	flat_store_dwordx2 v[2:3], v[0:1]
.LBB636_12:
	s_endpgm
	.section	.rodata,"a",@progbits
	.p2align	6, 0x0
	.amdhsa_kernel _ZL37rocblas_syrkx_herkx_restricted_kernelIi19rocblas_complex_numIfELi16ELi32ELi8ELin1ELi0ELb0ELc84ELc76EKPKS1_KPS1_EviT_PT9_S7_lS9_S7_lPT10_S7_li
		.amdhsa_group_segment_fixed_size 4096
		.amdhsa_private_segment_fixed_size 0
		.amdhsa_kernarg_size 84
		.amdhsa_user_sgpr_count 6
		.amdhsa_user_sgpr_private_segment_buffer 1
		.amdhsa_user_sgpr_dispatch_ptr 0
		.amdhsa_user_sgpr_queue_ptr 0
		.amdhsa_user_sgpr_kernarg_segment_ptr 1
		.amdhsa_user_sgpr_dispatch_id 0
		.amdhsa_user_sgpr_flat_scratch_init 0
		.amdhsa_user_sgpr_private_segment_size 0
		.amdhsa_uses_dynamic_stack 0
		.amdhsa_system_sgpr_private_segment_wavefront_offset 0
		.amdhsa_system_sgpr_workgroup_id_x 1
		.amdhsa_system_sgpr_workgroup_id_y 1
		.amdhsa_system_sgpr_workgroup_id_z 1
		.amdhsa_system_sgpr_workgroup_info 0
		.amdhsa_system_vgpr_workitem_id 1
		.amdhsa_next_free_vgpr 41
		.amdhsa_next_free_sgpr 17
		.amdhsa_reserve_vcc 1
		.amdhsa_reserve_flat_scratch 0
		.amdhsa_float_round_mode_32 0
		.amdhsa_float_round_mode_16_64 0
		.amdhsa_float_denorm_mode_32 3
		.amdhsa_float_denorm_mode_16_64 3
		.amdhsa_dx10_clamp 1
		.amdhsa_ieee_mode 1
		.amdhsa_fp16_overflow 0
		.amdhsa_exception_fp_ieee_invalid_op 0
		.amdhsa_exception_fp_denorm_src 0
		.amdhsa_exception_fp_ieee_div_zero 0
		.amdhsa_exception_fp_ieee_overflow 0
		.amdhsa_exception_fp_ieee_underflow 0
		.amdhsa_exception_fp_ieee_inexact 0
		.amdhsa_exception_int_div_zero 0
	.end_amdhsa_kernel
	.section	.text._ZL37rocblas_syrkx_herkx_restricted_kernelIi19rocblas_complex_numIfELi16ELi32ELi8ELin1ELi0ELb0ELc84ELc76EKPKS1_KPS1_EviT_PT9_S7_lS9_S7_lPT10_S7_li,"axG",@progbits,_ZL37rocblas_syrkx_herkx_restricted_kernelIi19rocblas_complex_numIfELi16ELi32ELi8ELin1ELi0ELb0ELc84ELc76EKPKS1_KPS1_EviT_PT9_S7_lS9_S7_lPT10_S7_li,comdat
.Lfunc_end636:
	.size	_ZL37rocblas_syrkx_herkx_restricted_kernelIi19rocblas_complex_numIfELi16ELi32ELi8ELin1ELi0ELb0ELc84ELc76EKPKS1_KPS1_EviT_PT9_S7_lS9_S7_lPT10_S7_li, .Lfunc_end636-_ZL37rocblas_syrkx_herkx_restricted_kernelIi19rocblas_complex_numIfELi16ELi32ELi8ELin1ELi0ELb0ELc84ELc76EKPKS1_KPS1_EviT_PT9_S7_lS9_S7_lPT10_S7_li
                                        ; -- End function
	.set _ZL37rocblas_syrkx_herkx_restricted_kernelIi19rocblas_complex_numIfELi16ELi32ELi8ELin1ELi0ELb0ELc84ELc76EKPKS1_KPS1_EviT_PT9_S7_lS9_S7_lPT10_S7_li.num_vgpr, 41
	.set _ZL37rocblas_syrkx_herkx_restricted_kernelIi19rocblas_complex_numIfELi16ELi32ELi8ELin1ELi0ELb0ELc84ELc76EKPKS1_KPS1_EviT_PT9_S7_lS9_S7_lPT10_S7_li.num_agpr, 0
	.set _ZL37rocblas_syrkx_herkx_restricted_kernelIi19rocblas_complex_numIfELi16ELi32ELi8ELin1ELi0ELb0ELc84ELc76EKPKS1_KPS1_EviT_PT9_S7_lS9_S7_lPT10_S7_li.numbered_sgpr, 17
	.set _ZL37rocblas_syrkx_herkx_restricted_kernelIi19rocblas_complex_numIfELi16ELi32ELi8ELin1ELi0ELb0ELc84ELc76EKPKS1_KPS1_EviT_PT9_S7_lS9_S7_lPT10_S7_li.num_named_barrier, 0
	.set _ZL37rocblas_syrkx_herkx_restricted_kernelIi19rocblas_complex_numIfELi16ELi32ELi8ELin1ELi0ELb0ELc84ELc76EKPKS1_KPS1_EviT_PT9_S7_lS9_S7_lPT10_S7_li.private_seg_size, 0
	.set _ZL37rocblas_syrkx_herkx_restricted_kernelIi19rocblas_complex_numIfELi16ELi32ELi8ELin1ELi0ELb0ELc84ELc76EKPKS1_KPS1_EviT_PT9_S7_lS9_S7_lPT10_S7_li.uses_vcc, 1
	.set _ZL37rocblas_syrkx_herkx_restricted_kernelIi19rocblas_complex_numIfELi16ELi32ELi8ELin1ELi0ELb0ELc84ELc76EKPKS1_KPS1_EviT_PT9_S7_lS9_S7_lPT10_S7_li.uses_flat_scratch, 0
	.set _ZL37rocblas_syrkx_herkx_restricted_kernelIi19rocblas_complex_numIfELi16ELi32ELi8ELin1ELi0ELb0ELc84ELc76EKPKS1_KPS1_EviT_PT9_S7_lS9_S7_lPT10_S7_li.has_dyn_sized_stack, 0
	.set _ZL37rocblas_syrkx_herkx_restricted_kernelIi19rocblas_complex_numIfELi16ELi32ELi8ELin1ELi0ELb0ELc84ELc76EKPKS1_KPS1_EviT_PT9_S7_lS9_S7_lPT10_S7_li.has_recursion, 0
	.set _ZL37rocblas_syrkx_herkx_restricted_kernelIi19rocblas_complex_numIfELi16ELi32ELi8ELin1ELi0ELb0ELc84ELc76EKPKS1_KPS1_EviT_PT9_S7_lS9_S7_lPT10_S7_li.has_indirect_call, 0
	.section	.AMDGPU.csdata,"",@progbits
; Kernel info:
; codeLenInByte = 1884
; TotalNumSgprs: 21
; NumVgprs: 41
; ScratchSize: 0
; MemoryBound: 0
; FloatMode: 240
; IeeeMode: 1
; LDSByteSize: 4096 bytes/workgroup (compile time only)
; SGPRBlocks: 2
; VGPRBlocks: 10
; NumSGPRsForWavesPerEU: 21
; NumVGPRsForWavesPerEU: 41
; Occupancy: 5
; WaveLimiterHint : 1
; COMPUTE_PGM_RSRC2:SCRATCH_EN: 0
; COMPUTE_PGM_RSRC2:USER_SGPR: 6
; COMPUTE_PGM_RSRC2:TRAP_HANDLER: 0
; COMPUTE_PGM_RSRC2:TGID_X_EN: 1
; COMPUTE_PGM_RSRC2:TGID_Y_EN: 1
; COMPUTE_PGM_RSRC2:TGID_Z_EN: 1
; COMPUTE_PGM_RSRC2:TIDIG_COMP_CNT: 1
	.section	.text._ZL37rocblas_syrkx_herkx_restricted_kernelIi19rocblas_complex_numIfELi16ELi32ELi8ELin1ELi0ELb0ELc67ELc76EKPKS1_KPS1_EviT_PT9_S7_lS9_S7_lPT10_S7_li,"axG",@progbits,_ZL37rocblas_syrkx_herkx_restricted_kernelIi19rocblas_complex_numIfELi16ELi32ELi8ELin1ELi0ELb0ELc67ELc76EKPKS1_KPS1_EviT_PT9_S7_lS9_S7_lPT10_S7_li,comdat
	.globl	_ZL37rocblas_syrkx_herkx_restricted_kernelIi19rocblas_complex_numIfELi16ELi32ELi8ELin1ELi0ELb0ELc67ELc76EKPKS1_KPS1_EviT_PT9_S7_lS9_S7_lPT10_S7_li ; -- Begin function _ZL37rocblas_syrkx_herkx_restricted_kernelIi19rocblas_complex_numIfELi16ELi32ELi8ELin1ELi0ELb0ELc67ELc76EKPKS1_KPS1_EviT_PT9_S7_lS9_S7_lPT10_S7_li
	.p2align	8
	.type	_ZL37rocblas_syrkx_herkx_restricted_kernelIi19rocblas_complex_numIfELi16ELi32ELi8ELin1ELi0ELb0ELc67ELc76EKPKS1_KPS1_EviT_PT9_S7_lS9_S7_lPT10_S7_li,@function
_ZL37rocblas_syrkx_herkx_restricted_kernelIi19rocblas_complex_numIfELi16ELi32ELi8ELin1ELi0ELb0ELc67ELc76EKPKS1_KPS1_EviT_PT9_S7_lS9_S7_lPT10_S7_li: ; @_ZL37rocblas_syrkx_herkx_restricted_kernelIi19rocblas_complex_numIfELi16ELi32ELi8ELin1ELi0ELb0ELc67ELc76EKPKS1_KPS1_EviT_PT9_S7_lS9_S7_lPT10_S7_li
; %bb.0:
	s_load_dwordx2 s[2:3], s[4:5], 0x38
	s_load_dwordx2 s[12:13], s[4:5], 0x0
	s_mov_b32 s9, 0
	s_lshl_b64 s[0:1], s[8:9], 3
	s_waitcnt lgkmcnt(0)
	s_add_u32 s2, s2, s0
	s_addc_u32 s3, s3, s1
	s_load_dwordx2 s[10:11], s[2:3], 0x0
	s_lshl_b32 s2, s6, 5
	s_lshl_b32 s3, s7, 5
	s_cmp_lt_i32 s13, 1
	s_cbranch_scc1 .LBB637_3
; %bb.1:
	v_lshl_add_u32 v4, v1, 4, v0
	s_load_dwordx2 s[6:7], s[4:5], 0x8
	s_load_dword s8, s[4:5], 0x10
	s_load_dwordx2 s[14:15], s[4:5], 0x20
	s_load_dword s16, s[4:5], 0x28
	v_and_b32_e32 v7, 31, v4
	v_lshrrev_b32_e32 v6, 3, v4
	v_and_b32_e32 v9, 7, v0
	v_lshrrev_b32_e32 v4, 5, v4
	v_lshlrev_b32_e32 v8, 3, v7
	s_waitcnt lgkmcnt(0)
	s_add_u32 s6, s6, s0
	v_lshl_or_b32 v11, v4, 8, v8
	v_lshlrev_b32_e32 v8, 3, v9
	s_addc_u32 s7, s7, s1
	v_add_u32_e32 v2, s3, v6
	v_mov_b32_e32 v10, 0
	v_lshl_or_b32 v6, v6, 6, v8
	s_add_u32 s0, s14, s0
	v_mov_b32_e32 v5, v10
	v_add_u32_e32 v12, 0x800, v6
	v_add_u32_e32 v6, s2, v7
	s_addc_u32 s1, s15, s1
	v_mad_i64_i32 v[4:5], s[14:15], s8, v6, v[4:5]
	s_load_dwordx2 s[6:7], s[6:7], 0x0
	v_mad_i64_i32 v[2:3], s[14:15], s16, v2, v[9:10]
	s_load_dwordx2 s[0:1], s[0:1], 0x0
	v_lshlrev_b64 v[4:5], 3, v[4:5]
	v_mov_b32_e32 v6, 0x800
	v_lshl_add_u32 v14, v1, 6, v6
	s_waitcnt lgkmcnt(0)
	v_mov_b32_e32 v7, s7
	v_add_co_u32_e32 v6, vcc, s6, v4
	v_lshlrev_b64 v[2:3], 3, v[2:3]
	v_addc_co_u32_e32 v7, vcc, v7, v5, vcc
	v_mov_b32_e32 v4, s1
	v_add_co_u32_e32 v8, vcc, s0, v2
	v_lshlrev_b32_e32 v13, 3, v0
	v_addc_co_u32_e32 v9, vcc, v4, v3, vcc
	v_mov_b32_e32 v15, v10
	v_mov_b32_e32 v16, v10
	;; [unrolled: 1-line block ×7, first 2 shown]
.LBB637_2:                              ; =>This Inner Loop Header: Depth=1
	flat_load_dwordx2 v[2:3], v[6:7]
	v_add_co_u32_e32 v6, vcc, 64, v6
	v_addc_co_u32_e32 v7, vcc, 0, v7, vcc
	s_add_i32 s9, s9, 8
	s_cmp_ge_i32 s9, s13
	s_waitcnt vmcnt(0) lgkmcnt(0)
	ds_write_b64 v11, v[2:3]
	flat_load_dwordx2 v[2:3], v[8:9]
	v_add_co_u32_e32 v8, vcc, 64, v8
	v_addc_co_u32_e32 v9, vcc, 0, v9, vcc
	s_waitcnt vmcnt(0) lgkmcnt(0)
	ds_write_b64 v12, v[2:3]
	s_waitcnt lgkmcnt(0)
	s_barrier
	ds_read_b128 v[22:25], v14
	ds_read_b128 v[26:29], v14 offset:16
	ds_read_b128 v[30:33], v14 offset:32
	ds_read_b128 v[2:5], v14 offset:48
	ds_read2_b64 v[34:37], v13 offset1:16
	s_waitcnt lgkmcnt(0)
	v_mul_f32_e32 v38, v23, v35
	v_mul_f32_e32 v39, v22, v35
	v_fma_f32 v38, v22, v34, -v38
	v_fmac_f32_e32 v39, v23, v34
	v_add_f32_e32 v38, v20, v38
	v_add_f32_e32 v39, v21, v39
	v_mul_f32_e32 v20, v23, v37
	v_mul_f32_e32 v21, v22, v37
	v_fma_f32 v20, v22, v36, -v20
	v_fmac_f32_e32 v21, v23, v36
	v_add_f32_e32 v22, v19, v20
	v_add_f32_e32 v23, v18, v21
	ds_read_b128 v[18:21], v14 offset:1024
	s_waitcnt lgkmcnt(0)
	v_mul_f32_e32 v40, v19, v35
	v_mul_f32_e32 v35, v18, v35
	v_fma_f32 v40, v18, v34, -v40
	v_fmac_f32_e32 v35, v19, v34
	v_add_f32_e32 v34, v17, v40
	v_add_f32_e32 v35, v16, v35
	v_mul_f32_e32 v16, v19, v37
	v_mul_f32_e32 v17, v18, v37
	v_fma_f32 v16, v18, v36, -v16
	v_fmac_f32_e32 v17, v19, v36
	v_add_f32_e32 v19, v15, v16
	v_add_f32_e32 v10, v10, v17
	ds_read2_b64 v[15:18], v13 offset0:32 offset1:48
	s_waitcnt lgkmcnt(0)
	v_mul_f32_e32 v36, v25, v16
	v_fma_f32 v36, v24, v15, -v36
	v_add_f32_e32 v36, v38, v36
	v_mul_f32_e32 v38, v25, v18
	v_mul_f32_e32 v37, v24, v16
	v_fma_f32 v38, v24, v17, -v38
	v_mul_f32_e32 v24, v24, v18
	v_fmac_f32_e32 v24, v25, v17
	v_add_f32_e32 v23, v23, v24
	v_mul_f32_e32 v24, v21, v16
	v_mul_f32_e32 v16, v20, v16
	v_fmac_f32_e32 v16, v21, v15
	v_fmac_f32_e32 v37, v25, v15
	v_fma_f32 v24, v20, v15, -v24
	v_add_f32_e32 v25, v35, v16
	v_mul_f32_e32 v15, v21, v18
	v_mul_f32_e32 v16, v20, v18
	v_fma_f32 v15, v20, v17, -v15
	v_fmac_f32_e32 v16, v21, v17
	v_add_f32_e32 v24, v34, v24
	v_add_f32_e32 v34, v19, v15
	;; [unrolled: 1-line block ×3, first 2 shown]
	ds_read2_b64 v[15:18], v13 offset0:64 offset1:80
	v_add_f32_e32 v37, v39, v37
	v_add_f32_e32 v22, v22, v38
	s_waitcnt lgkmcnt(0)
	v_mul_f32_e32 v19, v27, v16
	v_mul_f32_e32 v20, v26, v16
	v_fma_f32 v19, v26, v15, -v19
	v_fmac_f32_e32 v20, v27, v15
	v_add_f32_e32 v35, v36, v19
	v_add_f32_e32 v36, v37, v20
	v_mul_f32_e32 v19, v27, v18
	v_mul_f32_e32 v20, v26, v18
	v_fma_f32 v19, v26, v17, -v19
	v_fmac_f32_e32 v20, v27, v17
	v_add_f32_e32 v26, v22, v19
	v_add_f32_e32 v23, v23, v20
	ds_read_b128 v[19:22], v14 offset:1040
	s_waitcnt lgkmcnt(0)
	v_mul_f32_e32 v27, v20, v16
	v_mul_f32_e32 v16, v19, v16
	v_fmac_f32_e32 v16, v20, v15
	v_fma_f32 v27, v19, v15, -v27
	v_add_f32_e32 v25, v25, v16
	v_mul_f32_e32 v15, v20, v18
	v_mul_f32_e32 v16, v19, v18
	v_fma_f32 v15, v19, v17, -v15
	v_fmac_f32_e32 v16, v20, v17
	v_add_f32_e32 v19, v34, v15
	v_add_f32_e32 v10, v10, v16
	ds_read2_b64 v[15:18], v13 offset0:96 offset1:112
	v_add_f32_e32 v24, v24, v27
	s_waitcnt lgkmcnt(0)
	v_mul_f32_e32 v20, v29, v16
	v_mul_f32_e32 v34, v29, v18
	v_fma_f32 v20, v28, v15, -v20
	v_mul_f32_e32 v27, v28, v16
	v_fma_f32 v34, v28, v17, -v34
	v_mul_f32_e32 v28, v28, v18
	v_fmac_f32_e32 v28, v29, v17
	v_add_f32_e32 v23, v23, v28
	v_mul_f32_e32 v28, v22, v16
	v_mul_f32_e32 v16, v21, v16
	v_fmac_f32_e32 v16, v22, v15
	v_fmac_f32_e32 v27, v29, v15
	v_fma_f32 v28, v21, v15, -v28
	v_add_f32_e32 v25, v25, v16
	v_mul_f32_e32 v15, v22, v18
	v_mul_f32_e32 v16, v21, v18
	v_fma_f32 v15, v21, v17, -v15
	v_fmac_f32_e32 v16, v22, v17
	v_add_f32_e32 v24, v24, v28
	v_add_f32_e32 v28, v19, v15
	;; [unrolled: 1-line block ×3, first 2 shown]
	ds_read2_b64 v[15:18], v13 offset0:128 offset1:144
	v_add_f32_e32 v20, v35, v20
	v_add_f32_e32 v27, v36, v27
	;; [unrolled: 1-line block ×3, first 2 shown]
	s_waitcnt lgkmcnt(0)
	v_mul_f32_e32 v19, v31, v16
	v_fma_f32 v19, v30, v15, -v19
	v_mul_f32_e32 v21, v30, v16
	v_add_f32_e32 v29, v20, v19
	v_mul_f32_e32 v19, v31, v18
	v_mul_f32_e32 v20, v30, v18
	v_fmac_f32_e32 v21, v31, v15
	v_fma_f32 v19, v30, v17, -v19
	v_fmac_f32_e32 v20, v31, v17
	v_add_f32_e32 v27, v27, v21
	v_add_f32_e32 v26, v26, v19
	v_add_f32_e32 v23, v23, v20
	ds_read_b128 v[19:22], v14 offset:1056
	s_waitcnt lgkmcnt(0)
	v_mul_f32_e32 v30, v20, v16
	v_mul_f32_e32 v16, v19, v16
	v_fmac_f32_e32 v16, v20, v15
	v_fma_f32 v30, v19, v15, -v30
	v_add_f32_e32 v25, v25, v16
	v_mul_f32_e32 v15, v20, v18
	v_mul_f32_e32 v16, v19, v18
	v_fma_f32 v15, v19, v17, -v15
	v_fmac_f32_e32 v16, v20, v17
	v_add_f32_e32 v19, v28, v15
	v_add_f32_e32 v10, v10, v16
	ds_read2_b64 v[15:18], v13 offset0:160 offset1:176
	v_add_f32_e32 v24, v24, v30
	s_waitcnt lgkmcnt(0)
	v_mul_f32_e32 v28, v32, v16
	v_fmac_f32_e32 v28, v33, v15
	v_add_f32_e32 v27, v27, v28
	v_mul_f32_e32 v28, v33, v18
	v_fma_f32 v28, v32, v17, -v28
	v_mul_f32_e32 v20, v33, v16
	v_add_f32_e32 v26, v26, v28
	v_mul_f32_e32 v28, v22, v16
	v_mul_f32_e32 v16, v21, v16
	v_fmac_f32_e32 v16, v22, v15
	v_fma_f32 v20, v32, v15, -v20
	v_fma_f32 v28, v21, v15, -v28
	v_add_f32_e32 v25, v25, v16
	v_mul_f32_e32 v15, v22, v18
	v_mul_f32_e32 v16, v21, v18
	v_add_f32_e32 v20, v29, v20
	v_mul_f32_e32 v29, v32, v18
	v_fma_f32 v15, v21, v17, -v15
	v_fmac_f32_e32 v16, v22, v17
	v_fmac_f32_e32 v29, v33, v17
	v_add_f32_e32 v19, v19, v15
	v_add_f32_e32 v10, v10, v16
	ds_read2_b64 v[15:18], v13 offset0:192 offset1:208
	v_add_f32_e32 v24, v24, v28
	v_add_f32_e32 v23, v23, v29
	s_waitcnt lgkmcnt(0)
	v_mul_f32_e32 v21, v3, v16
	v_fma_f32 v21, v2, v15, -v21
	v_add_f32_e32 v28, v20, v21
	v_mul_f32_e32 v20, v3, v18
	v_mul_f32_e32 v22, v2, v16
	v_fma_f32 v20, v2, v17, -v20
	v_mul_f32_e32 v2, v2, v18
	v_fmac_f32_e32 v22, v3, v15
	v_fmac_f32_e32 v2, v3, v17
	v_add_f32_e32 v29, v27, v22
	v_add_f32_e32 v3, v26, v20
	;; [unrolled: 1-line block ×3, first 2 shown]
	ds_read_b128 v[20:23], v14 offset:1072
	s_waitcnt lgkmcnt(0)
	v_mul_f32_e32 v26, v21, v16
	v_fma_f32 v26, v20, v15, -v26
	v_mul_f32_e32 v16, v20, v16
	v_fmac_f32_e32 v16, v21, v15
	v_add_f32_e32 v15, v24, v26
	v_mul_f32_e32 v24, v21, v18
	v_fma_f32 v24, v20, v17, -v24
	v_add_f32_e32 v16, v25, v16
	v_add_f32_e32 v30, v19, v24
	ds_read2_b64 v[24:27], v13 offset0:224 offset1:240
	v_mul_f32_e32 v18, v20, v18
	v_fmac_f32_e32 v18, v21, v17
	v_add_f32_e32 v10, v10, v18
	s_waitcnt lgkmcnt(0)
	v_mul_f32_e32 v17, v5, v25
	v_fma_f32 v17, v4, v24, -v17
	v_add_f32_e32 v20, v28, v17
	v_mul_f32_e32 v17, v5, v27
	v_mul_f32_e32 v18, v4, v25
	v_fma_f32 v17, v4, v26, -v17
	v_mul_f32_e32 v4, v4, v27
	v_fmac_f32_e32 v18, v5, v24
	v_fmac_f32_e32 v4, v5, v26
	v_add_f32_e32 v21, v29, v18
	v_add_f32_e32 v19, v3, v17
	;; [unrolled: 1-line block ×3, first 2 shown]
	v_mul_f32_e32 v2, v23, v25
	v_mul_f32_e32 v3, v22, v25
	v_fma_f32 v2, v22, v24, -v2
	v_fmac_f32_e32 v3, v23, v24
	v_add_f32_e32 v17, v15, v2
	v_add_f32_e32 v16, v16, v3
	v_mul_f32_e32 v2, v23, v27
	v_mul_f32_e32 v3, v22, v27
	v_fma_f32 v2, v22, v26, -v2
	v_fmac_f32_e32 v3, v23, v26
	v_add_f32_e32 v15, v30, v2
	v_add_f32_e32 v10, v10, v3
	s_barrier
	s_cbranch_scc0 .LBB637_2
	s_branch .LBB637_4
.LBB637_3:
	v_mov_b32_e32 v20, 0
	v_mov_b32_e32 v21, 0
	;; [unrolled: 1-line block ×8, first 2 shown]
.LBB637_4:
	s_load_dword s6, s[4:5], 0x40
	v_add_u32_e32 v4, s3, v1
	s_waitcnt lgkmcnt(0)
	v_mov_b32_e32 v3, s11
	v_add_u32_e32 v0, s2, v0
	v_mad_i64_i32 v[1:2], s[0:1], v4, s6, 0
	v_cmp_le_i32_e64 s[0:1], v4, v0
	v_lshlrev_b64 v[1:2], 3, v[1:2]
	v_add_co_u32_e32 v5, vcc, s10, v1
	v_addc_co_u32_e32 v6, vcc, v3, v2, vcc
	v_cmp_gt_i32_e32 vcc, s12, v0
	s_and_b64 s[0:1], s[0:1], vcc
	s_and_saveexec_b64 s[2:3], s[0:1]
	s_cbranch_execz .LBB637_6
; %bb.5:
	v_ashrrev_i32_e32 v1, 31, v0
	v_lshlrev_b64 v[7:8], 3, v[0:1]
	v_xor_b32_e32 v2, 0x80000000, v20
	v_add_co_u32_e64 v7, s[0:1], v5, v7
	v_xor_b32_e32 v3, 0x80000000, v21
	v_addc_co_u32_e64 v8, s[0:1], v6, v8, s[0:1]
	flat_store_dwordx2 v[7:8], v[2:3]
.LBB637_6:
	s_or_b64 exec, exec, s[2:3]
	v_add_u32_e32 v2, 16, v0
	v_cmp_le_i32_e64 s[2:3], v4, v2
	v_cmp_gt_i32_e64 s[0:1], s12, v2
	s_and_b64 s[2:3], s[2:3], s[0:1]
	s_and_saveexec_b64 s[4:5], s[2:3]
	s_cbranch_execz .LBB637_8
; %bb.7:
	v_ashrrev_i32_e32 v3, 31, v2
	v_lshlrev_b64 v[11:12], 3, v[2:3]
	v_xor_b32_e32 v7, 0x80000000, v19
	v_add_co_u32_e64 v5, s[2:3], v5, v11
	v_xor_b32_e32 v8, 0x80000000, v18
	v_addc_co_u32_e64 v6, s[2:3], v6, v12, s[2:3]
	flat_store_dwordx2 v[5:6], v[7:8]
.LBB637_8:
	s_or_b64 exec, exec, s[4:5]
	v_add_u32_e32 v3, 16, v4
	v_mad_i64_i32 v[4:5], s[2:3], v3, s6, 0
	v_mov_b32_e32 v1, s11
	v_lshlrev_b64 v[4:5], 3, v[4:5]
	v_add_co_u32_e64 v4, s[2:3], s10, v4
	v_addc_co_u32_e64 v5, s[2:3], v1, v5, s[2:3]
	v_cmp_le_i32_e64 s[2:3], v3, v0
	s_and_b64 s[4:5], s[2:3], vcc
	s_and_saveexec_b64 s[2:3], s[4:5]
	s_cbranch_execz .LBB637_10
; %bb.9:
	v_ashrrev_i32_e32 v1, 31, v0
	v_lshlrev_b64 v[0:1], 3, v[0:1]
	v_xor_b32_e32 v6, 0x80000000, v17
	v_add_co_u32_e32 v0, vcc, v4, v0
	v_xor_b32_e32 v7, 0x80000000, v16
	v_addc_co_u32_e32 v1, vcc, v5, v1, vcc
	flat_store_dwordx2 v[0:1], v[6:7]
.LBB637_10:
	s_or_b64 exec, exec, s[2:3]
	v_cmp_le_i32_e32 vcc, v3, v2
	s_and_b64 s[0:1], vcc, s[0:1]
	s_and_saveexec_b64 s[2:3], s[0:1]
	s_cbranch_execz .LBB637_12
; %bb.11:
	v_ashrrev_i32_e32 v3, 31, v2
	v_lshlrev_b64 v[2:3], 3, v[2:3]
	v_xor_b32_e32 v0, 0x80000000, v15
	v_add_co_u32_e32 v2, vcc, v4, v2
	v_xor_b32_e32 v1, 0x80000000, v10
	v_addc_co_u32_e32 v3, vcc, v5, v3, vcc
	flat_store_dwordx2 v[2:3], v[0:1]
.LBB637_12:
	s_endpgm
	.section	.rodata,"a",@progbits
	.p2align	6, 0x0
	.amdhsa_kernel _ZL37rocblas_syrkx_herkx_restricted_kernelIi19rocblas_complex_numIfELi16ELi32ELi8ELin1ELi0ELb0ELc67ELc76EKPKS1_KPS1_EviT_PT9_S7_lS9_S7_lPT10_S7_li
		.amdhsa_group_segment_fixed_size 4096
		.amdhsa_private_segment_fixed_size 0
		.amdhsa_kernarg_size 84
		.amdhsa_user_sgpr_count 6
		.amdhsa_user_sgpr_private_segment_buffer 1
		.amdhsa_user_sgpr_dispatch_ptr 0
		.amdhsa_user_sgpr_queue_ptr 0
		.amdhsa_user_sgpr_kernarg_segment_ptr 1
		.amdhsa_user_sgpr_dispatch_id 0
		.amdhsa_user_sgpr_flat_scratch_init 0
		.amdhsa_user_sgpr_private_segment_size 0
		.amdhsa_uses_dynamic_stack 0
		.amdhsa_system_sgpr_private_segment_wavefront_offset 0
		.amdhsa_system_sgpr_workgroup_id_x 1
		.amdhsa_system_sgpr_workgroup_id_y 1
		.amdhsa_system_sgpr_workgroup_id_z 1
		.amdhsa_system_sgpr_workgroup_info 0
		.amdhsa_system_vgpr_workitem_id 1
		.amdhsa_next_free_vgpr 41
		.amdhsa_next_free_sgpr 17
		.amdhsa_reserve_vcc 1
		.amdhsa_reserve_flat_scratch 0
		.amdhsa_float_round_mode_32 0
		.amdhsa_float_round_mode_16_64 0
		.amdhsa_float_denorm_mode_32 3
		.amdhsa_float_denorm_mode_16_64 3
		.amdhsa_dx10_clamp 1
		.amdhsa_ieee_mode 1
		.amdhsa_fp16_overflow 0
		.amdhsa_exception_fp_ieee_invalid_op 0
		.amdhsa_exception_fp_denorm_src 0
		.amdhsa_exception_fp_ieee_div_zero 0
		.amdhsa_exception_fp_ieee_overflow 0
		.amdhsa_exception_fp_ieee_underflow 0
		.amdhsa_exception_fp_ieee_inexact 0
		.amdhsa_exception_int_div_zero 0
	.end_amdhsa_kernel
	.section	.text._ZL37rocblas_syrkx_herkx_restricted_kernelIi19rocblas_complex_numIfELi16ELi32ELi8ELin1ELi0ELb0ELc67ELc76EKPKS1_KPS1_EviT_PT9_S7_lS9_S7_lPT10_S7_li,"axG",@progbits,_ZL37rocblas_syrkx_herkx_restricted_kernelIi19rocblas_complex_numIfELi16ELi32ELi8ELin1ELi0ELb0ELc67ELc76EKPKS1_KPS1_EviT_PT9_S7_lS9_S7_lPT10_S7_li,comdat
.Lfunc_end637:
	.size	_ZL37rocblas_syrkx_herkx_restricted_kernelIi19rocblas_complex_numIfELi16ELi32ELi8ELin1ELi0ELb0ELc67ELc76EKPKS1_KPS1_EviT_PT9_S7_lS9_S7_lPT10_S7_li, .Lfunc_end637-_ZL37rocblas_syrkx_herkx_restricted_kernelIi19rocblas_complex_numIfELi16ELi32ELi8ELin1ELi0ELb0ELc67ELc76EKPKS1_KPS1_EviT_PT9_S7_lS9_S7_lPT10_S7_li
                                        ; -- End function
	.set _ZL37rocblas_syrkx_herkx_restricted_kernelIi19rocblas_complex_numIfELi16ELi32ELi8ELin1ELi0ELb0ELc67ELc76EKPKS1_KPS1_EviT_PT9_S7_lS9_S7_lPT10_S7_li.num_vgpr, 41
	.set _ZL37rocblas_syrkx_herkx_restricted_kernelIi19rocblas_complex_numIfELi16ELi32ELi8ELin1ELi0ELb0ELc67ELc76EKPKS1_KPS1_EviT_PT9_S7_lS9_S7_lPT10_S7_li.num_agpr, 0
	.set _ZL37rocblas_syrkx_herkx_restricted_kernelIi19rocblas_complex_numIfELi16ELi32ELi8ELin1ELi0ELb0ELc67ELc76EKPKS1_KPS1_EviT_PT9_S7_lS9_S7_lPT10_S7_li.numbered_sgpr, 17
	.set _ZL37rocblas_syrkx_herkx_restricted_kernelIi19rocblas_complex_numIfELi16ELi32ELi8ELin1ELi0ELb0ELc67ELc76EKPKS1_KPS1_EviT_PT9_S7_lS9_S7_lPT10_S7_li.num_named_barrier, 0
	.set _ZL37rocblas_syrkx_herkx_restricted_kernelIi19rocblas_complex_numIfELi16ELi32ELi8ELin1ELi0ELb0ELc67ELc76EKPKS1_KPS1_EviT_PT9_S7_lS9_S7_lPT10_S7_li.private_seg_size, 0
	.set _ZL37rocblas_syrkx_herkx_restricted_kernelIi19rocblas_complex_numIfELi16ELi32ELi8ELin1ELi0ELb0ELc67ELc76EKPKS1_KPS1_EviT_PT9_S7_lS9_S7_lPT10_S7_li.uses_vcc, 1
	.set _ZL37rocblas_syrkx_herkx_restricted_kernelIi19rocblas_complex_numIfELi16ELi32ELi8ELin1ELi0ELb0ELc67ELc76EKPKS1_KPS1_EviT_PT9_S7_lS9_S7_lPT10_S7_li.uses_flat_scratch, 0
	.set _ZL37rocblas_syrkx_herkx_restricted_kernelIi19rocblas_complex_numIfELi16ELi32ELi8ELin1ELi0ELb0ELc67ELc76EKPKS1_KPS1_EviT_PT9_S7_lS9_S7_lPT10_S7_li.has_dyn_sized_stack, 0
	.set _ZL37rocblas_syrkx_herkx_restricted_kernelIi19rocblas_complex_numIfELi16ELi32ELi8ELin1ELi0ELb0ELc67ELc76EKPKS1_KPS1_EviT_PT9_S7_lS9_S7_lPT10_S7_li.has_recursion, 0
	.set _ZL37rocblas_syrkx_herkx_restricted_kernelIi19rocblas_complex_numIfELi16ELi32ELi8ELin1ELi0ELb0ELc67ELc76EKPKS1_KPS1_EviT_PT9_S7_lS9_S7_lPT10_S7_li.has_indirect_call, 0
	.section	.AMDGPU.csdata,"",@progbits
; Kernel info:
; codeLenInByte = 1884
; TotalNumSgprs: 21
; NumVgprs: 41
; ScratchSize: 0
; MemoryBound: 0
; FloatMode: 240
; IeeeMode: 1
; LDSByteSize: 4096 bytes/workgroup (compile time only)
; SGPRBlocks: 2
; VGPRBlocks: 10
; NumSGPRsForWavesPerEU: 21
; NumVGPRsForWavesPerEU: 41
; Occupancy: 5
; WaveLimiterHint : 1
; COMPUTE_PGM_RSRC2:SCRATCH_EN: 0
; COMPUTE_PGM_RSRC2:USER_SGPR: 6
; COMPUTE_PGM_RSRC2:TRAP_HANDLER: 0
; COMPUTE_PGM_RSRC2:TGID_X_EN: 1
; COMPUTE_PGM_RSRC2:TGID_Y_EN: 1
; COMPUTE_PGM_RSRC2:TGID_Z_EN: 1
; COMPUTE_PGM_RSRC2:TIDIG_COMP_CNT: 1
	.section	.text._ZL37rocblas_syrkx_herkx_restricted_kernelIi19rocblas_complex_numIfELi16ELi32ELi8ELin1ELi0ELb0ELc78ELc76EKPKS1_KPS1_EviT_PT9_S7_lS9_S7_lPT10_S7_li,"axG",@progbits,_ZL37rocblas_syrkx_herkx_restricted_kernelIi19rocblas_complex_numIfELi16ELi32ELi8ELin1ELi0ELb0ELc78ELc76EKPKS1_KPS1_EviT_PT9_S7_lS9_S7_lPT10_S7_li,comdat
	.globl	_ZL37rocblas_syrkx_herkx_restricted_kernelIi19rocblas_complex_numIfELi16ELi32ELi8ELin1ELi0ELb0ELc78ELc76EKPKS1_KPS1_EviT_PT9_S7_lS9_S7_lPT10_S7_li ; -- Begin function _ZL37rocblas_syrkx_herkx_restricted_kernelIi19rocblas_complex_numIfELi16ELi32ELi8ELin1ELi0ELb0ELc78ELc76EKPKS1_KPS1_EviT_PT9_S7_lS9_S7_lPT10_S7_li
	.p2align	8
	.type	_ZL37rocblas_syrkx_herkx_restricted_kernelIi19rocblas_complex_numIfELi16ELi32ELi8ELin1ELi0ELb0ELc78ELc76EKPKS1_KPS1_EviT_PT9_S7_lS9_S7_lPT10_S7_li,@function
_ZL37rocblas_syrkx_herkx_restricted_kernelIi19rocblas_complex_numIfELi16ELi32ELi8ELin1ELi0ELb0ELc78ELc76EKPKS1_KPS1_EviT_PT9_S7_lS9_S7_lPT10_S7_li: ; @_ZL37rocblas_syrkx_herkx_restricted_kernelIi19rocblas_complex_numIfELi16ELi32ELi8ELin1ELi0ELb0ELc78ELc76EKPKS1_KPS1_EviT_PT9_S7_lS9_S7_lPT10_S7_li
; %bb.0:
	s_load_dwordx2 s[2:3], s[4:5], 0x38
	s_load_dwordx2 s[12:13], s[4:5], 0x0
	s_mov_b32 s9, 0
	s_lshl_b64 s[0:1], s[8:9], 3
	s_waitcnt lgkmcnt(0)
	s_add_u32 s2, s2, s0
	s_addc_u32 s3, s3, s1
	s_load_dwordx2 s[10:11], s[2:3], 0x0
	s_lshl_b32 s6, s6, 5
	s_lshl_b32 s7, s7, 5
	s_cmp_lt_i32 s13, 1
	s_cbranch_scc1 .LBB638_3
; %bb.1:
	s_load_dword s2, s[4:5], 0x10
	s_load_dword s14, s[4:5], 0x28
	s_load_dwordx2 s[16:17], s[4:5], 0x20
	s_load_dwordx2 s[18:19], s[4:5], 0x8
	v_lshl_add_u32 v5, v1, 4, v0
	s_waitcnt lgkmcnt(0)
	s_ashr_i32 s3, s2, 31
	s_ashr_i32 s15, s14, 31
	v_lshrrev_b32_e32 v6, 3, v5
	s_add_u32 s18, s18, s0
	s_addc_u32 s19, s19, s1
	s_add_u32 s0, s16, s0
	v_add_u32_e32 v2, s7, v6
	s_addc_u32 s1, s17, s1
	v_and_b32_e32 v4, 7, v0
	v_ashrrev_i32_e32 v3, 31, v2
	s_load_dwordx2 s[16:17], s[0:1], 0x0
	v_mad_i64_i32 v[2:3], s[0:1], s14, v4, v[2:3]
	v_lshlrev_b32_e32 v4, 3, v4
	v_lshrrev_b32_e32 v7, 5, v5
	v_and_b32_e32 v5, 31, v5
	v_lshl_or_b32 v4, v6, 6, v4
	v_add_u32_e32 v11, 0x800, v4
	v_add_u32_e32 v4, s6, v5
	v_lshlrev_b32_e32 v8, 3, v5
	v_ashrrev_i32_e32 v5, 31, v4
	v_mad_i64_i32 v[4:5], s[0:1], s2, v7, v[4:5]
	s_load_dwordx2 s[18:19], s[18:19], 0x0
	v_mov_b32_e32 v6, 0x800
	v_lshlrev_b64 v[4:5], 3, v[4:5]
	v_lshl_or_b32 v10, v7, 8, v8
	v_lshl_add_u32 v13, v1, 6, v6
	s_waitcnt lgkmcnt(0)
	v_mov_b32_e32 v7, s19
	v_add_co_u32_e32 v6, vcc, s18, v4
	v_lshlrev_b64 v[2:3], 3, v[2:3]
	v_addc_co_u32_e32 v7, vcc, v7, v5, vcc
	s_lshl_b64 s[0:1], s[2:3], 6
	v_mov_b32_e32 v4, s17
	v_add_co_u32_e32 v8, vcc, s16, v2
	s_lshl_b64 s[2:3], s[14:15], 6
	v_lshlrev_b32_e32 v12, 3, v0
	v_addc_co_u32_e32 v9, vcc, v4, v3, vcc
	v_mov_b32_e32 v16, 0
	v_mov_b32_e32 v14, s1
	;; [unrolled: 1-line block ×10, first 2 shown]
.LBB638_2:                              ; =>This Inner Loop Header: Depth=1
	flat_load_dwordx2 v[2:3], v[6:7]
	v_add_co_u32_e32 v6, vcc, s0, v6
	v_addc_co_u32_e32 v7, vcc, v7, v14, vcc
	s_add_i32 s9, s9, 8
	s_cmp_ge_i32 s9, s13
	s_waitcnt vmcnt(0) lgkmcnt(0)
	ds_write_b64 v10, v[2:3]
	flat_load_dwordx2 v[2:3], v[8:9]
	v_add_co_u32_e32 v8, vcc, s2, v8
	v_addc_co_u32_e32 v9, vcc, v9, v15, vcc
	s_waitcnt vmcnt(0) lgkmcnt(0)
	ds_write_b64 v11, v[2:3]
	s_waitcnt lgkmcnt(0)
	s_barrier
	ds_read_b128 v[24:27], v13
	ds_read_b128 v[28:31], v13 offset:16
	ds_read_b128 v[32:35], v13 offset:32
	;; [unrolled: 1-line block ×3, first 2 shown]
	ds_read2_b64 v[36:39], v12 offset1:16
	s_waitcnt lgkmcnt(0)
	v_mul_f32_e32 v40, v25, v37
	v_mul_f32_e32 v41, v24, v37
	v_fma_f32 v40, v24, v36, -v40
	v_fmac_f32_e32 v41, v25, v36
	v_add_f32_e32 v40, v22, v40
	v_add_f32_e32 v41, v23, v41
	v_mul_f32_e32 v22, v25, v39
	v_mul_f32_e32 v23, v24, v39
	v_fma_f32 v22, v24, v38, -v22
	v_fmac_f32_e32 v23, v25, v38
	v_add_f32_e32 v24, v21, v22
	v_add_f32_e32 v25, v20, v23
	ds_read_b128 v[20:23], v13 offset:1024
	s_waitcnt lgkmcnt(0)
	v_mul_f32_e32 v42, v21, v37
	v_mul_f32_e32 v37, v20, v37
	v_fma_f32 v42, v20, v36, -v42
	v_fmac_f32_e32 v37, v21, v36
	v_add_f32_e32 v36, v19, v42
	v_add_f32_e32 v37, v18, v37
	v_mul_f32_e32 v18, v21, v39
	v_mul_f32_e32 v19, v20, v39
	v_fma_f32 v18, v20, v38, -v18
	v_fmac_f32_e32 v19, v21, v38
	v_add_f32_e32 v20, v17, v18
	v_add_f32_e32 v21, v16, v19
	ds_read2_b64 v[16:19], v12 offset0:32 offset1:48
	s_waitcnt lgkmcnt(0)
	v_mul_f32_e32 v38, v27, v17
	v_fma_f32 v38, v26, v16, -v38
	v_add_f32_e32 v38, v40, v38
	v_mul_f32_e32 v40, v27, v19
	v_mul_f32_e32 v39, v26, v17
	v_fma_f32 v40, v26, v18, -v40
	v_mul_f32_e32 v26, v26, v19
	v_fmac_f32_e32 v26, v27, v18
	v_add_f32_e32 v25, v25, v26
	v_mul_f32_e32 v26, v23, v17
	v_mul_f32_e32 v17, v22, v17
	v_fmac_f32_e32 v17, v23, v16
	v_fmac_f32_e32 v39, v27, v16
	v_fma_f32 v26, v22, v16, -v26
	v_add_f32_e32 v27, v37, v17
	v_mul_f32_e32 v16, v23, v19
	v_mul_f32_e32 v17, v22, v19
	v_fma_f32 v16, v22, v18, -v16
	v_fmac_f32_e32 v17, v23, v18
	v_add_f32_e32 v26, v36, v26
	v_add_f32_e32 v36, v20, v16
	;; [unrolled: 1-line block ×3, first 2 shown]
	ds_read2_b64 v[16:19], v12 offset0:64 offset1:80
	v_add_f32_e32 v39, v41, v39
	v_add_f32_e32 v24, v24, v40
	s_waitcnt lgkmcnt(0)
	v_mul_f32_e32 v20, v29, v17
	v_mul_f32_e32 v21, v28, v17
	v_fma_f32 v20, v28, v16, -v20
	v_fmac_f32_e32 v21, v29, v16
	v_add_f32_e32 v38, v38, v20
	v_add_f32_e32 v39, v39, v21
	v_mul_f32_e32 v20, v29, v19
	v_mul_f32_e32 v21, v28, v19
	v_fma_f32 v20, v28, v18, -v20
	v_fmac_f32_e32 v21, v29, v18
	v_add_f32_e32 v24, v24, v20
	v_add_f32_e32 v25, v25, v21
	ds_read_b128 v[20:23], v13 offset:1040
	s_waitcnt lgkmcnt(0)
	v_mul_f32_e32 v28, v21, v17
	v_mul_f32_e32 v17, v20, v17
	v_fmac_f32_e32 v17, v21, v16
	v_fma_f32 v28, v20, v16, -v28
	v_add_f32_e32 v27, v27, v17
	v_mul_f32_e32 v16, v21, v19
	v_mul_f32_e32 v17, v20, v19
	v_fma_f32 v16, v20, v18, -v16
	v_fmac_f32_e32 v17, v21, v18
	v_add_f32_e32 v20, v36, v16
	v_add_f32_e32 v21, v37, v17
	ds_read2_b64 v[16:19], v12 offset0:96 offset1:112
	v_add_f32_e32 v26, v26, v28
	s_waitcnt lgkmcnt(0)
	v_mul_f32_e32 v28, v31, v17
	v_mul_f32_e32 v36, v31, v19
	v_fma_f32 v28, v30, v16, -v28
	v_mul_f32_e32 v29, v30, v17
	v_fma_f32 v36, v30, v18, -v36
	v_mul_f32_e32 v30, v30, v19
	v_fmac_f32_e32 v30, v31, v18
	v_add_f32_e32 v25, v25, v30
	v_mul_f32_e32 v30, v23, v17
	v_mul_f32_e32 v17, v22, v17
	v_fmac_f32_e32 v17, v23, v16
	v_fmac_f32_e32 v29, v31, v16
	v_fma_f32 v30, v22, v16, -v30
	v_add_f32_e32 v27, v27, v17
	v_mul_f32_e32 v16, v23, v19
	v_mul_f32_e32 v17, v22, v19
	v_fma_f32 v16, v22, v18, -v16
	v_fmac_f32_e32 v17, v23, v18
	v_add_f32_e32 v26, v26, v30
	v_add_f32_e32 v30, v20, v16
	;; [unrolled: 1-line block ×3, first 2 shown]
	ds_read2_b64 v[16:19], v12 offset0:128 offset1:144
	v_add_f32_e32 v28, v38, v28
	v_add_f32_e32 v29, v39, v29
	;; [unrolled: 1-line block ×3, first 2 shown]
	s_waitcnt lgkmcnt(0)
	v_mul_f32_e32 v20, v33, v17
	v_mul_f32_e32 v21, v32, v17
	v_fma_f32 v20, v32, v16, -v20
	v_fmac_f32_e32 v21, v33, v16
	v_add_f32_e32 v28, v28, v20
	v_add_f32_e32 v29, v29, v21
	v_mul_f32_e32 v20, v33, v19
	v_mul_f32_e32 v21, v32, v19
	v_fma_f32 v20, v32, v18, -v20
	v_fmac_f32_e32 v21, v33, v18
	v_add_f32_e32 v24, v24, v20
	v_add_f32_e32 v25, v25, v21
	ds_read_b128 v[20:23], v13 offset:1056
	s_waitcnt lgkmcnt(0)
	v_mul_f32_e32 v32, v21, v17
	v_mul_f32_e32 v17, v20, v17
	v_fmac_f32_e32 v17, v21, v16
	v_fma_f32 v32, v20, v16, -v32
	v_add_f32_e32 v27, v27, v17
	v_mul_f32_e32 v16, v21, v19
	v_mul_f32_e32 v17, v20, v19
	v_fma_f32 v16, v20, v18, -v16
	v_fmac_f32_e32 v17, v21, v18
	v_add_f32_e32 v20, v30, v16
	v_add_f32_e32 v21, v31, v17
	ds_read2_b64 v[16:19], v12 offset0:160 offset1:176
	v_add_f32_e32 v26, v26, v32
	s_waitcnt lgkmcnt(0)
	v_mul_f32_e32 v30, v35, v17
	v_fma_f32 v30, v34, v16, -v30
	v_add_f32_e32 v28, v28, v30
	v_mul_f32_e32 v30, v35, v19
	v_fma_f32 v30, v34, v18, -v30
	v_mul_f32_e32 v31, v34, v17
	v_add_f32_e32 v24, v24, v30
	v_mul_f32_e32 v30, v23, v17
	v_mul_f32_e32 v17, v22, v17
	v_fmac_f32_e32 v17, v23, v16
	v_fmac_f32_e32 v31, v35, v16
	v_fma_f32 v30, v22, v16, -v30
	v_add_f32_e32 v27, v27, v17
	v_mul_f32_e32 v16, v23, v19
	v_mul_f32_e32 v17, v22, v19
	v_add_f32_e32 v29, v29, v31
	v_mul_f32_e32 v31, v34, v19
	v_fma_f32 v16, v22, v18, -v16
	v_fmac_f32_e32 v17, v23, v18
	v_fmac_f32_e32 v31, v35, v18
	v_add_f32_e32 v20, v20, v16
	v_add_f32_e32 v21, v21, v17
	ds_read2_b64 v[16:19], v12 offset0:192 offset1:208
	v_add_f32_e32 v26, v26, v30
	v_add_f32_e32 v25, v25, v31
	s_waitcnt lgkmcnt(0)
	v_mul_f32_e32 v22, v3, v17
	v_fma_f32 v22, v2, v16, -v22
	v_add_f32_e32 v30, v28, v22
	v_mul_f32_e32 v22, v3, v19
	v_mul_f32_e32 v23, v2, v17
	v_fma_f32 v22, v2, v18, -v22
	v_mul_f32_e32 v2, v2, v19
	v_fmac_f32_e32 v23, v3, v16
	v_fmac_f32_e32 v2, v3, v18
	v_add_f32_e32 v31, v29, v23
	v_add_f32_e32 v3, v24, v22
	;; [unrolled: 1-line block ×3, first 2 shown]
	ds_read_b128 v[22:25], v13 offset:1072
	s_waitcnt lgkmcnt(0)
	v_mul_f32_e32 v28, v23, v17
	v_fma_f32 v28, v22, v16, -v28
	v_mul_f32_e32 v17, v22, v17
	v_fmac_f32_e32 v17, v23, v16
	v_add_f32_e32 v16, v26, v28
	v_mul_f32_e32 v26, v23, v19
	v_fma_f32 v26, v22, v18, -v26
	v_add_f32_e32 v17, v27, v17
	v_add_f32_e32 v32, v20, v26
	ds_read2_b64 v[26:29], v12 offset0:224 offset1:240
	v_mul_f32_e32 v19, v22, v19
	v_fmac_f32_e32 v19, v23, v18
	v_add_f32_e32 v33, v21, v19
	s_waitcnt lgkmcnt(0)
	v_mul_f32_e32 v18, v5, v27
	v_fma_f32 v18, v4, v26, -v18
	v_add_f32_e32 v22, v30, v18
	v_mul_f32_e32 v18, v5, v29
	v_mul_f32_e32 v19, v4, v27
	v_fma_f32 v18, v4, v28, -v18
	v_mul_f32_e32 v4, v4, v29
	v_fmac_f32_e32 v4, v5, v28
	v_add_f32_e32 v21, v3, v18
	v_add_f32_e32 v20, v2, v4
	v_mul_f32_e32 v2, v25, v27
	v_mul_f32_e32 v3, v24, v27
	v_fmac_f32_e32 v19, v5, v26
	v_fma_f32 v2, v24, v26, -v2
	v_fmac_f32_e32 v3, v25, v26
	v_add_f32_e32 v23, v31, v19
	v_add_f32_e32 v19, v16, v2
	;; [unrolled: 1-line block ×3, first 2 shown]
	v_mul_f32_e32 v2, v25, v29
	v_mul_f32_e32 v3, v24, v29
	v_fma_f32 v2, v24, v28, -v2
	v_fmac_f32_e32 v3, v25, v28
	v_add_f32_e32 v17, v32, v2
	v_add_f32_e32 v16, v33, v3
	s_barrier
	s_cbranch_scc0 .LBB638_2
	s_branch .LBB638_4
.LBB638_3:
	v_mov_b32_e32 v22, 0
	v_mov_b32_e32 v23, 0
	;; [unrolled: 1-line block ×8, first 2 shown]
.LBB638_4:
	s_load_dword s8, s[4:5], 0x40
	v_add_u32_e32 v4, s7, v1
	s_waitcnt lgkmcnt(0)
	v_mov_b32_e32 v3, s11
	v_add_u32_e32 v0, s6, v0
	v_mad_i64_i32 v[1:2], s[0:1], v4, s8, 0
	v_cmp_le_i32_e64 s[0:1], v4, v0
	v_lshlrev_b64 v[1:2], 3, v[1:2]
	v_add_co_u32_e32 v5, vcc, s10, v1
	v_addc_co_u32_e32 v6, vcc, v3, v2, vcc
	v_cmp_gt_i32_e32 vcc, s12, v0
	s_and_b64 s[0:1], s[0:1], vcc
	s_and_saveexec_b64 s[2:3], s[0:1]
	s_cbranch_execz .LBB638_6
; %bb.5:
	v_ashrrev_i32_e32 v1, 31, v0
	v_lshlrev_b64 v[7:8], 3, v[0:1]
	v_xor_b32_e32 v2, 0x80000000, v22
	v_add_co_u32_e64 v7, s[0:1], v5, v7
	v_xor_b32_e32 v3, 0x80000000, v23
	v_addc_co_u32_e64 v8, s[0:1], v6, v8, s[0:1]
	flat_store_dwordx2 v[7:8], v[2:3]
.LBB638_6:
	s_or_b64 exec, exec, s[2:3]
	v_add_u32_e32 v2, 16, v0
	v_cmp_le_i32_e64 s[2:3], v4, v2
	v_cmp_gt_i32_e64 s[0:1], s12, v2
	s_and_b64 s[2:3], s[2:3], s[0:1]
	s_and_saveexec_b64 s[4:5], s[2:3]
	s_cbranch_execz .LBB638_8
; %bb.7:
	v_ashrrev_i32_e32 v3, 31, v2
	v_lshlrev_b64 v[9:10], 3, v[2:3]
	v_xor_b32_e32 v7, 0x80000000, v21
	v_add_co_u32_e64 v5, s[2:3], v5, v9
	v_xor_b32_e32 v8, 0x80000000, v20
	v_addc_co_u32_e64 v6, s[2:3], v6, v10, s[2:3]
	flat_store_dwordx2 v[5:6], v[7:8]
.LBB638_8:
	s_or_b64 exec, exec, s[4:5]
	v_add_u32_e32 v3, 16, v4
	v_mad_i64_i32 v[4:5], s[2:3], v3, s8, 0
	v_mov_b32_e32 v1, s11
	v_lshlrev_b64 v[4:5], 3, v[4:5]
	v_add_co_u32_e64 v4, s[2:3], s10, v4
	v_addc_co_u32_e64 v5, s[2:3], v1, v5, s[2:3]
	v_cmp_le_i32_e64 s[2:3], v3, v0
	s_and_b64 s[4:5], s[2:3], vcc
	s_and_saveexec_b64 s[2:3], s[4:5]
	s_cbranch_execz .LBB638_10
; %bb.9:
	v_ashrrev_i32_e32 v1, 31, v0
	v_lshlrev_b64 v[0:1], 3, v[0:1]
	v_xor_b32_e32 v6, 0x80000000, v19
	v_add_co_u32_e32 v0, vcc, v4, v0
	v_xor_b32_e32 v7, 0x80000000, v18
	v_addc_co_u32_e32 v1, vcc, v5, v1, vcc
	flat_store_dwordx2 v[0:1], v[6:7]
.LBB638_10:
	s_or_b64 exec, exec, s[2:3]
	v_cmp_le_i32_e32 vcc, v3, v2
	s_and_b64 s[0:1], vcc, s[0:1]
	s_and_saveexec_b64 s[2:3], s[0:1]
	s_cbranch_execz .LBB638_12
; %bb.11:
	v_ashrrev_i32_e32 v3, 31, v2
	v_lshlrev_b64 v[2:3], 3, v[2:3]
	v_xor_b32_e32 v0, 0x80000000, v17
	v_add_co_u32_e32 v2, vcc, v4, v2
	v_xor_b32_e32 v1, 0x80000000, v16
	v_addc_co_u32_e32 v3, vcc, v5, v3, vcc
	flat_store_dwordx2 v[2:3], v[0:1]
.LBB638_12:
	s_endpgm
	.section	.rodata,"a",@progbits
	.p2align	6, 0x0
	.amdhsa_kernel _ZL37rocblas_syrkx_herkx_restricted_kernelIi19rocblas_complex_numIfELi16ELi32ELi8ELin1ELi0ELb0ELc78ELc76EKPKS1_KPS1_EviT_PT9_S7_lS9_S7_lPT10_S7_li
		.amdhsa_group_segment_fixed_size 4096
		.amdhsa_private_segment_fixed_size 0
		.amdhsa_kernarg_size 84
		.amdhsa_user_sgpr_count 6
		.amdhsa_user_sgpr_private_segment_buffer 1
		.amdhsa_user_sgpr_dispatch_ptr 0
		.amdhsa_user_sgpr_queue_ptr 0
		.amdhsa_user_sgpr_kernarg_segment_ptr 1
		.amdhsa_user_sgpr_dispatch_id 0
		.amdhsa_user_sgpr_flat_scratch_init 0
		.amdhsa_user_sgpr_private_segment_size 0
		.amdhsa_uses_dynamic_stack 0
		.amdhsa_system_sgpr_private_segment_wavefront_offset 0
		.amdhsa_system_sgpr_workgroup_id_x 1
		.amdhsa_system_sgpr_workgroup_id_y 1
		.amdhsa_system_sgpr_workgroup_id_z 1
		.amdhsa_system_sgpr_workgroup_info 0
		.amdhsa_system_vgpr_workitem_id 1
		.amdhsa_next_free_vgpr 43
		.amdhsa_next_free_sgpr 20
		.amdhsa_reserve_vcc 1
		.amdhsa_reserve_flat_scratch 0
		.amdhsa_float_round_mode_32 0
		.amdhsa_float_round_mode_16_64 0
		.amdhsa_float_denorm_mode_32 3
		.amdhsa_float_denorm_mode_16_64 3
		.amdhsa_dx10_clamp 1
		.amdhsa_ieee_mode 1
		.amdhsa_fp16_overflow 0
		.amdhsa_exception_fp_ieee_invalid_op 0
		.amdhsa_exception_fp_denorm_src 0
		.amdhsa_exception_fp_ieee_div_zero 0
		.amdhsa_exception_fp_ieee_overflow 0
		.amdhsa_exception_fp_ieee_underflow 0
		.amdhsa_exception_fp_ieee_inexact 0
		.amdhsa_exception_int_div_zero 0
	.end_amdhsa_kernel
	.section	.text._ZL37rocblas_syrkx_herkx_restricted_kernelIi19rocblas_complex_numIfELi16ELi32ELi8ELin1ELi0ELb0ELc78ELc76EKPKS1_KPS1_EviT_PT9_S7_lS9_S7_lPT10_S7_li,"axG",@progbits,_ZL37rocblas_syrkx_herkx_restricted_kernelIi19rocblas_complex_numIfELi16ELi32ELi8ELin1ELi0ELb0ELc78ELc76EKPKS1_KPS1_EviT_PT9_S7_lS9_S7_lPT10_S7_li,comdat
.Lfunc_end638:
	.size	_ZL37rocblas_syrkx_herkx_restricted_kernelIi19rocblas_complex_numIfELi16ELi32ELi8ELin1ELi0ELb0ELc78ELc76EKPKS1_KPS1_EviT_PT9_S7_lS9_S7_lPT10_S7_li, .Lfunc_end638-_ZL37rocblas_syrkx_herkx_restricted_kernelIi19rocblas_complex_numIfELi16ELi32ELi8ELin1ELi0ELb0ELc78ELc76EKPKS1_KPS1_EviT_PT9_S7_lS9_S7_lPT10_S7_li
                                        ; -- End function
	.set _ZL37rocblas_syrkx_herkx_restricted_kernelIi19rocblas_complex_numIfELi16ELi32ELi8ELin1ELi0ELb0ELc78ELc76EKPKS1_KPS1_EviT_PT9_S7_lS9_S7_lPT10_S7_li.num_vgpr, 43
	.set _ZL37rocblas_syrkx_herkx_restricted_kernelIi19rocblas_complex_numIfELi16ELi32ELi8ELin1ELi0ELb0ELc78ELc76EKPKS1_KPS1_EviT_PT9_S7_lS9_S7_lPT10_S7_li.num_agpr, 0
	.set _ZL37rocblas_syrkx_herkx_restricted_kernelIi19rocblas_complex_numIfELi16ELi32ELi8ELin1ELi0ELb0ELc78ELc76EKPKS1_KPS1_EviT_PT9_S7_lS9_S7_lPT10_S7_li.numbered_sgpr, 20
	.set _ZL37rocblas_syrkx_herkx_restricted_kernelIi19rocblas_complex_numIfELi16ELi32ELi8ELin1ELi0ELb0ELc78ELc76EKPKS1_KPS1_EviT_PT9_S7_lS9_S7_lPT10_S7_li.num_named_barrier, 0
	.set _ZL37rocblas_syrkx_herkx_restricted_kernelIi19rocblas_complex_numIfELi16ELi32ELi8ELin1ELi0ELb0ELc78ELc76EKPKS1_KPS1_EviT_PT9_S7_lS9_S7_lPT10_S7_li.private_seg_size, 0
	.set _ZL37rocblas_syrkx_herkx_restricted_kernelIi19rocblas_complex_numIfELi16ELi32ELi8ELin1ELi0ELb0ELc78ELc76EKPKS1_KPS1_EviT_PT9_S7_lS9_S7_lPT10_S7_li.uses_vcc, 1
	.set _ZL37rocblas_syrkx_herkx_restricted_kernelIi19rocblas_complex_numIfELi16ELi32ELi8ELin1ELi0ELb0ELc78ELc76EKPKS1_KPS1_EviT_PT9_S7_lS9_S7_lPT10_S7_li.uses_flat_scratch, 0
	.set _ZL37rocblas_syrkx_herkx_restricted_kernelIi19rocblas_complex_numIfELi16ELi32ELi8ELin1ELi0ELb0ELc78ELc76EKPKS1_KPS1_EviT_PT9_S7_lS9_S7_lPT10_S7_li.has_dyn_sized_stack, 0
	.set _ZL37rocblas_syrkx_herkx_restricted_kernelIi19rocblas_complex_numIfELi16ELi32ELi8ELin1ELi0ELb0ELc78ELc76EKPKS1_KPS1_EviT_PT9_S7_lS9_S7_lPT10_S7_li.has_recursion, 0
	.set _ZL37rocblas_syrkx_herkx_restricted_kernelIi19rocblas_complex_numIfELi16ELi32ELi8ELin1ELi0ELb0ELc78ELc76EKPKS1_KPS1_EviT_PT9_S7_lS9_S7_lPT10_S7_li.has_indirect_call, 0
	.section	.AMDGPU.csdata,"",@progbits
; Kernel info:
; codeLenInByte = 1912
; TotalNumSgprs: 24
; NumVgprs: 43
; ScratchSize: 0
; MemoryBound: 0
; FloatMode: 240
; IeeeMode: 1
; LDSByteSize: 4096 bytes/workgroup (compile time only)
; SGPRBlocks: 2
; VGPRBlocks: 10
; NumSGPRsForWavesPerEU: 24
; NumVGPRsForWavesPerEU: 43
; Occupancy: 5
; WaveLimiterHint : 1
; COMPUTE_PGM_RSRC2:SCRATCH_EN: 0
; COMPUTE_PGM_RSRC2:USER_SGPR: 6
; COMPUTE_PGM_RSRC2:TRAP_HANDLER: 0
; COMPUTE_PGM_RSRC2:TGID_X_EN: 1
; COMPUTE_PGM_RSRC2:TGID_Y_EN: 1
; COMPUTE_PGM_RSRC2:TGID_Z_EN: 1
; COMPUTE_PGM_RSRC2:TIDIG_COMP_CNT: 1
	.section	.text._ZL37rocblas_syrkx_herkx_restricted_kernelIi19rocblas_complex_numIfELi16ELi32ELi8ELin1ELi0ELb0ELc84ELc85EKPKS1_KPS1_EviT_PT9_S7_lS9_S7_lPT10_S7_li,"axG",@progbits,_ZL37rocblas_syrkx_herkx_restricted_kernelIi19rocblas_complex_numIfELi16ELi32ELi8ELin1ELi0ELb0ELc84ELc85EKPKS1_KPS1_EviT_PT9_S7_lS9_S7_lPT10_S7_li,comdat
	.globl	_ZL37rocblas_syrkx_herkx_restricted_kernelIi19rocblas_complex_numIfELi16ELi32ELi8ELin1ELi0ELb0ELc84ELc85EKPKS1_KPS1_EviT_PT9_S7_lS9_S7_lPT10_S7_li ; -- Begin function _ZL37rocblas_syrkx_herkx_restricted_kernelIi19rocblas_complex_numIfELi16ELi32ELi8ELin1ELi0ELb0ELc84ELc85EKPKS1_KPS1_EviT_PT9_S7_lS9_S7_lPT10_S7_li
	.p2align	8
	.type	_ZL37rocblas_syrkx_herkx_restricted_kernelIi19rocblas_complex_numIfELi16ELi32ELi8ELin1ELi0ELb0ELc84ELc85EKPKS1_KPS1_EviT_PT9_S7_lS9_S7_lPT10_S7_li,@function
_ZL37rocblas_syrkx_herkx_restricted_kernelIi19rocblas_complex_numIfELi16ELi32ELi8ELin1ELi0ELb0ELc84ELc85EKPKS1_KPS1_EviT_PT9_S7_lS9_S7_lPT10_S7_li: ; @_ZL37rocblas_syrkx_herkx_restricted_kernelIi19rocblas_complex_numIfELi16ELi32ELi8ELin1ELi0ELb0ELc84ELc85EKPKS1_KPS1_EviT_PT9_S7_lS9_S7_lPT10_S7_li
; %bb.0:
	s_load_dwordx2 s[10:11], s[4:5], 0x38
	s_load_dwordx2 s[2:3], s[4:5], 0x0
	s_mov_b32 s9, 0
	s_lshl_b64 s[0:1], s[8:9], 3
	s_waitcnt lgkmcnt(0)
	s_add_u32 s10, s10, s0
	s_addc_u32 s11, s11, s1
	s_load_dwordx2 s[10:11], s[10:11], 0x0
	s_lshl_b32 s6, s6, 5
	s_lshl_b32 s7, s7, 5
	s_cmp_lt_i32 s3, 1
	s_cbranch_scc1 .LBB639_3
; %bb.1:
	v_lshl_add_u32 v4, v1, 4, v0
	s_load_dwordx2 s[12:13], s[4:5], 0x8
	s_load_dword s8, s[4:5], 0x10
	s_load_dwordx2 s[14:15], s[4:5], 0x20
	s_load_dword s16, s[4:5], 0x28
	v_and_b32_e32 v7, 31, v4
	v_lshrrev_b32_e32 v6, 3, v4
	v_and_b32_e32 v9, 7, v0
	v_lshrrev_b32_e32 v4, 5, v4
	v_lshlrev_b32_e32 v8, 3, v7
	s_waitcnt lgkmcnt(0)
	s_add_u32 s12, s12, s0
	v_lshl_or_b32 v11, v4, 8, v8
	v_lshlrev_b32_e32 v8, 3, v9
	s_addc_u32 s13, s13, s1
	v_add_u32_e32 v2, s7, v6
	v_mov_b32_e32 v10, 0
	v_lshl_or_b32 v6, v6, 6, v8
	s_add_u32 s0, s14, s0
	v_mov_b32_e32 v5, v10
	v_add_u32_e32 v12, 0x800, v6
	v_add_u32_e32 v6, s6, v7
	s_addc_u32 s1, s15, s1
	v_mad_i64_i32 v[4:5], s[14:15], s8, v6, v[4:5]
	s_load_dwordx2 s[12:13], s[12:13], 0x0
	v_mad_i64_i32 v[2:3], s[14:15], s16, v2, v[9:10]
	s_load_dwordx2 s[0:1], s[0:1], 0x0
	v_lshlrev_b64 v[4:5], 3, v[4:5]
	v_mov_b32_e32 v6, 0x800
	v_lshl_add_u32 v14, v1, 6, v6
	s_waitcnt lgkmcnt(0)
	v_mov_b32_e32 v7, s13
	v_add_co_u32_e32 v6, vcc, s12, v4
	v_lshlrev_b64 v[2:3], 3, v[2:3]
	v_addc_co_u32_e32 v7, vcc, v7, v5, vcc
	v_mov_b32_e32 v4, s1
	v_add_co_u32_e32 v8, vcc, s0, v2
	v_lshlrev_b32_e32 v13, 3, v0
	v_addc_co_u32_e32 v9, vcc, v4, v3, vcc
	v_mov_b32_e32 v15, v10
	v_mov_b32_e32 v16, v10
	;; [unrolled: 1-line block ×7, first 2 shown]
.LBB639_2:                              ; =>This Inner Loop Header: Depth=1
	flat_load_dwordx2 v[2:3], v[6:7]
	v_add_co_u32_e32 v6, vcc, 64, v6
	v_addc_co_u32_e32 v7, vcc, 0, v7, vcc
	s_add_i32 s9, s9, 8
	s_cmp_ge_i32 s9, s3
	s_waitcnt vmcnt(0) lgkmcnt(0)
	ds_write_b64 v11, v[2:3]
	flat_load_dwordx2 v[2:3], v[8:9]
	v_add_co_u32_e32 v8, vcc, 64, v8
	v_addc_co_u32_e32 v9, vcc, 0, v9, vcc
	s_waitcnt vmcnt(0) lgkmcnt(0)
	ds_write_b64 v12, v[2:3]
	s_waitcnt lgkmcnt(0)
	s_barrier
	ds_read_b128 v[22:25], v14
	ds_read_b128 v[26:29], v14 offset:16
	ds_read_b128 v[30:33], v14 offset:32
	ds_read_b128 v[2:5], v14 offset:48
	ds_read2_b64 v[34:37], v13 offset1:16
	s_waitcnt lgkmcnt(0)
	v_mul_f32_e32 v38, v23, v35
	v_mul_f32_e32 v39, v22, v35
	v_fma_f32 v38, v22, v34, -v38
	v_fmac_f32_e32 v39, v23, v34
	v_add_f32_e32 v38, v20, v38
	v_add_f32_e32 v39, v21, v39
	v_mul_f32_e32 v20, v23, v37
	v_mul_f32_e32 v21, v22, v37
	v_fma_f32 v20, v22, v36, -v20
	v_fmac_f32_e32 v21, v23, v36
	v_add_f32_e32 v22, v19, v20
	v_add_f32_e32 v23, v18, v21
	ds_read_b128 v[18:21], v14 offset:1024
	s_waitcnt lgkmcnt(0)
	v_mul_f32_e32 v40, v19, v35
	v_mul_f32_e32 v35, v18, v35
	v_fma_f32 v40, v18, v34, -v40
	v_fmac_f32_e32 v35, v19, v34
	v_add_f32_e32 v34, v17, v40
	v_add_f32_e32 v35, v16, v35
	v_mul_f32_e32 v16, v19, v37
	v_mul_f32_e32 v17, v18, v37
	v_fma_f32 v16, v18, v36, -v16
	v_fmac_f32_e32 v17, v19, v36
	v_add_f32_e32 v19, v15, v16
	v_add_f32_e32 v10, v10, v17
	ds_read2_b64 v[15:18], v13 offset0:32 offset1:48
	s_waitcnt lgkmcnt(0)
	v_mul_f32_e32 v36, v25, v16
	v_fma_f32 v36, v24, v15, -v36
	v_add_f32_e32 v36, v38, v36
	v_mul_f32_e32 v38, v25, v18
	v_mul_f32_e32 v37, v24, v16
	v_fma_f32 v38, v24, v17, -v38
	v_mul_f32_e32 v24, v24, v18
	v_fmac_f32_e32 v24, v25, v17
	v_add_f32_e32 v23, v23, v24
	v_mul_f32_e32 v24, v21, v16
	v_mul_f32_e32 v16, v20, v16
	v_fmac_f32_e32 v16, v21, v15
	v_fmac_f32_e32 v37, v25, v15
	v_fma_f32 v24, v20, v15, -v24
	v_add_f32_e32 v25, v35, v16
	v_mul_f32_e32 v15, v21, v18
	v_mul_f32_e32 v16, v20, v18
	v_fma_f32 v15, v20, v17, -v15
	v_fmac_f32_e32 v16, v21, v17
	v_add_f32_e32 v24, v34, v24
	v_add_f32_e32 v34, v19, v15
	;; [unrolled: 1-line block ×3, first 2 shown]
	ds_read2_b64 v[15:18], v13 offset0:64 offset1:80
	v_add_f32_e32 v37, v39, v37
	v_add_f32_e32 v22, v22, v38
	s_waitcnt lgkmcnt(0)
	v_mul_f32_e32 v19, v27, v16
	v_mul_f32_e32 v20, v26, v16
	v_fma_f32 v19, v26, v15, -v19
	v_fmac_f32_e32 v20, v27, v15
	v_add_f32_e32 v35, v36, v19
	v_add_f32_e32 v36, v37, v20
	v_mul_f32_e32 v19, v27, v18
	v_mul_f32_e32 v20, v26, v18
	v_fma_f32 v19, v26, v17, -v19
	v_fmac_f32_e32 v20, v27, v17
	v_add_f32_e32 v26, v22, v19
	v_add_f32_e32 v23, v23, v20
	ds_read_b128 v[19:22], v14 offset:1040
	s_waitcnt lgkmcnt(0)
	v_mul_f32_e32 v27, v20, v16
	v_mul_f32_e32 v16, v19, v16
	v_fmac_f32_e32 v16, v20, v15
	v_fma_f32 v27, v19, v15, -v27
	v_add_f32_e32 v25, v25, v16
	v_mul_f32_e32 v15, v20, v18
	v_mul_f32_e32 v16, v19, v18
	v_fma_f32 v15, v19, v17, -v15
	v_fmac_f32_e32 v16, v20, v17
	v_add_f32_e32 v19, v34, v15
	v_add_f32_e32 v10, v10, v16
	ds_read2_b64 v[15:18], v13 offset0:96 offset1:112
	v_add_f32_e32 v24, v24, v27
	s_waitcnt lgkmcnt(0)
	v_mul_f32_e32 v20, v29, v16
	v_mul_f32_e32 v34, v29, v18
	v_fma_f32 v20, v28, v15, -v20
	v_mul_f32_e32 v27, v28, v16
	v_fma_f32 v34, v28, v17, -v34
	v_mul_f32_e32 v28, v28, v18
	v_fmac_f32_e32 v28, v29, v17
	v_add_f32_e32 v23, v23, v28
	v_mul_f32_e32 v28, v22, v16
	v_mul_f32_e32 v16, v21, v16
	v_fmac_f32_e32 v16, v22, v15
	v_fmac_f32_e32 v27, v29, v15
	v_fma_f32 v28, v21, v15, -v28
	v_add_f32_e32 v25, v25, v16
	v_mul_f32_e32 v15, v22, v18
	v_mul_f32_e32 v16, v21, v18
	v_fma_f32 v15, v21, v17, -v15
	v_fmac_f32_e32 v16, v22, v17
	v_add_f32_e32 v24, v24, v28
	v_add_f32_e32 v28, v19, v15
	;; [unrolled: 1-line block ×3, first 2 shown]
	ds_read2_b64 v[15:18], v13 offset0:128 offset1:144
	v_add_f32_e32 v20, v35, v20
	v_add_f32_e32 v27, v36, v27
	;; [unrolled: 1-line block ×3, first 2 shown]
	s_waitcnt lgkmcnt(0)
	v_mul_f32_e32 v19, v31, v16
	v_fma_f32 v19, v30, v15, -v19
	v_mul_f32_e32 v21, v30, v16
	v_add_f32_e32 v29, v20, v19
	v_mul_f32_e32 v19, v31, v18
	v_mul_f32_e32 v20, v30, v18
	v_fmac_f32_e32 v21, v31, v15
	v_fma_f32 v19, v30, v17, -v19
	v_fmac_f32_e32 v20, v31, v17
	v_add_f32_e32 v27, v27, v21
	v_add_f32_e32 v26, v26, v19
	;; [unrolled: 1-line block ×3, first 2 shown]
	ds_read_b128 v[19:22], v14 offset:1056
	s_waitcnt lgkmcnt(0)
	v_mul_f32_e32 v30, v20, v16
	v_mul_f32_e32 v16, v19, v16
	v_fmac_f32_e32 v16, v20, v15
	v_fma_f32 v30, v19, v15, -v30
	v_add_f32_e32 v25, v25, v16
	v_mul_f32_e32 v15, v20, v18
	v_mul_f32_e32 v16, v19, v18
	v_fma_f32 v15, v19, v17, -v15
	v_fmac_f32_e32 v16, v20, v17
	v_add_f32_e32 v19, v28, v15
	v_add_f32_e32 v10, v10, v16
	ds_read2_b64 v[15:18], v13 offset0:160 offset1:176
	v_add_f32_e32 v24, v24, v30
	s_waitcnt lgkmcnt(0)
	v_mul_f32_e32 v28, v32, v16
	v_fmac_f32_e32 v28, v33, v15
	v_add_f32_e32 v27, v27, v28
	v_mul_f32_e32 v28, v33, v18
	v_fma_f32 v28, v32, v17, -v28
	v_mul_f32_e32 v20, v33, v16
	v_add_f32_e32 v26, v26, v28
	v_mul_f32_e32 v28, v22, v16
	v_mul_f32_e32 v16, v21, v16
	v_fmac_f32_e32 v16, v22, v15
	v_fma_f32 v20, v32, v15, -v20
	v_fma_f32 v28, v21, v15, -v28
	v_add_f32_e32 v25, v25, v16
	v_mul_f32_e32 v15, v22, v18
	v_mul_f32_e32 v16, v21, v18
	v_add_f32_e32 v20, v29, v20
	v_mul_f32_e32 v29, v32, v18
	v_fma_f32 v15, v21, v17, -v15
	v_fmac_f32_e32 v16, v22, v17
	v_fmac_f32_e32 v29, v33, v17
	v_add_f32_e32 v19, v19, v15
	v_add_f32_e32 v10, v10, v16
	ds_read2_b64 v[15:18], v13 offset0:192 offset1:208
	v_add_f32_e32 v24, v24, v28
	v_add_f32_e32 v23, v23, v29
	s_waitcnt lgkmcnt(0)
	v_mul_f32_e32 v21, v3, v16
	v_fma_f32 v21, v2, v15, -v21
	v_add_f32_e32 v28, v20, v21
	v_mul_f32_e32 v20, v3, v18
	v_mul_f32_e32 v22, v2, v16
	v_fma_f32 v20, v2, v17, -v20
	v_mul_f32_e32 v2, v2, v18
	v_fmac_f32_e32 v22, v3, v15
	v_fmac_f32_e32 v2, v3, v17
	v_add_f32_e32 v29, v27, v22
	v_add_f32_e32 v3, v26, v20
	;; [unrolled: 1-line block ×3, first 2 shown]
	ds_read_b128 v[20:23], v14 offset:1072
	s_waitcnt lgkmcnt(0)
	v_mul_f32_e32 v26, v21, v16
	v_fma_f32 v26, v20, v15, -v26
	v_mul_f32_e32 v16, v20, v16
	v_fmac_f32_e32 v16, v21, v15
	v_add_f32_e32 v15, v24, v26
	v_mul_f32_e32 v24, v21, v18
	v_fma_f32 v24, v20, v17, -v24
	v_add_f32_e32 v16, v25, v16
	v_add_f32_e32 v30, v19, v24
	ds_read2_b64 v[24:27], v13 offset0:224 offset1:240
	v_mul_f32_e32 v18, v20, v18
	v_fmac_f32_e32 v18, v21, v17
	v_add_f32_e32 v10, v10, v18
	s_waitcnt lgkmcnt(0)
	v_mul_f32_e32 v17, v5, v25
	v_fma_f32 v17, v4, v24, -v17
	v_add_f32_e32 v20, v28, v17
	v_mul_f32_e32 v17, v5, v27
	v_mul_f32_e32 v18, v4, v25
	v_fma_f32 v17, v4, v26, -v17
	v_mul_f32_e32 v4, v4, v27
	v_fmac_f32_e32 v18, v5, v24
	v_fmac_f32_e32 v4, v5, v26
	v_add_f32_e32 v21, v29, v18
	v_add_f32_e32 v19, v3, v17
	;; [unrolled: 1-line block ×3, first 2 shown]
	v_mul_f32_e32 v2, v23, v25
	v_mul_f32_e32 v3, v22, v25
	v_fma_f32 v2, v22, v24, -v2
	v_fmac_f32_e32 v3, v23, v24
	v_add_f32_e32 v17, v15, v2
	v_add_f32_e32 v16, v16, v3
	v_mul_f32_e32 v2, v23, v27
	v_mul_f32_e32 v3, v22, v27
	v_fma_f32 v2, v22, v26, -v2
	v_fmac_f32_e32 v3, v23, v26
	v_add_f32_e32 v15, v30, v2
	v_add_f32_e32 v10, v10, v3
	s_barrier
	s_cbranch_scc0 .LBB639_2
	s_branch .LBB639_4
.LBB639_3:
	v_mov_b32_e32 v20, 0
	v_mov_b32_e32 v21, 0
	v_mov_b32_e32 v19, 0
	v_mov_b32_e32 v18, 0
	v_mov_b32_e32 v17, 0
	v_mov_b32_e32 v16, 0
	v_mov_b32_e32 v15, 0
	v_mov_b32_e32 v10, 0
.LBB639_4:
	s_load_dword s3, s[4:5], 0x40
	v_add_u32_e32 v4, s7, v1
	s_waitcnt lgkmcnt(0)
	v_mov_b32_e32 v3, s11
	v_add_u32_e32 v0, s6, v0
	v_cmp_gt_i32_e32 vcc, s2, v4
	v_mad_i64_i32 v[1:2], s[0:1], v4, s3, 0
	v_lshlrev_b64 v[1:2], 3, v[1:2]
	v_add_co_u32_e64 v5, s[0:1], s10, v1
	v_addc_co_u32_e64 v6, s[0:1], v3, v2, s[0:1]
	v_cmp_le_i32_e64 s[0:1], v0, v4
	s_and_b64 s[0:1], vcc, s[0:1]
	s_and_saveexec_b64 s[4:5], s[0:1]
	s_cbranch_execz .LBB639_6
; %bb.5:
	v_ashrrev_i32_e32 v1, 31, v0
	v_lshlrev_b64 v[7:8], 3, v[0:1]
	v_xor_b32_e32 v2, 0x80000000, v20
	v_add_co_u32_e64 v7, s[0:1], v5, v7
	v_xor_b32_e32 v3, 0x80000000, v21
	v_addc_co_u32_e64 v8, s[0:1], v6, v8, s[0:1]
	flat_store_dwordx2 v[7:8], v[2:3]
.LBB639_6:
	s_or_b64 exec, exec, s[4:5]
	v_add_u32_e32 v2, 16, v0
	v_cmp_le_i32_e64 s[0:1], v2, v4
	s_and_b64 s[4:5], vcc, s[0:1]
	s_and_saveexec_b64 s[0:1], s[4:5]
	s_cbranch_execz .LBB639_8
; %bb.7:
	v_ashrrev_i32_e32 v3, 31, v2
	v_lshlrev_b64 v[11:12], 3, v[2:3]
	v_xor_b32_e32 v7, 0x80000000, v19
	v_add_co_u32_e32 v5, vcc, v5, v11
	v_xor_b32_e32 v8, 0x80000000, v18
	v_addc_co_u32_e32 v6, vcc, v6, v12, vcc
	flat_store_dwordx2 v[5:6], v[7:8]
.LBB639_8:
	s_or_b64 exec, exec, s[0:1]
	v_add_u32_e32 v3, 16, v4
	v_mad_i64_i32 v[4:5], s[0:1], v3, s3, 0
	v_mov_b32_e32 v1, s11
	v_cmp_gt_i32_e32 vcc, s2, v3
	v_lshlrev_b64 v[4:5], 3, v[4:5]
	v_add_co_u32_e64 v4, s[0:1], s10, v4
	v_addc_co_u32_e64 v5, s[0:1], v1, v5, s[0:1]
	v_cmp_le_i32_e64 s[0:1], v0, v3
	s_and_b64 s[0:1], vcc, s[0:1]
	s_and_saveexec_b64 s[2:3], s[0:1]
	s_cbranch_execz .LBB639_10
; %bb.9:
	v_ashrrev_i32_e32 v1, 31, v0
	v_lshlrev_b64 v[0:1], 3, v[0:1]
	v_xor_b32_e32 v6, 0x80000000, v17
	v_add_co_u32_e64 v0, s[0:1], v4, v0
	v_xor_b32_e32 v7, 0x80000000, v16
	v_addc_co_u32_e64 v1, s[0:1], v5, v1, s[0:1]
	flat_store_dwordx2 v[0:1], v[6:7]
.LBB639_10:
	s_or_b64 exec, exec, s[2:3]
	v_cmp_le_i32_e64 s[0:1], v2, v3
	s_and_b64 s[0:1], vcc, s[0:1]
	s_and_saveexec_b64 s[2:3], s[0:1]
	s_cbranch_execz .LBB639_12
; %bb.11:
	v_ashrrev_i32_e32 v3, 31, v2
	v_lshlrev_b64 v[2:3], 3, v[2:3]
	v_xor_b32_e32 v0, 0x80000000, v15
	v_add_co_u32_e32 v2, vcc, v4, v2
	v_xor_b32_e32 v1, 0x80000000, v10
	v_addc_co_u32_e32 v3, vcc, v5, v3, vcc
	flat_store_dwordx2 v[2:3], v[0:1]
.LBB639_12:
	s_endpgm
	.section	.rodata,"a",@progbits
	.p2align	6, 0x0
	.amdhsa_kernel _ZL37rocblas_syrkx_herkx_restricted_kernelIi19rocblas_complex_numIfELi16ELi32ELi8ELin1ELi0ELb0ELc84ELc85EKPKS1_KPS1_EviT_PT9_S7_lS9_S7_lPT10_S7_li
		.amdhsa_group_segment_fixed_size 4096
		.amdhsa_private_segment_fixed_size 0
		.amdhsa_kernarg_size 84
		.amdhsa_user_sgpr_count 6
		.amdhsa_user_sgpr_private_segment_buffer 1
		.amdhsa_user_sgpr_dispatch_ptr 0
		.amdhsa_user_sgpr_queue_ptr 0
		.amdhsa_user_sgpr_kernarg_segment_ptr 1
		.amdhsa_user_sgpr_dispatch_id 0
		.amdhsa_user_sgpr_flat_scratch_init 0
		.amdhsa_user_sgpr_private_segment_size 0
		.amdhsa_uses_dynamic_stack 0
		.amdhsa_system_sgpr_private_segment_wavefront_offset 0
		.amdhsa_system_sgpr_workgroup_id_x 1
		.amdhsa_system_sgpr_workgroup_id_y 1
		.amdhsa_system_sgpr_workgroup_id_z 1
		.amdhsa_system_sgpr_workgroup_info 0
		.amdhsa_system_vgpr_workitem_id 1
		.amdhsa_next_free_vgpr 41
		.amdhsa_next_free_sgpr 17
		.amdhsa_reserve_vcc 1
		.amdhsa_reserve_flat_scratch 0
		.amdhsa_float_round_mode_32 0
		.amdhsa_float_round_mode_16_64 0
		.amdhsa_float_denorm_mode_32 3
		.amdhsa_float_denorm_mode_16_64 3
		.amdhsa_dx10_clamp 1
		.amdhsa_ieee_mode 1
		.amdhsa_fp16_overflow 0
		.amdhsa_exception_fp_ieee_invalid_op 0
		.amdhsa_exception_fp_denorm_src 0
		.amdhsa_exception_fp_ieee_div_zero 0
		.amdhsa_exception_fp_ieee_overflow 0
		.amdhsa_exception_fp_ieee_underflow 0
		.amdhsa_exception_fp_ieee_inexact 0
		.amdhsa_exception_int_div_zero 0
	.end_amdhsa_kernel
	.section	.text._ZL37rocblas_syrkx_herkx_restricted_kernelIi19rocblas_complex_numIfELi16ELi32ELi8ELin1ELi0ELb0ELc84ELc85EKPKS1_KPS1_EviT_PT9_S7_lS9_S7_lPT10_S7_li,"axG",@progbits,_ZL37rocblas_syrkx_herkx_restricted_kernelIi19rocblas_complex_numIfELi16ELi32ELi8ELin1ELi0ELb0ELc84ELc85EKPKS1_KPS1_EviT_PT9_S7_lS9_S7_lPT10_S7_li,comdat
.Lfunc_end639:
	.size	_ZL37rocblas_syrkx_herkx_restricted_kernelIi19rocblas_complex_numIfELi16ELi32ELi8ELin1ELi0ELb0ELc84ELc85EKPKS1_KPS1_EviT_PT9_S7_lS9_S7_lPT10_S7_li, .Lfunc_end639-_ZL37rocblas_syrkx_herkx_restricted_kernelIi19rocblas_complex_numIfELi16ELi32ELi8ELin1ELi0ELb0ELc84ELc85EKPKS1_KPS1_EviT_PT9_S7_lS9_S7_lPT10_S7_li
                                        ; -- End function
	.set _ZL37rocblas_syrkx_herkx_restricted_kernelIi19rocblas_complex_numIfELi16ELi32ELi8ELin1ELi0ELb0ELc84ELc85EKPKS1_KPS1_EviT_PT9_S7_lS9_S7_lPT10_S7_li.num_vgpr, 41
	.set _ZL37rocblas_syrkx_herkx_restricted_kernelIi19rocblas_complex_numIfELi16ELi32ELi8ELin1ELi0ELb0ELc84ELc85EKPKS1_KPS1_EviT_PT9_S7_lS9_S7_lPT10_S7_li.num_agpr, 0
	.set _ZL37rocblas_syrkx_herkx_restricted_kernelIi19rocblas_complex_numIfELi16ELi32ELi8ELin1ELi0ELb0ELc84ELc85EKPKS1_KPS1_EviT_PT9_S7_lS9_S7_lPT10_S7_li.numbered_sgpr, 17
	.set _ZL37rocblas_syrkx_herkx_restricted_kernelIi19rocblas_complex_numIfELi16ELi32ELi8ELin1ELi0ELb0ELc84ELc85EKPKS1_KPS1_EviT_PT9_S7_lS9_S7_lPT10_S7_li.num_named_barrier, 0
	.set _ZL37rocblas_syrkx_herkx_restricted_kernelIi19rocblas_complex_numIfELi16ELi32ELi8ELin1ELi0ELb0ELc84ELc85EKPKS1_KPS1_EviT_PT9_S7_lS9_S7_lPT10_S7_li.private_seg_size, 0
	.set _ZL37rocblas_syrkx_herkx_restricted_kernelIi19rocblas_complex_numIfELi16ELi32ELi8ELin1ELi0ELb0ELc84ELc85EKPKS1_KPS1_EviT_PT9_S7_lS9_S7_lPT10_S7_li.uses_vcc, 1
	.set _ZL37rocblas_syrkx_herkx_restricted_kernelIi19rocblas_complex_numIfELi16ELi32ELi8ELin1ELi0ELb0ELc84ELc85EKPKS1_KPS1_EviT_PT9_S7_lS9_S7_lPT10_S7_li.uses_flat_scratch, 0
	.set _ZL37rocblas_syrkx_herkx_restricted_kernelIi19rocblas_complex_numIfELi16ELi32ELi8ELin1ELi0ELb0ELc84ELc85EKPKS1_KPS1_EviT_PT9_S7_lS9_S7_lPT10_S7_li.has_dyn_sized_stack, 0
	.set _ZL37rocblas_syrkx_herkx_restricted_kernelIi19rocblas_complex_numIfELi16ELi32ELi8ELin1ELi0ELb0ELc84ELc85EKPKS1_KPS1_EviT_PT9_S7_lS9_S7_lPT10_S7_li.has_recursion, 0
	.set _ZL37rocblas_syrkx_herkx_restricted_kernelIi19rocblas_complex_numIfELi16ELi32ELi8ELin1ELi0ELb0ELc84ELc85EKPKS1_KPS1_EviT_PT9_S7_lS9_S7_lPT10_S7_li.has_indirect_call, 0
	.section	.AMDGPU.csdata,"",@progbits
; Kernel info:
; codeLenInByte = 1892
; TotalNumSgprs: 21
; NumVgprs: 41
; ScratchSize: 0
; MemoryBound: 0
; FloatMode: 240
; IeeeMode: 1
; LDSByteSize: 4096 bytes/workgroup (compile time only)
; SGPRBlocks: 2
; VGPRBlocks: 10
; NumSGPRsForWavesPerEU: 21
; NumVGPRsForWavesPerEU: 41
; Occupancy: 5
; WaveLimiterHint : 1
; COMPUTE_PGM_RSRC2:SCRATCH_EN: 0
; COMPUTE_PGM_RSRC2:USER_SGPR: 6
; COMPUTE_PGM_RSRC2:TRAP_HANDLER: 0
; COMPUTE_PGM_RSRC2:TGID_X_EN: 1
; COMPUTE_PGM_RSRC2:TGID_Y_EN: 1
; COMPUTE_PGM_RSRC2:TGID_Z_EN: 1
; COMPUTE_PGM_RSRC2:TIDIG_COMP_CNT: 1
	.section	.text._ZL37rocblas_syrkx_herkx_restricted_kernelIi19rocblas_complex_numIfELi16ELi32ELi8ELin1ELi0ELb0ELc67ELc85EKPKS1_KPS1_EviT_PT9_S7_lS9_S7_lPT10_S7_li,"axG",@progbits,_ZL37rocblas_syrkx_herkx_restricted_kernelIi19rocblas_complex_numIfELi16ELi32ELi8ELin1ELi0ELb0ELc67ELc85EKPKS1_KPS1_EviT_PT9_S7_lS9_S7_lPT10_S7_li,comdat
	.globl	_ZL37rocblas_syrkx_herkx_restricted_kernelIi19rocblas_complex_numIfELi16ELi32ELi8ELin1ELi0ELb0ELc67ELc85EKPKS1_KPS1_EviT_PT9_S7_lS9_S7_lPT10_S7_li ; -- Begin function _ZL37rocblas_syrkx_herkx_restricted_kernelIi19rocblas_complex_numIfELi16ELi32ELi8ELin1ELi0ELb0ELc67ELc85EKPKS1_KPS1_EviT_PT9_S7_lS9_S7_lPT10_S7_li
	.p2align	8
	.type	_ZL37rocblas_syrkx_herkx_restricted_kernelIi19rocblas_complex_numIfELi16ELi32ELi8ELin1ELi0ELb0ELc67ELc85EKPKS1_KPS1_EviT_PT9_S7_lS9_S7_lPT10_S7_li,@function
_ZL37rocblas_syrkx_herkx_restricted_kernelIi19rocblas_complex_numIfELi16ELi32ELi8ELin1ELi0ELb0ELc67ELc85EKPKS1_KPS1_EviT_PT9_S7_lS9_S7_lPT10_S7_li: ; @_ZL37rocblas_syrkx_herkx_restricted_kernelIi19rocblas_complex_numIfELi16ELi32ELi8ELin1ELi0ELb0ELc67ELc85EKPKS1_KPS1_EviT_PT9_S7_lS9_S7_lPT10_S7_li
; %bb.0:
	s_load_dwordx2 s[10:11], s[4:5], 0x38
	s_load_dwordx2 s[2:3], s[4:5], 0x0
	s_mov_b32 s9, 0
	s_lshl_b64 s[0:1], s[8:9], 3
	s_waitcnt lgkmcnt(0)
	s_add_u32 s10, s10, s0
	s_addc_u32 s11, s11, s1
	s_load_dwordx2 s[10:11], s[10:11], 0x0
	s_lshl_b32 s6, s6, 5
	s_lshl_b32 s7, s7, 5
	s_cmp_lt_i32 s3, 1
	s_cbranch_scc1 .LBB640_3
; %bb.1:
	v_lshl_add_u32 v4, v1, 4, v0
	s_load_dwordx2 s[12:13], s[4:5], 0x8
	s_load_dword s8, s[4:5], 0x10
	s_load_dwordx2 s[14:15], s[4:5], 0x20
	s_load_dword s16, s[4:5], 0x28
	v_and_b32_e32 v7, 31, v4
	v_lshrrev_b32_e32 v6, 3, v4
	v_and_b32_e32 v9, 7, v0
	v_lshrrev_b32_e32 v4, 5, v4
	v_lshlrev_b32_e32 v8, 3, v7
	s_waitcnt lgkmcnt(0)
	s_add_u32 s12, s12, s0
	v_lshl_or_b32 v11, v4, 8, v8
	v_lshlrev_b32_e32 v8, 3, v9
	s_addc_u32 s13, s13, s1
	v_add_u32_e32 v2, s7, v6
	v_mov_b32_e32 v10, 0
	v_lshl_or_b32 v6, v6, 6, v8
	s_add_u32 s0, s14, s0
	v_mov_b32_e32 v5, v10
	v_add_u32_e32 v12, 0x800, v6
	v_add_u32_e32 v6, s6, v7
	s_addc_u32 s1, s15, s1
	v_mad_i64_i32 v[4:5], s[14:15], s8, v6, v[4:5]
	s_load_dwordx2 s[12:13], s[12:13], 0x0
	v_mad_i64_i32 v[2:3], s[14:15], s16, v2, v[9:10]
	s_load_dwordx2 s[0:1], s[0:1], 0x0
	v_lshlrev_b64 v[4:5], 3, v[4:5]
	v_mov_b32_e32 v6, 0x800
	v_lshl_add_u32 v14, v1, 6, v6
	s_waitcnt lgkmcnt(0)
	v_mov_b32_e32 v7, s13
	v_add_co_u32_e32 v6, vcc, s12, v4
	v_lshlrev_b64 v[2:3], 3, v[2:3]
	v_addc_co_u32_e32 v7, vcc, v7, v5, vcc
	v_mov_b32_e32 v4, s1
	v_add_co_u32_e32 v8, vcc, s0, v2
	v_lshlrev_b32_e32 v13, 3, v0
	v_addc_co_u32_e32 v9, vcc, v4, v3, vcc
	v_mov_b32_e32 v15, v10
	v_mov_b32_e32 v16, v10
	;; [unrolled: 1-line block ×7, first 2 shown]
.LBB640_2:                              ; =>This Inner Loop Header: Depth=1
	flat_load_dwordx2 v[2:3], v[6:7]
	v_add_co_u32_e32 v6, vcc, 64, v6
	v_addc_co_u32_e32 v7, vcc, 0, v7, vcc
	s_add_i32 s9, s9, 8
	s_cmp_ge_i32 s9, s3
	s_waitcnt vmcnt(0) lgkmcnt(0)
	ds_write_b64 v11, v[2:3]
	flat_load_dwordx2 v[2:3], v[8:9]
	v_add_co_u32_e32 v8, vcc, 64, v8
	v_addc_co_u32_e32 v9, vcc, 0, v9, vcc
	s_waitcnt vmcnt(0) lgkmcnt(0)
	ds_write_b64 v12, v[2:3]
	s_waitcnt lgkmcnt(0)
	s_barrier
	ds_read_b128 v[22:25], v14
	ds_read_b128 v[26:29], v14 offset:16
	ds_read_b128 v[30:33], v14 offset:32
	;; [unrolled: 1-line block ×3, first 2 shown]
	ds_read2_b64 v[34:37], v13 offset1:16
	s_waitcnt lgkmcnt(0)
	v_mul_f32_e32 v38, v23, v35
	v_mul_f32_e32 v39, v22, v35
	v_fma_f32 v38, v22, v34, -v38
	v_fmac_f32_e32 v39, v23, v34
	v_add_f32_e32 v38, v20, v38
	v_add_f32_e32 v39, v21, v39
	v_mul_f32_e32 v20, v23, v37
	v_mul_f32_e32 v21, v22, v37
	v_fma_f32 v20, v22, v36, -v20
	v_fmac_f32_e32 v21, v23, v36
	v_add_f32_e32 v22, v19, v20
	v_add_f32_e32 v23, v18, v21
	ds_read_b128 v[18:21], v14 offset:1024
	s_waitcnt lgkmcnt(0)
	v_mul_f32_e32 v40, v19, v35
	v_mul_f32_e32 v35, v18, v35
	v_fma_f32 v40, v18, v34, -v40
	v_fmac_f32_e32 v35, v19, v34
	v_add_f32_e32 v34, v17, v40
	v_add_f32_e32 v35, v16, v35
	v_mul_f32_e32 v16, v19, v37
	v_mul_f32_e32 v17, v18, v37
	v_fma_f32 v16, v18, v36, -v16
	v_fmac_f32_e32 v17, v19, v36
	v_add_f32_e32 v19, v15, v16
	v_add_f32_e32 v10, v10, v17
	ds_read2_b64 v[15:18], v13 offset0:32 offset1:48
	s_waitcnt lgkmcnt(0)
	v_mul_f32_e32 v36, v25, v16
	v_fma_f32 v36, v24, v15, -v36
	v_add_f32_e32 v36, v38, v36
	v_mul_f32_e32 v38, v25, v18
	v_mul_f32_e32 v37, v24, v16
	v_fma_f32 v38, v24, v17, -v38
	v_mul_f32_e32 v24, v24, v18
	v_fmac_f32_e32 v24, v25, v17
	v_add_f32_e32 v23, v23, v24
	v_mul_f32_e32 v24, v21, v16
	v_mul_f32_e32 v16, v20, v16
	v_fmac_f32_e32 v16, v21, v15
	v_fmac_f32_e32 v37, v25, v15
	v_fma_f32 v24, v20, v15, -v24
	v_add_f32_e32 v25, v35, v16
	v_mul_f32_e32 v15, v21, v18
	v_mul_f32_e32 v16, v20, v18
	v_fma_f32 v15, v20, v17, -v15
	v_fmac_f32_e32 v16, v21, v17
	v_add_f32_e32 v24, v34, v24
	v_add_f32_e32 v34, v19, v15
	v_add_f32_e32 v10, v10, v16
	ds_read2_b64 v[15:18], v13 offset0:64 offset1:80
	v_add_f32_e32 v37, v39, v37
	v_add_f32_e32 v22, v22, v38
	s_waitcnt lgkmcnt(0)
	v_mul_f32_e32 v19, v27, v16
	v_mul_f32_e32 v20, v26, v16
	v_fma_f32 v19, v26, v15, -v19
	v_fmac_f32_e32 v20, v27, v15
	v_add_f32_e32 v35, v36, v19
	v_add_f32_e32 v36, v37, v20
	v_mul_f32_e32 v19, v27, v18
	v_mul_f32_e32 v20, v26, v18
	v_fma_f32 v19, v26, v17, -v19
	v_fmac_f32_e32 v20, v27, v17
	v_add_f32_e32 v26, v22, v19
	v_add_f32_e32 v23, v23, v20
	ds_read_b128 v[19:22], v14 offset:1040
	s_waitcnt lgkmcnt(0)
	v_mul_f32_e32 v27, v20, v16
	v_mul_f32_e32 v16, v19, v16
	v_fmac_f32_e32 v16, v20, v15
	v_fma_f32 v27, v19, v15, -v27
	v_add_f32_e32 v25, v25, v16
	v_mul_f32_e32 v15, v20, v18
	v_mul_f32_e32 v16, v19, v18
	v_fma_f32 v15, v19, v17, -v15
	v_fmac_f32_e32 v16, v20, v17
	v_add_f32_e32 v19, v34, v15
	v_add_f32_e32 v10, v10, v16
	ds_read2_b64 v[15:18], v13 offset0:96 offset1:112
	v_add_f32_e32 v24, v24, v27
	s_waitcnt lgkmcnt(0)
	v_mul_f32_e32 v20, v29, v16
	v_mul_f32_e32 v34, v29, v18
	v_fma_f32 v20, v28, v15, -v20
	v_mul_f32_e32 v27, v28, v16
	v_fma_f32 v34, v28, v17, -v34
	v_mul_f32_e32 v28, v28, v18
	v_fmac_f32_e32 v28, v29, v17
	v_add_f32_e32 v23, v23, v28
	v_mul_f32_e32 v28, v22, v16
	v_mul_f32_e32 v16, v21, v16
	v_fmac_f32_e32 v16, v22, v15
	v_fmac_f32_e32 v27, v29, v15
	v_fma_f32 v28, v21, v15, -v28
	v_add_f32_e32 v25, v25, v16
	v_mul_f32_e32 v15, v22, v18
	v_mul_f32_e32 v16, v21, v18
	v_fma_f32 v15, v21, v17, -v15
	v_fmac_f32_e32 v16, v22, v17
	v_add_f32_e32 v24, v24, v28
	v_add_f32_e32 v28, v19, v15
	;; [unrolled: 1-line block ×3, first 2 shown]
	ds_read2_b64 v[15:18], v13 offset0:128 offset1:144
	v_add_f32_e32 v20, v35, v20
	v_add_f32_e32 v27, v36, v27
	;; [unrolled: 1-line block ×3, first 2 shown]
	s_waitcnt lgkmcnt(0)
	v_mul_f32_e32 v19, v31, v16
	v_fma_f32 v19, v30, v15, -v19
	v_mul_f32_e32 v21, v30, v16
	v_add_f32_e32 v29, v20, v19
	v_mul_f32_e32 v19, v31, v18
	v_mul_f32_e32 v20, v30, v18
	v_fmac_f32_e32 v21, v31, v15
	v_fma_f32 v19, v30, v17, -v19
	v_fmac_f32_e32 v20, v31, v17
	v_add_f32_e32 v27, v27, v21
	v_add_f32_e32 v26, v26, v19
	;; [unrolled: 1-line block ×3, first 2 shown]
	ds_read_b128 v[19:22], v14 offset:1056
	s_waitcnt lgkmcnt(0)
	v_mul_f32_e32 v30, v20, v16
	v_mul_f32_e32 v16, v19, v16
	v_fmac_f32_e32 v16, v20, v15
	v_fma_f32 v30, v19, v15, -v30
	v_add_f32_e32 v25, v25, v16
	v_mul_f32_e32 v15, v20, v18
	v_mul_f32_e32 v16, v19, v18
	v_fma_f32 v15, v19, v17, -v15
	v_fmac_f32_e32 v16, v20, v17
	v_add_f32_e32 v19, v28, v15
	v_add_f32_e32 v10, v10, v16
	ds_read2_b64 v[15:18], v13 offset0:160 offset1:176
	v_add_f32_e32 v24, v24, v30
	s_waitcnt lgkmcnt(0)
	v_mul_f32_e32 v28, v32, v16
	v_fmac_f32_e32 v28, v33, v15
	v_add_f32_e32 v27, v27, v28
	v_mul_f32_e32 v28, v33, v18
	v_fma_f32 v28, v32, v17, -v28
	v_mul_f32_e32 v20, v33, v16
	v_add_f32_e32 v26, v26, v28
	v_mul_f32_e32 v28, v22, v16
	v_mul_f32_e32 v16, v21, v16
	v_fmac_f32_e32 v16, v22, v15
	v_fma_f32 v20, v32, v15, -v20
	v_fma_f32 v28, v21, v15, -v28
	v_add_f32_e32 v25, v25, v16
	v_mul_f32_e32 v15, v22, v18
	v_mul_f32_e32 v16, v21, v18
	v_add_f32_e32 v20, v29, v20
	v_mul_f32_e32 v29, v32, v18
	v_fma_f32 v15, v21, v17, -v15
	v_fmac_f32_e32 v16, v22, v17
	v_fmac_f32_e32 v29, v33, v17
	v_add_f32_e32 v19, v19, v15
	v_add_f32_e32 v10, v10, v16
	ds_read2_b64 v[15:18], v13 offset0:192 offset1:208
	v_add_f32_e32 v24, v24, v28
	v_add_f32_e32 v23, v23, v29
	s_waitcnt lgkmcnt(0)
	v_mul_f32_e32 v21, v3, v16
	v_fma_f32 v21, v2, v15, -v21
	v_add_f32_e32 v28, v20, v21
	v_mul_f32_e32 v20, v3, v18
	v_mul_f32_e32 v22, v2, v16
	v_fma_f32 v20, v2, v17, -v20
	v_mul_f32_e32 v2, v2, v18
	v_fmac_f32_e32 v22, v3, v15
	v_fmac_f32_e32 v2, v3, v17
	v_add_f32_e32 v29, v27, v22
	v_add_f32_e32 v3, v26, v20
	v_add_f32_e32 v2, v23, v2
	ds_read_b128 v[20:23], v14 offset:1072
	s_waitcnt lgkmcnt(0)
	v_mul_f32_e32 v26, v21, v16
	v_fma_f32 v26, v20, v15, -v26
	v_mul_f32_e32 v16, v20, v16
	v_fmac_f32_e32 v16, v21, v15
	v_add_f32_e32 v15, v24, v26
	v_mul_f32_e32 v24, v21, v18
	v_fma_f32 v24, v20, v17, -v24
	v_add_f32_e32 v16, v25, v16
	v_add_f32_e32 v30, v19, v24
	ds_read2_b64 v[24:27], v13 offset0:224 offset1:240
	v_mul_f32_e32 v18, v20, v18
	v_fmac_f32_e32 v18, v21, v17
	v_add_f32_e32 v10, v10, v18
	s_waitcnt lgkmcnt(0)
	v_mul_f32_e32 v17, v5, v25
	v_fma_f32 v17, v4, v24, -v17
	v_add_f32_e32 v20, v28, v17
	v_mul_f32_e32 v17, v5, v27
	v_mul_f32_e32 v18, v4, v25
	v_fma_f32 v17, v4, v26, -v17
	v_mul_f32_e32 v4, v4, v27
	v_fmac_f32_e32 v18, v5, v24
	v_fmac_f32_e32 v4, v5, v26
	v_add_f32_e32 v21, v29, v18
	v_add_f32_e32 v19, v3, v17
	;; [unrolled: 1-line block ×3, first 2 shown]
	v_mul_f32_e32 v2, v23, v25
	v_mul_f32_e32 v3, v22, v25
	v_fma_f32 v2, v22, v24, -v2
	v_fmac_f32_e32 v3, v23, v24
	v_add_f32_e32 v17, v15, v2
	v_add_f32_e32 v16, v16, v3
	v_mul_f32_e32 v2, v23, v27
	v_mul_f32_e32 v3, v22, v27
	v_fma_f32 v2, v22, v26, -v2
	v_fmac_f32_e32 v3, v23, v26
	v_add_f32_e32 v15, v30, v2
	v_add_f32_e32 v10, v10, v3
	s_barrier
	s_cbranch_scc0 .LBB640_2
	s_branch .LBB640_4
.LBB640_3:
	v_mov_b32_e32 v20, 0
	v_mov_b32_e32 v21, 0
	v_mov_b32_e32 v19, 0
	v_mov_b32_e32 v18, 0
	v_mov_b32_e32 v17, 0
	v_mov_b32_e32 v16, 0
	v_mov_b32_e32 v15, 0
	v_mov_b32_e32 v10, 0
.LBB640_4:
	s_load_dword s3, s[4:5], 0x40
	v_add_u32_e32 v4, s7, v1
	s_waitcnt lgkmcnt(0)
	v_mov_b32_e32 v3, s11
	v_add_u32_e32 v0, s6, v0
	v_cmp_gt_i32_e32 vcc, s2, v4
	v_mad_i64_i32 v[1:2], s[0:1], v4, s3, 0
	v_lshlrev_b64 v[1:2], 3, v[1:2]
	v_add_co_u32_e64 v5, s[0:1], s10, v1
	v_addc_co_u32_e64 v6, s[0:1], v3, v2, s[0:1]
	v_cmp_le_i32_e64 s[0:1], v0, v4
	s_and_b64 s[0:1], vcc, s[0:1]
	s_and_saveexec_b64 s[4:5], s[0:1]
	s_cbranch_execz .LBB640_6
; %bb.5:
	v_ashrrev_i32_e32 v1, 31, v0
	v_lshlrev_b64 v[7:8], 3, v[0:1]
	v_xor_b32_e32 v2, 0x80000000, v20
	v_add_co_u32_e64 v7, s[0:1], v5, v7
	v_xor_b32_e32 v3, 0x80000000, v21
	v_addc_co_u32_e64 v8, s[0:1], v6, v8, s[0:1]
	flat_store_dwordx2 v[7:8], v[2:3]
.LBB640_6:
	s_or_b64 exec, exec, s[4:5]
	v_add_u32_e32 v2, 16, v0
	v_cmp_le_i32_e64 s[0:1], v2, v4
	s_and_b64 s[4:5], vcc, s[0:1]
	s_and_saveexec_b64 s[0:1], s[4:5]
	s_cbranch_execz .LBB640_8
; %bb.7:
	v_ashrrev_i32_e32 v3, 31, v2
	v_lshlrev_b64 v[11:12], 3, v[2:3]
	v_xor_b32_e32 v7, 0x80000000, v19
	v_add_co_u32_e32 v5, vcc, v5, v11
	v_xor_b32_e32 v8, 0x80000000, v18
	v_addc_co_u32_e32 v6, vcc, v6, v12, vcc
	flat_store_dwordx2 v[5:6], v[7:8]
.LBB640_8:
	s_or_b64 exec, exec, s[0:1]
	v_add_u32_e32 v3, 16, v4
	v_mad_i64_i32 v[4:5], s[0:1], v3, s3, 0
	v_mov_b32_e32 v1, s11
	v_cmp_gt_i32_e32 vcc, s2, v3
	v_lshlrev_b64 v[4:5], 3, v[4:5]
	v_add_co_u32_e64 v4, s[0:1], s10, v4
	v_addc_co_u32_e64 v5, s[0:1], v1, v5, s[0:1]
	v_cmp_le_i32_e64 s[0:1], v0, v3
	s_and_b64 s[0:1], vcc, s[0:1]
	s_and_saveexec_b64 s[2:3], s[0:1]
	s_cbranch_execz .LBB640_10
; %bb.9:
	v_ashrrev_i32_e32 v1, 31, v0
	v_lshlrev_b64 v[0:1], 3, v[0:1]
	v_xor_b32_e32 v6, 0x80000000, v17
	v_add_co_u32_e64 v0, s[0:1], v4, v0
	v_xor_b32_e32 v7, 0x80000000, v16
	v_addc_co_u32_e64 v1, s[0:1], v5, v1, s[0:1]
	flat_store_dwordx2 v[0:1], v[6:7]
.LBB640_10:
	s_or_b64 exec, exec, s[2:3]
	v_cmp_le_i32_e64 s[0:1], v2, v3
	s_and_b64 s[0:1], vcc, s[0:1]
	s_and_saveexec_b64 s[2:3], s[0:1]
	s_cbranch_execz .LBB640_12
; %bb.11:
	v_ashrrev_i32_e32 v3, 31, v2
	v_lshlrev_b64 v[2:3], 3, v[2:3]
	v_xor_b32_e32 v0, 0x80000000, v15
	v_add_co_u32_e32 v2, vcc, v4, v2
	v_xor_b32_e32 v1, 0x80000000, v10
	v_addc_co_u32_e32 v3, vcc, v5, v3, vcc
	flat_store_dwordx2 v[2:3], v[0:1]
.LBB640_12:
	s_endpgm
	.section	.rodata,"a",@progbits
	.p2align	6, 0x0
	.amdhsa_kernel _ZL37rocblas_syrkx_herkx_restricted_kernelIi19rocblas_complex_numIfELi16ELi32ELi8ELin1ELi0ELb0ELc67ELc85EKPKS1_KPS1_EviT_PT9_S7_lS9_S7_lPT10_S7_li
		.amdhsa_group_segment_fixed_size 4096
		.amdhsa_private_segment_fixed_size 0
		.amdhsa_kernarg_size 84
		.amdhsa_user_sgpr_count 6
		.amdhsa_user_sgpr_private_segment_buffer 1
		.amdhsa_user_sgpr_dispatch_ptr 0
		.amdhsa_user_sgpr_queue_ptr 0
		.amdhsa_user_sgpr_kernarg_segment_ptr 1
		.amdhsa_user_sgpr_dispatch_id 0
		.amdhsa_user_sgpr_flat_scratch_init 0
		.amdhsa_user_sgpr_private_segment_size 0
		.amdhsa_uses_dynamic_stack 0
		.amdhsa_system_sgpr_private_segment_wavefront_offset 0
		.amdhsa_system_sgpr_workgroup_id_x 1
		.amdhsa_system_sgpr_workgroup_id_y 1
		.amdhsa_system_sgpr_workgroup_id_z 1
		.amdhsa_system_sgpr_workgroup_info 0
		.amdhsa_system_vgpr_workitem_id 1
		.amdhsa_next_free_vgpr 41
		.amdhsa_next_free_sgpr 17
		.amdhsa_reserve_vcc 1
		.amdhsa_reserve_flat_scratch 0
		.amdhsa_float_round_mode_32 0
		.amdhsa_float_round_mode_16_64 0
		.amdhsa_float_denorm_mode_32 3
		.amdhsa_float_denorm_mode_16_64 3
		.amdhsa_dx10_clamp 1
		.amdhsa_ieee_mode 1
		.amdhsa_fp16_overflow 0
		.amdhsa_exception_fp_ieee_invalid_op 0
		.amdhsa_exception_fp_denorm_src 0
		.amdhsa_exception_fp_ieee_div_zero 0
		.amdhsa_exception_fp_ieee_overflow 0
		.amdhsa_exception_fp_ieee_underflow 0
		.amdhsa_exception_fp_ieee_inexact 0
		.amdhsa_exception_int_div_zero 0
	.end_amdhsa_kernel
	.section	.text._ZL37rocblas_syrkx_herkx_restricted_kernelIi19rocblas_complex_numIfELi16ELi32ELi8ELin1ELi0ELb0ELc67ELc85EKPKS1_KPS1_EviT_PT9_S7_lS9_S7_lPT10_S7_li,"axG",@progbits,_ZL37rocblas_syrkx_herkx_restricted_kernelIi19rocblas_complex_numIfELi16ELi32ELi8ELin1ELi0ELb0ELc67ELc85EKPKS1_KPS1_EviT_PT9_S7_lS9_S7_lPT10_S7_li,comdat
.Lfunc_end640:
	.size	_ZL37rocblas_syrkx_herkx_restricted_kernelIi19rocblas_complex_numIfELi16ELi32ELi8ELin1ELi0ELb0ELc67ELc85EKPKS1_KPS1_EviT_PT9_S7_lS9_S7_lPT10_S7_li, .Lfunc_end640-_ZL37rocblas_syrkx_herkx_restricted_kernelIi19rocblas_complex_numIfELi16ELi32ELi8ELin1ELi0ELb0ELc67ELc85EKPKS1_KPS1_EviT_PT9_S7_lS9_S7_lPT10_S7_li
                                        ; -- End function
	.set _ZL37rocblas_syrkx_herkx_restricted_kernelIi19rocblas_complex_numIfELi16ELi32ELi8ELin1ELi0ELb0ELc67ELc85EKPKS1_KPS1_EviT_PT9_S7_lS9_S7_lPT10_S7_li.num_vgpr, 41
	.set _ZL37rocblas_syrkx_herkx_restricted_kernelIi19rocblas_complex_numIfELi16ELi32ELi8ELin1ELi0ELb0ELc67ELc85EKPKS1_KPS1_EviT_PT9_S7_lS9_S7_lPT10_S7_li.num_agpr, 0
	.set _ZL37rocblas_syrkx_herkx_restricted_kernelIi19rocblas_complex_numIfELi16ELi32ELi8ELin1ELi0ELb0ELc67ELc85EKPKS1_KPS1_EviT_PT9_S7_lS9_S7_lPT10_S7_li.numbered_sgpr, 17
	.set _ZL37rocblas_syrkx_herkx_restricted_kernelIi19rocblas_complex_numIfELi16ELi32ELi8ELin1ELi0ELb0ELc67ELc85EKPKS1_KPS1_EviT_PT9_S7_lS9_S7_lPT10_S7_li.num_named_barrier, 0
	.set _ZL37rocblas_syrkx_herkx_restricted_kernelIi19rocblas_complex_numIfELi16ELi32ELi8ELin1ELi0ELb0ELc67ELc85EKPKS1_KPS1_EviT_PT9_S7_lS9_S7_lPT10_S7_li.private_seg_size, 0
	.set _ZL37rocblas_syrkx_herkx_restricted_kernelIi19rocblas_complex_numIfELi16ELi32ELi8ELin1ELi0ELb0ELc67ELc85EKPKS1_KPS1_EviT_PT9_S7_lS9_S7_lPT10_S7_li.uses_vcc, 1
	.set _ZL37rocblas_syrkx_herkx_restricted_kernelIi19rocblas_complex_numIfELi16ELi32ELi8ELin1ELi0ELb0ELc67ELc85EKPKS1_KPS1_EviT_PT9_S7_lS9_S7_lPT10_S7_li.uses_flat_scratch, 0
	.set _ZL37rocblas_syrkx_herkx_restricted_kernelIi19rocblas_complex_numIfELi16ELi32ELi8ELin1ELi0ELb0ELc67ELc85EKPKS1_KPS1_EviT_PT9_S7_lS9_S7_lPT10_S7_li.has_dyn_sized_stack, 0
	.set _ZL37rocblas_syrkx_herkx_restricted_kernelIi19rocblas_complex_numIfELi16ELi32ELi8ELin1ELi0ELb0ELc67ELc85EKPKS1_KPS1_EviT_PT9_S7_lS9_S7_lPT10_S7_li.has_recursion, 0
	.set _ZL37rocblas_syrkx_herkx_restricted_kernelIi19rocblas_complex_numIfELi16ELi32ELi8ELin1ELi0ELb0ELc67ELc85EKPKS1_KPS1_EviT_PT9_S7_lS9_S7_lPT10_S7_li.has_indirect_call, 0
	.section	.AMDGPU.csdata,"",@progbits
; Kernel info:
; codeLenInByte = 1892
; TotalNumSgprs: 21
; NumVgprs: 41
; ScratchSize: 0
; MemoryBound: 0
; FloatMode: 240
; IeeeMode: 1
; LDSByteSize: 4096 bytes/workgroup (compile time only)
; SGPRBlocks: 2
; VGPRBlocks: 10
; NumSGPRsForWavesPerEU: 21
; NumVGPRsForWavesPerEU: 41
; Occupancy: 5
; WaveLimiterHint : 1
; COMPUTE_PGM_RSRC2:SCRATCH_EN: 0
; COMPUTE_PGM_RSRC2:USER_SGPR: 6
; COMPUTE_PGM_RSRC2:TRAP_HANDLER: 0
; COMPUTE_PGM_RSRC2:TGID_X_EN: 1
; COMPUTE_PGM_RSRC2:TGID_Y_EN: 1
; COMPUTE_PGM_RSRC2:TGID_Z_EN: 1
; COMPUTE_PGM_RSRC2:TIDIG_COMP_CNT: 1
	.section	.text._ZL37rocblas_syrkx_herkx_restricted_kernelIi19rocblas_complex_numIfELi16ELi32ELi8ELin1ELi0ELb0ELc78ELc85EKPKS1_KPS1_EviT_PT9_S7_lS9_S7_lPT10_S7_li,"axG",@progbits,_ZL37rocblas_syrkx_herkx_restricted_kernelIi19rocblas_complex_numIfELi16ELi32ELi8ELin1ELi0ELb0ELc78ELc85EKPKS1_KPS1_EviT_PT9_S7_lS9_S7_lPT10_S7_li,comdat
	.globl	_ZL37rocblas_syrkx_herkx_restricted_kernelIi19rocblas_complex_numIfELi16ELi32ELi8ELin1ELi0ELb0ELc78ELc85EKPKS1_KPS1_EviT_PT9_S7_lS9_S7_lPT10_S7_li ; -- Begin function _ZL37rocblas_syrkx_herkx_restricted_kernelIi19rocblas_complex_numIfELi16ELi32ELi8ELin1ELi0ELb0ELc78ELc85EKPKS1_KPS1_EviT_PT9_S7_lS9_S7_lPT10_S7_li
	.p2align	8
	.type	_ZL37rocblas_syrkx_herkx_restricted_kernelIi19rocblas_complex_numIfELi16ELi32ELi8ELin1ELi0ELb0ELc78ELc85EKPKS1_KPS1_EviT_PT9_S7_lS9_S7_lPT10_S7_li,@function
_ZL37rocblas_syrkx_herkx_restricted_kernelIi19rocblas_complex_numIfELi16ELi32ELi8ELin1ELi0ELb0ELc78ELc85EKPKS1_KPS1_EviT_PT9_S7_lS9_S7_lPT10_S7_li: ; @_ZL37rocblas_syrkx_herkx_restricted_kernelIi19rocblas_complex_numIfELi16ELi32ELi8ELin1ELi0ELb0ELc78ELc85EKPKS1_KPS1_EviT_PT9_S7_lS9_S7_lPT10_S7_li
; %bb.0:
	s_load_dwordx2 s[10:11], s[4:5], 0x38
	s_load_dwordx2 s[2:3], s[4:5], 0x0
	s_mov_b32 s9, 0
	s_lshl_b64 s[0:1], s[8:9], 3
	s_waitcnt lgkmcnt(0)
	s_add_u32 s10, s10, s0
	s_addc_u32 s11, s11, s1
	s_load_dwordx2 s[10:11], s[10:11], 0x0
	s_lshl_b32 s8, s6, 5
	s_lshl_b32 s12, s7, 5
	s_cmp_lt_i32 s3, 1
	s_cbranch_scc1 .LBB641_3
; %bb.1:
	s_load_dword s6, s[4:5], 0x10
	s_load_dword s14, s[4:5], 0x28
	s_load_dwordx2 s[16:17], s[4:5], 0x20
	s_load_dwordx2 s[18:19], s[4:5], 0x8
	v_lshl_add_u32 v5, v1, 4, v0
	s_waitcnt lgkmcnt(0)
	s_ashr_i32 s7, s6, 31
	s_ashr_i32 s15, s14, 31
	v_lshrrev_b32_e32 v6, 3, v5
	s_add_u32 s18, s18, s0
	s_addc_u32 s19, s19, s1
	s_add_u32 s0, s16, s0
	v_add_u32_e32 v2, s12, v6
	s_addc_u32 s1, s17, s1
	v_and_b32_e32 v4, 7, v0
	v_ashrrev_i32_e32 v3, 31, v2
	s_load_dwordx2 s[16:17], s[0:1], 0x0
	v_mad_i64_i32 v[2:3], s[0:1], s14, v4, v[2:3]
	v_lshlrev_b32_e32 v4, 3, v4
	v_lshrrev_b32_e32 v7, 5, v5
	v_and_b32_e32 v5, 31, v5
	v_lshl_or_b32 v4, v6, 6, v4
	v_add_u32_e32 v11, 0x800, v4
	v_add_u32_e32 v4, s8, v5
	v_lshlrev_b32_e32 v8, 3, v5
	v_ashrrev_i32_e32 v5, 31, v4
	v_mad_i64_i32 v[4:5], s[0:1], s6, v7, v[4:5]
	s_load_dwordx2 s[18:19], s[18:19], 0x0
	v_mov_b32_e32 v6, 0x800
	v_lshlrev_b64 v[4:5], 3, v[4:5]
	v_lshl_or_b32 v10, v7, 8, v8
	v_lshl_add_u32 v13, v1, 6, v6
	s_waitcnt lgkmcnt(0)
	v_mov_b32_e32 v7, s19
	v_add_co_u32_e32 v6, vcc, s18, v4
	v_lshlrev_b64 v[2:3], 3, v[2:3]
	v_addc_co_u32_e32 v7, vcc, v7, v5, vcc
	s_lshl_b64 s[0:1], s[6:7], 6
	v_mov_b32_e32 v4, s17
	v_add_co_u32_e32 v8, vcc, s16, v2
	s_lshl_b64 s[6:7], s[14:15], 6
	v_lshlrev_b32_e32 v12, 3, v0
	v_addc_co_u32_e32 v9, vcc, v4, v3, vcc
	v_mov_b32_e32 v16, 0
	v_mov_b32_e32 v14, s1
	;; [unrolled: 1-line block ×10, first 2 shown]
.LBB641_2:                              ; =>This Inner Loop Header: Depth=1
	flat_load_dwordx2 v[2:3], v[6:7]
	v_add_co_u32_e32 v6, vcc, s0, v6
	v_addc_co_u32_e32 v7, vcc, v7, v14, vcc
	s_add_i32 s9, s9, 8
	s_cmp_ge_i32 s9, s3
	s_waitcnt vmcnt(0) lgkmcnt(0)
	ds_write_b64 v10, v[2:3]
	flat_load_dwordx2 v[2:3], v[8:9]
	v_add_co_u32_e32 v8, vcc, s6, v8
	v_addc_co_u32_e32 v9, vcc, v9, v15, vcc
	s_waitcnt vmcnt(0) lgkmcnt(0)
	ds_write_b64 v11, v[2:3]
	s_waitcnt lgkmcnt(0)
	s_barrier
	ds_read_b128 v[24:27], v13
	ds_read_b128 v[28:31], v13 offset:16
	ds_read_b128 v[32:35], v13 offset:32
	;; [unrolled: 1-line block ×3, first 2 shown]
	ds_read2_b64 v[36:39], v12 offset1:16
	s_waitcnt lgkmcnt(0)
	v_mul_f32_e32 v40, v25, v37
	v_mul_f32_e32 v41, v24, v37
	v_fma_f32 v40, v24, v36, -v40
	v_fmac_f32_e32 v41, v25, v36
	v_add_f32_e32 v40, v22, v40
	v_add_f32_e32 v41, v23, v41
	v_mul_f32_e32 v22, v25, v39
	v_mul_f32_e32 v23, v24, v39
	v_fma_f32 v22, v24, v38, -v22
	v_fmac_f32_e32 v23, v25, v38
	v_add_f32_e32 v24, v21, v22
	v_add_f32_e32 v25, v20, v23
	ds_read_b128 v[20:23], v13 offset:1024
	s_waitcnt lgkmcnt(0)
	v_mul_f32_e32 v42, v21, v37
	v_mul_f32_e32 v37, v20, v37
	v_fma_f32 v42, v20, v36, -v42
	v_fmac_f32_e32 v37, v21, v36
	v_add_f32_e32 v36, v19, v42
	v_add_f32_e32 v37, v18, v37
	v_mul_f32_e32 v18, v21, v39
	v_mul_f32_e32 v19, v20, v39
	v_fma_f32 v18, v20, v38, -v18
	v_fmac_f32_e32 v19, v21, v38
	v_add_f32_e32 v20, v17, v18
	v_add_f32_e32 v21, v16, v19
	ds_read2_b64 v[16:19], v12 offset0:32 offset1:48
	s_waitcnt lgkmcnt(0)
	v_mul_f32_e32 v38, v27, v17
	v_fma_f32 v38, v26, v16, -v38
	v_add_f32_e32 v38, v40, v38
	v_mul_f32_e32 v40, v27, v19
	v_mul_f32_e32 v39, v26, v17
	v_fma_f32 v40, v26, v18, -v40
	v_mul_f32_e32 v26, v26, v19
	v_fmac_f32_e32 v26, v27, v18
	v_add_f32_e32 v25, v25, v26
	v_mul_f32_e32 v26, v23, v17
	v_mul_f32_e32 v17, v22, v17
	v_fmac_f32_e32 v17, v23, v16
	v_fmac_f32_e32 v39, v27, v16
	v_fma_f32 v26, v22, v16, -v26
	v_add_f32_e32 v27, v37, v17
	v_mul_f32_e32 v16, v23, v19
	v_mul_f32_e32 v17, v22, v19
	v_fma_f32 v16, v22, v18, -v16
	v_fmac_f32_e32 v17, v23, v18
	v_add_f32_e32 v26, v36, v26
	v_add_f32_e32 v36, v20, v16
	;; [unrolled: 1-line block ×3, first 2 shown]
	ds_read2_b64 v[16:19], v12 offset0:64 offset1:80
	v_add_f32_e32 v39, v41, v39
	v_add_f32_e32 v24, v24, v40
	s_waitcnt lgkmcnt(0)
	v_mul_f32_e32 v20, v29, v17
	v_mul_f32_e32 v21, v28, v17
	v_fma_f32 v20, v28, v16, -v20
	v_fmac_f32_e32 v21, v29, v16
	v_add_f32_e32 v38, v38, v20
	v_add_f32_e32 v39, v39, v21
	v_mul_f32_e32 v20, v29, v19
	v_mul_f32_e32 v21, v28, v19
	v_fma_f32 v20, v28, v18, -v20
	v_fmac_f32_e32 v21, v29, v18
	v_add_f32_e32 v24, v24, v20
	v_add_f32_e32 v25, v25, v21
	ds_read_b128 v[20:23], v13 offset:1040
	s_waitcnt lgkmcnt(0)
	v_mul_f32_e32 v28, v21, v17
	v_mul_f32_e32 v17, v20, v17
	v_fmac_f32_e32 v17, v21, v16
	v_fma_f32 v28, v20, v16, -v28
	v_add_f32_e32 v27, v27, v17
	v_mul_f32_e32 v16, v21, v19
	v_mul_f32_e32 v17, v20, v19
	v_fma_f32 v16, v20, v18, -v16
	v_fmac_f32_e32 v17, v21, v18
	v_add_f32_e32 v20, v36, v16
	v_add_f32_e32 v21, v37, v17
	ds_read2_b64 v[16:19], v12 offset0:96 offset1:112
	v_add_f32_e32 v26, v26, v28
	s_waitcnt lgkmcnt(0)
	v_mul_f32_e32 v28, v31, v17
	v_mul_f32_e32 v36, v31, v19
	v_fma_f32 v28, v30, v16, -v28
	v_mul_f32_e32 v29, v30, v17
	v_fma_f32 v36, v30, v18, -v36
	v_mul_f32_e32 v30, v30, v19
	v_fmac_f32_e32 v30, v31, v18
	v_add_f32_e32 v25, v25, v30
	v_mul_f32_e32 v30, v23, v17
	v_mul_f32_e32 v17, v22, v17
	v_fmac_f32_e32 v17, v23, v16
	v_fmac_f32_e32 v29, v31, v16
	v_fma_f32 v30, v22, v16, -v30
	v_add_f32_e32 v27, v27, v17
	v_mul_f32_e32 v16, v23, v19
	v_mul_f32_e32 v17, v22, v19
	v_fma_f32 v16, v22, v18, -v16
	v_fmac_f32_e32 v17, v23, v18
	v_add_f32_e32 v26, v26, v30
	v_add_f32_e32 v30, v20, v16
	;; [unrolled: 1-line block ×3, first 2 shown]
	ds_read2_b64 v[16:19], v12 offset0:128 offset1:144
	v_add_f32_e32 v28, v38, v28
	v_add_f32_e32 v29, v39, v29
	;; [unrolled: 1-line block ×3, first 2 shown]
	s_waitcnt lgkmcnt(0)
	v_mul_f32_e32 v20, v33, v17
	v_mul_f32_e32 v21, v32, v17
	v_fma_f32 v20, v32, v16, -v20
	v_fmac_f32_e32 v21, v33, v16
	v_add_f32_e32 v28, v28, v20
	v_add_f32_e32 v29, v29, v21
	v_mul_f32_e32 v20, v33, v19
	v_mul_f32_e32 v21, v32, v19
	v_fma_f32 v20, v32, v18, -v20
	v_fmac_f32_e32 v21, v33, v18
	v_add_f32_e32 v24, v24, v20
	v_add_f32_e32 v25, v25, v21
	ds_read_b128 v[20:23], v13 offset:1056
	s_waitcnt lgkmcnt(0)
	v_mul_f32_e32 v32, v21, v17
	v_mul_f32_e32 v17, v20, v17
	v_fmac_f32_e32 v17, v21, v16
	v_fma_f32 v32, v20, v16, -v32
	v_add_f32_e32 v27, v27, v17
	v_mul_f32_e32 v16, v21, v19
	v_mul_f32_e32 v17, v20, v19
	v_fma_f32 v16, v20, v18, -v16
	v_fmac_f32_e32 v17, v21, v18
	v_add_f32_e32 v20, v30, v16
	v_add_f32_e32 v21, v31, v17
	ds_read2_b64 v[16:19], v12 offset0:160 offset1:176
	v_add_f32_e32 v26, v26, v32
	s_waitcnt lgkmcnt(0)
	v_mul_f32_e32 v30, v35, v17
	v_fma_f32 v30, v34, v16, -v30
	v_add_f32_e32 v28, v28, v30
	v_mul_f32_e32 v30, v35, v19
	v_fma_f32 v30, v34, v18, -v30
	v_mul_f32_e32 v31, v34, v17
	v_add_f32_e32 v24, v24, v30
	v_mul_f32_e32 v30, v23, v17
	v_mul_f32_e32 v17, v22, v17
	v_fmac_f32_e32 v17, v23, v16
	v_fmac_f32_e32 v31, v35, v16
	v_fma_f32 v30, v22, v16, -v30
	v_add_f32_e32 v27, v27, v17
	v_mul_f32_e32 v16, v23, v19
	v_mul_f32_e32 v17, v22, v19
	v_add_f32_e32 v29, v29, v31
	v_mul_f32_e32 v31, v34, v19
	v_fma_f32 v16, v22, v18, -v16
	v_fmac_f32_e32 v17, v23, v18
	v_fmac_f32_e32 v31, v35, v18
	v_add_f32_e32 v20, v20, v16
	v_add_f32_e32 v21, v21, v17
	ds_read2_b64 v[16:19], v12 offset0:192 offset1:208
	v_add_f32_e32 v26, v26, v30
	v_add_f32_e32 v25, v25, v31
	s_waitcnt lgkmcnt(0)
	v_mul_f32_e32 v22, v3, v17
	v_fma_f32 v22, v2, v16, -v22
	v_add_f32_e32 v30, v28, v22
	v_mul_f32_e32 v22, v3, v19
	v_mul_f32_e32 v23, v2, v17
	v_fma_f32 v22, v2, v18, -v22
	v_mul_f32_e32 v2, v2, v19
	v_fmac_f32_e32 v23, v3, v16
	v_fmac_f32_e32 v2, v3, v18
	v_add_f32_e32 v31, v29, v23
	v_add_f32_e32 v3, v24, v22
	;; [unrolled: 1-line block ×3, first 2 shown]
	ds_read_b128 v[22:25], v13 offset:1072
	s_waitcnt lgkmcnt(0)
	v_mul_f32_e32 v28, v23, v17
	v_fma_f32 v28, v22, v16, -v28
	v_mul_f32_e32 v17, v22, v17
	v_fmac_f32_e32 v17, v23, v16
	v_add_f32_e32 v16, v26, v28
	v_mul_f32_e32 v26, v23, v19
	v_fma_f32 v26, v22, v18, -v26
	v_add_f32_e32 v17, v27, v17
	v_add_f32_e32 v32, v20, v26
	ds_read2_b64 v[26:29], v12 offset0:224 offset1:240
	v_mul_f32_e32 v19, v22, v19
	v_fmac_f32_e32 v19, v23, v18
	v_add_f32_e32 v33, v21, v19
	s_waitcnt lgkmcnt(0)
	v_mul_f32_e32 v18, v5, v27
	v_fma_f32 v18, v4, v26, -v18
	v_add_f32_e32 v22, v30, v18
	v_mul_f32_e32 v18, v5, v29
	v_mul_f32_e32 v19, v4, v27
	v_fma_f32 v18, v4, v28, -v18
	v_mul_f32_e32 v4, v4, v29
	v_fmac_f32_e32 v4, v5, v28
	v_add_f32_e32 v21, v3, v18
	v_add_f32_e32 v20, v2, v4
	v_mul_f32_e32 v2, v25, v27
	v_mul_f32_e32 v3, v24, v27
	v_fmac_f32_e32 v19, v5, v26
	v_fma_f32 v2, v24, v26, -v2
	v_fmac_f32_e32 v3, v25, v26
	v_add_f32_e32 v23, v31, v19
	v_add_f32_e32 v19, v16, v2
	;; [unrolled: 1-line block ×3, first 2 shown]
	v_mul_f32_e32 v2, v25, v29
	v_mul_f32_e32 v3, v24, v29
	v_fma_f32 v2, v24, v28, -v2
	v_fmac_f32_e32 v3, v25, v28
	v_add_f32_e32 v17, v32, v2
	v_add_f32_e32 v16, v33, v3
	s_barrier
	s_cbranch_scc0 .LBB641_2
	s_branch .LBB641_4
.LBB641_3:
	v_mov_b32_e32 v22, 0
	v_mov_b32_e32 v23, 0
	v_mov_b32_e32 v21, 0
	v_mov_b32_e32 v20, 0
	v_mov_b32_e32 v19, 0
	v_mov_b32_e32 v18, 0
	v_mov_b32_e32 v17, 0
	v_mov_b32_e32 v16, 0
.LBB641_4:
	s_load_dword s3, s[4:5], 0x40
	v_add_u32_e32 v4, s12, v1
	s_waitcnt lgkmcnt(0)
	v_mov_b32_e32 v3, s11
	v_add_u32_e32 v0, s8, v0
	v_cmp_gt_i32_e32 vcc, s2, v4
	v_mad_i64_i32 v[1:2], s[0:1], v4, s3, 0
	v_lshlrev_b64 v[1:2], 3, v[1:2]
	v_add_co_u32_e64 v5, s[0:1], s10, v1
	v_addc_co_u32_e64 v6, s[0:1], v3, v2, s[0:1]
	v_cmp_le_i32_e64 s[0:1], v0, v4
	s_and_b64 s[0:1], vcc, s[0:1]
	s_and_saveexec_b64 s[4:5], s[0:1]
	s_cbranch_execz .LBB641_6
; %bb.5:
	v_ashrrev_i32_e32 v1, 31, v0
	v_lshlrev_b64 v[7:8], 3, v[0:1]
	v_xor_b32_e32 v2, 0x80000000, v22
	v_add_co_u32_e64 v7, s[0:1], v5, v7
	v_xor_b32_e32 v3, 0x80000000, v23
	v_addc_co_u32_e64 v8, s[0:1], v6, v8, s[0:1]
	flat_store_dwordx2 v[7:8], v[2:3]
.LBB641_6:
	s_or_b64 exec, exec, s[4:5]
	v_add_u32_e32 v2, 16, v0
	v_cmp_le_i32_e64 s[0:1], v2, v4
	s_and_b64 s[4:5], vcc, s[0:1]
	s_and_saveexec_b64 s[0:1], s[4:5]
	s_cbranch_execz .LBB641_8
; %bb.7:
	v_ashrrev_i32_e32 v3, 31, v2
	v_lshlrev_b64 v[9:10], 3, v[2:3]
	v_xor_b32_e32 v7, 0x80000000, v21
	v_add_co_u32_e32 v5, vcc, v5, v9
	v_xor_b32_e32 v8, 0x80000000, v20
	v_addc_co_u32_e32 v6, vcc, v6, v10, vcc
	flat_store_dwordx2 v[5:6], v[7:8]
.LBB641_8:
	s_or_b64 exec, exec, s[0:1]
	v_add_u32_e32 v3, 16, v4
	v_mad_i64_i32 v[4:5], s[0:1], v3, s3, 0
	v_mov_b32_e32 v1, s11
	v_cmp_gt_i32_e32 vcc, s2, v3
	v_lshlrev_b64 v[4:5], 3, v[4:5]
	v_add_co_u32_e64 v4, s[0:1], s10, v4
	v_addc_co_u32_e64 v5, s[0:1], v1, v5, s[0:1]
	v_cmp_le_i32_e64 s[0:1], v0, v3
	s_and_b64 s[0:1], vcc, s[0:1]
	s_and_saveexec_b64 s[2:3], s[0:1]
	s_cbranch_execz .LBB641_10
; %bb.9:
	v_ashrrev_i32_e32 v1, 31, v0
	v_lshlrev_b64 v[0:1], 3, v[0:1]
	v_xor_b32_e32 v6, 0x80000000, v19
	v_add_co_u32_e64 v0, s[0:1], v4, v0
	v_xor_b32_e32 v7, 0x80000000, v18
	v_addc_co_u32_e64 v1, s[0:1], v5, v1, s[0:1]
	flat_store_dwordx2 v[0:1], v[6:7]
.LBB641_10:
	s_or_b64 exec, exec, s[2:3]
	v_cmp_le_i32_e64 s[0:1], v2, v3
	s_and_b64 s[0:1], vcc, s[0:1]
	s_and_saveexec_b64 s[2:3], s[0:1]
	s_cbranch_execz .LBB641_12
; %bb.11:
	v_ashrrev_i32_e32 v3, 31, v2
	v_lshlrev_b64 v[2:3], 3, v[2:3]
	v_xor_b32_e32 v0, 0x80000000, v17
	v_add_co_u32_e32 v2, vcc, v4, v2
	v_xor_b32_e32 v1, 0x80000000, v16
	v_addc_co_u32_e32 v3, vcc, v5, v3, vcc
	flat_store_dwordx2 v[2:3], v[0:1]
.LBB641_12:
	s_endpgm
	.section	.rodata,"a",@progbits
	.p2align	6, 0x0
	.amdhsa_kernel _ZL37rocblas_syrkx_herkx_restricted_kernelIi19rocblas_complex_numIfELi16ELi32ELi8ELin1ELi0ELb0ELc78ELc85EKPKS1_KPS1_EviT_PT9_S7_lS9_S7_lPT10_S7_li
		.amdhsa_group_segment_fixed_size 4096
		.amdhsa_private_segment_fixed_size 0
		.amdhsa_kernarg_size 84
		.amdhsa_user_sgpr_count 6
		.amdhsa_user_sgpr_private_segment_buffer 1
		.amdhsa_user_sgpr_dispatch_ptr 0
		.amdhsa_user_sgpr_queue_ptr 0
		.amdhsa_user_sgpr_kernarg_segment_ptr 1
		.amdhsa_user_sgpr_dispatch_id 0
		.amdhsa_user_sgpr_flat_scratch_init 0
		.amdhsa_user_sgpr_private_segment_size 0
		.amdhsa_uses_dynamic_stack 0
		.amdhsa_system_sgpr_private_segment_wavefront_offset 0
		.amdhsa_system_sgpr_workgroup_id_x 1
		.amdhsa_system_sgpr_workgroup_id_y 1
		.amdhsa_system_sgpr_workgroup_id_z 1
		.amdhsa_system_sgpr_workgroup_info 0
		.amdhsa_system_vgpr_workitem_id 1
		.amdhsa_next_free_vgpr 43
		.amdhsa_next_free_sgpr 20
		.amdhsa_reserve_vcc 1
		.amdhsa_reserve_flat_scratch 0
		.amdhsa_float_round_mode_32 0
		.amdhsa_float_round_mode_16_64 0
		.amdhsa_float_denorm_mode_32 3
		.amdhsa_float_denorm_mode_16_64 3
		.amdhsa_dx10_clamp 1
		.amdhsa_ieee_mode 1
		.amdhsa_fp16_overflow 0
		.amdhsa_exception_fp_ieee_invalid_op 0
		.amdhsa_exception_fp_denorm_src 0
		.amdhsa_exception_fp_ieee_div_zero 0
		.amdhsa_exception_fp_ieee_overflow 0
		.amdhsa_exception_fp_ieee_underflow 0
		.amdhsa_exception_fp_ieee_inexact 0
		.amdhsa_exception_int_div_zero 0
	.end_amdhsa_kernel
	.section	.text._ZL37rocblas_syrkx_herkx_restricted_kernelIi19rocblas_complex_numIfELi16ELi32ELi8ELin1ELi0ELb0ELc78ELc85EKPKS1_KPS1_EviT_PT9_S7_lS9_S7_lPT10_S7_li,"axG",@progbits,_ZL37rocblas_syrkx_herkx_restricted_kernelIi19rocblas_complex_numIfELi16ELi32ELi8ELin1ELi0ELb0ELc78ELc85EKPKS1_KPS1_EviT_PT9_S7_lS9_S7_lPT10_S7_li,comdat
.Lfunc_end641:
	.size	_ZL37rocblas_syrkx_herkx_restricted_kernelIi19rocblas_complex_numIfELi16ELi32ELi8ELin1ELi0ELb0ELc78ELc85EKPKS1_KPS1_EviT_PT9_S7_lS9_S7_lPT10_S7_li, .Lfunc_end641-_ZL37rocblas_syrkx_herkx_restricted_kernelIi19rocblas_complex_numIfELi16ELi32ELi8ELin1ELi0ELb0ELc78ELc85EKPKS1_KPS1_EviT_PT9_S7_lS9_S7_lPT10_S7_li
                                        ; -- End function
	.set _ZL37rocblas_syrkx_herkx_restricted_kernelIi19rocblas_complex_numIfELi16ELi32ELi8ELin1ELi0ELb0ELc78ELc85EKPKS1_KPS1_EviT_PT9_S7_lS9_S7_lPT10_S7_li.num_vgpr, 43
	.set _ZL37rocblas_syrkx_herkx_restricted_kernelIi19rocblas_complex_numIfELi16ELi32ELi8ELin1ELi0ELb0ELc78ELc85EKPKS1_KPS1_EviT_PT9_S7_lS9_S7_lPT10_S7_li.num_agpr, 0
	.set _ZL37rocblas_syrkx_herkx_restricted_kernelIi19rocblas_complex_numIfELi16ELi32ELi8ELin1ELi0ELb0ELc78ELc85EKPKS1_KPS1_EviT_PT9_S7_lS9_S7_lPT10_S7_li.numbered_sgpr, 20
	.set _ZL37rocblas_syrkx_herkx_restricted_kernelIi19rocblas_complex_numIfELi16ELi32ELi8ELin1ELi0ELb0ELc78ELc85EKPKS1_KPS1_EviT_PT9_S7_lS9_S7_lPT10_S7_li.num_named_barrier, 0
	.set _ZL37rocblas_syrkx_herkx_restricted_kernelIi19rocblas_complex_numIfELi16ELi32ELi8ELin1ELi0ELb0ELc78ELc85EKPKS1_KPS1_EviT_PT9_S7_lS9_S7_lPT10_S7_li.private_seg_size, 0
	.set _ZL37rocblas_syrkx_herkx_restricted_kernelIi19rocblas_complex_numIfELi16ELi32ELi8ELin1ELi0ELb0ELc78ELc85EKPKS1_KPS1_EviT_PT9_S7_lS9_S7_lPT10_S7_li.uses_vcc, 1
	.set _ZL37rocblas_syrkx_herkx_restricted_kernelIi19rocblas_complex_numIfELi16ELi32ELi8ELin1ELi0ELb0ELc78ELc85EKPKS1_KPS1_EviT_PT9_S7_lS9_S7_lPT10_S7_li.uses_flat_scratch, 0
	.set _ZL37rocblas_syrkx_herkx_restricted_kernelIi19rocblas_complex_numIfELi16ELi32ELi8ELin1ELi0ELb0ELc78ELc85EKPKS1_KPS1_EviT_PT9_S7_lS9_S7_lPT10_S7_li.has_dyn_sized_stack, 0
	.set _ZL37rocblas_syrkx_herkx_restricted_kernelIi19rocblas_complex_numIfELi16ELi32ELi8ELin1ELi0ELb0ELc78ELc85EKPKS1_KPS1_EviT_PT9_S7_lS9_S7_lPT10_S7_li.has_recursion, 0
	.set _ZL37rocblas_syrkx_herkx_restricted_kernelIi19rocblas_complex_numIfELi16ELi32ELi8ELin1ELi0ELb0ELc78ELc85EKPKS1_KPS1_EviT_PT9_S7_lS9_S7_lPT10_S7_li.has_indirect_call, 0
	.section	.AMDGPU.csdata,"",@progbits
; Kernel info:
; codeLenInByte = 1920
; TotalNumSgprs: 24
; NumVgprs: 43
; ScratchSize: 0
; MemoryBound: 0
; FloatMode: 240
; IeeeMode: 1
; LDSByteSize: 4096 bytes/workgroup (compile time only)
; SGPRBlocks: 2
; VGPRBlocks: 10
; NumSGPRsForWavesPerEU: 24
; NumVGPRsForWavesPerEU: 43
; Occupancy: 5
; WaveLimiterHint : 1
; COMPUTE_PGM_RSRC2:SCRATCH_EN: 0
; COMPUTE_PGM_RSRC2:USER_SGPR: 6
; COMPUTE_PGM_RSRC2:TRAP_HANDLER: 0
; COMPUTE_PGM_RSRC2:TGID_X_EN: 1
; COMPUTE_PGM_RSRC2:TGID_Y_EN: 1
; COMPUTE_PGM_RSRC2:TGID_Z_EN: 1
; COMPUTE_PGM_RSRC2:TIDIG_COMP_CNT: 1
	.section	.text._ZL37rocblas_syrkx_herkx_restricted_kernelIi19rocblas_complex_numIfELi16ELi32ELi8ELb1ELb0ELc84ELc76EKPKS1_KPS1_EviT_T0_PT8_S7_lSA_S7_lS8_PT9_S7_li,"axG",@progbits,_ZL37rocblas_syrkx_herkx_restricted_kernelIi19rocblas_complex_numIfELi16ELi32ELi8ELb1ELb0ELc84ELc76EKPKS1_KPS1_EviT_T0_PT8_S7_lSA_S7_lS8_PT9_S7_li,comdat
	.globl	_ZL37rocblas_syrkx_herkx_restricted_kernelIi19rocblas_complex_numIfELi16ELi32ELi8ELb1ELb0ELc84ELc76EKPKS1_KPS1_EviT_T0_PT8_S7_lSA_S7_lS8_PT9_S7_li ; -- Begin function _ZL37rocblas_syrkx_herkx_restricted_kernelIi19rocblas_complex_numIfELi16ELi32ELi8ELb1ELb0ELc84ELc76EKPKS1_KPS1_EviT_T0_PT8_S7_lSA_S7_lS8_PT9_S7_li
	.p2align	8
	.type	_ZL37rocblas_syrkx_herkx_restricted_kernelIi19rocblas_complex_numIfELi16ELi32ELi8ELb1ELb0ELc84ELc76EKPKS1_KPS1_EviT_T0_PT8_S7_lSA_S7_lS8_PT9_S7_li,@function
_ZL37rocblas_syrkx_herkx_restricted_kernelIi19rocblas_complex_numIfELi16ELi32ELi8ELb1ELb0ELc84ELc76EKPKS1_KPS1_EviT_T0_PT8_S7_lSA_S7_lS8_PT9_S7_li: ; @_ZL37rocblas_syrkx_herkx_restricted_kernelIi19rocblas_complex_numIfELi16ELi32ELi8ELb1ELb0ELc84ELc76EKPKS1_KPS1_EviT_T0_PT8_S7_lSA_S7_lS8_PT9_S7_li
; %bb.0:
	s_load_dwordx2 s[2:3], s[4:5], 0x48
	s_load_dwordx2 s[16:17], s[4:5], 0x0
	s_load_dwordx4 s[12:15], s[4:5], 0x8
	s_mov_b32 s9, 0
	s_lshl_b64 s[0:1], s[8:9], 3
	s_waitcnt lgkmcnt(0)
	s_add_u32 s2, s2, s0
	s_addc_u32 s3, s3, s1
	s_load_dwordx2 s[10:11], s[2:3], 0x0
	s_lshl_b32 s2, s6, 5
	s_lshl_b32 s3, s7, 5
	s_cmp_lt_i32 s17, 1
	s_cbranch_scc1 .LBB642_3
; %bb.1:
	s_load_dword s8, s[4:5], 0x18
	s_load_dwordx2 s[6:7], s[4:5], 0x28
	s_load_dword s18, s[4:5], 0x30
	v_lshl_add_u32 v3, v1, 4, v0
	v_and_b32_e32 v7, 31, v3
	s_add_u32 s14, s14, s0
	v_lshrrev_b32_e32 v2, 5, v3
	v_and_b32_e32 v9, 7, v0
	v_lshlrev_b32_e32 v8, 3, v7
	s_addc_u32 s15, s15, s1
	v_lshrrev_b32_e32 v6, 3, v3
	v_lshl_or_b32 v11, v2, 8, v8
	v_lshlrev_b32_e32 v8, 3, v9
	s_waitcnt lgkmcnt(0)
	s_add_u32 s0, s6, s0
	v_add_u32_e32 v3, s3, v6
	v_mov_b32_e32 v10, 0
	v_lshl_or_b32 v6, v6, 6, v8
	s_addc_u32 s1, s7, s1
	v_mad_i64_i32 v[4:5], s[6:7], s18, v3, v[9:10]
	v_mov_b32_e32 v3, v10
	v_add_u32_e32 v12, 0x800, v6
	v_add_u32_e32 v6, s2, v7
	v_mad_i64_i32 v[2:3], s[6:7], s8, v6, v[2:3]
	s_load_dwordx2 s[14:15], s[14:15], 0x0
	v_mov_b32_e32 v6, 0x800
	s_load_dwordx2 s[0:1], s[0:1], 0x0
	v_lshlrev_b64 v[2:3], 3, v[2:3]
	v_lshl_add_u32 v14, v1, 6, v6
	s_waitcnt lgkmcnt(0)
	v_mov_b32_e32 v7, s15
	v_add_co_u32_e32 v6, vcc, s14, v2
	v_addc_co_u32_e32 v7, vcc, v7, v3, vcc
	v_lshlrev_b64 v[2:3], 3, v[4:5]
	v_mov_b32_e32 v4, s1
	v_add_co_u32_e32 v8, vcc, s0, v2
	v_lshlrev_b32_e32 v13, 3, v0
	v_addc_co_u32_e32 v9, vcc, v4, v3, vcc
	v_mov_b32_e32 v15, v10
	v_mov_b32_e32 v17, v10
	;; [unrolled: 1-line block ×7, first 2 shown]
.LBB642_2:                              ; =>This Inner Loop Header: Depth=1
	flat_load_dwordx2 v[2:3], v[6:7]
	v_add_co_u32_e32 v6, vcc, 64, v6
	v_addc_co_u32_e32 v7, vcc, 0, v7, vcc
	s_add_i32 s9, s9, 8
	s_cmp_ge_i32 s9, s17
	s_waitcnt vmcnt(0) lgkmcnt(0)
	ds_write_b64 v11, v[2:3]
	flat_load_dwordx2 v[2:3], v[8:9]
	v_add_co_u32_e32 v8, vcc, 64, v8
	v_addc_co_u32_e32 v9, vcc, 0, v9, vcc
	s_waitcnt vmcnt(0) lgkmcnt(0)
	ds_write_b64 v12, v[2:3]
	s_waitcnt lgkmcnt(0)
	s_barrier
	ds_read_b128 v[22:25], v14
	ds_read_b128 v[26:29], v14 offset:16
	ds_read_b128 v[30:33], v14 offset:32
	;; [unrolled: 1-line block ×3, first 2 shown]
	ds_read2_b64 v[34:37], v13 offset1:16
	s_waitcnt lgkmcnt(0)
	v_mul_f32_e32 v38, v23, v35
	v_mul_f32_e32 v39, v22, v35
	v_fma_f32 v38, v22, v34, -v38
	v_fmac_f32_e32 v39, v23, v34
	v_add_f32_e32 v38, v20, v38
	v_add_f32_e32 v39, v21, v39
	v_mul_f32_e32 v20, v23, v37
	v_mul_f32_e32 v21, v22, v37
	v_fma_f32 v20, v22, v36, -v20
	v_fmac_f32_e32 v21, v23, v36
	v_add_f32_e32 v22, v18, v20
	v_add_f32_e32 v23, v19, v21
	ds_read_b128 v[18:21], v14 offset:1024
	s_waitcnt lgkmcnt(0)
	v_mul_f32_e32 v40, v19, v35
	v_mul_f32_e32 v35, v18, v35
	v_fma_f32 v40, v18, v34, -v40
	v_fmac_f32_e32 v35, v19, v34
	v_add_f32_e32 v34, v16, v40
	v_add_f32_e32 v35, v17, v35
	v_mul_f32_e32 v16, v19, v37
	v_mul_f32_e32 v17, v18, v37
	v_fma_f32 v16, v18, v36, -v16
	v_fmac_f32_e32 v17, v19, v36
	v_add_f32_e32 v19, v15, v16
	v_add_f32_e32 v10, v10, v17
	ds_read2_b64 v[15:18], v13 offset0:32 offset1:48
	s_waitcnt lgkmcnt(0)
	v_mul_f32_e32 v36, v25, v16
	v_fma_f32 v36, v24, v15, -v36
	v_add_f32_e32 v36, v38, v36
	v_mul_f32_e32 v38, v25, v18
	v_mul_f32_e32 v37, v24, v16
	v_fma_f32 v38, v24, v17, -v38
	v_mul_f32_e32 v24, v24, v18
	v_fmac_f32_e32 v24, v25, v17
	v_add_f32_e32 v23, v23, v24
	v_mul_f32_e32 v24, v21, v16
	v_mul_f32_e32 v16, v20, v16
	v_fmac_f32_e32 v16, v21, v15
	v_fmac_f32_e32 v37, v25, v15
	v_fma_f32 v24, v20, v15, -v24
	v_add_f32_e32 v25, v35, v16
	v_mul_f32_e32 v15, v21, v18
	v_mul_f32_e32 v16, v20, v18
	v_fma_f32 v15, v20, v17, -v15
	v_fmac_f32_e32 v16, v21, v17
	v_add_f32_e32 v24, v34, v24
	v_add_f32_e32 v34, v19, v15
	;; [unrolled: 1-line block ×3, first 2 shown]
	ds_read2_b64 v[15:18], v13 offset0:64 offset1:80
	v_add_f32_e32 v37, v39, v37
	v_add_f32_e32 v22, v22, v38
	s_waitcnt lgkmcnt(0)
	v_mul_f32_e32 v19, v27, v16
	v_mul_f32_e32 v20, v26, v16
	v_fma_f32 v19, v26, v15, -v19
	v_fmac_f32_e32 v20, v27, v15
	v_add_f32_e32 v35, v36, v19
	v_add_f32_e32 v36, v37, v20
	v_mul_f32_e32 v19, v27, v18
	v_mul_f32_e32 v20, v26, v18
	v_fma_f32 v19, v26, v17, -v19
	v_fmac_f32_e32 v20, v27, v17
	v_add_f32_e32 v26, v22, v19
	v_add_f32_e32 v23, v23, v20
	ds_read_b128 v[19:22], v14 offset:1040
	s_waitcnt lgkmcnt(0)
	v_mul_f32_e32 v27, v20, v16
	v_mul_f32_e32 v16, v19, v16
	v_fmac_f32_e32 v16, v20, v15
	v_fma_f32 v27, v19, v15, -v27
	v_add_f32_e32 v25, v25, v16
	v_mul_f32_e32 v15, v20, v18
	v_mul_f32_e32 v16, v19, v18
	v_fma_f32 v15, v19, v17, -v15
	v_fmac_f32_e32 v16, v20, v17
	v_add_f32_e32 v19, v34, v15
	v_add_f32_e32 v10, v10, v16
	ds_read2_b64 v[15:18], v13 offset0:96 offset1:112
	v_add_f32_e32 v24, v24, v27
	s_waitcnt lgkmcnt(0)
	v_mul_f32_e32 v20, v29, v16
	v_mul_f32_e32 v34, v29, v18
	v_fma_f32 v20, v28, v15, -v20
	v_mul_f32_e32 v27, v28, v16
	v_fma_f32 v34, v28, v17, -v34
	v_mul_f32_e32 v28, v28, v18
	v_fmac_f32_e32 v28, v29, v17
	v_add_f32_e32 v23, v23, v28
	v_mul_f32_e32 v28, v22, v16
	v_mul_f32_e32 v16, v21, v16
	v_fmac_f32_e32 v16, v22, v15
	v_fmac_f32_e32 v27, v29, v15
	v_fma_f32 v28, v21, v15, -v28
	v_add_f32_e32 v25, v25, v16
	v_mul_f32_e32 v15, v22, v18
	v_mul_f32_e32 v16, v21, v18
	v_fma_f32 v15, v21, v17, -v15
	v_fmac_f32_e32 v16, v22, v17
	v_add_f32_e32 v24, v24, v28
	v_add_f32_e32 v28, v19, v15
	;; [unrolled: 1-line block ×3, first 2 shown]
	ds_read2_b64 v[15:18], v13 offset0:128 offset1:144
	v_add_f32_e32 v20, v35, v20
	v_add_f32_e32 v27, v36, v27
	;; [unrolled: 1-line block ×3, first 2 shown]
	s_waitcnt lgkmcnt(0)
	v_mul_f32_e32 v19, v31, v16
	v_fma_f32 v19, v30, v15, -v19
	v_mul_f32_e32 v21, v30, v16
	v_add_f32_e32 v29, v20, v19
	v_mul_f32_e32 v19, v31, v18
	v_mul_f32_e32 v20, v30, v18
	v_fmac_f32_e32 v21, v31, v15
	v_fma_f32 v19, v30, v17, -v19
	v_fmac_f32_e32 v20, v31, v17
	v_add_f32_e32 v27, v27, v21
	v_add_f32_e32 v26, v26, v19
	;; [unrolled: 1-line block ×3, first 2 shown]
	ds_read_b128 v[19:22], v14 offset:1056
	s_waitcnt lgkmcnt(0)
	v_mul_f32_e32 v30, v20, v16
	v_mul_f32_e32 v16, v19, v16
	v_fmac_f32_e32 v16, v20, v15
	v_fma_f32 v30, v19, v15, -v30
	v_add_f32_e32 v25, v25, v16
	v_mul_f32_e32 v15, v20, v18
	v_mul_f32_e32 v16, v19, v18
	v_fma_f32 v15, v19, v17, -v15
	v_fmac_f32_e32 v16, v20, v17
	v_add_f32_e32 v19, v28, v15
	v_add_f32_e32 v10, v10, v16
	ds_read2_b64 v[15:18], v13 offset0:160 offset1:176
	v_add_f32_e32 v24, v24, v30
	s_waitcnt lgkmcnt(0)
	v_mul_f32_e32 v28, v32, v16
	v_fmac_f32_e32 v28, v33, v15
	v_add_f32_e32 v27, v27, v28
	v_mul_f32_e32 v28, v33, v18
	v_fma_f32 v28, v32, v17, -v28
	v_mul_f32_e32 v20, v33, v16
	v_add_f32_e32 v26, v26, v28
	v_mul_f32_e32 v28, v22, v16
	v_mul_f32_e32 v16, v21, v16
	v_fmac_f32_e32 v16, v22, v15
	v_fma_f32 v20, v32, v15, -v20
	v_fma_f32 v28, v21, v15, -v28
	v_add_f32_e32 v25, v25, v16
	v_mul_f32_e32 v15, v22, v18
	v_mul_f32_e32 v16, v21, v18
	v_add_f32_e32 v20, v29, v20
	v_mul_f32_e32 v29, v32, v18
	v_fma_f32 v15, v21, v17, -v15
	v_fmac_f32_e32 v16, v22, v17
	v_fmac_f32_e32 v29, v33, v17
	v_add_f32_e32 v19, v19, v15
	v_add_f32_e32 v10, v10, v16
	ds_read2_b64 v[15:18], v13 offset0:192 offset1:208
	v_add_f32_e32 v24, v24, v28
	v_add_f32_e32 v23, v23, v29
	s_waitcnt lgkmcnt(0)
	v_mul_f32_e32 v21, v3, v16
	v_fma_f32 v21, v2, v15, -v21
	v_add_f32_e32 v28, v20, v21
	v_mul_f32_e32 v20, v3, v18
	v_mul_f32_e32 v22, v2, v16
	v_fma_f32 v20, v2, v17, -v20
	v_mul_f32_e32 v2, v2, v18
	v_fmac_f32_e32 v22, v3, v15
	v_fmac_f32_e32 v2, v3, v17
	v_add_f32_e32 v29, v27, v22
	v_add_f32_e32 v3, v26, v20
	;; [unrolled: 1-line block ×3, first 2 shown]
	ds_read_b128 v[20:23], v14 offset:1072
	s_waitcnt lgkmcnt(0)
	v_mul_f32_e32 v26, v21, v16
	v_mul_f32_e32 v16, v20, v16
	v_fma_f32 v26, v20, v15, -v26
	v_fmac_f32_e32 v16, v21, v15
	v_add_f32_e32 v15, v24, v26
	v_add_f32_e32 v30, v25, v16
	ds_read2_b64 v[24:27], v13 offset0:224 offset1:240
	v_mul_f32_e32 v16, v21, v18
	v_fma_f32 v16, v20, v17, -v16
	v_add_f32_e32 v31, v19, v16
	v_mul_f32_e32 v18, v20, v18
	s_waitcnt lgkmcnt(0)
	v_mul_f32_e32 v16, v5, v25
	v_fma_f32 v16, v4, v24, -v16
	v_add_f32_e32 v20, v28, v16
	v_mul_f32_e32 v16, v5, v27
	v_fmac_f32_e32 v18, v21, v17
	v_mul_f32_e32 v17, v4, v25
	v_fma_f32 v16, v4, v26, -v16
	v_mul_f32_e32 v4, v4, v27
	v_fmac_f32_e32 v4, v5, v26
	v_add_f32_e32 v10, v10, v18
	v_add_f32_e32 v18, v3, v16
	;; [unrolled: 1-line block ×3, first 2 shown]
	v_mul_f32_e32 v2, v23, v25
	v_mul_f32_e32 v3, v22, v25
	v_fmac_f32_e32 v17, v5, v24
	v_fma_f32 v2, v22, v24, -v2
	v_fmac_f32_e32 v3, v23, v24
	v_add_f32_e32 v21, v29, v17
	v_add_f32_e32 v16, v15, v2
	;; [unrolled: 1-line block ×3, first 2 shown]
	v_mul_f32_e32 v2, v23, v27
	v_mul_f32_e32 v3, v22, v27
	v_fma_f32 v2, v22, v26, -v2
	v_fmac_f32_e32 v3, v23, v26
	v_add_f32_e32 v15, v31, v2
	v_add_f32_e32 v10, v10, v3
	s_barrier
	s_cbranch_scc0 .LBB642_2
	s_branch .LBB642_4
.LBB642_3:
	v_mov_b32_e32 v20, 0
	v_mov_b32_e32 v21, 0
	;; [unrolled: 1-line block ×8, first 2 shown]
.LBB642_4:
	s_load_dword s6, s[4:5], 0x50
	v_add_u32_e32 v4, s3, v1
	s_waitcnt lgkmcnt(0)
	v_mov_b32_e32 v3, s11
	v_add_u32_e32 v0, s2, v0
	v_mad_i64_i32 v[1:2], s[0:1], v4, s6, 0
	v_cmp_le_i32_e64 s[0:1], v4, v0
	v_lshlrev_b64 v[1:2], 3, v[1:2]
	v_add_co_u32_e32 v5, vcc, s10, v1
	v_addc_co_u32_e32 v6, vcc, v3, v2, vcc
	v_cmp_gt_i32_e32 vcc, s16, v0
	s_and_b64 s[0:1], s[0:1], vcc
	s_and_saveexec_b64 s[2:3], s[0:1]
	s_cbranch_execz .LBB642_6
; %bb.5:
	v_mul_f32_e32 v1, s13, v21
	v_fma_f32 v2, v20, s12, -v1
	v_ashrrev_i32_e32 v1, 31, v0
	v_lshlrev_b64 v[7:8], 3, v[0:1]
	v_mul_f32_e32 v3, s12, v21
	v_add_co_u32_e64 v7, s[0:1], v5, v7
	v_fmac_f32_e32 v3, s13, v20
	v_addc_co_u32_e64 v8, s[0:1], v6, v8, s[0:1]
	flat_store_dwordx2 v[7:8], v[2:3]
.LBB642_6:
	s_or_b64 exec, exec, s[2:3]
	v_add_u32_e32 v2, 16, v0
	v_cmp_le_i32_e64 s[2:3], v4, v2
	v_cmp_gt_i32_e64 s[0:1], s16, v2
	s_and_b64 s[2:3], s[2:3], s[0:1]
	s_and_saveexec_b64 s[4:5], s[2:3]
	s_cbranch_execz .LBB642_8
; %bb.7:
	v_ashrrev_i32_e32 v3, 31, v2
	v_lshlrev_b64 v[11:12], 3, v[2:3]
	v_mul_f32_e32 v1, s13, v19
	v_mul_f32_e32 v8, s12, v19
	v_add_co_u32_e64 v5, s[2:3], v5, v11
	v_fma_f32 v7, v18, s12, -v1
	v_fmac_f32_e32 v8, s13, v18
	v_addc_co_u32_e64 v6, s[2:3], v6, v12, s[2:3]
	flat_store_dwordx2 v[5:6], v[7:8]
.LBB642_8:
	s_or_b64 exec, exec, s[4:5]
	v_add_u32_e32 v3, 16, v4
	v_mad_i64_i32 v[4:5], s[2:3], v3, s6, 0
	v_mov_b32_e32 v1, s11
	v_lshlrev_b64 v[4:5], 3, v[4:5]
	v_add_co_u32_e64 v4, s[2:3], s10, v4
	v_addc_co_u32_e64 v5, s[2:3], v1, v5, s[2:3]
	v_cmp_le_i32_e64 s[2:3], v3, v0
	s_and_b64 s[4:5], s[2:3], vcc
	s_and_saveexec_b64 s[2:3], s[4:5]
	s_cbranch_execz .LBB642_10
; %bb.9:
	v_mul_f32_e32 v1, s13, v17
	v_fma_f32 v6, v16, s12, -v1
	v_ashrrev_i32_e32 v1, 31, v0
	v_lshlrev_b64 v[0:1], 3, v[0:1]
	v_mul_f32_e32 v7, s12, v17
	v_add_co_u32_e32 v0, vcc, v4, v0
	v_fmac_f32_e32 v7, s13, v16
	v_addc_co_u32_e32 v1, vcc, v5, v1, vcc
	flat_store_dwordx2 v[0:1], v[6:7]
.LBB642_10:
	s_or_b64 exec, exec, s[2:3]
	v_cmp_le_i32_e32 vcc, v3, v2
	s_and_b64 s[0:1], vcc, s[0:1]
	s_and_saveexec_b64 s[2:3], s[0:1]
	s_cbranch_execz .LBB642_12
; %bb.11:
	v_ashrrev_i32_e32 v3, 31, v2
	v_lshlrev_b64 v[2:3], 3, v[2:3]
	v_mul_f32_e32 v0, s13, v10
	v_mul_f32_e32 v1, s12, v10
	v_add_co_u32_e32 v2, vcc, v4, v2
	v_fma_f32 v0, v15, s12, -v0
	v_fmac_f32_e32 v1, s13, v15
	v_addc_co_u32_e32 v3, vcc, v5, v3, vcc
	flat_store_dwordx2 v[2:3], v[0:1]
.LBB642_12:
	s_endpgm
	.section	.rodata,"a",@progbits
	.p2align	6, 0x0
	.amdhsa_kernel _ZL37rocblas_syrkx_herkx_restricted_kernelIi19rocblas_complex_numIfELi16ELi32ELi8ELb1ELb0ELc84ELc76EKPKS1_KPS1_EviT_T0_PT8_S7_lSA_S7_lS8_PT9_S7_li
		.amdhsa_group_segment_fixed_size 4096
		.amdhsa_private_segment_fixed_size 0
		.amdhsa_kernarg_size 100
		.amdhsa_user_sgpr_count 6
		.amdhsa_user_sgpr_private_segment_buffer 1
		.amdhsa_user_sgpr_dispatch_ptr 0
		.amdhsa_user_sgpr_queue_ptr 0
		.amdhsa_user_sgpr_kernarg_segment_ptr 1
		.amdhsa_user_sgpr_dispatch_id 0
		.amdhsa_user_sgpr_flat_scratch_init 0
		.amdhsa_user_sgpr_private_segment_size 0
		.amdhsa_uses_dynamic_stack 0
		.amdhsa_system_sgpr_private_segment_wavefront_offset 0
		.amdhsa_system_sgpr_workgroup_id_x 1
		.amdhsa_system_sgpr_workgroup_id_y 1
		.amdhsa_system_sgpr_workgroup_id_z 1
		.amdhsa_system_sgpr_workgroup_info 0
		.amdhsa_system_vgpr_workitem_id 1
		.amdhsa_next_free_vgpr 41
		.amdhsa_next_free_sgpr 19
		.amdhsa_reserve_vcc 1
		.amdhsa_reserve_flat_scratch 0
		.amdhsa_float_round_mode_32 0
		.amdhsa_float_round_mode_16_64 0
		.amdhsa_float_denorm_mode_32 3
		.amdhsa_float_denorm_mode_16_64 3
		.amdhsa_dx10_clamp 1
		.amdhsa_ieee_mode 1
		.amdhsa_fp16_overflow 0
		.amdhsa_exception_fp_ieee_invalid_op 0
		.amdhsa_exception_fp_denorm_src 0
		.amdhsa_exception_fp_ieee_div_zero 0
		.amdhsa_exception_fp_ieee_overflow 0
		.amdhsa_exception_fp_ieee_underflow 0
		.amdhsa_exception_fp_ieee_inexact 0
		.amdhsa_exception_int_div_zero 0
	.end_amdhsa_kernel
	.section	.text._ZL37rocblas_syrkx_herkx_restricted_kernelIi19rocblas_complex_numIfELi16ELi32ELi8ELb1ELb0ELc84ELc76EKPKS1_KPS1_EviT_T0_PT8_S7_lSA_S7_lS8_PT9_S7_li,"axG",@progbits,_ZL37rocblas_syrkx_herkx_restricted_kernelIi19rocblas_complex_numIfELi16ELi32ELi8ELb1ELb0ELc84ELc76EKPKS1_KPS1_EviT_T0_PT8_S7_lSA_S7_lS8_PT9_S7_li,comdat
.Lfunc_end642:
	.size	_ZL37rocblas_syrkx_herkx_restricted_kernelIi19rocblas_complex_numIfELi16ELi32ELi8ELb1ELb0ELc84ELc76EKPKS1_KPS1_EviT_T0_PT8_S7_lSA_S7_lS8_PT9_S7_li, .Lfunc_end642-_ZL37rocblas_syrkx_herkx_restricted_kernelIi19rocblas_complex_numIfELi16ELi32ELi8ELb1ELb0ELc84ELc76EKPKS1_KPS1_EviT_T0_PT8_S7_lSA_S7_lS8_PT9_S7_li
                                        ; -- End function
	.set _ZL37rocblas_syrkx_herkx_restricted_kernelIi19rocblas_complex_numIfELi16ELi32ELi8ELb1ELb0ELc84ELc76EKPKS1_KPS1_EviT_T0_PT8_S7_lSA_S7_lS8_PT9_S7_li.num_vgpr, 41
	.set _ZL37rocblas_syrkx_herkx_restricted_kernelIi19rocblas_complex_numIfELi16ELi32ELi8ELb1ELb0ELc84ELc76EKPKS1_KPS1_EviT_T0_PT8_S7_lSA_S7_lS8_PT9_S7_li.num_agpr, 0
	.set _ZL37rocblas_syrkx_herkx_restricted_kernelIi19rocblas_complex_numIfELi16ELi32ELi8ELb1ELb0ELc84ELc76EKPKS1_KPS1_EviT_T0_PT8_S7_lSA_S7_lS8_PT9_S7_li.numbered_sgpr, 19
	.set _ZL37rocblas_syrkx_herkx_restricted_kernelIi19rocblas_complex_numIfELi16ELi32ELi8ELb1ELb0ELc84ELc76EKPKS1_KPS1_EviT_T0_PT8_S7_lSA_S7_lS8_PT9_S7_li.num_named_barrier, 0
	.set _ZL37rocblas_syrkx_herkx_restricted_kernelIi19rocblas_complex_numIfELi16ELi32ELi8ELb1ELb0ELc84ELc76EKPKS1_KPS1_EviT_T0_PT8_S7_lSA_S7_lS8_PT9_S7_li.private_seg_size, 0
	.set _ZL37rocblas_syrkx_herkx_restricted_kernelIi19rocblas_complex_numIfELi16ELi32ELi8ELb1ELb0ELc84ELc76EKPKS1_KPS1_EviT_T0_PT8_S7_lSA_S7_lS8_PT9_S7_li.uses_vcc, 1
	.set _ZL37rocblas_syrkx_herkx_restricted_kernelIi19rocblas_complex_numIfELi16ELi32ELi8ELb1ELb0ELc84ELc76EKPKS1_KPS1_EviT_T0_PT8_S7_lSA_S7_lS8_PT9_S7_li.uses_flat_scratch, 0
	.set _ZL37rocblas_syrkx_herkx_restricted_kernelIi19rocblas_complex_numIfELi16ELi32ELi8ELb1ELb0ELc84ELc76EKPKS1_KPS1_EviT_T0_PT8_S7_lSA_S7_lS8_PT9_S7_li.has_dyn_sized_stack, 0
	.set _ZL37rocblas_syrkx_herkx_restricted_kernelIi19rocblas_complex_numIfELi16ELi32ELi8ELb1ELb0ELc84ELc76EKPKS1_KPS1_EviT_T0_PT8_S7_lSA_S7_lS8_PT9_S7_li.has_recursion, 0
	.set _ZL37rocblas_syrkx_herkx_restricted_kernelIi19rocblas_complex_numIfELi16ELi32ELi8ELb1ELb0ELc84ELc76EKPKS1_KPS1_EviT_T0_PT8_S7_lSA_S7_lS8_PT9_S7_li.has_indirect_call, 0
	.section	.AMDGPU.csdata,"",@progbits
; Kernel info:
; codeLenInByte = 1900
; TotalNumSgprs: 23
; NumVgprs: 41
; ScratchSize: 0
; MemoryBound: 0
; FloatMode: 240
; IeeeMode: 1
; LDSByteSize: 4096 bytes/workgroup (compile time only)
; SGPRBlocks: 2
; VGPRBlocks: 10
; NumSGPRsForWavesPerEU: 23
; NumVGPRsForWavesPerEU: 41
; Occupancy: 5
; WaveLimiterHint : 1
; COMPUTE_PGM_RSRC2:SCRATCH_EN: 0
; COMPUTE_PGM_RSRC2:USER_SGPR: 6
; COMPUTE_PGM_RSRC2:TRAP_HANDLER: 0
; COMPUTE_PGM_RSRC2:TGID_X_EN: 1
; COMPUTE_PGM_RSRC2:TGID_Y_EN: 1
; COMPUTE_PGM_RSRC2:TGID_Z_EN: 1
; COMPUTE_PGM_RSRC2:TIDIG_COMP_CNT: 1
	.section	.text._ZL37rocblas_syrkx_herkx_restricted_kernelIi19rocblas_complex_numIfELi16ELi32ELi8ELb1ELb0ELc67ELc76EKPKS1_KPS1_EviT_T0_PT8_S7_lSA_S7_lS8_PT9_S7_li,"axG",@progbits,_ZL37rocblas_syrkx_herkx_restricted_kernelIi19rocblas_complex_numIfELi16ELi32ELi8ELb1ELb0ELc67ELc76EKPKS1_KPS1_EviT_T0_PT8_S7_lSA_S7_lS8_PT9_S7_li,comdat
	.globl	_ZL37rocblas_syrkx_herkx_restricted_kernelIi19rocblas_complex_numIfELi16ELi32ELi8ELb1ELb0ELc67ELc76EKPKS1_KPS1_EviT_T0_PT8_S7_lSA_S7_lS8_PT9_S7_li ; -- Begin function _ZL37rocblas_syrkx_herkx_restricted_kernelIi19rocblas_complex_numIfELi16ELi32ELi8ELb1ELb0ELc67ELc76EKPKS1_KPS1_EviT_T0_PT8_S7_lSA_S7_lS8_PT9_S7_li
	.p2align	8
	.type	_ZL37rocblas_syrkx_herkx_restricted_kernelIi19rocblas_complex_numIfELi16ELi32ELi8ELb1ELb0ELc67ELc76EKPKS1_KPS1_EviT_T0_PT8_S7_lSA_S7_lS8_PT9_S7_li,@function
_ZL37rocblas_syrkx_herkx_restricted_kernelIi19rocblas_complex_numIfELi16ELi32ELi8ELb1ELb0ELc67ELc76EKPKS1_KPS1_EviT_T0_PT8_S7_lSA_S7_lS8_PT9_S7_li: ; @_ZL37rocblas_syrkx_herkx_restricted_kernelIi19rocblas_complex_numIfELi16ELi32ELi8ELb1ELb0ELc67ELc76EKPKS1_KPS1_EviT_T0_PT8_S7_lSA_S7_lS8_PT9_S7_li
; %bb.0:
	s_load_dwordx2 s[2:3], s[4:5], 0x48
	s_load_dwordx2 s[16:17], s[4:5], 0x0
	s_load_dwordx4 s[12:15], s[4:5], 0x8
	s_mov_b32 s9, 0
	s_lshl_b64 s[0:1], s[8:9], 3
	s_waitcnt lgkmcnt(0)
	s_add_u32 s2, s2, s0
	s_addc_u32 s3, s3, s1
	s_load_dwordx2 s[10:11], s[2:3], 0x0
	s_lshl_b32 s2, s6, 5
	s_lshl_b32 s3, s7, 5
	s_cmp_lt_i32 s17, 1
	s_cbranch_scc1 .LBB643_3
; %bb.1:
	s_load_dword s8, s[4:5], 0x18
	s_load_dwordx2 s[6:7], s[4:5], 0x28
	s_load_dword s18, s[4:5], 0x30
	v_lshl_add_u32 v3, v1, 4, v0
	v_and_b32_e32 v7, 31, v3
	s_add_u32 s14, s14, s0
	v_lshrrev_b32_e32 v2, 5, v3
	v_and_b32_e32 v9, 7, v0
	v_lshlrev_b32_e32 v8, 3, v7
	s_addc_u32 s15, s15, s1
	v_lshrrev_b32_e32 v6, 3, v3
	v_lshl_or_b32 v11, v2, 8, v8
	v_lshlrev_b32_e32 v8, 3, v9
	s_waitcnt lgkmcnt(0)
	s_add_u32 s0, s6, s0
	v_add_u32_e32 v3, s3, v6
	v_mov_b32_e32 v10, 0
	v_lshl_or_b32 v6, v6, 6, v8
	s_addc_u32 s1, s7, s1
	v_mad_i64_i32 v[4:5], s[6:7], s18, v3, v[9:10]
	v_mov_b32_e32 v3, v10
	v_add_u32_e32 v12, 0x800, v6
	v_add_u32_e32 v6, s2, v7
	v_mad_i64_i32 v[2:3], s[6:7], s8, v6, v[2:3]
	s_load_dwordx2 s[14:15], s[14:15], 0x0
	v_mov_b32_e32 v6, 0x800
	s_load_dwordx2 s[0:1], s[0:1], 0x0
	v_lshlrev_b64 v[2:3], 3, v[2:3]
	v_lshl_add_u32 v14, v1, 6, v6
	s_waitcnt lgkmcnt(0)
	v_mov_b32_e32 v7, s15
	v_add_co_u32_e32 v6, vcc, s14, v2
	v_addc_co_u32_e32 v7, vcc, v7, v3, vcc
	v_lshlrev_b64 v[2:3], 3, v[4:5]
	v_mov_b32_e32 v4, s1
	v_add_co_u32_e32 v8, vcc, s0, v2
	v_lshlrev_b32_e32 v13, 3, v0
	v_addc_co_u32_e32 v9, vcc, v4, v3, vcc
	v_mov_b32_e32 v15, v10
	v_mov_b32_e32 v17, v10
	;; [unrolled: 1-line block ×7, first 2 shown]
.LBB643_2:                              ; =>This Inner Loop Header: Depth=1
	flat_load_dwordx2 v[2:3], v[6:7]
	v_add_co_u32_e32 v6, vcc, 64, v6
	v_addc_co_u32_e32 v7, vcc, 0, v7, vcc
	s_add_i32 s9, s9, 8
	s_cmp_ge_i32 s9, s17
	s_waitcnt vmcnt(0) lgkmcnt(0)
	ds_write_b64 v11, v[2:3]
	flat_load_dwordx2 v[2:3], v[8:9]
	v_add_co_u32_e32 v8, vcc, 64, v8
	v_addc_co_u32_e32 v9, vcc, 0, v9, vcc
	s_waitcnt vmcnt(0) lgkmcnt(0)
	ds_write_b64 v12, v[2:3]
	s_waitcnt lgkmcnt(0)
	s_barrier
	ds_read_b128 v[22:25], v14
	ds_read_b128 v[26:29], v14 offset:16
	ds_read_b128 v[30:33], v14 offset:32
	;; [unrolled: 1-line block ×3, first 2 shown]
	ds_read2_b64 v[34:37], v13 offset1:16
	s_waitcnt lgkmcnt(0)
	v_mul_f32_e32 v38, v23, v35
	v_mul_f32_e32 v39, v22, v35
	v_fma_f32 v38, v22, v34, -v38
	v_fmac_f32_e32 v39, v23, v34
	v_add_f32_e32 v38, v20, v38
	v_add_f32_e32 v39, v21, v39
	v_mul_f32_e32 v20, v23, v37
	v_mul_f32_e32 v21, v22, v37
	v_fma_f32 v20, v22, v36, -v20
	v_fmac_f32_e32 v21, v23, v36
	v_add_f32_e32 v22, v18, v20
	v_add_f32_e32 v23, v19, v21
	ds_read_b128 v[18:21], v14 offset:1024
	s_waitcnt lgkmcnt(0)
	v_mul_f32_e32 v40, v19, v35
	v_mul_f32_e32 v35, v18, v35
	v_fma_f32 v40, v18, v34, -v40
	v_fmac_f32_e32 v35, v19, v34
	v_add_f32_e32 v34, v16, v40
	v_add_f32_e32 v35, v17, v35
	v_mul_f32_e32 v16, v19, v37
	v_mul_f32_e32 v17, v18, v37
	v_fma_f32 v16, v18, v36, -v16
	v_fmac_f32_e32 v17, v19, v36
	v_add_f32_e32 v19, v15, v16
	v_add_f32_e32 v10, v10, v17
	ds_read2_b64 v[15:18], v13 offset0:32 offset1:48
	s_waitcnt lgkmcnt(0)
	v_mul_f32_e32 v36, v25, v16
	v_fma_f32 v36, v24, v15, -v36
	v_add_f32_e32 v36, v38, v36
	v_mul_f32_e32 v38, v25, v18
	v_mul_f32_e32 v37, v24, v16
	v_fma_f32 v38, v24, v17, -v38
	v_mul_f32_e32 v24, v24, v18
	v_fmac_f32_e32 v24, v25, v17
	v_add_f32_e32 v23, v23, v24
	v_mul_f32_e32 v24, v21, v16
	v_mul_f32_e32 v16, v20, v16
	v_fmac_f32_e32 v16, v21, v15
	v_fmac_f32_e32 v37, v25, v15
	v_fma_f32 v24, v20, v15, -v24
	v_add_f32_e32 v25, v35, v16
	v_mul_f32_e32 v15, v21, v18
	v_mul_f32_e32 v16, v20, v18
	v_fma_f32 v15, v20, v17, -v15
	v_fmac_f32_e32 v16, v21, v17
	v_add_f32_e32 v24, v34, v24
	v_add_f32_e32 v34, v19, v15
	;; [unrolled: 1-line block ×3, first 2 shown]
	ds_read2_b64 v[15:18], v13 offset0:64 offset1:80
	v_add_f32_e32 v37, v39, v37
	v_add_f32_e32 v22, v22, v38
	s_waitcnt lgkmcnt(0)
	v_mul_f32_e32 v19, v27, v16
	v_mul_f32_e32 v20, v26, v16
	v_fma_f32 v19, v26, v15, -v19
	v_fmac_f32_e32 v20, v27, v15
	v_add_f32_e32 v35, v36, v19
	v_add_f32_e32 v36, v37, v20
	v_mul_f32_e32 v19, v27, v18
	v_mul_f32_e32 v20, v26, v18
	v_fma_f32 v19, v26, v17, -v19
	v_fmac_f32_e32 v20, v27, v17
	v_add_f32_e32 v26, v22, v19
	v_add_f32_e32 v23, v23, v20
	ds_read_b128 v[19:22], v14 offset:1040
	s_waitcnt lgkmcnt(0)
	v_mul_f32_e32 v27, v20, v16
	v_mul_f32_e32 v16, v19, v16
	v_fmac_f32_e32 v16, v20, v15
	v_fma_f32 v27, v19, v15, -v27
	v_add_f32_e32 v25, v25, v16
	v_mul_f32_e32 v15, v20, v18
	v_mul_f32_e32 v16, v19, v18
	v_fma_f32 v15, v19, v17, -v15
	v_fmac_f32_e32 v16, v20, v17
	v_add_f32_e32 v19, v34, v15
	v_add_f32_e32 v10, v10, v16
	ds_read2_b64 v[15:18], v13 offset0:96 offset1:112
	v_add_f32_e32 v24, v24, v27
	s_waitcnt lgkmcnt(0)
	v_mul_f32_e32 v20, v29, v16
	v_mul_f32_e32 v34, v29, v18
	v_fma_f32 v20, v28, v15, -v20
	v_mul_f32_e32 v27, v28, v16
	v_fma_f32 v34, v28, v17, -v34
	v_mul_f32_e32 v28, v28, v18
	v_fmac_f32_e32 v28, v29, v17
	v_add_f32_e32 v23, v23, v28
	v_mul_f32_e32 v28, v22, v16
	v_mul_f32_e32 v16, v21, v16
	v_fmac_f32_e32 v16, v22, v15
	v_fmac_f32_e32 v27, v29, v15
	v_fma_f32 v28, v21, v15, -v28
	v_add_f32_e32 v25, v25, v16
	v_mul_f32_e32 v15, v22, v18
	v_mul_f32_e32 v16, v21, v18
	v_fma_f32 v15, v21, v17, -v15
	v_fmac_f32_e32 v16, v22, v17
	v_add_f32_e32 v24, v24, v28
	v_add_f32_e32 v28, v19, v15
	;; [unrolled: 1-line block ×3, first 2 shown]
	ds_read2_b64 v[15:18], v13 offset0:128 offset1:144
	v_add_f32_e32 v20, v35, v20
	v_add_f32_e32 v27, v36, v27
	;; [unrolled: 1-line block ×3, first 2 shown]
	s_waitcnt lgkmcnt(0)
	v_mul_f32_e32 v19, v31, v16
	v_fma_f32 v19, v30, v15, -v19
	v_mul_f32_e32 v21, v30, v16
	v_add_f32_e32 v29, v20, v19
	v_mul_f32_e32 v19, v31, v18
	v_mul_f32_e32 v20, v30, v18
	v_fmac_f32_e32 v21, v31, v15
	v_fma_f32 v19, v30, v17, -v19
	v_fmac_f32_e32 v20, v31, v17
	v_add_f32_e32 v27, v27, v21
	v_add_f32_e32 v26, v26, v19
	;; [unrolled: 1-line block ×3, first 2 shown]
	ds_read_b128 v[19:22], v14 offset:1056
	s_waitcnt lgkmcnt(0)
	v_mul_f32_e32 v30, v20, v16
	v_mul_f32_e32 v16, v19, v16
	v_fmac_f32_e32 v16, v20, v15
	v_fma_f32 v30, v19, v15, -v30
	v_add_f32_e32 v25, v25, v16
	v_mul_f32_e32 v15, v20, v18
	v_mul_f32_e32 v16, v19, v18
	v_fma_f32 v15, v19, v17, -v15
	v_fmac_f32_e32 v16, v20, v17
	v_add_f32_e32 v19, v28, v15
	v_add_f32_e32 v10, v10, v16
	ds_read2_b64 v[15:18], v13 offset0:160 offset1:176
	v_add_f32_e32 v24, v24, v30
	s_waitcnt lgkmcnt(0)
	v_mul_f32_e32 v28, v32, v16
	v_fmac_f32_e32 v28, v33, v15
	v_add_f32_e32 v27, v27, v28
	v_mul_f32_e32 v28, v33, v18
	v_fma_f32 v28, v32, v17, -v28
	v_mul_f32_e32 v20, v33, v16
	v_add_f32_e32 v26, v26, v28
	v_mul_f32_e32 v28, v22, v16
	v_mul_f32_e32 v16, v21, v16
	v_fmac_f32_e32 v16, v22, v15
	v_fma_f32 v20, v32, v15, -v20
	v_fma_f32 v28, v21, v15, -v28
	v_add_f32_e32 v25, v25, v16
	v_mul_f32_e32 v15, v22, v18
	v_mul_f32_e32 v16, v21, v18
	v_add_f32_e32 v20, v29, v20
	v_mul_f32_e32 v29, v32, v18
	v_fma_f32 v15, v21, v17, -v15
	v_fmac_f32_e32 v16, v22, v17
	v_fmac_f32_e32 v29, v33, v17
	v_add_f32_e32 v19, v19, v15
	v_add_f32_e32 v10, v10, v16
	ds_read2_b64 v[15:18], v13 offset0:192 offset1:208
	v_add_f32_e32 v24, v24, v28
	v_add_f32_e32 v23, v23, v29
	s_waitcnt lgkmcnt(0)
	v_mul_f32_e32 v21, v3, v16
	v_fma_f32 v21, v2, v15, -v21
	v_add_f32_e32 v28, v20, v21
	v_mul_f32_e32 v20, v3, v18
	v_mul_f32_e32 v22, v2, v16
	v_fma_f32 v20, v2, v17, -v20
	v_mul_f32_e32 v2, v2, v18
	v_fmac_f32_e32 v22, v3, v15
	v_fmac_f32_e32 v2, v3, v17
	v_add_f32_e32 v29, v27, v22
	v_add_f32_e32 v3, v26, v20
	;; [unrolled: 1-line block ×3, first 2 shown]
	ds_read_b128 v[20:23], v14 offset:1072
	s_waitcnt lgkmcnt(0)
	v_mul_f32_e32 v26, v21, v16
	v_mul_f32_e32 v16, v20, v16
	v_fma_f32 v26, v20, v15, -v26
	v_fmac_f32_e32 v16, v21, v15
	v_add_f32_e32 v15, v24, v26
	v_add_f32_e32 v30, v25, v16
	ds_read2_b64 v[24:27], v13 offset0:224 offset1:240
	v_mul_f32_e32 v16, v21, v18
	v_fma_f32 v16, v20, v17, -v16
	v_add_f32_e32 v31, v19, v16
	v_mul_f32_e32 v18, v20, v18
	s_waitcnt lgkmcnt(0)
	v_mul_f32_e32 v16, v5, v25
	v_fma_f32 v16, v4, v24, -v16
	v_add_f32_e32 v20, v28, v16
	v_mul_f32_e32 v16, v5, v27
	v_fmac_f32_e32 v18, v21, v17
	v_mul_f32_e32 v17, v4, v25
	v_fma_f32 v16, v4, v26, -v16
	v_mul_f32_e32 v4, v4, v27
	v_fmac_f32_e32 v4, v5, v26
	v_add_f32_e32 v10, v10, v18
	v_add_f32_e32 v18, v3, v16
	;; [unrolled: 1-line block ×3, first 2 shown]
	v_mul_f32_e32 v2, v23, v25
	v_mul_f32_e32 v3, v22, v25
	v_fmac_f32_e32 v17, v5, v24
	v_fma_f32 v2, v22, v24, -v2
	v_fmac_f32_e32 v3, v23, v24
	v_add_f32_e32 v21, v29, v17
	v_add_f32_e32 v16, v15, v2
	;; [unrolled: 1-line block ×3, first 2 shown]
	v_mul_f32_e32 v2, v23, v27
	v_mul_f32_e32 v3, v22, v27
	v_fma_f32 v2, v22, v26, -v2
	v_fmac_f32_e32 v3, v23, v26
	v_add_f32_e32 v15, v31, v2
	v_add_f32_e32 v10, v10, v3
	s_barrier
	s_cbranch_scc0 .LBB643_2
	s_branch .LBB643_4
.LBB643_3:
	v_mov_b32_e32 v20, 0
	v_mov_b32_e32 v21, 0
	;; [unrolled: 1-line block ×8, first 2 shown]
.LBB643_4:
	s_load_dword s6, s[4:5], 0x50
	v_add_u32_e32 v4, s3, v1
	s_waitcnt lgkmcnt(0)
	v_mov_b32_e32 v3, s11
	v_add_u32_e32 v0, s2, v0
	v_mad_i64_i32 v[1:2], s[0:1], v4, s6, 0
	v_cmp_le_i32_e64 s[0:1], v4, v0
	v_lshlrev_b64 v[1:2], 3, v[1:2]
	v_add_co_u32_e32 v5, vcc, s10, v1
	v_addc_co_u32_e32 v6, vcc, v3, v2, vcc
	v_cmp_gt_i32_e32 vcc, s16, v0
	s_and_b64 s[0:1], s[0:1], vcc
	s_and_saveexec_b64 s[2:3], s[0:1]
	s_cbranch_execz .LBB643_6
; %bb.5:
	v_mul_f32_e32 v1, s13, v21
	v_fma_f32 v2, v20, s12, -v1
	v_ashrrev_i32_e32 v1, 31, v0
	v_lshlrev_b64 v[7:8], 3, v[0:1]
	v_mul_f32_e32 v3, s12, v21
	v_add_co_u32_e64 v7, s[0:1], v5, v7
	v_fmac_f32_e32 v3, s13, v20
	v_addc_co_u32_e64 v8, s[0:1], v6, v8, s[0:1]
	flat_store_dwordx2 v[7:8], v[2:3]
.LBB643_6:
	s_or_b64 exec, exec, s[2:3]
	v_add_u32_e32 v2, 16, v0
	v_cmp_le_i32_e64 s[2:3], v4, v2
	v_cmp_gt_i32_e64 s[0:1], s16, v2
	s_and_b64 s[2:3], s[2:3], s[0:1]
	s_and_saveexec_b64 s[4:5], s[2:3]
	s_cbranch_execz .LBB643_8
; %bb.7:
	v_ashrrev_i32_e32 v3, 31, v2
	v_lshlrev_b64 v[11:12], 3, v[2:3]
	v_mul_f32_e32 v1, s13, v19
	v_mul_f32_e32 v8, s12, v19
	v_add_co_u32_e64 v5, s[2:3], v5, v11
	v_fma_f32 v7, v18, s12, -v1
	v_fmac_f32_e32 v8, s13, v18
	v_addc_co_u32_e64 v6, s[2:3], v6, v12, s[2:3]
	flat_store_dwordx2 v[5:6], v[7:8]
.LBB643_8:
	s_or_b64 exec, exec, s[4:5]
	v_add_u32_e32 v3, 16, v4
	v_mad_i64_i32 v[4:5], s[2:3], v3, s6, 0
	v_mov_b32_e32 v1, s11
	v_lshlrev_b64 v[4:5], 3, v[4:5]
	v_add_co_u32_e64 v4, s[2:3], s10, v4
	v_addc_co_u32_e64 v5, s[2:3], v1, v5, s[2:3]
	v_cmp_le_i32_e64 s[2:3], v3, v0
	s_and_b64 s[4:5], s[2:3], vcc
	s_and_saveexec_b64 s[2:3], s[4:5]
	s_cbranch_execz .LBB643_10
; %bb.9:
	v_mul_f32_e32 v1, s13, v17
	v_fma_f32 v6, v16, s12, -v1
	v_ashrrev_i32_e32 v1, 31, v0
	v_lshlrev_b64 v[0:1], 3, v[0:1]
	v_mul_f32_e32 v7, s12, v17
	v_add_co_u32_e32 v0, vcc, v4, v0
	v_fmac_f32_e32 v7, s13, v16
	v_addc_co_u32_e32 v1, vcc, v5, v1, vcc
	flat_store_dwordx2 v[0:1], v[6:7]
.LBB643_10:
	s_or_b64 exec, exec, s[2:3]
	v_cmp_le_i32_e32 vcc, v3, v2
	s_and_b64 s[0:1], vcc, s[0:1]
	s_and_saveexec_b64 s[2:3], s[0:1]
	s_cbranch_execz .LBB643_12
; %bb.11:
	v_ashrrev_i32_e32 v3, 31, v2
	v_lshlrev_b64 v[2:3], 3, v[2:3]
	v_mul_f32_e32 v0, s13, v10
	v_mul_f32_e32 v1, s12, v10
	v_add_co_u32_e32 v2, vcc, v4, v2
	v_fma_f32 v0, v15, s12, -v0
	v_fmac_f32_e32 v1, s13, v15
	v_addc_co_u32_e32 v3, vcc, v5, v3, vcc
	flat_store_dwordx2 v[2:3], v[0:1]
.LBB643_12:
	s_endpgm
	.section	.rodata,"a",@progbits
	.p2align	6, 0x0
	.amdhsa_kernel _ZL37rocblas_syrkx_herkx_restricted_kernelIi19rocblas_complex_numIfELi16ELi32ELi8ELb1ELb0ELc67ELc76EKPKS1_KPS1_EviT_T0_PT8_S7_lSA_S7_lS8_PT9_S7_li
		.amdhsa_group_segment_fixed_size 4096
		.amdhsa_private_segment_fixed_size 0
		.amdhsa_kernarg_size 100
		.amdhsa_user_sgpr_count 6
		.amdhsa_user_sgpr_private_segment_buffer 1
		.amdhsa_user_sgpr_dispatch_ptr 0
		.amdhsa_user_sgpr_queue_ptr 0
		.amdhsa_user_sgpr_kernarg_segment_ptr 1
		.amdhsa_user_sgpr_dispatch_id 0
		.amdhsa_user_sgpr_flat_scratch_init 0
		.amdhsa_user_sgpr_private_segment_size 0
		.amdhsa_uses_dynamic_stack 0
		.amdhsa_system_sgpr_private_segment_wavefront_offset 0
		.amdhsa_system_sgpr_workgroup_id_x 1
		.amdhsa_system_sgpr_workgroup_id_y 1
		.amdhsa_system_sgpr_workgroup_id_z 1
		.amdhsa_system_sgpr_workgroup_info 0
		.amdhsa_system_vgpr_workitem_id 1
		.amdhsa_next_free_vgpr 41
		.amdhsa_next_free_sgpr 19
		.amdhsa_reserve_vcc 1
		.amdhsa_reserve_flat_scratch 0
		.amdhsa_float_round_mode_32 0
		.amdhsa_float_round_mode_16_64 0
		.amdhsa_float_denorm_mode_32 3
		.amdhsa_float_denorm_mode_16_64 3
		.amdhsa_dx10_clamp 1
		.amdhsa_ieee_mode 1
		.amdhsa_fp16_overflow 0
		.amdhsa_exception_fp_ieee_invalid_op 0
		.amdhsa_exception_fp_denorm_src 0
		.amdhsa_exception_fp_ieee_div_zero 0
		.amdhsa_exception_fp_ieee_overflow 0
		.amdhsa_exception_fp_ieee_underflow 0
		.amdhsa_exception_fp_ieee_inexact 0
		.amdhsa_exception_int_div_zero 0
	.end_amdhsa_kernel
	.section	.text._ZL37rocblas_syrkx_herkx_restricted_kernelIi19rocblas_complex_numIfELi16ELi32ELi8ELb1ELb0ELc67ELc76EKPKS1_KPS1_EviT_T0_PT8_S7_lSA_S7_lS8_PT9_S7_li,"axG",@progbits,_ZL37rocblas_syrkx_herkx_restricted_kernelIi19rocblas_complex_numIfELi16ELi32ELi8ELb1ELb0ELc67ELc76EKPKS1_KPS1_EviT_T0_PT8_S7_lSA_S7_lS8_PT9_S7_li,comdat
.Lfunc_end643:
	.size	_ZL37rocblas_syrkx_herkx_restricted_kernelIi19rocblas_complex_numIfELi16ELi32ELi8ELb1ELb0ELc67ELc76EKPKS1_KPS1_EviT_T0_PT8_S7_lSA_S7_lS8_PT9_S7_li, .Lfunc_end643-_ZL37rocblas_syrkx_herkx_restricted_kernelIi19rocblas_complex_numIfELi16ELi32ELi8ELb1ELb0ELc67ELc76EKPKS1_KPS1_EviT_T0_PT8_S7_lSA_S7_lS8_PT9_S7_li
                                        ; -- End function
	.set _ZL37rocblas_syrkx_herkx_restricted_kernelIi19rocblas_complex_numIfELi16ELi32ELi8ELb1ELb0ELc67ELc76EKPKS1_KPS1_EviT_T0_PT8_S7_lSA_S7_lS8_PT9_S7_li.num_vgpr, 41
	.set _ZL37rocblas_syrkx_herkx_restricted_kernelIi19rocblas_complex_numIfELi16ELi32ELi8ELb1ELb0ELc67ELc76EKPKS1_KPS1_EviT_T0_PT8_S7_lSA_S7_lS8_PT9_S7_li.num_agpr, 0
	.set _ZL37rocblas_syrkx_herkx_restricted_kernelIi19rocblas_complex_numIfELi16ELi32ELi8ELb1ELb0ELc67ELc76EKPKS1_KPS1_EviT_T0_PT8_S7_lSA_S7_lS8_PT9_S7_li.numbered_sgpr, 19
	.set _ZL37rocblas_syrkx_herkx_restricted_kernelIi19rocblas_complex_numIfELi16ELi32ELi8ELb1ELb0ELc67ELc76EKPKS1_KPS1_EviT_T0_PT8_S7_lSA_S7_lS8_PT9_S7_li.num_named_barrier, 0
	.set _ZL37rocblas_syrkx_herkx_restricted_kernelIi19rocblas_complex_numIfELi16ELi32ELi8ELb1ELb0ELc67ELc76EKPKS1_KPS1_EviT_T0_PT8_S7_lSA_S7_lS8_PT9_S7_li.private_seg_size, 0
	.set _ZL37rocblas_syrkx_herkx_restricted_kernelIi19rocblas_complex_numIfELi16ELi32ELi8ELb1ELb0ELc67ELc76EKPKS1_KPS1_EviT_T0_PT8_S7_lSA_S7_lS8_PT9_S7_li.uses_vcc, 1
	.set _ZL37rocblas_syrkx_herkx_restricted_kernelIi19rocblas_complex_numIfELi16ELi32ELi8ELb1ELb0ELc67ELc76EKPKS1_KPS1_EviT_T0_PT8_S7_lSA_S7_lS8_PT9_S7_li.uses_flat_scratch, 0
	.set _ZL37rocblas_syrkx_herkx_restricted_kernelIi19rocblas_complex_numIfELi16ELi32ELi8ELb1ELb0ELc67ELc76EKPKS1_KPS1_EviT_T0_PT8_S7_lSA_S7_lS8_PT9_S7_li.has_dyn_sized_stack, 0
	.set _ZL37rocblas_syrkx_herkx_restricted_kernelIi19rocblas_complex_numIfELi16ELi32ELi8ELb1ELb0ELc67ELc76EKPKS1_KPS1_EviT_T0_PT8_S7_lSA_S7_lS8_PT9_S7_li.has_recursion, 0
	.set _ZL37rocblas_syrkx_herkx_restricted_kernelIi19rocblas_complex_numIfELi16ELi32ELi8ELb1ELb0ELc67ELc76EKPKS1_KPS1_EviT_T0_PT8_S7_lSA_S7_lS8_PT9_S7_li.has_indirect_call, 0
	.section	.AMDGPU.csdata,"",@progbits
; Kernel info:
; codeLenInByte = 1900
; TotalNumSgprs: 23
; NumVgprs: 41
; ScratchSize: 0
; MemoryBound: 0
; FloatMode: 240
; IeeeMode: 1
; LDSByteSize: 4096 bytes/workgroup (compile time only)
; SGPRBlocks: 2
; VGPRBlocks: 10
; NumSGPRsForWavesPerEU: 23
; NumVGPRsForWavesPerEU: 41
; Occupancy: 5
; WaveLimiterHint : 1
; COMPUTE_PGM_RSRC2:SCRATCH_EN: 0
; COMPUTE_PGM_RSRC2:USER_SGPR: 6
; COMPUTE_PGM_RSRC2:TRAP_HANDLER: 0
; COMPUTE_PGM_RSRC2:TGID_X_EN: 1
; COMPUTE_PGM_RSRC2:TGID_Y_EN: 1
; COMPUTE_PGM_RSRC2:TGID_Z_EN: 1
; COMPUTE_PGM_RSRC2:TIDIG_COMP_CNT: 1
	.section	.text._ZL37rocblas_syrkx_herkx_restricted_kernelIi19rocblas_complex_numIfELi16ELi32ELi8ELb1ELb0ELc78ELc76EKPKS1_KPS1_EviT_T0_PT8_S7_lSA_S7_lS8_PT9_S7_li,"axG",@progbits,_ZL37rocblas_syrkx_herkx_restricted_kernelIi19rocblas_complex_numIfELi16ELi32ELi8ELb1ELb0ELc78ELc76EKPKS1_KPS1_EviT_T0_PT8_S7_lSA_S7_lS8_PT9_S7_li,comdat
	.globl	_ZL37rocblas_syrkx_herkx_restricted_kernelIi19rocblas_complex_numIfELi16ELi32ELi8ELb1ELb0ELc78ELc76EKPKS1_KPS1_EviT_T0_PT8_S7_lSA_S7_lS8_PT9_S7_li ; -- Begin function _ZL37rocblas_syrkx_herkx_restricted_kernelIi19rocblas_complex_numIfELi16ELi32ELi8ELb1ELb0ELc78ELc76EKPKS1_KPS1_EviT_T0_PT8_S7_lSA_S7_lS8_PT9_S7_li
	.p2align	8
	.type	_ZL37rocblas_syrkx_herkx_restricted_kernelIi19rocblas_complex_numIfELi16ELi32ELi8ELb1ELb0ELc78ELc76EKPKS1_KPS1_EviT_T0_PT8_S7_lSA_S7_lS8_PT9_S7_li,@function
_ZL37rocblas_syrkx_herkx_restricted_kernelIi19rocblas_complex_numIfELi16ELi32ELi8ELb1ELb0ELc78ELc76EKPKS1_KPS1_EviT_T0_PT8_S7_lSA_S7_lS8_PT9_S7_li: ; @_ZL37rocblas_syrkx_herkx_restricted_kernelIi19rocblas_complex_numIfELi16ELi32ELi8ELb1ELb0ELc78ELc76EKPKS1_KPS1_EviT_T0_PT8_S7_lSA_S7_lS8_PT9_S7_li
; %bb.0:
	s_load_dwordx2 s[2:3], s[4:5], 0x48
	s_load_dwordx2 s[16:17], s[4:5], 0x0
	s_load_dwordx4 s[12:15], s[4:5], 0x8
	s_mov_b32 s9, 0
	s_lshl_b64 s[0:1], s[8:9], 3
	s_waitcnt lgkmcnt(0)
	s_add_u32 s2, s2, s0
	s_addc_u32 s3, s3, s1
	s_load_dwordx2 s[10:11], s[2:3], 0x0
	s_lshl_b32 s6, s6, 5
	s_lshl_b32 s7, s7, 5
	s_cmp_lt_i32 s17, 1
	s_cbranch_scc1 .LBB644_3
; %bb.1:
	s_load_dword s2, s[4:5], 0x18
	s_load_dword s18, s[4:5], 0x30
	s_load_dwordx2 s[20:21], s[4:5], 0x28
	v_lshl_add_u32 v2, v1, 4, v0
	v_lshrrev_b32_e32 v4, 3, v2
	s_waitcnt lgkmcnt(0)
	s_ashr_i32 s3, s2, 31
	s_ashr_i32 s19, s18, 31
	s_add_u32 s14, s14, s0
	s_addc_u32 s15, s15, s1
	s_add_u32 s0, s20, s0
	v_lshrrev_b32_e32 v6, 5, v2
	v_and_b32_e32 v7, 31, v2
	v_add_u32_e32 v2, s7, v4
	s_addc_u32 s1, s21, s1
	v_and_b32_e32 v5, 7, v0
	v_ashrrev_i32_e32 v3, 31, v2
	s_load_dwordx2 s[20:21], s[0:1], 0x0
	v_mad_i64_i32 v[2:3], s[0:1], s18, v5, v[2:3]
	v_lshlrev_b32_e32 v5, 3, v5
	v_lshl_or_b32 v4, v4, 6, v5
	v_add_u32_e32 v11, 0x800, v4
	v_add_u32_e32 v4, s6, v7
	v_ashrrev_i32_e32 v5, 31, v4
	v_mad_i64_i32 v[4:5], s[0:1], s2, v6, v[4:5]
	s_load_dwordx2 s[14:15], s[14:15], 0x0
	v_lshlrev_b32_e32 v8, 3, v7
	v_lshlrev_b64 v[4:5], 3, v[4:5]
	v_lshl_or_b32 v10, v6, 8, v8
	v_mov_b32_e32 v6, 0x800
	v_lshl_add_u32 v13, v1, 6, v6
	s_waitcnt lgkmcnt(0)
	v_mov_b32_e32 v7, s15
	v_add_co_u32_e32 v6, vcc, s14, v4
	v_lshlrev_b64 v[2:3], 3, v[2:3]
	v_addc_co_u32_e32 v7, vcc, v7, v5, vcc
	s_lshl_b64 s[0:1], s[2:3], 6
	v_mov_b32_e32 v4, s21
	v_add_co_u32_e32 v8, vcc, s20, v2
	s_lshl_b64 s[2:3], s[18:19], 6
	v_lshlrev_b32_e32 v12, 3, v0
	v_addc_co_u32_e32 v9, vcc, v4, v3, vcc
	v_mov_b32_e32 v16, 0
	v_mov_b32_e32 v14, s1
	;; [unrolled: 1-line block ×10, first 2 shown]
.LBB644_2:                              ; =>This Inner Loop Header: Depth=1
	flat_load_dwordx2 v[2:3], v[6:7]
	v_add_co_u32_e32 v6, vcc, s0, v6
	v_addc_co_u32_e32 v7, vcc, v7, v14, vcc
	s_add_i32 s9, s9, 8
	s_cmp_ge_i32 s9, s17
	s_waitcnt vmcnt(0) lgkmcnt(0)
	ds_write_b64 v10, v[2:3]
	flat_load_dwordx2 v[2:3], v[8:9]
	v_add_co_u32_e32 v8, vcc, s2, v8
	v_addc_co_u32_e32 v9, vcc, v9, v15, vcc
	s_waitcnt vmcnt(0) lgkmcnt(0)
	ds_write_b64 v11, v[2:3]
	s_waitcnt lgkmcnt(0)
	s_barrier
	ds_read_b128 v[24:27], v13
	ds_read_b128 v[28:31], v13 offset:16
	ds_read_b128 v[32:35], v13 offset:32
	;; [unrolled: 1-line block ×3, first 2 shown]
	ds_read2_b64 v[36:39], v12 offset1:16
	s_waitcnt lgkmcnt(0)
	v_mul_f32_e32 v40, v25, v37
	v_mul_f32_e32 v41, v24, v37
	v_fma_f32 v40, v24, v36, -v40
	v_fmac_f32_e32 v41, v25, v36
	v_add_f32_e32 v40, v22, v40
	v_add_f32_e32 v41, v23, v41
	v_mul_f32_e32 v22, v25, v39
	v_mul_f32_e32 v23, v24, v39
	v_fma_f32 v22, v24, v38, -v22
	v_fmac_f32_e32 v23, v25, v38
	v_add_f32_e32 v24, v20, v22
	v_add_f32_e32 v25, v21, v23
	ds_read_b128 v[20:23], v13 offset:1024
	s_waitcnt lgkmcnt(0)
	v_mul_f32_e32 v42, v21, v37
	v_mul_f32_e32 v37, v20, v37
	v_fma_f32 v42, v20, v36, -v42
	v_fmac_f32_e32 v37, v21, v36
	v_add_f32_e32 v36, v18, v42
	v_add_f32_e32 v37, v19, v37
	v_mul_f32_e32 v18, v21, v39
	v_mul_f32_e32 v19, v20, v39
	v_fma_f32 v18, v20, v38, -v18
	v_fmac_f32_e32 v19, v21, v38
	v_add_f32_e32 v20, v17, v18
	v_add_f32_e32 v21, v16, v19
	ds_read2_b64 v[16:19], v12 offset0:32 offset1:48
	s_waitcnt lgkmcnt(0)
	v_mul_f32_e32 v38, v27, v17
	v_fma_f32 v38, v26, v16, -v38
	v_add_f32_e32 v38, v40, v38
	v_mul_f32_e32 v40, v27, v19
	v_mul_f32_e32 v39, v26, v17
	v_fma_f32 v40, v26, v18, -v40
	v_mul_f32_e32 v26, v26, v19
	v_fmac_f32_e32 v26, v27, v18
	v_add_f32_e32 v25, v25, v26
	v_mul_f32_e32 v26, v23, v17
	v_mul_f32_e32 v17, v22, v17
	v_fmac_f32_e32 v17, v23, v16
	v_fmac_f32_e32 v39, v27, v16
	v_fma_f32 v26, v22, v16, -v26
	v_add_f32_e32 v27, v37, v17
	v_mul_f32_e32 v16, v23, v19
	v_mul_f32_e32 v17, v22, v19
	v_fma_f32 v16, v22, v18, -v16
	v_fmac_f32_e32 v17, v23, v18
	v_add_f32_e32 v26, v36, v26
	v_add_f32_e32 v36, v20, v16
	;; [unrolled: 1-line block ×3, first 2 shown]
	ds_read2_b64 v[16:19], v12 offset0:64 offset1:80
	v_add_f32_e32 v39, v41, v39
	v_add_f32_e32 v24, v24, v40
	s_waitcnt lgkmcnt(0)
	v_mul_f32_e32 v20, v29, v17
	v_mul_f32_e32 v21, v28, v17
	v_fma_f32 v20, v28, v16, -v20
	v_fmac_f32_e32 v21, v29, v16
	v_add_f32_e32 v38, v38, v20
	v_add_f32_e32 v39, v39, v21
	v_mul_f32_e32 v20, v29, v19
	v_mul_f32_e32 v21, v28, v19
	v_fma_f32 v20, v28, v18, -v20
	v_fmac_f32_e32 v21, v29, v18
	v_add_f32_e32 v24, v24, v20
	v_add_f32_e32 v25, v25, v21
	ds_read_b128 v[20:23], v13 offset:1040
	s_waitcnt lgkmcnt(0)
	v_mul_f32_e32 v28, v21, v17
	v_mul_f32_e32 v17, v20, v17
	v_fmac_f32_e32 v17, v21, v16
	v_fma_f32 v28, v20, v16, -v28
	v_add_f32_e32 v27, v27, v17
	v_mul_f32_e32 v16, v21, v19
	v_mul_f32_e32 v17, v20, v19
	v_fma_f32 v16, v20, v18, -v16
	v_fmac_f32_e32 v17, v21, v18
	v_add_f32_e32 v20, v36, v16
	v_add_f32_e32 v21, v37, v17
	ds_read2_b64 v[16:19], v12 offset0:96 offset1:112
	v_add_f32_e32 v26, v26, v28
	s_waitcnt lgkmcnt(0)
	v_mul_f32_e32 v28, v31, v17
	v_mul_f32_e32 v36, v31, v19
	v_fma_f32 v28, v30, v16, -v28
	v_mul_f32_e32 v29, v30, v17
	v_fma_f32 v36, v30, v18, -v36
	v_mul_f32_e32 v30, v30, v19
	v_fmac_f32_e32 v30, v31, v18
	v_add_f32_e32 v25, v25, v30
	v_mul_f32_e32 v30, v23, v17
	v_mul_f32_e32 v17, v22, v17
	v_fmac_f32_e32 v17, v23, v16
	v_fmac_f32_e32 v29, v31, v16
	v_fma_f32 v30, v22, v16, -v30
	v_add_f32_e32 v27, v27, v17
	v_mul_f32_e32 v16, v23, v19
	v_mul_f32_e32 v17, v22, v19
	v_fma_f32 v16, v22, v18, -v16
	v_fmac_f32_e32 v17, v23, v18
	v_add_f32_e32 v26, v26, v30
	v_add_f32_e32 v30, v20, v16
	;; [unrolled: 1-line block ×3, first 2 shown]
	ds_read2_b64 v[16:19], v12 offset0:128 offset1:144
	v_add_f32_e32 v28, v38, v28
	v_add_f32_e32 v29, v39, v29
	;; [unrolled: 1-line block ×3, first 2 shown]
	s_waitcnt lgkmcnt(0)
	v_mul_f32_e32 v20, v33, v17
	v_mul_f32_e32 v21, v32, v17
	v_fma_f32 v20, v32, v16, -v20
	v_fmac_f32_e32 v21, v33, v16
	v_add_f32_e32 v28, v28, v20
	v_add_f32_e32 v29, v29, v21
	v_mul_f32_e32 v20, v33, v19
	v_mul_f32_e32 v21, v32, v19
	v_fma_f32 v20, v32, v18, -v20
	v_fmac_f32_e32 v21, v33, v18
	v_add_f32_e32 v24, v24, v20
	v_add_f32_e32 v25, v25, v21
	ds_read_b128 v[20:23], v13 offset:1056
	s_waitcnt lgkmcnt(0)
	v_mul_f32_e32 v32, v21, v17
	v_mul_f32_e32 v17, v20, v17
	v_fmac_f32_e32 v17, v21, v16
	v_fma_f32 v32, v20, v16, -v32
	v_add_f32_e32 v27, v27, v17
	v_mul_f32_e32 v16, v21, v19
	v_mul_f32_e32 v17, v20, v19
	v_fma_f32 v16, v20, v18, -v16
	v_fmac_f32_e32 v17, v21, v18
	v_add_f32_e32 v20, v30, v16
	v_add_f32_e32 v21, v31, v17
	ds_read2_b64 v[16:19], v12 offset0:160 offset1:176
	v_add_f32_e32 v26, v26, v32
	s_waitcnt lgkmcnt(0)
	v_mul_f32_e32 v30, v35, v17
	v_fma_f32 v30, v34, v16, -v30
	v_add_f32_e32 v28, v28, v30
	v_mul_f32_e32 v30, v35, v19
	v_fma_f32 v30, v34, v18, -v30
	v_mul_f32_e32 v31, v34, v17
	v_add_f32_e32 v24, v24, v30
	v_mul_f32_e32 v30, v23, v17
	v_mul_f32_e32 v17, v22, v17
	v_fmac_f32_e32 v17, v23, v16
	v_fmac_f32_e32 v31, v35, v16
	v_fma_f32 v30, v22, v16, -v30
	v_add_f32_e32 v27, v27, v17
	v_mul_f32_e32 v16, v23, v19
	v_mul_f32_e32 v17, v22, v19
	v_add_f32_e32 v29, v29, v31
	v_mul_f32_e32 v31, v34, v19
	v_fma_f32 v16, v22, v18, -v16
	v_fmac_f32_e32 v17, v23, v18
	v_fmac_f32_e32 v31, v35, v18
	v_add_f32_e32 v20, v20, v16
	v_add_f32_e32 v21, v21, v17
	ds_read2_b64 v[16:19], v12 offset0:192 offset1:208
	v_add_f32_e32 v26, v26, v30
	v_add_f32_e32 v25, v25, v31
	s_waitcnt lgkmcnt(0)
	v_mul_f32_e32 v22, v3, v17
	v_fma_f32 v22, v2, v16, -v22
	v_add_f32_e32 v30, v28, v22
	v_mul_f32_e32 v22, v3, v19
	v_mul_f32_e32 v23, v2, v17
	v_fma_f32 v22, v2, v18, -v22
	v_mul_f32_e32 v2, v2, v19
	v_fmac_f32_e32 v23, v3, v16
	v_fmac_f32_e32 v2, v3, v18
	v_add_f32_e32 v31, v29, v23
	v_add_f32_e32 v3, v24, v22
	;; [unrolled: 1-line block ×3, first 2 shown]
	ds_read_b128 v[22:25], v13 offset:1072
	s_waitcnt lgkmcnt(0)
	v_mul_f32_e32 v28, v23, v17
	v_fma_f32 v28, v22, v16, -v28
	v_mul_f32_e32 v17, v22, v17
	v_fmac_f32_e32 v17, v23, v16
	v_add_f32_e32 v16, v26, v28
	v_mul_f32_e32 v26, v23, v19
	v_fma_f32 v26, v22, v18, -v26
	v_add_f32_e32 v17, v27, v17
	v_add_f32_e32 v32, v20, v26
	ds_read2_b64 v[26:29], v12 offset0:224 offset1:240
	v_mul_f32_e32 v19, v22, v19
	v_fmac_f32_e32 v19, v23, v18
	v_add_f32_e32 v33, v21, v19
	s_waitcnt lgkmcnt(0)
	v_mul_f32_e32 v18, v5, v27
	v_fma_f32 v18, v4, v26, -v18
	v_add_f32_e32 v22, v30, v18
	v_mul_f32_e32 v18, v5, v29
	v_mul_f32_e32 v19, v4, v27
	v_fma_f32 v18, v4, v28, -v18
	v_mul_f32_e32 v4, v4, v29
	v_fmac_f32_e32 v4, v5, v28
	v_add_f32_e32 v20, v3, v18
	v_add_f32_e32 v21, v2, v4
	v_mul_f32_e32 v2, v25, v27
	v_mul_f32_e32 v3, v24, v27
	v_fmac_f32_e32 v19, v5, v26
	v_fma_f32 v2, v24, v26, -v2
	v_fmac_f32_e32 v3, v25, v26
	v_add_f32_e32 v23, v31, v19
	v_add_f32_e32 v18, v16, v2
	;; [unrolled: 1-line block ×3, first 2 shown]
	v_mul_f32_e32 v2, v25, v29
	v_mul_f32_e32 v3, v24, v29
	v_fma_f32 v2, v24, v28, -v2
	v_fmac_f32_e32 v3, v25, v28
	v_add_f32_e32 v17, v32, v2
	v_add_f32_e32 v16, v33, v3
	s_barrier
	s_cbranch_scc0 .LBB644_2
	s_branch .LBB644_4
.LBB644_3:
	v_mov_b32_e32 v22, 0
	v_mov_b32_e32 v23, 0
	;; [unrolled: 1-line block ×8, first 2 shown]
.LBB644_4:
	s_load_dword s8, s[4:5], 0x50
	v_add_u32_e32 v4, s7, v1
	s_waitcnt lgkmcnt(0)
	v_mov_b32_e32 v3, s11
	v_add_u32_e32 v0, s6, v0
	v_mad_i64_i32 v[1:2], s[0:1], v4, s8, 0
	v_cmp_le_i32_e64 s[0:1], v4, v0
	v_lshlrev_b64 v[1:2], 3, v[1:2]
	v_add_co_u32_e32 v5, vcc, s10, v1
	v_addc_co_u32_e32 v6, vcc, v3, v2, vcc
	v_cmp_gt_i32_e32 vcc, s16, v0
	s_and_b64 s[0:1], s[0:1], vcc
	s_and_saveexec_b64 s[2:3], s[0:1]
	s_cbranch_execz .LBB644_6
; %bb.5:
	v_mul_f32_e32 v1, s13, v23
	v_fma_f32 v2, v22, s12, -v1
	v_ashrrev_i32_e32 v1, 31, v0
	v_lshlrev_b64 v[7:8], 3, v[0:1]
	v_mul_f32_e32 v3, s12, v23
	v_add_co_u32_e64 v7, s[0:1], v5, v7
	v_fmac_f32_e32 v3, s13, v22
	v_addc_co_u32_e64 v8, s[0:1], v6, v8, s[0:1]
	flat_store_dwordx2 v[7:8], v[2:3]
.LBB644_6:
	s_or_b64 exec, exec, s[2:3]
	v_add_u32_e32 v2, 16, v0
	v_cmp_le_i32_e64 s[2:3], v4, v2
	v_cmp_gt_i32_e64 s[0:1], s16, v2
	s_and_b64 s[2:3], s[2:3], s[0:1]
	s_and_saveexec_b64 s[4:5], s[2:3]
	s_cbranch_execz .LBB644_8
; %bb.7:
	v_ashrrev_i32_e32 v3, 31, v2
	v_lshlrev_b64 v[9:10], 3, v[2:3]
	v_mul_f32_e32 v1, s13, v21
	v_mul_f32_e32 v8, s12, v21
	v_add_co_u32_e64 v5, s[2:3], v5, v9
	v_fma_f32 v7, v20, s12, -v1
	v_fmac_f32_e32 v8, s13, v20
	v_addc_co_u32_e64 v6, s[2:3], v6, v10, s[2:3]
	flat_store_dwordx2 v[5:6], v[7:8]
.LBB644_8:
	s_or_b64 exec, exec, s[4:5]
	v_add_u32_e32 v3, 16, v4
	v_mad_i64_i32 v[4:5], s[2:3], v3, s8, 0
	v_mov_b32_e32 v1, s11
	v_lshlrev_b64 v[4:5], 3, v[4:5]
	v_add_co_u32_e64 v4, s[2:3], s10, v4
	v_addc_co_u32_e64 v5, s[2:3], v1, v5, s[2:3]
	v_cmp_le_i32_e64 s[2:3], v3, v0
	s_and_b64 s[4:5], s[2:3], vcc
	s_and_saveexec_b64 s[2:3], s[4:5]
	s_cbranch_execz .LBB644_10
; %bb.9:
	v_mul_f32_e32 v1, s13, v19
	v_fma_f32 v6, v18, s12, -v1
	v_ashrrev_i32_e32 v1, 31, v0
	v_lshlrev_b64 v[0:1], 3, v[0:1]
	v_mul_f32_e32 v7, s12, v19
	v_add_co_u32_e32 v0, vcc, v4, v0
	v_fmac_f32_e32 v7, s13, v18
	v_addc_co_u32_e32 v1, vcc, v5, v1, vcc
	flat_store_dwordx2 v[0:1], v[6:7]
.LBB644_10:
	s_or_b64 exec, exec, s[2:3]
	v_cmp_le_i32_e32 vcc, v3, v2
	s_and_b64 s[0:1], vcc, s[0:1]
	s_and_saveexec_b64 s[2:3], s[0:1]
	s_cbranch_execz .LBB644_12
; %bb.11:
	v_ashrrev_i32_e32 v3, 31, v2
	v_lshlrev_b64 v[2:3], 3, v[2:3]
	v_mul_f32_e32 v0, s13, v16
	v_mul_f32_e32 v1, s12, v16
	v_add_co_u32_e32 v2, vcc, v4, v2
	v_fma_f32 v0, v17, s12, -v0
	v_fmac_f32_e32 v1, s13, v17
	v_addc_co_u32_e32 v3, vcc, v5, v3, vcc
	flat_store_dwordx2 v[2:3], v[0:1]
.LBB644_12:
	s_endpgm
	.section	.rodata,"a",@progbits
	.p2align	6, 0x0
	.amdhsa_kernel _ZL37rocblas_syrkx_herkx_restricted_kernelIi19rocblas_complex_numIfELi16ELi32ELi8ELb1ELb0ELc78ELc76EKPKS1_KPS1_EviT_T0_PT8_S7_lSA_S7_lS8_PT9_S7_li
		.amdhsa_group_segment_fixed_size 4096
		.amdhsa_private_segment_fixed_size 0
		.amdhsa_kernarg_size 100
		.amdhsa_user_sgpr_count 6
		.amdhsa_user_sgpr_private_segment_buffer 1
		.amdhsa_user_sgpr_dispatch_ptr 0
		.amdhsa_user_sgpr_queue_ptr 0
		.amdhsa_user_sgpr_kernarg_segment_ptr 1
		.amdhsa_user_sgpr_dispatch_id 0
		.amdhsa_user_sgpr_flat_scratch_init 0
		.amdhsa_user_sgpr_private_segment_size 0
		.amdhsa_uses_dynamic_stack 0
		.amdhsa_system_sgpr_private_segment_wavefront_offset 0
		.amdhsa_system_sgpr_workgroup_id_x 1
		.amdhsa_system_sgpr_workgroup_id_y 1
		.amdhsa_system_sgpr_workgroup_id_z 1
		.amdhsa_system_sgpr_workgroup_info 0
		.amdhsa_system_vgpr_workitem_id 1
		.amdhsa_next_free_vgpr 43
		.amdhsa_next_free_sgpr 22
		.amdhsa_reserve_vcc 1
		.amdhsa_reserve_flat_scratch 0
		.amdhsa_float_round_mode_32 0
		.amdhsa_float_round_mode_16_64 0
		.amdhsa_float_denorm_mode_32 3
		.amdhsa_float_denorm_mode_16_64 3
		.amdhsa_dx10_clamp 1
		.amdhsa_ieee_mode 1
		.amdhsa_fp16_overflow 0
		.amdhsa_exception_fp_ieee_invalid_op 0
		.amdhsa_exception_fp_denorm_src 0
		.amdhsa_exception_fp_ieee_div_zero 0
		.amdhsa_exception_fp_ieee_overflow 0
		.amdhsa_exception_fp_ieee_underflow 0
		.amdhsa_exception_fp_ieee_inexact 0
		.amdhsa_exception_int_div_zero 0
	.end_amdhsa_kernel
	.section	.text._ZL37rocblas_syrkx_herkx_restricted_kernelIi19rocblas_complex_numIfELi16ELi32ELi8ELb1ELb0ELc78ELc76EKPKS1_KPS1_EviT_T0_PT8_S7_lSA_S7_lS8_PT9_S7_li,"axG",@progbits,_ZL37rocblas_syrkx_herkx_restricted_kernelIi19rocblas_complex_numIfELi16ELi32ELi8ELb1ELb0ELc78ELc76EKPKS1_KPS1_EviT_T0_PT8_S7_lSA_S7_lS8_PT9_S7_li,comdat
.Lfunc_end644:
	.size	_ZL37rocblas_syrkx_herkx_restricted_kernelIi19rocblas_complex_numIfELi16ELi32ELi8ELb1ELb0ELc78ELc76EKPKS1_KPS1_EviT_T0_PT8_S7_lSA_S7_lS8_PT9_S7_li, .Lfunc_end644-_ZL37rocblas_syrkx_herkx_restricted_kernelIi19rocblas_complex_numIfELi16ELi32ELi8ELb1ELb0ELc78ELc76EKPKS1_KPS1_EviT_T0_PT8_S7_lSA_S7_lS8_PT9_S7_li
                                        ; -- End function
	.set _ZL37rocblas_syrkx_herkx_restricted_kernelIi19rocblas_complex_numIfELi16ELi32ELi8ELb1ELb0ELc78ELc76EKPKS1_KPS1_EviT_T0_PT8_S7_lSA_S7_lS8_PT9_S7_li.num_vgpr, 43
	.set _ZL37rocblas_syrkx_herkx_restricted_kernelIi19rocblas_complex_numIfELi16ELi32ELi8ELb1ELb0ELc78ELc76EKPKS1_KPS1_EviT_T0_PT8_S7_lSA_S7_lS8_PT9_S7_li.num_agpr, 0
	.set _ZL37rocblas_syrkx_herkx_restricted_kernelIi19rocblas_complex_numIfELi16ELi32ELi8ELb1ELb0ELc78ELc76EKPKS1_KPS1_EviT_T0_PT8_S7_lSA_S7_lS8_PT9_S7_li.numbered_sgpr, 22
	.set _ZL37rocblas_syrkx_herkx_restricted_kernelIi19rocblas_complex_numIfELi16ELi32ELi8ELb1ELb0ELc78ELc76EKPKS1_KPS1_EviT_T0_PT8_S7_lSA_S7_lS8_PT9_S7_li.num_named_barrier, 0
	.set _ZL37rocblas_syrkx_herkx_restricted_kernelIi19rocblas_complex_numIfELi16ELi32ELi8ELb1ELb0ELc78ELc76EKPKS1_KPS1_EviT_T0_PT8_S7_lSA_S7_lS8_PT9_S7_li.private_seg_size, 0
	.set _ZL37rocblas_syrkx_herkx_restricted_kernelIi19rocblas_complex_numIfELi16ELi32ELi8ELb1ELb0ELc78ELc76EKPKS1_KPS1_EviT_T0_PT8_S7_lSA_S7_lS8_PT9_S7_li.uses_vcc, 1
	.set _ZL37rocblas_syrkx_herkx_restricted_kernelIi19rocblas_complex_numIfELi16ELi32ELi8ELb1ELb0ELc78ELc76EKPKS1_KPS1_EviT_T0_PT8_S7_lSA_S7_lS8_PT9_S7_li.uses_flat_scratch, 0
	.set _ZL37rocblas_syrkx_herkx_restricted_kernelIi19rocblas_complex_numIfELi16ELi32ELi8ELb1ELb0ELc78ELc76EKPKS1_KPS1_EviT_T0_PT8_S7_lSA_S7_lS8_PT9_S7_li.has_dyn_sized_stack, 0
	.set _ZL37rocblas_syrkx_herkx_restricted_kernelIi19rocblas_complex_numIfELi16ELi32ELi8ELb1ELb0ELc78ELc76EKPKS1_KPS1_EviT_T0_PT8_S7_lSA_S7_lS8_PT9_S7_li.has_recursion, 0
	.set _ZL37rocblas_syrkx_herkx_restricted_kernelIi19rocblas_complex_numIfELi16ELi32ELi8ELb1ELb0ELc78ELc76EKPKS1_KPS1_EviT_T0_PT8_S7_lSA_S7_lS8_PT9_S7_li.has_indirect_call, 0
	.section	.AMDGPU.csdata,"",@progbits
; Kernel info:
; codeLenInByte = 1928
; TotalNumSgprs: 26
; NumVgprs: 43
; ScratchSize: 0
; MemoryBound: 0
; FloatMode: 240
; IeeeMode: 1
; LDSByteSize: 4096 bytes/workgroup (compile time only)
; SGPRBlocks: 3
; VGPRBlocks: 10
; NumSGPRsForWavesPerEU: 26
; NumVGPRsForWavesPerEU: 43
; Occupancy: 5
; WaveLimiterHint : 1
; COMPUTE_PGM_RSRC2:SCRATCH_EN: 0
; COMPUTE_PGM_RSRC2:USER_SGPR: 6
; COMPUTE_PGM_RSRC2:TRAP_HANDLER: 0
; COMPUTE_PGM_RSRC2:TGID_X_EN: 1
; COMPUTE_PGM_RSRC2:TGID_Y_EN: 1
; COMPUTE_PGM_RSRC2:TGID_Z_EN: 1
; COMPUTE_PGM_RSRC2:TIDIG_COMP_CNT: 1
	.section	.text._ZL37rocblas_syrkx_herkx_restricted_kernelIi19rocblas_complex_numIfELi16ELi32ELi8ELb1ELb0ELc84ELc85EKPKS1_KPS1_EviT_T0_PT8_S7_lSA_S7_lS8_PT9_S7_li,"axG",@progbits,_ZL37rocblas_syrkx_herkx_restricted_kernelIi19rocblas_complex_numIfELi16ELi32ELi8ELb1ELb0ELc84ELc85EKPKS1_KPS1_EviT_T0_PT8_S7_lSA_S7_lS8_PT9_S7_li,comdat
	.globl	_ZL37rocblas_syrkx_herkx_restricted_kernelIi19rocblas_complex_numIfELi16ELi32ELi8ELb1ELb0ELc84ELc85EKPKS1_KPS1_EviT_T0_PT8_S7_lSA_S7_lS8_PT9_S7_li ; -- Begin function _ZL37rocblas_syrkx_herkx_restricted_kernelIi19rocblas_complex_numIfELi16ELi32ELi8ELb1ELb0ELc84ELc85EKPKS1_KPS1_EviT_T0_PT8_S7_lSA_S7_lS8_PT9_S7_li
	.p2align	8
	.type	_ZL37rocblas_syrkx_herkx_restricted_kernelIi19rocblas_complex_numIfELi16ELi32ELi8ELb1ELb0ELc84ELc85EKPKS1_KPS1_EviT_T0_PT8_S7_lSA_S7_lS8_PT9_S7_li,@function
_ZL37rocblas_syrkx_herkx_restricted_kernelIi19rocblas_complex_numIfELi16ELi32ELi8ELb1ELb0ELc84ELc85EKPKS1_KPS1_EviT_T0_PT8_S7_lSA_S7_lS8_PT9_S7_li: ; @_ZL37rocblas_syrkx_herkx_restricted_kernelIi19rocblas_complex_numIfELi16ELi32ELi8ELb1ELb0ELc84ELc85EKPKS1_KPS1_EviT_T0_PT8_S7_lSA_S7_lS8_PT9_S7_li
; %bb.0:
	s_load_dwordx2 s[10:11], s[4:5], 0x48
	s_load_dwordx2 s[2:3], s[4:5], 0x0
	s_load_dwordx4 s[12:15], s[4:5], 0x8
	s_mov_b32 s9, 0
	s_lshl_b64 s[0:1], s[8:9], 3
	s_waitcnt lgkmcnt(0)
	s_add_u32 s10, s10, s0
	s_addc_u32 s11, s11, s1
	s_load_dwordx2 s[10:11], s[10:11], 0x0
	s_lshl_b32 s6, s6, 5
	s_lshl_b32 s7, s7, 5
	s_cmp_lt_i32 s3, 1
	s_cbranch_scc1 .LBB645_3
; %bb.1:
	s_load_dword s8, s[4:5], 0x18
	s_load_dwordx2 s[16:17], s[4:5], 0x28
	s_load_dword s18, s[4:5], 0x30
	v_lshl_add_u32 v3, v1, 4, v0
	v_and_b32_e32 v7, 31, v3
	s_add_u32 s14, s14, s0
	v_lshrrev_b32_e32 v2, 5, v3
	v_and_b32_e32 v9, 7, v0
	v_lshlrev_b32_e32 v8, 3, v7
	s_addc_u32 s15, s15, s1
	v_lshrrev_b32_e32 v6, 3, v3
	v_lshl_or_b32 v11, v2, 8, v8
	v_lshlrev_b32_e32 v8, 3, v9
	s_waitcnt lgkmcnt(0)
	s_add_u32 s0, s16, s0
	v_add_u32_e32 v3, s7, v6
	v_mov_b32_e32 v10, 0
	v_lshl_or_b32 v6, v6, 6, v8
	s_addc_u32 s1, s17, s1
	v_mad_i64_i32 v[4:5], s[16:17], s18, v3, v[9:10]
	v_mov_b32_e32 v3, v10
	v_add_u32_e32 v12, 0x800, v6
	v_add_u32_e32 v6, s6, v7
	v_mad_i64_i32 v[2:3], s[16:17], s8, v6, v[2:3]
	s_load_dwordx2 s[14:15], s[14:15], 0x0
	v_mov_b32_e32 v6, 0x800
	s_load_dwordx2 s[0:1], s[0:1], 0x0
	v_lshlrev_b64 v[2:3], 3, v[2:3]
	v_lshl_add_u32 v14, v1, 6, v6
	s_waitcnt lgkmcnt(0)
	v_mov_b32_e32 v7, s15
	v_add_co_u32_e32 v6, vcc, s14, v2
	v_addc_co_u32_e32 v7, vcc, v7, v3, vcc
	v_lshlrev_b64 v[2:3], 3, v[4:5]
	v_mov_b32_e32 v4, s1
	v_add_co_u32_e32 v8, vcc, s0, v2
	v_lshlrev_b32_e32 v13, 3, v0
	v_addc_co_u32_e32 v9, vcc, v4, v3, vcc
	v_mov_b32_e32 v15, v10
	v_mov_b32_e32 v17, v10
	;; [unrolled: 1-line block ×7, first 2 shown]
.LBB645_2:                              ; =>This Inner Loop Header: Depth=1
	flat_load_dwordx2 v[2:3], v[6:7]
	v_add_co_u32_e32 v6, vcc, 64, v6
	v_addc_co_u32_e32 v7, vcc, 0, v7, vcc
	s_add_i32 s9, s9, 8
	s_cmp_ge_i32 s9, s3
	s_waitcnt vmcnt(0) lgkmcnt(0)
	ds_write_b64 v11, v[2:3]
	flat_load_dwordx2 v[2:3], v[8:9]
	v_add_co_u32_e32 v8, vcc, 64, v8
	v_addc_co_u32_e32 v9, vcc, 0, v9, vcc
	s_waitcnt vmcnt(0) lgkmcnt(0)
	ds_write_b64 v12, v[2:3]
	s_waitcnt lgkmcnt(0)
	s_barrier
	ds_read_b128 v[22:25], v14
	ds_read_b128 v[26:29], v14 offset:16
	ds_read_b128 v[30:33], v14 offset:32
	;; [unrolled: 1-line block ×3, first 2 shown]
	ds_read2_b64 v[34:37], v13 offset1:16
	s_waitcnt lgkmcnt(0)
	v_mul_f32_e32 v38, v23, v35
	v_mul_f32_e32 v39, v22, v35
	v_fma_f32 v38, v22, v34, -v38
	v_fmac_f32_e32 v39, v23, v34
	v_add_f32_e32 v38, v20, v38
	v_add_f32_e32 v39, v21, v39
	v_mul_f32_e32 v20, v23, v37
	v_mul_f32_e32 v21, v22, v37
	v_fma_f32 v20, v22, v36, -v20
	v_fmac_f32_e32 v21, v23, v36
	v_add_f32_e32 v22, v18, v20
	v_add_f32_e32 v23, v19, v21
	ds_read_b128 v[18:21], v14 offset:1024
	s_waitcnt lgkmcnt(0)
	v_mul_f32_e32 v40, v19, v35
	v_mul_f32_e32 v35, v18, v35
	v_fma_f32 v40, v18, v34, -v40
	v_fmac_f32_e32 v35, v19, v34
	v_add_f32_e32 v34, v16, v40
	v_add_f32_e32 v35, v17, v35
	v_mul_f32_e32 v16, v19, v37
	v_mul_f32_e32 v17, v18, v37
	v_fma_f32 v16, v18, v36, -v16
	v_fmac_f32_e32 v17, v19, v36
	v_add_f32_e32 v19, v15, v16
	v_add_f32_e32 v10, v10, v17
	ds_read2_b64 v[15:18], v13 offset0:32 offset1:48
	s_waitcnt lgkmcnt(0)
	v_mul_f32_e32 v36, v25, v16
	v_fma_f32 v36, v24, v15, -v36
	v_add_f32_e32 v36, v38, v36
	v_mul_f32_e32 v38, v25, v18
	v_mul_f32_e32 v37, v24, v16
	v_fma_f32 v38, v24, v17, -v38
	v_mul_f32_e32 v24, v24, v18
	v_fmac_f32_e32 v24, v25, v17
	v_add_f32_e32 v23, v23, v24
	v_mul_f32_e32 v24, v21, v16
	v_mul_f32_e32 v16, v20, v16
	v_fmac_f32_e32 v16, v21, v15
	v_fmac_f32_e32 v37, v25, v15
	v_fma_f32 v24, v20, v15, -v24
	v_add_f32_e32 v25, v35, v16
	v_mul_f32_e32 v15, v21, v18
	v_mul_f32_e32 v16, v20, v18
	v_fma_f32 v15, v20, v17, -v15
	v_fmac_f32_e32 v16, v21, v17
	v_add_f32_e32 v24, v34, v24
	v_add_f32_e32 v34, v19, v15
	;; [unrolled: 1-line block ×3, first 2 shown]
	ds_read2_b64 v[15:18], v13 offset0:64 offset1:80
	v_add_f32_e32 v37, v39, v37
	v_add_f32_e32 v22, v22, v38
	s_waitcnt lgkmcnt(0)
	v_mul_f32_e32 v19, v27, v16
	v_mul_f32_e32 v20, v26, v16
	v_fma_f32 v19, v26, v15, -v19
	v_fmac_f32_e32 v20, v27, v15
	v_add_f32_e32 v35, v36, v19
	v_add_f32_e32 v36, v37, v20
	v_mul_f32_e32 v19, v27, v18
	v_mul_f32_e32 v20, v26, v18
	v_fma_f32 v19, v26, v17, -v19
	v_fmac_f32_e32 v20, v27, v17
	v_add_f32_e32 v26, v22, v19
	v_add_f32_e32 v23, v23, v20
	ds_read_b128 v[19:22], v14 offset:1040
	s_waitcnt lgkmcnt(0)
	v_mul_f32_e32 v27, v20, v16
	v_mul_f32_e32 v16, v19, v16
	v_fmac_f32_e32 v16, v20, v15
	v_fma_f32 v27, v19, v15, -v27
	v_add_f32_e32 v25, v25, v16
	v_mul_f32_e32 v15, v20, v18
	v_mul_f32_e32 v16, v19, v18
	v_fma_f32 v15, v19, v17, -v15
	v_fmac_f32_e32 v16, v20, v17
	v_add_f32_e32 v19, v34, v15
	v_add_f32_e32 v10, v10, v16
	ds_read2_b64 v[15:18], v13 offset0:96 offset1:112
	v_add_f32_e32 v24, v24, v27
	s_waitcnt lgkmcnt(0)
	v_mul_f32_e32 v20, v29, v16
	v_mul_f32_e32 v34, v29, v18
	v_fma_f32 v20, v28, v15, -v20
	v_mul_f32_e32 v27, v28, v16
	v_fma_f32 v34, v28, v17, -v34
	v_mul_f32_e32 v28, v28, v18
	v_fmac_f32_e32 v28, v29, v17
	v_add_f32_e32 v23, v23, v28
	v_mul_f32_e32 v28, v22, v16
	v_mul_f32_e32 v16, v21, v16
	v_fmac_f32_e32 v16, v22, v15
	v_fmac_f32_e32 v27, v29, v15
	v_fma_f32 v28, v21, v15, -v28
	v_add_f32_e32 v25, v25, v16
	v_mul_f32_e32 v15, v22, v18
	v_mul_f32_e32 v16, v21, v18
	v_fma_f32 v15, v21, v17, -v15
	v_fmac_f32_e32 v16, v22, v17
	v_add_f32_e32 v24, v24, v28
	v_add_f32_e32 v28, v19, v15
	;; [unrolled: 1-line block ×3, first 2 shown]
	ds_read2_b64 v[15:18], v13 offset0:128 offset1:144
	v_add_f32_e32 v20, v35, v20
	v_add_f32_e32 v27, v36, v27
	;; [unrolled: 1-line block ×3, first 2 shown]
	s_waitcnt lgkmcnt(0)
	v_mul_f32_e32 v19, v31, v16
	v_fma_f32 v19, v30, v15, -v19
	v_mul_f32_e32 v21, v30, v16
	v_add_f32_e32 v29, v20, v19
	v_mul_f32_e32 v19, v31, v18
	v_mul_f32_e32 v20, v30, v18
	v_fmac_f32_e32 v21, v31, v15
	v_fma_f32 v19, v30, v17, -v19
	v_fmac_f32_e32 v20, v31, v17
	v_add_f32_e32 v27, v27, v21
	v_add_f32_e32 v26, v26, v19
	v_add_f32_e32 v23, v23, v20
	ds_read_b128 v[19:22], v14 offset:1056
	s_waitcnt lgkmcnt(0)
	v_mul_f32_e32 v30, v20, v16
	v_mul_f32_e32 v16, v19, v16
	v_fmac_f32_e32 v16, v20, v15
	v_fma_f32 v30, v19, v15, -v30
	v_add_f32_e32 v25, v25, v16
	v_mul_f32_e32 v15, v20, v18
	v_mul_f32_e32 v16, v19, v18
	v_fma_f32 v15, v19, v17, -v15
	v_fmac_f32_e32 v16, v20, v17
	v_add_f32_e32 v19, v28, v15
	v_add_f32_e32 v10, v10, v16
	ds_read2_b64 v[15:18], v13 offset0:160 offset1:176
	v_add_f32_e32 v24, v24, v30
	s_waitcnt lgkmcnt(0)
	v_mul_f32_e32 v28, v32, v16
	v_fmac_f32_e32 v28, v33, v15
	v_add_f32_e32 v27, v27, v28
	v_mul_f32_e32 v28, v33, v18
	v_fma_f32 v28, v32, v17, -v28
	v_mul_f32_e32 v20, v33, v16
	v_add_f32_e32 v26, v26, v28
	v_mul_f32_e32 v28, v22, v16
	v_mul_f32_e32 v16, v21, v16
	v_fmac_f32_e32 v16, v22, v15
	v_fma_f32 v20, v32, v15, -v20
	v_fma_f32 v28, v21, v15, -v28
	v_add_f32_e32 v25, v25, v16
	v_mul_f32_e32 v15, v22, v18
	v_mul_f32_e32 v16, v21, v18
	v_add_f32_e32 v20, v29, v20
	v_mul_f32_e32 v29, v32, v18
	v_fma_f32 v15, v21, v17, -v15
	v_fmac_f32_e32 v16, v22, v17
	v_fmac_f32_e32 v29, v33, v17
	v_add_f32_e32 v19, v19, v15
	v_add_f32_e32 v10, v10, v16
	ds_read2_b64 v[15:18], v13 offset0:192 offset1:208
	v_add_f32_e32 v24, v24, v28
	v_add_f32_e32 v23, v23, v29
	s_waitcnt lgkmcnt(0)
	v_mul_f32_e32 v21, v3, v16
	v_fma_f32 v21, v2, v15, -v21
	v_add_f32_e32 v28, v20, v21
	v_mul_f32_e32 v20, v3, v18
	v_mul_f32_e32 v22, v2, v16
	v_fma_f32 v20, v2, v17, -v20
	v_mul_f32_e32 v2, v2, v18
	v_fmac_f32_e32 v22, v3, v15
	v_fmac_f32_e32 v2, v3, v17
	v_add_f32_e32 v29, v27, v22
	v_add_f32_e32 v3, v26, v20
	;; [unrolled: 1-line block ×3, first 2 shown]
	ds_read_b128 v[20:23], v14 offset:1072
	s_waitcnt lgkmcnt(0)
	v_mul_f32_e32 v26, v21, v16
	v_mul_f32_e32 v16, v20, v16
	v_fma_f32 v26, v20, v15, -v26
	v_fmac_f32_e32 v16, v21, v15
	v_add_f32_e32 v15, v24, v26
	v_add_f32_e32 v30, v25, v16
	ds_read2_b64 v[24:27], v13 offset0:224 offset1:240
	v_mul_f32_e32 v16, v21, v18
	v_fma_f32 v16, v20, v17, -v16
	v_add_f32_e32 v31, v19, v16
	v_mul_f32_e32 v18, v20, v18
	s_waitcnt lgkmcnt(0)
	v_mul_f32_e32 v16, v5, v25
	v_fma_f32 v16, v4, v24, -v16
	v_add_f32_e32 v20, v28, v16
	v_mul_f32_e32 v16, v5, v27
	v_fmac_f32_e32 v18, v21, v17
	v_mul_f32_e32 v17, v4, v25
	v_fma_f32 v16, v4, v26, -v16
	v_mul_f32_e32 v4, v4, v27
	v_fmac_f32_e32 v4, v5, v26
	v_add_f32_e32 v10, v10, v18
	v_add_f32_e32 v18, v3, v16
	;; [unrolled: 1-line block ×3, first 2 shown]
	v_mul_f32_e32 v2, v23, v25
	v_mul_f32_e32 v3, v22, v25
	v_fmac_f32_e32 v17, v5, v24
	v_fma_f32 v2, v22, v24, -v2
	v_fmac_f32_e32 v3, v23, v24
	v_add_f32_e32 v21, v29, v17
	v_add_f32_e32 v16, v15, v2
	;; [unrolled: 1-line block ×3, first 2 shown]
	v_mul_f32_e32 v2, v23, v27
	v_mul_f32_e32 v3, v22, v27
	v_fma_f32 v2, v22, v26, -v2
	v_fmac_f32_e32 v3, v23, v26
	v_add_f32_e32 v15, v31, v2
	v_add_f32_e32 v10, v10, v3
	s_barrier
	s_cbranch_scc0 .LBB645_2
	s_branch .LBB645_4
.LBB645_3:
	v_mov_b32_e32 v20, 0
	v_mov_b32_e32 v21, 0
	;; [unrolled: 1-line block ×8, first 2 shown]
.LBB645_4:
	s_load_dword s3, s[4:5], 0x50
	v_add_u32_e32 v4, s7, v1
	s_waitcnt lgkmcnt(0)
	v_mov_b32_e32 v3, s11
	v_add_u32_e32 v0, s6, v0
	v_cmp_gt_i32_e32 vcc, s2, v4
	v_mad_i64_i32 v[1:2], s[0:1], v4, s3, 0
	v_lshlrev_b64 v[1:2], 3, v[1:2]
	v_add_co_u32_e64 v5, s[0:1], s10, v1
	v_addc_co_u32_e64 v6, s[0:1], v3, v2, s[0:1]
	v_cmp_le_i32_e64 s[0:1], v0, v4
	s_and_b64 s[0:1], vcc, s[0:1]
	s_and_saveexec_b64 s[4:5], s[0:1]
	s_cbranch_execz .LBB645_6
; %bb.5:
	v_mul_f32_e32 v1, s13, v21
	v_fma_f32 v2, v20, s12, -v1
	v_ashrrev_i32_e32 v1, 31, v0
	v_lshlrev_b64 v[7:8], 3, v[0:1]
	v_mul_f32_e32 v3, s12, v21
	v_add_co_u32_e64 v7, s[0:1], v5, v7
	v_fmac_f32_e32 v3, s13, v20
	v_addc_co_u32_e64 v8, s[0:1], v6, v8, s[0:1]
	flat_store_dwordx2 v[7:8], v[2:3]
.LBB645_6:
	s_or_b64 exec, exec, s[4:5]
	v_add_u32_e32 v2, 16, v0
	v_cmp_le_i32_e64 s[0:1], v2, v4
	s_and_b64 s[4:5], vcc, s[0:1]
	s_and_saveexec_b64 s[0:1], s[4:5]
	s_cbranch_execz .LBB645_8
; %bb.7:
	v_ashrrev_i32_e32 v3, 31, v2
	v_lshlrev_b64 v[11:12], 3, v[2:3]
	v_mul_f32_e32 v1, s13, v19
	v_mul_f32_e32 v8, s12, v19
	v_add_co_u32_e32 v5, vcc, v5, v11
	v_fma_f32 v7, v18, s12, -v1
	v_fmac_f32_e32 v8, s13, v18
	v_addc_co_u32_e32 v6, vcc, v6, v12, vcc
	flat_store_dwordx2 v[5:6], v[7:8]
.LBB645_8:
	s_or_b64 exec, exec, s[0:1]
	v_add_u32_e32 v3, 16, v4
	v_mad_i64_i32 v[4:5], s[0:1], v3, s3, 0
	v_mov_b32_e32 v1, s11
	v_cmp_gt_i32_e32 vcc, s2, v3
	v_lshlrev_b64 v[4:5], 3, v[4:5]
	v_add_co_u32_e64 v4, s[0:1], s10, v4
	v_addc_co_u32_e64 v5, s[0:1], v1, v5, s[0:1]
	v_cmp_le_i32_e64 s[0:1], v0, v3
	s_and_b64 s[0:1], vcc, s[0:1]
	s_and_saveexec_b64 s[2:3], s[0:1]
	s_cbranch_execz .LBB645_10
; %bb.9:
	v_mul_f32_e32 v1, s13, v17
	v_fma_f32 v6, v16, s12, -v1
	v_ashrrev_i32_e32 v1, 31, v0
	v_lshlrev_b64 v[0:1], 3, v[0:1]
	v_mul_f32_e32 v7, s12, v17
	v_add_co_u32_e64 v0, s[0:1], v4, v0
	v_fmac_f32_e32 v7, s13, v16
	v_addc_co_u32_e64 v1, s[0:1], v5, v1, s[0:1]
	flat_store_dwordx2 v[0:1], v[6:7]
.LBB645_10:
	s_or_b64 exec, exec, s[2:3]
	v_cmp_le_i32_e64 s[0:1], v2, v3
	s_and_b64 s[0:1], vcc, s[0:1]
	s_and_saveexec_b64 s[2:3], s[0:1]
	s_cbranch_execz .LBB645_12
; %bb.11:
	v_ashrrev_i32_e32 v3, 31, v2
	v_lshlrev_b64 v[2:3], 3, v[2:3]
	v_mul_f32_e32 v0, s13, v10
	v_mul_f32_e32 v1, s12, v10
	v_add_co_u32_e32 v2, vcc, v4, v2
	v_fma_f32 v0, v15, s12, -v0
	v_fmac_f32_e32 v1, s13, v15
	v_addc_co_u32_e32 v3, vcc, v5, v3, vcc
	flat_store_dwordx2 v[2:3], v[0:1]
.LBB645_12:
	s_endpgm
	.section	.rodata,"a",@progbits
	.p2align	6, 0x0
	.amdhsa_kernel _ZL37rocblas_syrkx_herkx_restricted_kernelIi19rocblas_complex_numIfELi16ELi32ELi8ELb1ELb0ELc84ELc85EKPKS1_KPS1_EviT_T0_PT8_S7_lSA_S7_lS8_PT9_S7_li
		.amdhsa_group_segment_fixed_size 4096
		.amdhsa_private_segment_fixed_size 0
		.amdhsa_kernarg_size 100
		.amdhsa_user_sgpr_count 6
		.amdhsa_user_sgpr_private_segment_buffer 1
		.amdhsa_user_sgpr_dispatch_ptr 0
		.amdhsa_user_sgpr_queue_ptr 0
		.amdhsa_user_sgpr_kernarg_segment_ptr 1
		.amdhsa_user_sgpr_dispatch_id 0
		.amdhsa_user_sgpr_flat_scratch_init 0
		.amdhsa_user_sgpr_private_segment_size 0
		.amdhsa_uses_dynamic_stack 0
		.amdhsa_system_sgpr_private_segment_wavefront_offset 0
		.amdhsa_system_sgpr_workgroup_id_x 1
		.amdhsa_system_sgpr_workgroup_id_y 1
		.amdhsa_system_sgpr_workgroup_id_z 1
		.amdhsa_system_sgpr_workgroup_info 0
		.amdhsa_system_vgpr_workitem_id 1
		.amdhsa_next_free_vgpr 41
		.amdhsa_next_free_sgpr 19
		.amdhsa_reserve_vcc 1
		.amdhsa_reserve_flat_scratch 0
		.amdhsa_float_round_mode_32 0
		.amdhsa_float_round_mode_16_64 0
		.amdhsa_float_denorm_mode_32 3
		.amdhsa_float_denorm_mode_16_64 3
		.amdhsa_dx10_clamp 1
		.amdhsa_ieee_mode 1
		.amdhsa_fp16_overflow 0
		.amdhsa_exception_fp_ieee_invalid_op 0
		.amdhsa_exception_fp_denorm_src 0
		.amdhsa_exception_fp_ieee_div_zero 0
		.amdhsa_exception_fp_ieee_overflow 0
		.amdhsa_exception_fp_ieee_underflow 0
		.amdhsa_exception_fp_ieee_inexact 0
		.amdhsa_exception_int_div_zero 0
	.end_amdhsa_kernel
	.section	.text._ZL37rocblas_syrkx_herkx_restricted_kernelIi19rocblas_complex_numIfELi16ELi32ELi8ELb1ELb0ELc84ELc85EKPKS1_KPS1_EviT_T0_PT8_S7_lSA_S7_lS8_PT9_S7_li,"axG",@progbits,_ZL37rocblas_syrkx_herkx_restricted_kernelIi19rocblas_complex_numIfELi16ELi32ELi8ELb1ELb0ELc84ELc85EKPKS1_KPS1_EviT_T0_PT8_S7_lSA_S7_lS8_PT9_S7_li,comdat
.Lfunc_end645:
	.size	_ZL37rocblas_syrkx_herkx_restricted_kernelIi19rocblas_complex_numIfELi16ELi32ELi8ELb1ELb0ELc84ELc85EKPKS1_KPS1_EviT_T0_PT8_S7_lSA_S7_lS8_PT9_S7_li, .Lfunc_end645-_ZL37rocblas_syrkx_herkx_restricted_kernelIi19rocblas_complex_numIfELi16ELi32ELi8ELb1ELb0ELc84ELc85EKPKS1_KPS1_EviT_T0_PT8_S7_lSA_S7_lS8_PT9_S7_li
                                        ; -- End function
	.set _ZL37rocblas_syrkx_herkx_restricted_kernelIi19rocblas_complex_numIfELi16ELi32ELi8ELb1ELb0ELc84ELc85EKPKS1_KPS1_EviT_T0_PT8_S7_lSA_S7_lS8_PT9_S7_li.num_vgpr, 41
	.set _ZL37rocblas_syrkx_herkx_restricted_kernelIi19rocblas_complex_numIfELi16ELi32ELi8ELb1ELb0ELc84ELc85EKPKS1_KPS1_EviT_T0_PT8_S7_lSA_S7_lS8_PT9_S7_li.num_agpr, 0
	.set _ZL37rocblas_syrkx_herkx_restricted_kernelIi19rocblas_complex_numIfELi16ELi32ELi8ELb1ELb0ELc84ELc85EKPKS1_KPS1_EviT_T0_PT8_S7_lSA_S7_lS8_PT9_S7_li.numbered_sgpr, 19
	.set _ZL37rocblas_syrkx_herkx_restricted_kernelIi19rocblas_complex_numIfELi16ELi32ELi8ELb1ELb0ELc84ELc85EKPKS1_KPS1_EviT_T0_PT8_S7_lSA_S7_lS8_PT9_S7_li.num_named_barrier, 0
	.set _ZL37rocblas_syrkx_herkx_restricted_kernelIi19rocblas_complex_numIfELi16ELi32ELi8ELb1ELb0ELc84ELc85EKPKS1_KPS1_EviT_T0_PT8_S7_lSA_S7_lS8_PT9_S7_li.private_seg_size, 0
	.set _ZL37rocblas_syrkx_herkx_restricted_kernelIi19rocblas_complex_numIfELi16ELi32ELi8ELb1ELb0ELc84ELc85EKPKS1_KPS1_EviT_T0_PT8_S7_lSA_S7_lS8_PT9_S7_li.uses_vcc, 1
	.set _ZL37rocblas_syrkx_herkx_restricted_kernelIi19rocblas_complex_numIfELi16ELi32ELi8ELb1ELb0ELc84ELc85EKPKS1_KPS1_EviT_T0_PT8_S7_lSA_S7_lS8_PT9_S7_li.uses_flat_scratch, 0
	.set _ZL37rocblas_syrkx_herkx_restricted_kernelIi19rocblas_complex_numIfELi16ELi32ELi8ELb1ELb0ELc84ELc85EKPKS1_KPS1_EviT_T0_PT8_S7_lSA_S7_lS8_PT9_S7_li.has_dyn_sized_stack, 0
	.set _ZL37rocblas_syrkx_herkx_restricted_kernelIi19rocblas_complex_numIfELi16ELi32ELi8ELb1ELb0ELc84ELc85EKPKS1_KPS1_EviT_T0_PT8_S7_lSA_S7_lS8_PT9_S7_li.has_recursion, 0
	.set _ZL37rocblas_syrkx_herkx_restricted_kernelIi19rocblas_complex_numIfELi16ELi32ELi8ELb1ELb0ELc84ELc85EKPKS1_KPS1_EviT_T0_PT8_S7_lSA_S7_lS8_PT9_S7_li.has_indirect_call, 0
	.section	.AMDGPU.csdata,"",@progbits
; Kernel info:
; codeLenInByte = 1908
; TotalNumSgprs: 23
; NumVgprs: 41
; ScratchSize: 0
; MemoryBound: 0
; FloatMode: 240
; IeeeMode: 1
; LDSByteSize: 4096 bytes/workgroup (compile time only)
; SGPRBlocks: 2
; VGPRBlocks: 10
; NumSGPRsForWavesPerEU: 23
; NumVGPRsForWavesPerEU: 41
; Occupancy: 5
; WaveLimiterHint : 1
; COMPUTE_PGM_RSRC2:SCRATCH_EN: 0
; COMPUTE_PGM_RSRC2:USER_SGPR: 6
; COMPUTE_PGM_RSRC2:TRAP_HANDLER: 0
; COMPUTE_PGM_RSRC2:TGID_X_EN: 1
; COMPUTE_PGM_RSRC2:TGID_Y_EN: 1
; COMPUTE_PGM_RSRC2:TGID_Z_EN: 1
; COMPUTE_PGM_RSRC2:TIDIG_COMP_CNT: 1
	.section	.text._ZL37rocblas_syrkx_herkx_restricted_kernelIi19rocblas_complex_numIfELi16ELi32ELi8ELb1ELb0ELc67ELc85EKPKS1_KPS1_EviT_T0_PT8_S7_lSA_S7_lS8_PT9_S7_li,"axG",@progbits,_ZL37rocblas_syrkx_herkx_restricted_kernelIi19rocblas_complex_numIfELi16ELi32ELi8ELb1ELb0ELc67ELc85EKPKS1_KPS1_EviT_T0_PT8_S7_lSA_S7_lS8_PT9_S7_li,comdat
	.globl	_ZL37rocblas_syrkx_herkx_restricted_kernelIi19rocblas_complex_numIfELi16ELi32ELi8ELb1ELb0ELc67ELc85EKPKS1_KPS1_EviT_T0_PT8_S7_lSA_S7_lS8_PT9_S7_li ; -- Begin function _ZL37rocblas_syrkx_herkx_restricted_kernelIi19rocblas_complex_numIfELi16ELi32ELi8ELb1ELb0ELc67ELc85EKPKS1_KPS1_EviT_T0_PT8_S7_lSA_S7_lS8_PT9_S7_li
	.p2align	8
	.type	_ZL37rocblas_syrkx_herkx_restricted_kernelIi19rocblas_complex_numIfELi16ELi32ELi8ELb1ELb0ELc67ELc85EKPKS1_KPS1_EviT_T0_PT8_S7_lSA_S7_lS8_PT9_S7_li,@function
_ZL37rocblas_syrkx_herkx_restricted_kernelIi19rocblas_complex_numIfELi16ELi32ELi8ELb1ELb0ELc67ELc85EKPKS1_KPS1_EviT_T0_PT8_S7_lSA_S7_lS8_PT9_S7_li: ; @_ZL37rocblas_syrkx_herkx_restricted_kernelIi19rocblas_complex_numIfELi16ELi32ELi8ELb1ELb0ELc67ELc85EKPKS1_KPS1_EviT_T0_PT8_S7_lSA_S7_lS8_PT9_S7_li
; %bb.0:
	s_load_dwordx2 s[10:11], s[4:5], 0x48
	s_load_dwordx2 s[2:3], s[4:5], 0x0
	s_load_dwordx4 s[12:15], s[4:5], 0x8
	s_mov_b32 s9, 0
	s_lshl_b64 s[0:1], s[8:9], 3
	s_waitcnt lgkmcnt(0)
	s_add_u32 s10, s10, s0
	s_addc_u32 s11, s11, s1
	s_load_dwordx2 s[10:11], s[10:11], 0x0
	s_lshl_b32 s6, s6, 5
	s_lshl_b32 s7, s7, 5
	s_cmp_lt_i32 s3, 1
	s_cbranch_scc1 .LBB646_3
; %bb.1:
	s_load_dword s8, s[4:5], 0x18
	s_load_dwordx2 s[16:17], s[4:5], 0x28
	s_load_dword s18, s[4:5], 0x30
	v_lshl_add_u32 v3, v1, 4, v0
	v_and_b32_e32 v7, 31, v3
	s_add_u32 s14, s14, s0
	v_lshrrev_b32_e32 v2, 5, v3
	v_and_b32_e32 v9, 7, v0
	v_lshlrev_b32_e32 v8, 3, v7
	s_addc_u32 s15, s15, s1
	v_lshrrev_b32_e32 v6, 3, v3
	v_lshl_or_b32 v11, v2, 8, v8
	v_lshlrev_b32_e32 v8, 3, v9
	s_waitcnt lgkmcnt(0)
	s_add_u32 s0, s16, s0
	v_add_u32_e32 v3, s7, v6
	v_mov_b32_e32 v10, 0
	v_lshl_or_b32 v6, v6, 6, v8
	s_addc_u32 s1, s17, s1
	v_mad_i64_i32 v[4:5], s[16:17], s18, v3, v[9:10]
	v_mov_b32_e32 v3, v10
	v_add_u32_e32 v12, 0x800, v6
	v_add_u32_e32 v6, s6, v7
	v_mad_i64_i32 v[2:3], s[16:17], s8, v6, v[2:3]
	s_load_dwordx2 s[14:15], s[14:15], 0x0
	v_mov_b32_e32 v6, 0x800
	s_load_dwordx2 s[0:1], s[0:1], 0x0
	v_lshlrev_b64 v[2:3], 3, v[2:3]
	v_lshl_add_u32 v14, v1, 6, v6
	s_waitcnt lgkmcnt(0)
	v_mov_b32_e32 v7, s15
	v_add_co_u32_e32 v6, vcc, s14, v2
	v_addc_co_u32_e32 v7, vcc, v7, v3, vcc
	v_lshlrev_b64 v[2:3], 3, v[4:5]
	v_mov_b32_e32 v4, s1
	v_add_co_u32_e32 v8, vcc, s0, v2
	v_lshlrev_b32_e32 v13, 3, v0
	v_addc_co_u32_e32 v9, vcc, v4, v3, vcc
	v_mov_b32_e32 v15, v10
	v_mov_b32_e32 v17, v10
	;; [unrolled: 1-line block ×7, first 2 shown]
.LBB646_2:                              ; =>This Inner Loop Header: Depth=1
	flat_load_dwordx2 v[2:3], v[6:7]
	v_add_co_u32_e32 v6, vcc, 64, v6
	v_addc_co_u32_e32 v7, vcc, 0, v7, vcc
	s_add_i32 s9, s9, 8
	s_cmp_ge_i32 s9, s3
	s_waitcnt vmcnt(0) lgkmcnt(0)
	ds_write_b64 v11, v[2:3]
	flat_load_dwordx2 v[2:3], v[8:9]
	v_add_co_u32_e32 v8, vcc, 64, v8
	v_addc_co_u32_e32 v9, vcc, 0, v9, vcc
	s_waitcnt vmcnt(0) lgkmcnt(0)
	ds_write_b64 v12, v[2:3]
	s_waitcnt lgkmcnt(0)
	s_barrier
	ds_read_b128 v[22:25], v14
	ds_read_b128 v[26:29], v14 offset:16
	ds_read_b128 v[30:33], v14 offset:32
	ds_read_b128 v[2:5], v14 offset:48
	ds_read2_b64 v[34:37], v13 offset1:16
	s_waitcnt lgkmcnt(0)
	v_mul_f32_e32 v38, v23, v35
	v_mul_f32_e32 v39, v22, v35
	v_fma_f32 v38, v22, v34, -v38
	v_fmac_f32_e32 v39, v23, v34
	v_add_f32_e32 v38, v20, v38
	v_add_f32_e32 v39, v21, v39
	v_mul_f32_e32 v20, v23, v37
	v_mul_f32_e32 v21, v22, v37
	v_fma_f32 v20, v22, v36, -v20
	v_fmac_f32_e32 v21, v23, v36
	v_add_f32_e32 v22, v18, v20
	v_add_f32_e32 v23, v19, v21
	ds_read_b128 v[18:21], v14 offset:1024
	s_waitcnt lgkmcnt(0)
	v_mul_f32_e32 v40, v19, v35
	v_mul_f32_e32 v35, v18, v35
	v_fma_f32 v40, v18, v34, -v40
	v_fmac_f32_e32 v35, v19, v34
	v_add_f32_e32 v34, v16, v40
	v_add_f32_e32 v35, v17, v35
	v_mul_f32_e32 v16, v19, v37
	v_mul_f32_e32 v17, v18, v37
	v_fma_f32 v16, v18, v36, -v16
	v_fmac_f32_e32 v17, v19, v36
	v_add_f32_e32 v19, v15, v16
	v_add_f32_e32 v10, v10, v17
	ds_read2_b64 v[15:18], v13 offset0:32 offset1:48
	s_waitcnt lgkmcnt(0)
	v_mul_f32_e32 v36, v25, v16
	v_fma_f32 v36, v24, v15, -v36
	v_add_f32_e32 v36, v38, v36
	v_mul_f32_e32 v38, v25, v18
	v_mul_f32_e32 v37, v24, v16
	v_fma_f32 v38, v24, v17, -v38
	v_mul_f32_e32 v24, v24, v18
	v_fmac_f32_e32 v24, v25, v17
	v_add_f32_e32 v23, v23, v24
	v_mul_f32_e32 v24, v21, v16
	v_mul_f32_e32 v16, v20, v16
	v_fmac_f32_e32 v16, v21, v15
	v_fmac_f32_e32 v37, v25, v15
	v_fma_f32 v24, v20, v15, -v24
	v_add_f32_e32 v25, v35, v16
	v_mul_f32_e32 v15, v21, v18
	v_mul_f32_e32 v16, v20, v18
	v_fma_f32 v15, v20, v17, -v15
	v_fmac_f32_e32 v16, v21, v17
	v_add_f32_e32 v24, v34, v24
	v_add_f32_e32 v34, v19, v15
	;; [unrolled: 1-line block ×3, first 2 shown]
	ds_read2_b64 v[15:18], v13 offset0:64 offset1:80
	v_add_f32_e32 v37, v39, v37
	v_add_f32_e32 v22, v22, v38
	s_waitcnt lgkmcnt(0)
	v_mul_f32_e32 v19, v27, v16
	v_mul_f32_e32 v20, v26, v16
	v_fma_f32 v19, v26, v15, -v19
	v_fmac_f32_e32 v20, v27, v15
	v_add_f32_e32 v35, v36, v19
	v_add_f32_e32 v36, v37, v20
	v_mul_f32_e32 v19, v27, v18
	v_mul_f32_e32 v20, v26, v18
	v_fma_f32 v19, v26, v17, -v19
	v_fmac_f32_e32 v20, v27, v17
	v_add_f32_e32 v26, v22, v19
	v_add_f32_e32 v23, v23, v20
	ds_read_b128 v[19:22], v14 offset:1040
	s_waitcnt lgkmcnt(0)
	v_mul_f32_e32 v27, v20, v16
	v_mul_f32_e32 v16, v19, v16
	v_fmac_f32_e32 v16, v20, v15
	v_fma_f32 v27, v19, v15, -v27
	v_add_f32_e32 v25, v25, v16
	v_mul_f32_e32 v15, v20, v18
	v_mul_f32_e32 v16, v19, v18
	v_fma_f32 v15, v19, v17, -v15
	v_fmac_f32_e32 v16, v20, v17
	v_add_f32_e32 v19, v34, v15
	v_add_f32_e32 v10, v10, v16
	ds_read2_b64 v[15:18], v13 offset0:96 offset1:112
	v_add_f32_e32 v24, v24, v27
	s_waitcnt lgkmcnt(0)
	v_mul_f32_e32 v20, v29, v16
	v_mul_f32_e32 v34, v29, v18
	v_fma_f32 v20, v28, v15, -v20
	v_mul_f32_e32 v27, v28, v16
	v_fma_f32 v34, v28, v17, -v34
	v_mul_f32_e32 v28, v28, v18
	v_fmac_f32_e32 v28, v29, v17
	v_add_f32_e32 v23, v23, v28
	v_mul_f32_e32 v28, v22, v16
	v_mul_f32_e32 v16, v21, v16
	v_fmac_f32_e32 v16, v22, v15
	v_fmac_f32_e32 v27, v29, v15
	v_fma_f32 v28, v21, v15, -v28
	v_add_f32_e32 v25, v25, v16
	v_mul_f32_e32 v15, v22, v18
	v_mul_f32_e32 v16, v21, v18
	v_fma_f32 v15, v21, v17, -v15
	v_fmac_f32_e32 v16, v22, v17
	v_add_f32_e32 v24, v24, v28
	v_add_f32_e32 v28, v19, v15
	;; [unrolled: 1-line block ×3, first 2 shown]
	ds_read2_b64 v[15:18], v13 offset0:128 offset1:144
	v_add_f32_e32 v20, v35, v20
	v_add_f32_e32 v27, v36, v27
	;; [unrolled: 1-line block ×3, first 2 shown]
	s_waitcnt lgkmcnt(0)
	v_mul_f32_e32 v19, v31, v16
	v_fma_f32 v19, v30, v15, -v19
	v_mul_f32_e32 v21, v30, v16
	v_add_f32_e32 v29, v20, v19
	v_mul_f32_e32 v19, v31, v18
	v_mul_f32_e32 v20, v30, v18
	v_fmac_f32_e32 v21, v31, v15
	v_fma_f32 v19, v30, v17, -v19
	v_fmac_f32_e32 v20, v31, v17
	v_add_f32_e32 v27, v27, v21
	v_add_f32_e32 v26, v26, v19
	;; [unrolled: 1-line block ×3, first 2 shown]
	ds_read_b128 v[19:22], v14 offset:1056
	s_waitcnt lgkmcnt(0)
	v_mul_f32_e32 v30, v20, v16
	v_mul_f32_e32 v16, v19, v16
	v_fmac_f32_e32 v16, v20, v15
	v_fma_f32 v30, v19, v15, -v30
	v_add_f32_e32 v25, v25, v16
	v_mul_f32_e32 v15, v20, v18
	v_mul_f32_e32 v16, v19, v18
	v_fma_f32 v15, v19, v17, -v15
	v_fmac_f32_e32 v16, v20, v17
	v_add_f32_e32 v19, v28, v15
	v_add_f32_e32 v10, v10, v16
	ds_read2_b64 v[15:18], v13 offset0:160 offset1:176
	v_add_f32_e32 v24, v24, v30
	s_waitcnt lgkmcnt(0)
	v_mul_f32_e32 v28, v32, v16
	v_fmac_f32_e32 v28, v33, v15
	v_add_f32_e32 v27, v27, v28
	v_mul_f32_e32 v28, v33, v18
	v_fma_f32 v28, v32, v17, -v28
	v_mul_f32_e32 v20, v33, v16
	v_add_f32_e32 v26, v26, v28
	v_mul_f32_e32 v28, v22, v16
	v_mul_f32_e32 v16, v21, v16
	v_fmac_f32_e32 v16, v22, v15
	v_fma_f32 v20, v32, v15, -v20
	v_fma_f32 v28, v21, v15, -v28
	v_add_f32_e32 v25, v25, v16
	v_mul_f32_e32 v15, v22, v18
	v_mul_f32_e32 v16, v21, v18
	v_add_f32_e32 v20, v29, v20
	v_mul_f32_e32 v29, v32, v18
	v_fma_f32 v15, v21, v17, -v15
	v_fmac_f32_e32 v16, v22, v17
	v_fmac_f32_e32 v29, v33, v17
	v_add_f32_e32 v19, v19, v15
	v_add_f32_e32 v10, v10, v16
	ds_read2_b64 v[15:18], v13 offset0:192 offset1:208
	v_add_f32_e32 v24, v24, v28
	v_add_f32_e32 v23, v23, v29
	s_waitcnt lgkmcnt(0)
	v_mul_f32_e32 v21, v3, v16
	v_fma_f32 v21, v2, v15, -v21
	v_add_f32_e32 v28, v20, v21
	v_mul_f32_e32 v20, v3, v18
	v_mul_f32_e32 v22, v2, v16
	v_fma_f32 v20, v2, v17, -v20
	v_mul_f32_e32 v2, v2, v18
	v_fmac_f32_e32 v22, v3, v15
	v_fmac_f32_e32 v2, v3, v17
	v_add_f32_e32 v29, v27, v22
	v_add_f32_e32 v3, v26, v20
	v_add_f32_e32 v2, v23, v2
	ds_read_b128 v[20:23], v14 offset:1072
	s_waitcnt lgkmcnt(0)
	v_mul_f32_e32 v26, v21, v16
	v_mul_f32_e32 v16, v20, v16
	v_fma_f32 v26, v20, v15, -v26
	v_fmac_f32_e32 v16, v21, v15
	v_add_f32_e32 v15, v24, v26
	v_add_f32_e32 v30, v25, v16
	ds_read2_b64 v[24:27], v13 offset0:224 offset1:240
	v_mul_f32_e32 v16, v21, v18
	v_fma_f32 v16, v20, v17, -v16
	v_add_f32_e32 v31, v19, v16
	v_mul_f32_e32 v18, v20, v18
	s_waitcnt lgkmcnt(0)
	v_mul_f32_e32 v16, v5, v25
	v_fma_f32 v16, v4, v24, -v16
	v_add_f32_e32 v20, v28, v16
	v_mul_f32_e32 v16, v5, v27
	v_fmac_f32_e32 v18, v21, v17
	v_mul_f32_e32 v17, v4, v25
	v_fma_f32 v16, v4, v26, -v16
	v_mul_f32_e32 v4, v4, v27
	v_fmac_f32_e32 v4, v5, v26
	v_add_f32_e32 v10, v10, v18
	v_add_f32_e32 v18, v3, v16
	;; [unrolled: 1-line block ×3, first 2 shown]
	v_mul_f32_e32 v2, v23, v25
	v_mul_f32_e32 v3, v22, v25
	v_fmac_f32_e32 v17, v5, v24
	v_fma_f32 v2, v22, v24, -v2
	v_fmac_f32_e32 v3, v23, v24
	v_add_f32_e32 v21, v29, v17
	v_add_f32_e32 v16, v15, v2
	;; [unrolled: 1-line block ×3, first 2 shown]
	v_mul_f32_e32 v2, v23, v27
	v_mul_f32_e32 v3, v22, v27
	v_fma_f32 v2, v22, v26, -v2
	v_fmac_f32_e32 v3, v23, v26
	v_add_f32_e32 v15, v31, v2
	v_add_f32_e32 v10, v10, v3
	s_barrier
	s_cbranch_scc0 .LBB646_2
	s_branch .LBB646_4
.LBB646_3:
	v_mov_b32_e32 v20, 0
	v_mov_b32_e32 v21, 0
	;; [unrolled: 1-line block ×8, first 2 shown]
.LBB646_4:
	s_load_dword s3, s[4:5], 0x50
	v_add_u32_e32 v4, s7, v1
	s_waitcnt lgkmcnt(0)
	v_mov_b32_e32 v3, s11
	v_add_u32_e32 v0, s6, v0
	v_cmp_gt_i32_e32 vcc, s2, v4
	v_mad_i64_i32 v[1:2], s[0:1], v4, s3, 0
	v_lshlrev_b64 v[1:2], 3, v[1:2]
	v_add_co_u32_e64 v5, s[0:1], s10, v1
	v_addc_co_u32_e64 v6, s[0:1], v3, v2, s[0:1]
	v_cmp_le_i32_e64 s[0:1], v0, v4
	s_and_b64 s[0:1], vcc, s[0:1]
	s_and_saveexec_b64 s[4:5], s[0:1]
	s_cbranch_execz .LBB646_6
; %bb.5:
	v_mul_f32_e32 v1, s13, v21
	v_fma_f32 v2, v20, s12, -v1
	v_ashrrev_i32_e32 v1, 31, v0
	v_lshlrev_b64 v[7:8], 3, v[0:1]
	v_mul_f32_e32 v3, s12, v21
	v_add_co_u32_e64 v7, s[0:1], v5, v7
	v_fmac_f32_e32 v3, s13, v20
	v_addc_co_u32_e64 v8, s[0:1], v6, v8, s[0:1]
	flat_store_dwordx2 v[7:8], v[2:3]
.LBB646_6:
	s_or_b64 exec, exec, s[4:5]
	v_add_u32_e32 v2, 16, v0
	v_cmp_le_i32_e64 s[0:1], v2, v4
	s_and_b64 s[4:5], vcc, s[0:1]
	s_and_saveexec_b64 s[0:1], s[4:5]
	s_cbranch_execz .LBB646_8
; %bb.7:
	v_ashrrev_i32_e32 v3, 31, v2
	v_lshlrev_b64 v[11:12], 3, v[2:3]
	v_mul_f32_e32 v1, s13, v19
	v_mul_f32_e32 v8, s12, v19
	v_add_co_u32_e32 v5, vcc, v5, v11
	v_fma_f32 v7, v18, s12, -v1
	v_fmac_f32_e32 v8, s13, v18
	v_addc_co_u32_e32 v6, vcc, v6, v12, vcc
	flat_store_dwordx2 v[5:6], v[7:8]
.LBB646_8:
	s_or_b64 exec, exec, s[0:1]
	v_add_u32_e32 v3, 16, v4
	v_mad_i64_i32 v[4:5], s[0:1], v3, s3, 0
	v_mov_b32_e32 v1, s11
	v_cmp_gt_i32_e32 vcc, s2, v3
	v_lshlrev_b64 v[4:5], 3, v[4:5]
	v_add_co_u32_e64 v4, s[0:1], s10, v4
	v_addc_co_u32_e64 v5, s[0:1], v1, v5, s[0:1]
	v_cmp_le_i32_e64 s[0:1], v0, v3
	s_and_b64 s[0:1], vcc, s[0:1]
	s_and_saveexec_b64 s[2:3], s[0:1]
	s_cbranch_execz .LBB646_10
; %bb.9:
	v_mul_f32_e32 v1, s13, v17
	v_fma_f32 v6, v16, s12, -v1
	v_ashrrev_i32_e32 v1, 31, v0
	v_lshlrev_b64 v[0:1], 3, v[0:1]
	v_mul_f32_e32 v7, s12, v17
	v_add_co_u32_e64 v0, s[0:1], v4, v0
	v_fmac_f32_e32 v7, s13, v16
	v_addc_co_u32_e64 v1, s[0:1], v5, v1, s[0:1]
	flat_store_dwordx2 v[0:1], v[6:7]
.LBB646_10:
	s_or_b64 exec, exec, s[2:3]
	v_cmp_le_i32_e64 s[0:1], v2, v3
	s_and_b64 s[0:1], vcc, s[0:1]
	s_and_saveexec_b64 s[2:3], s[0:1]
	s_cbranch_execz .LBB646_12
; %bb.11:
	v_ashrrev_i32_e32 v3, 31, v2
	v_lshlrev_b64 v[2:3], 3, v[2:3]
	v_mul_f32_e32 v0, s13, v10
	v_mul_f32_e32 v1, s12, v10
	v_add_co_u32_e32 v2, vcc, v4, v2
	v_fma_f32 v0, v15, s12, -v0
	v_fmac_f32_e32 v1, s13, v15
	v_addc_co_u32_e32 v3, vcc, v5, v3, vcc
	flat_store_dwordx2 v[2:3], v[0:1]
.LBB646_12:
	s_endpgm
	.section	.rodata,"a",@progbits
	.p2align	6, 0x0
	.amdhsa_kernel _ZL37rocblas_syrkx_herkx_restricted_kernelIi19rocblas_complex_numIfELi16ELi32ELi8ELb1ELb0ELc67ELc85EKPKS1_KPS1_EviT_T0_PT8_S7_lSA_S7_lS8_PT9_S7_li
		.amdhsa_group_segment_fixed_size 4096
		.amdhsa_private_segment_fixed_size 0
		.amdhsa_kernarg_size 100
		.amdhsa_user_sgpr_count 6
		.amdhsa_user_sgpr_private_segment_buffer 1
		.amdhsa_user_sgpr_dispatch_ptr 0
		.amdhsa_user_sgpr_queue_ptr 0
		.amdhsa_user_sgpr_kernarg_segment_ptr 1
		.amdhsa_user_sgpr_dispatch_id 0
		.amdhsa_user_sgpr_flat_scratch_init 0
		.amdhsa_user_sgpr_private_segment_size 0
		.amdhsa_uses_dynamic_stack 0
		.amdhsa_system_sgpr_private_segment_wavefront_offset 0
		.amdhsa_system_sgpr_workgroup_id_x 1
		.amdhsa_system_sgpr_workgroup_id_y 1
		.amdhsa_system_sgpr_workgroup_id_z 1
		.amdhsa_system_sgpr_workgroup_info 0
		.amdhsa_system_vgpr_workitem_id 1
		.amdhsa_next_free_vgpr 41
		.amdhsa_next_free_sgpr 19
		.amdhsa_reserve_vcc 1
		.amdhsa_reserve_flat_scratch 0
		.amdhsa_float_round_mode_32 0
		.amdhsa_float_round_mode_16_64 0
		.amdhsa_float_denorm_mode_32 3
		.amdhsa_float_denorm_mode_16_64 3
		.amdhsa_dx10_clamp 1
		.amdhsa_ieee_mode 1
		.amdhsa_fp16_overflow 0
		.amdhsa_exception_fp_ieee_invalid_op 0
		.amdhsa_exception_fp_denorm_src 0
		.amdhsa_exception_fp_ieee_div_zero 0
		.amdhsa_exception_fp_ieee_overflow 0
		.amdhsa_exception_fp_ieee_underflow 0
		.amdhsa_exception_fp_ieee_inexact 0
		.amdhsa_exception_int_div_zero 0
	.end_amdhsa_kernel
	.section	.text._ZL37rocblas_syrkx_herkx_restricted_kernelIi19rocblas_complex_numIfELi16ELi32ELi8ELb1ELb0ELc67ELc85EKPKS1_KPS1_EviT_T0_PT8_S7_lSA_S7_lS8_PT9_S7_li,"axG",@progbits,_ZL37rocblas_syrkx_herkx_restricted_kernelIi19rocblas_complex_numIfELi16ELi32ELi8ELb1ELb0ELc67ELc85EKPKS1_KPS1_EviT_T0_PT8_S7_lSA_S7_lS8_PT9_S7_li,comdat
.Lfunc_end646:
	.size	_ZL37rocblas_syrkx_herkx_restricted_kernelIi19rocblas_complex_numIfELi16ELi32ELi8ELb1ELb0ELc67ELc85EKPKS1_KPS1_EviT_T0_PT8_S7_lSA_S7_lS8_PT9_S7_li, .Lfunc_end646-_ZL37rocblas_syrkx_herkx_restricted_kernelIi19rocblas_complex_numIfELi16ELi32ELi8ELb1ELb0ELc67ELc85EKPKS1_KPS1_EviT_T0_PT8_S7_lSA_S7_lS8_PT9_S7_li
                                        ; -- End function
	.set _ZL37rocblas_syrkx_herkx_restricted_kernelIi19rocblas_complex_numIfELi16ELi32ELi8ELb1ELb0ELc67ELc85EKPKS1_KPS1_EviT_T0_PT8_S7_lSA_S7_lS8_PT9_S7_li.num_vgpr, 41
	.set _ZL37rocblas_syrkx_herkx_restricted_kernelIi19rocblas_complex_numIfELi16ELi32ELi8ELb1ELb0ELc67ELc85EKPKS1_KPS1_EviT_T0_PT8_S7_lSA_S7_lS8_PT9_S7_li.num_agpr, 0
	.set _ZL37rocblas_syrkx_herkx_restricted_kernelIi19rocblas_complex_numIfELi16ELi32ELi8ELb1ELb0ELc67ELc85EKPKS1_KPS1_EviT_T0_PT8_S7_lSA_S7_lS8_PT9_S7_li.numbered_sgpr, 19
	.set _ZL37rocblas_syrkx_herkx_restricted_kernelIi19rocblas_complex_numIfELi16ELi32ELi8ELb1ELb0ELc67ELc85EKPKS1_KPS1_EviT_T0_PT8_S7_lSA_S7_lS8_PT9_S7_li.num_named_barrier, 0
	.set _ZL37rocblas_syrkx_herkx_restricted_kernelIi19rocblas_complex_numIfELi16ELi32ELi8ELb1ELb0ELc67ELc85EKPKS1_KPS1_EviT_T0_PT8_S7_lSA_S7_lS8_PT9_S7_li.private_seg_size, 0
	.set _ZL37rocblas_syrkx_herkx_restricted_kernelIi19rocblas_complex_numIfELi16ELi32ELi8ELb1ELb0ELc67ELc85EKPKS1_KPS1_EviT_T0_PT8_S7_lSA_S7_lS8_PT9_S7_li.uses_vcc, 1
	.set _ZL37rocblas_syrkx_herkx_restricted_kernelIi19rocblas_complex_numIfELi16ELi32ELi8ELb1ELb0ELc67ELc85EKPKS1_KPS1_EviT_T0_PT8_S7_lSA_S7_lS8_PT9_S7_li.uses_flat_scratch, 0
	.set _ZL37rocblas_syrkx_herkx_restricted_kernelIi19rocblas_complex_numIfELi16ELi32ELi8ELb1ELb0ELc67ELc85EKPKS1_KPS1_EviT_T0_PT8_S7_lSA_S7_lS8_PT9_S7_li.has_dyn_sized_stack, 0
	.set _ZL37rocblas_syrkx_herkx_restricted_kernelIi19rocblas_complex_numIfELi16ELi32ELi8ELb1ELb0ELc67ELc85EKPKS1_KPS1_EviT_T0_PT8_S7_lSA_S7_lS8_PT9_S7_li.has_recursion, 0
	.set _ZL37rocblas_syrkx_herkx_restricted_kernelIi19rocblas_complex_numIfELi16ELi32ELi8ELb1ELb0ELc67ELc85EKPKS1_KPS1_EviT_T0_PT8_S7_lSA_S7_lS8_PT9_S7_li.has_indirect_call, 0
	.section	.AMDGPU.csdata,"",@progbits
; Kernel info:
; codeLenInByte = 1908
; TotalNumSgprs: 23
; NumVgprs: 41
; ScratchSize: 0
; MemoryBound: 0
; FloatMode: 240
; IeeeMode: 1
; LDSByteSize: 4096 bytes/workgroup (compile time only)
; SGPRBlocks: 2
; VGPRBlocks: 10
; NumSGPRsForWavesPerEU: 23
; NumVGPRsForWavesPerEU: 41
; Occupancy: 5
; WaveLimiterHint : 1
; COMPUTE_PGM_RSRC2:SCRATCH_EN: 0
; COMPUTE_PGM_RSRC2:USER_SGPR: 6
; COMPUTE_PGM_RSRC2:TRAP_HANDLER: 0
; COMPUTE_PGM_RSRC2:TGID_X_EN: 1
; COMPUTE_PGM_RSRC2:TGID_Y_EN: 1
; COMPUTE_PGM_RSRC2:TGID_Z_EN: 1
; COMPUTE_PGM_RSRC2:TIDIG_COMP_CNT: 1
	.section	.text._ZL37rocblas_syrkx_herkx_restricted_kernelIi19rocblas_complex_numIfELi16ELi32ELi8ELb1ELb0ELc78ELc85EKPKS1_KPS1_EviT_T0_PT8_S7_lSA_S7_lS8_PT9_S7_li,"axG",@progbits,_ZL37rocblas_syrkx_herkx_restricted_kernelIi19rocblas_complex_numIfELi16ELi32ELi8ELb1ELb0ELc78ELc85EKPKS1_KPS1_EviT_T0_PT8_S7_lSA_S7_lS8_PT9_S7_li,comdat
	.globl	_ZL37rocblas_syrkx_herkx_restricted_kernelIi19rocblas_complex_numIfELi16ELi32ELi8ELb1ELb0ELc78ELc85EKPKS1_KPS1_EviT_T0_PT8_S7_lSA_S7_lS8_PT9_S7_li ; -- Begin function _ZL37rocblas_syrkx_herkx_restricted_kernelIi19rocblas_complex_numIfELi16ELi32ELi8ELb1ELb0ELc78ELc85EKPKS1_KPS1_EviT_T0_PT8_S7_lSA_S7_lS8_PT9_S7_li
	.p2align	8
	.type	_ZL37rocblas_syrkx_herkx_restricted_kernelIi19rocblas_complex_numIfELi16ELi32ELi8ELb1ELb0ELc78ELc85EKPKS1_KPS1_EviT_T0_PT8_S7_lSA_S7_lS8_PT9_S7_li,@function
_ZL37rocblas_syrkx_herkx_restricted_kernelIi19rocblas_complex_numIfELi16ELi32ELi8ELb1ELb0ELc78ELc85EKPKS1_KPS1_EviT_T0_PT8_S7_lSA_S7_lS8_PT9_S7_li: ; @_ZL37rocblas_syrkx_herkx_restricted_kernelIi19rocblas_complex_numIfELi16ELi32ELi8ELb1ELb0ELc78ELc85EKPKS1_KPS1_EviT_T0_PT8_S7_lSA_S7_lS8_PT9_S7_li
; %bb.0:
	s_load_dwordx2 s[10:11], s[4:5], 0x48
	s_load_dwordx2 s[2:3], s[4:5], 0x0
	s_load_dwordx4 s[12:15], s[4:5], 0x8
	s_mov_b32 s9, 0
	s_lshl_b64 s[0:1], s[8:9], 3
	s_waitcnt lgkmcnt(0)
	s_add_u32 s10, s10, s0
	s_addc_u32 s11, s11, s1
	s_load_dwordx2 s[10:11], s[10:11], 0x0
	s_lshl_b32 s8, s6, 5
	s_lshl_b32 s16, s7, 5
	s_cmp_lt_i32 s3, 1
	s_cbranch_scc1 .LBB647_3
; %bb.1:
	s_load_dword s6, s[4:5], 0x18
	s_load_dword s18, s[4:5], 0x30
	s_load_dwordx2 s[20:21], s[4:5], 0x28
	v_lshl_add_u32 v2, v1, 4, v0
	v_lshrrev_b32_e32 v4, 3, v2
	s_waitcnt lgkmcnt(0)
	s_ashr_i32 s7, s6, 31
	s_ashr_i32 s19, s18, 31
	s_add_u32 s14, s14, s0
	s_addc_u32 s15, s15, s1
	s_add_u32 s0, s20, s0
	v_lshrrev_b32_e32 v6, 5, v2
	v_and_b32_e32 v7, 31, v2
	v_add_u32_e32 v2, s16, v4
	s_addc_u32 s1, s21, s1
	v_and_b32_e32 v5, 7, v0
	v_ashrrev_i32_e32 v3, 31, v2
	s_load_dwordx2 s[20:21], s[0:1], 0x0
	v_mad_i64_i32 v[2:3], s[0:1], s18, v5, v[2:3]
	v_lshlrev_b32_e32 v5, 3, v5
	v_lshl_or_b32 v4, v4, 6, v5
	v_add_u32_e32 v11, 0x800, v4
	v_add_u32_e32 v4, s8, v7
	v_ashrrev_i32_e32 v5, 31, v4
	v_mad_i64_i32 v[4:5], s[0:1], s6, v6, v[4:5]
	s_load_dwordx2 s[14:15], s[14:15], 0x0
	v_lshlrev_b32_e32 v8, 3, v7
	v_lshlrev_b64 v[4:5], 3, v[4:5]
	v_lshl_or_b32 v10, v6, 8, v8
	v_mov_b32_e32 v6, 0x800
	v_lshl_add_u32 v13, v1, 6, v6
	s_waitcnt lgkmcnt(0)
	v_mov_b32_e32 v7, s15
	v_add_co_u32_e32 v6, vcc, s14, v4
	v_lshlrev_b64 v[2:3], 3, v[2:3]
	v_addc_co_u32_e32 v7, vcc, v7, v5, vcc
	s_lshl_b64 s[0:1], s[6:7], 6
	v_mov_b32_e32 v4, s21
	v_add_co_u32_e32 v8, vcc, s20, v2
	s_lshl_b64 s[6:7], s[18:19], 6
	v_lshlrev_b32_e32 v12, 3, v0
	v_addc_co_u32_e32 v9, vcc, v4, v3, vcc
	v_mov_b32_e32 v16, 0
	v_mov_b32_e32 v14, s1
	;; [unrolled: 1-line block ×10, first 2 shown]
.LBB647_2:                              ; =>This Inner Loop Header: Depth=1
	flat_load_dwordx2 v[2:3], v[6:7]
	v_add_co_u32_e32 v6, vcc, s0, v6
	v_addc_co_u32_e32 v7, vcc, v7, v14, vcc
	s_add_i32 s9, s9, 8
	s_cmp_ge_i32 s9, s3
	s_waitcnt vmcnt(0) lgkmcnt(0)
	ds_write_b64 v10, v[2:3]
	flat_load_dwordx2 v[2:3], v[8:9]
	v_add_co_u32_e32 v8, vcc, s6, v8
	v_addc_co_u32_e32 v9, vcc, v9, v15, vcc
	s_waitcnt vmcnt(0) lgkmcnt(0)
	ds_write_b64 v11, v[2:3]
	s_waitcnt lgkmcnt(0)
	s_barrier
	ds_read_b128 v[24:27], v13
	ds_read_b128 v[28:31], v13 offset:16
	ds_read_b128 v[32:35], v13 offset:32
	;; [unrolled: 1-line block ×3, first 2 shown]
	ds_read2_b64 v[36:39], v12 offset1:16
	s_waitcnt lgkmcnt(0)
	v_mul_f32_e32 v40, v25, v37
	v_mul_f32_e32 v41, v24, v37
	v_fma_f32 v40, v24, v36, -v40
	v_fmac_f32_e32 v41, v25, v36
	v_add_f32_e32 v40, v22, v40
	v_add_f32_e32 v41, v23, v41
	v_mul_f32_e32 v22, v25, v39
	v_mul_f32_e32 v23, v24, v39
	v_fma_f32 v22, v24, v38, -v22
	v_fmac_f32_e32 v23, v25, v38
	v_add_f32_e32 v24, v20, v22
	v_add_f32_e32 v25, v21, v23
	ds_read_b128 v[20:23], v13 offset:1024
	s_waitcnt lgkmcnt(0)
	v_mul_f32_e32 v42, v21, v37
	v_mul_f32_e32 v37, v20, v37
	v_fma_f32 v42, v20, v36, -v42
	v_fmac_f32_e32 v37, v21, v36
	v_add_f32_e32 v36, v18, v42
	v_add_f32_e32 v37, v19, v37
	v_mul_f32_e32 v18, v21, v39
	v_mul_f32_e32 v19, v20, v39
	v_fma_f32 v18, v20, v38, -v18
	v_fmac_f32_e32 v19, v21, v38
	v_add_f32_e32 v20, v17, v18
	v_add_f32_e32 v21, v16, v19
	ds_read2_b64 v[16:19], v12 offset0:32 offset1:48
	s_waitcnt lgkmcnt(0)
	v_mul_f32_e32 v38, v27, v17
	v_fma_f32 v38, v26, v16, -v38
	v_add_f32_e32 v38, v40, v38
	v_mul_f32_e32 v40, v27, v19
	v_mul_f32_e32 v39, v26, v17
	v_fma_f32 v40, v26, v18, -v40
	v_mul_f32_e32 v26, v26, v19
	v_fmac_f32_e32 v26, v27, v18
	v_add_f32_e32 v25, v25, v26
	v_mul_f32_e32 v26, v23, v17
	v_mul_f32_e32 v17, v22, v17
	v_fmac_f32_e32 v17, v23, v16
	v_fmac_f32_e32 v39, v27, v16
	v_fma_f32 v26, v22, v16, -v26
	v_add_f32_e32 v27, v37, v17
	v_mul_f32_e32 v16, v23, v19
	v_mul_f32_e32 v17, v22, v19
	v_fma_f32 v16, v22, v18, -v16
	v_fmac_f32_e32 v17, v23, v18
	v_add_f32_e32 v26, v36, v26
	v_add_f32_e32 v36, v20, v16
	;; [unrolled: 1-line block ×3, first 2 shown]
	ds_read2_b64 v[16:19], v12 offset0:64 offset1:80
	v_add_f32_e32 v39, v41, v39
	v_add_f32_e32 v24, v24, v40
	s_waitcnt lgkmcnt(0)
	v_mul_f32_e32 v20, v29, v17
	v_mul_f32_e32 v21, v28, v17
	v_fma_f32 v20, v28, v16, -v20
	v_fmac_f32_e32 v21, v29, v16
	v_add_f32_e32 v38, v38, v20
	v_add_f32_e32 v39, v39, v21
	v_mul_f32_e32 v20, v29, v19
	v_mul_f32_e32 v21, v28, v19
	v_fma_f32 v20, v28, v18, -v20
	v_fmac_f32_e32 v21, v29, v18
	v_add_f32_e32 v24, v24, v20
	v_add_f32_e32 v25, v25, v21
	ds_read_b128 v[20:23], v13 offset:1040
	s_waitcnt lgkmcnt(0)
	v_mul_f32_e32 v28, v21, v17
	v_mul_f32_e32 v17, v20, v17
	v_fmac_f32_e32 v17, v21, v16
	v_fma_f32 v28, v20, v16, -v28
	v_add_f32_e32 v27, v27, v17
	v_mul_f32_e32 v16, v21, v19
	v_mul_f32_e32 v17, v20, v19
	v_fma_f32 v16, v20, v18, -v16
	v_fmac_f32_e32 v17, v21, v18
	v_add_f32_e32 v20, v36, v16
	v_add_f32_e32 v21, v37, v17
	ds_read2_b64 v[16:19], v12 offset0:96 offset1:112
	v_add_f32_e32 v26, v26, v28
	s_waitcnt lgkmcnt(0)
	v_mul_f32_e32 v28, v31, v17
	v_mul_f32_e32 v36, v31, v19
	v_fma_f32 v28, v30, v16, -v28
	v_mul_f32_e32 v29, v30, v17
	v_fma_f32 v36, v30, v18, -v36
	v_mul_f32_e32 v30, v30, v19
	v_fmac_f32_e32 v30, v31, v18
	v_add_f32_e32 v25, v25, v30
	v_mul_f32_e32 v30, v23, v17
	v_mul_f32_e32 v17, v22, v17
	v_fmac_f32_e32 v17, v23, v16
	v_fmac_f32_e32 v29, v31, v16
	v_fma_f32 v30, v22, v16, -v30
	v_add_f32_e32 v27, v27, v17
	v_mul_f32_e32 v16, v23, v19
	v_mul_f32_e32 v17, v22, v19
	v_fma_f32 v16, v22, v18, -v16
	v_fmac_f32_e32 v17, v23, v18
	v_add_f32_e32 v26, v26, v30
	v_add_f32_e32 v30, v20, v16
	;; [unrolled: 1-line block ×3, first 2 shown]
	ds_read2_b64 v[16:19], v12 offset0:128 offset1:144
	v_add_f32_e32 v28, v38, v28
	v_add_f32_e32 v29, v39, v29
	;; [unrolled: 1-line block ×3, first 2 shown]
	s_waitcnt lgkmcnt(0)
	v_mul_f32_e32 v20, v33, v17
	v_mul_f32_e32 v21, v32, v17
	v_fma_f32 v20, v32, v16, -v20
	v_fmac_f32_e32 v21, v33, v16
	v_add_f32_e32 v28, v28, v20
	v_add_f32_e32 v29, v29, v21
	v_mul_f32_e32 v20, v33, v19
	v_mul_f32_e32 v21, v32, v19
	v_fma_f32 v20, v32, v18, -v20
	v_fmac_f32_e32 v21, v33, v18
	v_add_f32_e32 v24, v24, v20
	v_add_f32_e32 v25, v25, v21
	ds_read_b128 v[20:23], v13 offset:1056
	s_waitcnt lgkmcnt(0)
	v_mul_f32_e32 v32, v21, v17
	v_mul_f32_e32 v17, v20, v17
	v_fmac_f32_e32 v17, v21, v16
	v_fma_f32 v32, v20, v16, -v32
	v_add_f32_e32 v27, v27, v17
	v_mul_f32_e32 v16, v21, v19
	v_mul_f32_e32 v17, v20, v19
	v_fma_f32 v16, v20, v18, -v16
	v_fmac_f32_e32 v17, v21, v18
	v_add_f32_e32 v20, v30, v16
	v_add_f32_e32 v21, v31, v17
	ds_read2_b64 v[16:19], v12 offset0:160 offset1:176
	v_add_f32_e32 v26, v26, v32
	s_waitcnt lgkmcnt(0)
	v_mul_f32_e32 v30, v35, v17
	v_fma_f32 v30, v34, v16, -v30
	v_add_f32_e32 v28, v28, v30
	v_mul_f32_e32 v30, v35, v19
	v_fma_f32 v30, v34, v18, -v30
	v_mul_f32_e32 v31, v34, v17
	v_add_f32_e32 v24, v24, v30
	v_mul_f32_e32 v30, v23, v17
	v_mul_f32_e32 v17, v22, v17
	v_fmac_f32_e32 v17, v23, v16
	v_fmac_f32_e32 v31, v35, v16
	v_fma_f32 v30, v22, v16, -v30
	v_add_f32_e32 v27, v27, v17
	v_mul_f32_e32 v16, v23, v19
	v_mul_f32_e32 v17, v22, v19
	v_add_f32_e32 v29, v29, v31
	v_mul_f32_e32 v31, v34, v19
	v_fma_f32 v16, v22, v18, -v16
	v_fmac_f32_e32 v17, v23, v18
	v_fmac_f32_e32 v31, v35, v18
	v_add_f32_e32 v20, v20, v16
	v_add_f32_e32 v21, v21, v17
	ds_read2_b64 v[16:19], v12 offset0:192 offset1:208
	v_add_f32_e32 v26, v26, v30
	v_add_f32_e32 v25, v25, v31
	s_waitcnt lgkmcnt(0)
	v_mul_f32_e32 v22, v3, v17
	v_fma_f32 v22, v2, v16, -v22
	v_add_f32_e32 v30, v28, v22
	v_mul_f32_e32 v22, v3, v19
	v_mul_f32_e32 v23, v2, v17
	v_fma_f32 v22, v2, v18, -v22
	v_mul_f32_e32 v2, v2, v19
	v_fmac_f32_e32 v23, v3, v16
	v_fmac_f32_e32 v2, v3, v18
	v_add_f32_e32 v31, v29, v23
	v_add_f32_e32 v3, v24, v22
	v_add_f32_e32 v2, v25, v2
	ds_read_b128 v[22:25], v13 offset:1072
	s_waitcnt lgkmcnt(0)
	v_mul_f32_e32 v28, v23, v17
	v_fma_f32 v28, v22, v16, -v28
	v_mul_f32_e32 v17, v22, v17
	v_fmac_f32_e32 v17, v23, v16
	v_add_f32_e32 v16, v26, v28
	v_mul_f32_e32 v26, v23, v19
	v_fma_f32 v26, v22, v18, -v26
	v_add_f32_e32 v17, v27, v17
	v_add_f32_e32 v32, v20, v26
	ds_read2_b64 v[26:29], v12 offset0:224 offset1:240
	v_mul_f32_e32 v19, v22, v19
	v_fmac_f32_e32 v19, v23, v18
	v_add_f32_e32 v33, v21, v19
	s_waitcnt lgkmcnt(0)
	v_mul_f32_e32 v18, v5, v27
	v_fma_f32 v18, v4, v26, -v18
	v_add_f32_e32 v22, v30, v18
	v_mul_f32_e32 v18, v5, v29
	v_mul_f32_e32 v19, v4, v27
	v_fma_f32 v18, v4, v28, -v18
	v_mul_f32_e32 v4, v4, v29
	v_fmac_f32_e32 v4, v5, v28
	v_add_f32_e32 v20, v3, v18
	v_add_f32_e32 v21, v2, v4
	v_mul_f32_e32 v2, v25, v27
	v_mul_f32_e32 v3, v24, v27
	v_fmac_f32_e32 v19, v5, v26
	v_fma_f32 v2, v24, v26, -v2
	v_fmac_f32_e32 v3, v25, v26
	v_add_f32_e32 v23, v31, v19
	v_add_f32_e32 v18, v16, v2
	;; [unrolled: 1-line block ×3, first 2 shown]
	v_mul_f32_e32 v2, v25, v29
	v_mul_f32_e32 v3, v24, v29
	v_fma_f32 v2, v24, v28, -v2
	v_fmac_f32_e32 v3, v25, v28
	v_add_f32_e32 v17, v32, v2
	v_add_f32_e32 v16, v33, v3
	s_barrier
	s_cbranch_scc0 .LBB647_2
	s_branch .LBB647_4
.LBB647_3:
	v_mov_b32_e32 v22, 0
	v_mov_b32_e32 v23, 0
	;; [unrolled: 1-line block ×8, first 2 shown]
.LBB647_4:
	s_load_dword s3, s[4:5], 0x50
	v_add_u32_e32 v4, s16, v1
	s_waitcnt lgkmcnt(0)
	v_mov_b32_e32 v3, s11
	v_add_u32_e32 v0, s8, v0
	v_cmp_gt_i32_e32 vcc, s2, v4
	v_mad_i64_i32 v[1:2], s[0:1], v4, s3, 0
	v_lshlrev_b64 v[1:2], 3, v[1:2]
	v_add_co_u32_e64 v5, s[0:1], s10, v1
	v_addc_co_u32_e64 v6, s[0:1], v3, v2, s[0:1]
	v_cmp_le_i32_e64 s[0:1], v0, v4
	s_and_b64 s[0:1], vcc, s[0:1]
	s_and_saveexec_b64 s[4:5], s[0:1]
	s_cbranch_execz .LBB647_6
; %bb.5:
	v_mul_f32_e32 v1, s13, v23
	v_fma_f32 v2, v22, s12, -v1
	v_ashrrev_i32_e32 v1, 31, v0
	v_lshlrev_b64 v[7:8], 3, v[0:1]
	v_mul_f32_e32 v3, s12, v23
	v_add_co_u32_e64 v7, s[0:1], v5, v7
	v_fmac_f32_e32 v3, s13, v22
	v_addc_co_u32_e64 v8, s[0:1], v6, v8, s[0:1]
	flat_store_dwordx2 v[7:8], v[2:3]
.LBB647_6:
	s_or_b64 exec, exec, s[4:5]
	v_add_u32_e32 v2, 16, v0
	v_cmp_le_i32_e64 s[0:1], v2, v4
	s_and_b64 s[4:5], vcc, s[0:1]
	s_and_saveexec_b64 s[0:1], s[4:5]
	s_cbranch_execz .LBB647_8
; %bb.7:
	v_ashrrev_i32_e32 v3, 31, v2
	v_lshlrev_b64 v[9:10], 3, v[2:3]
	v_mul_f32_e32 v1, s13, v21
	v_mul_f32_e32 v8, s12, v21
	v_add_co_u32_e32 v5, vcc, v5, v9
	v_fma_f32 v7, v20, s12, -v1
	v_fmac_f32_e32 v8, s13, v20
	v_addc_co_u32_e32 v6, vcc, v6, v10, vcc
	flat_store_dwordx2 v[5:6], v[7:8]
.LBB647_8:
	s_or_b64 exec, exec, s[0:1]
	v_add_u32_e32 v3, 16, v4
	v_mad_i64_i32 v[4:5], s[0:1], v3, s3, 0
	v_mov_b32_e32 v1, s11
	v_cmp_gt_i32_e32 vcc, s2, v3
	v_lshlrev_b64 v[4:5], 3, v[4:5]
	v_add_co_u32_e64 v4, s[0:1], s10, v4
	v_addc_co_u32_e64 v5, s[0:1], v1, v5, s[0:1]
	v_cmp_le_i32_e64 s[0:1], v0, v3
	s_and_b64 s[0:1], vcc, s[0:1]
	s_and_saveexec_b64 s[2:3], s[0:1]
	s_cbranch_execz .LBB647_10
; %bb.9:
	v_mul_f32_e32 v1, s13, v19
	v_fma_f32 v6, v18, s12, -v1
	v_ashrrev_i32_e32 v1, 31, v0
	v_lshlrev_b64 v[0:1], 3, v[0:1]
	v_mul_f32_e32 v7, s12, v19
	v_add_co_u32_e64 v0, s[0:1], v4, v0
	v_fmac_f32_e32 v7, s13, v18
	v_addc_co_u32_e64 v1, s[0:1], v5, v1, s[0:1]
	flat_store_dwordx2 v[0:1], v[6:7]
.LBB647_10:
	s_or_b64 exec, exec, s[2:3]
	v_cmp_le_i32_e64 s[0:1], v2, v3
	s_and_b64 s[0:1], vcc, s[0:1]
	s_and_saveexec_b64 s[2:3], s[0:1]
	s_cbranch_execz .LBB647_12
; %bb.11:
	v_ashrrev_i32_e32 v3, 31, v2
	v_lshlrev_b64 v[2:3], 3, v[2:3]
	v_mul_f32_e32 v0, s13, v16
	v_mul_f32_e32 v1, s12, v16
	v_add_co_u32_e32 v2, vcc, v4, v2
	v_fma_f32 v0, v17, s12, -v0
	v_fmac_f32_e32 v1, s13, v17
	v_addc_co_u32_e32 v3, vcc, v5, v3, vcc
	flat_store_dwordx2 v[2:3], v[0:1]
.LBB647_12:
	s_endpgm
	.section	.rodata,"a",@progbits
	.p2align	6, 0x0
	.amdhsa_kernel _ZL37rocblas_syrkx_herkx_restricted_kernelIi19rocblas_complex_numIfELi16ELi32ELi8ELb1ELb0ELc78ELc85EKPKS1_KPS1_EviT_T0_PT8_S7_lSA_S7_lS8_PT9_S7_li
		.amdhsa_group_segment_fixed_size 4096
		.amdhsa_private_segment_fixed_size 0
		.amdhsa_kernarg_size 100
		.amdhsa_user_sgpr_count 6
		.amdhsa_user_sgpr_private_segment_buffer 1
		.amdhsa_user_sgpr_dispatch_ptr 0
		.amdhsa_user_sgpr_queue_ptr 0
		.amdhsa_user_sgpr_kernarg_segment_ptr 1
		.amdhsa_user_sgpr_dispatch_id 0
		.amdhsa_user_sgpr_flat_scratch_init 0
		.amdhsa_user_sgpr_private_segment_size 0
		.amdhsa_uses_dynamic_stack 0
		.amdhsa_system_sgpr_private_segment_wavefront_offset 0
		.amdhsa_system_sgpr_workgroup_id_x 1
		.amdhsa_system_sgpr_workgroup_id_y 1
		.amdhsa_system_sgpr_workgroup_id_z 1
		.amdhsa_system_sgpr_workgroup_info 0
		.amdhsa_system_vgpr_workitem_id 1
		.amdhsa_next_free_vgpr 43
		.amdhsa_next_free_sgpr 22
		.amdhsa_reserve_vcc 1
		.amdhsa_reserve_flat_scratch 0
		.amdhsa_float_round_mode_32 0
		.amdhsa_float_round_mode_16_64 0
		.amdhsa_float_denorm_mode_32 3
		.amdhsa_float_denorm_mode_16_64 3
		.amdhsa_dx10_clamp 1
		.amdhsa_ieee_mode 1
		.amdhsa_fp16_overflow 0
		.amdhsa_exception_fp_ieee_invalid_op 0
		.amdhsa_exception_fp_denorm_src 0
		.amdhsa_exception_fp_ieee_div_zero 0
		.amdhsa_exception_fp_ieee_overflow 0
		.amdhsa_exception_fp_ieee_underflow 0
		.amdhsa_exception_fp_ieee_inexact 0
		.amdhsa_exception_int_div_zero 0
	.end_amdhsa_kernel
	.section	.text._ZL37rocblas_syrkx_herkx_restricted_kernelIi19rocblas_complex_numIfELi16ELi32ELi8ELb1ELb0ELc78ELc85EKPKS1_KPS1_EviT_T0_PT8_S7_lSA_S7_lS8_PT9_S7_li,"axG",@progbits,_ZL37rocblas_syrkx_herkx_restricted_kernelIi19rocblas_complex_numIfELi16ELi32ELi8ELb1ELb0ELc78ELc85EKPKS1_KPS1_EviT_T0_PT8_S7_lSA_S7_lS8_PT9_S7_li,comdat
.Lfunc_end647:
	.size	_ZL37rocblas_syrkx_herkx_restricted_kernelIi19rocblas_complex_numIfELi16ELi32ELi8ELb1ELb0ELc78ELc85EKPKS1_KPS1_EviT_T0_PT8_S7_lSA_S7_lS8_PT9_S7_li, .Lfunc_end647-_ZL37rocblas_syrkx_herkx_restricted_kernelIi19rocblas_complex_numIfELi16ELi32ELi8ELb1ELb0ELc78ELc85EKPKS1_KPS1_EviT_T0_PT8_S7_lSA_S7_lS8_PT9_S7_li
                                        ; -- End function
	.set _ZL37rocblas_syrkx_herkx_restricted_kernelIi19rocblas_complex_numIfELi16ELi32ELi8ELb1ELb0ELc78ELc85EKPKS1_KPS1_EviT_T0_PT8_S7_lSA_S7_lS8_PT9_S7_li.num_vgpr, 43
	.set _ZL37rocblas_syrkx_herkx_restricted_kernelIi19rocblas_complex_numIfELi16ELi32ELi8ELb1ELb0ELc78ELc85EKPKS1_KPS1_EviT_T0_PT8_S7_lSA_S7_lS8_PT9_S7_li.num_agpr, 0
	.set _ZL37rocblas_syrkx_herkx_restricted_kernelIi19rocblas_complex_numIfELi16ELi32ELi8ELb1ELb0ELc78ELc85EKPKS1_KPS1_EviT_T0_PT8_S7_lSA_S7_lS8_PT9_S7_li.numbered_sgpr, 22
	.set _ZL37rocblas_syrkx_herkx_restricted_kernelIi19rocblas_complex_numIfELi16ELi32ELi8ELb1ELb0ELc78ELc85EKPKS1_KPS1_EviT_T0_PT8_S7_lSA_S7_lS8_PT9_S7_li.num_named_barrier, 0
	.set _ZL37rocblas_syrkx_herkx_restricted_kernelIi19rocblas_complex_numIfELi16ELi32ELi8ELb1ELb0ELc78ELc85EKPKS1_KPS1_EviT_T0_PT8_S7_lSA_S7_lS8_PT9_S7_li.private_seg_size, 0
	.set _ZL37rocblas_syrkx_herkx_restricted_kernelIi19rocblas_complex_numIfELi16ELi32ELi8ELb1ELb0ELc78ELc85EKPKS1_KPS1_EviT_T0_PT8_S7_lSA_S7_lS8_PT9_S7_li.uses_vcc, 1
	.set _ZL37rocblas_syrkx_herkx_restricted_kernelIi19rocblas_complex_numIfELi16ELi32ELi8ELb1ELb0ELc78ELc85EKPKS1_KPS1_EviT_T0_PT8_S7_lSA_S7_lS8_PT9_S7_li.uses_flat_scratch, 0
	.set _ZL37rocblas_syrkx_herkx_restricted_kernelIi19rocblas_complex_numIfELi16ELi32ELi8ELb1ELb0ELc78ELc85EKPKS1_KPS1_EviT_T0_PT8_S7_lSA_S7_lS8_PT9_S7_li.has_dyn_sized_stack, 0
	.set _ZL37rocblas_syrkx_herkx_restricted_kernelIi19rocblas_complex_numIfELi16ELi32ELi8ELb1ELb0ELc78ELc85EKPKS1_KPS1_EviT_T0_PT8_S7_lSA_S7_lS8_PT9_S7_li.has_recursion, 0
	.set _ZL37rocblas_syrkx_herkx_restricted_kernelIi19rocblas_complex_numIfELi16ELi32ELi8ELb1ELb0ELc78ELc85EKPKS1_KPS1_EviT_T0_PT8_S7_lSA_S7_lS8_PT9_S7_li.has_indirect_call, 0
	.section	.AMDGPU.csdata,"",@progbits
; Kernel info:
; codeLenInByte = 1936
; TotalNumSgprs: 26
; NumVgprs: 43
; ScratchSize: 0
; MemoryBound: 0
; FloatMode: 240
; IeeeMode: 1
; LDSByteSize: 4096 bytes/workgroup (compile time only)
; SGPRBlocks: 3
; VGPRBlocks: 10
; NumSGPRsForWavesPerEU: 26
; NumVGPRsForWavesPerEU: 43
; Occupancy: 5
; WaveLimiterHint : 1
; COMPUTE_PGM_RSRC2:SCRATCH_EN: 0
; COMPUTE_PGM_RSRC2:USER_SGPR: 6
; COMPUTE_PGM_RSRC2:TRAP_HANDLER: 0
; COMPUTE_PGM_RSRC2:TGID_X_EN: 1
; COMPUTE_PGM_RSRC2:TGID_Y_EN: 1
; COMPUTE_PGM_RSRC2:TGID_Z_EN: 1
; COMPUTE_PGM_RSRC2:TIDIG_COMP_CNT: 1
	.section	.text._ZL37rocblas_syrkx_herkx_restricted_kernelIi19rocblas_complex_numIfELi16ELi32ELi8ELb0ELb0ELc84ELc76EKPKS1_KPS1_EviT_T0_PT8_S7_lSA_S7_lS8_PT9_S7_li,"axG",@progbits,_ZL37rocblas_syrkx_herkx_restricted_kernelIi19rocblas_complex_numIfELi16ELi32ELi8ELb0ELb0ELc84ELc76EKPKS1_KPS1_EviT_T0_PT8_S7_lSA_S7_lS8_PT9_S7_li,comdat
	.globl	_ZL37rocblas_syrkx_herkx_restricted_kernelIi19rocblas_complex_numIfELi16ELi32ELi8ELb0ELb0ELc84ELc76EKPKS1_KPS1_EviT_T0_PT8_S7_lSA_S7_lS8_PT9_S7_li ; -- Begin function _ZL37rocblas_syrkx_herkx_restricted_kernelIi19rocblas_complex_numIfELi16ELi32ELi8ELb0ELb0ELc84ELc76EKPKS1_KPS1_EviT_T0_PT8_S7_lSA_S7_lS8_PT9_S7_li
	.p2align	8
	.type	_ZL37rocblas_syrkx_herkx_restricted_kernelIi19rocblas_complex_numIfELi16ELi32ELi8ELb0ELb0ELc84ELc76EKPKS1_KPS1_EviT_T0_PT8_S7_lSA_S7_lS8_PT9_S7_li,@function
_ZL37rocblas_syrkx_herkx_restricted_kernelIi19rocblas_complex_numIfELi16ELi32ELi8ELb0ELb0ELc84ELc76EKPKS1_KPS1_EviT_T0_PT8_S7_lSA_S7_lS8_PT9_S7_li: ; @_ZL37rocblas_syrkx_herkx_restricted_kernelIi19rocblas_complex_numIfELi16ELi32ELi8ELb0ELb0ELc84ELc76EKPKS1_KPS1_EviT_T0_PT8_S7_lSA_S7_lS8_PT9_S7_li
; %bb.0:
	s_load_dwordx4 s[12:15], s[4:5], 0x40
	s_load_dwordx2 s[20:21], s[4:5], 0x0
	s_load_dwordx4 s[16:19], s[4:5], 0x8
	s_mov_b32 s9, 0
	s_lshl_b64 s[0:1], s[8:9], 3
	s_waitcnt lgkmcnt(0)
	s_add_u32 s2, s14, s0
	s_addc_u32 s3, s15, s1
	s_load_dwordx2 s[10:11], s[2:3], 0x0
	s_lshl_b32 s2, s6, 5
	s_lshl_b32 s3, s7, 5
	s_cmp_lt_i32 s21, 1
	s_cbranch_scc1 .LBB648_3
; %bb.1:
	s_load_dword s8, s[4:5], 0x18
	s_load_dwordx2 s[6:7], s[4:5], 0x28
	s_load_dword s22, s[4:5], 0x30
	v_lshl_add_u32 v3, v1, 4, v0
	v_and_b32_e32 v7, 31, v3
	s_add_u32 s14, s18, s0
	v_lshrrev_b32_e32 v2, 5, v3
	v_and_b32_e32 v9, 7, v0
	v_lshlrev_b32_e32 v8, 3, v7
	s_addc_u32 s15, s19, s1
	v_lshrrev_b32_e32 v6, 3, v3
	v_lshl_or_b32 v11, v2, 8, v8
	v_lshlrev_b32_e32 v8, 3, v9
	s_waitcnt lgkmcnt(0)
	s_add_u32 s0, s6, s0
	v_add_u32_e32 v3, s3, v6
	v_mov_b32_e32 v10, 0
	v_lshl_or_b32 v6, v6, 6, v8
	s_addc_u32 s1, s7, s1
	v_mad_i64_i32 v[4:5], s[6:7], s22, v3, v[9:10]
	v_mov_b32_e32 v3, v10
	v_add_u32_e32 v12, 0x800, v6
	v_add_u32_e32 v6, s2, v7
	v_mad_i64_i32 v[2:3], s[6:7], s8, v6, v[2:3]
	s_load_dwordx2 s[14:15], s[14:15], 0x0
	v_mov_b32_e32 v6, 0x800
	s_load_dwordx2 s[0:1], s[0:1], 0x0
	v_lshlrev_b64 v[2:3], 3, v[2:3]
	v_lshl_add_u32 v14, v1, 6, v6
	s_waitcnt lgkmcnt(0)
	v_mov_b32_e32 v7, s15
	v_add_co_u32_e32 v6, vcc, s14, v2
	v_addc_co_u32_e32 v7, vcc, v7, v3, vcc
	v_lshlrev_b64 v[2:3], 3, v[4:5]
	v_mov_b32_e32 v4, s1
	v_add_co_u32_e32 v8, vcc, s0, v2
	v_lshlrev_b32_e32 v13, 3, v0
	v_addc_co_u32_e32 v9, vcc, v4, v3, vcc
	v_mov_b32_e32 v15, v10
	v_mov_b32_e32 v17, v10
	;; [unrolled: 1-line block ×7, first 2 shown]
.LBB648_2:                              ; =>This Inner Loop Header: Depth=1
	flat_load_dwordx2 v[2:3], v[6:7]
	v_add_co_u32_e32 v6, vcc, 64, v6
	v_addc_co_u32_e32 v7, vcc, 0, v7, vcc
	s_add_i32 s9, s9, 8
	s_cmp_ge_i32 s9, s21
	s_waitcnt vmcnt(0) lgkmcnt(0)
	ds_write_b64 v11, v[2:3]
	flat_load_dwordx2 v[2:3], v[8:9]
	v_add_co_u32_e32 v8, vcc, 64, v8
	v_addc_co_u32_e32 v9, vcc, 0, v9, vcc
	s_waitcnt vmcnt(0) lgkmcnt(0)
	ds_write_b64 v12, v[2:3]
	s_waitcnt lgkmcnt(0)
	s_barrier
	ds_read_b128 v[22:25], v14
	ds_read_b128 v[26:29], v14 offset:16
	ds_read_b128 v[30:33], v14 offset:32
	;; [unrolled: 1-line block ×3, first 2 shown]
	ds_read2_b64 v[34:37], v13 offset1:16
	s_waitcnt lgkmcnt(0)
	v_mul_f32_e32 v38, v23, v35
	v_mul_f32_e32 v39, v22, v35
	v_fma_f32 v38, v22, v34, -v38
	v_fmac_f32_e32 v39, v23, v34
	v_add_f32_e32 v38, v20, v38
	v_add_f32_e32 v39, v21, v39
	v_mul_f32_e32 v20, v23, v37
	v_mul_f32_e32 v21, v22, v37
	v_fma_f32 v20, v22, v36, -v20
	v_fmac_f32_e32 v21, v23, v36
	v_add_f32_e32 v22, v18, v20
	v_add_f32_e32 v23, v19, v21
	ds_read_b128 v[18:21], v14 offset:1024
	s_waitcnt lgkmcnt(0)
	v_mul_f32_e32 v40, v19, v35
	v_mul_f32_e32 v35, v18, v35
	v_fma_f32 v40, v18, v34, -v40
	v_fmac_f32_e32 v35, v19, v34
	v_add_f32_e32 v34, v16, v40
	v_add_f32_e32 v35, v17, v35
	v_mul_f32_e32 v16, v19, v37
	v_mul_f32_e32 v17, v18, v37
	v_fma_f32 v16, v18, v36, -v16
	v_fmac_f32_e32 v17, v19, v36
	v_add_f32_e32 v19, v15, v16
	v_add_f32_e32 v10, v10, v17
	ds_read2_b64 v[15:18], v13 offset0:32 offset1:48
	s_waitcnt lgkmcnt(0)
	v_mul_f32_e32 v36, v25, v16
	v_fma_f32 v36, v24, v15, -v36
	v_add_f32_e32 v36, v38, v36
	v_mul_f32_e32 v38, v25, v18
	v_mul_f32_e32 v37, v24, v16
	v_fma_f32 v38, v24, v17, -v38
	v_mul_f32_e32 v24, v24, v18
	v_fmac_f32_e32 v24, v25, v17
	v_add_f32_e32 v23, v23, v24
	v_mul_f32_e32 v24, v21, v16
	v_mul_f32_e32 v16, v20, v16
	v_fmac_f32_e32 v16, v21, v15
	v_fmac_f32_e32 v37, v25, v15
	v_fma_f32 v24, v20, v15, -v24
	v_add_f32_e32 v25, v35, v16
	v_mul_f32_e32 v15, v21, v18
	v_mul_f32_e32 v16, v20, v18
	v_fma_f32 v15, v20, v17, -v15
	v_fmac_f32_e32 v16, v21, v17
	v_add_f32_e32 v24, v34, v24
	v_add_f32_e32 v34, v19, v15
	v_add_f32_e32 v10, v10, v16
	ds_read2_b64 v[15:18], v13 offset0:64 offset1:80
	v_add_f32_e32 v37, v39, v37
	v_add_f32_e32 v22, v22, v38
	s_waitcnt lgkmcnt(0)
	v_mul_f32_e32 v19, v27, v16
	v_mul_f32_e32 v20, v26, v16
	v_fma_f32 v19, v26, v15, -v19
	v_fmac_f32_e32 v20, v27, v15
	v_add_f32_e32 v35, v36, v19
	v_add_f32_e32 v36, v37, v20
	v_mul_f32_e32 v19, v27, v18
	v_mul_f32_e32 v20, v26, v18
	v_fma_f32 v19, v26, v17, -v19
	v_fmac_f32_e32 v20, v27, v17
	v_add_f32_e32 v26, v22, v19
	v_add_f32_e32 v23, v23, v20
	ds_read_b128 v[19:22], v14 offset:1040
	s_waitcnt lgkmcnt(0)
	v_mul_f32_e32 v27, v20, v16
	v_mul_f32_e32 v16, v19, v16
	v_fmac_f32_e32 v16, v20, v15
	v_fma_f32 v27, v19, v15, -v27
	v_add_f32_e32 v25, v25, v16
	v_mul_f32_e32 v15, v20, v18
	v_mul_f32_e32 v16, v19, v18
	v_fma_f32 v15, v19, v17, -v15
	v_fmac_f32_e32 v16, v20, v17
	v_add_f32_e32 v19, v34, v15
	v_add_f32_e32 v10, v10, v16
	ds_read2_b64 v[15:18], v13 offset0:96 offset1:112
	v_add_f32_e32 v24, v24, v27
	s_waitcnt lgkmcnt(0)
	v_mul_f32_e32 v20, v29, v16
	v_mul_f32_e32 v34, v29, v18
	v_fma_f32 v20, v28, v15, -v20
	v_mul_f32_e32 v27, v28, v16
	v_fma_f32 v34, v28, v17, -v34
	v_mul_f32_e32 v28, v28, v18
	v_fmac_f32_e32 v28, v29, v17
	v_add_f32_e32 v23, v23, v28
	v_mul_f32_e32 v28, v22, v16
	v_mul_f32_e32 v16, v21, v16
	v_fmac_f32_e32 v16, v22, v15
	v_fmac_f32_e32 v27, v29, v15
	v_fma_f32 v28, v21, v15, -v28
	v_add_f32_e32 v25, v25, v16
	v_mul_f32_e32 v15, v22, v18
	v_mul_f32_e32 v16, v21, v18
	v_fma_f32 v15, v21, v17, -v15
	v_fmac_f32_e32 v16, v22, v17
	v_add_f32_e32 v24, v24, v28
	v_add_f32_e32 v28, v19, v15
	;; [unrolled: 1-line block ×3, first 2 shown]
	ds_read2_b64 v[15:18], v13 offset0:128 offset1:144
	v_add_f32_e32 v20, v35, v20
	v_add_f32_e32 v27, v36, v27
	;; [unrolled: 1-line block ×3, first 2 shown]
	s_waitcnt lgkmcnt(0)
	v_mul_f32_e32 v19, v31, v16
	v_fma_f32 v19, v30, v15, -v19
	v_mul_f32_e32 v21, v30, v16
	v_add_f32_e32 v29, v20, v19
	v_mul_f32_e32 v19, v31, v18
	v_mul_f32_e32 v20, v30, v18
	v_fmac_f32_e32 v21, v31, v15
	v_fma_f32 v19, v30, v17, -v19
	v_fmac_f32_e32 v20, v31, v17
	v_add_f32_e32 v27, v27, v21
	v_add_f32_e32 v26, v26, v19
	;; [unrolled: 1-line block ×3, first 2 shown]
	ds_read_b128 v[19:22], v14 offset:1056
	s_waitcnt lgkmcnt(0)
	v_mul_f32_e32 v30, v20, v16
	v_mul_f32_e32 v16, v19, v16
	v_fmac_f32_e32 v16, v20, v15
	v_fma_f32 v30, v19, v15, -v30
	v_add_f32_e32 v25, v25, v16
	v_mul_f32_e32 v15, v20, v18
	v_mul_f32_e32 v16, v19, v18
	v_fma_f32 v15, v19, v17, -v15
	v_fmac_f32_e32 v16, v20, v17
	v_add_f32_e32 v19, v28, v15
	v_add_f32_e32 v10, v10, v16
	ds_read2_b64 v[15:18], v13 offset0:160 offset1:176
	v_add_f32_e32 v24, v24, v30
	s_waitcnt lgkmcnt(0)
	v_mul_f32_e32 v28, v32, v16
	v_fmac_f32_e32 v28, v33, v15
	v_add_f32_e32 v27, v27, v28
	v_mul_f32_e32 v28, v33, v18
	v_fma_f32 v28, v32, v17, -v28
	v_mul_f32_e32 v20, v33, v16
	v_add_f32_e32 v26, v26, v28
	v_mul_f32_e32 v28, v22, v16
	v_mul_f32_e32 v16, v21, v16
	v_fmac_f32_e32 v16, v22, v15
	v_fma_f32 v20, v32, v15, -v20
	v_fma_f32 v28, v21, v15, -v28
	v_add_f32_e32 v25, v25, v16
	v_mul_f32_e32 v15, v22, v18
	v_mul_f32_e32 v16, v21, v18
	v_add_f32_e32 v20, v29, v20
	v_mul_f32_e32 v29, v32, v18
	v_fma_f32 v15, v21, v17, -v15
	v_fmac_f32_e32 v16, v22, v17
	v_fmac_f32_e32 v29, v33, v17
	v_add_f32_e32 v19, v19, v15
	v_add_f32_e32 v10, v10, v16
	ds_read2_b64 v[15:18], v13 offset0:192 offset1:208
	v_add_f32_e32 v24, v24, v28
	v_add_f32_e32 v23, v23, v29
	s_waitcnt lgkmcnt(0)
	v_mul_f32_e32 v21, v3, v16
	v_fma_f32 v21, v2, v15, -v21
	v_add_f32_e32 v28, v20, v21
	v_mul_f32_e32 v20, v3, v18
	v_mul_f32_e32 v22, v2, v16
	v_fma_f32 v20, v2, v17, -v20
	v_mul_f32_e32 v2, v2, v18
	v_fmac_f32_e32 v22, v3, v15
	v_fmac_f32_e32 v2, v3, v17
	v_add_f32_e32 v29, v27, v22
	v_add_f32_e32 v3, v26, v20
	;; [unrolled: 1-line block ×3, first 2 shown]
	ds_read_b128 v[20:23], v14 offset:1072
	s_waitcnt lgkmcnt(0)
	v_mul_f32_e32 v26, v21, v16
	v_mul_f32_e32 v16, v20, v16
	v_fma_f32 v26, v20, v15, -v26
	v_fmac_f32_e32 v16, v21, v15
	v_add_f32_e32 v15, v24, v26
	v_add_f32_e32 v30, v25, v16
	ds_read2_b64 v[24:27], v13 offset0:224 offset1:240
	v_mul_f32_e32 v16, v21, v18
	v_fma_f32 v16, v20, v17, -v16
	v_add_f32_e32 v31, v19, v16
	v_mul_f32_e32 v18, v20, v18
	s_waitcnt lgkmcnt(0)
	v_mul_f32_e32 v16, v5, v25
	v_fma_f32 v16, v4, v24, -v16
	v_add_f32_e32 v20, v28, v16
	v_mul_f32_e32 v16, v5, v27
	v_fmac_f32_e32 v18, v21, v17
	v_mul_f32_e32 v17, v4, v25
	v_fma_f32 v16, v4, v26, -v16
	v_mul_f32_e32 v4, v4, v27
	v_fmac_f32_e32 v4, v5, v26
	v_add_f32_e32 v10, v10, v18
	v_add_f32_e32 v18, v3, v16
	;; [unrolled: 1-line block ×3, first 2 shown]
	v_mul_f32_e32 v2, v23, v25
	v_mul_f32_e32 v3, v22, v25
	v_fmac_f32_e32 v17, v5, v24
	v_fma_f32 v2, v22, v24, -v2
	v_fmac_f32_e32 v3, v23, v24
	v_add_f32_e32 v21, v29, v17
	v_add_f32_e32 v16, v15, v2
	;; [unrolled: 1-line block ×3, first 2 shown]
	v_mul_f32_e32 v2, v23, v27
	v_mul_f32_e32 v3, v22, v27
	v_fma_f32 v2, v22, v26, -v2
	v_fmac_f32_e32 v3, v23, v26
	v_add_f32_e32 v15, v31, v2
	v_add_f32_e32 v10, v10, v3
	s_barrier
	s_cbranch_scc0 .LBB648_2
	s_branch .LBB648_4
.LBB648_3:
	v_mov_b32_e32 v20, 0
	v_mov_b32_e32 v21, 0
	;; [unrolled: 1-line block ×8, first 2 shown]
.LBB648_4:
	s_load_dword s6, s[4:5], 0x50
	v_add_u32_e32 v4, s3, v1
	s_waitcnt lgkmcnt(0)
	v_mov_b32_e32 v3, s11
	v_add_u32_e32 v0, s2, v0
	v_mad_i64_i32 v[1:2], s[0:1], v4, s6, 0
	v_cmp_le_i32_e64 s[0:1], v4, v0
	v_lshlrev_b64 v[1:2], 3, v[1:2]
	v_add_co_u32_e32 v5, vcc, s10, v1
	v_addc_co_u32_e32 v6, vcc, v3, v2, vcc
	v_cmp_gt_i32_e32 vcc, s20, v0
	s_and_b64 s[0:1], s[0:1], vcc
	s_and_saveexec_b64 s[2:3], s[0:1]
	s_cbranch_execz .LBB648_6
; %bb.5:
	v_ashrrev_i32_e32 v1, 31, v0
	v_lshlrev_b64 v[1:2], 3, v[0:1]
	v_mul_f32_e32 v3, s17, v21
	v_add_co_u32_e64 v1, s[0:1], v5, v1
	v_addc_co_u32_e64 v2, s[0:1], v6, v2, s[0:1]
	flat_load_dwordx2 v[7:8], v[1:2]
	v_mul_f32_e32 v9, s16, v21
	v_fma_f32 v3, v20, s16, -v3
	v_fmac_f32_e32 v9, s17, v20
	s_waitcnt vmcnt(0) lgkmcnt(0)
	v_mul_f32_e32 v11, s13, v8
	v_mul_f32_e32 v8, s12, v8
	v_fma_f32 v11, v7, s12, -v11
	v_fmac_f32_e32 v8, s13, v7
	v_add_f32_e32 v7, v3, v11
	v_add_f32_e32 v8, v9, v8
	flat_store_dwordx2 v[1:2], v[7:8]
.LBB648_6:
	s_or_b64 exec, exec, s[2:3]
	v_add_u32_e32 v2, 16, v0
	v_cmp_le_i32_e64 s[2:3], v4, v2
	v_cmp_gt_i32_e64 s[0:1], s20, v2
	s_and_b64 s[2:3], s[2:3], s[0:1]
	s_and_saveexec_b64 s[4:5], s[2:3]
	s_cbranch_execz .LBB648_8
; %bb.7:
	v_ashrrev_i32_e32 v3, 31, v2
	v_lshlrev_b64 v[7:8], 3, v[2:3]
	v_mul_f32_e32 v1, s17, v19
	v_add_co_u32_e64 v5, s[2:3], v5, v7
	v_addc_co_u32_e64 v6, s[2:3], v6, v8, s[2:3]
	flat_load_dwordx2 v[7:8], v[5:6]
	v_mul_f32_e32 v3, s16, v19
	v_fma_f32 v1, v18, s16, -v1
	v_fmac_f32_e32 v3, s17, v18
	s_waitcnt vmcnt(0) lgkmcnt(0)
	v_mul_f32_e32 v9, s13, v8
	v_mul_f32_e32 v8, s12, v8
	v_fma_f32 v9, v7, s12, -v9
	v_fmac_f32_e32 v8, s13, v7
	v_add_f32_e32 v7, v1, v9
	v_add_f32_e32 v8, v3, v8
	flat_store_dwordx2 v[5:6], v[7:8]
.LBB648_8:
	s_or_b64 exec, exec, s[4:5]
	v_add_u32_e32 v3, 16, v4
	v_mad_i64_i32 v[4:5], s[2:3], v3, s6, 0
	v_mov_b32_e32 v1, s11
	v_lshlrev_b64 v[4:5], 3, v[4:5]
	v_add_co_u32_e64 v4, s[2:3], s10, v4
	v_addc_co_u32_e64 v5, s[2:3], v1, v5, s[2:3]
	v_cmp_le_i32_e64 s[2:3], v3, v0
	s_and_b64 s[4:5], s[2:3], vcc
	s_and_saveexec_b64 s[2:3], s[4:5]
	s_cbranch_execz .LBB648_10
; %bb.9:
	v_ashrrev_i32_e32 v1, 31, v0
	v_lshlrev_b64 v[0:1], 3, v[0:1]
	v_mul_f32_e32 v8, s17, v17
	v_add_co_u32_e32 v0, vcc, v4, v0
	v_addc_co_u32_e32 v1, vcc, v5, v1, vcc
	flat_load_dwordx2 v[6:7], v[0:1]
	v_mul_f32_e32 v9, s16, v17
	v_fma_f32 v8, v16, s16, -v8
	v_fmac_f32_e32 v9, s17, v16
	s_waitcnt vmcnt(0) lgkmcnt(0)
	v_mul_f32_e32 v11, s13, v7
	v_mul_f32_e32 v7, s12, v7
	v_fma_f32 v11, v6, s12, -v11
	v_fmac_f32_e32 v7, s13, v6
	v_add_f32_e32 v6, v8, v11
	v_add_f32_e32 v7, v9, v7
	flat_store_dwordx2 v[0:1], v[6:7]
.LBB648_10:
	s_or_b64 exec, exec, s[2:3]
	v_cmp_le_i32_e32 vcc, v3, v2
	s_and_b64 s[0:1], vcc, s[0:1]
	s_and_saveexec_b64 s[2:3], s[0:1]
	s_cbranch_execz .LBB648_12
; %bb.11:
	v_ashrrev_i32_e32 v3, 31, v2
	v_lshlrev_b64 v[0:1], 3, v[2:3]
	v_add_co_u32_e32 v0, vcc, v4, v0
	v_addc_co_u32_e32 v1, vcc, v5, v1, vcc
	flat_load_dwordx2 v[2:3], v[0:1]
	v_mul_f32_e32 v4, s17, v10
	v_mul_f32_e32 v5, s16, v10
	v_fma_f32 v4, v15, s16, -v4
	v_fmac_f32_e32 v5, s17, v15
	s_waitcnt vmcnt(0) lgkmcnt(0)
	v_mul_f32_e32 v6, s13, v3
	v_mul_f32_e32 v3, s12, v3
	v_fma_f32 v6, v2, s12, -v6
	v_fmac_f32_e32 v3, s13, v2
	v_add_f32_e32 v2, v4, v6
	v_add_f32_e32 v3, v5, v3
	flat_store_dwordx2 v[0:1], v[2:3]
.LBB648_12:
	s_endpgm
	.section	.rodata,"a",@progbits
	.p2align	6, 0x0
	.amdhsa_kernel _ZL37rocblas_syrkx_herkx_restricted_kernelIi19rocblas_complex_numIfELi16ELi32ELi8ELb0ELb0ELc84ELc76EKPKS1_KPS1_EviT_T0_PT8_S7_lSA_S7_lS8_PT9_S7_li
		.amdhsa_group_segment_fixed_size 4096
		.amdhsa_private_segment_fixed_size 0
		.amdhsa_kernarg_size 100
		.amdhsa_user_sgpr_count 6
		.amdhsa_user_sgpr_private_segment_buffer 1
		.amdhsa_user_sgpr_dispatch_ptr 0
		.amdhsa_user_sgpr_queue_ptr 0
		.amdhsa_user_sgpr_kernarg_segment_ptr 1
		.amdhsa_user_sgpr_dispatch_id 0
		.amdhsa_user_sgpr_flat_scratch_init 0
		.amdhsa_user_sgpr_private_segment_size 0
		.amdhsa_uses_dynamic_stack 0
		.amdhsa_system_sgpr_private_segment_wavefront_offset 0
		.amdhsa_system_sgpr_workgroup_id_x 1
		.amdhsa_system_sgpr_workgroup_id_y 1
		.amdhsa_system_sgpr_workgroup_id_z 1
		.amdhsa_system_sgpr_workgroup_info 0
		.amdhsa_system_vgpr_workitem_id 1
		.amdhsa_next_free_vgpr 41
		.amdhsa_next_free_sgpr 23
		.amdhsa_reserve_vcc 1
		.amdhsa_reserve_flat_scratch 0
		.amdhsa_float_round_mode_32 0
		.amdhsa_float_round_mode_16_64 0
		.amdhsa_float_denorm_mode_32 3
		.amdhsa_float_denorm_mode_16_64 3
		.amdhsa_dx10_clamp 1
		.amdhsa_ieee_mode 1
		.amdhsa_fp16_overflow 0
		.amdhsa_exception_fp_ieee_invalid_op 0
		.amdhsa_exception_fp_denorm_src 0
		.amdhsa_exception_fp_ieee_div_zero 0
		.amdhsa_exception_fp_ieee_overflow 0
		.amdhsa_exception_fp_ieee_underflow 0
		.amdhsa_exception_fp_ieee_inexact 0
		.amdhsa_exception_int_div_zero 0
	.end_amdhsa_kernel
	.section	.text._ZL37rocblas_syrkx_herkx_restricted_kernelIi19rocblas_complex_numIfELi16ELi32ELi8ELb0ELb0ELc84ELc76EKPKS1_KPS1_EviT_T0_PT8_S7_lSA_S7_lS8_PT9_S7_li,"axG",@progbits,_ZL37rocblas_syrkx_herkx_restricted_kernelIi19rocblas_complex_numIfELi16ELi32ELi8ELb0ELb0ELc84ELc76EKPKS1_KPS1_EviT_T0_PT8_S7_lSA_S7_lS8_PT9_S7_li,comdat
.Lfunc_end648:
	.size	_ZL37rocblas_syrkx_herkx_restricted_kernelIi19rocblas_complex_numIfELi16ELi32ELi8ELb0ELb0ELc84ELc76EKPKS1_KPS1_EviT_T0_PT8_S7_lSA_S7_lS8_PT9_S7_li, .Lfunc_end648-_ZL37rocblas_syrkx_herkx_restricted_kernelIi19rocblas_complex_numIfELi16ELi32ELi8ELb0ELb0ELc84ELc76EKPKS1_KPS1_EviT_T0_PT8_S7_lSA_S7_lS8_PT9_S7_li
                                        ; -- End function
	.set _ZL37rocblas_syrkx_herkx_restricted_kernelIi19rocblas_complex_numIfELi16ELi32ELi8ELb0ELb0ELc84ELc76EKPKS1_KPS1_EviT_T0_PT8_S7_lSA_S7_lS8_PT9_S7_li.num_vgpr, 41
	.set _ZL37rocblas_syrkx_herkx_restricted_kernelIi19rocblas_complex_numIfELi16ELi32ELi8ELb0ELb0ELc84ELc76EKPKS1_KPS1_EviT_T0_PT8_S7_lSA_S7_lS8_PT9_S7_li.num_agpr, 0
	.set _ZL37rocblas_syrkx_herkx_restricted_kernelIi19rocblas_complex_numIfELi16ELi32ELi8ELb0ELb0ELc84ELc76EKPKS1_KPS1_EviT_T0_PT8_S7_lSA_S7_lS8_PT9_S7_li.numbered_sgpr, 23
	.set _ZL37rocblas_syrkx_herkx_restricted_kernelIi19rocblas_complex_numIfELi16ELi32ELi8ELb0ELb0ELc84ELc76EKPKS1_KPS1_EviT_T0_PT8_S7_lSA_S7_lS8_PT9_S7_li.num_named_barrier, 0
	.set _ZL37rocblas_syrkx_herkx_restricted_kernelIi19rocblas_complex_numIfELi16ELi32ELi8ELb0ELb0ELc84ELc76EKPKS1_KPS1_EviT_T0_PT8_S7_lSA_S7_lS8_PT9_S7_li.private_seg_size, 0
	.set _ZL37rocblas_syrkx_herkx_restricted_kernelIi19rocblas_complex_numIfELi16ELi32ELi8ELb0ELb0ELc84ELc76EKPKS1_KPS1_EviT_T0_PT8_S7_lSA_S7_lS8_PT9_S7_li.uses_vcc, 1
	.set _ZL37rocblas_syrkx_herkx_restricted_kernelIi19rocblas_complex_numIfELi16ELi32ELi8ELb0ELb0ELc84ELc76EKPKS1_KPS1_EviT_T0_PT8_S7_lSA_S7_lS8_PT9_S7_li.uses_flat_scratch, 0
	.set _ZL37rocblas_syrkx_herkx_restricted_kernelIi19rocblas_complex_numIfELi16ELi32ELi8ELb0ELb0ELc84ELc76EKPKS1_KPS1_EviT_T0_PT8_S7_lSA_S7_lS8_PT9_S7_li.has_dyn_sized_stack, 0
	.set _ZL37rocblas_syrkx_herkx_restricted_kernelIi19rocblas_complex_numIfELi16ELi32ELi8ELb0ELb0ELc84ELc76EKPKS1_KPS1_EviT_T0_PT8_S7_lSA_S7_lS8_PT9_S7_li.has_recursion, 0
	.set _ZL37rocblas_syrkx_herkx_restricted_kernelIi19rocblas_complex_numIfELi16ELi32ELi8ELb0ELb0ELc84ELc76EKPKS1_KPS1_EviT_T0_PT8_S7_lSA_S7_lS8_PT9_S7_li.has_indirect_call, 0
	.section	.AMDGPU.csdata,"",@progbits
; Kernel info:
; codeLenInByte = 2060
; TotalNumSgprs: 27
; NumVgprs: 41
; ScratchSize: 0
; MemoryBound: 0
; FloatMode: 240
; IeeeMode: 1
; LDSByteSize: 4096 bytes/workgroup (compile time only)
; SGPRBlocks: 3
; VGPRBlocks: 10
; NumSGPRsForWavesPerEU: 27
; NumVGPRsForWavesPerEU: 41
; Occupancy: 5
; WaveLimiterHint : 1
; COMPUTE_PGM_RSRC2:SCRATCH_EN: 0
; COMPUTE_PGM_RSRC2:USER_SGPR: 6
; COMPUTE_PGM_RSRC2:TRAP_HANDLER: 0
; COMPUTE_PGM_RSRC2:TGID_X_EN: 1
; COMPUTE_PGM_RSRC2:TGID_Y_EN: 1
; COMPUTE_PGM_RSRC2:TGID_Z_EN: 1
; COMPUTE_PGM_RSRC2:TIDIG_COMP_CNT: 1
	.section	.text._ZL37rocblas_syrkx_herkx_restricted_kernelIi19rocblas_complex_numIfELi16ELi32ELi8ELb0ELb0ELc67ELc76EKPKS1_KPS1_EviT_T0_PT8_S7_lSA_S7_lS8_PT9_S7_li,"axG",@progbits,_ZL37rocblas_syrkx_herkx_restricted_kernelIi19rocblas_complex_numIfELi16ELi32ELi8ELb0ELb0ELc67ELc76EKPKS1_KPS1_EviT_T0_PT8_S7_lSA_S7_lS8_PT9_S7_li,comdat
	.globl	_ZL37rocblas_syrkx_herkx_restricted_kernelIi19rocblas_complex_numIfELi16ELi32ELi8ELb0ELb0ELc67ELc76EKPKS1_KPS1_EviT_T0_PT8_S7_lSA_S7_lS8_PT9_S7_li ; -- Begin function _ZL37rocblas_syrkx_herkx_restricted_kernelIi19rocblas_complex_numIfELi16ELi32ELi8ELb0ELb0ELc67ELc76EKPKS1_KPS1_EviT_T0_PT8_S7_lSA_S7_lS8_PT9_S7_li
	.p2align	8
	.type	_ZL37rocblas_syrkx_herkx_restricted_kernelIi19rocblas_complex_numIfELi16ELi32ELi8ELb0ELb0ELc67ELc76EKPKS1_KPS1_EviT_T0_PT8_S7_lSA_S7_lS8_PT9_S7_li,@function
_ZL37rocblas_syrkx_herkx_restricted_kernelIi19rocblas_complex_numIfELi16ELi32ELi8ELb0ELb0ELc67ELc76EKPKS1_KPS1_EviT_T0_PT8_S7_lSA_S7_lS8_PT9_S7_li: ; @_ZL37rocblas_syrkx_herkx_restricted_kernelIi19rocblas_complex_numIfELi16ELi32ELi8ELb0ELb0ELc67ELc76EKPKS1_KPS1_EviT_T0_PT8_S7_lSA_S7_lS8_PT9_S7_li
; %bb.0:
	s_load_dwordx4 s[12:15], s[4:5], 0x40
	s_load_dwordx2 s[20:21], s[4:5], 0x0
	s_load_dwordx4 s[16:19], s[4:5], 0x8
	s_mov_b32 s9, 0
	s_lshl_b64 s[0:1], s[8:9], 3
	s_waitcnt lgkmcnt(0)
	s_add_u32 s2, s14, s0
	s_addc_u32 s3, s15, s1
	s_load_dwordx2 s[10:11], s[2:3], 0x0
	s_lshl_b32 s2, s6, 5
	s_lshl_b32 s3, s7, 5
	s_cmp_lt_i32 s21, 1
	s_cbranch_scc1 .LBB649_3
; %bb.1:
	s_load_dword s8, s[4:5], 0x18
	s_load_dwordx2 s[6:7], s[4:5], 0x28
	s_load_dword s22, s[4:5], 0x30
	v_lshl_add_u32 v3, v1, 4, v0
	v_and_b32_e32 v7, 31, v3
	s_add_u32 s14, s18, s0
	v_lshrrev_b32_e32 v2, 5, v3
	v_and_b32_e32 v9, 7, v0
	v_lshlrev_b32_e32 v8, 3, v7
	s_addc_u32 s15, s19, s1
	v_lshrrev_b32_e32 v6, 3, v3
	v_lshl_or_b32 v11, v2, 8, v8
	v_lshlrev_b32_e32 v8, 3, v9
	s_waitcnt lgkmcnt(0)
	s_add_u32 s0, s6, s0
	v_add_u32_e32 v3, s3, v6
	v_mov_b32_e32 v10, 0
	v_lshl_or_b32 v6, v6, 6, v8
	s_addc_u32 s1, s7, s1
	v_mad_i64_i32 v[4:5], s[6:7], s22, v3, v[9:10]
	v_mov_b32_e32 v3, v10
	v_add_u32_e32 v12, 0x800, v6
	v_add_u32_e32 v6, s2, v7
	v_mad_i64_i32 v[2:3], s[6:7], s8, v6, v[2:3]
	s_load_dwordx2 s[14:15], s[14:15], 0x0
	v_mov_b32_e32 v6, 0x800
	s_load_dwordx2 s[0:1], s[0:1], 0x0
	v_lshlrev_b64 v[2:3], 3, v[2:3]
	v_lshl_add_u32 v14, v1, 6, v6
	s_waitcnt lgkmcnt(0)
	v_mov_b32_e32 v7, s15
	v_add_co_u32_e32 v6, vcc, s14, v2
	v_addc_co_u32_e32 v7, vcc, v7, v3, vcc
	v_lshlrev_b64 v[2:3], 3, v[4:5]
	v_mov_b32_e32 v4, s1
	v_add_co_u32_e32 v8, vcc, s0, v2
	v_lshlrev_b32_e32 v13, 3, v0
	v_addc_co_u32_e32 v9, vcc, v4, v3, vcc
	v_mov_b32_e32 v15, v10
	v_mov_b32_e32 v17, v10
	;; [unrolled: 1-line block ×7, first 2 shown]
.LBB649_2:                              ; =>This Inner Loop Header: Depth=1
	flat_load_dwordx2 v[2:3], v[6:7]
	v_add_co_u32_e32 v6, vcc, 64, v6
	v_addc_co_u32_e32 v7, vcc, 0, v7, vcc
	s_add_i32 s9, s9, 8
	s_cmp_ge_i32 s9, s21
	s_waitcnt vmcnt(0) lgkmcnt(0)
	ds_write_b64 v11, v[2:3]
	flat_load_dwordx2 v[2:3], v[8:9]
	v_add_co_u32_e32 v8, vcc, 64, v8
	v_addc_co_u32_e32 v9, vcc, 0, v9, vcc
	s_waitcnt vmcnt(0) lgkmcnt(0)
	ds_write_b64 v12, v[2:3]
	s_waitcnt lgkmcnt(0)
	s_barrier
	ds_read_b128 v[22:25], v14
	ds_read_b128 v[26:29], v14 offset:16
	ds_read_b128 v[30:33], v14 offset:32
	;; [unrolled: 1-line block ×3, first 2 shown]
	ds_read2_b64 v[34:37], v13 offset1:16
	s_waitcnt lgkmcnt(0)
	v_mul_f32_e32 v38, v23, v35
	v_mul_f32_e32 v39, v22, v35
	v_fma_f32 v38, v22, v34, -v38
	v_fmac_f32_e32 v39, v23, v34
	v_add_f32_e32 v38, v20, v38
	v_add_f32_e32 v39, v21, v39
	v_mul_f32_e32 v20, v23, v37
	v_mul_f32_e32 v21, v22, v37
	v_fma_f32 v20, v22, v36, -v20
	v_fmac_f32_e32 v21, v23, v36
	v_add_f32_e32 v22, v18, v20
	v_add_f32_e32 v23, v19, v21
	ds_read_b128 v[18:21], v14 offset:1024
	s_waitcnt lgkmcnt(0)
	v_mul_f32_e32 v40, v19, v35
	v_mul_f32_e32 v35, v18, v35
	v_fma_f32 v40, v18, v34, -v40
	v_fmac_f32_e32 v35, v19, v34
	v_add_f32_e32 v34, v16, v40
	v_add_f32_e32 v35, v17, v35
	v_mul_f32_e32 v16, v19, v37
	v_mul_f32_e32 v17, v18, v37
	v_fma_f32 v16, v18, v36, -v16
	v_fmac_f32_e32 v17, v19, v36
	v_add_f32_e32 v19, v15, v16
	v_add_f32_e32 v10, v10, v17
	ds_read2_b64 v[15:18], v13 offset0:32 offset1:48
	s_waitcnt lgkmcnt(0)
	v_mul_f32_e32 v36, v25, v16
	v_fma_f32 v36, v24, v15, -v36
	v_add_f32_e32 v36, v38, v36
	v_mul_f32_e32 v38, v25, v18
	v_mul_f32_e32 v37, v24, v16
	v_fma_f32 v38, v24, v17, -v38
	v_mul_f32_e32 v24, v24, v18
	v_fmac_f32_e32 v24, v25, v17
	v_add_f32_e32 v23, v23, v24
	v_mul_f32_e32 v24, v21, v16
	v_mul_f32_e32 v16, v20, v16
	v_fmac_f32_e32 v16, v21, v15
	v_fmac_f32_e32 v37, v25, v15
	v_fma_f32 v24, v20, v15, -v24
	v_add_f32_e32 v25, v35, v16
	v_mul_f32_e32 v15, v21, v18
	v_mul_f32_e32 v16, v20, v18
	v_fma_f32 v15, v20, v17, -v15
	v_fmac_f32_e32 v16, v21, v17
	v_add_f32_e32 v24, v34, v24
	v_add_f32_e32 v34, v19, v15
	;; [unrolled: 1-line block ×3, first 2 shown]
	ds_read2_b64 v[15:18], v13 offset0:64 offset1:80
	v_add_f32_e32 v37, v39, v37
	v_add_f32_e32 v22, v22, v38
	s_waitcnt lgkmcnt(0)
	v_mul_f32_e32 v19, v27, v16
	v_mul_f32_e32 v20, v26, v16
	v_fma_f32 v19, v26, v15, -v19
	v_fmac_f32_e32 v20, v27, v15
	v_add_f32_e32 v35, v36, v19
	v_add_f32_e32 v36, v37, v20
	v_mul_f32_e32 v19, v27, v18
	v_mul_f32_e32 v20, v26, v18
	v_fma_f32 v19, v26, v17, -v19
	v_fmac_f32_e32 v20, v27, v17
	v_add_f32_e32 v26, v22, v19
	v_add_f32_e32 v23, v23, v20
	ds_read_b128 v[19:22], v14 offset:1040
	s_waitcnt lgkmcnt(0)
	v_mul_f32_e32 v27, v20, v16
	v_mul_f32_e32 v16, v19, v16
	v_fmac_f32_e32 v16, v20, v15
	v_fma_f32 v27, v19, v15, -v27
	v_add_f32_e32 v25, v25, v16
	v_mul_f32_e32 v15, v20, v18
	v_mul_f32_e32 v16, v19, v18
	v_fma_f32 v15, v19, v17, -v15
	v_fmac_f32_e32 v16, v20, v17
	v_add_f32_e32 v19, v34, v15
	v_add_f32_e32 v10, v10, v16
	ds_read2_b64 v[15:18], v13 offset0:96 offset1:112
	v_add_f32_e32 v24, v24, v27
	s_waitcnt lgkmcnt(0)
	v_mul_f32_e32 v20, v29, v16
	v_mul_f32_e32 v34, v29, v18
	v_fma_f32 v20, v28, v15, -v20
	v_mul_f32_e32 v27, v28, v16
	v_fma_f32 v34, v28, v17, -v34
	v_mul_f32_e32 v28, v28, v18
	v_fmac_f32_e32 v28, v29, v17
	v_add_f32_e32 v23, v23, v28
	v_mul_f32_e32 v28, v22, v16
	v_mul_f32_e32 v16, v21, v16
	v_fmac_f32_e32 v16, v22, v15
	v_fmac_f32_e32 v27, v29, v15
	v_fma_f32 v28, v21, v15, -v28
	v_add_f32_e32 v25, v25, v16
	v_mul_f32_e32 v15, v22, v18
	v_mul_f32_e32 v16, v21, v18
	v_fma_f32 v15, v21, v17, -v15
	v_fmac_f32_e32 v16, v22, v17
	v_add_f32_e32 v24, v24, v28
	v_add_f32_e32 v28, v19, v15
	;; [unrolled: 1-line block ×3, first 2 shown]
	ds_read2_b64 v[15:18], v13 offset0:128 offset1:144
	v_add_f32_e32 v20, v35, v20
	v_add_f32_e32 v27, v36, v27
	;; [unrolled: 1-line block ×3, first 2 shown]
	s_waitcnt lgkmcnt(0)
	v_mul_f32_e32 v19, v31, v16
	v_fma_f32 v19, v30, v15, -v19
	v_mul_f32_e32 v21, v30, v16
	v_add_f32_e32 v29, v20, v19
	v_mul_f32_e32 v19, v31, v18
	v_mul_f32_e32 v20, v30, v18
	v_fmac_f32_e32 v21, v31, v15
	v_fma_f32 v19, v30, v17, -v19
	v_fmac_f32_e32 v20, v31, v17
	v_add_f32_e32 v27, v27, v21
	v_add_f32_e32 v26, v26, v19
	;; [unrolled: 1-line block ×3, first 2 shown]
	ds_read_b128 v[19:22], v14 offset:1056
	s_waitcnt lgkmcnt(0)
	v_mul_f32_e32 v30, v20, v16
	v_mul_f32_e32 v16, v19, v16
	v_fmac_f32_e32 v16, v20, v15
	v_fma_f32 v30, v19, v15, -v30
	v_add_f32_e32 v25, v25, v16
	v_mul_f32_e32 v15, v20, v18
	v_mul_f32_e32 v16, v19, v18
	v_fma_f32 v15, v19, v17, -v15
	v_fmac_f32_e32 v16, v20, v17
	v_add_f32_e32 v19, v28, v15
	v_add_f32_e32 v10, v10, v16
	ds_read2_b64 v[15:18], v13 offset0:160 offset1:176
	v_add_f32_e32 v24, v24, v30
	s_waitcnt lgkmcnt(0)
	v_mul_f32_e32 v28, v32, v16
	v_fmac_f32_e32 v28, v33, v15
	v_add_f32_e32 v27, v27, v28
	v_mul_f32_e32 v28, v33, v18
	v_fma_f32 v28, v32, v17, -v28
	v_mul_f32_e32 v20, v33, v16
	v_add_f32_e32 v26, v26, v28
	v_mul_f32_e32 v28, v22, v16
	v_mul_f32_e32 v16, v21, v16
	v_fmac_f32_e32 v16, v22, v15
	v_fma_f32 v20, v32, v15, -v20
	v_fma_f32 v28, v21, v15, -v28
	v_add_f32_e32 v25, v25, v16
	v_mul_f32_e32 v15, v22, v18
	v_mul_f32_e32 v16, v21, v18
	v_add_f32_e32 v20, v29, v20
	v_mul_f32_e32 v29, v32, v18
	v_fma_f32 v15, v21, v17, -v15
	v_fmac_f32_e32 v16, v22, v17
	v_fmac_f32_e32 v29, v33, v17
	v_add_f32_e32 v19, v19, v15
	v_add_f32_e32 v10, v10, v16
	ds_read2_b64 v[15:18], v13 offset0:192 offset1:208
	v_add_f32_e32 v24, v24, v28
	v_add_f32_e32 v23, v23, v29
	s_waitcnt lgkmcnt(0)
	v_mul_f32_e32 v21, v3, v16
	v_fma_f32 v21, v2, v15, -v21
	v_add_f32_e32 v28, v20, v21
	v_mul_f32_e32 v20, v3, v18
	v_mul_f32_e32 v22, v2, v16
	v_fma_f32 v20, v2, v17, -v20
	v_mul_f32_e32 v2, v2, v18
	v_fmac_f32_e32 v22, v3, v15
	v_fmac_f32_e32 v2, v3, v17
	v_add_f32_e32 v29, v27, v22
	v_add_f32_e32 v3, v26, v20
	v_add_f32_e32 v2, v23, v2
	ds_read_b128 v[20:23], v14 offset:1072
	s_waitcnt lgkmcnt(0)
	v_mul_f32_e32 v26, v21, v16
	v_mul_f32_e32 v16, v20, v16
	v_fma_f32 v26, v20, v15, -v26
	v_fmac_f32_e32 v16, v21, v15
	v_add_f32_e32 v15, v24, v26
	v_add_f32_e32 v30, v25, v16
	ds_read2_b64 v[24:27], v13 offset0:224 offset1:240
	v_mul_f32_e32 v16, v21, v18
	v_fma_f32 v16, v20, v17, -v16
	v_add_f32_e32 v31, v19, v16
	v_mul_f32_e32 v18, v20, v18
	s_waitcnt lgkmcnt(0)
	v_mul_f32_e32 v16, v5, v25
	v_fma_f32 v16, v4, v24, -v16
	v_add_f32_e32 v20, v28, v16
	v_mul_f32_e32 v16, v5, v27
	v_fmac_f32_e32 v18, v21, v17
	v_mul_f32_e32 v17, v4, v25
	v_fma_f32 v16, v4, v26, -v16
	v_mul_f32_e32 v4, v4, v27
	v_fmac_f32_e32 v4, v5, v26
	v_add_f32_e32 v10, v10, v18
	v_add_f32_e32 v18, v3, v16
	;; [unrolled: 1-line block ×3, first 2 shown]
	v_mul_f32_e32 v2, v23, v25
	v_mul_f32_e32 v3, v22, v25
	v_fmac_f32_e32 v17, v5, v24
	v_fma_f32 v2, v22, v24, -v2
	v_fmac_f32_e32 v3, v23, v24
	v_add_f32_e32 v21, v29, v17
	v_add_f32_e32 v16, v15, v2
	;; [unrolled: 1-line block ×3, first 2 shown]
	v_mul_f32_e32 v2, v23, v27
	v_mul_f32_e32 v3, v22, v27
	v_fma_f32 v2, v22, v26, -v2
	v_fmac_f32_e32 v3, v23, v26
	v_add_f32_e32 v15, v31, v2
	v_add_f32_e32 v10, v10, v3
	s_barrier
	s_cbranch_scc0 .LBB649_2
	s_branch .LBB649_4
.LBB649_3:
	v_mov_b32_e32 v20, 0
	v_mov_b32_e32 v21, 0
	;; [unrolled: 1-line block ×8, first 2 shown]
.LBB649_4:
	s_load_dword s6, s[4:5], 0x50
	v_add_u32_e32 v4, s3, v1
	s_waitcnt lgkmcnt(0)
	v_mov_b32_e32 v3, s11
	v_add_u32_e32 v0, s2, v0
	v_mad_i64_i32 v[1:2], s[0:1], v4, s6, 0
	v_cmp_le_i32_e64 s[0:1], v4, v0
	v_lshlrev_b64 v[1:2], 3, v[1:2]
	v_add_co_u32_e32 v5, vcc, s10, v1
	v_addc_co_u32_e32 v6, vcc, v3, v2, vcc
	v_cmp_gt_i32_e32 vcc, s20, v0
	s_and_b64 s[0:1], s[0:1], vcc
	s_and_saveexec_b64 s[2:3], s[0:1]
	s_cbranch_execz .LBB649_6
; %bb.5:
	v_ashrrev_i32_e32 v1, 31, v0
	v_lshlrev_b64 v[1:2], 3, v[0:1]
	v_mul_f32_e32 v3, s17, v21
	v_add_co_u32_e64 v1, s[0:1], v5, v1
	v_addc_co_u32_e64 v2, s[0:1], v6, v2, s[0:1]
	flat_load_dwordx2 v[7:8], v[1:2]
	v_mul_f32_e32 v9, s16, v21
	v_fma_f32 v3, v20, s16, -v3
	v_fmac_f32_e32 v9, s17, v20
	s_waitcnt vmcnt(0) lgkmcnt(0)
	v_mul_f32_e32 v11, s13, v8
	v_mul_f32_e32 v8, s12, v8
	v_fma_f32 v11, v7, s12, -v11
	v_fmac_f32_e32 v8, s13, v7
	v_add_f32_e32 v7, v3, v11
	v_add_f32_e32 v8, v9, v8
	flat_store_dwordx2 v[1:2], v[7:8]
.LBB649_6:
	s_or_b64 exec, exec, s[2:3]
	v_add_u32_e32 v2, 16, v0
	v_cmp_le_i32_e64 s[2:3], v4, v2
	v_cmp_gt_i32_e64 s[0:1], s20, v2
	s_and_b64 s[2:3], s[2:3], s[0:1]
	s_and_saveexec_b64 s[4:5], s[2:3]
	s_cbranch_execz .LBB649_8
; %bb.7:
	v_ashrrev_i32_e32 v3, 31, v2
	v_lshlrev_b64 v[7:8], 3, v[2:3]
	v_mul_f32_e32 v1, s17, v19
	v_add_co_u32_e64 v5, s[2:3], v5, v7
	v_addc_co_u32_e64 v6, s[2:3], v6, v8, s[2:3]
	flat_load_dwordx2 v[7:8], v[5:6]
	v_mul_f32_e32 v3, s16, v19
	v_fma_f32 v1, v18, s16, -v1
	v_fmac_f32_e32 v3, s17, v18
	s_waitcnt vmcnt(0) lgkmcnt(0)
	v_mul_f32_e32 v9, s13, v8
	v_mul_f32_e32 v8, s12, v8
	v_fma_f32 v9, v7, s12, -v9
	v_fmac_f32_e32 v8, s13, v7
	v_add_f32_e32 v7, v1, v9
	v_add_f32_e32 v8, v3, v8
	flat_store_dwordx2 v[5:6], v[7:8]
.LBB649_8:
	s_or_b64 exec, exec, s[4:5]
	v_add_u32_e32 v3, 16, v4
	v_mad_i64_i32 v[4:5], s[2:3], v3, s6, 0
	v_mov_b32_e32 v1, s11
	v_lshlrev_b64 v[4:5], 3, v[4:5]
	v_add_co_u32_e64 v4, s[2:3], s10, v4
	v_addc_co_u32_e64 v5, s[2:3], v1, v5, s[2:3]
	v_cmp_le_i32_e64 s[2:3], v3, v0
	s_and_b64 s[4:5], s[2:3], vcc
	s_and_saveexec_b64 s[2:3], s[4:5]
	s_cbranch_execz .LBB649_10
; %bb.9:
	v_ashrrev_i32_e32 v1, 31, v0
	v_lshlrev_b64 v[0:1], 3, v[0:1]
	v_mul_f32_e32 v8, s17, v17
	v_add_co_u32_e32 v0, vcc, v4, v0
	v_addc_co_u32_e32 v1, vcc, v5, v1, vcc
	flat_load_dwordx2 v[6:7], v[0:1]
	v_mul_f32_e32 v9, s16, v17
	v_fma_f32 v8, v16, s16, -v8
	v_fmac_f32_e32 v9, s17, v16
	s_waitcnt vmcnt(0) lgkmcnt(0)
	v_mul_f32_e32 v11, s13, v7
	v_mul_f32_e32 v7, s12, v7
	v_fma_f32 v11, v6, s12, -v11
	v_fmac_f32_e32 v7, s13, v6
	v_add_f32_e32 v6, v8, v11
	v_add_f32_e32 v7, v9, v7
	flat_store_dwordx2 v[0:1], v[6:7]
.LBB649_10:
	s_or_b64 exec, exec, s[2:3]
	v_cmp_le_i32_e32 vcc, v3, v2
	s_and_b64 s[0:1], vcc, s[0:1]
	s_and_saveexec_b64 s[2:3], s[0:1]
	s_cbranch_execz .LBB649_12
; %bb.11:
	v_ashrrev_i32_e32 v3, 31, v2
	v_lshlrev_b64 v[0:1], 3, v[2:3]
	v_add_co_u32_e32 v0, vcc, v4, v0
	v_addc_co_u32_e32 v1, vcc, v5, v1, vcc
	flat_load_dwordx2 v[2:3], v[0:1]
	v_mul_f32_e32 v4, s17, v10
	v_mul_f32_e32 v5, s16, v10
	v_fma_f32 v4, v15, s16, -v4
	v_fmac_f32_e32 v5, s17, v15
	s_waitcnt vmcnt(0) lgkmcnt(0)
	v_mul_f32_e32 v6, s13, v3
	v_mul_f32_e32 v3, s12, v3
	v_fma_f32 v6, v2, s12, -v6
	v_fmac_f32_e32 v3, s13, v2
	v_add_f32_e32 v2, v4, v6
	v_add_f32_e32 v3, v5, v3
	flat_store_dwordx2 v[0:1], v[2:3]
.LBB649_12:
	s_endpgm
	.section	.rodata,"a",@progbits
	.p2align	6, 0x0
	.amdhsa_kernel _ZL37rocblas_syrkx_herkx_restricted_kernelIi19rocblas_complex_numIfELi16ELi32ELi8ELb0ELb0ELc67ELc76EKPKS1_KPS1_EviT_T0_PT8_S7_lSA_S7_lS8_PT9_S7_li
		.amdhsa_group_segment_fixed_size 4096
		.amdhsa_private_segment_fixed_size 0
		.amdhsa_kernarg_size 100
		.amdhsa_user_sgpr_count 6
		.amdhsa_user_sgpr_private_segment_buffer 1
		.amdhsa_user_sgpr_dispatch_ptr 0
		.amdhsa_user_sgpr_queue_ptr 0
		.amdhsa_user_sgpr_kernarg_segment_ptr 1
		.amdhsa_user_sgpr_dispatch_id 0
		.amdhsa_user_sgpr_flat_scratch_init 0
		.amdhsa_user_sgpr_private_segment_size 0
		.amdhsa_uses_dynamic_stack 0
		.amdhsa_system_sgpr_private_segment_wavefront_offset 0
		.amdhsa_system_sgpr_workgroup_id_x 1
		.amdhsa_system_sgpr_workgroup_id_y 1
		.amdhsa_system_sgpr_workgroup_id_z 1
		.amdhsa_system_sgpr_workgroup_info 0
		.amdhsa_system_vgpr_workitem_id 1
		.amdhsa_next_free_vgpr 41
		.amdhsa_next_free_sgpr 23
		.amdhsa_reserve_vcc 1
		.amdhsa_reserve_flat_scratch 0
		.amdhsa_float_round_mode_32 0
		.amdhsa_float_round_mode_16_64 0
		.amdhsa_float_denorm_mode_32 3
		.amdhsa_float_denorm_mode_16_64 3
		.amdhsa_dx10_clamp 1
		.amdhsa_ieee_mode 1
		.amdhsa_fp16_overflow 0
		.amdhsa_exception_fp_ieee_invalid_op 0
		.amdhsa_exception_fp_denorm_src 0
		.amdhsa_exception_fp_ieee_div_zero 0
		.amdhsa_exception_fp_ieee_overflow 0
		.amdhsa_exception_fp_ieee_underflow 0
		.amdhsa_exception_fp_ieee_inexact 0
		.amdhsa_exception_int_div_zero 0
	.end_amdhsa_kernel
	.section	.text._ZL37rocblas_syrkx_herkx_restricted_kernelIi19rocblas_complex_numIfELi16ELi32ELi8ELb0ELb0ELc67ELc76EKPKS1_KPS1_EviT_T0_PT8_S7_lSA_S7_lS8_PT9_S7_li,"axG",@progbits,_ZL37rocblas_syrkx_herkx_restricted_kernelIi19rocblas_complex_numIfELi16ELi32ELi8ELb0ELb0ELc67ELc76EKPKS1_KPS1_EviT_T0_PT8_S7_lSA_S7_lS8_PT9_S7_li,comdat
.Lfunc_end649:
	.size	_ZL37rocblas_syrkx_herkx_restricted_kernelIi19rocblas_complex_numIfELi16ELi32ELi8ELb0ELb0ELc67ELc76EKPKS1_KPS1_EviT_T0_PT8_S7_lSA_S7_lS8_PT9_S7_li, .Lfunc_end649-_ZL37rocblas_syrkx_herkx_restricted_kernelIi19rocblas_complex_numIfELi16ELi32ELi8ELb0ELb0ELc67ELc76EKPKS1_KPS1_EviT_T0_PT8_S7_lSA_S7_lS8_PT9_S7_li
                                        ; -- End function
	.set _ZL37rocblas_syrkx_herkx_restricted_kernelIi19rocblas_complex_numIfELi16ELi32ELi8ELb0ELb0ELc67ELc76EKPKS1_KPS1_EviT_T0_PT8_S7_lSA_S7_lS8_PT9_S7_li.num_vgpr, 41
	.set _ZL37rocblas_syrkx_herkx_restricted_kernelIi19rocblas_complex_numIfELi16ELi32ELi8ELb0ELb0ELc67ELc76EKPKS1_KPS1_EviT_T0_PT8_S7_lSA_S7_lS8_PT9_S7_li.num_agpr, 0
	.set _ZL37rocblas_syrkx_herkx_restricted_kernelIi19rocblas_complex_numIfELi16ELi32ELi8ELb0ELb0ELc67ELc76EKPKS1_KPS1_EviT_T0_PT8_S7_lSA_S7_lS8_PT9_S7_li.numbered_sgpr, 23
	.set _ZL37rocblas_syrkx_herkx_restricted_kernelIi19rocblas_complex_numIfELi16ELi32ELi8ELb0ELb0ELc67ELc76EKPKS1_KPS1_EviT_T0_PT8_S7_lSA_S7_lS8_PT9_S7_li.num_named_barrier, 0
	.set _ZL37rocblas_syrkx_herkx_restricted_kernelIi19rocblas_complex_numIfELi16ELi32ELi8ELb0ELb0ELc67ELc76EKPKS1_KPS1_EviT_T0_PT8_S7_lSA_S7_lS8_PT9_S7_li.private_seg_size, 0
	.set _ZL37rocblas_syrkx_herkx_restricted_kernelIi19rocblas_complex_numIfELi16ELi32ELi8ELb0ELb0ELc67ELc76EKPKS1_KPS1_EviT_T0_PT8_S7_lSA_S7_lS8_PT9_S7_li.uses_vcc, 1
	.set _ZL37rocblas_syrkx_herkx_restricted_kernelIi19rocblas_complex_numIfELi16ELi32ELi8ELb0ELb0ELc67ELc76EKPKS1_KPS1_EviT_T0_PT8_S7_lSA_S7_lS8_PT9_S7_li.uses_flat_scratch, 0
	.set _ZL37rocblas_syrkx_herkx_restricted_kernelIi19rocblas_complex_numIfELi16ELi32ELi8ELb0ELb0ELc67ELc76EKPKS1_KPS1_EviT_T0_PT8_S7_lSA_S7_lS8_PT9_S7_li.has_dyn_sized_stack, 0
	.set _ZL37rocblas_syrkx_herkx_restricted_kernelIi19rocblas_complex_numIfELi16ELi32ELi8ELb0ELb0ELc67ELc76EKPKS1_KPS1_EviT_T0_PT8_S7_lSA_S7_lS8_PT9_S7_li.has_recursion, 0
	.set _ZL37rocblas_syrkx_herkx_restricted_kernelIi19rocblas_complex_numIfELi16ELi32ELi8ELb0ELb0ELc67ELc76EKPKS1_KPS1_EviT_T0_PT8_S7_lSA_S7_lS8_PT9_S7_li.has_indirect_call, 0
	.section	.AMDGPU.csdata,"",@progbits
; Kernel info:
; codeLenInByte = 2060
; TotalNumSgprs: 27
; NumVgprs: 41
; ScratchSize: 0
; MemoryBound: 0
; FloatMode: 240
; IeeeMode: 1
; LDSByteSize: 4096 bytes/workgroup (compile time only)
; SGPRBlocks: 3
; VGPRBlocks: 10
; NumSGPRsForWavesPerEU: 27
; NumVGPRsForWavesPerEU: 41
; Occupancy: 5
; WaveLimiterHint : 1
; COMPUTE_PGM_RSRC2:SCRATCH_EN: 0
; COMPUTE_PGM_RSRC2:USER_SGPR: 6
; COMPUTE_PGM_RSRC2:TRAP_HANDLER: 0
; COMPUTE_PGM_RSRC2:TGID_X_EN: 1
; COMPUTE_PGM_RSRC2:TGID_Y_EN: 1
; COMPUTE_PGM_RSRC2:TGID_Z_EN: 1
; COMPUTE_PGM_RSRC2:TIDIG_COMP_CNT: 1
	.section	.text._ZL37rocblas_syrkx_herkx_restricted_kernelIi19rocblas_complex_numIfELi16ELi32ELi8ELb0ELb0ELc78ELc76EKPKS1_KPS1_EviT_T0_PT8_S7_lSA_S7_lS8_PT9_S7_li,"axG",@progbits,_ZL37rocblas_syrkx_herkx_restricted_kernelIi19rocblas_complex_numIfELi16ELi32ELi8ELb0ELb0ELc78ELc76EKPKS1_KPS1_EviT_T0_PT8_S7_lSA_S7_lS8_PT9_S7_li,comdat
	.globl	_ZL37rocblas_syrkx_herkx_restricted_kernelIi19rocblas_complex_numIfELi16ELi32ELi8ELb0ELb0ELc78ELc76EKPKS1_KPS1_EviT_T0_PT8_S7_lSA_S7_lS8_PT9_S7_li ; -- Begin function _ZL37rocblas_syrkx_herkx_restricted_kernelIi19rocblas_complex_numIfELi16ELi32ELi8ELb0ELb0ELc78ELc76EKPKS1_KPS1_EviT_T0_PT8_S7_lSA_S7_lS8_PT9_S7_li
	.p2align	8
	.type	_ZL37rocblas_syrkx_herkx_restricted_kernelIi19rocblas_complex_numIfELi16ELi32ELi8ELb0ELb0ELc78ELc76EKPKS1_KPS1_EviT_T0_PT8_S7_lSA_S7_lS8_PT9_S7_li,@function
_ZL37rocblas_syrkx_herkx_restricted_kernelIi19rocblas_complex_numIfELi16ELi32ELi8ELb0ELb0ELc78ELc76EKPKS1_KPS1_EviT_T0_PT8_S7_lSA_S7_lS8_PT9_S7_li: ; @_ZL37rocblas_syrkx_herkx_restricted_kernelIi19rocblas_complex_numIfELi16ELi32ELi8ELb0ELb0ELc78ELc76EKPKS1_KPS1_EviT_T0_PT8_S7_lSA_S7_lS8_PT9_S7_li
; %bb.0:
	s_load_dwordx4 s[12:15], s[4:5], 0x40
	s_load_dwordx2 s[20:21], s[4:5], 0x0
	s_load_dwordx4 s[16:19], s[4:5], 0x8
	s_mov_b32 s9, 0
	s_lshl_b64 s[0:1], s[8:9], 3
	s_waitcnt lgkmcnt(0)
	s_add_u32 s2, s14, s0
	s_addc_u32 s3, s15, s1
	s_load_dwordx2 s[10:11], s[2:3], 0x0
	s_lshl_b32 s6, s6, 5
	s_lshl_b32 s7, s7, 5
	s_cmp_lt_i32 s21, 1
	s_cbranch_scc1 .LBB650_3
; %bb.1:
	s_load_dword s2, s[4:5], 0x18
	s_load_dword s14, s[4:5], 0x30
	s_load_dwordx2 s[22:23], s[4:5], 0x28
	v_lshl_add_u32 v2, v1, 4, v0
	v_lshrrev_b32_e32 v4, 3, v2
	s_waitcnt lgkmcnt(0)
	s_ashr_i32 s3, s2, 31
	s_ashr_i32 s15, s14, 31
	s_add_u32 s18, s18, s0
	s_addc_u32 s19, s19, s1
	s_add_u32 s0, s22, s0
	v_lshrrev_b32_e32 v6, 5, v2
	v_and_b32_e32 v7, 31, v2
	v_add_u32_e32 v2, s7, v4
	s_addc_u32 s1, s23, s1
	v_and_b32_e32 v5, 7, v0
	v_ashrrev_i32_e32 v3, 31, v2
	s_load_dwordx2 s[22:23], s[0:1], 0x0
	v_mad_i64_i32 v[2:3], s[0:1], s14, v5, v[2:3]
	v_lshlrev_b32_e32 v5, 3, v5
	v_lshl_or_b32 v4, v4, 6, v5
	v_add_u32_e32 v11, 0x800, v4
	v_add_u32_e32 v4, s6, v7
	v_ashrrev_i32_e32 v5, 31, v4
	v_mad_i64_i32 v[4:5], s[0:1], s2, v6, v[4:5]
	s_load_dwordx2 s[18:19], s[18:19], 0x0
	v_lshlrev_b32_e32 v8, 3, v7
	v_lshlrev_b64 v[4:5], 3, v[4:5]
	v_lshl_or_b32 v10, v6, 8, v8
	v_mov_b32_e32 v6, 0x800
	v_lshl_add_u32 v13, v1, 6, v6
	s_waitcnt lgkmcnt(0)
	v_mov_b32_e32 v7, s19
	v_add_co_u32_e32 v6, vcc, s18, v4
	v_lshlrev_b64 v[2:3], 3, v[2:3]
	v_addc_co_u32_e32 v7, vcc, v7, v5, vcc
	s_lshl_b64 s[0:1], s[2:3], 6
	v_mov_b32_e32 v4, s23
	v_add_co_u32_e32 v8, vcc, s22, v2
	s_lshl_b64 s[2:3], s[14:15], 6
	v_lshlrev_b32_e32 v12, 3, v0
	v_addc_co_u32_e32 v9, vcc, v4, v3, vcc
	v_mov_b32_e32 v16, 0
	v_mov_b32_e32 v14, s1
	;; [unrolled: 1-line block ×10, first 2 shown]
.LBB650_2:                              ; =>This Inner Loop Header: Depth=1
	flat_load_dwordx2 v[2:3], v[6:7]
	v_add_co_u32_e32 v6, vcc, s0, v6
	v_addc_co_u32_e32 v7, vcc, v7, v14, vcc
	s_add_i32 s9, s9, 8
	s_cmp_ge_i32 s9, s21
	s_waitcnt vmcnt(0) lgkmcnt(0)
	ds_write_b64 v10, v[2:3]
	flat_load_dwordx2 v[2:3], v[8:9]
	v_add_co_u32_e32 v8, vcc, s2, v8
	v_addc_co_u32_e32 v9, vcc, v9, v15, vcc
	s_waitcnt vmcnt(0) lgkmcnt(0)
	ds_write_b64 v11, v[2:3]
	s_waitcnt lgkmcnt(0)
	s_barrier
	ds_read_b128 v[24:27], v13
	ds_read_b128 v[28:31], v13 offset:16
	ds_read_b128 v[32:35], v13 offset:32
	;; [unrolled: 1-line block ×3, first 2 shown]
	ds_read2_b64 v[36:39], v12 offset1:16
	s_waitcnt lgkmcnt(0)
	v_mul_f32_e32 v40, v25, v37
	v_mul_f32_e32 v41, v24, v37
	v_fma_f32 v40, v24, v36, -v40
	v_fmac_f32_e32 v41, v25, v36
	v_add_f32_e32 v40, v22, v40
	v_add_f32_e32 v41, v23, v41
	v_mul_f32_e32 v22, v25, v39
	v_mul_f32_e32 v23, v24, v39
	v_fma_f32 v22, v24, v38, -v22
	v_fmac_f32_e32 v23, v25, v38
	v_add_f32_e32 v24, v20, v22
	v_add_f32_e32 v25, v21, v23
	ds_read_b128 v[20:23], v13 offset:1024
	s_waitcnt lgkmcnt(0)
	v_mul_f32_e32 v42, v21, v37
	v_mul_f32_e32 v37, v20, v37
	v_fma_f32 v42, v20, v36, -v42
	v_fmac_f32_e32 v37, v21, v36
	v_add_f32_e32 v36, v18, v42
	v_add_f32_e32 v37, v19, v37
	v_mul_f32_e32 v18, v21, v39
	v_mul_f32_e32 v19, v20, v39
	v_fma_f32 v18, v20, v38, -v18
	v_fmac_f32_e32 v19, v21, v38
	v_add_f32_e32 v20, v17, v18
	v_add_f32_e32 v21, v16, v19
	ds_read2_b64 v[16:19], v12 offset0:32 offset1:48
	s_waitcnt lgkmcnt(0)
	v_mul_f32_e32 v38, v27, v17
	v_fma_f32 v38, v26, v16, -v38
	v_add_f32_e32 v38, v40, v38
	v_mul_f32_e32 v40, v27, v19
	v_mul_f32_e32 v39, v26, v17
	v_fma_f32 v40, v26, v18, -v40
	v_mul_f32_e32 v26, v26, v19
	v_fmac_f32_e32 v26, v27, v18
	v_add_f32_e32 v25, v25, v26
	v_mul_f32_e32 v26, v23, v17
	v_mul_f32_e32 v17, v22, v17
	v_fmac_f32_e32 v17, v23, v16
	v_fmac_f32_e32 v39, v27, v16
	v_fma_f32 v26, v22, v16, -v26
	v_add_f32_e32 v27, v37, v17
	v_mul_f32_e32 v16, v23, v19
	v_mul_f32_e32 v17, v22, v19
	v_fma_f32 v16, v22, v18, -v16
	v_fmac_f32_e32 v17, v23, v18
	v_add_f32_e32 v26, v36, v26
	v_add_f32_e32 v36, v20, v16
	v_add_f32_e32 v37, v21, v17
	ds_read2_b64 v[16:19], v12 offset0:64 offset1:80
	v_add_f32_e32 v39, v41, v39
	v_add_f32_e32 v24, v24, v40
	s_waitcnt lgkmcnt(0)
	v_mul_f32_e32 v20, v29, v17
	v_mul_f32_e32 v21, v28, v17
	v_fma_f32 v20, v28, v16, -v20
	v_fmac_f32_e32 v21, v29, v16
	v_add_f32_e32 v38, v38, v20
	v_add_f32_e32 v39, v39, v21
	v_mul_f32_e32 v20, v29, v19
	v_mul_f32_e32 v21, v28, v19
	v_fma_f32 v20, v28, v18, -v20
	v_fmac_f32_e32 v21, v29, v18
	v_add_f32_e32 v24, v24, v20
	v_add_f32_e32 v25, v25, v21
	ds_read_b128 v[20:23], v13 offset:1040
	s_waitcnt lgkmcnt(0)
	v_mul_f32_e32 v28, v21, v17
	v_mul_f32_e32 v17, v20, v17
	v_fmac_f32_e32 v17, v21, v16
	v_fma_f32 v28, v20, v16, -v28
	v_add_f32_e32 v27, v27, v17
	v_mul_f32_e32 v16, v21, v19
	v_mul_f32_e32 v17, v20, v19
	v_fma_f32 v16, v20, v18, -v16
	v_fmac_f32_e32 v17, v21, v18
	v_add_f32_e32 v20, v36, v16
	v_add_f32_e32 v21, v37, v17
	ds_read2_b64 v[16:19], v12 offset0:96 offset1:112
	v_add_f32_e32 v26, v26, v28
	s_waitcnt lgkmcnt(0)
	v_mul_f32_e32 v28, v31, v17
	v_mul_f32_e32 v36, v31, v19
	v_fma_f32 v28, v30, v16, -v28
	v_mul_f32_e32 v29, v30, v17
	v_fma_f32 v36, v30, v18, -v36
	v_mul_f32_e32 v30, v30, v19
	v_fmac_f32_e32 v30, v31, v18
	v_add_f32_e32 v25, v25, v30
	v_mul_f32_e32 v30, v23, v17
	v_mul_f32_e32 v17, v22, v17
	v_fmac_f32_e32 v17, v23, v16
	v_fmac_f32_e32 v29, v31, v16
	v_fma_f32 v30, v22, v16, -v30
	v_add_f32_e32 v27, v27, v17
	v_mul_f32_e32 v16, v23, v19
	v_mul_f32_e32 v17, v22, v19
	v_fma_f32 v16, v22, v18, -v16
	v_fmac_f32_e32 v17, v23, v18
	v_add_f32_e32 v26, v26, v30
	v_add_f32_e32 v30, v20, v16
	;; [unrolled: 1-line block ×3, first 2 shown]
	ds_read2_b64 v[16:19], v12 offset0:128 offset1:144
	v_add_f32_e32 v28, v38, v28
	v_add_f32_e32 v29, v39, v29
	;; [unrolled: 1-line block ×3, first 2 shown]
	s_waitcnt lgkmcnt(0)
	v_mul_f32_e32 v20, v33, v17
	v_mul_f32_e32 v21, v32, v17
	v_fma_f32 v20, v32, v16, -v20
	v_fmac_f32_e32 v21, v33, v16
	v_add_f32_e32 v28, v28, v20
	v_add_f32_e32 v29, v29, v21
	v_mul_f32_e32 v20, v33, v19
	v_mul_f32_e32 v21, v32, v19
	v_fma_f32 v20, v32, v18, -v20
	v_fmac_f32_e32 v21, v33, v18
	v_add_f32_e32 v24, v24, v20
	v_add_f32_e32 v25, v25, v21
	ds_read_b128 v[20:23], v13 offset:1056
	s_waitcnt lgkmcnt(0)
	v_mul_f32_e32 v32, v21, v17
	v_mul_f32_e32 v17, v20, v17
	v_fmac_f32_e32 v17, v21, v16
	v_fma_f32 v32, v20, v16, -v32
	v_add_f32_e32 v27, v27, v17
	v_mul_f32_e32 v16, v21, v19
	v_mul_f32_e32 v17, v20, v19
	v_fma_f32 v16, v20, v18, -v16
	v_fmac_f32_e32 v17, v21, v18
	v_add_f32_e32 v20, v30, v16
	v_add_f32_e32 v21, v31, v17
	ds_read2_b64 v[16:19], v12 offset0:160 offset1:176
	v_add_f32_e32 v26, v26, v32
	s_waitcnt lgkmcnt(0)
	v_mul_f32_e32 v30, v35, v17
	v_fma_f32 v30, v34, v16, -v30
	v_add_f32_e32 v28, v28, v30
	v_mul_f32_e32 v30, v35, v19
	v_fma_f32 v30, v34, v18, -v30
	v_mul_f32_e32 v31, v34, v17
	v_add_f32_e32 v24, v24, v30
	v_mul_f32_e32 v30, v23, v17
	v_mul_f32_e32 v17, v22, v17
	v_fmac_f32_e32 v17, v23, v16
	v_fmac_f32_e32 v31, v35, v16
	v_fma_f32 v30, v22, v16, -v30
	v_add_f32_e32 v27, v27, v17
	v_mul_f32_e32 v16, v23, v19
	v_mul_f32_e32 v17, v22, v19
	v_add_f32_e32 v29, v29, v31
	v_mul_f32_e32 v31, v34, v19
	v_fma_f32 v16, v22, v18, -v16
	v_fmac_f32_e32 v17, v23, v18
	v_fmac_f32_e32 v31, v35, v18
	v_add_f32_e32 v20, v20, v16
	v_add_f32_e32 v21, v21, v17
	ds_read2_b64 v[16:19], v12 offset0:192 offset1:208
	v_add_f32_e32 v26, v26, v30
	v_add_f32_e32 v25, v25, v31
	s_waitcnt lgkmcnt(0)
	v_mul_f32_e32 v22, v3, v17
	v_fma_f32 v22, v2, v16, -v22
	v_add_f32_e32 v30, v28, v22
	v_mul_f32_e32 v22, v3, v19
	v_mul_f32_e32 v23, v2, v17
	v_fma_f32 v22, v2, v18, -v22
	v_mul_f32_e32 v2, v2, v19
	v_fmac_f32_e32 v23, v3, v16
	v_fmac_f32_e32 v2, v3, v18
	v_add_f32_e32 v31, v29, v23
	v_add_f32_e32 v3, v24, v22
	;; [unrolled: 1-line block ×3, first 2 shown]
	ds_read_b128 v[22:25], v13 offset:1072
	s_waitcnt lgkmcnt(0)
	v_mul_f32_e32 v28, v23, v17
	v_fma_f32 v28, v22, v16, -v28
	v_mul_f32_e32 v17, v22, v17
	v_fmac_f32_e32 v17, v23, v16
	v_add_f32_e32 v16, v26, v28
	v_mul_f32_e32 v26, v23, v19
	v_fma_f32 v26, v22, v18, -v26
	v_add_f32_e32 v17, v27, v17
	v_add_f32_e32 v32, v20, v26
	ds_read2_b64 v[26:29], v12 offset0:224 offset1:240
	v_mul_f32_e32 v19, v22, v19
	v_fmac_f32_e32 v19, v23, v18
	v_add_f32_e32 v33, v21, v19
	s_waitcnt lgkmcnt(0)
	v_mul_f32_e32 v18, v5, v27
	v_fma_f32 v18, v4, v26, -v18
	v_add_f32_e32 v22, v30, v18
	v_mul_f32_e32 v18, v5, v29
	v_mul_f32_e32 v19, v4, v27
	v_fma_f32 v18, v4, v28, -v18
	v_mul_f32_e32 v4, v4, v29
	v_fmac_f32_e32 v4, v5, v28
	v_add_f32_e32 v20, v3, v18
	v_add_f32_e32 v21, v2, v4
	v_mul_f32_e32 v2, v25, v27
	v_mul_f32_e32 v3, v24, v27
	v_fmac_f32_e32 v19, v5, v26
	v_fma_f32 v2, v24, v26, -v2
	v_fmac_f32_e32 v3, v25, v26
	v_add_f32_e32 v23, v31, v19
	v_add_f32_e32 v18, v16, v2
	;; [unrolled: 1-line block ×3, first 2 shown]
	v_mul_f32_e32 v2, v25, v29
	v_mul_f32_e32 v3, v24, v29
	v_fma_f32 v2, v24, v28, -v2
	v_fmac_f32_e32 v3, v25, v28
	v_add_f32_e32 v17, v32, v2
	v_add_f32_e32 v16, v33, v3
	s_barrier
	s_cbranch_scc0 .LBB650_2
	s_branch .LBB650_4
.LBB650_3:
	v_mov_b32_e32 v22, 0
	v_mov_b32_e32 v23, 0
	;; [unrolled: 1-line block ×8, first 2 shown]
.LBB650_4:
	s_load_dword s8, s[4:5], 0x50
	v_add_u32_e32 v4, s7, v1
	s_waitcnt lgkmcnt(0)
	v_mov_b32_e32 v3, s11
	v_add_u32_e32 v0, s6, v0
	v_mad_i64_i32 v[1:2], s[0:1], v4, s8, 0
	v_cmp_le_i32_e64 s[0:1], v4, v0
	v_lshlrev_b64 v[1:2], 3, v[1:2]
	v_add_co_u32_e32 v5, vcc, s10, v1
	v_addc_co_u32_e32 v6, vcc, v3, v2, vcc
	v_cmp_gt_i32_e32 vcc, s20, v0
	s_and_b64 s[0:1], s[0:1], vcc
	s_and_saveexec_b64 s[2:3], s[0:1]
	s_cbranch_execz .LBB650_6
; %bb.5:
	v_ashrrev_i32_e32 v1, 31, v0
	v_lshlrev_b64 v[1:2], 3, v[0:1]
	v_mul_f32_e32 v3, s17, v23
	v_add_co_u32_e64 v1, s[0:1], v5, v1
	v_addc_co_u32_e64 v2, s[0:1], v6, v2, s[0:1]
	flat_load_dwordx2 v[7:8], v[1:2]
	v_mul_f32_e32 v9, s16, v23
	v_fma_f32 v3, v22, s16, -v3
	v_fmac_f32_e32 v9, s17, v22
	s_waitcnt vmcnt(0) lgkmcnt(0)
	v_mul_f32_e32 v10, s13, v8
	v_mul_f32_e32 v8, s12, v8
	v_fma_f32 v10, v7, s12, -v10
	v_fmac_f32_e32 v8, s13, v7
	v_add_f32_e32 v7, v3, v10
	v_add_f32_e32 v8, v9, v8
	flat_store_dwordx2 v[1:2], v[7:8]
.LBB650_6:
	s_or_b64 exec, exec, s[2:3]
	v_add_u32_e32 v2, 16, v0
	v_cmp_le_i32_e64 s[2:3], v4, v2
	v_cmp_gt_i32_e64 s[0:1], s20, v2
	s_and_b64 s[2:3], s[2:3], s[0:1]
	s_and_saveexec_b64 s[4:5], s[2:3]
	s_cbranch_execz .LBB650_8
; %bb.7:
	v_ashrrev_i32_e32 v3, 31, v2
	v_lshlrev_b64 v[7:8], 3, v[2:3]
	v_mul_f32_e32 v1, s17, v21
	v_add_co_u32_e64 v5, s[2:3], v5, v7
	v_addc_co_u32_e64 v6, s[2:3], v6, v8, s[2:3]
	flat_load_dwordx2 v[7:8], v[5:6]
	v_mul_f32_e32 v3, s16, v21
	v_fma_f32 v1, v20, s16, -v1
	v_fmac_f32_e32 v3, s17, v20
	s_waitcnt vmcnt(0) lgkmcnt(0)
	v_mul_f32_e32 v9, s13, v8
	v_mul_f32_e32 v8, s12, v8
	v_fma_f32 v9, v7, s12, -v9
	v_fmac_f32_e32 v8, s13, v7
	v_add_f32_e32 v7, v1, v9
	v_add_f32_e32 v8, v3, v8
	flat_store_dwordx2 v[5:6], v[7:8]
.LBB650_8:
	s_or_b64 exec, exec, s[4:5]
	v_add_u32_e32 v3, 16, v4
	v_mad_i64_i32 v[4:5], s[2:3], v3, s8, 0
	v_mov_b32_e32 v1, s11
	v_lshlrev_b64 v[4:5], 3, v[4:5]
	v_add_co_u32_e64 v4, s[2:3], s10, v4
	v_addc_co_u32_e64 v5, s[2:3], v1, v5, s[2:3]
	v_cmp_le_i32_e64 s[2:3], v3, v0
	s_and_b64 s[4:5], s[2:3], vcc
	s_and_saveexec_b64 s[2:3], s[4:5]
	s_cbranch_execz .LBB650_10
; %bb.9:
	v_ashrrev_i32_e32 v1, 31, v0
	v_lshlrev_b64 v[0:1], 3, v[0:1]
	v_mul_f32_e32 v8, s17, v19
	v_add_co_u32_e32 v0, vcc, v4, v0
	v_addc_co_u32_e32 v1, vcc, v5, v1, vcc
	flat_load_dwordx2 v[6:7], v[0:1]
	v_mul_f32_e32 v9, s16, v19
	v_fma_f32 v8, v18, s16, -v8
	v_fmac_f32_e32 v9, s17, v18
	s_waitcnt vmcnt(0) lgkmcnt(0)
	v_mul_f32_e32 v10, s13, v7
	v_mul_f32_e32 v7, s12, v7
	v_fma_f32 v10, v6, s12, -v10
	v_fmac_f32_e32 v7, s13, v6
	v_add_f32_e32 v6, v8, v10
	v_add_f32_e32 v7, v9, v7
	flat_store_dwordx2 v[0:1], v[6:7]
.LBB650_10:
	s_or_b64 exec, exec, s[2:3]
	v_cmp_le_i32_e32 vcc, v3, v2
	s_and_b64 s[0:1], vcc, s[0:1]
	s_and_saveexec_b64 s[2:3], s[0:1]
	s_cbranch_execz .LBB650_12
; %bb.11:
	v_ashrrev_i32_e32 v3, 31, v2
	v_lshlrev_b64 v[0:1], 3, v[2:3]
	v_add_co_u32_e32 v0, vcc, v4, v0
	v_addc_co_u32_e32 v1, vcc, v5, v1, vcc
	flat_load_dwordx2 v[2:3], v[0:1]
	v_mul_f32_e32 v4, s17, v16
	v_mul_f32_e32 v5, s16, v16
	v_fma_f32 v4, v17, s16, -v4
	v_fmac_f32_e32 v5, s17, v17
	s_waitcnt vmcnt(0) lgkmcnt(0)
	v_mul_f32_e32 v6, s13, v3
	v_mul_f32_e32 v3, s12, v3
	v_fma_f32 v6, v2, s12, -v6
	v_fmac_f32_e32 v3, s13, v2
	v_add_f32_e32 v2, v4, v6
	v_add_f32_e32 v3, v5, v3
	flat_store_dwordx2 v[0:1], v[2:3]
.LBB650_12:
	s_endpgm
	.section	.rodata,"a",@progbits
	.p2align	6, 0x0
	.amdhsa_kernel _ZL37rocblas_syrkx_herkx_restricted_kernelIi19rocblas_complex_numIfELi16ELi32ELi8ELb0ELb0ELc78ELc76EKPKS1_KPS1_EviT_T0_PT8_S7_lSA_S7_lS8_PT9_S7_li
		.amdhsa_group_segment_fixed_size 4096
		.amdhsa_private_segment_fixed_size 0
		.amdhsa_kernarg_size 100
		.amdhsa_user_sgpr_count 6
		.amdhsa_user_sgpr_private_segment_buffer 1
		.amdhsa_user_sgpr_dispatch_ptr 0
		.amdhsa_user_sgpr_queue_ptr 0
		.amdhsa_user_sgpr_kernarg_segment_ptr 1
		.amdhsa_user_sgpr_dispatch_id 0
		.amdhsa_user_sgpr_flat_scratch_init 0
		.amdhsa_user_sgpr_private_segment_size 0
		.amdhsa_uses_dynamic_stack 0
		.amdhsa_system_sgpr_private_segment_wavefront_offset 0
		.amdhsa_system_sgpr_workgroup_id_x 1
		.amdhsa_system_sgpr_workgroup_id_y 1
		.amdhsa_system_sgpr_workgroup_id_z 1
		.amdhsa_system_sgpr_workgroup_info 0
		.amdhsa_system_vgpr_workitem_id 1
		.amdhsa_next_free_vgpr 43
		.amdhsa_next_free_sgpr 24
		.amdhsa_reserve_vcc 1
		.amdhsa_reserve_flat_scratch 0
		.amdhsa_float_round_mode_32 0
		.amdhsa_float_round_mode_16_64 0
		.amdhsa_float_denorm_mode_32 3
		.amdhsa_float_denorm_mode_16_64 3
		.amdhsa_dx10_clamp 1
		.amdhsa_ieee_mode 1
		.amdhsa_fp16_overflow 0
		.amdhsa_exception_fp_ieee_invalid_op 0
		.amdhsa_exception_fp_denorm_src 0
		.amdhsa_exception_fp_ieee_div_zero 0
		.amdhsa_exception_fp_ieee_overflow 0
		.amdhsa_exception_fp_ieee_underflow 0
		.amdhsa_exception_fp_ieee_inexact 0
		.amdhsa_exception_int_div_zero 0
	.end_amdhsa_kernel
	.section	.text._ZL37rocblas_syrkx_herkx_restricted_kernelIi19rocblas_complex_numIfELi16ELi32ELi8ELb0ELb0ELc78ELc76EKPKS1_KPS1_EviT_T0_PT8_S7_lSA_S7_lS8_PT9_S7_li,"axG",@progbits,_ZL37rocblas_syrkx_herkx_restricted_kernelIi19rocblas_complex_numIfELi16ELi32ELi8ELb0ELb0ELc78ELc76EKPKS1_KPS1_EviT_T0_PT8_S7_lSA_S7_lS8_PT9_S7_li,comdat
.Lfunc_end650:
	.size	_ZL37rocblas_syrkx_herkx_restricted_kernelIi19rocblas_complex_numIfELi16ELi32ELi8ELb0ELb0ELc78ELc76EKPKS1_KPS1_EviT_T0_PT8_S7_lSA_S7_lS8_PT9_S7_li, .Lfunc_end650-_ZL37rocblas_syrkx_herkx_restricted_kernelIi19rocblas_complex_numIfELi16ELi32ELi8ELb0ELb0ELc78ELc76EKPKS1_KPS1_EviT_T0_PT8_S7_lSA_S7_lS8_PT9_S7_li
                                        ; -- End function
	.set _ZL37rocblas_syrkx_herkx_restricted_kernelIi19rocblas_complex_numIfELi16ELi32ELi8ELb0ELb0ELc78ELc76EKPKS1_KPS1_EviT_T0_PT8_S7_lSA_S7_lS8_PT9_S7_li.num_vgpr, 43
	.set _ZL37rocblas_syrkx_herkx_restricted_kernelIi19rocblas_complex_numIfELi16ELi32ELi8ELb0ELb0ELc78ELc76EKPKS1_KPS1_EviT_T0_PT8_S7_lSA_S7_lS8_PT9_S7_li.num_agpr, 0
	.set _ZL37rocblas_syrkx_herkx_restricted_kernelIi19rocblas_complex_numIfELi16ELi32ELi8ELb0ELb0ELc78ELc76EKPKS1_KPS1_EviT_T0_PT8_S7_lSA_S7_lS8_PT9_S7_li.numbered_sgpr, 24
	.set _ZL37rocblas_syrkx_herkx_restricted_kernelIi19rocblas_complex_numIfELi16ELi32ELi8ELb0ELb0ELc78ELc76EKPKS1_KPS1_EviT_T0_PT8_S7_lSA_S7_lS8_PT9_S7_li.num_named_barrier, 0
	.set _ZL37rocblas_syrkx_herkx_restricted_kernelIi19rocblas_complex_numIfELi16ELi32ELi8ELb0ELb0ELc78ELc76EKPKS1_KPS1_EviT_T0_PT8_S7_lSA_S7_lS8_PT9_S7_li.private_seg_size, 0
	.set _ZL37rocblas_syrkx_herkx_restricted_kernelIi19rocblas_complex_numIfELi16ELi32ELi8ELb0ELb0ELc78ELc76EKPKS1_KPS1_EviT_T0_PT8_S7_lSA_S7_lS8_PT9_S7_li.uses_vcc, 1
	.set _ZL37rocblas_syrkx_herkx_restricted_kernelIi19rocblas_complex_numIfELi16ELi32ELi8ELb0ELb0ELc78ELc76EKPKS1_KPS1_EviT_T0_PT8_S7_lSA_S7_lS8_PT9_S7_li.uses_flat_scratch, 0
	.set _ZL37rocblas_syrkx_herkx_restricted_kernelIi19rocblas_complex_numIfELi16ELi32ELi8ELb0ELb0ELc78ELc76EKPKS1_KPS1_EviT_T0_PT8_S7_lSA_S7_lS8_PT9_S7_li.has_dyn_sized_stack, 0
	.set _ZL37rocblas_syrkx_herkx_restricted_kernelIi19rocblas_complex_numIfELi16ELi32ELi8ELb0ELb0ELc78ELc76EKPKS1_KPS1_EviT_T0_PT8_S7_lSA_S7_lS8_PT9_S7_li.has_recursion, 0
	.set _ZL37rocblas_syrkx_herkx_restricted_kernelIi19rocblas_complex_numIfELi16ELi32ELi8ELb0ELb0ELc78ELc76EKPKS1_KPS1_EviT_T0_PT8_S7_lSA_S7_lS8_PT9_S7_li.has_indirect_call, 0
	.section	.AMDGPU.csdata,"",@progbits
; Kernel info:
; codeLenInByte = 2088
; TotalNumSgprs: 28
; NumVgprs: 43
; ScratchSize: 0
; MemoryBound: 0
; FloatMode: 240
; IeeeMode: 1
; LDSByteSize: 4096 bytes/workgroup (compile time only)
; SGPRBlocks: 3
; VGPRBlocks: 10
; NumSGPRsForWavesPerEU: 28
; NumVGPRsForWavesPerEU: 43
; Occupancy: 5
; WaveLimiterHint : 1
; COMPUTE_PGM_RSRC2:SCRATCH_EN: 0
; COMPUTE_PGM_RSRC2:USER_SGPR: 6
; COMPUTE_PGM_RSRC2:TRAP_HANDLER: 0
; COMPUTE_PGM_RSRC2:TGID_X_EN: 1
; COMPUTE_PGM_RSRC2:TGID_Y_EN: 1
; COMPUTE_PGM_RSRC2:TGID_Z_EN: 1
; COMPUTE_PGM_RSRC2:TIDIG_COMP_CNT: 1
	.section	.text._ZL37rocblas_syrkx_herkx_restricted_kernelIi19rocblas_complex_numIfELi16ELi32ELi8ELb0ELb0ELc84ELc85EKPKS1_KPS1_EviT_T0_PT8_S7_lSA_S7_lS8_PT9_S7_li,"axG",@progbits,_ZL37rocblas_syrkx_herkx_restricted_kernelIi19rocblas_complex_numIfELi16ELi32ELi8ELb0ELb0ELc84ELc85EKPKS1_KPS1_EviT_T0_PT8_S7_lSA_S7_lS8_PT9_S7_li,comdat
	.globl	_ZL37rocblas_syrkx_herkx_restricted_kernelIi19rocblas_complex_numIfELi16ELi32ELi8ELb0ELb0ELc84ELc85EKPKS1_KPS1_EviT_T0_PT8_S7_lSA_S7_lS8_PT9_S7_li ; -- Begin function _ZL37rocblas_syrkx_herkx_restricted_kernelIi19rocblas_complex_numIfELi16ELi32ELi8ELb0ELb0ELc84ELc85EKPKS1_KPS1_EviT_T0_PT8_S7_lSA_S7_lS8_PT9_S7_li
	.p2align	8
	.type	_ZL37rocblas_syrkx_herkx_restricted_kernelIi19rocblas_complex_numIfELi16ELi32ELi8ELb0ELb0ELc84ELc85EKPKS1_KPS1_EviT_T0_PT8_S7_lSA_S7_lS8_PT9_S7_li,@function
_ZL37rocblas_syrkx_herkx_restricted_kernelIi19rocblas_complex_numIfELi16ELi32ELi8ELb0ELb0ELc84ELc85EKPKS1_KPS1_EviT_T0_PT8_S7_lSA_S7_lS8_PT9_S7_li: ; @_ZL37rocblas_syrkx_herkx_restricted_kernelIi19rocblas_complex_numIfELi16ELi32ELi8ELb0ELb0ELc84ELc85EKPKS1_KPS1_EviT_T0_PT8_S7_lSA_S7_lS8_PT9_S7_li
; %bb.0:
	s_load_dwordx4 s[12:15], s[4:5], 0x40
	s_load_dwordx2 s[2:3], s[4:5], 0x0
	s_load_dwordx4 s[16:19], s[4:5], 0x8
	s_mov_b32 s9, 0
	s_lshl_b64 s[0:1], s[8:9], 3
	s_waitcnt lgkmcnt(0)
	s_add_u32 s10, s14, s0
	s_addc_u32 s11, s15, s1
	s_load_dwordx2 s[10:11], s[10:11], 0x0
	s_lshl_b32 s6, s6, 5
	s_lshl_b32 s7, s7, 5
	s_cmp_lt_i32 s3, 1
	s_cbranch_scc1 .LBB651_3
; %bb.1:
	s_load_dword s8, s[4:5], 0x18
	s_load_dwordx2 s[14:15], s[4:5], 0x28
	s_load_dword s20, s[4:5], 0x30
	v_lshl_add_u32 v3, v1, 4, v0
	v_and_b32_e32 v7, 31, v3
	s_add_u32 s18, s18, s0
	v_lshrrev_b32_e32 v2, 5, v3
	v_and_b32_e32 v9, 7, v0
	v_lshlrev_b32_e32 v8, 3, v7
	s_addc_u32 s19, s19, s1
	v_lshrrev_b32_e32 v6, 3, v3
	v_lshl_or_b32 v11, v2, 8, v8
	v_lshlrev_b32_e32 v8, 3, v9
	s_waitcnt lgkmcnt(0)
	s_add_u32 s0, s14, s0
	v_add_u32_e32 v3, s7, v6
	v_mov_b32_e32 v10, 0
	v_lshl_or_b32 v6, v6, 6, v8
	s_addc_u32 s1, s15, s1
	v_mad_i64_i32 v[4:5], s[14:15], s20, v3, v[9:10]
	v_mov_b32_e32 v3, v10
	v_add_u32_e32 v12, 0x800, v6
	v_add_u32_e32 v6, s6, v7
	v_mad_i64_i32 v[2:3], s[14:15], s8, v6, v[2:3]
	s_load_dwordx2 s[18:19], s[18:19], 0x0
	v_mov_b32_e32 v6, 0x800
	s_load_dwordx2 s[0:1], s[0:1], 0x0
	v_lshlrev_b64 v[2:3], 3, v[2:3]
	v_lshl_add_u32 v14, v1, 6, v6
	s_waitcnt lgkmcnt(0)
	v_mov_b32_e32 v7, s19
	v_add_co_u32_e32 v6, vcc, s18, v2
	v_addc_co_u32_e32 v7, vcc, v7, v3, vcc
	v_lshlrev_b64 v[2:3], 3, v[4:5]
	v_mov_b32_e32 v4, s1
	v_add_co_u32_e32 v8, vcc, s0, v2
	v_lshlrev_b32_e32 v13, 3, v0
	v_addc_co_u32_e32 v9, vcc, v4, v3, vcc
	v_mov_b32_e32 v15, v10
	v_mov_b32_e32 v17, v10
	;; [unrolled: 1-line block ×7, first 2 shown]
.LBB651_2:                              ; =>This Inner Loop Header: Depth=1
	flat_load_dwordx2 v[2:3], v[6:7]
	v_add_co_u32_e32 v6, vcc, 64, v6
	v_addc_co_u32_e32 v7, vcc, 0, v7, vcc
	s_add_i32 s9, s9, 8
	s_cmp_ge_i32 s9, s3
	s_waitcnt vmcnt(0) lgkmcnt(0)
	ds_write_b64 v11, v[2:3]
	flat_load_dwordx2 v[2:3], v[8:9]
	v_add_co_u32_e32 v8, vcc, 64, v8
	v_addc_co_u32_e32 v9, vcc, 0, v9, vcc
	s_waitcnt vmcnt(0) lgkmcnt(0)
	ds_write_b64 v12, v[2:3]
	s_waitcnt lgkmcnt(0)
	s_barrier
	ds_read_b128 v[22:25], v14
	ds_read_b128 v[26:29], v14 offset:16
	ds_read_b128 v[30:33], v14 offset:32
	;; [unrolled: 1-line block ×3, first 2 shown]
	ds_read2_b64 v[34:37], v13 offset1:16
	s_waitcnt lgkmcnt(0)
	v_mul_f32_e32 v38, v23, v35
	v_mul_f32_e32 v39, v22, v35
	v_fma_f32 v38, v22, v34, -v38
	v_fmac_f32_e32 v39, v23, v34
	v_add_f32_e32 v38, v20, v38
	v_add_f32_e32 v39, v21, v39
	v_mul_f32_e32 v20, v23, v37
	v_mul_f32_e32 v21, v22, v37
	v_fma_f32 v20, v22, v36, -v20
	v_fmac_f32_e32 v21, v23, v36
	v_add_f32_e32 v22, v18, v20
	v_add_f32_e32 v23, v19, v21
	ds_read_b128 v[18:21], v14 offset:1024
	s_waitcnt lgkmcnt(0)
	v_mul_f32_e32 v40, v19, v35
	v_mul_f32_e32 v35, v18, v35
	v_fma_f32 v40, v18, v34, -v40
	v_fmac_f32_e32 v35, v19, v34
	v_add_f32_e32 v34, v16, v40
	v_add_f32_e32 v35, v17, v35
	v_mul_f32_e32 v16, v19, v37
	v_mul_f32_e32 v17, v18, v37
	v_fma_f32 v16, v18, v36, -v16
	v_fmac_f32_e32 v17, v19, v36
	v_add_f32_e32 v19, v15, v16
	v_add_f32_e32 v10, v10, v17
	ds_read2_b64 v[15:18], v13 offset0:32 offset1:48
	s_waitcnt lgkmcnt(0)
	v_mul_f32_e32 v36, v25, v16
	v_fma_f32 v36, v24, v15, -v36
	v_add_f32_e32 v36, v38, v36
	v_mul_f32_e32 v38, v25, v18
	v_mul_f32_e32 v37, v24, v16
	v_fma_f32 v38, v24, v17, -v38
	v_mul_f32_e32 v24, v24, v18
	v_fmac_f32_e32 v24, v25, v17
	v_add_f32_e32 v23, v23, v24
	v_mul_f32_e32 v24, v21, v16
	v_mul_f32_e32 v16, v20, v16
	v_fmac_f32_e32 v16, v21, v15
	v_fmac_f32_e32 v37, v25, v15
	v_fma_f32 v24, v20, v15, -v24
	v_add_f32_e32 v25, v35, v16
	v_mul_f32_e32 v15, v21, v18
	v_mul_f32_e32 v16, v20, v18
	v_fma_f32 v15, v20, v17, -v15
	v_fmac_f32_e32 v16, v21, v17
	v_add_f32_e32 v24, v34, v24
	v_add_f32_e32 v34, v19, v15
	;; [unrolled: 1-line block ×3, first 2 shown]
	ds_read2_b64 v[15:18], v13 offset0:64 offset1:80
	v_add_f32_e32 v37, v39, v37
	v_add_f32_e32 v22, v22, v38
	s_waitcnt lgkmcnt(0)
	v_mul_f32_e32 v19, v27, v16
	v_mul_f32_e32 v20, v26, v16
	v_fma_f32 v19, v26, v15, -v19
	v_fmac_f32_e32 v20, v27, v15
	v_add_f32_e32 v35, v36, v19
	v_add_f32_e32 v36, v37, v20
	v_mul_f32_e32 v19, v27, v18
	v_mul_f32_e32 v20, v26, v18
	v_fma_f32 v19, v26, v17, -v19
	v_fmac_f32_e32 v20, v27, v17
	v_add_f32_e32 v26, v22, v19
	v_add_f32_e32 v23, v23, v20
	ds_read_b128 v[19:22], v14 offset:1040
	s_waitcnt lgkmcnt(0)
	v_mul_f32_e32 v27, v20, v16
	v_mul_f32_e32 v16, v19, v16
	v_fmac_f32_e32 v16, v20, v15
	v_fma_f32 v27, v19, v15, -v27
	v_add_f32_e32 v25, v25, v16
	v_mul_f32_e32 v15, v20, v18
	v_mul_f32_e32 v16, v19, v18
	v_fma_f32 v15, v19, v17, -v15
	v_fmac_f32_e32 v16, v20, v17
	v_add_f32_e32 v19, v34, v15
	v_add_f32_e32 v10, v10, v16
	ds_read2_b64 v[15:18], v13 offset0:96 offset1:112
	v_add_f32_e32 v24, v24, v27
	s_waitcnt lgkmcnt(0)
	v_mul_f32_e32 v20, v29, v16
	v_mul_f32_e32 v34, v29, v18
	v_fma_f32 v20, v28, v15, -v20
	v_mul_f32_e32 v27, v28, v16
	v_fma_f32 v34, v28, v17, -v34
	v_mul_f32_e32 v28, v28, v18
	v_fmac_f32_e32 v28, v29, v17
	v_add_f32_e32 v23, v23, v28
	v_mul_f32_e32 v28, v22, v16
	v_mul_f32_e32 v16, v21, v16
	v_fmac_f32_e32 v16, v22, v15
	v_fmac_f32_e32 v27, v29, v15
	v_fma_f32 v28, v21, v15, -v28
	v_add_f32_e32 v25, v25, v16
	v_mul_f32_e32 v15, v22, v18
	v_mul_f32_e32 v16, v21, v18
	v_fma_f32 v15, v21, v17, -v15
	v_fmac_f32_e32 v16, v22, v17
	v_add_f32_e32 v24, v24, v28
	v_add_f32_e32 v28, v19, v15
	;; [unrolled: 1-line block ×3, first 2 shown]
	ds_read2_b64 v[15:18], v13 offset0:128 offset1:144
	v_add_f32_e32 v20, v35, v20
	v_add_f32_e32 v27, v36, v27
	;; [unrolled: 1-line block ×3, first 2 shown]
	s_waitcnt lgkmcnt(0)
	v_mul_f32_e32 v19, v31, v16
	v_fma_f32 v19, v30, v15, -v19
	v_mul_f32_e32 v21, v30, v16
	v_add_f32_e32 v29, v20, v19
	v_mul_f32_e32 v19, v31, v18
	v_mul_f32_e32 v20, v30, v18
	v_fmac_f32_e32 v21, v31, v15
	v_fma_f32 v19, v30, v17, -v19
	v_fmac_f32_e32 v20, v31, v17
	v_add_f32_e32 v27, v27, v21
	v_add_f32_e32 v26, v26, v19
	;; [unrolled: 1-line block ×3, first 2 shown]
	ds_read_b128 v[19:22], v14 offset:1056
	s_waitcnt lgkmcnt(0)
	v_mul_f32_e32 v30, v20, v16
	v_mul_f32_e32 v16, v19, v16
	v_fmac_f32_e32 v16, v20, v15
	v_fma_f32 v30, v19, v15, -v30
	v_add_f32_e32 v25, v25, v16
	v_mul_f32_e32 v15, v20, v18
	v_mul_f32_e32 v16, v19, v18
	v_fma_f32 v15, v19, v17, -v15
	v_fmac_f32_e32 v16, v20, v17
	v_add_f32_e32 v19, v28, v15
	v_add_f32_e32 v10, v10, v16
	ds_read2_b64 v[15:18], v13 offset0:160 offset1:176
	v_add_f32_e32 v24, v24, v30
	s_waitcnt lgkmcnt(0)
	v_mul_f32_e32 v28, v32, v16
	v_fmac_f32_e32 v28, v33, v15
	v_add_f32_e32 v27, v27, v28
	v_mul_f32_e32 v28, v33, v18
	v_fma_f32 v28, v32, v17, -v28
	v_mul_f32_e32 v20, v33, v16
	v_add_f32_e32 v26, v26, v28
	v_mul_f32_e32 v28, v22, v16
	v_mul_f32_e32 v16, v21, v16
	v_fmac_f32_e32 v16, v22, v15
	v_fma_f32 v20, v32, v15, -v20
	v_fma_f32 v28, v21, v15, -v28
	v_add_f32_e32 v25, v25, v16
	v_mul_f32_e32 v15, v22, v18
	v_mul_f32_e32 v16, v21, v18
	v_add_f32_e32 v20, v29, v20
	v_mul_f32_e32 v29, v32, v18
	v_fma_f32 v15, v21, v17, -v15
	v_fmac_f32_e32 v16, v22, v17
	v_fmac_f32_e32 v29, v33, v17
	v_add_f32_e32 v19, v19, v15
	v_add_f32_e32 v10, v10, v16
	ds_read2_b64 v[15:18], v13 offset0:192 offset1:208
	v_add_f32_e32 v24, v24, v28
	v_add_f32_e32 v23, v23, v29
	s_waitcnt lgkmcnt(0)
	v_mul_f32_e32 v21, v3, v16
	v_fma_f32 v21, v2, v15, -v21
	v_add_f32_e32 v28, v20, v21
	v_mul_f32_e32 v20, v3, v18
	v_mul_f32_e32 v22, v2, v16
	v_fma_f32 v20, v2, v17, -v20
	v_mul_f32_e32 v2, v2, v18
	v_fmac_f32_e32 v22, v3, v15
	v_fmac_f32_e32 v2, v3, v17
	v_add_f32_e32 v29, v27, v22
	v_add_f32_e32 v3, v26, v20
	;; [unrolled: 1-line block ×3, first 2 shown]
	ds_read_b128 v[20:23], v14 offset:1072
	s_waitcnt lgkmcnt(0)
	v_mul_f32_e32 v26, v21, v16
	v_mul_f32_e32 v16, v20, v16
	v_fma_f32 v26, v20, v15, -v26
	v_fmac_f32_e32 v16, v21, v15
	v_add_f32_e32 v15, v24, v26
	v_add_f32_e32 v30, v25, v16
	ds_read2_b64 v[24:27], v13 offset0:224 offset1:240
	v_mul_f32_e32 v16, v21, v18
	v_fma_f32 v16, v20, v17, -v16
	v_add_f32_e32 v31, v19, v16
	v_mul_f32_e32 v18, v20, v18
	s_waitcnt lgkmcnt(0)
	v_mul_f32_e32 v16, v5, v25
	v_fma_f32 v16, v4, v24, -v16
	v_add_f32_e32 v20, v28, v16
	v_mul_f32_e32 v16, v5, v27
	v_fmac_f32_e32 v18, v21, v17
	v_mul_f32_e32 v17, v4, v25
	v_fma_f32 v16, v4, v26, -v16
	v_mul_f32_e32 v4, v4, v27
	v_fmac_f32_e32 v4, v5, v26
	v_add_f32_e32 v10, v10, v18
	v_add_f32_e32 v18, v3, v16
	;; [unrolled: 1-line block ×3, first 2 shown]
	v_mul_f32_e32 v2, v23, v25
	v_mul_f32_e32 v3, v22, v25
	v_fmac_f32_e32 v17, v5, v24
	v_fma_f32 v2, v22, v24, -v2
	v_fmac_f32_e32 v3, v23, v24
	v_add_f32_e32 v21, v29, v17
	v_add_f32_e32 v16, v15, v2
	v_add_f32_e32 v17, v30, v3
	v_mul_f32_e32 v2, v23, v27
	v_mul_f32_e32 v3, v22, v27
	v_fma_f32 v2, v22, v26, -v2
	v_fmac_f32_e32 v3, v23, v26
	v_add_f32_e32 v15, v31, v2
	v_add_f32_e32 v10, v10, v3
	s_barrier
	s_cbranch_scc0 .LBB651_2
	s_branch .LBB651_4
.LBB651_3:
	v_mov_b32_e32 v20, 0
	v_mov_b32_e32 v21, 0
	v_mov_b32_e32 v18, 0
	v_mov_b32_e32 v19, 0
	v_mov_b32_e32 v16, 0
	v_mov_b32_e32 v17, 0
	v_mov_b32_e32 v15, 0
	v_mov_b32_e32 v10, 0
.LBB651_4:
	s_load_dword s3, s[4:5], 0x50
	v_add_u32_e32 v4, s7, v1
	s_waitcnt lgkmcnt(0)
	v_mov_b32_e32 v3, s11
	v_add_u32_e32 v0, s6, v0
	v_cmp_gt_i32_e32 vcc, s2, v4
	v_mad_i64_i32 v[1:2], s[0:1], v4, s3, 0
	v_lshlrev_b64 v[1:2], 3, v[1:2]
	v_add_co_u32_e64 v5, s[0:1], s10, v1
	v_addc_co_u32_e64 v6, s[0:1], v3, v2, s[0:1]
	v_cmp_le_i32_e64 s[0:1], v0, v4
	s_and_b64 s[0:1], vcc, s[0:1]
	s_and_saveexec_b64 s[4:5], s[0:1]
	s_cbranch_execz .LBB651_6
; %bb.5:
	v_ashrrev_i32_e32 v1, 31, v0
	v_lshlrev_b64 v[1:2], 3, v[0:1]
	v_mul_f32_e32 v3, s17, v21
	v_add_co_u32_e64 v1, s[0:1], v5, v1
	v_addc_co_u32_e64 v2, s[0:1], v6, v2, s[0:1]
	flat_load_dwordx2 v[7:8], v[1:2]
	v_mul_f32_e32 v9, s16, v21
	v_fma_f32 v3, v20, s16, -v3
	v_fmac_f32_e32 v9, s17, v20
	s_waitcnt vmcnt(0) lgkmcnt(0)
	v_mul_f32_e32 v11, s13, v8
	v_mul_f32_e32 v8, s12, v8
	v_fma_f32 v11, v7, s12, -v11
	v_fmac_f32_e32 v8, s13, v7
	v_add_f32_e32 v7, v3, v11
	v_add_f32_e32 v8, v9, v8
	flat_store_dwordx2 v[1:2], v[7:8]
.LBB651_6:
	s_or_b64 exec, exec, s[4:5]
	v_add_u32_e32 v2, 16, v0
	v_cmp_le_i32_e64 s[0:1], v2, v4
	s_and_b64 s[4:5], vcc, s[0:1]
	s_and_saveexec_b64 s[0:1], s[4:5]
	s_cbranch_execz .LBB651_8
; %bb.7:
	v_ashrrev_i32_e32 v3, 31, v2
	v_lshlrev_b64 v[7:8], 3, v[2:3]
	v_mul_f32_e32 v1, s17, v19
	v_add_co_u32_e32 v5, vcc, v5, v7
	v_addc_co_u32_e32 v6, vcc, v6, v8, vcc
	flat_load_dwordx2 v[7:8], v[5:6]
	v_mul_f32_e32 v3, s16, v19
	v_fma_f32 v1, v18, s16, -v1
	v_fmac_f32_e32 v3, s17, v18
	s_waitcnt vmcnt(0) lgkmcnt(0)
	v_mul_f32_e32 v9, s13, v8
	v_mul_f32_e32 v8, s12, v8
	v_fma_f32 v9, v7, s12, -v9
	v_fmac_f32_e32 v8, s13, v7
	v_add_f32_e32 v7, v1, v9
	v_add_f32_e32 v8, v3, v8
	flat_store_dwordx2 v[5:6], v[7:8]
.LBB651_8:
	s_or_b64 exec, exec, s[0:1]
	v_add_u32_e32 v3, 16, v4
	v_mad_i64_i32 v[4:5], s[0:1], v3, s3, 0
	v_mov_b32_e32 v1, s11
	v_cmp_gt_i32_e32 vcc, s2, v3
	v_lshlrev_b64 v[4:5], 3, v[4:5]
	v_add_co_u32_e64 v4, s[0:1], s10, v4
	v_addc_co_u32_e64 v5, s[0:1], v1, v5, s[0:1]
	v_cmp_le_i32_e64 s[0:1], v0, v3
	s_and_b64 s[0:1], vcc, s[0:1]
	s_and_saveexec_b64 s[2:3], s[0:1]
	s_cbranch_execz .LBB651_10
; %bb.9:
	v_ashrrev_i32_e32 v1, 31, v0
	v_lshlrev_b64 v[0:1], 3, v[0:1]
	v_mul_f32_e32 v8, s17, v17
	v_add_co_u32_e64 v0, s[0:1], v4, v0
	v_addc_co_u32_e64 v1, s[0:1], v5, v1, s[0:1]
	flat_load_dwordx2 v[6:7], v[0:1]
	v_mul_f32_e32 v9, s16, v17
	v_fma_f32 v8, v16, s16, -v8
	v_fmac_f32_e32 v9, s17, v16
	s_waitcnt vmcnt(0) lgkmcnt(0)
	v_mul_f32_e32 v11, s13, v7
	v_mul_f32_e32 v7, s12, v7
	v_fma_f32 v11, v6, s12, -v11
	v_fmac_f32_e32 v7, s13, v6
	v_add_f32_e32 v6, v8, v11
	v_add_f32_e32 v7, v9, v7
	flat_store_dwordx2 v[0:1], v[6:7]
.LBB651_10:
	s_or_b64 exec, exec, s[2:3]
	v_cmp_le_i32_e64 s[0:1], v2, v3
	s_and_b64 s[0:1], vcc, s[0:1]
	s_and_saveexec_b64 s[2:3], s[0:1]
	s_cbranch_execz .LBB651_12
; %bb.11:
	v_ashrrev_i32_e32 v3, 31, v2
	v_lshlrev_b64 v[0:1], 3, v[2:3]
	v_add_co_u32_e32 v0, vcc, v4, v0
	v_addc_co_u32_e32 v1, vcc, v5, v1, vcc
	flat_load_dwordx2 v[2:3], v[0:1]
	v_mul_f32_e32 v4, s17, v10
	v_mul_f32_e32 v5, s16, v10
	v_fma_f32 v4, v15, s16, -v4
	v_fmac_f32_e32 v5, s17, v15
	s_waitcnt vmcnt(0) lgkmcnt(0)
	v_mul_f32_e32 v6, s13, v3
	v_mul_f32_e32 v3, s12, v3
	v_fma_f32 v6, v2, s12, -v6
	v_fmac_f32_e32 v3, s13, v2
	v_add_f32_e32 v2, v4, v6
	v_add_f32_e32 v3, v5, v3
	flat_store_dwordx2 v[0:1], v[2:3]
.LBB651_12:
	s_endpgm
	.section	.rodata,"a",@progbits
	.p2align	6, 0x0
	.amdhsa_kernel _ZL37rocblas_syrkx_herkx_restricted_kernelIi19rocblas_complex_numIfELi16ELi32ELi8ELb0ELb0ELc84ELc85EKPKS1_KPS1_EviT_T0_PT8_S7_lSA_S7_lS8_PT9_S7_li
		.amdhsa_group_segment_fixed_size 4096
		.amdhsa_private_segment_fixed_size 0
		.amdhsa_kernarg_size 100
		.amdhsa_user_sgpr_count 6
		.amdhsa_user_sgpr_private_segment_buffer 1
		.amdhsa_user_sgpr_dispatch_ptr 0
		.amdhsa_user_sgpr_queue_ptr 0
		.amdhsa_user_sgpr_kernarg_segment_ptr 1
		.amdhsa_user_sgpr_dispatch_id 0
		.amdhsa_user_sgpr_flat_scratch_init 0
		.amdhsa_user_sgpr_private_segment_size 0
		.amdhsa_uses_dynamic_stack 0
		.amdhsa_system_sgpr_private_segment_wavefront_offset 0
		.amdhsa_system_sgpr_workgroup_id_x 1
		.amdhsa_system_sgpr_workgroup_id_y 1
		.amdhsa_system_sgpr_workgroup_id_z 1
		.amdhsa_system_sgpr_workgroup_info 0
		.amdhsa_system_vgpr_workitem_id 1
		.amdhsa_next_free_vgpr 41
		.amdhsa_next_free_sgpr 21
		.amdhsa_reserve_vcc 1
		.amdhsa_reserve_flat_scratch 0
		.amdhsa_float_round_mode_32 0
		.amdhsa_float_round_mode_16_64 0
		.amdhsa_float_denorm_mode_32 3
		.amdhsa_float_denorm_mode_16_64 3
		.amdhsa_dx10_clamp 1
		.amdhsa_ieee_mode 1
		.amdhsa_fp16_overflow 0
		.amdhsa_exception_fp_ieee_invalid_op 0
		.amdhsa_exception_fp_denorm_src 0
		.amdhsa_exception_fp_ieee_div_zero 0
		.amdhsa_exception_fp_ieee_overflow 0
		.amdhsa_exception_fp_ieee_underflow 0
		.amdhsa_exception_fp_ieee_inexact 0
		.amdhsa_exception_int_div_zero 0
	.end_amdhsa_kernel
	.section	.text._ZL37rocblas_syrkx_herkx_restricted_kernelIi19rocblas_complex_numIfELi16ELi32ELi8ELb0ELb0ELc84ELc85EKPKS1_KPS1_EviT_T0_PT8_S7_lSA_S7_lS8_PT9_S7_li,"axG",@progbits,_ZL37rocblas_syrkx_herkx_restricted_kernelIi19rocblas_complex_numIfELi16ELi32ELi8ELb0ELb0ELc84ELc85EKPKS1_KPS1_EviT_T0_PT8_S7_lSA_S7_lS8_PT9_S7_li,comdat
.Lfunc_end651:
	.size	_ZL37rocblas_syrkx_herkx_restricted_kernelIi19rocblas_complex_numIfELi16ELi32ELi8ELb0ELb0ELc84ELc85EKPKS1_KPS1_EviT_T0_PT8_S7_lSA_S7_lS8_PT9_S7_li, .Lfunc_end651-_ZL37rocblas_syrkx_herkx_restricted_kernelIi19rocblas_complex_numIfELi16ELi32ELi8ELb0ELb0ELc84ELc85EKPKS1_KPS1_EviT_T0_PT8_S7_lSA_S7_lS8_PT9_S7_li
                                        ; -- End function
	.set _ZL37rocblas_syrkx_herkx_restricted_kernelIi19rocblas_complex_numIfELi16ELi32ELi8ELb0ELb0ELc84ELc85EKPKS1_KPS1_EviT_T0_PT8_S7_lSA_S7_lS8_PT9_S7_li.num_vgpr, 41
	.set _ZL37rocblas_syrkx_herkx_restricted_kernelIi19rocblas_complex_numIfELi16ELi32ELi8ELb0ELb0ELc84ELc85EKPKS1_KPS1_EviT_T0_PT8_S7_lSA_S7_lS8_PT9_S7_li.num_agpr, 0
	.set _ZL37rocblas_syrkx_herkx_restricted_kernelIi19rocblas_complex_numIfELi16ELi32ELi8ELb0ELb0ELc84ELc85EKPKS1_KPS1_EviT_T0_PT8_S7_lSA_S7_lS8_PT9_S7_li.numbered_sgpr, 21
	.set _ZL37rocblas_syrkx_herkx_restricted_kernelIi19rocblas_complex_numIfELi16ELi32ELi8ELb0ELb0ELc84ELc85EKPKS1_KPS1_EviT_T0_PT8_S7_lSA_S7_lS8_PT9_S7_li.num_named_barrier, 0
	.set _ZL37rocblas_syrkx_herkx_restricted_kernelIi19rocblas_complex_numIfELi16ELi32ELi8ELb0ELb0ELc84ELc85EKPKS1_KPS1_EviT_T0_PT8_S7_lSA_S7_lS8_PT9_S7_li.private_seg_size, 0
	.set _ZL37rocblas_syrkx_herkx_restricted_kernelIi19rocblas_complex_numIfELi16ELi32ELi8ELb0ELb0ELc84ELc85EKPKS1_KPS1_EviT_T0_PT8_S7_lSA_S7_lS8_PT9_S7_li.uses_vcc, 1
	.set _ZL37rocblas_syrkx_herkx_restricted_kernelIi19rocblas_complex_numIfELi16ELi32ELi8ELb0ELb0ELc84ELc85EKPKS1_KPS1_EviT_T0_PT8_S7_lSA_S7_lS8_PT9_S7_li.uses_flat_scratch, 0
	.set _ZL37rocblas_syrkx_herkx_restricted_kernelIi19rocblas_complex_numIfELi16ELi32ELi8ELb0ELb0ELc84ELc85EKPKS1_KPS1_EviT_T0_PT8_S7_lSA_S7_lS8_PT9_S7_li.has_dyn_sized_stack, 0
	.set _ZL37rocblas_syrkx_herkx_restricted_kernelIi19rocblas_complex_numIfELi16ELi32ELi8ELb0ELb0ELc84ELc85EKPKS1_KPS1_EviT_T0_PT8_S7_lSA_S7_lS8_PT9_S7_li.has_recursion, 0
	.set _ZL37rocblas_syrkx_herkx_restricted_kernelIi19rocblas_complex_numIfELi16ELi32ELi8ELb0ELb0ELc84ELc85EKPKS1_KPS1_EviT_T0_PT8_S7_lSA_S7_lS8_PT9_S7_li.has_indirect_call, 0
	.section	.AMDGPU.csdata,"",@progbits
; Kernel info:
; codeLenInByte = 2068
; TotalNumSgprs: 25
; NumVgprs: 41
; ScratchSize: 0
; MemoryBound: 0
; FloatMode: 240
; IeeeMode: 1
; LDSByteSize: 4096 bytes/workgroup (compile time only)
; SGPRBlocks: 3
; VGPRBlocks: 10
; NumSGPRsForWavesPerEU: 25
; NumVGPRsForWavesPerEU: 41
; Occupancy: 5
; WaveLimiterHint : 1
; COMPUTE_PGM_RSRC2:SCRATCH_EN: 0
; COMPUTE_PGM_RSRC2:USER_SGPR: 6
; COMPUTE_PGM_RSRC2:TRAP_HANDLER: 0
; COMPUTE_PGM_RSRC2:TGID_X_EN: 1
; COMPUTE_PGM_RSRC2:TGID_Y_EN: 1
; COMPUTE_PGM_RSRC2:TGID_Z_EN: 1
; COMPUTE_PGM_RSRC2:TIDIG_COMP_CNT: 1
	.section	.text._ZL37rocblas_syrkx_herkx_restricted_kernelIi19rocblas_complex_numIfELi16ELi32ELi8ELb0ELb0ELc67ELc85EKPKS1_KPS1_EviT_T0_PT8_S7_lSA_S7_lS8_PT9_S7_li,"axG",@progbits,_ZL37rocblas_syrkx_herkx_restricted_kernelIi19rocblas_complex_numIfELi16ELi32ELi8ELb0ELb0ELc67ELc85EKPKS1_KPS1_EviT_T0_PT8_S7_lSA_S7_lS8_PT9_S7_li,comdat
	.globl	_ZL37rocblas_syrkx_herkx_restricted_kernelIi19rocblas_complex_numIfELi16ELi32ELi8ELb0ELb0ELc67ELc85EKPKS1_KPS1_EviT_T0_PT8_S7_lSA_S7_lS8_PT9_S7_li ; -- Begin function _ZL37rocblas_syrkx_herkx_restricted_kernelIi19rocblas_complex_numIfELi16ELi32ELi8ELb0ELb0ELc67ELc85EKPKS1_KPS1_EviT_T0_PT8_S7_lSA_S7_lS8_PT9_S7_li
	.p2align	8
	.type	_ZL37rocblas_syrkx_herkx_restricted_kernelIi19rocblas_complex_numIfELi16ELi32ELi8ELb0ELb0ELc67ELc85EKPKS1_KPS1_EviT_T0_PT8_S7_lSA_S7_lS8_PT9_S7_li,@function
_ZL37rocblas_syrkx_herkx_restricted_kernelIi19rocblas_complex_numIfELi16ELi32ELi8ELb0ELb0ELc67ELc85EKPKS1_KPS1_EviT_T0_PT8_S7_lSA_S7_lS8_PT9_S7_li: ; @_ZL37rocblas_syrkx_herkx_restricted_kernelIi19rocblas_complex_numIfELi16ELi32ELi8ELb0ELb0ELc67ELc85EKPKS1_KPS1_EviT_T0_PT8_S7_lSA_S7_lS8_PT9_S7_li
; %bb.0:
	s_load_dwordx4 s[12:15], s[4:5], 0x40
	s_load_dwordx2 s[2:3], s[4:5], 0x0
	s_load_dwordx4 s[16:19], s[4:5], 0x8
	s_mov_b32 s9, 0
	s_lshl_b64 s[0:1], s[8:9], 3
	s_waitcnt lgkmcnt(0)
	s_add_u32 s10, s14, s0
	s_addc_u32 s11, s15, s1
	s_load_dwordx2 s[10:11], s[10:11], 0x0
	s_lshl_b32 s6, s6, 5
	s_lshl_b32 s7, s7, 5
	s_cmp_lt_i32 s3, 1
	s_cbranch_scc1 .LBB652_3
; %bb.1:
	s_load_dword s8, s[4:5], 0x18
	s_load_dwordx2 s[14:15], s[4:5], 0x28
	s_load_dword s20, s[4:5], 0x30
	v_lshl_add_u32 v3, v1, 4, v0
	v_and_b32_e32 v7, 31, v3
	s_add_u32 s18, s18, s0
	v_lshrrev_b32_e32 v2, 5, v3
	v_and_b32_e32 v9, 7, v0
	v_lshlrev_b32_e32 v8, 3, v7
	s_addc_u32 s19, s19, s1
	v_lshrrev_b32_e32 v6, 3, v3
	v_lshl_or_b32 v11, v2, 8, v8
	v_lshlrev_b32_e32 v8, 3, v9
	s_waitcnt lgkmcnt(0)
	s_add_u32 s0, s14, s0
	v_add_u32_e32 v3, s7, v6
	v_mov_b32_e32 v10, 0
	v_lshl_or_b32 v6, v6, 6, v8
	s_addc_u32 s1, s15, s1
	v_mad_i64_i32 v[4:5], s[14:15], s20, v3, v[9:10]
	v_mov_b32_e32 v3, v10
	v_add_u32_e32 v12, 0x800, v6
	v_add_u32_e32 v6, s6, v7
	v_mad_i64_i32 v[2:3], s[14:15], s8, v6, v[2:3]
	s_load_dwordx2 s[18:19], s[18:19], 0x0
	v_mov_b32_e32 v6, 0x800
	s_load_dwordx2 s[0:1], s[0:1], 0x0
	v_lshlrev_b64 v[2:3], 3, v[2:3]
	v_lshl_add_u32 v14, v1, 6, v6
	s_waitcnt lgkmcnt(0)
	v_mov_b32_e32 v7, s19
	v_add_co_u32_e32 v6, vcc, s18, v2
	v_addc_co_u32_e32 v7, vcc, v7, v3, vcc
	v_lshlrev_b64 v[2:3], 3, v[4:5]
	v_mov_b32_e32 v4, s1
	v_add_co_u32_e32 v8, vcc, s0, v2
	v_lshlrev_b32_e32 v13, 3, v0
	v_addc_co_u32_e32 v9, vcc, v4, v3, vcc
	v_mov_b32_e32 v15, v10
	v_mov_b32_e32 v17, v10
	;; [unrolled: 1-line block ×7, first 2 shown]
.LBB652_2:                              ; =>This Inner Loop Header: Depth=1
	flat_load_dwordx2 v[2:3], v[6:7]
	v_add_co_u32_e32 v6, vcc, 64, v6
	v_addc_co_u32_e32 v7, vcc, 0, v7, vcc
	s_add_i32 s9, s9, 8
	s_cmp_ge_i32 s9, s3
	s_waitcnt vmcnt(0) lgkmcnt(0)
	ds_write_b64 v11, v[2:3]
	flat_load_dwordx2 v[2:3], v[8:9]
	v_add_co_u32_e32 v8, vcc, 64, v8
	v_addc_co_u32_e32 v9, vcc, 0, v9, vcc
	s_waitcnt vmcnt(0) lgkmcnt(0)
	ds_write_b64 v12, v[2:3]
	s_waitcnt lgkmcnt(0)
	s_barrier
	ds_read_b128 v[22:25], v14
	ds_read_b128 v[26:29], v14 offset:16
	ds_read_b128 v[30:33], v14 offset:32
	;; [unrolled: 1-line block ×3, first 2 shown]
	ds_read2_b64 v[34:37], v13 offset1:16
	s_waitcnt lgkmcnt(0)
	v_mul_f32_e32 v38, v23, v35
	v_mul_f32_e32 v39, v22, v35
	v_fma_f32 v38, v22, v34, -v38
	v_fmac_f32_e32 v39, v23, v34
	v_add_f32_e32 v38, v20, v38
	v_add_f32_e32 v39, v21, v39
	v_mul_f32_e32 v20, v23, v37
	v_mul_f32_e32 v21, v22, v37
	v_fma_f32 v20, v22, v36, -v20
	v_fmac_f32_e32 v21, v23, v36
	v_add_f32_e32 v22, v18, v20
	v_add_f32_e32 v23, v19, v21
	ds_read_b128 v[18:21], v14 offset:1024
	s_waitcnt lgkmcnt(0)
	v_mul_f32_e32 v40, v19, v35
	v_mul_f32_e32 v35, v18, v35
	v_fma_f32 v40, v18, v34, -v40
	v_fmac_f32_e32 v35, v19, v34
	v_add_f32_e32 v34, v16, v40
	v_add_f32_e32 v35, v17, v35
	v_mul_f32_e32 v16, v19, v37
	v_mul_f32_e32 v17, v18, v37
	v_fma_f32 v16, v18, v36, -v16
	v_fmac_f32_e32 v17, v19, v36
	v_add_f32_e32 v19, v15, v16
	v_add_f32_e32 v10, v10, v17
	ds_read2_b64 v[15:18], v13 offset0:32 offset1:48
	s_waitcnt lgkmcnt(0)
	v_mul_f32_e32 v36, v25, v16
	v_fma_f32 v36, v24, v15, -v36
	v_add_f32_e32 v36, v38, v36
	v_mul_f32_e32 v38, v25, v18
	v_mul_f32_e32 v37, v24, v16
	v_fma_f32 v38, v24, v17, -v38
	v_mul_f32_e32 v24, v24, v18
	v_fmac_f32_e32 v24, v25, v17
	v_add_f32_e32 v23, v23, v24
	v_mul_f32_e32 v24, v21, v16
	v_mul_f32_e32 v16, v20, v16
	v_fmac_f32_e32 v16, v21, v15
	v_fmac_f32_e32 v37, v25, v15
	v_fma_f32 v24, v20, v15, -v24
	v_add_f32_e32 v25, v35, v16
	v_mul_f32_e32 v15, v21, v18
	v_mul_f32_e32 v16, v20, v18
	v_fma_f32 v15, v20, v17, -v15
	v_fmac_f32_e32 v16, v21, v17
	v_add_f32_e32 v24, v34, v24
	v_add_f32_e32 v34, v19, v15
	v_add_f32_e32 v10, v10, v16
	ds_read2_b64 v[15:18], v13 offset0:64 offset1:80
	v_add_f32_e32 v37, v39, v37
	v_add_f32_e32 v22, v22, v38
	s_waitcnt lgkmcnt(0)
	v_mul_f32_e32 v19, v27, v16
	v_mul_f32_e32 v20, v26, v16
	v_fma_f32 v19, v26, v15, -v19
	v_fmac_f32_e32 v20, v27, v15
	v_add_f32_e32 v35, v36, v19
	v_add_f32_e32 v36, v37, v20
	v_mul_f32_e32 v19, v27, v18
	v_mul_f32_e32 v20, v26, v18
	v_fma_f32 v19, v26, v17, -v19
	v_fmac_f32_e32 v20, v27, v17
	v_add_f32_e32 v26, v22, v19
	v_add_f32_e32 v23, v23, v20
	ds_read_b128 v[19:22], v14 offset:1040
	s_waitcnt lgkmcnt(0)
	v_mul_f32_e32 v27, v20, v16
	v_mul_f32_e32 v16, v19, v16
	v_fmac_f32_e32 v16, v20, v15
	v_fma_f32 v27, v19, v15, -v27
	v_add_f32_e32 v25, v25, v16
	v_mul_f32_e32 v15, v20, v18
	v_mul_f32_e32 v16, v19, v18
	v_fma_f32 v15, v19, v17, -v15
	v_fmac_f32_e32 v16, v20, v17
	v_add_f32_e32 v19, v34, v15
	v_add_f32_e32 v10, v10, v16
	ds_read2_b64 v[15:18], v13 offset0:96 offset1:112
	v_add_f32_e32 v24, v24, v27
	s_waitcnt lgkmcnt(0)
	v_mul_f32_e32 v20, v29, v16
	v_mul_f32_e32 v34, v29, v18
	v_fma_f32 v20, v28, v15, -v20
	v_mul_f32_e32 v27, v28, v16
	v_fma_f32 v34, v28, v17, -v34
	v_mul_f32_e32 v28, v28, v18
	v_fmac_f32_e32 v28, v29, v17
	v_add_f32_e32 v23, v23, v28
	v_mul_f32_e32 v28, v22, v16
	v_mul_f32_e32 v16, v21, v16
	v_fmac_f32_e32 v16, v22, v15
	v_fmac_f32_e32 v27, v29, v15
	v_fma_f32 v28, v21, v15, -v28
	v_add_f32_e32 v25, v25, v16
	v_mul_f32_e32 v15, v22, v18
	v_mul_f32_e32 v16, v21, v18
	v_fma_f32 v15, v21, v17, -v15
	v_fmac_f32_e32 v16, v22, v17
	v_add_f32_e32 v24, v24, v28
	v_add_f32_e32 v28, v19, v15
	;; [unrolled: 1-line block ×3, first 2 shown]
	ds_read2_b64 v[15:18], v13 offset0:128 offset1:144
	v_add_f32_e32 v20, v35, v20
	v_add_f32_e32 v27, v36, v27
	;; [unrolled: 1-line block ×3, first 2 shown]
	s_waitcnt lgkmcnt(0)
	v_mul_f32_e32 v19, v31, v16
	v_fma_f32 v19, v30, v15, -v19
	v_mul_f32_e32 v21, v30, v16
	v_add_f32_e32 v29, v20, v19
	v_mul_f32_e32 v19, v31, v18
	v_mul_f32_e32 v20, v30, v18
	v_fmac_f32_e32 v21, v31, v15
	v_fma_f32 v19, v30, v17, -v19
	v_fmac_f32_e32 v20, v31, v17
	v_add_f32_e32 v27, v27, v21
	v_add_f32_e32 v26, v26, v19
	;; [unrolled: 1-line block ×3, first 2 shown]
	ds_read_b128 v[19:22], v14 offset:1056
	s_waitcnt lgkmcnt(0)
	v_mul_f32_e32 v30, v20, v16
	v_mul_f32_e32 v16, v19, v16
	v_fmac_f32_e32 v16, v20, v15
	v_fma_f32 v30, v19, v15, -v30
	v_add_f32_e32 v25, v25, v16
	v_mul_f32_e32 v15, v20, v18
	v_mul_f32_e32 v16, v19, v18
	v_fma_f32 v15, v19, v17, -v15
	v_fmac_f32_e32 v16, v20, v17
	v_add_f32_e32 v19, v28, v15
	v_add_f32_e32 v10, v10, v16
	ds_read2_b64 v[15:18], v13 offset0:160 offset1:176
	v_add_f32_e32 v24, v24, v30
	s_waitcnt lgkmcnt(0)
	v_mul_f32_e32 v28, v32, v16
	v_fmac_f32_e32 v28, v33, v15
	v_add_f32_e32 v27, v27, v28
	v_mul_f32_e32 v28, v33, v18
	v_fma_f32 v28, v32, v17, -v28
	v_mul_f32_e32 v20, v33, v16
	v_add_f32_e32 v26, v26, v28
	v_mul_f32_e32 v28, v22, v16
	v_mul_f32_e32 v16, v21, v16
	v_fmac_f32_e32 v16, v22, v15
	v_fma_f32 v20, v32, v15, -v20
	v_fma_f32 v28, v21, v15, -v28
	v_add_f32_e32 v25, v25, v16
	v_mul_f32_e32 v15, v22, v18
	v_mul_f32_e32 v16, v21, v18
	v_add_f32_e32 v20, v29, v20
	v_mul_f32_e32 v29, v32, v18
	v_fma_f32 v15, v21, v17, -v15
	v_fmac_f32_e32 v16, v22, v17
	v_fmac_f32_e32 v29, v33, v17
	v_add_f32_e32 v19, v19, v15
	v_add_f32_e32 v10, v10, v16
	ds_read2_b64 v[15:18], v13 offset0:192 offset1:208
	v_add_f32_e32 v24, v24, v28
	v_add_f32_e32 v23, v23, v29
	s_waitcnt lgkmcnt(0)
	v_mul_f32_e32 v21, v3, v16
	v_fma_f32 v21, v2, v15, -v21
	v_add_f32_e32 v28, v20, v21
	v_mul_f32_e32 v20, v3, v18
	v_mul_f32_e32 v22, v2, v16
	v_fma_f32 v20, v2, v17, -v20
	v_mul_f32_e32 v2, v2, v18
	v_fmac_f32_e32 v22, v3, v15
	v_fmac_f32_e32 v2, v3, v17
	v_add_f32_e32 v29, v27, v22
	v_add_f32_e32 v3, v26, v20
	;; [unrolled: 1-line block ×3, first 2 shown]
	ds_read_b128 v[20:23], v14 offset:1072
	s_waitcnt lgkmcnt(0)
	v_mul_f32_e32 v26, v21, v16
	v_mul_f32_e32 v16, v20, v16
	v_fma_f32 v26, v20, v15, -v26
	v_fmac_f32_e32 v16, v21, v15
	v_add_f32_e32 v15, v24, v26
	v_add_f32_e32 v30, v25, v16
	ds_read2_b64 v[24:27], v13 offset0:224 offset1:240
	v_mul_f32_e32 v16, v21, v18
	v_fma_f32 v16, v20, v17, -v16
	v_add_f32_e32 v31, v19, v16
	v_mul_f32_e32 v18, v20, v18
	s_waitcnt lgkmcnt(0)
	v_mul_f32_e32 v16, v5, v25
	v_fma_f32 v16, v4, v24, -v16
	v_add_f32_e32 v20, v28, v16
	v_mul_f32_e32 v16, v5, v27
	v_fmac_f32_e32 v18, v21, v17
	v_mul_f32_e32 v17, v4, v25
	v_fma_f32 v16, v4, v26, -v16
	v_mul_f32_e32 v4, v4, v27
	v_fmac_f32_e32 v4, v5, v26
	v_add_f32_e32 v10, v10, v18
	v_add_f32_e32 v18, v3, v16
	;; [unrolled: 1-line block ×3, first 2 shown]
	v_mul_f32_e32 v2, v23, v25
	v_mul_f32_e32 v3, v22, v25
	v_fmac_f32_e32 v17, v5, v24
	v_fma_f32 v2, v22, v24, -v2
	v_fmac_f32_e32 v3, v23, v24
	v_add_f32_e32 v21, v29, v17
	v_add_f32_e32 v16, v15, v2
	v_add_f32_e32 v17, v30, v3
	v_mul_f32_e32 v2, v23, v27
	v_mul_f32_e32 v3, v22, v27
	v_fma_f32 v2, v22, v26, -v2
	v_fmac_f32_e32 v3, v23, v26
	v_add_f32_e32 v15, v31, v2
	v_add_f32_e32 v10, v10, v3
	s_barrier
	s_cbranch_scc0 .LBB652_2
	s_branch .LBB652_4
.LBB652_3:
	v_mov_b32_e32 v20, 0
	v_mov_b32_e32 v21, 0
	;; [unrolled: 1-line block ×8, first 2 shown]
.LBB652_4:
	s_load_dword s3, s[4:5], 0x50
	v_add_u32_e32 v4, s7, v1
	s_waitcnt lgkmcnt(0)
	v_mov_b32_e32 v3, s11
	v_add_u32_e32 v0, s6, v0
	v_cmp_gt_i32_e32 vcc, s2, v4
	v_mad_i64_i32 v[1:2], s[0:1], v4, s3, 0
	v_lshlrev_b64 v[1:2], 3, v[1:2]
	v_add_co_u32_e64 v5, s[0:1], s10, v1
	v_addc_co_u32_e64 v6, s[0:1], v3, v2, s[0:1]
	v_cmp_le_i32_e64 s[0:1], v0, v4
	s_and_b64 s[0:1], vcc, s[0:1]
	s_and_saveexec_b64 s[4:5], s[0:1]
	s_cbranch_execz .LBB652_6
; %bb.5:
	v_ashrrev_i32_e32 v1, 31, v0
	v_lshlrev_b64 v[1:2], 3, v[0:1]
	v_mul_f32_e32 v3, s17, v21
	v_add_co_u32_e64 v1, s[0:1], v5, v1
	v_addc_co_u32_e64 v2, s[0:1], v6, v2, s[0:1]
	flat_load_dwordx2 v[7:8], v[1:2]
	v_mul_f32_e32 v9, s16, v21
	v_fma_f32 v3, v20, s16, -v3
	v_fmac_f32_e32 v9, s17, v20
	s_waitcnt vmcnt(0) lgkmcnt(0)
	v_mul_f32_e32 v11, s13, v8
	v_mul_f32_e32 v8, s12, v8
	v_fma_f32 v11, v7, s12, -v11
	v_fmac_f32_e32 v8, s13, v7
	v_add_f32_e32 v7, v3, v11
	v_add_f32_e32 v8, v9, v8
	flat_store_dwordx2 v[1:2], v[7:8]
.LBB652_6:
	s_or_b64 exec, exec, s[4:5]
	v_add_u32_e32 v2, 16, v0
	v_cmp_le_i32_e64 s[0:1], v2, v4
	s_and_b64 s[4:5], vcc, s[0:1]
	s_and_saveexec_b64 s[0:1], s[4:5]
	s_cbranch_execz .LBB652_8
; %bb.7:
	v_ashrrev_i32_e32 v3, 31, v2
	v_lshlrev_b64 v[7:8], 3, v[2:3]
	v_mul_f32_e32 v1, s17, v19
	v_add_co_u32_e32 v5, vcc, v5, v7
	v_addc_co_u32_e32 v6, vcc, v6, v8, vcc
	flat_load_dwordx2 v[7:8], v[5:6]
	v_mul_f32_e32 v3, s16, v19
	v_fma_f32 v1, v18, s16, -v1
	v_fmac_f32_e32 v3, s17, v18
	s_waitcnt vmcnt(0) lgkmcnt(0)
	v_mul_f32_e32 v9, s13, v8
	v_mul_f32_e32 v8, s12, v8
	v_fma_f32 v9, v7, s12, -v9
	v_fmac_f32_e32 v8, s13, v7
	v_add_f32_e32 v7, v1, v9
	v_add_f32_e32 v8, v3, v8
	flat_store_dwordx2 v[5:6], v[7:8]
.LBB652_8:
	s_or_b64 exec, exec, s[0:1]
	v_add_u32_e32 v3, 16, v4
	v_mad_i64_i32 v[4:5], s[0:1], v3, s3, 0
	v_mov_b32_e32 v1, s11
	v_cmp_gt_i32_e32 vcc, s2, v3
	v_lshlrev_b64 v[4:5], 3, v[4:5]
	v_add_co_u32_e64 v4, s[0:1], s10, v4
	v_addc_co_u32_e64 v5, s[0:1], v1, v5, s[0:1]
	v_cmp_le_i32_e64 s[0:1], v0, v3
	s_and_b64 s[0:1], vcc, s[0:1]
	s_and_saveexec_b64 s[2:3], s[0:1]
	s_cbranch_execz .LBB652_10
; %bb.9:
	v_ashrrev_i32_e32 v1, 31, v0
	v_lshlrev_b64 v[0:1], 3, v[0:1]
	v_mul_f32_e32 v8, s17, v17
	v_add_co_u32_e64 v0, s[0:1], v4, v0
	v_addc_co_u32_e64 v1, s[0:1], v5, v1, s[0:1]
	flat_load_dwordx2 v[6:7], v[0:1]
	v_mul_f32_e32 v9, s16, v17
	v_fma_f32 v8, v16, s16, -v8
	v_fmac_f32_e32 v9, s17, v16
	s_waitcnt vmcnt(0) lgkmcnt(0)
	v_mul_f32_e32 v11, s13, v7
	v_mul_f32_e32 v7, s12, v7
	v_fma_f32 v11, v6, s12, -v11
	v_fmac_f32_e32 v7, s13, v6
	v_add_f32_e32 v6, v8, v11
	v_add_f32_e32 v7, v9, v7
	flat_store_dwordx2 v[0:1], v[6:7]
.LBB652_10:
	s_or_b64 exec, exec, s[2:3]
	v_cmp_le_i32_e64 s[0:1], v2, v3
	s_and_b64 s[0:1], vcc, s[0:1]
	s_and_saveexec_b64 s[2:3], s[0:1]
	s_cbranch_execz .LBB652_12
; %bb.11:
	v_ashrrev_i32_e32 v3, 31, v2
	v_lshlrev_b64 v[0:1], 3, v[2:3]
	v_add_co_u32_e32 v0, vcc, v4, v0
	v_addc_co_u32_e32 v1, vcc, v5, v1, vcc
	flat_load_dwordx2 v[2:3], v[0:1]
	v_mul_f32_e32 v4, s17, v10
	v_mul_f32_e32 v5, s16, v10
	v_fma_f32 v4, v15, s16, -v4
	v_fmac_f32_e32 v5, s17, v15
	s_waitcnt vmcnt(0) lgkmcnt(0)
	v_mul_f32_e32 v6, s13, v3
	v_mul_f32_e32 v3, s12, v3
	v_fma_f32 v6, v2, s12, -v6
	v_fmac_f32_e32 v3, s13, v2
	v_add_f32_e32 v2, v4, v6
	v_add_f32_e32 v3, v5, v3
	flat_store_dwordx2 v[0:1], v[2:3]
.LBB652_12:
	s_endpgm
	.section	.rodata,"a",@progbits
	.p2align	6, 0x0
	.amdhsa_kernel _ZL37rocblas_syrkx_herkx_restricted_kernelIi19rocblas_complex_numIfELi16ELi32ELi8ELb0ELb0ELc67ELc85EKPKS1_KPS1_EviT_T0_PT8_S7_lSA_S7_lS8_PT9_S7_li
		.amdhsa_group_segment_fixed_size 4096
		.amdhsa_private_segment_fixed_size 0
		.amdhsa_kernarg_size 100
		.amdhsa_user_sgpr_count 6
		.amdhsa_user_sgpr_private_segment_buffer 1
		.amdhsa_user_sgpr_dispatch_ptr 0
		.amdhsa_user_sgpr_queue_ptr 0
		.amdhsa_user_sgpr_kernarg_segment_ptr 1
		.amdhsa_user_sgpr_dispatch_id 0
		.amdhsa_user_sgpr_flat_scratch_init 0
		.amdhsa_user_sgpr_private_segment_size 0
		.amdhsa_uses_dynamic_stack 0
		.amdhsa_system_sgpr_private_segment_wavefront_offset 0
		.amdhsa_system_sgpr_workgroup_id_x 1
		.amdhsa_system_sgpr_workgroup_id_y 1
		.amdhsa_system_sgpr_workgroup_id_z 1
		.amdhsa_system_sgpr_workgroup_info 0
		.amdhsa_system_vgpr_workitem_id 1
		.amdhsa_next_free_vgpr 41
		.amdhsa_next_free_sgpr 21
		.amdhsa_reserve_vcc 1
		.amdhsa_reserve_flat_scratch 0
		.amdhsa_float_round_mode_32 0
		.amdhsa_float_round_mode_16_64 0
		.amdhsa_float_denorm_mode_32 3
		.amdhsa_float_denorm_mode_16_64 3
		.amdhsa_dx10_clamp 1
		.amdhsa_ieee_mode 1
		.amdhsa_fp16_overflow 0
		.amdhsa_exception_fp_ieee_invalid_op 0
		.amdhsa_exception_fp_denorm_src 0
		.amdhsa_exception_fp_ieee_div_zero 0
		.amdhsa_exception_fp_ieee_overflow 0
		.amdhsa_exception_fp_ieee_underflow 0
		.amdhsa_exception_fp_ieee_inexact 0
		.amdhsa_exception_int_div_zero 0
	.end_amdhsa_kernel
	.section	.text._ZL37rocblas_syrkx_herkx_restricted_kernelIi19rocblas_complex_numIfELi16ELi32ELi8ELb0ELb0ELc67ELc85EKPKS1_KPS1_EviT_T0_PT8_S7_lSA_S7_lS8_PT9_S7_li,"axG",@progbits,_ZL37rocblas_syrkx_herkx_restricted_kernelIi19rocblas_complex_numIfELi16ELi32ELi8ELb0ELb0ELc67ELc85EKPKS1_KPS1_EviT_T0_PT8_S7_lSA_S7_lS8_PT9_S7_li,comdat
.Lfunc_end652:
	.size	_ZL37rocblas_syrkx_herkx_restricted_kernelIi19rocblas_complex_numIfELi16ELi32ELi8ELb0ELb0ELc67ELc85EKPKS1_KPS1_EviT_T0_PT8_S7_lSA_S7_lS8_PT9_S7_li, .Lfunc_end652-_ZL37rocblas_syrkx_herkx_restricted_kernelIi19rocblas_complex_numIfELi16ELi32ELi8ELb0ELb0ELc67ELc85EKPKS1_KPS1_EviT_T0_PT8_S7_lSA_S7_lS8_PT9_S7_li
                                        ; -- End function
	.set _ZL37rocblas_syrkx_herkx_restricted_kernelIi19rocblas_complex_numIfELi16ELi32ELi8ELb0ELb0ELc67ELc85EKPKS1_KPS1_EviT_T0_PT8_S7_lSA_S7_lS8_PT9_S7_li.num_vgpr, 41
	.set _ZL37rocblas_syrkx_herkx_restricted_kernelIi19rocblas_complex_numIfELi16ELi32ELi8ELb0ELb0ELc67ELc85EKPKS1_KPS1_EviT_T0_PT8_S7_lSA_S7_lS8_PT9_S7_li.num_agpr, 0
	.set _ZL37rocblas_syrkx_herkx_restricted_kernelIi19rocblas_complex_numIfELi16ELi32ELi8ELb0ELb0ELc67ELc85EKPKS1_KPS1_EviT_T0_PT8_S7_lSA_S7_lS8_PT9_S7_li.numbered_sgpr, 21
	.set _ZL37rocblas_syrkx_herkx_restricted_kernelIi19rocblas_complex_numIfELi16ELi32ELi8ELb0ELb0ELc67ELc85EKPKS1_KPS1_EviT_T0_PT8_S7_lSA_S7_lS8_PT9_S7_li.num_named_barrier, 0
	.set _ZL37rocblas_syrkx_herkx_restricted_kernelIi19rocblas_complex_numIfELi16ELi32ELi8ELb0ELb0ELc67ELc85EKPKS1_KPS1_EviT_T0_PT8_S7_lSA_S7_lS8_PT9_S7_li.private_seg_size, 0
	.set _ZL37rocblas_syrkx_herkx_restricted_kernelIi19rocblas_complex_numIfELi16ELi32ELi8ELb0ELb0ELc67ELc85EKPKS1_KPS1_EviT_T0_PT8_S7_lSA_S7_lS8_PT9_S7_li.uses_vcc, 1
	.set _ZL37rocblas_syrkx_herkx_restricted_kernelIi19rocblas_complex_numIfELi16ELi32ELi8ELb0ELb0ELc67ELc85EKPKS1_KPS1_EviT_T0_PT8_S7_lSA_S7_lS8_PT9_S7_li.uses_flat_scratch, 0
	.set _ZL37rocblas_syrkx_herkx_restricted_kernelIi19rocblas_complex_numIfELi16ELi32ELi8ELb0ELb0ELc67ELc85EKPKS1_KPS1_EviT_T0_PT8_S7_lSA_S7_lS8_PT9_S7_li.has_dyn_sized_stack, 0
	.set _ZL37rocblas_syrkx_herkx_restricted_kernelIi19rocblas_complex_numIfELi16ELi32ELi8ELb0ELb0ELc67ELc85EKPKS1_KPS1_EviT_T0_PT8_S7_lSA_S7_lS8_PT9_S7_li.has_recursion, 0
	.set _ZL37rocblas_syrkx_herkx_restricted_kernelIi19rocblas_complex_numIfELi16ELi32ELi8ELb0ELb0ELc67ELc85EKPKS1_KPS1_EviT_T0_PT8_S7_lSA_S7_lS8_PT9_S7_li.has_indirect_call, 0
	.section	.AMDGPU.csdata,"",@progbits
; Kernel info:
; codeLenInByte = 2068
; TotalNumSgprs: 25
; NumVgprs: 41
; ScratchSize: 0
; MemoryBound: 0
; FloatMode: 240
; IeeeMode: 1
; LDSByteSize: 4096 bytes/workgroup (compile time only)
; SGPRBlocks: 3
; VGPRBlocks: 10
; NumSGPRsForWavesPerEU: 25
; NumVGPRsForWavesPerEU: 41
; Occupancy: 5
; WaveLimiterHint : 1
; COMPUTE_PGM_RSRC2:SCRATCH_EN: 0
; COMPUTE_PGM_RSRC2:USER_SGPR: 6
; COMPUTE_PGM_RSRC2:TRAP_HANDLER: 0
; COMPUTE_PGM_RSRC2:TGID_X_EN: 1
; COMPUTE_PGM_RSRC2:TGID_Y_EN: 1
; COMPUTE_PGM_RSRC2:TGID_Z_EN: 1
; COMPUTE_PGM_RSRC2:TIDIG_COMP_CNT: 1
	.section	.text._ZL37rocblas_syrkx_herkx_restricted_kernelIi19rocblas_complex_numIfELi16ELi32ELi8ELb0ELb0ELc78ELc85EKPKS1_KPS1_EviT_T0_PT8_S7_lSA_S7_lS8_PT9_S7_li,"axG",@progbits,_ZL37rocblas_syrkx_herkx_restricted_kernelIi19rocblas_complex_numIfELi16ELi32ELi8ELb0ELb0ELc78ELc85EKPKS1_KPS1_EviT_T0_PT8_S7_lSA_S7_lS8_PT9_S7_li,comdat
	.globl	_ZL37rocblas_syrkx_herkx_restricted_kernelIi19rocblas_complex_numIfELi16ELi32ELi8ELb0ELb0ELc78ELc85EKPKS1_KPS1_EviT_T0_PT8_S7_lSA_S7_lS8_PT9_S7_li ; -- Begin function _ZL37rocblas_syrkx_herkx_restricted_kernelIi19rocblas_complex_numIfELi16ELi32ELi8ELb0ELb0ELc78ELc85EKPKS1_KPS1_EviT_T0_PT8_S7_lSA_S7_lS8_PT9_S7_li
	.p2align	8
	.type	_ZL37rocblas_syrkx_herkx_restricted_kernelIi19rocblas_complex_numIfELi16ELi32ELi8ELb0ELb0ELc78ELc85EKPKS1_KPS1_EviT_T0_PT8_S7_lSA_S7_lS8_PT9_S7_li,@function
_ZL37rocblas_syrkx_herkx_restricted_kernelIi19rocblas_complex_numIfELi16ELi32ELi8ELb0ELb0ELc78ELc85EKPKS1_KPS1_EviT_T0_PT8_S7_lSA_S7_lS8_PT9_S7_li: ; @_ZL37rocblas_syrkx_herkx_restricted_kernelIi19rocblas_complex_numIfELi16ELi32ELi8ELb0ELb0ELc78ELc85EKPKS1_KPS1_EviT_T0_PT8_S7_lSA_S7_lS8_PT9_S7_li
; %bb.0:
	s_load_dwordx4 s[12:15], s[4:5], 0x40
	s_load_dwordx2 s[2:3], s[4:5], 0x0
	s_load_dwordx4 s[16:19], s[4:5], 0x8
	s_mov_b32 s9, 0
	s_lshl_b64 s[0:1], s[8:9], 3
	s_waitcnt lgkmcnt(0)
	s_add_u32 s10, s14, s0
	s_addc_u32 s11, s15, s1
	s_load_dwordx2 s[10:11], s[10:11], 0x0
	s_lshl_b32 s8, s6, 5
	s_lshl_b32 s14, s7, 5
	s_cmp_lt_i32 s3, 1
	s_cbranch_scc1 .LBB653_3
; %bb.1:
	s_load_dword s6, s[4:5], 0x18
	s_load_dword s20, s[4:5], 0x30
	s_load_dwordx2 s[22:23], s[4:5], 0x28
	v_lshl_add_u32 v2, v1, 4, v0
	v_lshrrev_b32_e32 v4, 3, v2
	s_waitcnt lgkmcnt(0)
	s_ashr_i32 s7, s6, 31
	s_ashr_i32 s21, s20, 31
	s_add_u32 s18, s18, s0
	s_addc_u32 s19, s19, s1
	s_add_u32 s0, s22, s0
	v_lshrrev_b32_e32 v6, 5, v2
	v_and_b32_e32 v7, 31, v2
	v_add_u32_e32 v2, s14, v4
	s_addc_u32 s1, s23, s1
	v_and_b32_e32 v5, 7, v0
	v_ashrrev_i32_e32 v3, 31, v2
	s_load_dwordx2 s[22:23], s[0:1], 0x0
	v_mad_i64_i32 v[2:3], s[0:1], s20, v5, v[2:3]
	v_lshlrev_b32_e32 v5, 3, v5
	v_lshl_or_b32 v4, v4, 6, v5
	v_add_u32_e32 v11, 0x800, v4
	v_add_u32_e32 v4, s8, v7
	v_ashrrev_i32_e32 v5, 31, v4
	v_mad_i64_i32 v[4:5], s[0:1], s6, v6, v[4:5]
	s_load_dwordx2 s[18:19], s[18:19], 0x0
	v_lshlrev_b32_e32 v8, 3, v7
	v_lshlrev_b64 v[4:5], 3, v[4:5]
	v_lshl_or_b32 v10, v6, 8, v8
	v_mov_b32_e32 v6, 0x800
	v_lshl_add_u32 v13, v1, 6, v6
	s_waitcnt lgkmcnt(0)
	v_mov_b32_e32 v7, s19
	v_add_co_u32_e32 v6, vcc, s18, v4
	v_lshlrev_b64 v[2:3], 3, v[2:3]
	v_addc_co_u32_e32 v7, vcc, v7, v5, vcc
	s_lshl_b64 s[0:1], s[6:7], 6
	v_mov_b32_e32 v4, s23
	v_add_co_u32_e32 v8, vcc, s22, v2
	s_lshl_b64 s[6:7], s[20:21], 6
	v_lshlrev_b32_e32 v12, 3, v0
	v_addc_co_u32_e32 v9, vcc, v4, v3, vcc
	v_mov_b32_e32 v16, 0
	v_mov_b32_e32 v14, s1
	;; [unrolled: 1-line block ×10, first 2 shown]
.LBB653_2:                              ; =>This Inner Loop Header: Depth=1
	flat_load_dwordx2 v[2:3], v[6:7]
	v_add_co_u32_e32 v6, vcc, s0, v6
	v_addc_co_u32_e32 v7, vcc, v7, v14, vcc
	s_add_i32 s9, s9, 8
	s_cmp_ge_i32 s9, s3
	s_waitcnt vmcnt(0) lgkmcnt(0)
	ds_write_b64 v10, v[2:3]
	flat_load_dwordx2 v[2:3], v[8:9]
	v_add_co_u32_e32 v8, vcc, s6, v8
	v_addc_co_u32_e32 v9, vcc, v9, v15, vcc
	s_waitcnt vmcnt(0) lgkmcnt(0)
	ds_write_b64 v11, v[2:3]
	s_waitcnt lgkmcnt(0)
	s_barrier
	ds_read_b128 v[24:27], v13
	ds_read_b128 v[28:31], v13 offset:16
	ds_read_b128 v[32:35], v13 offset:32
	;; [unrolled: 1-line block ×3, first 2 shown]
	ds_read2_b64 v[36:39], v12 offset1:16
	s_waitcnt lgkmcnt(0)
	v_mul_f32_e32 v40, v25, v37
	v_mul_f32_e32 v41, v24, v37
	v_fma_f32 v40, v24, v36, -v40
	v_fmac_f32_e32 v41, v25, v36
	v_add_f32_e32 v40, v22, v40
	v_add_f32_e32 v41, v23, v41
	v_mul_f32_e32 v22, v25, v39
	v_mul_f32_e32 v23, v24, v39
	v_fma_f32 v22, v24, v38, -v22
	v_fmac_f32_e32 v23, v25, v38
	v_add_f32_e32 v24, v20, v22
	v_add_f32_e32 v25, v21, v23
	ds_read_b128 v[20:23], v13 offset:1024
	s_waitcnt lgkmcnt(0)
	v_mul_f32_e32 v42, v21, v37
	v_mul_f32_e32 v37, v20, v37
	v_fma_f32 v42, v20, v36, -v42
	v_fmac_f32_e32 v37, v21, v36
	v_add_f32_e32 v36, v18, v42
	v_add_f32_e32 v37, v19, v37
	v_mul_f32_e32 v18, v21, v39
	v_mul_f32_e32 v19, v20, v39
	v_fma_f32 v18, v20, v38, -v18
	v_fmac_f32_e32 v19, v21, v38
	v_add_f32_e32 v20, v17, v18
	v_add_f32_e32 v21, v16, v19
	ds_read2_b64 v[16:19], v12 offset0:32 offset1:48
	s_waitcnt lgkmcnt(0)
	v_mul_f32_e32 v38, v27, v17
	v_fma_f32 v38, v26, v16, -v38
	v_add_f32_e32 v38, v40, v38
	v_mul_f32_e32 v40, v27, v19
	v_mul_f32_e32 v39, v26, v17
	v_fma_f32 v40, v26, v18, -v40
	v_mul_f32_e32 v26, v26, v19
	v_fmac_f32_e32 v26, v27, v18
	v_add_f32_e32 v25, v25, v26
	v_mul_f32_e32 v26, v23, v17
	v_mul_f32_e32 v17, v22, v17
	v_fmac_f32_e32 v17, v23, v16
	v_fmac_f32_e32 v39, v27, v16
	v_fma_f32 v26, v22, v16, -v26
	v_add_f32_e32 v27, v37, v17
	v_mul_f32_e32 v16, v23, v19
	v_mul_f32_e32 v17, v22, v19
	v_fma_f32 v16, v22, v18, -v16
	v_fmac_f32_e32 v17, v23, v18
	v_add_f32_e32 v26, v36, v26
	v_add_f32_e32 v36, v20, v16
	;; [unrolled: 1-line block ×3, first 2 shown]
	ds_read2_b64 v[16:19], v12 offset0:64 offset1:80
	v_add_f32_e32 v39, v41, v39
	v_add_f32_e32 v24, v24, v40
	s_waitcnt lgkmcnt(0)
	v_mul_f32_e32 v20, v29, v17
	v_mul_f32_e32 v21, v28, v17
	v_fma_f32 v20, v28, v16, -v20
	v_fmac_f32_e32 v21, v29, v16
	v_add_f32_e32 v38, v38, v20
	v_add_f32_e32 v39, v39, v21
	v_mul_f32_e32 v20, v29, v19
	v_mul_f32_e32 v21, v28, v19
	v_fma_f32 v20, v28, v18, -v20
	v_fmac_f32_e32 v21, v29, v18
	v_add_f32_e32 v24, v24, v20
	v_add_f32_e32 v25, v25, v21
	ds_read_b128 v[20:23], v13 offset:1040
	s_waitcnt lgkmcnt(0)
	v_mul_f32_e32 v28, v21, v17
	v_mul_f32_e32 v17, v20, v17
	v_fmac_f32_e32 v17, v21, v16
	v_fma_f32 v28, v20, v16, -v28
	v_add_f32_e32 v27, v27, v17
	v_mul_f32_e32 v16, v21, v19
	v_mul_f32_e32 v17, v20, v19
	v_fma_f32 v16, v20, v18, -v16
	v_fmac_f32_e32 v17, v21, v18
	v_add_f32_e32 v20, v36, v16
	v_add_f32_e32 v21, v37, v17
	ds_read2_b64 v[16:19], v12 offset0:96 offset1:112
	v_add_f32_e32 v26, v26, v28
	s_waitcnt lgkmcnt(0)
	v_mul_f32_e32 v28, v31, v17
	v_mul_f32_e32 v36, v31, v19
	v_fma_f32 v28, v30, v16, -v28
	v_mul_f32_e32 v29, v30, v17
	v_fma_f32 v36, v30, v18, -v36
	v_mul_f32_e32 v30, v30, v19
	v_fmac_f32_e32 v30, v31, v18
	v_add_f32_e32 v25, v25, v30
	v_mul_f32_e32 v30, v23, v17
	v_mul_f32_e32 v17, v22, v17
	v_fmac_f32_e32 v17, v23, v16
	v_fmac_f32_e32 v29, v31, v16
	v_fma_f32 v30, v22, v16, -v30
	v_add_f32_e32 v27, v27, v17
	v_mul_f32_e32 v16, v23, v19
	v_mul_f32_e32 v17, v22, v19
	v_fma_f32 v16, v22, v18, -v16
	v_fmac_f32_e32 v17, v23, v18
	v_add_f32_e32 v26, v26, v30
	v_add_f32_e32 v30, v20, v16
	;; [unrolled: 1-line block ×3, first 2 shown]
	ds_read2_b64 v[16:19], v12 offset0:128 offset1:144
	v_add_f32_e32 v28, v38, v28
	v_add_f32_e32 v29, v39, v29
	;; [unrolled: 1-line block ×3, first 2 shown]
	s_waitcnt lgkmcnt(0)
	v_mul_f32_e32 v20, v33, v17
	v_mul_f32_e32 v21, v32, v17
	v_fma_f32 v20, v32, v16, -v20
	v_fmac_f32_e32 v21, v33, v16
	v_add_f32_e32 v28, v28, v20
	v_add_f32_e32 v29, v29, v21
	v_mul_f32_e32 v20, v33, v19
	v_mul_f32_e32 v21, v32, v19
	v_fma_f32 v20, v32, v18, -v20
	v_fmac_f32_e32 v21, v33, v18
	v_add_f32_e32 v24, v24, v20
	v_add_f32_e32 v25, v25, v21
	ds_read_b128 v[20:23], v13 offset:1056
	s_waitcnt lgkmcnt(0)
	v_mul_f32_e32 v32, v21, v17
	v_mul_f32_e32 v17, v20, v17
	v_fmac_f32_e32 v17, v21, v16
	v_fma_f32 v32, v20, v16, -v32
	v_add_f32_e32 v27, v27, v17
	v_mul_f32_e32 v16, v21, v19
	v_mul_f32_e32 v17, v20, v19
	v_fma_f32 v16, v20, v18, -v16
	v_fmac_f32_e32 v17, v21, v18
	v_add_f32_e32 v20, v30, v16
	v_add_f32_e32 v21, v31, v17
	ds_read2_b64 v[16:19], v12 offset0:160 offset1:176
	v_add_f32_e32 v26, v26, v32
	s_waitcnt lgkmcnt(0)
	v_mul_f32_e32 v30, v35, v17
	v_fma_f32 v30, v34, v16, -v30
	v_add_f32_e32 v28, v28, v30
	v_mul_f32_e32 v30, v35, v19
	v_fma_f32 v30, v34, v18, -v30
	v_mul_f32_e32 v31, v34, v17
	v_add_f32_e32 v24, v24, v30
	v_mul_f32_e32 v30, v23, v17
	v_mul_f32_e32 v17, v22, v17
	v_fmac_f32_e32 v17, v23, v16
	v_fmac_f32_e32 v31, v35, v16
	v_fma_f32 v30, v22, v16, -v30
	v_add_f32_e32 v27, v27, v17
	v_mul_f32_e32 v16, v23, v19
	v_mul_f32_e32 v17, v22, v19
	v_add_f32_e32 v29, v29, v31
	v_mul_f32_e32 v31, v34, v19
	v_fma_f32 v16, v22, v18, -v16
	v_fmac_f32_e32 v17, v23, v18
	v_fmac_f32_e32 v31, v35, v18
	v_add_f32_e32 v20, v20, v16
	v_add_f32_e32 v21, v21, v17
	ds_read2_b64 v[16:19], v12 offset0:192 offset1:208
	v_add_f32_e32 v26, v26, v30
	v_add_f32_e32 v25, v25, v31
	s_waitcnt lgkmcnt(0)
	v_mul_f32_e32 v22, v3, v17
	v_fma_f32 v22, v2, v16, -v22
	v_add_f32_e32 v30, v28, v22
	v_mul_f32_e32 v22, v3, v19
	v_mul_f32_e32 v23, v2, v17
	v_fma_f32 v22, v2, v18, -v22
	v_mul_f32_e32 v2, v2, v19
	v_fmac_f32_e32 v23, v3, v16
	v_fmac_f32_e32 v2, v3, v18
	v_add_f32_e32 v31, v29, v23
	v_add_f32_e32 v3, v24, v22
	;; [unrolled: 1-line block ×3, first 2 shown]
	ds_read_b128 v[22:25], v13 offset:1072
	s_waitcnt lgkmcnt(0)
	v_mul_f32_e32 v28, v23, v17
	v_fma_f32 v28, v22, v16, -v28
	v_mul_f32_e32 v17, v22, v17
	v_fmac_f32_e32 v17, v23, v16
	v_add_f32_e32 v16, v26, v28
	v_mul_f32_e32 v26, v23, v19
	v_fma_f32 v26, v22, v18, -v26
	v_add_f32_e32 v17, v27, v17
	v_add_f32_e32 v32, v20, v26
	ds_read2_b64 v[26:29], v12 offset0:224 offset1:240
	v_mul_f32_e32 v19, v22, v19
	v_fmac_f32_e32 v19, v23, v18
	v_add_f32_e32 v33, v21, v19
	s_waitcnt lgkmcnt(0)
	v_mul_f32_e32 v18, v5, v27
	v_fma_f32 v18, v4, v26, -v18
	v_add_f32_e32 v22, v30, v18
	v_mul_f32_e32 v18, v5, v29
	v_mul_f32_e32 v19, v4, v27
	v_fma_f32 v18, v4, v28, -v18
	v_mul_f32_e32 v4, v4, v29
	v_fmac_f32_e32 v4, v5, v28
	v_add_f32_e32 v20, v3, v18
	v_add_f32_e32 v21, v2, v4
	v_mul_f32_e32 v2, v25, v27
	v_mul_f32_e32 v3, v24, v27
	v_fmac_f32_e32 v19, v5, v26
	v_fma_f32 v2, v24, v26, -v2
	v_fmac_f32_e32 v3, v25, v26
	v_add_f32_e32 v23, v31, v19
	v_add_f32_e32 v18, v16, v2
	;; [unrolled: 1-line block ×3, first 2 shown]
	v_mul_f32_e32 v2, v25, v29
	v_mul_f32_e32 v3, v24, v29
	v_fma_f32 v2, v24, v28, -v2
	v_fmac_f32_e32 v3, v25, v28
	v_add_f32_e32 v17, v32, v2
	v_add_f32_e32 v16, v33, v3
	s_barrier
	s_cbranch_scc0 .LBB653_2
	s_branch .LBB653_4
.LBB653_3:
	v_mov_b32_e32 v22, 0
	v_mov_b32_e32 v23, 0
	;; [unrolled: 1-line block ×8, first 2 shown]
.LBB653_4:
	s_load_dword s3, s[4:5], 0x50
	v_add_u32_e32 v4, s14, v1
	s_waitcnt lgkmcnt(0)
	v_mov_b32_e32 v3, s11
	v_add_u32_e32 v0, s8, v0
	v_cmp_gt_i32_e32 vcc, s2, v4
	v_mad_i64_i32 v[1:2], s[0:1], v4, s3, 0
	v_lshlrev_b64 v[1:2], 3, v[1:2]
	v_add_co_u32_e64 v5, s[0:1], s10, v1
	v_addc_co_u32_e64 v6, s[0:1], v3, v2, s[0:1]
	v_cmp_le_i32_e64 s[0:1], v0, v4
	s_and_b64 s[0:1], vcc, s[0:1]
	s_and_saveexec_b64 s[4:5], s[0:1]
	s_cbranch_execz .LBB653_6
; %bb.5:
	v_ashrrev_i32_e32 v1, 31, v0
	v_lshlrev_b64 v[1:2], 3, v[0:1]
	v_mul_f32_e32 v3, s17, v23
	v_add_co_u32_e64 v1, s[0:1], v5, v1
	v_addc_co_u32_e64 v2, s[0:1], v6, v2, s[0:1]
	flat_load_dwordx2 v[7:8], v[1:2]
	v_mul_f32_e32 v9, s16, v23
	v_fma_f32 v3, v22, s16, -v3
	v_fmac_f32_e32 v9, s17, v22
	s_waitcnt vmcnt(0) lgkmcnt(0)
	v_mul_f32_e32 v10, s13, v8
	v_mul_f32_e32 v8, s12, v8
	v_fma_f32 v10, v7, s12, -v10
	v_fmac_f32_e32 v8, s13, v7
	v_add_f32_e32 v7, v3, v10
	v_add_f32_e32 v8, v9, v8
	flat_store_dwordx2 v[1:2], v[7:8]
.LBB653_6:
	s_or_b64 exec, exec, s[4:5]
	v_add_u32_e32 v2, 16, v0
	v_cmp_le_i32_e64 s[0:1], v2, v4
	s_and_b64 s[4:5], vcc, s[0:1]
	s_and_saveexec_b64 s[0:1], s[4:5]
	s_cbranch_execz .LBB653_8
; %bb.7:
	v_ashrrev_i32_e32 v3, 31, v2
	v_lshlrev_b64 v[7:8], 3, v[2:3]
	v_mul_f32_e32 v1, s17, v21
	v_add_co_u32_e32 v5, vcc, v5, v7
	v_addc_co_u32_e32 v6, vcc, v6, v8, vcc
	flat_load_dwordx2 v[7:8], v[5:6]
	v_mul_f32_e32 v3, s16, v21
	v_fma_f32 v1, v20, s16, -v1
	v_fmac_f32_e32 v3, s17, v20
	s_waitcnt vmcnt(0) lgkmcnt(0)
	v_mul_f32_e32 v9, s13, v8
	v_mul_f32_e32 v8, s12, v8
	v_fma_f32 v9, v7, s12, -v9
	v_fmac_f32_e32 v8, s13, v7
	v_add_f32_e32 v7, v1, v9
	v_add_f32_e32 v8, v3, v8
	flat_store_dwordx2 v[5:6], v[7:8]
.LBB653_8:
	s_or_b64 exec, exec, s[0:1]
	v_add_u32_e32 v3, 16, v4
	v_mad_i64_i32 v[4:5], s[0:1], v3, s3, 0
	v_mov_b32_e32 v1, s11
	v_cmp_gt_i32_e32 vcc, s2, v3
	v_lshlrev_b64 v[4:5], 3, v[4:5]
	v_add_co_u32_e64 v4, s[0:1], s10, v4
	v_addc_co_u32_e64 v5, s[0:1], v1, v5, s[0:1]
	v_cmp_le_i32_e64 s[0:1], v0, v3
	s_and_b64 s[0:1], vcc, s[0:1]
	s_and_saveexec_b64 s[2:3], s[0:1]
	s_cbranch_execz .LBB653_10
; %bb.9:
	v_ashrrev_i32_e32 v1, 31, v0
	v_lshlrev_b64 v[0:1], 3, v[0:1]
	v_mul_f32_e32 v8, s17, v19
	v_add_co_u32_e64 v0, s[0:1], v4, v0
	v_addc_co_u32_e64 v1, s[0:1], v5, v1, s[0:1]
	flat_load_dwordx2 v[6:7], v[0:1]
	v_mul_f32_e32 v9, s16, v19
	v_fma_f32 v8, v18, s16, -v8
	v_fmac_f32_e32 v9, s17, v18
	s_waitcnt vmcnt(0) lgkmcnt(0)
	v_mul_f32_e32 v10, s13, v7
	v_mul_f32_e32 v7, s12, v7
	v_fma_f32 v10, v6, s12, -v10
	v_fmac_f32_e32 v7, s13, v6
	v_add_f32_e32 v6, v8, v10
	v_add_f32_e32 v7, v9, v7
	flat_store_dwordx2 v[0:1], v[6:7]
.LBB653_10:
	s_or_b64 exec, exec, s[2:3]
	v_cmp_le_i32_e64 s[0:1], v2, v3
	s_and_b64 s[0:1], vcc, s[0:1]
	s_and_saveexec_b64 s[2:3], s[0:1]
	s_cbranch_execz .LBB653_12
; %bb.11:
	v_ashrrev_i32_e32 v3, 31, v2
	v_lshlrev_b64 v[0:1], 3, v[2:3]
	v_add_co_u32_e32 v0, vcc, v4, v0
	v_addc_co_u32_e32 v1, vcc, v5, v1, vcc
	flat_load_dwordx2 v[2:3], v[0:1]
	v_mul_f32_e32 v4, s17, v16
	v_mul_f32_e32 v5, s16, v16
	v_fma_f32 v4, v17, s16, -v4
	v_fmac_f32_e32 v5, s17, v17
	s_waitcnt vmcnt(0) lgkmcnt(0)
	v_mul_f32_e32 v6, s13, v3
	v_mul_f32_e32 v3, s12, v3
	v_fma_f32 v6, v2, s12, -v6
	v_fmac_f32_e32 v3, s13, v2
	v_add_f32_e32 v2, v4, v6
	v_add_f32_e32 v3, v5, v3
	flat_store_dwordx2 v[0:1], v[2:3]
.LBB653_12:
	s_endpgm
	.section	.rodata,"a",@progbits
	.p2align	6, 0x0
	.amdhsa_kernel _ZL37rocblas_syrkx_herkx_restricted_kernelIi19rocblas_complex_numIfELi16ELi32ELi8ELb0ELb0ELc78ELc85EKPKS1_KPS1_EviT_T0_PT8_S7_lSA_S7_lS8_PT9_S7_li
		.amdhsa_group_segment_fixed_size 4096
		.amdhsa_private_segment_fixed_size 0
		.amdhsa_kernarg_size 100
		.amdhsa_user_sgpr_count 6
		.amdhsa_user_sgpr_private_segment_buffer 1
		.amdhsa_user_sgpr_dispatch_ptr 0
		.amdhsa_user_sgpr_queue_ptr 0
		.amdhsa_user_sgpr_kernarg_segment_ptr 1
		.amdhsa_user_sgpr_dispatch_id 0
		.amdhsa_user_sgpr_flat_scratch_init 0
		.amdhsa_user_sgpr_private_segment_size 0
		.amdhsa_uses_dynamic_stack 0
		.amdhsa_system_sgpr_private_segment_wavefront_offset 0
		.amdhsa_system_sgpr_workgroup_id_x 1
		.amdhsa_system_sgpr_workgroup_id_y 1
		.amdhsa_system_sgpr_workgroup_id_z 1
		.amdhsa_system_sgpr_workgroup_info 0
		.amdhsa_system_vgpr_workitem_id 1
		.amdhsa_next_free_vgpr 43
		.amdhsa_next_free_sgpr 24
		.amdhsa_reserve_vcc 1
		.amdhsa_reserve_flat_scratch 0
		.amdhsa_float_round_mode_32 0
		.amdhsa_float_round_mode_16_64 0
		.amdhsa_float_denorm_mode_32 3
		.amdhsa_float_denorm_mode_16_64 3
		.amdhsa_dx10_clamp 1
		.amdhsa_ieee_mode 1
		.amdhsa_fp16_overflow 0
		.amdhsa_exception_fp_ieee_invalid_op 0
		.amdhsa_exception_fp_denorm_src 0
		.amdhsa_exception_fp_ieee_div_zero 0
		.amdhsa_exception_fp_ieee_overflow 0
		.amdhsa_exception_fp_ieee_underflow 0
		.amdhsa_exception_fp_ieee_inexact 0
		.amdhsa_exception_int_div_zero 0
	.end_amdhsa_kernel
	.section	.text._ZL37rocblas_syrkx_herkx_restricted_kernelIi19rocblas_complex_numIfELi16ELi32ELi8ELb0ELb0ELc78ELc85EKPKS1_KPS1_EviT_T0_PT8_S7_lSA_S7_lS8_PT9_S7_li,"axG",@progbits,_ZL37rocblas_syrkx_herkx_restricted_kernelIi19rocblas_complex_numIfELi16ELi32ELi8ELb0ELb0ELc78ELc85EKPKS1_KPS1_EviT_T0_PT8_S7_lSA_S7_lS8_PT9_S7_li,comdat
.Lfunc_end653:
	.size	_ZL37rocblas_syrkx_herkx_restricted_kernelIi19rocblas_complex_numIfELi16ELi32ELi8ELb0ELb0ELc78ELc85EKPKS1_KPS1_EviT_T0_PT8_S7_lSA_S7_lS8_PT9_S7_li, .Lfunc_end653-_ZL37rocblas_syrkx_herkx_restricted_kernelIi19rocblas_complex_numIfELi16ELi32ELi8ELb0ELb0ELc78ELc85EKPKS1_KPS1_EviT_T0_PT8_S7_lSA_S7_lS8_PT9_S7_li
                                        ; -- End function
	.set _ZL37rocblas_syrkx_herkx_restricted_kernelIi19rocblas_complex_numIfELi16ELi32ELi8ELb0ELb0ELc78ELc85EKPKS1_KPS1_EviT_T0_PT8_S7_lSA_S7_lS8_PT9_S7_li.num_vgpr, 43
	.set _ZL37rocblas_syrkx_herkx_restricted_kernelIi19rocblas_complex_numIfELi16ELi32ELi8ELb0ELb0ELc78ELc85EKPKS1_KPS1_EviT_T0_PT8_S7_lSA_S7_lS8_PT9_S7_li.num_agpr, 0
	.set _ZL37rocblas_syrkx_herkx_restricted_kernelIi19rocblas_complex_numIfELi16ELi32ELi8ELb0ELb0ELc78ELc85EKPKS1_KPS1_EviT_T0_PT8_S7_lSA_S7_lS8_PT9_S7_li.numbered_sgpr, 24
	.set _ZL37rocblas_syrkx_herkx_restricted_kernelIi19rocblas_complex_numIfELi16ELi32ELi8ELb0ELb0ELc78ELc85EKPKS1_KPS1_EviT_T0_PT8_S7_lSA_S7_lS8_PT9_S7_li.num_named_barrier, 0
	.set _ZL37rocblas_syrkx_herkx_restricted_kernelIi19rocblas_complex_numIfELi16ELi32ELi8ELb0ELb0ELc78ELc85EKPKS1_KPS1_EviT_T0_PT8_S7_lSA_S7_lS8_PT9_S7_li.private_seg_size, 0
	.set _ZL37rocblas_syrkx_herkx_restricted_kernelIi19rocblas_complex_numIfELi16ELi32ELi8ELb0ELb0ELc78ELc85EKPKS1_KPS1_EviT_T0_PT8_S7_lSA_S7_lS8_PT9_S7_li.uses_vcc, 1
	.set _ZL37rocblas_syrkx_herkx_restricted_kernelIi19rocblas_complex_numIfELi16ELi32ELi8ELb0ELb0ELc78ELc85EKPKS1_KPS1_EviT_T0_PT8_S7_lSA_S7_lS8_PT9_S7_li.uses_flat_scratch, 0
	.set _ZL37rocblas_syrkx_herkx_restricted_kernelIi19rocblas_complex_numIfELi16ELi32ELi8ELb0ELb0ELc78ELc85EKPKS1_KPS1_EviT_T0_PT8_S7_lSA_S7_lS8_PT9_S7_li.has_dyn_sized_stack, 0
	.set _ZL37rocblas_syrkx_herkx_restricted_kernelIi19rocblas_complex_numIfELi16ELi32ELi8ELb0ELb0ELc78ELc85EKPKS1_KPS1_EviT_T0_PT8_S7_lSA_S7_lS8_PT9_S7_li.has_recursion, 0
	.set _ZL37rocblas_syrkx_herkx_restricted_kernelIi19rocblas_complex_numIfELi16ELi32ELi8ELb0ELb0ELc78ELc85EKPKS1_KPS1_EviT_T0_PT8_S7_lSA_S7_lS8_PT9_S7_li.has_indirect_call, 0
	.section	.AMDGPU.csdata,"",@progbits
; Kernel info:
; codeLenInByte = 2096
; TotalNumSgprs: 28
; NumVgprs: 43
; ScratchSize: 0
; MemoryBound: 0
; FloatMode: 240
; IeeeMode: 1
; LDSByteSize: 4096 bytes/workgroup (compile time only)
; SGPRBlocks: 3
; VGPRBlocks: 10
; NumSGPRsForWavesPerEU: 28
; NumVGPRsForWavesPerEU: 43
; Occupancy: 5
; WaveLimiterHint : 1
; COMPUTE_PGM_RSRC2:SCRATCH_EN: 0
; COMPUTE_PGM_RSRC2:USER_SGPR: 6
; COMPUTE_PGM_RSRC2:TRAP_HANDLER: 0
; COMPUTE_PGM_RSRC2:TGID_X_EN: 1
; COMPUTE_PGM_RSRC2:TGID_Y_EN: 1
; COMPUTE_PGM_RSRC2:TGID_Z_EN: 1
; COMPUTE_PGM_RSRC2:TIDIG_COMP_CNT: 1
	.section	.text._ZL41rocblas_syrkx_herkx_small_restrict_kernelIi19rocblas_complex_numIfELi16ELb1ELb0ELc84ELc76EKPKS1_KPS1_EviT_T0_PT6_S7_lSA_S7_lS8_PT7_S7_li,"axG",@progbits,_ZL41rocblas_syrkx_herkx_small_restrict_kernelIi19rocblas_complex_numIfELi16ELb1ELb0ELc84ELc76EKPKS1_KPS1_EviT_T0_PT6_S7_lSA_S7_lS8_PT7_S7_li,comdat
	.globl	_ZL41rocblas_syrkx_herkx_small_restrict_kernelIi19rocblas_complex_numIfELi16ELb1ELb0ELc84ELc76EKPKS1_KPS1_EviT_T0_PT6_S7_lSA_S7_lS8_PT7_S7_li ; -- Begin function _ZL41rocblas_syrkx_herkx_small_restrict_kernelIi19rocblas_complex_numIfELi16ELb1ELb0ELc84ELc76EKPKS1_KPS1_EviT_T0_PT6_S7_lSA_S7_lS8_PT7_S7_li
	.p2align	8
	.type	_ZL41rocblas_syrkx_herkx_small_restrict_kernelIi19rocblas_complex_numIfELi16ELb1ELb0ELc84ELc76EKPKS1_KPS1_EviT_T0_PT6_S7_lSA_S7_lS8_PT7_S7_li,@function
_ZL41rocblas_syrkx_herkx_small_restrict_kernelIi19rocblas_complex_numIfELi16ELb1ELb0ELc84ELc76EKPKS1_KPS1_EviT_T0_PT6_S7_lSA_S7_lS8_PT7_S7_li: ; @_ZL41rocblas_syrkx_herkx_small_restrict_kernelIi19rocblas_complex_numIfELi16ELb1ELb0ELc84ELc76EKPKS1_KPS1_EviT_T0_PT6_S7_lSA_S7_lS8_PT7_S7_li
; %bb.0:
	s_load_dwordx2 s[2:3], s[4:5], 0x48
	s_load_dword s10, s[4:5], 0x4
	s_load_dwordx4 s[12:15], s[4:5], 0x8
	s_mov_b32 s9, 0
	s_lshl_b64 s[0:1], s[8:9], 3
	s_waitcnt lgkmcnt(0)
	s_add_u32 s2, s2, s0
	s_addc_u32 s3, s3, s1
	s_load_dwordx2 s[2:3], s[2:3], 0x0
	v_lshl_add_u32 v2, s6, 4, v0
	s_cmp_lt_i32 s10, 1
	v_lshl_add_u32 v5, s7, 4, v1
	s_cbranch_scc1 .LBB654_6
; %bb.1:
	s_load_dwordx2 s[6:7], s[4:5], 0x28
	s_load_dword s8, s[4:5], 0x18
	s_load_dword s11, s[4:5], 0x30
	v_lshlrev_b32_e32 v6, 3, v0
	v_lshlrev_b32_e32 v8, 7, v1
	s_waitcnt lgkmcnt(0)
	s_add_u32 s6, s6, s0
	s_addc_u32 s7, s7, s1
	s_add_u32 s0, s14, s0
	s_addc_u32 s1, s15, s1
	v_mad_i64_i32 v[3:4], s[14:15], s11, v5, 0
	s_load_dwordx2 s[6:7], s[6:7], 0x0
	v_mad_i64_i32 v[11:12], s[14:15], s8, v2, 0
	v_lshlrev_b64 v[3:4], 3, v[3:4]
	s_load_dwordx2 s[0:1], s[0:1], 0x0
	v_add_co_u32_e32 v0, vcc, v3, v6
	v_addc_co_u32_e32 v4, vcc, 0, v4, vcc
	s_waitcnt lgkmcnt(0)
	v_mov_b32_e32 v13, s7
	v_add_co_u32_e32 v3, vcc, s6, v0
	v_lshlrev_b64 v[11:12], 3, v[11:12]
	v_addc_co_u32_e32 v4, vcc, v13, v4, vcc
	v_lshlrev_b32_e32 v0, 3, v1
	v_add_co_u32_e32 v0, vcc, v11, v0
	v_addc_co_u32_e32 v1, vcc, 0, v12, vcc
	v_add_u32_e32 v7, v6, v8
	v_add_u32_e32 v8, 0x800, v8
	v_mov_b32_e32 v11, s1
	v_add_co_u32_e32 v0, vcc, s0, v0
	v_add_u32_e32 v9, v8, v6
	v_mov_b32_e32 v10, 0
	v_addc_co_u32_e32 v1, vcc, v11, v1, vcc
	v_mov_b32_e32 v11, 0
.LBB654_2:                              ; =>This Inner Loop Header: Depth=1
	flat_load_dwordx2 v[12:13], v[0:1]
	s_add_i32 s9, s9, 16
	s_cmp_lt_i32 s9, s10
	s_waitcnt vmcnt(0) lgkmcnt(0)
	ds_write_b64 v7, v[12:13]
	flat_load_dwordx2 v[12:13], v[3:4]
	v_add_co_u32_e32 v3, vcc, 0x80, v3
	s_mov_b64 s[0:1], vcc
	v_add_co_u32_e32 v0, vcc, 0x80, v0
	v_addc_co_u32_e64 v4, s[0:1], 0, v4, s[0:1]
	v_addc_co_u32_e32 v1, vcc, 0, v1, vcc
	s_waitcnt vmcnt(0) lgkmcnt(0)
	ds_write_b64 v9, v[12:13]
	s_waitcnt lgkmcnt(0)
	s_barrier
	ds_read2_b64 v[12:15], v6 offset1:16
	ds_read_b128 v[16:19], v8
	ds_read_b128 v[20:23], v8 offset:16
	ds_read2_b64 v[24:27], v6 offset0:32 offset1:48
	ds_read2_b64 v[28:31], v6 offset0:64 offset1:80
	ds_read_b128 v[32:35], v8 offset:32
	ds_read_b128 v[36:39], v8 offset:48
	ds_read2_b64 v[40:43], v6 offset0:96 offset1:112
	ds_read2_b64 v[44:47], v6 offset0:128 offset1:144
	ds_read_b128 v[48:51], v8 offset:64
	ds_read_b128 v[52:55], v8 offset:80
	s_waitcnt lgkmcnt(9)
	v_mul_f32_e32 v56, v17, v13
	v_mul_f32_e32 v57, v16, v13
	;; [unrolled: 1-line block ×4, first 2 shown]
	v_fma_f32 v56, v16, v12, -v56
	v_fmac_f32_e32 v57, v17, v12
	v_fma_f32 v59, v18, v14, -v13
	v_fmac_f32_e32 v58, v19, v14
	s_waitcnt lgkmcnt(7)
	v_mul_f32_e32 v16, v21, v25
	v_mul_f32_e32 v60, v20, v25
	v_add_f32_e32 v11, v11, v56
	v_add_f32_e32 v10, v10, v57
	v_mul_f32_e32 v17, v23, v27
	v_mul_f32_e32 v61, v22, v27
	v_fma_f32 v62, v20, v24, -v16
	v_fmac_f32_e32 v60, v21, v24
	v_add_f32_e32 v11, v11, v59
	v_add_f32_e32 v10, v10, v58
	v_fma_f32 v63, v22, v26, -v17
	v_fmac_f32_e32 v61, v23, v26
	s_waitcnt lgkmcnt(5)
	v_mul_f32_e32 v20, v33, v29
	v_mul_f32_e32 v64, v32, v29
	v_add_f32_e32 v11, v11, v62
	v_add_f32_e32 v10, v10, v60
	ds_read2_b64 v[12:15], v6 offset0:160 offset1:176
	v_mul_f32_e32 v21, v35, v31
	v_mul_f32_e32 v65, v34, v31
	v_fma_f32 v32, v32, v28, -v20
	v_fmac_f32_e32 v64, v33, v28
	v_add_f32_e32 v11, v11, v63
	v_add_f32_e32 v10, v10, v61
	v_fma_f32 v33, v34, v30, -v21
	v_fmac_f32_e32 v65, v35, v30
	s_waitcnt lgkmcnt(4)
	v_mul_f32_e32 v24, v37, v41
	v_mul_f32_e32 v34, v36, v41
	v_add_f32_e32 v11, v11, v32
	v_add_f32_e32 v10, v10, v64
	ds_read2_b64 v[16:19], v6 offset0:192 offset1:208
	ds_read_b128 v[20:23], v8 offset:96
	v_mul_f32_e32 v25, v39, v43
	v_mul_f32_e32 v35, v38, v43
	v_fma_f32 v36, v36, v40, -v24
	v_fmac_f32_e32 v34, v37, v40
	v_add_f32_e32 v11, v11, v33
	v_add_f32_e32 v10, v10, v65
	v_fma_f32 v37, v38, v42, -v25
	v_fmac_f32_e32 v35, v39, v42
	s_waitcnt lgkmcnt(4)
	v_mul_f32_e32 v28, v49, v45
	v_mul_f32_e32 v38, v48, v45
	;; [unrolled: 1-line block ×3, first 2 shown]
	v_add_f32_e32 v11, v11, v36
	v_add_f32_e32 v10, v10, v34
	ds_read_b128 v[24:27], v8 offset:112
	v_mul_f32_e32 v39, v50, v47
	v_fma_f32 v40, v48, v44, -v28
	v_fmac_f32_e32 v38, v49, v44
	v_fma_f32 v41, v50, v46, -v29
	ds_read2_b64 v[28:31], v6 offset0:224 offset1:240
	v_add_f32_e32 v11, v11, v37
	v_add_f32_e32 v10, v10, v35
	v_fmac_f32_e32 v39, v51, v46
	s_waitcnt lgkmcnt(4)
	v_mul_f32_e32 v42, v53, v13
	v_mul_f32_e32 v13, v52, v13
	v_add_f32_e32 v11, v11, v40
	v_add_f32_e32 v10, v10, v38
	v_mul_f32_e32 v43, v55, v15
	v_mul_f32_e32 v15, v54, v15
	v_fma_f32 v42, v52, v12, -v42
	v_fmac_f32_e32 v13, v53, v12
	v_add_f32_e32 v11, v11, v41
	v_add_f32_e32 v10, v10, v39
	s_waitcnt lgkmcnt(2)
	v_mul_f32_e32 v44, v21, v17
	v_mul_f32_e32 v17, v20, v17
	v_fma_f32 v12, v54, v14, -v43
	v_fmac_f32_e32 v15, v55, v14
	v_add_f32_e32 v11, v11, v42
	v_add_f32_e32 v10, v10, v13
	v_mul_f32_e32 v14, v23, v19
	v_mul_f32_e32 v19, v22, v19
	v_fma_f32 v20, v20, v16, -v44
	v_fmac_f32_e32 v17, v21, v16
	v_add_f32_e32 v11, v11, v12
	v_add_f32_e32 v10, v10, v15
	s_waitcnt lgkmcnt(0)
	v_mul_f32_e32 v43, v25, v29
	v_mul_f32_e32 v29, v24, v29
	v_fma_f32 v14, v22, v18, -v14
	v_fmac_f32_e32 v19, v23, v18
	v_add_f32_e32 v11, v11, v20
	v_add_f32_e32 v10, v10, v17
	v_mul_f32_e32 v45, v27, v31
	v_mul_f32_e32 v31, v26, v31
	v_fma_f32 v16, v24, v28, -v43
	v_fmac_f32_e32 v29, v25, v28
	v_add_f32_e32 v11, v11, v14
	v_add_f32_e32 v10, v10, v19
	v_fma_f32 v18, v26, v30, -v45
	v_fmac_f32_e32 v31, v27, v30
	v_add_f32_e32 v11, v11, v16
	v_add_f32_e32 v10, v10, v29
	v_add_f32_e32 v11, v11, v18
	v_add_f32_e32 v10, v10, v31
	s_barrier
	s_cbranch_scc1 .LBB654_2
; %bb.3:
	v_cmp_le_i32_e32 vcc, v5, v2
	s_and_saveexec_b64 s[0:1], vcc
	s_cbranch_execz .LBB654_5
.LBB654_4:
	s_load_dword s0, s[4:5], 0x50
	v_ashrrev_i32_e32 v3, 31, v2
	s_waitcnt lgkmcnt(0)
	v_mov_b32_e32 v6, s3
	v_lshlrev_b64 v[2:3], 3, v[2:3]
	v_mul_f32_e32 v0, s13, v10
	v_mad_i64_i32 v[4:5], s[0:1], s0, v5, 0
	v_mul_f32_e32 v1, s12, v10
	v_fma_f32 v0, v11, s12, -v0
	v_lshlrev_b64 v[4:5], 3, v[4:5]
	v_fmac_f32_e32 v1, s13, v11
	v_add_co_u32_e32 v4, vcc, s2, v4
	v_addc_co_u32_e32 v5, vcc, v6, v5, vcc
	v_add_co_u32_e32 v2, vcc, v4, v2
	v_addc_co_u32_e32 v3, vcc, v5, v3, vcc
	flat_store_dwordx2 v[2:3], v[0:1]
.LBB654_5:
	s_endpgm
.LBB654_6:
	v_mov_b32_e32 v10, 0
	v_mov_b32_e32 v11, 0
	v_cmp_le_i32_e32 vcc, v5, v2
	s_and_saveexec_b64 s[0:1], vcc
	s_cbranch_execnz .LBB654_4
	s_branch .LBB654_5
	.section	.rodata,"a",@progbits
	.p2align	6, 0x0
	.amdhsa_kernel _ZL41rocblas_syrkx_herkx_small_restrict_kernelIi19rocblas_complex_numIfELi16ELb1ELb0ELc84ELc76EKPKS1_KPS1_EviT_T0_PT6_S7_lSA_S7_lS8_PT7_S7_li
		.amdhsa_group_segment_fixed_size 4096
		.amdhsa_private_segment_fixed_size 0
		.amdhsa_kernarg_size 100
		.amdhsa_user_sgpr_count 6
		.amdhsa_user_sgpr_private_segment_buffer 1
		.amdhsa_user_sgpr_dispatch_ptr 0
		.amdhsa_user_sgpr_queue_ptr 0
		.amdhsa_user_sgpr_kernarg_segment_ptr 1
		.amdhsa_user_sgpr_dispatch_id 0
		.amdhsa_user_sgpr_flat_scratch_init 0
		.amdhsa_user_sgpr_private_segment_size 0
		.amdhsa_uses_dynamic_stack 0
		.amdhsa_system_sgpr_private_segment_wavefront_offset 0
		.amdhsa_system_sgpr_workgroup_id_x 1
		.amdhsa_system_sgpr_workgroup_id_y 1
		.amdhsa_system_sgpr_workgroup_id_z 1
		.amdhsa_system_sgpr_workgroup_info 0
		.amdhsa_system_vgpr_workitem_id 1
		.amdhsa_next_free_vgpr 66
		.amdhsa_next_free_sgpr 16
		.amdhsa_reserve_vcc 1
		.amdhsa_reserve_flat_scratch 0
		.amdhsa_float_round_mode_32 0
		.amdhsa_float_round_mode_16_64 0
		.amdhsa_float_denorm_mode_32 3
		.amdhsa_float_denorm_mode_16_64 3
		.amdhsa_dx10_clamp 1
		.amdhsa_ieee_mode 1
		.amdhsa_fp16_overflow 0
		.amdhsa_exception_fp_ieee_invalid_op 0
		.amdhsa_exception_fp_denorm_src 0
		.amdhsa_exception_fp_ieee_div_zero 0
		.amdhsa_exception_fp_ieee_overflow 0
		.amdhsa_exception_fp_ieee_underflow 0
		.amdhsa_exception_fp_ieee_inexact 0
		.amdhsa_exception_int_div_zero 0
	.end_amdhsa_kernel
	.section	.text._ZL41rocblas_syrkx_herkx_small_restrict_kernelIi19rocblas_complex_numIfELi16ELb1ELb0ELc84ELc76EKPKS1_KPS1_EviT_T0_PT6_S7_lSA_S7_lS8_PT7_S7_li,"axG",@progbits,_ZL41rocblas_syrkx_herkx_small_restrict_kernelIi19rocblas_complex_numIfELi16ELb1ELb0ELc84ELc76EKPKS1_KPS1_EviT_T0_PT6_S7_lSA_S7_lS8_PT7_S7_li,comdat
.Lfunc_end654:
	.size	_ZL41rocblas_syrkx_herkx_small_restrict_kernelIi19rocblas_complex_numIfELi16ELb1ELb0ELc84ELc76EKPKS1_KPS1_EviT_T0_PT6_S7_lSA_S7_lS8_PT7_S7_li, .Lfunc_end654-_ZL41rocblas_syrkx_herkx_small_restrict_kernelIi19rocblas_complex_numIfELi16ELb1ELb0ELc84ELc76EKPKS1_KPS1_EviT_T0_PT6_S7_lSA_S7_lS8_PT7_S7_li
                                        ; -- End function
	.set _ZL41rocblas_syrkx_herkx_small_restrict_kernelIi19rocblas_complex_numIfELi16ELb1ELb0ELc84ELc76EKPKS1_KPS1_EviT_T0_PT6_S7_lSA_S7_lS8_PT7_S7_li.num_vgpr, 66
	.set _ZL41rocblas_syrkx_herkx_small_restrict_kernelIi19rocblas_complex_numIfELi16ELb1ELb0ELc84ELc76EKPKS1_KPS1_EviT_T0_PT6_S7_lSA_S7_lS8_PT7_S7_li.num_agpr, 0
	.set _ZL41rocblas_syrkx_herkx_small_restrict_kernelIi19rocblas_complex_numIfELi16ELb1ELb0ELc84ELc76EKPKS1_KPS1_EviT_T0_PT6_S7_lSA_S7_lS8_PT7_S7_li.numbered_sgpr, 16
	.set _ZL41rocblas_syrkx_herkx_small_restrict_kernelIi19rocblas_complex_numIfELi16ELb1ELb0ELc84ELc76EKPKS1_KPS1_EviT_T0_PT6_S7_lSA_S7_lS8_PT7_S7_li.num_named_barrier, 0
	.set _ZL41rocblas_syrkx_herkx_small_restrict_kernelIi19rocblas_complex_numIfELi16ELb1ELb0ELc84ELc76EKPKS1_KPS1_EviT_T0_PT6_S7_lSA_S7_lS8_PT7_S7_li.private_seg_size, 0
	.set _ZL41rocblas_syrkx_herkx_small_restrict_kernelIi19rocblas_complex_numIfELi16ELb1ELb0ELc84ELc76EKPKS1_KPS1_EviT_T0_PT6_S7_lSA_S7_lS8_PT7_S7_li.uses_vcc, 1
	.set _ZL41rocblas_syrkx_herkx_small_restrict_kernelIi19rocblas_complex_numIfELi16ELb1ELb0ELc84ELc76EKPKS1_KPS1_EviT_T0_PT6_S7_lSA_S7_lS8_PT7_S7_li.uses_flat_scratch, 0
	.set _ZL41rocblas_syrkx_herkx_small_restrict_kernelIi19rocblas_complex_numIfELi16ELb1ELb0ELc84ELc76EKPKS1_KPS1_EviT_T0_PT6_S7_lSA_S7_lS8_PT7_S7_li.has_dyn_sized_stack, 0
	.set _ZL41rocblas_syrkx_herkx_small_restrict_kernelIi19rocblas_complex_numIfELi16ELb1ELb0ELc84ELc76EKPKS1_KPS1_EviT_T0_PT6_S7_lSA_S7_lS8_PT7_S7_li.has_recursion, 0
	.set _ZL41rocblas_syrkx_herkx_small_restrict_kernelIi19rocblas_complex_numIfELi16ELb1ELb0ELc84ELc76EKPKS1_KPS1_EviT_T0_PT6_S7_lSA_S7_lS8_PT7_S7_li.has_indirect_call, 0
	.section	.AMDGPU.csdata,"",@progbits
; Kernel info:
; codeLenInByte = 1080
; TotalNumSgprs: 20
; NumVgprs: 66
; ScratchSize: 0
; MemoryBound: 0
; FloatMode: 240
; IeeeMode: 1
; LDSByteSize: 4096 bytes/workgroup (compile time only)
; SGPRBlocks: 2
; VGPRBlocks: 16
; NumSGPRsForWavesPerEU: 20
; NumVGPRsForWavesPerEU: 66
; Occupancy: 3
; WaveLimiterHint : 1
; COMPUTE_PGM_RSRC2:SCRATCH_EN: 0
; COMPUTE_PGM_RSRC2:USER_SGPR: 6
; COMPUTE_PGM_RSRC2:TRAP_HANDLER: 0
; COMPUTE_PGM_RSRC2:TGID_X_EN: 1
; COMPUTE_PGM_RSRC2:TGID_Y_EN: 1
; COMPUTE_PGM_RSRC2:TGID_Z_EN: 1
; COMPUTE_PGM_RSRC2:TIDIG_COMP_CNT: 1
	.section	.text._ZL41rocblas_syrkx_herkx_small_restrict_kernelIi19rocblas_complex_numIfELi16ELb1ELb0ELc67ELc76EKPKS1_KPS1_EviT_T0_PT6_S7_lSA_S7_lS8_PT7_S7_li,"axG",@progbits,_ZL41rocblas_syrkx_herkx_small_restrict_kernelIi19rocblas_complex_numIfELi16ELb1ELb0ELc67ELc76EKPKS1_KPS1_EviT_T0_PT6_S7_lSA_S7_lS8_PT7_S7_li,comdat
	.globl	_ZL41rocblas_syrkx_herkx_small_restrict_kernelIi19rocblas_complex_numIfELi16ELb1ELb0ELc67ELc76EKPKS1_KPS1_EviT_T0_PT6_S7_lSA_S7_lS8_PT7_S7_li ; -- Begin function _ZL41rocblas_syrkx_herkx_small_restrict_kernelIi19rocblas_complex_numIfELi16ELb1ELb0ELc67ELc76EKPKS1_KPS1_EviT_T0_PT6_S7_lSA_S7_lS8_PT7_S7_li
	.p2align	8
	.type	_ZL41rocblas_syrkx_herkx_small_restrict_kernelIi19rocblas_complex_numIfELi16ELb1ELb0ELc67ELc76EKPKS1_KPS1_EviT_T0_PT6_S7_lSA_S7_lS8_PT7_S7_li,@function
_ZL41rocblas_syrkx_herkx_small_restrict_kernelIi19rocblas_complex_numIfELi16ELb1ELb0ELc67ELc76EKPKS1_KPS1_EviT_T0_PT6_S7_lSA_S7_lS8_PT7_S7_li: ; @_ZL41rocblas_syrkx_herkx_small_restrict_kernelIi19rocblas_complex_numIfELi16ELb1ELb0ELc67ELc76EKPKS1_KPS1_EviT_T0_PT6_S7_lSA_S7_lS8_PT7_S7_li
; %bb.0:
	s_load_dwordx2 s[2:3], s[4:5], 0x48
	s_load_dword s10, s[4:5], 0x4
	s_load_dwordx4 s[12:15], s[4:5], 0x8
	s_mov_b32 s9, 0
	s_lshl_b64 s[0:1], s[8:9], 3
	s_waitcnt lgkmcnt(0)
	s_add_u32 s2, s2, s0
	s_addc_u32 s3, s3, s1
	s_load_dwordx2 s[2:3], s[2:3], 0x0
	v_lshl_add_u32 v2, s6, 4, v0
	s_cmp_lt_i32 s10, 1
	v_lshl_add_u32 v5, s7, 4, v1
	s_cbranch_scc1 .LBB655_6
; %bb.1:
	s_load_dwordx2 s[6:7], s[4:5], 0x28
	s_load_dword s8, s[4:5], 0x18
	s_load_dword s11, s[4:5], 0x30
	v_lshlrev_b32_e32 v6, 3, v0
	v_lshlrev_b32_e32 v8, 7, v1
	s_waitcnt lgkmcnt(0)
	s_add_u32 s6, s6, s0
	s_addc_u32 s7, s7, s1
	s_add_u32 s0, s14, s0
	s_addc_u32 s1, s15, s1
	v_mad_i64_i32 v[3:4], s[14:15], s11, v5, 0
	s_load_dwordx2 s[6:7], s[6:7], 0x0
	v_mad_i64_i32 v[11:12], s[14:15], s8, v2, 0
	v_lshlrev_b64 v[3:4], 3, v[3:4]
	s_load_dwordx2 s[0:1], s[0:1], 0x0
	v_add_co_u32_e32 v0, vcc, v3, v6
	v_addc_co_u32_e32 v4, vcc, 0, v4, vcc
	s_waitcnt lgkmcnt(0)
	v_mov_b32_e32 v13, s7
	v_add_co_u32_e32 v3, vcc, s6, v0
	v_lshlrev_b64 v[11:12], 3, v[11:12]
	v_addc_co_u32_e32 v4, vcc, v13, v4, vcc
	v_lshlrev_b32_e32 v0, 3, v1
	v_add_co_u32_e32 v0, vcc, v11, v0
	v_addc_co_u32_e32 v1, vcc, 0, v12, vcc
	v_add_u32_e32 v7, v6, v8
	v_add_u32_e32 v8, 0x800, v8
	v_mov_b32_e32 v11, s1
	v_add_co_u32_e32 v0, vcc, s0, v0
	v_add_u32_e32 v9, v8, v6
	v_mov_b32_e32 v10, 0
	v_addc_co_u32_e32 v1, vcc, v11, v1, vcc
	v_mov_b32_e32 v11, 0
.LBB655_2:                              ; =>This Inner Loop Header: Depth=1
	flat_load_dwordx2 v[12:13], v[0:1]
	s_add_i32 s9, s9, 16
	s_cmp_lt_i32 s9, s10
	s_waitcnt vmcnt(0) lgkmcnt(0)
	ds_write_b64 v7, v[12:13]
	flat_load_dwordx2 v[12:13], v[3:4]
	v_add_co_u32_e32 v3, vcc, 0x80, v3
	s_mov_b64 s[0:1], vcc
	v_add_co_u32_e32 v0, vcc, 0x80, v0
	v_addc_co_u32_e64 v4, s[0:1], 0, v4, s[0:1]
	v_addc_co_u32_e32 v1, vcc, 0, v1, vcc
	s_waitcnt vmcnt(0) lgkmcnt(0)
	ds_write_b64 v9, v[12:13]
	s_waitcnt lgkmcnt(0)
	s_barrier
	ds_read2_b64 v[12:15], v6 offset1:16
	ds_read_b128 v[16:19], v8
	ds_read_b128 v[20:23], v8 offset:16
	ds_read2_b64 v[24:27], v6 offset0:32 offset1:48
	ds_read2_b64 v[28:31], v6 offset0:64 offset1:80
	ds_read_b128 v[32:35], v8 offset:32
	ds_read_b128 v[36:39], v8 offset:48
	ds_read2_b64 v[40:43], v6 offset0:96 offset1:112
	ds_read2_b64 v[44:47], v6 offset0:128 offset1:144
	ds_read_b128 v[48:51], v8 offset:64
	ds_read_b128 v[52:55], v8 offset:80
	s_waitcnt lgkmcnt(9)
	v_mul_f32_e32 v56, v17, v13
	v_mul_f32_e32 v57, v16, v13
	;; [unrolled: 1-line block ×4, first 2 shown]
	v_fma_f32 v56, v16, v12, -v56
	v_fmac_f32_e32 v57, v17, v12
	v_fma_f32 v59, v18, v14, -v13
	v_fmac_f32_e32 v58, v19, v14
	s_waitcnt lgkmcnt(7)
	v_mul_f32_e32 v16, v21, v25
	v_mul_f32_e32 v60, v20, v25
	v_add_f32_e32 v11, v11, v56
	v_add_f32_e32 v10, v10, v57
	v_mul_f32_e32 v17, v23, v27
	v_mul_f32_e32 v61, v22, v27
	v_fma_f32 v62, v20, v24, -v16
	v_fmac_f32_e32 v60, v21, v24
	v_add_f32_e32 v11, v11, v59
	v_add_f32_e32 v10, v10, v58
	v_fma_f32 v63, v22, v26, -v17
	v_fmac_f32_e32 v61, v23, v26
	s_waitcnt lgkmcnt(5)
	v_mul_f32_e32 v20, v33, v29
	v_mul_f32_e32 v64, v32, v29
	v_add_f32_e32 v11, v11, v62
	v_add_f32_e32 v10, v10, v60
	ds_read2_b64 v[12:15], v6 offset0:160 offset1:176
	v_mul_f32_e32 v21, v35, v31
	v_mul_f32_e32 v65, v34, v31
	v_fma_f32 v32, v32, v28, -v20
	v_fmac_f32_e32 v64, v33, v28
	v_add_f32_e32 v11, v11, v63
	v_add_f32_e32 v10, v10, v61
	v_fma_f32 v33, v34, v30, -v21
	v_fmac_f32_e32 v65, v35, v30
	s_waitcnt lgkmcnt(4)
	v_mul_f32_e32 v24, v37, v41
	v_mul_f32_e32 v34, v36, v41
	v_add_f32_e32 v11, v11, v32
	v_add_f32_e32 v10, v10, v64
	ds_read2_b64 v[16:19], v6 offset0:192 offset1:208
	ds_read_b128 v[20:23], v8 offset:96
	v_mul_f32_e32 v25, v39, v43
	v_mul_f32_e32 v35, v38, v43
	v_fma_f32 v36, v36, v40, -v24
	v_fmac_f32_e32 v34, v37, v40
	v_add_f32_e32 v11, v11, v33
	v_add_f32_e32 v10, v10, v65
	v_fma_f32 v37, v38, v42, -v25
	v_fmac_f32_e32 v35, v39, v42
	s_waitcnt lgkmcnt(4)
	v_mul_f32_e32 v28, v49, v45
	v_mul_f32_e32 v38, v48, v45
	;; [unrolled: 1-line block ×3, first 2 shown]
	v_add_f32_e32 v11, v11, v36
	v_add_f32_e32 v10, v10, v34
	ds_read_b128 v[24:27], v8 offset:112
	v_mul_f32_e32 v39, v50, v47
	v_fma_f32 v40, v48, v44, -v28
	v_fmac_f32_e32 v38, v49, v44
	v_fma_f32 v41, v50, v46, -v29
	ds_read2_b64 v[28:31], v6 offset0:224 offset1:240
	v_add_f32_e32 v11, v11, v37
	v_add_f32_e32 v10, v10, v35
	v_fmac_f32_e32 v39, v51, v46
	s_waitcnt lgkmcnt(4)
	v_mul_f32_e32 v42, v53, v13
	v_mul_f32_e32 v13, v52, v13
	v_add_f32_e32 v11, v11, v40
	v_add_f32_e32 v10, v10, v38
	v_mul_f32_e32 v43, v55, v15
	v_mul_f32_e32 v15, v54, v15
	v_fma_f32 v42, v52, v12, -v42
	v_fmac_f32_e32 v13, v53, v12
	v_add_f32_e32 v11, v11, v41
	v_add_f32_e32 v10, v10, v39
	s_waitcnt lgkmcnt(2)
	v_mul_f32_e32 v44, v21, v17
	v_mul_f32_e32 v17, v20, v17
	v_fma_f32 v12, v54, v14, -v43
	v_fmac_f32_e32 v15, v55, v14
	v_add_f32_e32 v11, v11, v42
	v_add_f32_e32 v10, v10, v13
	v_mul_f32_e32 v14, v23, v19
	v_mul_f32_e32 v19, v22, v19
	v_fma_f32 v20, v20, v16, -v44
	v_fmac_f32_e32 v17, v21, v16
	v_add_f32_e32 v11, v11, v12
	v_add_f32_e32 v10, v10, v15
	s_waitcnt lgkmcnt(0)
	v_mul_f32_e32 v43, v25, v29
	v_mul_f32_e32 v29, v24, v29
	v_fma_f32 v14, v22, v18, -v14
	v_fmac_f32_e32 v19, v23, v18
	v_add_f32_e32 v11, v11, v20
	v_add_f32_e32 v10, v10, v17
	v_mul_f32_e32 v45, v27, v31
	v_mul_f32_e32 v31, v26, v31
	v_fma_f32 v16, v24, v28, -v43
	v_fmac_f32_e32 v29, v25, v28
	v_add_f32_e32 v11, v11, v14
	v_add_f32_e32 v10, v10, v19
	v_fma_f32 v18, v26, v30, -v45
	v_fmac_f32_e32 v31, v27, v30
	v_add_f32_e32 v11, v11, v16
	v_add_f32_e32 v10, v10, v29
	;; [unrolled: 1-line block ×4, first 2 shown]
	s_barrier
	s_cbranch_scc1 .LBB655_2
; %bb.3:
	v_cmp_le_i32_e32 vcc, v5, v2
	s_and_saveexec_b64 s[0:1], vcc
	s_cbranch_execz .LBB655_5
.LBB655_4:
	s_load_dword s0, s[4:5], 0x50
	v_ashrrev_i32_e32 v3, 31, v2
	s_waitcnt lgkmcnt(0)
	v_mov_b32_e32 v6, s3
	v_lshlrev_b64 v[2:3], 3, v[2:3]
	v_mul_f32_e32 v0, s13, v10
	v_mad_i64_i32 v[4:5], s[0:1], s0, v5, 0
	v_mul_f32_e32 v1, s12, v10
	v_fma_f32 v0, v11, s12, -v0
	v_lshlrev_b64 v[4:5], 3, v[4:5]
	v_fmac_f32_e32 v1, s13, v11
	v_add_co_u32_e32 v4, vcc, s2, v4
	v_addc_co_u32_e32 v5, vcc, v6, v5, vcc
	v_add_co_u32_e32 v2, vcc, v4, v2
	v_addc_co_u32_e32 v3, vcc, v5, v3, vcc
	flat_store_dwordx2 v[2:3], v[0:1]
.LBB655_5:
	s_endpgm
.LBB655_6:
	v_mov_b32_e32 v10, 0
	v_mov_b32_e32 v11, 0
	v_cmp_le_i32_e32 vcc, v5, v2
	s_and_saveexec_b64 s[0:1], vcc
	s_cbranch_execnz .LBB655_4
	s_branch .LBB655_5
	.section	.rodata,"a",@progbits
	.p2align	6, 0x0
	.amdhsa_kernel _ZL41rocblas_syrkx_herkx_small_restrict_kernelIi19rocblas_complex_numIfELi16ELb1ELb0ELc67ELc76EKPKS1_KPS1_EviT_T0_PT6_S7_lSA_S7_lS8_PT7_S7_li
		.amdhsa_group_segment_fixed_size 4096
		.amdhsa_private_segment_fixed_size 0
		.amdhsa_kernarg_size 100
		.amdhsa_user_sgpr_count 6
		.amdhsa_user_sgpr_private_segment_buffer 1
		.amdhsa_user_sgpr_dispatch_ptr 0
		.amdhsa_user_sgpr_queue_ptr 0
		.amdhsa_user_sgpr_kernarg_segment_ptr 1
		.amdhsa_user_sgpr_dispatch_id 0
		.amdhsa_user_sgpr_flat_scratch_init 0
		.amdhsa_user_sgpr_private_segment_size 0
		.amdhsa_uses_dynamic_stack 0
		.amdhsa_system_sgpr_private_segment_wavefront_offset 0
		.amdhsa_system_sgpr_workgroup_id_x 1
		.amdhsa_system_sgpr_workgroup_id_y 1
		.amdhsa_system_sgpr_workgroup_id_z 1
		.amdhsa_system_sgpr_workgroup_info 0
		.amdhsa_system_vgpr_workitem_id 1
		.amdhsa_next_free_vgpr 66
		.amdhsa_next_free_sgpr 16
		.amdhsa_reserve_vcc 1
		.amdhsa_reserve_flat_scratch 0
		.amdhsa_float_round_mode_32 0
		.amdhsa_float_round_mode_16_64 0
		.amdhsa_float_denorm_mode_32 3
		.amdhsa_float_denorm_mode_16_64 3
		.amdhsa_dx10_clamp 1
		.amdhsa_ieee_mode 1
		.amdhsa_fp16_overflow 0
		.amdhsa_exception_fp_ieee_invalid_op 0
		.amdhsa_exception_fp_denorm_src 0
		.amdhsa_exception_fp_ieee_div_zero 0
		.amdhsa_exception_fp_ieee_overflow 0
		.amdhsa_exception_fp_ieee_underflow 0
		.amdhsa_exception_fp_ieee_inexact 0
		.amdhsa_exception_int_div_zero 0
	.end_amdhsa_kernel
	.section	.text._ZL41rocblas_syrkx_herkx_small_restrict_kernelIi19rocblas_complex_numIfELi16ELb1ELb0ELc67ELc76EKPKS1_KPS1_EviT_T0_PT6_S7_lSA_S7_lS8_PT7_S7_li,"axG",@progbits,_ZL41rocblas_syrkx_herkx_small_restrict_kernelIi19rocblas_complex_numIfELi16ELb1ELb0ELc67ELc76EKPKS1_KPS1_EviT_T0_PT6_S7_lSA_S7_lS8_PT7_S7_li,comdat
.Lfunc_end655:
	.size	_ZL41rocblas_syrkx_herkx_small_restrict_kernelIi19rocblas_complex_numIfELi16ELb1ELb0ELc67ELc76EKPKS1_KPS1_EviT_T0_PT6_S7_lSA_S7_lS8_PT7_S7_li, .Lfunc_end655-_ZL41rocblas_syrkx_herkx_small_restrict_kernelIi19rocblas_complex_numIfELi16ELb1ELb0ELc67ELc76EKPKS1_KPS1_EviT_T0_PT6_S7_lSA_S7_lS8_PT7_S7_li
                                        ; -- End function
	.set _ZL41rocblas_syrkx_herkx_small_restrict_kernelIi19rocblas_complex_numIfELi16ELb1ELb0ELc67ELc76EKPKS1_KPS1_EviT_T0_PT6_S7_lSA_S7_lS8_PT7_S7_li.num_vgpr, 66
	.set _ZL41rocblas_syrkx_herkx_small_restrict_kernelIi19rocblas_complex_numIfELi16ELb1ELb0ELc67ELc76EKPKS1_KPS1_EviT_T0_PT6_S7_lSA_S7_lS8_PT7_S7_li.num_agpr, 0
	.set _ZL41rocblas_syrkx_herkx_small_restrict_kernelIi19rocblas_complex_numIfELi16ELb1ELb0ELc67ELc76EKPKS1_KPS1_EviT_T0_PT6_S7_lSA_S7_lS8_PT7_S7_li.numbered_sgpr, 16
	.set _ZL41rocblas_syrkx_herkx_small_restrict_kernelIi19rocblas_complex_numIfELi16ELb1ELb0ELc67ELc76EKPKS1_KPS1_EviT_T0_PT6_S7_lSA_S7_lS8_PT7_S7_li.num_named_barrier, 0
	.set _ZL41rocblas_syrkx_herkx_small_restrict_kernelIi19rocblas_complex_numIfELi16ELb1ELb0ELc67ELc76EKPKS1_KPS1_EviT_T0_PT6_S7_lSA_S7_lS8_PT7_S7_li.private_seg_size, 0
	.set _ZL41rocblas_syrkx_herkx_small_restrict_kernelIi19rocblas_complex_numIfELi16ELb1ELb0ELc67ELc76EKPKS1_KPS1_EviT_T0_PT6_S7_lSA_S7_lS8_PT7_S7_li.uses_vcc, 1
	.set _ZL41rocblas_syrkx_herkx_small_restrict_kernelIi19rocblas_complex_numIfELi16ELb1ELb0ELc67ELc76EKPKS1_KPS1_EviT_T0_PT6_S7_lSA_S7_lS8_PT7_S7_li.uses_flat_scratch, 0
	.set _ZL41rocblas_syrkx_herkx_small_restrict_kernelIi19rocblas_complex_numIfELi16ELb1ELb0ELc67ELc76EKPKS1_KPS1_EviT_T0_PT6_S7_lSA_S7_lS8_PT7_S7_li.has_dyn_sized_stack, 0
	.set _ZL41rocblas_syrkx_herkx_small_restrict_kernelIi19rocblas_complex_numIfELi16ELb1ELb0ELc67ELc76EKPKS1_KPS1_EviT_T0_PT6_S7_lSA_S7_lS8_PT7_S7_li.has_recursion, 0
	.set _ZL41rocblas_syrkx_herkx_small_restrict_kernelIi19rocblas_complex_numIfELi16ELb1ELb0ELc67ELc76EKPKS1_KPS1_EviT_T0_PT6_S7_lSA_S7_lS8_PT7_S7_li.has_indirect_call, 0
	.section	.AMDGPU.csdata,"",@progbits
; Kernel info:
; codeLenInByte = 1080
; TotalNumSgprs: 20
; NumVgprs: 66
; ScratchSize: 0
; MemoryBound: 0
; FloatMode: 240
; IeeeMode: 1
; LDSByteSize: 4096 bytes/workgroup (compile time only)
; SGPRBlocks: 2
; VGPRBlocks: 16
; NumSGPRsForWavesPerEU: 20
; NumVGPRsForWavesPerEU: 66
; Occupancy: 3
; WaveLimiterHint : 1
; COMPUTE_PGM_RSRC2:SCRATCH_EN: 0
; COMPUTE_PGM_RSRC2:USER_SGPR: 6
; COMPUTE_PGM_RSRC2:TRAP_HANDLER: 0
; COMPUTE_PGM_RSRC2:TGID_X_EN: 1
; COMPUTE_PGM_RSRC2:TGID_Y_EN: 1
; COMPUTE_PGM_RSRC2:TGID_Z_EN: 1
; COMPUTE_PGM_RSRC2:TIDIG_COMP_CNT: 1
	.section	.text._ZL41rocblas_syrkx_herkx_small_restrict_kernelIi19rocblas_complex_numIfELi16ELb1ELb0ELc78ELc76EKPKS1_KPS1_EviT_T0_PT6_S7_lSA_S7_lS8_PT7_S7_li,"axG",@progbits,_ZL41rocblas_syrkx_herkx_small_restrict_kernelIi19rocblas_complex_numIfELi16ELb1ELb0ELc78ELc76EKPKS1_KPS1_EviT_T0_PT6_S7_lSA_S7_lS8_PT7_S7_li,comdat
	.globl	_ZL41rocblas_syrkx_herkx_small_restrict_kernelIi19rocblas_complex_numIfELi16ELb1ELb0ELc78ELc76EKPKS1_KPS1_EviT_T0_PT6_S7_lSA_S7_lS8_PT7_S7_li ; -- Begin function _ZL41rocblas_syrkx_herkx_small_restrict_kernelIi19rocblas_complex_numIfELi16ELb1ELb0ELc78ELc76EKPKS1_KPS1_EviT_T0_PT6_S7_lSA_S7_lS8_PT7_S7_li
	.p2align	8
	.type	_ZL41rocblas_syrkx_herkx_small_restrict_kernelIi19rocblas_complex_numIfELi16ELb1ELb0ELc78ELc76EKPKS1_KPS1_EviT_T0_PT6_S7_lSA_S7_lS8_PT7_S7_li,@function
_ZL41rocblas_syrkx_herkx_small_restrict_kernelIi19rocblas_complex_numIfELi16ELb1ELb0ELc78ELc76EKPKS1_KPS1_EviT_T0_PT6_S7_lSA_S7_lS8_PT7_S7_li: ; @_ZL41rocblas_syrkx_herkx_small_restrict_kernelIi19rocblas_complex_numIfELi16ELb1ELb0ELc78ELc76EKPKS1_KPS1_EviT_T0_PT6_S7_lSA_S7_lS8_PT7_S7_li
; %bb.0:
	s_load_dwordx2 s[10:11], s[4:5], 0x48
	s_load_dword s14, s[4:5], 0x4
	s_load_dwordx4 s[0:3], s[4:5], 0x8
	s_mov_b32 s9, 0
	s_lshl_b64 s[12:13], s[8:9], 3
	s_waitcnt lgkmcnt(0)
	s_add_u32 s10, s10, s12
	s_addc_u32 s11, s11, s13
	s_load_dwordx2 s[10:11], s[10:11], 0x0
	v_lshl_add_u32 v2, s6, 4, v0
	v_lshl_add_u32 v4, s7, 4, v1
	s_cmp_lt_i32 s14, 1
	v_ashrrev_i32_e32 v3, 31, v2
	s_cbranch_scc1 .LBB656_6
; %bb.1:
	s_load_dword s6, s[4:5], 0x18
	s_load_dword s16, s[4:5], 0x30
	s_load_dwordx2 s[18:19], s[4:5], 0x28
	v_lshlrev_b32_e32 v6, 7, v1
	v_lshlrev_b32_e32 v7, 3, v0
	s_waitcnt lgkmcnt(0)
	s_ashr_i32 s7, s6, 31
	s_ashr_i32 s17, s16, 31
	s_add_u32 s18, s18, s12
	s_addc_u32 s19, s19, s13
	s_add_u32 s2, s2, s12
	s_addc_u32 s3, s3, s13
	s_load_dwordx2 s[12:13], s[2:3], 0x0
	v_mad_i64_i32 v[11:12], s[2:3], s16, v0, 0
	v_ashrrev_i32_e32 v5, 31, v4
	v_add_u32_e32 v8, v7, v6
	v_add_u32_e32 v9, 0x800, v6
	v_lshlrev_b64 v[11:12], 3, v[11:12]
	v_lshlrev_b64 v[5:6], 3, v[4:5]
	s_load_dwordx2 s[18:19], s[18:19], 0x0
	v_add_co_u32_e32 v0, vcc, v11, v5
	v_addc_co_u32_e32 v11, vcc, v12, v6, vcc
	v_mad_i64_i32 v[5:6], s[2:3], s6, v1, 0
	s_waitcnt lgkmcnt(0)
	v_mov_b32_e32 v12, s19
	v_add_co_u32_e32 v0, vcc, s18, v0
	v_addc_co_u32_e32 v1, vcc, v12, v11, vcc
	v_lshlrev_b64 v[5:6], 3, v[5:6]
	v_lshlrev_b64 v[11:12], 3, v[2:3]
	s_lshl_b64 s[2:3], s[16:17], 7
	v_add_co_u32_e32 v5, vcc, v5, v11
	v_addc_co_u32_e32 v6, vcc, v6, v12, vcc
	v_mov_b32_e32 v11, s13
	v_add_co_u32_e32 v5, vcc, s12, v5
	s_lshl_b64 s[6:7], s[6:7], 7
	v_add_u32_e32 v10, v9, v7
	v_addc_co_u32_e32 v6, vcc, v11, v6, vcc
	v_mov_b32_e32 v14, 0
	v_mov_b32_e32 v11, s3
	;; [unrolled: 1-line block ×4, first 2 shown]
.LBB656_2:                              ; =>This Inner Loop Header: Depth=1
	flat_load_dwordx2 v[15:16], v[5:6]
	v_add_co_u32_e32 v5, vcc, s6, v5
	v_addc_co_u32_e32 v6, vcc, v6, v12, vcc
	s_add_i32 s9, s9, 16
	s_cmp_lt_i32 s9, s14
	s_waitcnt vmcnt(0) lgkmcnt(0)
	ds_write_b64 v8, v[15:16]
	flat_load_dwordx2 v[15:16], v[0:1]
	v_add_co_u32_e32 v0, vcc, s2, v0
	v_addc_co_u32_e32 v1, vcc, v1, v11, vcc
	s_waitcnt vmcnt(0) lgkmcnt(0)
	ds_write_b64 v10, v[15:16]
	s_waitcnt lgkmcnt(0)
	s_barrier
	ds_read2_b64 v[15:18], v7 offset1:16
	ds_read_b128 v[19:22], v9
	ds_read_b128 v[23:26], v9 offset:16
	ds_read2_b64 v[27:30], v7 offset0:32 offset1:48
	ds_read2_b64 v[31:34], v7 offset0:64 offset1:80
	ds_read_b128 v[35:38], v9 offset:32
	ds_read_b128 v[39:42], v9 offset:48
	ds_read2_b64 v[43:46], v7 offset0:96 offset1:112
	ds_read2_b64 v[47:50], v7 offset0:128 offset1:144
	ds_read_b128 v[51:54], v9 offset:64
	ds_read_b128 v[55:58], v9 offset:80
	s_waitcnt lgkmcnt(9)
	v_mul_f32_e32 v59, v20, v16
	v_mul_f32_e32 v60, v19, v16
	;; [unrolled: 1-line block ×4, first 2 shown]
	v_fma_f32 v59, v19, v15, -v59
	v_fmac_f32_e32 v60, v20, v15
	v_fma_f32 v62, v21, v17, -v16
	v_fmac_f32_e32 v61, v22, v17
	s_waitcnt lgkmcnt(7)
	v_mul_f32_e32 v19, v24, v28
	v_mul_f32_e32 v63, v23, v28
	v_add_f32_e32 v13, v13, v59
	v_add_f32_e32 v14, v14, v60
	v_mul_f32_e32 v20, v26, v30
	v_mul_f32_e32 v64, v25, v30
	v_fma_f32 v65, v23, v27, -v19
	v_fmac_f32_e32 v63, v24, v27
	v_add_f32_e32 v13, v13, v62
	v_add_f32_e32 v14, v14, v61
	v_fma_f32 v66, v25, v29, -v20
	v_fmac_f32_e32 v64, v26, v29
	s_waitcnt lgkmcnt(5)
	v_mul_f32_e32 v23, v36, v32
	v_mul_f32_e32 v67, v35, v32
	v_add_f32_e32 v13, v13, v65
	v_add_f32_e32 v14, v14, v63
	ds_read2_b64 v[15:18], v7 offset0:160 offset1:176
	v_mul_f32_e32 v24, v38, v34
	v_mul_f32_e32 v68, v37, v34
	v_fma_f32 v35, v35, v31, -v23
	v_fmac_f32_e32 v67, v36, v31
	v_add_f32_e32 v13, v13, v66
	v_add_f32_e32 v14, v14, v64
	v_fma_f32 v36, v37, v33, -v24
	v_fmac_f32_e32 v68, v38, v33
	s_waitcnt lgkmcnt(4)
	v_mul_f32_e32 v27, v40, v44
	v_mul_f32_e32 v37, v39, v44
	v_add_f32_e32 v13, v13, v35
	v_add_f32_e32 v14, v14, v67
	ds_read2_b64 v[19:22], v7 offset0:192 offset1:208
	ds_read_b128 v[23:26], v9 offset:96
	v_mul_f32_e32 v28, v42, v46
	v_mul_f32_e32 v38, v41, v46
	v_fma_f32 v39, v39, v43, -v27
	v_fmac_f32_e32 v37, v40, v43
	v_add_f32_e32 v13, v13, v36
	v_add_f32_e32 v14, v14, v68
	v_fma_f32 v40, v41, v45, -v28
	v_fmac_f32_e32 v38, v42, v45
	s_waitcnt lgkmcnt(4)
	v_mul_f32_e32 v31, v52, v48
	v_mul_f32_e32 v41, v51, v48
	v_mul_f32_e32 v32, v54, v50
	v_add_f32_e32 v13, v13, v39
	v_add_f32_e32 v14, v14, v37
	ds_read_b128 v[27:30], v9 offset:112
	v_mul_f32_e32 v42, v53, v50
	v_fma_f32 v43, v51, v47, -v31
	v_fmac_f32_e32 v41, v52, v47
	v_fma_f32 v44, v53, v49, -v32
	ds_read2_b64 v[31:34], v7 offset0:224 offset1:240
	v_add_f32_e32 v13, v13, v40
	v_add_f32_e32 v14, v14, v38
	v_fmac_f32_e32 v42, v54, v49
	s_waitcnt lgkmcnt(4)
	v_mul_f32_e32 v45, v56, v16
	v_mul_f32_e32 v16, v55, v16
	v_add_f32_e32 v13, v13, v43
	v_add_f32_e32 v14, v14, v41
	v_mul_f32_e32 v46, v58, v18
	v_mul_f32_e32 v18, v57, v18
	v_fma_f32 v45, v55, v15, -v45
	v_fmac_f32_e32 v16, v56, v15
	v_add_f32_e32 v13, v13, v44
	v_add_f32_e32 v14, v14, v42
	v_fma_f32 v15, v57, v17, -v46
	v_fmac_f32_e32 v18, v58, v17
	s_waitcnt lgkmcnt(2)
	v_mul_f32_e32 v17, v24, v20
	v_mul_f32_e32 v20, v23, v20
	v_add_f32_e32 v13, v13, v45
	v_add_f32_e32 v14, v14, v16
	v_mul_f32_e32 v46, v26, v22
	v_mul_f32_e32 v22, v25, v22
	v_fma_f32 v17, v23, v19, -v17
	v_fmac_f32_e32 v20, v24, v19
	v_add_f32_e32 v13, v13, v15
	v_add_f32_e32 v14, v14, v18
	s_waitcnt lgkmcnt(0)
	v_mul_f32_e32 v47, v28, v32
	v_mul_f32_e32 v32, v27, v32
	v_fma_f32 v19, v25, v21, -v46
	v_fmac_f32_e32 v22, v26, v21
	v_add_f32_e32 v13, v13, v17
	v_add_f32_e32 v14, v14, v20
	v_mul_f32_e32 v48, v30, v34
	v_mul_f32_e32 v34, v29, v34
	v_fma_f32 v21, v27, v31, -v47
	v_fmac_f32_e32 v32, v28, v31
	v_add_f32_e32 v13, v13, v19
	v_add_f32_e32 v14, v14, v22
	v_fma_f32 v23, v29, v33, -v48
	v_fmac_f32_e32 v34, v30, v33
	v_add_f32_e32 v13, v13, v21
	v_add_f32_e32 v14, v14, v32
	;; [unrolled: 1-line block ×4, first 2 shown]
	s_barrier
	s_cbranch_scc1 .LBB656_2
; %bb.3:
	v_cmp_le_i32_e32 vcc, v4, v2
	s_and_saveexec_b64 s[2:3], vcc
	s_cbranch_execz .LBB656_5
.LBB656_4:
	s_load_dword s2, s[4:5], 0x50
	s_waitcnt lgkmcnt(0)
	v_mov_b32_e32 v6, s11
	v_lshlrev_b64 v[2:3], 3, v[2:3]
	v_mul_f32_e32 v0, s1, v14
	v_mul_f32_e32 v1, s0, v14
	v_mad_i64_i32 v[4:5], s[2:3], s2, v4, 0
	v_fma_f32 v0, v13, s0, -v0
	v_fmac_f32_e32 v1, s1, v13
	v_lshlrev_b64 v[4:5], 3, v[4:5]
	v_add_co_u32_e32 v4, vcc, s10, v4
	v_addc_co_u32_e32 v5, vcc, v6, v5, vcc
	v_add_co_u32_e32 v2, vcc, v4, v2
	v_addc_co_u32_e32 v3, vcc, v5, v3, vcc
	flat_store_dwordx2 v[2:3], v[0:1]
.LBB656_5:
	s_endpgm
.LBB656_6:
	v_mov_b32_e32 v14, 0
	v_mov_b32_e32 v13, 0
	v_cmp_le_i32_e32 vcc, v4, v2
	s_and_saveexec_b64 s[2:3], vcc
	s_cbranch_execnz .LBB656_4
	s_branch .LBB656_5
	.section	.rodata,"a",@progbits
	.p2align	6, 0x0
	.amdhsa_kernel _ZL41rocblas_syrkx_herkx_small_restrict_kernelIi19rocblas_complex_numIfELi16ELb1ELb0ELc78ELc76EKPKS1_KPS1_EviT_T0_PT6_S7_lSA_S7_lS8_PT7_S7_li
		.amdhsa_group_segment_fixed_size 4096
		.amdhsa_private_segment_fixed_size 0
		.amdhsa_kernarg_size 100
		.amdhsa_user_sgpr_count 6
		.amdhsa_user_sgpr_private_segment_buffer 1
		.amdhsa_user_sgpr_dispatch_ptr 0
		.amdhsa_user_sgpr_queue_ptr 0
		.amdhsa_user_sgpr_kernarg_segment_ptr 1
		.amdhsa_user_sgpr_dispatch_id 0
		.amdhsa_user_sgpr_flat_scratch_init 0
		.amdhsa_user_sgpr_private_segment_size 0
		.amdhsa_uses_dynamic_stack 0
		.amdhsa_system_sgpr_private_segment_wavefront_offset 0
		.amdhsa_system_sgpr_workgroup_id_x 1
		.amdhsa_system_sgpr_workgroup_id_y 1
		.amdhsa_system_sgpr_workgroup_id_z 1
		.amdhsa_system_sgpr_workgroup_info 0
		.amdhsa_system_vgpr_workitem_id 1
		.amdhsa_next_free_vgpr 69
		.amdhsa_next_free_sgpr 20
		.amdhsa_reserve_vcc 1
		.amdhsa_reserve_flat_scratch 0
		.amdhsa_float_round_mode_32 0
		.amdhsa_float_round_mode_16_64 0
		.amdhsa_float_denorm_mode_32 3
		.amdhsa_float_denorm_mode_16_64 3
		.amdhsa_dx10_clamp 1
		.amdhsa_ieee_mode 1
		.amdhsa_fp16_overflow 0
		.amdhsa_exception_fp_ieee_invalid_op 0
		.amdhsa_exception_fp_denorm_src 0
		.amdhsa_exception_fp_ieee_div_zero 0
		.amdhsa_exception_fp_ieee_overflow 0
		.amdhsa_exception_fp_ieee_underflow 0
		.amdhsa_exception_fp_ieee_inexact 0
		.amdhsa_exception_int_div_zero 0
	.end_amdhsa_kernel
	.section	.text._ZL41rocblas_syrkx_herkx_small_restrict_kernelIi19rocblas_complex_numIfELi16ELb1ELb0ELc78ELc76EKPKS1_KPS1_EviT_T0_PT6_S7_lSA_S7_lS8_PT7_S7_li,"axG",@progbits,_ZL41rocblas_syrkx_herkx_small_restrict_kernelIi19rocblas_complex_numIfELi16ELb1ELb0ELc78ELc76EKPKS1_KPS1_EviT_T0_PT6_S7_lSA_S7_lS8_PT7_S7_li,comdat
.Lfunc_end656:
	.size	_ZL41rocblas_syrkx_herkx_small_restrict_kernelIi19rocblas_complex_numIfELi16ELb1ELb0ELc78ELc76EKPKS1_KPS1_EviT_T0_PT6_S7_lSA_S7_lS8_PT7_S7_li, .Lfunc_end656-_ZL41rocblas_syrkx_herkx_small_restrict_kernelIi19rocblas_complex_numIfELi16ELb1ELb0ELc78ELc76EKPKS1_KPS1_EviT_T0_PT6_S7_lSA_S7_lS8_PT7_S7_li
                                        ; -- End function
	.set _ZL41rocblas_syrkx_herkx_small_restrict_kernelIi19rocblas_complex_numIfELi16ELb1ELb0ELc78ELc76EKPKS1_KPS1_EviT_T0_PT6_S7_lSA_S7_lS8_PT7_S7_li.num_vgpr, 69
	.set _ZL41rocblas_syrkx_herkx_small_restrict_kernelIi19rocblas_complex_numIfELi16ELb1ELb0ELc78ELc76EKPKS1_KPS1_EviT_T0_PT6_S7_lSA_S7_lS8_PT7_S7_li.num_agpr, 0
	.set _ZL41rocblas_syrkx_herkx_small_restrict_kernelIi19rocblas_complex_numIfELi16ELb1ELb0ELc78ELc76EKPKS1_KPS1_EviT_T0_PT6_S7_lSA_S7_lS8_PT7_S7_li.numbered_sgpr, 20
	.set _ZL41rocblas_syrkx_herkx_small_restrict_kernelIi19rocblas_complex_numIfELi16ELb1ELb0ELc78ELc76EKPKS1_KPS1_EviT_T0_PT6_S7_lSA_S7_lS8_PT7_S7_li.num_named_barrier, 0
	.set _ZL41rocblas_syrkx_herkx_small_restrict_kernelIi19rocblas_complex_numIfELi16ELb1ELb0ELc78ELc76EKPKS1_KPS1_EviT_T0_PT6_S7_lSA_S7_lS8_PT7_S7_li.private_seg_size, 0
	.set _ZL41rocblas_syrkx_herkx_small_restrict_kernelIi19rocblas_complex_numIfELi16ELb1ELb0ELc78ELc76EKPKS1_KPS1_EviT_T0_PT6_S7_lSA_S7_lS8_PT7_S7_li.uses_vcc, 1
	.set _ZL41rocblas_syrkx_herkx_small_restrict_kernelIi19rocblas_complex_numIfELi16ELb1ELb0ELc78ELc76EKPKS1_KPS1_EviT_T0_PT6_S7_lSA_S7_lS8_PT7_S7_li.uses_flat_scratch, 0
	.set _ZL41rocblas_syrkx_herkx_small_restrict_kernelIi19rocblas_complex_numIfELi16ELb1ELb0ELc78ELc76EKPKS1_KPS1_EviT_T0_PT6_S7_lSA_S7_lS8_PT7_S7_li.has_dyn_sized_stack, 0
	.set _ZL41rocblas_syrkx_herkx_small_restrict_kernelIi19rocblas_complex_numIfELi16ELb1ELb0ELc78ELc76EKPKS1_KPS1_EviT_T0_PT6_S7_lSA_S7_lS8_PT7_S7_li.has_recursion, 0
	.set _ZL41rocblas_syrkx_herkx_small_restrict_kernelIi19rocblas_complex_numIfELi16ELb1ELb0ELc78ELc76EKPKS1_KPS1_EviT_T0_PT6_S7_lSA_S7_lS8_PT7_S7_li.has_indirect_call, 0
	.section	.AMDGPU.csdata,"",@progbits
; Kernel info:
; codeLenInByte = 1104
; TotalNumSgprs: 24
; NumVgprs: 69
; ScratchSize: 0
; MemoryBound: 0
; FloatMode: 240
; IeeeMode: 1
; LDSByteSize: 4096 bytes/workgroup (compile time only)
; SGPRBlocks: 2
; VGPRBlocks: 17
; NumSGPRsForWavesPerEU: 24
; NumVGPRsForWavesPerEU: 69
; Occupancy: 3
; WaveLimiterHint : 1
; COMPUTE_PGM_RSRC2:SCRATCH_EN: 0
; COMPUTE_PGM_RSRC2:USER_SGPR: 6
; COMPUTE_PGM_RSRC2:TRAP_HANDLER: 0
; COMPUTE_PGM_RSRC2:TGID_X_EN: 1
; COMPUTE_PGM_RSRC2:TGID_Y_EN: 1
; COMPUTE_PGM_RSRC2:TGID_Z_EN: 1
; COMPUTE_PGM_RSRC2:TIDIG_COMP_CNT: 1
	.section	.text._ZL41rocblas_syrkx_herkx_small_restrict_kernelIi19rocblas_complex_numIfELi16ELb1ELb0ELc84ELc85EKPKS1_KPS1_EviT_T0_PT6_S7_lSA_S7_lS8_PT7_S7_li,"axG",@progbits,_ZL41rocblas_syrkx_herkx_small_restrict_kernelIi19rocblas_complex_numIfELi16ELb1ELb0ELc84ELc85EKPKS1_KPS1_EviT_T0_PT6_S7_lSA_S7_lS8_PT7_S7_li,comdat
	.globl	_ZL41rocblas_syrkx_herkx_small_restrict_kernelIi19rocblas_complex_numIfELi16ELb1ELb0ELc84ELc85EKPKS1_KPS1_EviT_T0_PT6_S7_lSA_S7_lS8_PT7_S7_li ; -- Begin function _ZL41rocblas_syrkx_herkx_small_restrict_kernelIi19rocblas_complex_numIfELi16ELb1ELb0ELc84ELc85EKPKS1_KPS1_EviT_T0_PT6_S7_lSA_S7_lS8_PT7_S7_li
	.p2align	8
	.type	_ZL41rocblas_syrkx_herkx_small_restrict_kernelIi19rocblas_complex_numIfELi16ELb1ELb0ELc84ELc85EKPKS1_KPS1_EviT_T0_PT6_S7_lSA_S7_lS8_PT7_S7_li,@function
_ZL41rocblas_syrkx_herkx_small_restrict_kernelIi19rocblas_complex_numIfELi16ELb1ELb0ELc84ELc85EKPKS1_KPS1_EviT_T0_PT6_S7_lSA_S7_lS8_PT7_S7_li: ; @_ZL41rocblas_syrkx_herkx_small_restrict_kernelIi19rocblas_complex_numIfELi16ELb1ELb0ELc84ELc85EKPKS1_KPS1_EviT_T0_PT6_S7_lSA_S7_lS8_PT7_S7_li
; %bb.0:
	s_load_dwordx2 s[2:3], s[4:5], 0x48
	s_load_dword s10, s[4:5], 0x4
	s_load_dwordx4 s[12:15], s[4:5], 0x8
	s_mov_b32 s9, 0
	s_lshl_b64 s[0:1], s[8:9], 3
	s_waitcnt lgkmcnt(0)
	s_add_u32 s2, s2, s0
	s_addc_u32 s3, s3, s1
	s_load_dwordx2 s[2:3], s[2:3], 0x0
	v_lshl_add_u32 v2, s6, 4, v0
	s_cmp_lt_i32 s10, 1
	v_lshl_add_u32 v5, s7, 4, v1
	s_cbranch_scc1 .LBB657_6
; %bb.1:
	s_load_dwordx2 s[6:7], s[4:5], 0x28
	s_load_dword s8, s[4:5], 0x18
	s_load_dword s11, s[4:5], 0x30
	v_lshlrev_b32_e32 v6, 3, v0
	v_lshlrev_b32_e32 v8, 7, v1
	s_waitcnt lgkmcnt(0)
	s_add_u32 s6, s6, s0
	s_addc_u32 s7, s7, s1
	s_add_u32 s0, s14, s0
	s_addc_u32 s1, s15, s1
	v_mad_i64_i32 v[3:4], s[14:15], s11, v5, 0
	s_load_dwordx2 s[6:7], s[6:7], 0x0
	v_mad_i64_i32 v[11:12], s[14:15], s8, v2, 0
	v_lshlrev_b64 v[3:4], 3, v[3:4]
	s_load_dwordx2 s[0:1], s[0:1], 0x0
	v_add_co_u32_e32 v0, vcc, v3, v6
	v_addc_co_u32_e32 v4, vcc, 0, v4, vcc
	s_waitcnt lgkmcnt(0)
	v_mov_b32_e32 v13, s7
	v_add_co_u32_e32 v3, vcc, s6, v0
	v_lshlrev_b64 v[11:12], 3, v[11:12]
	v_addc_co_u32_e32 v4, vcc, v13, v4, vcc
	v_lshlrev_b32_e32 v0, 3, v1
	v_add_co_u32_e32 v0, vcc, v11, v0
	v_addc_co_u32_e32 v1, vcc, 0, v12, vcc
	v_add_u32_e32 v7, v6, v8
	v_add_u32_e32 v8, 0x800, v8
	v_mov_b32_e32 v11, s1
	v_add_co_u32_e32 v0, vcc, s0, v0
	v_add_u32_e32 v9, v8, v6
	v_mov_b32_e32 v10, 0
	v_addc_co_u32_e32 v1, vcc, v11, v1, vcc
	v_mov_b32_e32 v11, 0
.LBB657_2:                              ; =>This Inner Loop Header: Depth=1
	flat_load_dwordx2 v[12:13], v[0:1]
	s_add_i32 s9, s9, 16
	s_cmp_lt_i32 s9, s10
	s_waitcnt vmcnt(0) lgkmcnt(0)
	ds_write_b64 v7, v[12:13]
	flat_load_dwordx2 v[12:13], v[3:4]
	v_add_co_u32_e32 v3, vcc, 0x80, v3
	s_mov_b64 s[0:1], vcc
	v_add_co_u32_e32 v0, vcc, 0x80, v0
	v_addc_co_u32_e64 v4, s[0:1], 0, v4, s[0:1]
	v_addc_co_u32_e32 v1, vcc, 0, v1, vcc
	s_waitcnt vmcnt(0) lgkmcnt(0)
	ds_write_b64 v9, v[12:13]
	s_waitcnt lgkmcnt(0)
	s_barrier
	ds_read2_b64 v[12:15], v6 offset1:16
	ds_read_b128 v[16:19], v8
	ds_read_b128 v[20:23], v8 offset:16
	ds_read2_b64 v[24:27], v6 offset0:32 offset1:48
	ds_read2_b64 v[28:31], v6 offset0:64 offset1:80
	ds_read_b128 v[32:35], v8 offset:32
	ds_read_b128 v[36:39], v8 offset:48
	ds_read2_b64 v[40:43], v6 offset0:96 offset1:112
	ds_read2_b64 v[44:47], v6 offset0:128 offset1:144
	ds_read_b128 v[48:51], v8 offset:64
	ds_read_b128 v[52:55], v8 offset:80
	s_waitcnt lgkmcnt(9)
	v_mul_f32_e32 v56, v17, v13
	v_mul_f32_e32 v57, v16, v13
	;; [unrolled: 1-line block ×4, first 2 shown]
	v_fma_f32 v56, v16, v12, -v56
	v_fmac_f32_e32 v57, v17, v12
	v_fma_f32 v59, v18, v14, -v13
	v_fmac_f32_e32 v58, v19, v14
	s_waitcnt lgkmcnt(7)
	v_mul_f32_e32 v16, v21, v25
	v_mul_f32_e32 v60, v20, v25
	v_add_f32_e32 v11, v11, v56
	v_add_f32_e32 v10, v10, v57
	v_mul_f32_e32 v17, v23, v27
	v_mul_f32_e32 v61, v22, v27
	v_fma_f32 v62, v20, v24, -v16
	v_fmac_f32_e32 v60, v21, v24
	v_add_f32_e32 v11, v11, v59
	v_add_f32_e32 v10, v10, v58
	v_fma_f32 v63, v22, v26, -v17
	v_fmac_f32_e32 v61, v23, v26
	s_waitcnt lgkmcnt(5)
	v_mul_f32_e32 v20, v33, v29
	v_mul_f32_e32 v64, v32, v29
	v_add_f32_e32 v11, v11, v62
	v_add_f32_e32 v10, v10, v60
	ds_read2_b64 v[12:15], v6 offset0:160 offset1:176
	v_mul_f32_e32 v21, v35, v31
	v_mul_f32_e32 v65, v34, v31
	v_fma_f32 v32, v32, v28, -v20
	v_fmac_f32_e32 v64, v33, v28
	v_add_f32_e32 v11, v11, v63
	v_add_f32_e32 v10, v10, v61
	v_fma_f32 v33, v34, v30, -v21
	v_fmac_f32_e32 v65, v35, v30
	s_waitcnt lgkmcnt(4)
	v_mul_f32_e32 v24, v37, v41
	v_mul_f32_e32 v34, v36, v41
	v_add_f32_e32 v11, v11, v32
	v_add_f32_e32 v10, v10, v64
	ds_read2_b64 v[16:19], v6 offset0:192 offset1:208
	ds_read_b128 v[20:23], v8 offset:96
	v_mul_f32_e32 v25, v39, v43
	v_mul_f32_e32 v35, v38, v43
	v_fma_f32 v36, v36, v40, -v24
	v_fmac_f32_e32 v34, v37, v40
	v_add_f32_e32 v11, v11, v33
	v_add_f32_e32 v10, v10, v65
	v_fma_f32 v37, v38, v42, -v25
	v_fmac_f32_e32 v35, v39, v42
	s_waitcnt lgkmcnt(4)
	v_mul_f32_e32 v28, v49, v45
	v_mul_f32_e32 v38, v48, v45
	;; [unrolled: 1-line block ×3, first 2 shown]
	v_add_f32_e32 v11, v11, v36
	v_add_f32_e32 v10, v10, v34
	ds_read_b128 v[24:27], v8 offset:112
	v_mul_f32_e32 v39, v50, v47
	v_fma_f32 v40, v48, v44, -v28
	v_fmac_f32_e32 v38, v49, v44
	v_fma_f32 v41, v50, v46, -v29
	ds_read2_b64 v[28:31], v6 offset0:224 offset1:240
	v_add_f32_e32 v11, v11, v37
	v_add_f32_e32 v10, v10, v35
	v_fmac_f32_e32 v39, v51, v46
	s_waitcnt lgkmcnt(4)
	v_mul_f32_e32 v42, v53, v13
	v_mul_f32_e32 v13, v52, v13
	v_add_f32_e32 v11, v11, v40
	v_add_f32_e32 v10, v10, v38
	v_mul_f32_e32 v43, v55, v15
	v_mul_f32_e32 v15, v54, v15
	v_fma_f32 v42, v52, v12, -v42
	v_fmac_f32_e32 v13, v53, v12
	v_add_f32_e32 v11, v11, v41
	v_add_f32_e32 v10, v10, v39
	s_waitcnt lgkmcnt(2)
	v_mul_f32_e32 v44, v21, v17
	v_mul_f32_e32 v17, v20, v17
	v_fma_f32 v12, v54, v14, -v43
	v_fmac_f32_e32 v15, v55, v14
	v_add_f32_e32 v11, v11, v42
	v_add_f32_e32 v10, v10, v13
	v_mul_f32_e32 v14, v23, v19
	v_mul_f32_e32 v19, v22, v19
	v_fma_f32 v20, v20, v16, -v44
	v_fmac_f32_e32 v17, v21, v16
	v_add_f32_e32 v11, v11, v12
	v_add_f32_e32 v10, v10, v15
	s_waitcnt lgkmcnt(0)
	v_mul_f32_e32 v43, v25, v29
	v_mul_f32_e32 v29, v24, v29
	v_fma_f32 v14, v22, v18, -v14
	v_fmac_f32_e32 v19, v23, v18
	v_add_f32_e32 v11, v11, v20
	v_add_f32_e32 v10, v10, v17
	v_mul_f32_e32 v45, v27, v31
	v_mul_f32_e32 v31, v26, v31
	v_fma_f32 v16, v24, v28, -v43
	v_fmac_f32_e32 v29, v25, v28
	v_add_f32_e32 v11, v11, v14
	v_add_f32_e32 v10, v10, v19
	v_fma_f32 v18, v26, v30, -v45
	v_fmac_f32_e32 v31, v27, v30
	v_add_f32_e32 v11, v11, v16
	v_add_f32_e32 v10, v10, v29
	;; [unrolled: 1-line block ×4, first 2 shown]
	s_barrier
	s_cbranch_scc1 .LBB657_2
; %bb.3:
	v_cmp_le_i32_e32 vcc, v2, v5
	s_and_saveexec_b64 s[0:1], vcc
	s_cbranch_execz .LBB657_5
.LBB657_4:
	s_load_dword s0, s[4:5], 0x50
	v_ashrrev_i32_e32 v3, 31, v2
	s_waitcnt lgkmcnt(0)
	v_mov_b32_e32 v6, s3
	v_lshlrev_b64 v[2:3], 3, v[2:3]
	v_mul_f32_e32 v0, s13, v10
	v_mad_i64_i32 v[4:5], s[0:1], s0, v5, 0
	v_mul_f32_e32 v1, s12, v10
	v_fma_f32 v0, v11, s12, -v0
	v_lshlrev_b64 v[4:5], 3, v[4:5]
	v_fmac_f32_e32 v1, s13, v11
	v_add_co_u32_e32 v4, vcc, s2, v4
	v_addc_co_u32_e32 v5, vcc, v6, v5, vcc
	v_add_co_u32_e32 v2, vcc, v4, v2
	v_addc_co_u32_e32 v3, vcc, v5, v3, vcc
	flat_store_dwordx2 v[2:3], v[0:1]
.LBB657_5:
	s_endpgm
.LBB657_6:
	v_mov_b32_e32 v10, 0
	v_mov_b32_e32 v11, 0
	v_cmp_le_i32_e32 vcc, v2, v5
	s_and_saveexec_b64 s[0:1], vcc
	s_cbranch_execnz .LBB657_4
	s_branch .LBB657_5
	.section	.rodata,"a",@progbits
	.p2align	6, 0x0
	.amdhsa_kernel _ZL41rocblas_syrkx_herkx_small_restrict_kernelIi19rocblas_complex_numIfELi16ELb1ELb0ELc84ELc85EKPKS1_KPS1_EviT_T0_PT6_S7_lSA_S7_lS8_PT7_S7_li
		.amdhsa_group_segment_fixed_size 4096
		.amdhsa_private_segment_fixed_size 0
		.amdhsa_kernarg_size 100
		.amdhsa_user_sgpr_count 6
		.amdhsa_user_sgpr_private_segment_buffer 1
		.amdhsa_user_sgpr_dispatch_ptr 0
		.amdhsa_user_sgpr_queue_ptr 0
		.amdhsa_user_sgpr_kernarg_segment_ptr 1
		.amdhsa_user_sgpr_dispatch_id 0
		.amdhsa_user_sgpr_flat_scratch_init 0
		.amdhsa_user_sgpr_private_segment_size 0
		.amdhsa_uses_dynamic_stack 0
		.amdhsa_system_sgpr_private_segment_wavefront_offset 0
		.amdhsa_system_sgpr_workgroup_id_x 1
		.amdhsa_system_sgpr_workgroup_id_y 1
		.amdhsa_system_sgpr_workgroup_id_z 1
		.amdhsa_system_sgpr_workgroup_info 0
		.amdhsa_system_vgpr_workitem_id 1
		.amdhsa_next_free_vgpr 66
		.amdhsa_next_free_sgpr 16
		.amdhsa_reserve_vcc 1
		.amdhsa_reserve_flat_scratch 0
		.amdhsa_float_round_mode_32 0
		.amdhsa_float_round_mode_16_64 0
		.amdhsa_float_denorm_mode_32 3
		.amdhsa_float_denorm_mode_16_64 3
		.amdhsa_dx10_clamp 1
		.amdhsa_ieee_mode 1
		.amdhsa_fp16_overflow 0
		.amdhsa_exception_fp_ieee_invalid_op 0
		.amdhsa_exception_fp_denorm_src 0
		.amdhsa_exception_fp_ieee_div_zero 0
		.amdhsa_exception_fp_ieee_overflow 0
		.amdhsa_exception_fp_ieee_underflow 0
		.amdhsa_exception_fp_ieee_inexact 0
		.amdhsa_exception_int_div_zero 0
	.end_amdhsa_kernel
	.section	.text._ZL41rocblas_syrkx_herkx_small_restrict_kernelIi19rocblas_complex_numIfELi16ELb1ELb0ELc84ELc85EKPKS1_KPS1_EviT_T0_PT6_S7_lSA_S7_lS8_PT7_S7_li,"axG",@progbits,_ZL41rocblas_syrkx_herkx_small_restrict_kernelIi19rocblas_complex_numIfELi16ELb1ELb0ELc84ELc85EKPKS1_KPS1_EviT_T0_PT6_S7_lSA_S7_lS8_PT7_S7_li,comdat
.Lfunc_end657:
	.size	_ZL41rocblas_syrkx_herkx_small_restrict_kernelIi19rocblas_complex_numIfELi16ELb1ELb0ELc84ELc85EKPKS1_KPS1_EviT_T0_PT6_S7_lSA_S7_lS8_PT7_S7_li, .Lfunc_end657-_ZL41rocblas_syrkx_herkx_small_restrict_kernelIi19rocblas_complex_numIfELi16ELb1ELb0ELc84ELc85EKPKS1_KPS1_EviT_T0_PT6_S7_lSA_S7_lS8_PT7_S7_li
                                        ; -- End function
	.set _ZL41rocblas_syrkx_herkx_small_restrict_kernelIi19rocblas_complex_numIfELi16ELb1ELb0ELc84ELc85EKPKS1_KPS1_EviT_T0_PT6_S7_lSA_S7_lS8_PT7_S7_li.num_vgpr, 66
	.set _ZL41rocblas_syrkx_herkx_small_restrict_kernelIi19rocblas_complex_numIfELi16ELb1ELb0ELc84ELc85EKPKS1_KPS1_EviT_T0_PT6_S7_lSA_S7_lS8_PT7_S7_li.num_agpr, 0
	.set _ZL41rocblas_syrkx_herkx_small_restrict_kernelIi19rocblas_complex_numIfELi16ELb1ELb0ELc84ELc85EKPKS1_KPS1_EviT_T0_PT6_S7_lSA_S7_lS8_PT7_S7_li.numbered_sgpr, 16
	.set _ZL41rocblas_syrkx_herkx_small_restrict_kernelIi19rocblas_complex_numIfELi16ELb1ELb0ELc84ELc85EKPKS1_KPS1_EviT_T0_PT6_S7_lSA_S7_lS8_PT7_S7_li.num_named_barrier, 0
	.set _ZL41rocblas_syrkx_herkx_small_restrict_kernelIi19rocblas_complex_numIfELi16ELb1ELb0ELc84ELc85EKPKS1_KPS1_EviT_T0_PT6_S7_lSA_S7_lS8_PT7_S7_li.private_seg_size, 0
	.set _ZL41rocblas_syrkx_herkx_small_restrict_kernelIi19rocblas_complex_numIfELi16ELb1ELb0ELc84ELc85EKPKS1_KPS1_EviT_T0_PT6_S7_lSA_S7_lS8_PT7_S7_li.uses_vcc, 1
	.set _ZL41rocblas_syrkx_herkx_small_restrict_kernelIi19rocblas_complex_numIfELi16ELb1ELb0ELc84ELc85EKPKS1_KPS1_EviT_T0_PT6_S7_lSA_S7_lS8_PT7_S7_li.uses_flat_scratch, 0
	.set _ZL41rocblas_syrkx_herkx_small_restrict_kernelIi19rocblas_complex_numIfELi16ELb1ELb0ELc84ELc85EKPKS1_KPS1_EviT_T0_PT6_S7_lSA_S7_lS8_PT7_S7_li.has_dyn_sized_stack, 0
	.set _ZL41rocblas_syrkx_herkx_small_restrict_kernelIi19rocblas_complex_numIfELi16ELb1ELb0ELc84ELc85EKPKS1_KPS1_EviT_T0_PT6_S7_lSA_S7_lS8_PT7_S7_li.has_recursion, 0
	.set _ZL41rocblas_syrkx_herkx_small_restrict_kernelIi19rocblas_complex_numIfELi16ELb1ELb0ELc84ELc85EKPKS1_KPS1_EviT_T0_PT6_S7_lSA_S7_lS8_PT7_S7_li.has_indirect_call, 0
	.section	.AMDGPU.csdata,"",@progbits
; Kernel info:
; codeLenInByte = 1080
; TotalNumSgprs: 20
; NumVgprs: 66
; ScratchSize: 0
; MemoryBound: 0
; FloatMode: 240
; IeeeMode: 1
; LDSByteSize: 4096 bytes/workgroup (compile time only)
; SGPRBlocks: 2
; VGPRBlocks: 16
; NumSGPRsForWavesPerEU: 20
; NumVGPRsForWavesPerEU: 66
; Occupancy: 3
; WaveLimiterHint : 1
; COMPUTE_PGM_RSRC2:SCRATCH_EN: 0
; COMPUTE_PGM_RSRC2:USER_SGPR: 6
; COMPUTE_PGM_RSRC2:TRAP_HANDLER: 0
; COMPUTE_PGM_RSRC2:TGID_X_EN: 1
; COMPUTE_PGM_RSRC2:TGID_Y_EN: 1
; COMPUTE_PGM_RSRC2:TGID_Z_EN: 1
; COMPUTE_PGM_RSRC2:TIDIG_COMP_CNT: 1
	.section	.text._ZL41rocblas_syrkx_herkx_small_restrict_kernelIi19rocblas_complex_numIfELi16ELb1ELb0ELc67ELc85EKPKS1_KPS1_EviT_T0_PT6_S7_lSA_S7_lS8_PT7_S7_li,"axG",@progbits,_ZL41rocblas_syrkx_herkx_small_restrict_kernelIi19rocblas_complex_numIfELi16ELb1ELb0ELc67ELc85EKPKS1_KPS1_EviT_T0_PT6_S7_lSA_S7_lS8_PT7_S7_li,comdat
	.globl	_ZL41rocblas_syrkx_herkx_small_restrict_kernelIi19rocblas_complex_numIfELi16ELb1ELb0ELc67ELc85EKPKS1_KPS1_EviT_T0_PT6_S7_lSA_S7_lS8_PT7_S7_li ; -- Begin function _ZL41rocblas_syrkx_herkx_small_restrict_kernelIi19rocblas_complex_numIfELi16ELb1ELb0ELc67ELc85EKPKS1_KPS1_EviT_T0_PT6_S7_lSA_S7_lS8_PT7_S7_li
	.p2align	8
	.type	_ZL41rocblas_syrkx_herkx_small_restrict_kernelIi19rocblas_complex_numIfELi16ELb1ELb0ELc67ELc85EKPKS1_KPS1_EviT_T0_PT6_S7_lSA_S7_lS8_PT7_S7_li,@function
_ZL41rocblas_syrkx_herkx_small_restrict_kernelIi19rocblas_complex_numIfELi16ELb1ELb0ELc67ELc85EKPKS1_KPS1_EviT_T0_PT6_S7_lSA_S7_lS8_PT7_S7_li: ; @_ZL41rocblas_syrkx_herkx_small_restrict_kernelIi19rocblas_complex_numIfELi16ELb1ELb0ELc67ELc85EKPKS1_KPS1_EviT_T0_PT6_S7_lSA_S7_lS8_PT7_S7_li
; %bb.0:
	s_load_dwordx2 s[2:3], s[4:5], 0x48
	s_load_dword s10, s[4:5], 0x4
	s_load_dwordx4 s[12:15], s[4:5], 0x8
	s_mov_b32 s9, 0
	s_lshl_b64 s[0:1], s[8:9], 3
	s_waitcnt lgkmcnt(0)
	s_add_u32 s2, s2, s0
	s_addc_u32 s3, s3, s1
	s_load_dwordx2 s[2:3], s[2:3], 0x0
	v_lshl_add_u32 v2, s6, 4, v0
	s_cmp_lt_i32 s10, 1
	v_lshl_add_u32 v5, s7, 4, v1
	s_cbranch_scc1 .LBB658_6
; %bb.1:
	s_load_dwordx2 s[6:7], s[4:5], 0x28
	s_load_dword s8, s[4:5], 0x18
	s_load_dword s11, s[4:5], 0x30
	v_lshlrev_b32_e32 v6, 3, v0
	v_lshlrev_b32_e32 v8, 7, v1
	s_waitcnt lgkmcnt(0)
	s_add_u32 s6, s6, s0
	s_addc_u32 s7, s7, s1
	s_add_u32 s0, s14, s0
	s_addc_u32 s1, s15, s1
	v_mad_i64_i32 v[3:4], s[14:15], s11, v5, 0
	s_load_dwordx2 s[6:7], s[6:7], 0x0
	v_mad_i64_i32 v[11:12], s[14:15], s8, v2, 0
	v_lshlrev_b64 v[3:4], 3, v[3:4]
	s_load_dwordx2 s[0:1], s[0:1], 0x0
	v_add_co_u32_e32 v0, vcc, v3, v6
	v_addc_co_u32_e32 v4, vcc, 0, v4, vcc
	s_waitcnt lgkmcnt(0)
	v_mov_b32_e32 v13, s7
	v_add_co_u32_e32 v3, vcc, s6, v0
	v_lshlrev_b64 v[11:12], 3, v[11:12]
	v_addc_co_u32_e32 v4, vcc, v13, v4, vcc
	v_lshlrev_b32_e32 v0, 3, v1
	v_add_co_u32_e32 v0, vcc, v11, v0
	v_addc_co_u32_e32 v1, vcc, 0, v12, vcc
	v_add_u32_e32 v7, v6, v8
	v_add_u32_e32 v8, 0x800, v8
	v_mov_b32_e32 v11, s1
	v_add_co_u32_e32 v0, vcc, s0, v0
	v_add_u32_e32 v9, v8, v6
	v_mov_b32_e32 v10, 0
	v_addc_co_u32_e32 v1, vcc, v11, v1, vcc
	v_mov_b32_e32 v11, 0
.LBB658_2:                              ; =>This Inner Loop Header: Depth=1
	flat_load_dwordx2 v[12:13], v[0:1]
	s_add_i32 s9, s9, 16
	s_cmp_lt_i32 s9, s10
	s_waitcnt vmcnt(0) lgkmcnt(0)
	ds_write_b64 v7, v[12:13]
	flat_load_dwordx2 v[12:13], v[3:4]
	v_add_co_u32_e32 v3, vcc, 0x80, v3
	s_mov_b64 s[0:1], vcc
	v_add_co_u32_e32 v0, vcc, 0x80, v0
	v_addc_co_u32_e64 v4, s[0:1], 0, v4, s[0:1]
	v_addc_co_u32_e32 v1, vcc, 0, v1, vcc
	s_waitcnt vmcnt(0) lgkmcnt(0)
	ds_write_b64 v9, v[12:13]
	s_waitcnt lgkmcnt(0)
	s_barrier
	ds_read2_b64 v[12:15], v6 offset1:16
	ds_read_b128 v[16:19], v8
	ds_read_b128 v[20:23], v8 offset:16
	ds_read2_b64 v[24:27], v6 offset0:32 offset1:48
	ds_read2_b64 v[28:31], v6 offset0:64 offset1:80
	ds_read_b128 v[32:35], v8 offset:32
	ds_read_b128 v[36:39], v8 offset:48
	ds_read2_b64 v[40:43], v6 offset0:96 offset1:112
	ds_read2_b64 v[44:47], v6 offset0:128 offset1:144
	ds_read_b128 v[48:51], v8 offset:64
	ds_read_b128 v[52:55], v8 offset:80
	s_waitcnt lgkmcnt(9)
	v_mul_f32_e32 v56, v17, v13
	v_mul_f32_e32 v57, v16, v13
	;; [unrolled: 1-line block ×4, first 2 shown]
	v_fma_f32 v56, v16, v12, -v56
	v_fmac_f32_e32 v57, v17, v12
	v_fma_f32 v59, v18, v14, -v13
	v_fmac_f32_e32 v58, v19, v14
	s_waitcnt lgkmcnt(7)
	v_mul_f32_e32 v16, v21, v25
	v_mul_f32_e32 v60, v20, v25
	v_add_f32_e32 v11, v11, v56
	v_add_f32_e32 v10, v10, v57
	v_mul_f32_e32 v17, v23, v27
	v_mul_f32_e32 v61, v22, v27
	v_fma_f32 v62, v20, v24, -v16
	v_fmac_f32_e32 v60, v21, v24
	v_add_f32_e32 v11, v11, v59
	v_add_f32_e32 v10, v10, v58
	v_fma_f32 v63, v22, v26, -v17
	v_fmac_f32_e32 v61, v23, v26
	s_waitcnt lgkmcnt(5)
	v_mul_f32_e32 v20, v33, v29
	v_mul_f32_e32 v64, v32, v29
	v_add_f32_e32 v11, v11, v62
	v_add_f32_e32 v10, v10, v60
	ds_read2_b64 v[12:15], v6 offset0:160 offset1:176
	v_mul_f32_e32 v21, v35, v31
	v_mul_f32_e32 v65, v34, v31
	v_fma_f32 v32, v32, v28, -v20
	v_fmac_f32_e32 v64, v33, v28
	v_add_f32_e32 v11, v11, v63
	v_add_f32_e32 v10, v10, v61
	v_fma_f32 v33, v34, v30, -v21
	v_fmac_f32_e32 v65, v35, v30
	s_waitcnt lgkmcnt(4)
	v_mul_f32_e32 v24, v37, v41
	v_mul_f32_e32 v34, v36, v41
	v_add_f32_e32 v11, v11, v32
	v_add_f32_e32 v10, v10, v64
	ds_read2_b64 v[16:19], v6 offset0:192 offset1:208
	ds_read_b128 v[20:23], v8 offset:96
	v_mul_f32_e32 v25, v39, v43
	v_mul_f32_e32 v35, v38, v43
	v_fma_f32 v36, v36, v40, -v24
	v_fmac_f32_e32 v34, v37, v40
	v_add_f32_e32 v11, v11, v33
	v_add_f32_e32 v10, v10, v65
	v_fma_f32 v37, v38, v42, -v25
	v_fmac_f32_e32 v35, v39, v42
	s_waitcnt lgkmcnt(4)
	v_mul_f32_e32 v28, v49, v45
	v_mul_f32_e32 v38, v48, v45
	;; [unrolled: 1-line block ×3, first 2 shown]
	v_add_f32_e32 v11, v11, v36
	v_add_f32_e32 v10, v10, v34
	ds_read_b128 v[24:27], v8 offset:112
	v_mul_f32_e32 v39, v50, v47
	v_fma_f32 v40, v48, v44, -v28
	v_fmac_f32_e32 v38, v49, v44
	v_fma_f32 v41, v50, v46, -v29
	ds_read2_b64 v[28:31], v6 offset0:224 offset1:240
	v_add_f32_e32 v11, v11, v37
	v_add_f32_e32 v10, v10, v35
	v_fmac_f32_e32 v39, v51, v46
	s_waitcnt lgkmcnt(4)
	v_mul_f32_e32 v42, v53, v13
	v_mul_f32_e32 v13, v52, v13
	v_add_f32_e32 v11, v11, v40
	v_add_f32_e32 v10, v10, v38
	v_mul_f32_e32 v43, v55, v15
	v_mul_f32_e32 v15, v54, v15
	v_fma_f32 v42, v52, v12, -v42
	v_fmac_f32_e32 v13, v53, v12
	v_add_f32_e32 v11, v11, v41
	v_add_f32_e32 v10, v10, v39
	s_waitcnt lgkmcnt(2)
	v_mul_f32_e32 v44, v21, v17
	v_mul_f32_e32 v17, v20, v17
	v_fma_f32 v12, v54, v14, -v43
	v_fmac_f32_e32 v15, v55, v14
	v_add_f32_e32 v11, v11, v42
	v_add_f32_e32 v10, v10, v13
	v_mul_f32_e32 v14, v23, v19
	v_mul_f32_e32 v19, v22, v19
	v_fma_f32 v20, v20, v16, -v44
	v_fmac_f32_e32 v17, v21, v16
	v_add_f32_e32 v11, v11, v12
	v_add_f32_e32 v10, v10, v15
	s_waitcnt lgkmcnt(0)
	v_mul_f32_e32 v43, v25, v29
	v_mul_f32_e32 v29, v24, v29
	v_fma_f32 v14, v22, v18, -v14
	v_fmac_f32_e32 v19, v23, v18
	v_add_f32_e32 v11, v11, v20
	v_add_f32_e32 v10, v10, v17
	v_mul_f32_e32 v45, v27, v31
	v_mul_f32_e32 v31, v26, v31
	v_fma_f32 v16, v24, v28, -v43
	v_fmac_f32_e32 v29, v25, v28
	v_add_f32_e32 v11, v11, v14
	v_add_f32_e32 v10, v10, v19
	v_fma_f32 v18, v26, v30, -v45
	v_fmac_f32_e32 v31, v27, v30
	v_add_f32_e32 v11, v11, v16
	v_add_f32_e32 v10, v10, v29
	;; [unrolled: 1-line block ×4, first 2 shown]
	s_barrier
	s_cbranch_scc1 .LBB658_2
; %bb.3:
	v_cmp_le_i32_e32 vcc, v2, v5
	s_and_saveexec_b64 s[0:1], vcc
	s_cbranch_execz .LBB658_5
.LBB658_4:
	s_load_dword s0, s[4:5], 0x50
	v_ashrrev_i32_e32 v3, 31, v2
	s_waitcnt lgkmcnt(0)
	v_mov_b32_e32 v6, s3
	v_lshlrev_b64 v[2:3], 3, v[2:3]
	v_mul_f32_e32 v0, s13, v10
	v_mad_i64_i32 v[4:5], s[0:1], s0, v5, 0
	v_mul_f32_e32 v1, s12, v10
	v_fma_f32 v0, v11, s12, -v0
	v_lshlrev_b64 v[4:5], 3, v[4:5]
	v_fmac_f32_e32 v1, s13, v11
	v_add_co_u32_e32 v4, vcc, s2, v4
	v_addc_co_u32_e32 v5, vcc, v6, v5, vcc
	v_add_co_u32_e32 v2, vcc, v4, v2
	v_addc_co_u32_e32 v3, vcc, v5, v3, vcc
	flat_store_dwordx2 v[2:3], v[0:1]
.LBB658_5:
	s_endpgm
.LBB658_6:
	v_mov_b32_e32 v10, 0
	v_mov_b32_e32 v11, 0
	v_cmp_le_i32_e32 vcc, v2, v5
	s_and_saveexec_b64 s[0:1], vcc
	s_cbranch_execnz .LBB658_4
	s_branch .LBB658_5
	.section	.rodata,"a",@progbits
	.p2align	6, 0x0
	.amdhsa_kernel _ZL41rocblas_syrkx_herkx_small_restrict_kernelIi19rocblas_complex_numIfELi16ELb1ELb0ELc67ELc85EKPKS1_KPS1_EviT_T0_PT6_S7_lSA_S7_lS8_PT7_S7_li
		.amdhsa_group_segment_fixed_size 4096
		.amdhsa_private_segment_fixed_size 0
		.amdhsa_kernarg_size 100
		.amdhsa_user_sgpr_count 6
		.amdhsa_user_sgpr_private_segment_buffer 1
		.amdhsa_user_sgpr_dispatch_ptr 0
		.amdhsa_user_sgpr_queue_ptr 0
		.amdhsa_user_sgpr_kernarg_segment_ptr 1
		.amdhsa_user_sgpr_dispatch_id 0
		.amdhsa_user_sgpr_flat_scratch_init 0
		.amdhsa_user_sgpr_private_segment_size 0
		.amdhsa_uses_dynamic_stack 0
		.amdhsa_system_sgpr_private_segment_wavefront_offset 0
		.amdhsa_system_sgpr_workgroup_id_x 1
		.amdhsa_system_sgpr_workgroup_id_y 1
		.amdhsa_system_sgpr_workgroup_id_z 1
		.amdhsa_system_sgpr_workgroup_info 0
		.amdhsa_system_vgpr_workitem_id 1
		.amdhsa_next_free_vgpr 66
		.amdhsa_next_free_sgpr 16
		.amdhsa_reserve_vcc 1
		.amdhsa_reserve_flat_scratch 0
		.amdhsa_float_round_mode_32 0
		.amdhsa_float_round_mode_16_64 0
		.amdhsa_float_denorm_mode_32 3
		.amdhsa_float_denorm_mode_16_64 3
		.amdhsa_dx10_clamp 1
		.amdhsa_ieee_mode 1
		.amdhsa_fp16_overflow 0
		.amdhsa_exception_fp_ieee_invalid_op 0
		.amdhsa_exception_fp_denorm_src 0
		.amdhsa_exception_fp_ieee_div_zero 0
		.amdhsa_exception_fp_ieee_overflow 0
		.amdhsa_exception_fp_ieee_underflow 0
		.amdhsa_exception_fp_ieee_inexact 0
		.amdhsa_exception_int_div_zero 0
	.end_amdhsa_kernel
	.section	.text._ZL41rocblas_syrkx_herkx_small_restrict_kernelIi19rocblas_complex_numIfELi16ELb1ELb0ELc67ELc85EKPKS1_KPS1_EviT_T0_PT6_S7_lSA_S7_lS8_PT7_S7_li,"axG",@progbits,_ZL41rocblas_syrkx_herkx_small_restrict_kernelIi19rocblas_complex_numIfELi16ELb1ELb0ELc67ELc85EKPKS1_KPS1_EviT_T0_PT6_S7_lSA_S7_lS8_PT7_S7_li,comdat
.Lfunc_end658:
	.size	_ZL41rocblas_syrkx_herkx_small_restrict_kernelIi19rocblas_complex_numIfELi16ELb1ELb0ELc67ELc85EKPKS1_KPS1_EviT_T0_PT6_S7_lSA_S7_lS8_PT7_S7_li, .Lfunc_end658-_ZL41rocblas_syrkx_herkx_small_restrict_kernelIi19rocblas_complex_numIfELi16ELb1ELb0ELc67ELc85EKPKS1_KPS1_EviT_T0_PT6_S7_lSA_S7_lS8_PT7_S7_li
                                        ; -- End function
	.set _ZL41rocblas_syrkx_herkx_small_restrict_kernelIi19rocblas_complex_numIfELi16ELb1ELb0ELc67ELc85EKPKS1_KPS1_EviT_T0_PT6_S7_lSA_S7_lS8_PT7_S7_li.num_vgpr, 66
	.set _ZL41rocblas_syrkx_herkx_small_restrict_kernelIi19rocblas_complex_numIfELi16ELb1ELb0ELc67ELc85EKPKS1_KPS1_EviT_T0_PT6_S7_lSA_S7_lS8_PT7_S7_li.num_agpr, 0
	.set _ZL41rocblas_syrkx_herkx_small_restrict_kernelIi19rocblas_complex_numIfELi16ELb1ELb0ELc67ELc85EKPKS1_KPS1_EviT_T0_PT6_S7_lSA_S7_lS8_PT7_S7_li.numbered_sgpr, 16
	.set _ZL41rocblas_syrkx_herkx_small_restrict_kernelIi19rocblas_complex_numIfELi16ELb1ELb0ELc67ELc85EKPKS1_KPS1_EviT_T0_PT6_S7_lSA_S7_lS8_PT7_S7_li.num_named_barrier, 0
	.set _ZL41rocblas_syrkx_herkx_small_restrict_kernelIi19rocblas_complex_numIfELi16ELb1ELb0ELc67ELc85EKPKS1_KPS1_EviT_T0_PT6_S7_lSA_S7_lS8_PT7_S7_li.private_seg_size, 0
	.set _ZL41rocblas_syrkx_herkx_small_restrict_kernelIi19rocblas_complex_numIfELi16ELb1ELb0ELc67ELc85EKPKS1_KPS1_EviT_T0_PT6_S7_lSA_S7_lS8_PT7_S7_li.uses_vcc, 1
	.set _ZL41rocblas_syrkx_herkx_small_restrict_kernelIi19rocblas_complex_numIfELi16ELb1ELb0ELc67ELc85EKPKS1_KPS1_EviT_T0_PT6_S7_lSA_S7_lS8_PT7_S7_li.uses_flat_scratch, 0
	.set _ZL41rocblas_syrkx_herkx_small_restrict_kernelIi19rocblas_complex_numIfELi16ELb1ELb0ELc67ELc85EKPKS1_KPS1_EviT_T0_PT6_S7_lSA_S7_lS8_PT7_S7_li.has_dyn_sized_stack, 0
	.set _ZL41rocblas_syrkx_herkx_small_restrict_kernelIi19rocblas_complex_numIfELi16ELb1ELb0ELc67ELc85EKPKS1_KPS1_EviT_T0_PT6_S7_lSA_S7_lS8_PT7_S7_li.has_recursion, 0
	.set _ZL41rocblas_syrkx_herkx_small_restrict_kernelIi19rocblas_complex_numIfELi16ELb1ELb0ELc67ELc85EKPKS1_KPS1_EviT_T0_PT6_S7_lSA_S7_lS8_PT7_S7_li.has_indirect_call, 0
	.section	.AMDGPU.csdata,"",@progbits
; Kernel info:
; codeLenInByte = 1080
; TotalNumSgprs: 20
; NumVgprs: 66
; ScratchSize: 0
; MemoryBound: 0
; FloatMode: 240
; IeeeMode: 1
; LDSByteSize: 4096 bytes/workgroup (compile time only)
; SGPRBlocks: 2
; VGPRBlocks: 16
; NumSGPRsForWavesPerEU: 20
; NumVGPRsForWavesPerEU: 66
; Occupancy: 3
; WaveLimiterHint : 1
; COMPUTE_PGM_RSRC2:SCRATCH_EN: 0
; COMPUTE_PGM_RSRC2:USER_SGPR: 6
; COMPUTE_PGM_RSRC2:TRAP_HANDLER: 0
; COMPUTE_PGM_RSRC2:TGID_X_EN: 1
; COMPUTE_PGM_RSRC2:TGID_Y_EN: 1
; COMPUTE_PGM_RSRC2:TGID_Z_EN: 1
; COMPUTE_PGM_RSRC2:TIDIG_COMP_CNT: 1
	.section	.text._ZL41rocblas_syrkx_herkx_small_restrict_kernelIi19rocblas_complex_numIfELi16ELb1ELb0ELc78ELc85EKPKS1_KPS1_EviT_T0_PT6_S7_lSA_S7_lS8_PT7_S7_li,"axG",@progbits,_ZL41rocblas_syrkx_herkx_small_restrict_kernelIi19rocblas_complex_numIfELi16ELb1ELb0ELc78ELc85EKPKS1_KPS1_EviT_T0_PT6_S7_lSA_S7_lS8_PT7_S7_li,comdat
	.globl	_ZL41rocblas_syrkx_herkx_small_restrict_kernelIi19rocblas_complex_numIfELi16ELb1ELb0ELc78ELc85EKPKS1_KPS1_EviT_T0_PT6_S7_lSA_S7_lS8_PT7_S7_li ; -- Begin function _ZL41rocblas_syrkx_herkx_small_restrict_kernelIi19rocblas_complex_numIfELi16ELb1ELb0ELc78ELc85EKPKS1_KPS1_EviT_T0_PT6_S7_lSA_S7_lS8_PT7_S7_li
	.p2align	8
	.type	_ZL41rocblas_syrkx_herkx_small_restrict_kernelIi19rocblas_complex_numIfELi16ELb1ELb0ELc78ELc85EKPKS1_KPS1_EviT_T0_PT6_S7_lSA_S7_lS8_PT7_S7_li,@function
_ZL41rocblas_syrkx_herkx_small_restrict_kernelIi19rocblas_complex_numIfELi16ELb1ELb0ELc78ELc85EKPKS1_KPS1_EviT_T0_PT6_S7_lSA_S7_lS8_PT7_S7_li: ; @_ZL41rocblas_syrkx_herkx_small_restrict_kernelIi19rocblas_complex_numIfELi16ELb1ELb0ELc78ELc85EKPKS1_KPS1_EviT_T0_PT6_S7_lSA_S7_lS8_PT7_S7_li
; %bb.0:
	s_load_dwordx2 s[10:11], s[4:5], 0x48
	s_load_dword s14, s[4:5], 0x4
	s_load_dwordx4 s[0:3], s[4:5], 0x8
	s_mov_b32 s9, 0
	s_lshl_b64 s[12:13], s[8:9], 3
	s_waitcnt lgkmcnt(0)
	s_add_u32 s10, s10, s12
	s_addc_u32 s11, s11, s13
	s_load_dwordx2 s[10:11], s[10:11], 0x0
	v_lshl_add_u32 v2, s6, 4, v0
	v_lshl_add_u32 v4, s7, 4, v1
	s_cmp_lt_i32 s14, 1
	v_ashrrev_i32_e32 v3, 31, v2
	s_cbranch_scc1 .LBB659_6
; %bb.1:
	s_load_dword s6, s[4:5], 0x18
	s_load_dword s16, s[4:5], 0x30
	s_load_dwordx2 s[18:19], s[4:5], 0x28
	v_lshlrev_b32_e32 v6, 7, v1
	v_lshlrev_b32_e32 v7, 3, v0
	s_waitcnt lgkmcnt(0)
	s_ashr_i32 s7, s6, 31
	s_ashr_i32 s17, s16, 31
	s_add_u32 s18, s18, s12
	s_addc_u32 s19, s19, s13
	s_add_u32 s2, s2, s12
	s_addc_u32 s3, s3, s13
	s_load_dwordx2 s[12:13], s[2:3], 0x0
	v_mad_i64_i32 v[11:12], s[2:3], s16, v0, 0
	v_ashrrev_i32_e32 v5, 31, v4
	v_add_u32_e32 v8, v7, v6
	v_add_u32_e32 v9, 0x800, v6
	v_lshlrev_b64 v[11:12], 3, v[11:12]
	v_lshlrev_b64 v[5:6], 3, v[4:5]
	s_load_dwordx2 s[18:19], s[18:19], 0x0
	v_add_co_u32_e32 v0, vcc, v11, v5
	v_addc_co_u32_e32 v11, vcc, v12, v6, vcc
	v_mad_i64_i32 v[5:6], s[2:3], s6, v1, 0
	s_waitcnt lgkmcnt(0)
	v_mov_b32_e32 v12, s19
	v_add_co_u32_e32 v0, vcc, s18, v0
	v_addc_co_u32_e32 v1, vcc, v12, v11, vcc
	v_lshlrev_b64 v[5:6], 3, v[5:6]
	v_lshlrev_b64 v[11:12], 3, v[2:3]
	s_lshl_b64 s[2:3], s[16:17], 7
	v_add_co_u32_e32 v5, vcc, v5, v11
	v_addc_co_u32_e32 v6, vcc, v6, v12, vcc
	v_mov_b32_e32 v11, s13
	v_add_co_u32_e32 v5, vcc, s12, v5
	s_lshl_b64 s[6:7], s[6:7], 7
	v_add_u32_e32 v10, v9, v7
	v_addc_co_u32_e32 v6, vcc, v11, v6, vcc
	v_mov_b32_e32 v14, 0
	v_mov_b32_e32 v11, s3
	;; [unrolled: 1-line block ×4, first 2 shown]
.LBB659_2:                              ; =>This Inner Loop Header: Depth=1
	flat_load_dwordx2 v[15:16], v[5:6]
	v_add_co_u32_e32 v5, vcc, s6, v5
	v_addc_co_u32_e32 v6, vcc, v6, v12, vcc
	s_add_i32 s9, s9, 16
	s_cmp_lt_i32 s9, s14
	s_waitcnt vmcnt(0) lgkmcnt(0)
	ds_write_b64 v8, v[15:16]
	flat_load_dwordx2 v[15:16], v[0:1]
	v_add_co_u32_e32 v0, vcc, s2, v0
	v_addc_co_u32_e32 v1, vcc, v1, v11, vcc
	s_waitcnt vmcnt(0) lgkmcnt(0)
	ds_write_b64 v10, v[15:16]
	s_waitcnt lgkmcnt(0)
	s_barrier
	ds_read2_b64 v[15:18], v7 offset1:16
	ds_read_b128 v[19:22], v9
	ds_read_b128 v[23:26], v9 offset:16
	ds_read2_b64 v[27:30], v7 offset0:32 offset1:48
	ds_read2_b64 v[31:34], v7 offset0:64 offset1:80
	ds_read_b128 v[35:38], v9 offset:32
	ds_read_b128 v[39:42], v9 offset:48
	ds_read2_b64 v[43:46], v7 offset0:96 offset1:112
	ds_read2_b64 v[47:50], v7 offset0:128 offset1:144
	ds_read_b128 v[51:54], v9 offset:64
	ds_read_b128 v[55:58], v9 offset:80
	s_waitcnt lgkmcnt(9)
	v_mul_f32_e32 v59, v20, v16
	v_mul_f32_e32 v60, v19, v16
	;; [unrolled: 1-line block ×4, first 2 shown]
	v_fma_f32 v59, v19, v15, -v59
	v_fmac_f32_e32 v60, v20, v15
	v_fma_f32 v62, v21, v17, -v16
	v_fmac_f32_e32 v61, v22, v17
	s_waitcnt lgkmcnt(7)
	v_mul_f32_e32 v19, v24, v28
	v_mul_f32_e32 v63, v23, v28
	v_add_f32_e32 v13, v13, v59
	v_add_f32_e32 v14, v14, v60
	v_mul_f32_e32 v20, v26, v30
	v_mul_f32_e32 v64, v25, v30
	v_fma_f32 v65, v23, v27, -v19
	v_fmac_f32_e32 v63, v24, v27
	v_add_f32_e32 v13, v13, v62
	v_add_f32_e32 v14, v14, v61
	v_fma_f32 v66, v25, v29, -v20
	v_fmac_f32_e32 v64, v26, v29
	s_waitcnt lgkmcnt(5)
	v_mul_f32_e32 v23, v36, v32
	v_mul_f32_e32 v67, v35, v32
	v_add_f32_e32 v13, v13, v65
	v_add_f32_e32 v14, v14, v63
	ds_read2_b64 v[15:18], v7 offset0:160 offset1:176
	v_mul_f32_e32 v24, v38, v34
	v_mul_f32_e32 v68, v37, v34
	v_fma_f32 v35, v35, v31, -v23
	v_fmac_f32_e32 v67, v36, v31
	v_add_f32_e32 v13, v13, v66
	v_add_f32_e32 v14, v14, v64
	v_fma_f32 v36, v37, v33, -v24
	v_fmac_f32_e32 v68, v38, v33
	s_waitcnt lgkmcnt(4)
	v_mul_f32_e32 v27, v40, v44
	v_mul_f32_e32 v37, v39, v44
	v_add_f32_e32 v13, v13, v35
	v_add_f32_e32 v14, v14, v67
	ds_read2_b64 v[19:22], v7 offset0:192 offset1:208
	ds_read_b128 v[23:26], v9 offset:96
	v_mul_f32_e32 v28, v42, v46
	v_mul_f32_e32 v38, v41, v46
	v_fma_f32 v39, v39, v43, -v27
	v_fmac_f32_e32 v37, v40, v43
	v_add_f32_e32 v13, v13, v36
	v_add_f32_e32 v14, v14, v68
	v_fma_f32 v40, v41, v45, -v28
	v_fmac_f32_e32 v38, v42, v45
	s_waitcnt lgkmcnt(4)
	v_mul_f32_e32 v31, v52, v48
	v_mul_f32_e32 v41, v51, v48
	;; [unrolled: 1-line block ×3, first 2 shown]
	v_add_f32_e32 v13, v13, v39
	v_add_f32_e32 v14, v14, v37
	ds_read_b128 v[27:30], v9 offset:112
	v_mul_f32_e32 v42, v53, v50
	v_fma_f32 v43, v51, v47, -v31
	v_fmac_f32_e32 v41, v52, v47
	v_fma_f32 v44, v53, v49, -v32
	ds_read2_b64 v[31:34], v7 offset0:224 offset1:240
	v_add_f32_e32 v13, v13, v40
	v_add_f32_e32 v14, v14, v38
	v_fmac_f32_e32 v42, v54, v49
	s_waitcnt lgkmcnt(4)
	v_mul_f32_e32 v45, v56, v16
	v_mul_f32_e32 v16, v55, v16
	v_add_f32_e32 v13, v13, v43
	v_add_f32_e32 v14, v14, v41
	v_mul_f32_e32 v46, v58, v18
	v_mul_f32_e32 v18, v57, v18
	v_fma_f32 v45, v55, v15, -v45
	v_fmac_f32_e32 v16, v56, v15
	v_add_f32_e32 v13, v13, v44
	v_add_f32_e32 v14, v14, v42
	v_fma_f32 v15, v57, v17, -v46
	v_fmac_f32_e32 v18, v58, v17
	s_waitcnt lgkmcnt(2)
	v_mul_f32_e32 v17, v24, v20
	v_mul_f32_e32 v20, v23, v20
	v_add_f32_e32 v13, v13, v45
	v_add_f32_e32 v14, v14, v16
	v_mul_f32_e32 v46, v26, v22
	v_mul_f32_e32 v22, v25, v22
	v_fma_f32 v17, v23, v19, -v17
	v_fmac_f32_e32 v20, v24, v19
	v_add_f32_e32 v13, v13, v15
	v_add_f32_e32 v14, v14, v18
	s_waitcnt lgkmcnt(0)
	v_mul_f32_e32 v47, v28, v32
	v_mul_f32_e32 v32, v27, v32
	v_fma_f32 v19, v25, v21, -v46
	v_fmac_f32_e32 v22, v26, v21
	v_add_f32_e32 v13, v13, v17
	v_add_f32_e32 v14, v14, v20
	v_mul_f32_e32 v48, v30, v34
	v_mul_f32_e32 v34, v29, v34
	v_fma_f32 v21, v27, v31, -v47
	v_fmac_f32_e32 v32, v28, v31
	v_add_f32_e32 v13, v13, v19
	v_add_f32_e32 v14, v14, v22
	v_fma_f32 v23, v29, v33, -v48
	v_fmac_f32_e32 v34, v30, v33
	v_add_f32_e32 v13, v13, v21
	v_add_f32_e32 v14, v14, v32
	;; [unrolled: 1-line block ×4, first 2 shown]
	s_barrier
	s_cbranch_scc1 .LBB659_2
; %bb.3:
	v_cmp_le_i32_e32 vcc, v2, v4
	s_and_saveexec_b64 s[2:3], vcc
	s_cbranch_execz .LBB659_5
.LBB659_4:
	s_load_dword s2, s[4:5], 0x50
	s_waitcnt lgkmcnt(0)
	v_mov_b32_e32 v6, s11
	v_lshlrev_b64 v[2:3], 3, v[2:3]
	v_mul_f32_e32 v0, s1, v14
	v_mul_f32_e32 v1, s0, v14
	v_mad_i64_i32 v[4:5], s[2:3], s2, v4, 0
	v_fma_f32 v0, v13, s0, -v0
	v_fmac_f32_e32 v1, s1, v13
	v_lshlrev_b64 v[4:5], 3, v[4:5]
	v_add_co_u32_e32 v4, vcc, s10, v4
	v_addc_co_u32_e32 v5, vcc, v6, v5, vcc
	v_add_co_u32_e32 v2, vcc, v4, v2
	v_addc_co_u32_e32 v3, vcc, v5, v3, vcc
	flat_store_dwordx2 v[2:3], v[0:1]
.LBB659_5:
	s_endpgm
.LBB659_6:
	v_mov_b32_e32 v14, 0
	v_mov_b32_e32 v13, 0
	v_cmp_le_i32_e32 vcc, v2, v4
	s_and_saveexec_b64 s[2:3], vcc
	s_cbranch_execnz .LBB659_4
	s_branch .LBB659_5
	.section	.rodata,"a",@progbits
	.p2align	6, 0x0
	.amdhsa_kernel _ZL41rocblas_syrkx_herkx_small_restrict_kernelIi19rocblas_complex_numIfELi16ELb1ELb0ELc78ELc85EKPKS1_KPS1_EviT_T0_PT6_S7_lSA_S7_lS8_PT7_S7_li
		.amdhsa_group_segment_fixed_size 4096
		.amdhsa_private_segment_fixed_size 0
		.amdhsa_kernarg_size 100
		.amdhsa_user_sgpr_count 6
		.amdhsa_user_sgpr_private_segment_buffer 1
		.amdhsa_user_sgpr_dispatch_ptr 0
		.amdhsa_user_sgpr_queue_ptr 0
		.amdhsa_user_sgpr_kernarg_segment_ptr 1
		.amdhsa_user_sgpr_dispatch_id 0
		.amdhsa_user_sgpr_flat_scratch_init 0
		.amdhsa_user_sgpr_private_segment_size 0
		.amdhsa_uses_dynamic_stack 0
		.amdhsa_system_sgpr_private_segment_wavefront_offset 0
		.amdhsa_system_sgpr_workgroup_id_x 1
		.amdhsa_system_sgpr_workgroup_id_y 1
		.amdhsa_system_sgpr_workgroup_id_z 1
		.amdhsa_system_sgpr_workgroup_info 0
		.amdhsa_system_vgpr_workitem_id 1
		.amdhsa_next_free_vgpr 69
		.amdhsa_next_free_sgpr 20
		.amdhsa_reserve_vcc 1
		.amdhsa_reserve_flat_scratch 0
		.amdhsa_float_round_mode_32 0
		.amdhsa_float_round_mode_16_64 0
		.amdhsa_float_denorm_mode_32 3
		.amdhsa_float_denorm_mode_16_64 3
		.amdhsa_dx10_clamp 1
		.amdhsa_ieee_mode 1
		.amdhsa_fp16_overflow 0
		.amdhsa_exception_fp_ieee_invalid_op 0
		.amdhsa_exception_fp_denorm_src 0
		.amdhsa_exception_fp_ieee_div_zero 0
		.amdhsa_exception_fp_ieee_overflow 0
		.amdhsa_exception_fp_ieee_underflow 0
		.amdhsa_exception_fp_ieee_inexact 0
		.amdhsa_exception_int_div_zero 0
	.end_amdhsa_kernel
	.section	.text._ZL41rocblas_syrkx_herkx_small_restrict_kernelIi19rocblas_complex_numIfELi16ELb1ELb0ELc78ELc85EKPKS1_KPS1_EviT_T0_PT6_S7_lSA_S7_lS8_PT7_S7_li,"axG",@progbits,_ZL41rocblas_syrkx_herkx_small_restrict_kernelIi19rocblas_complex_numIfELi16ELb1ELb0ELc78ELc85EKPKS1_KPS1_EviT_T0_PT6_S7_lSA_S7_lS8_PT7_S7_li,comdat
.Lfunc_end659:
	.size	_ZL41rocblas_syrkx_herkx_small_restrict_kernelIi19rocblas_complex_numIfELi16ELb1ELb0ELc78ELc85EKPKS1_KPS1_EviT_T0_PT6_S7_lSA_S7_lS8_PT7_S7_li, .Lfunc_end659-_ZL41rocblas_syrkx_herkx_small_restrict_kernelIi19rocblas_complex_numIfELi16ELb1ELb0ELc78ELc85EKPKS1_KPS1_EviT_T0_PT6_S7_lSA_S7_lS8_PT7_S7_li
                                        ; -- End function
	.set _ZL41rocblas_syrkx_herkx_small_restrict_kernelIi19rocblas_complex_numIfELi16ELb1ELb0ELc78ELc85EKPKS1_KPS1_EviT_T0_PT6_S7_lSA_S7_lS8_PT7_S7_li.num_vgpr, 69
	.set _ZL41rocblas_syrkx_herkx_small_restrict_kernelIi19rocblas_complex_numIfELi16ELb1ELb0ELc78ELc85EKPKS1_KPS1_EviT_T0_PT6_S7_lSA_S7_lS8_PT7_S7_li.num_agpr, 0
	.set _ZL41rocblas_syrkx_herkx_small_restrict_kernelIi19rocblas_complex_numIfELi16ELb1ELb0ELc78ELc85EKPKS1_KPS1_EviT_T0_PT6_S7_lSA_S7_lS8_PT7_S7_li.numbered_sgpr, 20
	.set _ZL41rocblas_syrkx_herkx_small_restrict_kernelIi19rocblas_complex_numIfELi16ELb1ELb0ELc78ELc85EKPKS1_KPS1_EviT_T0_PT6_S7_lSA_S7_lS8_PT7_S7_li.num_named_barrier, 0
	.set _ZL41rocblas_syrkx_herkx_small_restrict_kernelIi19rocblas_complex_numIfELi16ELb1ELb0ELc78ELc85EKPKS1_KPS1_EviT_T0_PT6_S7_lSA_S7_lS8_PT7_S7_li.private_seg_size, 0
	.set _ZL41rocblas_syrkx_herkx_small_restrict_kernelIi19rocblas_complex_numIfELi16ELb1ELb0ELc78ELc85EKPKS1_KPS1_EviT_T0_PT6_S7_lSA_S7_lS8_PT7_S7_li.uses_vcc, 1
	.set _ZL41rocblas_syrkx_herkx_small_restrict_kernelIi19rocblas_complex_numIfELi16ELb1ELb0ELc78ELc85EKPKS1_KPS1_EviT_T0_PT6_S7_lSA_S7_lS8_PT7_S7_li.uses_flat_scratch, 0
	.set _ZL41rocblas_syrkx_herkx_small_restrict_kernelIi19rocblas_complex_numIfELi16ELb1ELb0ELc78ELc85EKPKS1_KPS1_EviT_T0_PT6_S7_lSA_S7_lS8_PT7_S7_li.has_dyn_sized_stack, 0
	.set _ZL41rocblas_syrkx_herkx_small_restrict_kernelIi19rocblas_complex_numIfELi16ELb1ELb0ELc78ELc85EKPKS1_KPS1_EviT_T0_PT6_S7_lSA_S7_lS8_PT7_S7_li.has_recursion, 0
	.set _ZL41rocblas_syrkx_herkx_small_restrict_kernelIi19rocblas_complex_numIfELi16ELb1ELb0ELc78ELc85EKPKS1_KPS1_EviT_T0_PT6_S7_lSA_S7_lS8_PT7_S7_li.has_indirect_call, 0
	.section	.AMDGPU.csdata,"",@progbits
; Kernel info:
; codeLenInByte = 1104
; TotalNumSgprs: 24
; NumVgprs: 69
; ScratchSize: 0
; MemoryBound: 0
; FloatMode: 240
; IeeeMode: 1
; LDSByteSize: 4096 bytes/workgroup (compile time only)
; SGPRBlocks: 2
; VGPRBlocks: 17
; NumSGPRsForWavesPerEU: 24
; NumVGPRsForWavesPerEU: 69
; Occupancy: 3
; WaveLimiterHint : 1
; COMPUTE_PGM_RSRC2:SCRATCH_EN: 0
; COMPUTE_PGM_RSRC2:USER_SGPR: 6
; COMPUTE_PGM_RSRC2:TRAP_HANDLER: 0
; COMPUTE_PGM_RSRC2:TGID_X_EN: 1
; COMPUTE_PGM_RSRC2:TGID_Y_EN: 1
; COMPUTE_PGM_RSRC2:TGID_Z_EN: 1
; COMPUTE_PGM_RSRC2:TIDIG_COMP_CNT: 1
	.section	.text._ZL41rocblas_syrkx_herkx_small_restrict_kernelIi19rocblas_complex_numIfELi16ELb0ELb0ELc84ELc76EKPKS1_KPS1_EviT_T0_PT6_S7_lSA_S7_lS8_PT7_S7_li,"axG",@progbits,_ZL41rocblas_syrkx_herkx_small_restrict_kernelIi19rocblas_complex_numIfELi16ELb0ELb0ELc84ELc76EKPKS1_KPS1_EviT_T0_PT6_S7_lSA_S7_lS8_PT7_S7_li,comdat
	.globl	_ZL41rocblas_syrkx_herkx_small_restrict_kernelIi19rocblas_complex_numIfELi16ELb0ELb0ELc84ELc76EKPKS1_KPS1_EviT_T0_PT6_S7_lSA_S7_lS8_PT7_S7_li ; -- Begin function _ZL41rocblas_syrkx_herkx_small_restrict_kernelIi19rocblas_complex_numIfELi16ELb0ELb0ELc84ELc76EKPKS1_KPS1_EviT_T0_PT6_S7_lSA_S7_lS8_PT7_S7_li
	.p2align	8
	.type	_ZL41rocblas_syrkx_herkx_small_restrict_kernelIi19rocblas_complex_numIfELi16ELb0ELb0ELc84ELc76EKPKS1_KPS1_EviT_T0_PT6_S7_lSA_S7_lS8_PT7_S7_li,@function
_ZL41rocblas_syrkx_herkx_small_restrict_kernelIi19rocblas_complex_numIfELi16ELb0ELb0ELc84ELc76EKPKS1_KPS1_EviT_T0_PT6_S7_lSA_S7_lS8_PT7_S7_li: ; @_ZL41rocblas_syrkx_herkx_small_restrict_kernelIi19rocblas_complex_numIfELi16ELb0ELb0ELc84ELc76EKPKS1_KPS1_EviT_T0_PT6_S7_lSA_S7_lS8_PT7_S7_li
; %bb.0:
	s_load_dwordx4 s[12:15], s[4:5], 0x40
	s_load_dword s10, s[4:5], 0x4
	s_load_dwordx4 s[16:19], s[4:5], 0x8
	s_mov_b32 s9, 0
	s_lshl_b64 s[0:1], s[8:9], 3
	s_waitcnt lgkmcnt(0)
	s_add_u32 s2, s14, s0
	s_addc_u32 s3, s15, s1
	s_load_dwordx2 s[2:3], s[2:3], 0x0
	v_lshl_add_u32 v2, s6, 4, v0
	s_cmp_lt_i32 s10, 1
	v_lshl_add_u32 v5, s7, 4, v1
	s_cbranch_scc1 .LBB660_6
; %bb.1:
	s_load_dwordx2 s[6:7], s[4:5], 0x28
	s_load_dword s8, s[4:5], 0x18
	s_load_dword s11, s[4:5], 0x30
	v_lshlrev_b32_e32 v7, 3, v0
	v_lshlrev_b32_e32 v6, 7, v1
	s_waitcnt lgkmcnt(0)
	s_add_u32 s6, s6, s0
	s_addc_u32 s7, s7, s1
	v_mad_i64_i32 v[3:4], s[14:15], s11, v5, 0
	s_load_dwordx2 s[6:7], s[6:7], 0x0
	v_mad_i64_i32 v[11:12], s[14:15], s8, v2, 0
	v_lshlrev_b64 v[3:4], 3, v[3:4]
	s_add_u32 s0, s18, s0
	s_addc_u32 s1, s19, s1
	v_add_co_u32_e32 v0, vcc, v3, v7
	s_load_dwordx2 s[0:1], s[0:1], 0x0
	v_addc_co_u32_e32 v4, vcc, 0, v4, vcc
	s_waitcnt lgkmcnt(0)
	v_mov_b32_e32 v13, s7
	v_add_co_u32_e32 v3, vcc, s6, v0
	v_lshlrev_b64 v[11:12], 3, v[11:12]
	v_addc_co_u32_e32 v4, vcc, v13, v4, vcc
	v_lshlrev_b32_e32 v0, 3, v1
	v_add_co_u32_e32 v0, vcc, v11, v0
	v_addc_co_u32_e32 v1, vcc, 0, v12, vcc
	v_add_u32_e32 v9, 0x800, v6
	v_mov_b32_e32 v11, s1
	v_add_co_u32_e32 v0, vcc, s0, v0
	v_add_u32_e32 v8, v7, v6
	v_add_u32_e32 v10, v9, v7
	v_mov_b32_e32 v6, 0
	v_addc_co_u32_e32 v1, vcc, v11, v1, vcc
	v_mov_b32_e32 v11, 0
.LBB660_2:                              ; =>This Inner Loop Header: Depth=1
	flat_load_dwordx2 v[12:13], v[0:1]
	s_add_i32 s9, s9, 16
	s_cmp_lt_i32 s9, s10
	s_waitcnt vmcnt(0) lgkmcnt(0)
	ds_write_b64 v8, v[12:13]
	flat_load_dwordx2 v[12:13], v[3:4]
	v_add_co_u32_e32 v3, vcc, 0x80, v3
	s_mov_b64 s[0:1], vcc
	v_add_co_u32_e32 v0, vcc, 0x80, v0
	v_addc_co_u32_e64 v4, s[0:1], 0, v4, s[0:1]
	v_addc_co_u32_e32 v1, vcc, 0, v1, vcc
	s_waitcnt vmcnt(0) lgkmcnt(0)
	ds_write_b64 v10, v[12:13]
	s_waitcnt lgkmcnt(0)
	s_barrier
	ds_read2_b64 v[12:15], v7 offset1:16
	ds_read_b128 v[16:19], v9
	ds_read_b128 v[20:23], v9 offset:16
	ds_read2_b64 v[24:27], v7 offset0:32 offset1:48
	ds_read2_b64 v[28:31], v7 offset0:64 offset1:80
	ds_read_b128 v[32:35], v9 offset:32
	ds_read_b128 v[36:39], v9 offset:48
	ds_read2_b64 v[40:43], v7 offset0:96 offset1:112
	ds_read2_b64 v[44:47], v7 offset0:128 offset1:144
	ds_read_b128 v[48:51], v9 offset:64
	ds_read_b128 v[52:55], v9 offset:80
	s_waitcnt lgkmcnt(9)
	v_mul_f32_e32 v56, v17, v13
	v_mul_f32_e32 v57, v16, v13
	;; [unrolled: 1-line block ×4, first 2 shown]
	v_fma_f32 v56, v16, v12, -v56
	v_fmac_f32_e32 v57, v17, v12
	v_fma_f32 v59, v18, v14, -v13
	v_fmac_f32_e32 v58, v19, v14
	s_waitcnt lgkmcnt(7)
	v_mul_f32_e32 v16, v21, v25
	v_mul_f32_e32 v60, v20, v25
	v_add_f32_e32 v11, v11, v56
	v_add_f32_e32 v6, v6, v57
	v_mul_f32_e32 v17, v23, v27
	v_mul_f32_e32 v61, v22, v27
	v_fma_f32 v62, v20, v24, -v16
	v_fmac_f32_e32 v60, v21, v24
	v_add_f32_e32 v11, v11, v59
	v_add_f32_e32 v6, v6, v58
	v_fma_f32 v63, v22, v26, -v17
	v_fmac_f32_e32 v61, v23, v26
	s_waitcnt lgkmcnt(5)
	v_mul_f32_e32 v20, v33, v29
	v_mul_f32_e32 v64, v32, v29
	v_add_f32_e32 v11, v11, v62
	v_add_f32_e32 v6, v6, v60
	ds_read2_b64 v[12:15], v7 offset0:160 offset1:176
	v_mul_f32_e32 v21, v35, v31
	v_mul_f32_e32 v65, v34, v31
	v_fma_f32 v32, v32, v28, -v20
	v_fmac_f32_e32 v64, v33, v28
	v_add_f32_e32 v11, v11, v63
	v_add_f32_e32 v6, v6, v61
	v_fma_f32 v33, v34, v30, -v21
	v_fmac_f32_e32 v65, v35, v30
	s_waitcnt lgkmcnt(4)
	v_mul_f32_e32 v24, v37, v41
	v_mul_f32_e32 v34, v36, v41
	v_add_f32_e32 v11, v11, v32
	v_add_f32_e32 v6, v6, v64
	ds_read2_b64 v[16:19], v7 offset0:192 offset1:208
	ds_read_b128 v[20:23], v9 offset:96
	v_mul_f32_e32 v25, v39, v43
	v_mul_f32_e32 v35, v38, v43
	v_fma_f32 v36, v36, v40, -v24
	v_fmac_f32_e32 v34, v37, v40
	v_add_f32_e32 v11, v11, v33
	v_add_f32_e32 v6, v6, v65
	v_fma_f32 v37, v38, v42, -v25
	v_fmac_f32_e32 v35, v39, v42
	s_waitcnt lgkmcnt(4)
	v_mul_f32_e32 v28, v49, v45
	v_mul_f32_e32 v38, v48, v45
	;; [unrolled: 1-line block ×3, first 2 shown]
	v_add_f32_e32 v11, v11, v36
	v_add_f32_e32 v6, v6, v34
	ds_read_b128 v[24:27], v9 offset:112
	v_mul_f32_e32 v39, v50, v47
	v_fma_f32 v40, v48, v44, -v28
	v_fmac_f32_e32 v38, v49, v44
	v_fma_f32 v41, v50, v46, -v29
	ds_read2_b64 v[28:31], v7 offset0:224 offset1:240
	v_add_f32_e32 v11, v11, v37
	v_add_f32_e32 v6, v6, v35
	v_fmac_f32_e32 v39, v51, v46
	s_waitcnt lgkmcnt(4)
	v_mul_f32_e32 v42, v53, v13
	v_mul_f32_e32 v13, v52, v13
	v_add_f32_e32 v11, v11, v40
	v_add_f32_e32 v6, v6, v38
	v_mul_f32_e32 v43, v55, v15
	v_mul_f32_e32 v15, v54, v15
	v_fma_f32 v42, v52, v12, -v42
	v_fmac_f32_e32 v13, v53, v12
	v_add_f32_e32 v11, v11, v41
	v_add_f32_e32 v6, v6, v39
	s_waitcnt lgkmcnt(2)
	v_mul_f32_e32 v44, v21, v17
	v_mul_f32_e32 v17, v20, v17
	v_fma_f32 v12, v54, v14, -v43
	v_fmac_f32_e32 v15, v55, v14
	v_add_f32_e32 v11, v11, v42
	v_add_f32_e32 v6, v6, v13
	v_mul_f32_e32 v14, v23, v19
	v_mul_f32_e32 v19, v22, v19
	v_fma_f32 v20, v20, v16, -v44
	v_fmac_f32_e32 v17, v21, v16
	v_add_f32_e32 v11, v11, v12
	v_add_f32_e32 v6, v6, v15
	s_waitcnt lgkmcnt(0)
	v_mul_f32_e32 v43, v25, v29
	v_mul_f32_e32 v29, v24, v29
	v_fma_f32 v14, v22, v18, -v14
	v_fmac_f32_e32 v19, v23, v18
	v_add_f32_e32 v11, v11, v20
	v_add_f32_e32 v6, v6, v17
	v_mul_f32_e32 v45, v27, v31
	v_mul_f32_e32 v31, v26, v31
	v_fma_f32 v16, v24, v28, -v43
	v_fmac_f32_e32 v29, v25, v28
	v_add_f32_e32 v11, v11, v14
	v_add_f32_e32 v6, v6, v19
	v_fma_f32 v18, v26, v30, -v45
	v_fmac_f32_e32 v31, v27, v30
	v_add_f32_e32 v11, v11, v16
	v_add_f32_e32 v6, v6, v29
	;; [unrolled: 1-line block ×4, first 2 shown]
	s_barrier
	s_cbranch_scc1 .LBB660_2
; %bb.3:
	v_cmp_le_i32_e32 vcc, v5, v2
	s_and_saveexec_b64 s[0:1], vcc
	s_cbranch_execz .LBB660_5
.LBB660_4:
	s_load_dword s0, s[4:5], 0x50
	v_ashrrev_i32_e32 v3, 31, v2
	s_waitcnt lgkmcnt(0)
	v_mov_b32_e32 v4, s3
	v_lshlrev_b64 v[2:3], 3, v[2:3]
	v_mad_i64_i32 v[0:1], s[0:1], s0, v5, 0
	v_mul_f32_e32 v5, s16, v6
	v_fmac_f32_e32 v5, s17, v11
	v_lshlrev_b64 v[0:1], 3, v[0:1]
	v_add_co_u32_e32 v0, vcc, s2, v0
	v_addc_co_u32_e32 v1, vcc, v4, v1, vcc
	v_add_co_u32_e32 v0, vcc, v0, v2
	v_addc_co_u32_e32 v1, vcc, v1, v3, vcc
	flat_load_dwordx2 v[2:3], v[0:1]
	v_mul_f32_e32 v4, s17, v6
	v_fma_f32 v4, v11, s16, -v4
	s_waitcnt vmcnt(0) lgkmcnt(0)
	v_mul_f32_e32 v6, s13, v3
	v_mul_f32_e32 v3, s12, v3
	v_fma_f32 v6, v2, s12, -v6
	v_fmac_f32_e32 v3, s13, v2
	v_add_f32_e32 v2, v4, v6
	v_add_f32_e32 v3, v5, v3
	flat_store_dwordx2 v[0:1], v[2:3]
.LBB660_5:
	s_endpgm
.LBB660_6:
	v_mov_b32_e32 v6, 0
	v_mov_b32_e32 v11, 0
	v_cmp_le_i32_e32 vcc, v5, v2
	s_and_saveexec_b64 s[0:1], vcc
	s_cbranch_execnz .LBB660_4
	s_branch .LBB660_5
	.section	.rodata,"a",@progbits
	.p2align	6, 0x0
	.amdhsa_kernel _ZL41rocblas_syrkx_herkx_small_restrict_kernelIi19rocblas_complex_numIfELi16ELb0ELb0ELc84ELc76EKPKS1_KPS1_EviT_T0_PT6_S7_lSA_S7_lS8_PT7_S7_li
		.amdhsa_group_segment_fixed_size 4096
		.amdhsa_private_segment_fixed_size 0
		.amdhsa_kernarg_size 100
		.amdhsa_user_sgpr_count 6
		.amdhsa_user_sgpr_private_segment_buffer 1
		.amdhsa_user_sgpr_dispatch_ptr 0
		.amdhsa_user_sgpr_queue_ptr 0
		.amdhsa_user_sgpr_kernarg_segment_ptr 1
		.amdhsa_user_sgpr_dispatch_id 0
		.amdhsa_user_sgpr_flat_scratch_init 0
		.amdhsa_user_sgpr_private_segment_size 0
		.amdhsa_uses_dynamic_stack 0
		.amdhsa_system_sgpr_private_segment_wavefront_offset 0
		.amdhsa_system_sgpr_workgroup_id_x 1
		.amdhsa_system_sgpr_workgroup_id_y 1
		.amdhsa_system_sgpr_workgroup_id_z 1
		.amdhsa_system_sgpr_workgroup_info 0
		.amdhsa_system_vgpr_workitem_id 1
		.amdhsa_next_free_vgpr 66
		.amdhsa_next_free_sgpr 20
		.amdhsa_reserve_vcc 1
		.amdhsa_reserve_flat_scratch 0
		.amdhsa_float_round_mode_32 0
		.amdhsa_float_round_mode_16_64 0
		.amdhsa_float_denorm_mode_32 3
		.amdhsa_float_denorm_mode_16_64 3
		.amdhsa_dx10_clamp 1
		.amdhsa_ieee_mode 1
		.amdhsa_fp16_overflow 0
		.amdhsa_exception_fp_ieee_invalid_op 0
		.amdhsa_exception_fp_denorm_src 0
		.amdhsa_exception_fp_ieee_div_zero 0
		.amdhsa_exception_fp_ieee_overflow 0
		.amdhsa_exception_fp_ieee_underflow 0
		.amdhsa_exception_fp_ieee_inexact 0
		.amdhsa_exception_int_div_zero 0
	.end_amdhsa_kernel
	.section	.text._ZL41rocblas_syrkx_herkx_small_restrict_kernelIi19rocblas_complex_numIfELi16ELb0ELb0ELc84ELc76EKPKS1_KPS1_EviT_T0_PT6_S7_lSA_S7_lS8_PT7_S7_li,"axG",@progbits,_ZL41rocblas_syrkx_herkx_small_restrict_kernelIi19rocblas_complex_numIfELi16ELb0ELb0ELc84ELc76EKPKS1_KPS1_EviT_T0_PT6_S7_lSA_S7_lS8_PT7_S7_li,comdat
.Lfunc_end660:
	.size	_ZL41rocblas_syrkx_herkx_small_restrict_kernelIi19rocblas_complex_numIfELi16ELb0ELb0ELc84ELc76EKPKS1_KPS1_EviT_T0_PT6_S7_lSA_S7_lS8_PT7_S7_li, .Lfunc_end660-_ZL41rocblas_syrkx_herkx_small_restrict_kernelIi19rocblas_complex_numIfELi16ELb0ELb0ELc84ELc76EKPKS1_KPS1_EviT_T0_PT6_S7_lSA_S7_lS8_PT7_S7_li
                                        ; -- End function
	.set _ZL41rocblas_syrkx_herkx_small_restrict_kernelIi19rocblas_complex_numIfELi16ELb0ELb0ELc84ELc76EKPKS1_KPS1_EviT_T0_PT6_S7_lSA_S7_lS8_PT7_S7_li.num_vgpr, 66
	.set _ZL41rocblas_syrkx_herkx_small_restrict_kernelIi19rocblas_complex_numIfELi16ELb0ELb0ELc84ELc76EKPKS1_KPS1_EviT_T0_PT6_S7_lSA_S7_lS8_PT7_S7_li.num_agpr, 0
	.set _ZL41rocblas_syrkx_herkx_small_restrict_kernelIi19rocblas_complex_numIfELi16ELb0ELb0ELc84ELc76EKPKS1_KPS1_EviT_T0_PT6_S7_lSA_S7_lS8_PT7_S7_li.numbered_sgpr, 20
	.set _ZL41rocblas_syrkx_herkx_small_restrict_kernelIi19rocblas_complex_numIfELi16ELb0ELb0ELc84ELc76EKPKS1_KPS1_EviT_T0_PT6_S7_lSA_S7_lS8_PT7_S7_li.num_named_barrier, 0
	.set _ZL41rocblas_syrkx_herkx_small_restrict_kernelIi19rocblas_complex_numIfELi16ELb0ELb0ELc84ELc76EKPKS1_KPS1_EviT_T0_PT6_S7_lSA_S7_lS8_PT7_S7_li.private_seg_size, 0
	.set _ZL41rocblas_syrkx_herkx_small_restrict_kernelIi19rocblas_complex_numIfELi16ELb0ELb0ELc84ELc76EKPKS1_KPS1_EviT_T0_PT6_S7_lSA_S7_lS8_PT7_S7_li.uses_vcc, 1
	.set _ZL41rocblas_syrkx_herkx_small_restrict_kernelIi19rocblas_complex_numIfELi16ELb0ELb0ELc84ELc76EKPKS1_KPS1_EviT_T0_PT6_S7_lSA_S7_lS8_PT7_S7_li.uses_flat_scratch, 0
	.set _ZL41rocblas_syrkx_herkx_small_restrict_kernelIi19rocblas_complex_numIfELi16ELb0ELb0ELc84ELc76EKPKS1_KPS1_EviT_T0_PT6_S7_lSA_S7_lS8_PT7_S7_li.has_dyn_sized_stack, 0
	.set _ZL41rocblas_syrkx_herkx_small_restrict_kernelIi19rocblas_complex_numIfELi16ELb0ELb0ELc84ELc76EKPKS1_KPS1_EviT_T0_PT6_S7_lSA_S7_lS8_PT7_S7_li.has_recursion, 0
	.set _ZL41rocblas_syrkx_herkx_small_restrict_kernelIi19rocblas_complex_numIfELi16ELb0ELb0ELc84ELc76EKPKS1_KPS1_EviT_T0_PT6_S7_lSA_S7_lS8_PT7_S7_li.has_indirect_call, 0
	.section	.AMDGPU.csdata,"",@progbits
; Kernel info:
; codeLenInByte = 1120
; TotalNumSgprs: 24
; NumVgprs: 66
; ScratchSize: 0
; MemoryBound: 0
; FloatMode: 240
; IeeeMode: 1
; LDSByteSize: 4096 bytes/workgroup (compile time only)
; SGPRBlocks: 2
; VGPRBlocks: 16
; NumSGPRsForWavesPerEU: 24
; NumVGPRsForWavesPerEU: 66
; Occupancy: 3
; WaveLimiterHint : 1
; COMPUTE_PGM_RSRC2:SCRATCH_EN: 0
; COMPUTE_PGM_RSRC2:USER_SGPR: 6
; COMPUTE_PGM_RSRC2:TRAP_HANDLER: 0
; COMPUTE_PGM_RSRC2:TGID_X_EN: 1
; COMPUTE_PGM_RSRC2:TGID_Y_EN: 1
; COMPUTE_PGM_RSRC2:TGID_Z_EN: 1
; COMPUTE_PGM_RSRC2:TIDIG_COMP_CNT: 1
	.section	.text._ZL41rocblas_syrkx_herkx_small_restrict_kernelIi19rocblas_complex_numIfELi16ELb0ELb0ELc67ELc76EKPKS1_KPS1_EviT_T0_PT6_S7_lSA_S7_lS8_PT7_S7_li,"axG",@progbits,_ZL41rocblas_syrkx_herkx_small_restrict_kernelIi19rocblas_complex_numIfELi16ELb0ELb0ELc67ELc76EKPKS1_KPS1_EviT_T0_PT6_S7_lSA_S7_lS8_PT7_S7_li,comdat
	.globl	_ZL41rocblas_syrkx_herkx_small_restrict_kernelIi19rocblas_complex_numIfELi16ELb0ELb0ELc67ELc76EKPKS1_KPS1_EviT_T0_PT6_S7_lSA_S7_lS8_PT7_S7_li ; -- Begin function _ZL41rocblas_syrkx_herkx_small_restrict_kernelIi19rocblas_complex_numIfELi16ELb0ELb0ELc67ELc76EKPKS1_KPS1_EviT_T0_PT6_S7_lSA_S7_lS8_PT7_S7_li
	.p2align	8
	.type	_ZL41rocblas_syrkx_herkx_small_restrict_kernelIi19rocblas_complex_numIfELi16ELb0ELb0ELc67ELc76EKPKS1_KPS1_EviT_T0_PT6_S7_lSA_S7_lS8_PT7_S7_li,@function
_ZL41rocblas_syrkx_herkx_small_restrict_kernelIi19rocblas_complex_numIfELi16ELb0ELb0ELc67ELc76EKPKS1_KPS1_EviT_T0_PT6_S7_lSA_S7_lS8_PT7_S7_li: ; @_ZL41rocblas_syrkx_herkx_small_restrict_kernelIi19rocblas_complex_numIfELi16ELb0ELb0ELc67ELc76EKPKS1_KPS1_EviT_T0_PT6_S7_lSA_S7_lS8_PT7_S7_li
; %bb.0:
	s_load_dwordx4 s[12:15], s[4:5], 0x40
	s_load_dword s10, s[4:5], 0x4
	s_load_dwordx4 s[16:19], s[4:5], 0x8
	s_mov_b32 s9, 0
	s_lshl_b64 s[0:1], s[8:9], 3
	s_waitcnt lgkmcnt(0)
	s_add_u32 s2, s14, s0
	s_addc_u32 s3, s15, s1
	s_load_dwordx2 s[2:3], s[2:3], 0x0
	v_lshl_add_u32 v2, s6, 4, v0
	s_cmp_lt_i32 s10, 1
	v_lshl_add_u32 v5, s7, 4, v1
	s_cbranch_scc1 .LBB661_6
; %bb.1:
	s_load_dwordx2 s[6:7], s[4:5], 0x28
	s_load_dword s8, s[4:5], 0x18
	s_load_dword s11, s[4:5], 0x30
	v_lshlrev_b32_e32 v7, 3, v0
	v_lshlrev_b32_e32 v6, 7, v1
	s_waitcnt lgkmcnt(0)
	s_add_u32 s6, s6, s0
	s_addc_u32 s7, s7, s1
	v_mad_i64_i32 v[3:4], s[14:15], s11, v5, 0
	s_load_dwordx2 s[6:7], s[6:7], 0x0
	v_mad_i64_i32 v[11:12], s[14:15], s8, v2, 0
	v_lshlrev_b64 v[3:4], 3, v[3:4]
	s_add_u32 s0, s18, s0
	s_addc_u32 s1, s19, s1
	v_add_co_u32_e32 v0, vcc, v3, v7
	s_load_dwordx2 s[0:1], s[0:1], 0x0
	v_addc_co_u32_e32 v4, vcc, 0, v4, vcc
	s_waitcnt lgkmcnt(0)
	v_mov_b32_e32 v13, s7
	v_add_co_u32_e32 v3, vcc, s6, v0
	v_lshlrev_b64 v[11:12], 3, v[11:12]
	v_addc_co_u32_e32 v4, vcc, v13, v4, vcc
	v_lshlrev_b32_e32 v0, 3, v1
	v_add_co_u32_e32 v0, vcc, v11, v0
	v_addc_co_u32_e32 v1, vcc, 0, v12, vcc
	v_add_u32_e32 v9, 0x800, v6
	v_mov_b32_e32 v11, s1
	v_add_co_u32_e32 v0, vcc, s0, v0
	v_add_u32_e32 v8, v7, v6
	v_add_u32_e32 v10, v9, v7
	v_mov_b32_e32 v6, 0
	v_addc_co_u32_e32 v1, vcc, v11, v1, vcc
	v_mov_b32_e32 v11, 0
.LBB661_2:                              ; =>This Inner Loop Header: Depth=1
	flat_load_dwordx2 v[12:13], v[0:1]
	s_add_i32 s9, s9, 16
	s_cmp_lt_i32 s9, s10
	s_waitcnt vmcnt(0) lgkmcnt(0)
	ds_write_b64 v8, v[12:13]
	flat_load_dwordx2 v[12:13], v[3:4]
	v_add_co_u32_e32 v3, vcc, 0x80, v3
	s_mov_b64 s[0:1], vcc
	v_add_co_u32_e32 v0, vcc, 0x80, v0
	v_addc_co_u32_e64 v4, s[0:1], 0, v4, s[0:1]
	v_addc_co_u32_e32 v1, vcc, 0, v1, vcc
	s_waitcnt vmcnt(0) lgkmcnt(0)
	ds_write_b64 v10, v[12:13]
	s_waitcnt lgkmcnt(0)
	s_barrier
	ds_read2_b64 v[12:15], v7 offset1:16
	ds_read_b128 v[16:19], v9
	ds_read_b128 v[20:23], v9 offset:16
	ds_read2_b64 v[24:27], v7 offset0:32 offset1:48
	ds_read2_b64 v[28:31], v7 offset0:64 offset1:80
	ds_read_b128 v[32:35], v9 offset:32
	ds_read_b128 v[36:39], v9 offset:48
	ds_read2_b64 v[40:43], v7 offset0:96 offset1:112
	ds_read2_b64 v[44:47], v7 offset0:128 offset1:144
	ds_read_b128 v[48:51], v9 offset:64
	ds_read_b128 v[52:55], v9 offset:80
	s_waitcnt lgkmcnt(9)
	v_mul_f32_e32 v56, v17, v13
	v_mul_f32_e32 v57, v16, v13
	;; [unrolled: 1-line block ×4, first 2 shown]
	v_fma_f32 v56, v16, v12, -v56
	v_fmac_f32_e32 v57, v17, v12
	v_fma_f32 v59, v18, v14, -v13
	v_fmac_f32_e32 v58, v19, v14
	s_waitcnt lgkmcnt(7)
	v_mul_f32_e32 v16, v21, v25
	v_mul_f32_e32 v60, v20, v25
	v_add_f32_e32 v11, v11, v56
	v_add_f32_e32 v6, v6, v57
	v_mul_f32_e32 v17, v23, v27
	v_mul_f32_e32 v61, v22, v27
	v_fma_f32 v62, v20, v24, -v16
	v_fmac_f32_e32 v60, v21, v24
	v_add_f32_e32 v11, v11, v59
	v_add_f32_e32 v6, v6, v58
	v_fma_f32 v63, v22, v26, -v17
	v_fmac_f32_e32 v61, v23, v26
	s_waitcnt lgkmcnt(5)
	v_mul_f32_e32 v20, v33, v29
	v_mul_f32_e32 v64, v32, v29
	v_add_f32_e32 v11, v11, v62
	v_add_f32_e32 v6, v6, v60
	ds_read2_b64 v[12:15], v7 offset0:160 offset1:176
	v_mul_f32_e32 v21, v35, v31
	v_mul_f32_e32 v65, v34, v31
	v_fma_f32 v32, v32, v28, -v20
	v_fmac_f32_e32 v64, v33, v28
	v_add_f32_e32 v11, v11, v63
	v_add_f32_e32 v6, v6, v61
	v_fma_f32 v33, v34, v30, -v21
	v_fmac_f32_e32 v65, v35, v30
	s_waitcnt lgkmcnt(4)
	v_mul_f32_e32 v24, v37, v41
	v_mul_f32_e32 v34, v36, v41
	v_add_f32_e32 v11, v11, v32
	v_add_f32_e32 v6, v6, v64
	ds_read2_b64 v[16:19], v7 offset0:192 offset1:208
	ds_read_b128 v[20:23], v9 offset:96
	v_mul_f32_e32 v25, v39, v43
	v_mul_f32_e32 v35, v38, v43
	v_fma_f32 v36, v36, v40, -v24
	v_fmac_f32_e32 v34, v37, v40
	v_add_f32_e32 v11, v11, v33
	v_add_f32_e32 v6, v6, v65
	v_fma_f32 v37, v38, v42, -v25
	v_fmac_f32_e32 v35, v39, v42
	s_waitcnt lgkmcnt(4)
	v_mul_f32_e32 v28, v49, v45
	v_mul_f32_e32 v38, v48, v45
	;; [unrolled: 1-line block ×3, first 2 shown]
	v_add_f32_e32 v11, v11, v36
	v_add_f32_e32 v6, v6, v34
	ds_read_b128 v[24:27], v9 offset:112
	v_mul_f32_e32 v39, v50, v47
	v_fma_f32 v40, v48, v44, -v28
	v_fmac_f32_e32 v38, v49, v44
	v_fma_f32 v41, v50, v46, -v29
	ds_read2_b64 v[28:31], v7 offset0:224 offset1:240
	v_add_f32_e32 v11, v11, v37
	v_add_f32_e32 v6, v6, v35
	v_fmac_f32_e32 v39, v51, v46
	s_waitcnt lgkmcnt(4)
	v_mul_f32_e32 v42, v53, v13
	v_mul_f32_e32 v13, v52, v13
	v_add_f32_e32 v11, v11, v40
	v_add_f32_e32 v6, v6, v38
	v_mul_f32_e32 v43, v55, v15
	v_mul_f32_e32 v15, v54, v15
	v_fma_f32 v42, v52, v12, -v42
	v_fmac_f32_e32 v13, v53, v12
	v_add_f32_e32 v11, v11, v41
	v_add_f32_e32 v6, v6, v39
	s_waitcnt lgkmcnt(2)
	v_mul_f32_e32 v44, v21, v17
	v_mul_f32_e32 v17, v20, v17
	v_fma_f32 v12, v54, v14, -v43
	v_fmac_f32_e32 v15, v55, v14
	v_add_f32_e32 v11, v11, v42
	v_add_f32_e32 v6, v6, v13
	v_mul_f32_e32 v14, v23, v19
	v_mul_f32_e32 v19, v22, v19
	v_fma_f32 v20, v20, v16, -v44
	v_fmac_f32_e32 v17, v21, v16
	v_add_f32_e32 v11, v11, v12
	v_add_f32_e32 v6, v6, v15
	s_waitcnt lgkmcnt(0)
	v_mul_f32_e32 v43, v25, v29
	v_mul_f32_e32 v29, v24, v29
	v_fma_f32 v14, v22, v18, -v14
	v_fmac_f32_e32 v19, v23, v18
	v_add_f32_e32 v11, v11, v20
	v_add_f32_e32 v6, v6, v17
	v_mul_f32_e32 v45, v27, v31
	v_mul_f32_e32 v31, v26, v31
	v_fma_f32 v16, v24, v28, -v43
	v_fmac_f32_e32 v29, v25, v28
	v_add_f32_e32 v11, v11, v14
	v_add_f32_e32 v6, v6, v19
	v_fma_f32 v18, v26, v30, -v45
	v_fmac_f32_e32 v31, v27, v30
	v_add_f32_e32 v11, v11, v16
	v_add_f32_e32 v6, v6, v29
	;; [unrolled: 1-line block ×4, first 2 shown]
	s_barrier
	s_cbranch_scc1 .LBB661_2
; %bb.3:
	v_cmp_le_i32_e32 vcc, v5, v2
	s_and_saveexec_b64 s[0:1], vcc
	s_cbranch_execz .LBB661_5
.LBB661_4:
	s_load_dword s0, s[4:5], 0x50
	v_ashrrev_i32_e32 v3, 31, v2
	s_waitcnt lgkmcnt(0)
	v_mov_b32_e32 v4, s3
	v_lshlrev_b64 v[2:3], 3, v[2:3]
	v_mad_i64_i32 v[0:1], s[0:1], s0, v5, 0
	v_mul_f32_e32 v5, s16, v6
	v_fmac_f32_e32 v5, s17, v11
	v_lshlrev_b64 v[0:1], 3, v[0:1]
	v_add_co_u32_e32 v0, vcc, s2, v0
	v_addc_co_u32_e32 v1, vcc, v4, v1, vcc
	v_add_co_u32_e32 v0, vcc, v0, v2
	v_addc_co_u32_e32 v1, vcc, v1, v3, vcc
	flat_load_dwordx2 v[2:3], v[0:1]
	v_mul_f32_e32 v4, s17, v6
	v_fma_f32 v4, v11, s16, -v4
	s_waitcnt vmcnt(0) lgkmcnt(0)
	v_mul_f32_e32 v6, s13, v3
	v_mul_f32_e32 v3, s12, v3
	v_fma_f32 v6, v2, s12, -v6
	v_fmac_f32_e32 v3, s13, v2
	v_add_f32_e32 v2, v4, v6
	v_add_f32_e32 v3, v5, v3
	flat_store_dwordx2 v[0:1], v[2:3]
.LBB661_5:
	s_endpgm
.LBB661_6:
	v_mov_b32_e32 v6, 0
	v_mov_b32_e32 v11, 0
	v_cmp_le_i32_e32 vcc, v5, v2
	s_and_saveexec_b64 s[0:1], vcc
	s_cbranch_execnz .LBB661_4
	s_branch .LBB661_5
	.section	.rodata,"a",@progbits
	.p2align	6, 0x0
	.amdhsa_kernel _ZL41rocblas_syrkx_herkx_small_restrict_kernelIi19rocblas_complex_numIfELi16ELb0ELb0ELc67ELc76EKPKS1_KPS1_EviT_T0_PT6_S7_lSA_S7_lS8_PT7_S7_li
		.amdhsa_group_segment_fixed_size 4096
		.amdhsa_private_segment_fixed_size 0
		.amdhsa_kernarg_size 100
		.amdhsa_user_sgpr_count 6
		.amdhsa_user_sgpr_private_segment_buffer 1
		.amdhsa_user_sgpr_dispatch_ptr 0
		.amdhsa_user_sgpr_queue_ptr 0
		.amdhsa_user_sgpr_kernarg_segment_ptr 1
		.amdhsa_user_sgpr_dispatch_id 0
		.amdhsa_user_sgpr_flat_scratch_init 0
		.amdhsa_user_sgpr_private_segment_size 0
		.amdhsa_uses_dynamic_stack 0
		.amdhsa_system_sgpr_private_segment_wavefront_offset 0
		.amdhsa_system_sgpr_workgroup_id_x 1
		.amdhsa_system_sgpr_workgroup_id_y 1
		.amdhsa_system_sgpr_workgroup_id_z 1
		.amdhsa_system_sgpr_workgroup_info 0
		.amdhsa_system_vgpr_workitem_id 1
		.amdhsa_next_free_vgpr 66
		.amdhsa_next_free_sgpr 20
		.amdhsa_reserve_vcc 1
		.amdhsa_reserve_flat_scratch 0
		.amdhsa_float_round_mode_32 0
		.amdhsa_float_round_mode_16_64 0
		.amdhsa_float_denorm_mode_32 3
		.amdhsa_float_denorm_mode_16_64 3
		.amdhsa_dx10_clamp 1
		.amdhsa_ieee_mode 1
		.amdhsa_fp16_overflow 0
		.amdhsa_exception_fp_ieee_invalid_op 0
		.amdhsa_exception_fp_denorm_src 0
		.amdhsa_exception_fp_ieee_div_zero 0
		.amdhsa_exception_fp_ieee_overflow 0
		.amdhsa_exception_fp_ieee_underflow 0
		.amdhsa_exception_fp_ieee_inexact 0
		.amdhsa_exception_int_div_zero 0
	.end_amdhsa_kernel
	.section	.text._ZL41rocblas_syrkx_herkx_small_restrict_kernelIi19rocblas_complex_numIfELi16ELb0ELb0ELc67ELc76EKPKS1_KPS1_EviT_T0_PT6_S7_lSA_S7_lS8_PT7_S7_li,"axG",@progbits,_ZL41rocblas_syrkx_herkx_small_restrict_kernelIi19rocblas_complex_numIfELi16ELb0ELb0ELc67ELc76EKPKS1_KPS1_EviT_T0_PT6_S7_lSA_S7_lS8_PT7_S7_li,comdat
.Lfunc_end661:
	.size	_ZL41rocblas_syrkx_herkx_small_restrict_kernelIi19rocblas_complex_numIfELi16ELb0ELb0ELc67ELc76EKPKS1_KPS1_EviT_T0_PT6_S7_lSA_S7_lS8_PT7_S7_li, .Lfunc_end661-_ZL41rocblas_syrkx_herkx_small_restrict_kernelIi19rocblas_complex_numIfELi16ELb0ELb0ELc67ELc76EKPKS1_KPS1_EviT_T0_PT6_S7_lSA_S7_lS8_PT7_S7_li
                                        ; -- End function
	.set _ZL41rocblas_syrkx_herkx_small_restrict_kernelIi19rocblas_complex_numIfELi16ELb0ELb0ELc67ELc76EKPKS1_KPS1_EviT_T0_PT6_S7_lSA_S7_lS8_PT7_S7_li.num_vgpr, 66
	.set _ZL41rocblas_syrkx_herkx_small_restrict_kernelIi19rocblas_complex_numIfELi16ELb0ELb0ELc67ELc76EKPKS1_KPS1_EviT_T0_PT6_S7_lSA_S7_lS8_PT7_S7_li.num_agpr, 0
	.set _ZL41rocblas_syrkx_herkx_small_restrict_kernelIi19rocblas_complex_numIfELi16ELb0ELb0ELc67ELc76EKPKS1_KPS1_EviT_T0_PT6_S7_lSA_S7_lS8_PT7_S7_li.numbered_sgpr, 20
	.set _ZL41rocblas_syrkx_herkx_small_restrict_kernelIi19rocblas_complex_numIfELi16ELb0ELb0ELc67ELc76EKPKS1_KPS1_EviT_T0_PT6_S7_lSA_S7_lS8_PT7_S7_li.num_named_barrier, 0
	.set _ZL41rocblas_syrkx_herkx_small_restrict_kernelIi19rocblas_complex_numIfELi16ELb0ELb0ELc67ELc76EKPKS1_KPS1_EviT_T0_PT6_S7_lSA_S7_lS8_PT7_S7_li.private_seg_size, 0
	.set _ZL41rocblas_syrkx_herkx_small_restrict_kernelIi19rocblas_complex_numIfELi16ELb0ELb0ELc67ELc76EKPKS1_KPS1_EviT_T0_PT6_S7_lSA_S7_lS8_PT7_S7_li.uses_vcc, 1
	.set _ZL41rocblas_syrkx_herkx_small_restrict_kernelIi19rocblas_complex_numIfELi16ELb0ELb0ELc67ELc76EKPKS1_KPS1_EviT_T0_PT6_S7_lSA_S7_lS8_PT7_S7_li.uses_flat_scratch, 0
	.set _ZL41rocblas_syrkx_herkx_small_restrict_kernelIi19rocblas_complex_numIfELi16ELb0ELb0ELc67ELc76EKPKS1_KPS1_EviT_T0_PT6_S7_lSA_S7_lS8_PT7_S7_li.has_dyn_sized_stack, 0
	.set _ZL41rocblas_syrkx_herkx_small_restrict_kernelIi19rocblas_complex_numIfELi16ELb0ELb0ELc67ELc76EKPKS1_KPS1_EviT_T0_PT6_S7_lSA_S7_lS8_PT7_S7_li.has_recursion, 0
	.set _ZL41rocblas_syrkx_herkx_small_restrict_kernelIi19rocblas_complex_numIfELi16ELb0ELb0ELc67ELc76EKPKS1_KPS1_EviT_T0_PT6_S7_lSA_S7_lS8_PT7_S7_li.has_indirect_call, 0
	.section	.AMDGPU.csdata,"",@progbits
; Kernel info:
; codeLenInByte = 1120
; TotalNumSgprs: 24
; NumVgprs: 66
; ScratchSize: 0
; MemoryBound: 0
; FloatMode: 240
; IeeeMode: 1
; LDSByteSize: 4096 bytes/workgroup (compile time only)
; SGPRBlocks: 2
; VGPRBlocks: 16
; NumSGPRsForWavesPerEU: 24
; NumVGPRsForWavesPerEU: 66
; Occupancy: 3
; WaveLimiterHint : 1
; COMPUTE_PGM_RSRC2:SCRATCH_EN: 0
; COMPUTE_PGM_RSRC2:USER_SGPR: 6
; COMPUTE_PGM_RSRC2:TRAP_HANDLER: 0
; COMPUTE_PGM_RSRC2:TGID_X_EN: 1
; COMPUTE_PGM_RSRC2:TGID_Y_EN: 1
; COMPUTE_PGM_RSRC2:TGID_Z_EN: 1
; COMPUTE_PGM_RSRC2:TIDIG_COMP_CNT: 1
	.section	.text._ZL41rocblas_syrkx_herkx_small_restrict_kernelIi19rocblas_complex_numIfELi16ELb0ELb0ELc78ELc76EKPKS1_KPS1_EviT_T0_PT6_S7_lSA_S7_lS8_PT7_S7_li,"axG",@progbits,_ZL41rocblas_syrkx_herkx_small_restrict_kernelIi19rocblas_complex_numIfELi16ELb0ELb0ELc78ELc76EKPKS1_KPS1_EviT_T0_PT6_S7_lSA_S7_lS8_PT7_S7_li,comdat
	.globl	_ZL41rocblas_syrkx_herkx_small_restrict_kernelIi19rocblas_complex_numIfELi16ELb0ELb0ELc78ELc76EKPKS1_KPS1_EviT_T0_PT6_S7_lSA_S7_lS8_PT7_S7_li ; -- Begin function _ZL41rocblas_syrkx_herkx_small_restrict_kernelIi19rocblas_complex_numIfELi16ELb0ELb0ELc78ELc76EKPKS1_KPS1_EviT_T0_PT6_S7_lSA_S7_lS8_PT7_S7_li
	.p2align	8
	.type	_ZL41rocblas_syrkx_herkx_small_restrict_kernelIi19rocblas_complex_numIfELi16ELb0ELb0ELc78ELc76EKPKS1_KPS1_EviT_T0_PT6_S7_lSA_S7_lS8_PT7_S7_li,@function
_ZL41rocblas_syrkx_herkx_small_restrict_kernelIi19rocblas_complex_numIfELi16ELb0ELb0ELc78ELc76EKPKS1_KPS1_EviT_T0_PT6_S7_lSA_S7_lS8_PT7_S7_li: ; @_ZL41rocblas_syrkx_herkx_small_restrict_kernelIi19rocblas_complex_numIfELi16ELb0ELb0ELc78ELc76EKPKS1_KPS1_EviT_T0_PT6_S7_lSA_S7_lS8_PT7_S7_li
; %bb.0:
	s_load_dwordx4 s[0:3], s[4:5], 0x40
	s_load_dword s16, s[4:5], 0x4
	s_load_dwordx4 s[12:15], s[4:5], 0x8
	s_mov_b32 s9, 0
	s_lshl_b64 s[10:11], s[8:9], 3
	s_waitcnt lgkmcnt(0)
	s_add_u32 s2, s2, s10
	s_addc_u32 s3, s3, s11
	s_load_dwordx2 s[2:3], s[2:3], 0x0
	v_lshl_add_u32 v2, s6, 4, v0
	v_lshl_add_u32 v4, s7, 4, v1
	s_cmp_lt_i32 s16, 1
	v_ashrrev_i32_e32 v3, 31, v2
	s_cbranch_scc1 .LBB662_6
; %bb.1:
	s_load_dword s18, s[4:5], 0x18
	s_load_dword s6, s[4:5], 0x30
	s_load_dwordx2 s[20:21], s[4:5], 0x28
	v_lshlrev_b32_e32 v6, 7, v1
	v_lshlrev_b32_e32 v7, 3, v0
	s_waitcnt lgkmcnt(0)
	s_ashr_i32 s19, s18, 31
	s_ashr_i32 s7, s6, 31
	s_add_u32 s20, s20, s10
	s_addc_u32 s21, s21, s11
	s_add_u32 s10, s14, s10
	s_addc_u32 s11, s15, s11
	v_mad_i64_i32 v[11:12], s[14:15], s6, v0, 0
	v_ashrrev_i32_e32 v5, 31, v4
	v_add_u32_e32 v8, v7, v6
	v_add_u32_e32 v9, 0x800, v6
	v_lshlrev_b64 v[11:12], 3, v[11:12]
	v_lshlrev_b64 v[5:6], 3, v[4:5]
	s_load_dwordx2 s[20:21], s[20:21], 0x0
	v_add_co_u32_e32 v0, vcc, v11, v5
	v_addc_co_u32_e32 v11, vcc, v12, v6, vcc
	v_mad_i64_i32 v[5:6], s[14:15], s18, v1, 0
	s_load_dwordx2 s[10:11], s[10:11], 0x0
	s_waitcnt lgkmcnt(0)
	v_mov_b32_e32 v12, s21
	v_add_co_u32_e32 v0, vcc, s20, v0
	v_addc_co_u32_e32 v1, vcc, v12, v11, vcc
	v_lshlrev_b64 v[5:6], 3, v[5:6]
	v_lshlrev_b64 v[11:12], 3, v[2:3]
	s_lshl_b64 s[6:7], s[6:7], 7
	v_add_co_u32_e32 v5, vcc, v5, v11
	v_addc_co_u32_e32 v6, vcc, v6, v12, vcc
	v_mov_b32_e32 v11, s11
	v_add_co_u32_e32 v5, vcc, s10, v5
	s_lshl_b64 s[10:11], s[18:19], 7
	v_add_u32_e32 v10, v9, v7
	v_addc_co_u32_e32 v6, vcc, v11, v6, vcc
	v_mov_b32_e32 v11, 0
	v_mov_b32_e32 v13, s7
	;; [unrolled: 1-line block ×4, first 2 shown]
.LBB662_2:                              ; =>This Inner Loop Header: Depth=1
	flat_load_dwordx2 v[15:16], v[5:6]
	v_add_co_u32_e32 v5, vcc, s10, v5
	v_addc_co_u32_e32 v6, vcc, v6, v14, vcc
	s_add_i32 s9, s9, 16
	s_cmp_lt_i32 s9, s16
	s_waitcnt vmcnt(0) lgkmcnt(0)
	ds_write_b64 v8, v[15:16]
	flat_load_dwordx2 v[15:16], v[0:1]
	v_add_co_u32_e32 v0, vcc, s6, v0
	v_addc_co_u32_e32 v1, vcc, v1, v13, vcc
	s_waitcnt vmcnt(0) lgkmcnt(0)
	ds_write_b64 v10, v[15:16]
	s_waitcnt lgkmcnt(0)
	s_barrier
	ds_read2_b64 v[15:18], v7 offset1:16
	ds_read_b128 v[19:22], v9
	ds_read_b128 v[23:26], v9 offset:16
	ds_read2_b64 v[27:30], v7 offset0:32 offset1:48
	ds_read2_b64 v[31:34], v7 offset0:64 offset1:80
	ds_read_b128 v[35:38], v9 offset:32
	ds_read_b128 v[39:42], v9 offset:48
	ds_read2_b64 v[43:46], v7 offset0:96 offset1:112
	ds_read2_b64 v[47:50], v7 offset0:128 offset1:144
	ds_read_b128 v[51:54], v9 offset:64
	ds_read_b128 v[55:58], v9 offset:80
	s_waitcnt lgkmcnt(9)
	v_mul_f32_e32 v59, v20, v16
	v_mul_f32_e32 v60, v19, v16
	;; [unrolled: 1-line block ×4, first 2 shown]
	v_fma_f32 v59, v19, v15, -v59
	v_fmac_f32_e32 v60, v20, v15
	v_fma_f32 v62, v21, v17, -v16
	v_fmac_f32_e32 v61, v22, v17
	s_waitcnt lgkmcnt(7)
	v_mul_f32_e32 v19, v24, v28
	v_mul_f32_e32 v63, v23, v28
	v_add_f32_e32 v12, v12, v59
	v_add_f32_e32 v11, v11, v60
	v_mul_f32_e32 v20, v26, v30
	v_mul_f32_e32 v64, v25, v30
	v_fma_f32 v65, v23, v27, -v19
	v_fmac_f32_e32 v63, v24, v27
	v_add_f32_e32 v12, v12, v62
	v_add_f32_e32 v11, v11, v61
	v_fma_f32 v66, v25, v29, -v20
	v_fmac_f32_e32 v64, v26, v29
	s_waitcnt lgkmcnt(5)
	v_mul_f32_e32 v23, v36, v32
	v_mul_f32_e32 v67, v35, v32
	v_add_f32_e32 v12, v12, v65
	v_add_f32_e32 v11, v11, v63
	ds_read2_b64 v[15:18], v7 offset0:160 offset1:176
	v_mul_f32_e32 v24, v38, v34
	v_mul_f32_e32 v68, v37, v34
	v_fma_f32 v35, v35, v31, -v23
	v_fmac_f32_e32 v67, v36, v31
	v_add_f32_e32 v12, v12, v66
	v_add_f32_e32 v11, v11, v64
	v_fma_f32 v36, v37, v33, -v24
	v_fmac_f32_e32 v68, v38, v33
	s_waitcnt lgkmcnt(4)
	v_mul_f32_e32 v27, v40, v44
	v_mul_f32_e32 v37, v39, v44
	v_add_f32_e32 v12, v12, v35
	v_add_f32_e32 v11, v11, v67
	ds_read2_b64 v[19:22], v7 offset0:192 offset1:208
	ds_read_b128 v[23:26], v9 offset:96
	v_mul_f32_e32 v28, v42, v46
	v_mul_f32_e32 v38, v41, v46
	v_fma_f32 v39, v39, v43, -v27
	v_fmac_f32_e32 v37, v40, v43
	v_add_f32_e32 v12, v12, v36
	v_add_f32_e32 v11, v11, v68
	v_fma_f32 v40, v41, v45, -v28
	v_fmac_f32_e32 v38, v42, v45
	s_waitcnt lgkmcnt(4)
	v_mul_f32_e32 v31, v52, v48
	v_mul_f32_e32 v41, v51, v48
	;; [unrolled: 1-line block ×3, first 2 shown]
	v_add_f32_e32 v12, v12, v39
	v_add_f32_e32 v11, v11, v37
	ds_read_b128 v[27:30], v9 offset:112
	v_mul_f32_e32 v42, v53, v50
	v_fma_f32 v43, v51, v47, -v31
	v_fmac_f32_e32 v41, v52, v47
	v_fma_f32 v44, v53, v49, -v32
	ds_read2_b64 v[31:34], v7 offset0:224 offset1:240
	v_add_f32_e32 v12, v12, v40
	v_add_f32_e32 v11, v11, v38
	v_fmac_f32_e32 v42, v54, v49
	s_waitcnt lgkmcnt(4)
	v_mul_f32_e32 v45, v56, v16
	v_mul_f32_e32 v16, v55, v16
	v_add_f32_e32 v12, v12, v43
	v_add_f32_e32 v11, v11, v41
	v_mul_f32_e32 v46, v58, v18
	v_mul_f32_e32 v18, v57, v18
	v_fma_f32 v45, v55, v15, -v45
	v_fmac_f32_e32 v16, v56, v15
	v_add_f32_e32 v12, v12, v44
	v_add_f32_e32 v11, v11, v42
	v_fma_f32 v15, v57, v17, -v46
	v_fmac_f32_e32 v18, v58, v17
	s_waitcnt lgkmcnt(2)
	v_mul_f32_e32 v17, v24, v20
	v_mul_f32_e32 v20, v23, v20
	v_add_f32_e32 v12, v12, v45
	v_add_f32_e32 v11, v11, v16
	v_mul_f32_e32 v46, v26, v22
	v_mul_f32_e32 v22, v25, v22
	v_fma_f32 v17, v23, v19, -v17
	v_fmac_f32_e32 v20, v24, v19
	v_add_f32_e32 v12, v12, v15
	v_add_f32_e32 v11, v11, v18
	s_waitcnt lgkmcnt(0)
	v_mul_f32_e32 v47, v28, v32
	v_mul_f32_e32 v32, v27, v32
	v_fma_f32 v19, v25, v21, -v46
	v_fmac_f32_e32 v22, v26, v21
	v_add_f32_e32 v12, v12, v17
	v_add_f32_e32 v11, v11, v20
	v_mul_f32_e32 v48, v30, v34
	v_mul_f32_e32 v34, v29, v34
	v_fma_f32 v21, v27, v31, -v47
	v_fmac_f32_e32 v32, v28, v31
	v_add_f32_e32 v12, v12, v19
	v_add_f32_e32 v11, v11, v22
	v_fma_f32 v23, v29, v33, -v48
	v_fmac_f32_e32 v34, v30, v33
	v_add_f32_e32 v12, v12, v21
	v_add_f32_e32 v11, v11, v32
	;; [unrolled: 1-line block ×4, first 2 shown]
	s_barrier
	s_cbranch_scc1 .LBB662_2
; %bb.3:
	v_cmp_le_i32_e32 vcc, v4, v2
	s_and_saveexec_b64 s[6:7], vcc
	s_cbranch_execz .LBB662_5
.LBB662_4:
	s_load_dword s4, s[4:5], 0x50
	v_lshlrev_b64 v[2:3], 3, v[2:3]
	v_mul_f32_e32 v5, s12, v11
	v_fmac_f32_e32 v5, s13, v12
	s_waitcnt lgkmcnt(0)
	v_mad_i64_i32 v[0:1], s[4:5], s4, v4, 0
	v_mov_b32_e32 v4, s3
	v_lshlrev_b64 v[0:1], 3, v[0:1]
	v_add_co_u32_e32 v0, vcc, s2, v0
	v_addc_co_u32_e32 v1, vcc, v4, v1, vcc
	v_add_co_u32_e32 v0, vcc, v0, v2
	v_addc_co_u32_e32 v1, vcc, v1, v3, vcc
	flat_load_dwordx2 v[2:3], v[0:1]
	v_mul_f32_e32 v4, s13, v11
	v_fma_f32 v4, v12, s12, -v4
	s_waitcnt vmcnt(0) lgkmcnt(0)
	v_mul_f32_e32 v6, s1, v3
	v_mul_f32_e32 v3, s0, v3
	v_fma_f32 v6, v2, s0, -v6
	v_fmac_f32_e32 v3, s1, v2
	v_add_f32_e32 v2, v4, v6
	v_add_f32_e32 v3, v5, v3
	flat_store_dwordx2 v[0:1], v[2:3]
.LBB662_5:
	s_endpgm
.LBB662_6:
	v_mov_b32_e32 v11, 0
	v_mov_b32_e32 v12, 0
	v_cmp_le_i32_e32 vcc, v4, v2
	s_and_saveexec_b64 s[6:7], vcc
	s_cbranch_execnz .LBB662_4
	s_branch .LBB662_5
	.section	.rodata,"a",@progbits
	.p2align	6, 0x0
	.amdhsa_kernel _ZL41rocblas_syrkx_herkx_small_restrict_kernelIi19rocblas_complex_numIfELi16ELb0ELb0ELc78ELc76EKPKS1_KPS1_EviT_T0_PT6_S7_lSA_S7_lS8_PT7_S7_li
		.amdhsa_group_segment_fixed_size 4096
		.amdhsa_private_segment_fixed_size 0
		.amdhsa_kernarg_size 100
		.amdhsa_user_sgpr_count 6
		.amdhsa_user_sgpr_private_segment_buffer 1
		.amdhsa_user_sgpr_dispatch_ptr 0
		.amdhsa_user_sgpr_queue_ptr 0
		.amdhsa_user_sgpr_kernarg_segment_ptr 1
		.amdhsa_user_sgpr_dispatch_id 0
		.amdhsa_user_sgpr_flat_scratch_init 0
		.amdhsa_user_sgpr_private_segment_size 0
		.amdhsa_uses_dynamic_stack 0
		.amdhsa_system_sgpr_private_segment_wavefront_offset 0
		.amdhsa_system_sgpr_workgroup_id_x 1
		.amdhsa_system_sgpr_workgroup_id_y 1
		.amdhsa_system_sgpr_workgroup_id_z 1
		.amdhsa_system_sgpr_workgroup_info 0
		.amdhsa_system_vgpr_workitem_id 1
		.amdhsa_next_free_vgpr 69
		.amdhsa_next_free_sgpr 22
		.amdhsa_reserve_vcc 1
		.amdhsa_reserve_flat_scratch 0
		.amdhsa_float_round_mode_32 0
		.amdhsa_float_round_mode_16_64 0
		.amdhsa_float_denorm_mode_32 3
		.amdhsa_float_denorm_mode_16_64 3
		.amdhsa_dx10_clamp 1
		.amdhsa_ieee_mode 1
		.amdhsa_fp16_overflow 0
		.amdhsa_exception_fp_ieee_invalid_op 0
		.amdhsa_exception_fp_denorm_src 0
		.amdhsa_exception_fp_ieee_div_zero 0
		.amdhsa_exception_fp_ieee_overflow 0
		.amdhsa_exception_fp_ieee_underflow 0
		.amdhsa_exception_fp_ieee_inexact 0
		.amdhsa_exception_int_div_zero 0
	.end_amdhsa_kernel
	.section	.text._ZL41rocblas_syrkx_herkx_small_restrict_kernelIi19rocblas_complex_numIfELi16ELb0ELb0ELc78ELc76EKPKS1_KPS1_EviT_T0_PT6_S7_lSA_S7_lS8_PT7_S7_li,"axG",@progbits,_ZL41rocblas_syrkx_herkx_small_restrict_kernelIi19rocblas_complex_numIfELi16ELb0ELb0ELc78ELc76EKPKS1_KPS1_EviT_T0_PT6_S7_lSA_S7_lS8_PT7_S7_li,comdat
.Lfunc_end662:
	.size	_ZL41rocblas_syrkx_herkx_small_restrict_kernelIi19rocblas_complex_numIfELi16ELb0ELb0ELc78ELc76EKPKS1_KPS1_EviT_T0_PT6_S7_lSA_S7_lS8_PT7_S7_li, .Lfunc_end662-_ZL41rocblas_syrkx_herkx_small_restrict_kernelIi19rocblas_complex_numIfELi16ELb0ELb0ELc78ELc76EKPKS1_KPS1_EviT_T0_PT6_S7_lSA_S7_lS8_PT7_S7_li
                                        ; -- End function
	.set _ZL41rocblas_syrkx_herkx_small_restrict_kernelIi19rocblas_complex_numIfELi16ELb0ELb0ELc78ELc76EKPKS1_KPS1_EviT_T0_PT6_S7_lSA_S7_lS8_PT7_S7_li.num_vgpr, 69
	.set _ZL41rocblas_syrkx_herkx_small_restrict_kernelIi19rocblas_complex_numIfELi16ELb0ELb0ELc78ELc76EKPKS1_KPS1_EviT_T0_PT6_S7_lSA_S7_lS8_PT7_S7_li.num_agpr, 0
	.set _ZL41rocblas_syrkx_herkx_small_restrict_kernelIi19rocblas_complex_numIfELi16ELb0ELb0ELc78ELc76EKPKS1_KPS1_EviT_T0_PT6_S7_lSA_S7_lS8_PT7_S7_li.numbered_sgpr, 22
	.set _ZL41rocblas_syrkx_herkx_small_restrict_kernelIi19rocblas_complex_numIfELi16ELb0ELb0ELc78ELc76EKPKS1_KPS1_EviT_T0_PT6_S7_lSA_S7_lS8_PT7_S7_li.num_named_barrier, 0
	.set _ZL41rocblas_syrkx_herkx_small_restrict_kernelIi19rocblas_complex_numIfELi16ELb0ELb0ELc78ELc76EKPKS1_KPS1_EviT_T0_PT6_S7_lSA_S7_lS8_PT7_S7_li.private_seg_size, 0
	.set _ZL41rocblas_syrkx_herkx_small_restrict_kernelIi19rocblas_complex_numIfELi16ELb0ELb0ELc78ELc76EKPKS1_KPS1_EviT_T0_PT6_S7_lSA_S7_lS8_PT7_S7_li.uses_vcc, 1
	.set _ZL41rocblas_syrkx_herkx_small_restrict_kernelIi19rocblas_complex_numIfELi16ELb0ELb0ELc78ELc76EKPKS1_KPS1_EviT_T0_PT6_S7_lSA_S7_lS8_PT7_S7_li.uses_flat_scratch, 0
	.set _ZL41rocblas_syrkx_herkx_small_restrict_kernelIi19rocblas_complex_numIfELi16ELb0ELb0ELc78ELc76EKPKS1_KPS1_EviT_T0_PT6_S7_lSA_S7_lS8_PT7_S7_li.has_dyn_sized_stack, 0
	.set _ZL41rocblas_syrkx_herkx_small_restrict_kernelIi19rocblas_complex_numIfELi16ELb0ELb0ELc78ELc76EKPKS1_KPS1_EviT_T0_PT6_S7_lSA_S7_lS8_PT7_S7_li.has_recursion, 0
	.set _ZL41rocblas_syrkx_herkx_small_restrict_kernelIi19rocblas_complex_numIfELi16ELb0ELb0ELc78ELc76EKPKS1_KPS1_EviT_T0_PT6_S7_lSA_S7_lS8_PT7_S7_li.has_indirect_call, 0
	.section	.AMDGPU.csdata,"",@progbits
; Kernel info:
; codeLenInByte = 1144
; TotalNumSgprs: 26
; NumVgprs: 69
; ScratchSize: 0
; MemoryBound: 0
; FloatMode: 240
; IeeeMode: 1
; LDSByteSize: 4096 bytes/workgroup (compile time only)
; SGPRBlocks: 3
; VGPRBlocks: 17
; NumSGPRsForWavesPerEU: 26
; NumVGPRsForWavesPerEU: 69
; Occupancy: 3
; WaveLimiterHint : 1
; COMPUTE_PGM_RSRC2:SCRATCH_EN: 0
; COMPUTE_PGM_RSRC2:USER_SGPR: 6
; COMPUTE_PGM_RSRC2:TRAP_HANDLER: 0
; COMPUTE_PGM_RSRC2:TGID_X_EN: 1
; COMPUTE_PGM_RSRC2:TGID_Y_EN: 1
; COMPUTE_PGM_RSRC2:TGID_Z_EN: 1
; COMPUTE_PGM_RSRC2:TIDIG_COMP_CNT: 1
	.section	.text._ZL41rocblas_syrkx_herkx_small_restrict_kernelIi19rocblas_complex_numIfELi16ELb0ELb0ELc84ELc85EKPKS1_KPS1_EviT_T0_PT6_S7_lSA_S7_lS8_PT7_S7_li,"axG",@progbits,_ZL41rocblas_syrkx_herkx_small_restrict_kernelIi19rocblas_complex_numIfELi16ELb0ELb0ELc84ELc85EKPKS1_KPS1_EviT_T0_PT6_S7_lSA_S7_lS8_PT7_S7_li,comdat
	.globl	_ZL41rocblas_syrkx_herkx_small_restrict_kernelIi19rocblas_complex_numIfELi16ELb0ELb0ELc84ELc85EKPKS1_KPS1_EviT_T0_PT6_S7_lSA_S7_lS8_PT7_S7_li ; -- Begin function _ZL41rocblas_syrkx_herkx_small_restrict_kernelIi19rocblas_complex_numIfELi16ELb0ELb0ELc84ELc85EKPKS1_KPS1_EviT_T0_PT6_S7_lSA_S7_lS8_PT7_S7_li
	.p2align	8
	.type	_ZL41rocblas_syrkx_herkx_small_restrict_kernelIi19rocblas_complex_numIfELi16ELb0ELb0ELc84ELc85EKPKS1_KPS1_EviT_T0_PT6_S7_lSA_S7_lS8_PT7_S7_li,@function
_ZL41rocblas_syrkx_herkx_small_restrict_kernelIi19rocblas_complex_numIfELi16ELb0ELb0ELc84ELc85EKPKS1_KPS1_EviT_T0_PT6_S7_lSA_S7_lS8_PT7_S7_li: ; @_ZL41rocblas_syrkx_herkx_small_restrict_kernelIi19rocblas_complex_numIfELi16ELb0ELb0ELc84ELc85EKPKS1_KPS1_EviT_T0_PT6_S7_lSA_S7_lS8_PT7_S7_li
; %bb.0:
	s_load_dwordx4 s[12:15], s[4:5], 0x40
	s_load_dword s10, s[4:5], 0x4
	s_load_dwordx4 s[16:19], s[4:5], 0x8
	s_mov_b32 s9, 0
	s_lshl_b64 s[0:1], s[8:9], 3
	s_waitcnt lgkmcnt(0)
	s_add_u32 s2, s14, s0
	s_addc_u32 s3, s15, s1
	s_load_dwordx2 s[2:3], s[2:3], 0x0
	v_lshl_add_u32 v2, s6, 4, v0
	s_cmp_lt_i32 s10, 1
	v_lshl_add_u32 v5, s7, 4, v1
	s_cbranch_scc1 .LBB663_6
; %bb.1:
	s_load_dwordx2 s[6:7], s[4:5], 0x28
	s_load_dword s8, s[4:5], 0x18
	s_load_dword s11, s[4:5], 0x30
	v_lshlrev_b32_e32 v7, 3, v0
	v_lshlrev_b32_e32 v6, 7, v1
	s_waitcnt lgkmcnt(0)
	s_add_u32 s6, s6, s0
	s_addc_u32 s7, s7, s1
	v_mad_i64_i32 v[3:4], s[14:15], s11, v5, 0
	s_load_dwordx2 s[6:7], s[6:7], 0x0
	v_mad_i64_i32 v[11:12], s[14:15], s8, v2, 0
	v_lshlrev_b64 v[3:4], 3, v[3:4]
	s_add_u32 s0, s18, s0
	s_addc_u32 s1, s19, s1
	v_add_co_u32_e32 v0, vcc, v3, v7
	s_load_dwordx2 s[0:1], s[0:1], 0x0
	v_addc_co_u32_e32 v4, vcc, 0, v4, vcc
	s_waitcnt lgkmcnt(0)
	v_mov_b32_e32 v13, s7
	v_add_co_u32_e32 v3, vcc, s6, v0
	v_lshlrev_b64 v[11:12], 3, v[11:12]
	v_addc_co_u32_e32 v4, vcc, v13, v4, vcc
	v_lshlrev_b32_e32 v0, 3, v1
	v_add_co_u32_e32 v0, vcc, v11, v0
	v_addc_co_u32_e32 v1, vcc, 0, v12, vcc
	v_add_u32_e32 v9, 0x800, v6
	v_mov_b32_e32 v11, s1
	v_add_co_u32_e32 v0, vcc, s0, v0
	v_add_u32_e32 v8, v7, v6
	v_add_u32_e32 v10, v9, v7
	v_mov_b32_e32 v6, 0
	v_addc_co_u32_e32 v1, vcc, v11, v1, vcc
	v_mov_b32_e32 v11, 0
.LBB663_2:                              ; =>This Inner Loop Header: Depth=1
	flat_load_dwordx2 v[12:13], v[0:1]
	s_add_i32 s9, s9, 16
	s_cmp_lt_i32 s9, s10
	s_waitcnt vmcnt(0) lgkmcnt(0)
	ds_write_b64 v8, v[12:13]
	flat_load_dwordx2 v[12:13], v[3:4]
	v_add_co_u32_e32 v3, vcc, 0x80, v3
	s_mov_b64 s[0:1], vcc
	v_add_co_u32_e32 v0, vcc, 0x80, v0
	v_addc_co_u32_e64 v4, s[0:1], 0, v4, s[0:1]
	v_addc_co_u32_e32 v1, vcc, 0, v1, vcc
	s_waitcnt vmcnt(0) lgkmcnt(0)
	ds_write_b64 v10, v[12:13]
	s_waitcnt lgkmcnt(0)
	s_barrier
	ds_read2_b64 v[12:15], v7 offset1:16
	ds_read_b128 v[16:19], v9
	ds_read_b128 v[20:23], v9 offset:16
	ds_read2_b64 v[24:27], v7 offset0:32 offset1:48
	ds_read2_b64 v[28:31], v7 offset0:64 offset1:80
	ds_read_b128 v[32:35], v9 offset:32
	ds_read_b128 v[36:39], v9 offset:48
	ds_read2_b64 v[40:43], v7 offset0:96 offset1:112
	ds_read2_b64 v[44:47], v7 offset0:128 offset1:144
	ds_read_b128 v[48:51], v9 offset:64
	ds_read_b128 v[52:55], v9 offset:80
	s_waitcnt lgkmcnt(9)
	v_mul_f32_e32 v56, v17, v13
	v_mul_f32_e32 v57, v16, v13
	v_mul_f32_e32 v13, v19, v15
	v_mul_f32_e32 v58, v18, v15
	v_fma_f32 v56, v16, v12, -v56
	v_fmac_f32_e32 v57, v17, v12
	v_fma_f32 v59, v18, v14, -v13
	v_fmac_f32_e32 v58, v19, v14
	s_waitcnt lgkmcnt(7)
	v_mul_f32_e32 v16, v21, v25
	v_mul_f32_e32 v60, v20, v25
	v_add_f32_e32 v11, v11, v56
	v_add_f32_e32 v6, v6, v57
	v_mul_f32_e32 v17, v23, v27
	v_mul_f32_e32 v61, v22, v27
	v_fma_f32 v62, v20, v24, -v16
	v_fmac_f32_e32 v60, v21, v24
	v_add_f32_e32 v11, v11, v59
	v_add_f32_e32 v6, v6, v58
	v_fma_f32 v63, v22, v26, -v17
	v_fmac_f32_e32 v61, v23, v26
	s_waitcnt lgkmcnt(5)
	v_mul_f32_e32 v20, v33, v29
	v_mul_f32_e32 v64, v32, v29
	v_add_f32_e32 v11, v11, v62
	v_add_f32_e32 v6, v6, v60
	ds_read2_b64 v[12:15], v7 offset0:160 offset1:176
	v_mul_f32_e32 v21, v35, v31
	v_mul_f32_e32 v65, v34, v31
	v_fma_f32 v32, v32, v28, -v20
	v_fmac_f32_e32 v64, v33, v28
	v_add_f32_e32 v11, v11, v63
	v_add_f32_e32 v6, v6, v61
	v_fma_f32 v33, v34, v30, -v21
	v_fmac_f32_e32 v65, v35, v30
	s_waitcnt lgkmcnt(4)
	v_mul_f32_e32 v24, v37, v41
	v_mul_f32_e32 v34, v36, v41
	v_add_f32_e32 v11, v11, v32
	v_add_f32_e32 v6, v6, v64
	ds_read2_b64 v[16:19], v7 offset0:192 offset1:208
	ds_read_b128 v[20:23], v9 offset:96
	v_mul_f32_e32 v25, v39, v43
	v_mul_f32_e32 v35, v38, v43
	v_fma_f32 v36, v36, v40, -v24
	v_fmac_f32_e32 v34, v37, v40
	v_add_f32_e32 v11, v11, v33
	v_add_f32_e32 v6, v6, v65
	v_fma_f32 v37, v38, v42, -v25
	v_fmac_f32_e32 v35, v39, v42
	s_waitcnt lgkmcnt(4)
	v_mul_f32_e32 v28, v49, v45
	v_mul_f32_e32 v38, v48, v45
	;; [unrolled: 1-line block ×3, first 2 shown]
	v_add_f32_e32 v11, v11, v36
	v_add_f32_e32 v6, v6, v34
	ds_read_b128 v[24:27], v9 offset:112
	v_mul_f32_e32 v39, v50, v47
	v_fma_f32 v40, v48, v44, -v28
	v_fmac_f32_e32 v38, v49, v44
	v_fma_f32 v41, v50, v46, -v29
	ds_read2_b64 v[28:31], v7 offset0:224 offset1:240
	v_add_f32_e32 v11, v11, v37
	v_add_f32_e32 v6, v6, v35
	v_fmac_f32_e32 v39, v51, v46
	s_waitcnt lgkmcnt(4)
	v_mul_f32_e32 v42, v53, v13
	v_mul_f32_e32 v13, v52, v13
	v_add_f32_e32 v11, v11, v40
	v_add_f32_e32 v6, v6, v38
	v_mul_f32_e32 v43, v55, v15
	v_mul_f32_e32 v15, v54, v15
	v_fma_f32 v42, v52, v12, -v42
	v_fmac_f32_e32 v13, v53, v12
	v_add_f32_e32 v11, v11, v41
	v_add_f32_e32 v6, v6, v39
	s_waitcnt lgkmcnt(2)
	v_mul_f32_e32 v44, v21, v17
	v_mul_f32_e32 v17, v20, v17
	v_fma_f32 v12, v54, v14, -v43
	v_fmac_f32_e32 v15, v55, v14
	v_add_f32_e32 v11, v11, v42
	v_add_f32_e32 v6, v6, v13
	v_mul_f32_e32 v14, v23, v19
	v_mul_f32_e32 v19, v22, v19
	v_fma_f32 v20, v20, v16, -v44
	v_fmac_f32_e32 v17, v21, v16
	v_add_f32_e32 v11, v11, v12
	v_add_f32_e32 v6, v6, v15
	s_waitcnt lgkmcnt(0)
	v_mul_f32_e32 v43, v25, v29
	v_mul_f32_e32 v29, v24, v29
	v_fma_f32 v14, v22, v18, -v14
	v_fmac_f32_e32 v19, v23, v18
	v_add_f32_e32 v11, v11, v20
	v_add_f32_e32 v6, v6, v17
	v_mul_f32_e32 v45, v27, v31
	v_mul_f32_e32 v31, v26, v31
	v_fma_f32 v16, v24, v28, -v43
	v_fmac_f32_e32 v29, v25, v28
	v_add_f32_e32 v11, v11, v14
	v_add_f32_e32 v6, v6, v19
	v_fma_f32 v18, v26, v30, -v45
	v_fmac_f32_e32 v31, v27, v30
	v_add_f32_e32 v11, v11, v16
	v_add_f32_e32 v6, v6, v29
	;; [unrolled: 1-line block ×4, first 2 shown]
	s_barrier
	s_cbranch_scc1 .LBB663_2
; %bb.3:
	v_cmp_le_i32_e32 vcc, v2, v5
	s_and_saveexec_b64 s[0:1], vcc
	s_cbranch_execz .LBB663_5
.LBB663_4:
	s_load_dword s0, s[4:5], 0x50
	v_ashrrev_i32_e32 v3, 31, v2
	s_waitcnt lgkmcnt(0)
	v_mov_b32_e32 v4, s3
	v_lshlrev_b64 v[2:3], 3, v[2:3]
	v_mad_i64_i32 v[0:1], s[0:1], s0, v5, 0
	v_mul_f32_e32 v5, s16, v6
	v_fmac_f32_e32 v5, s17, v11
	v_lshlrev_b64 v[0:1], 3, v[0:1]
	v_add_co_u32_e32 v0, vcc, s2, v0
	v_addc_co_u32_e32 v1, vcc, v4, v1, vcc
	v_add_co_u32_e32 v0, vcc, v0, v2
	v_addc_co_u32_e32 v1, vcc, v1, v3, vcc
	flat_load_dwordx2 v[2:3], v[0:1]
	v_mul_f32_e32 v4, s17, v6
	v_fma_f32 v4, v11, s16, -v4
	s_waitcnt vmcnt(0) lgkmcnt(0)
	v_mul_f32_e32 v6, s13, v3
	v_mul_f32_e32 v3, s12, v3
	v_fma_f32 v6, v2, s12, -v6
	v_fmac_f32_e32 v3, s13, v2
	v_add_f32_e32 v2, v4, v6
	v_add_f32_e32 v3, v5, v3
	flat_store_dwordx2 v[0:1], v[2:3]
.LBB663_5:
	s_endpgm
.LBB663_6:
	v_mov_b32_e32 v6, 0
	v_mov_b32_e32 v11, 0
	v_cmp_le_i32_e32 vcc, v2, v5
	s_and_saveexec_b64 s[0:1], vcc
	s_cbranch_execnz .LBB663_4
	s_branch .LBB663_5
	.section	.rodata,"a",@progbits
	.p2align	6, 0x0
	.amdhsa_kernel _ZL41rocblas_syrkx_herkx_small_restrict_kernelIi19rocblas_complex_numIfELi16ELb0ELb0ELc84ELc85EKPKS1_KPS1_EviT_T0_PT6_S7_lSA_S7_lS8_PT7_S7_li
		.amdhsa_group_segment_fixed_size 4096
		.amdhsa_private_segment_fixed_size 0
		.amdhsa_kernarg_size 100
		.amdhsa_user_sgpr_count 6
		.amdhsa_user_sgpr_private_segment_buffer 1
		.amdhsa_user_sgpr_dispatch_ptr 0
		.amdhsa_user_sgpr_queue_ptr 0
		.amdhsa_user_sgpr_kernarg_segment_ptr 1
		.amdhsa_user_sgpr_dispatch_id 0
		.amdhsa_user_sgpr_flat_scratch_init 0
		.amdhsa_user_sgpr_private_segment_size 0
		.amdhsa_uses_dynamic_stack 0
		.amdhsa_system_sgpr_private_segment_wavefront_offset 0
		.amdhsa_system_sgpr_workgroup_id_x 1
		.amdhsa_system_sgpr_workgroup_id_y 1
		.amdhsa_system_sgpr_workgroup_id_z 1
		.amdhsa_system_sgpr_workgroup_info 0
		.amdhsa_system_vgpr_workitem_id 1
		.amdhsa_next_free_vgpr 66
		.amdhsa_next_free_sgpr 20
		.amdhsa_reserve_vcc 1
		.amdhsa_reserve_flat_scratch 0
		.amdhsa_float_round_mode_32 0
		.amdhsa_float_round_mode_16_64 0
		.amdhsa_float_denorm_mode_32 3
		.amdhsa_float_denorm_mode_16_64 3
		.amdhsa_dx10_clamp 1
		.amdhsa_ieee_mode 1
		.amdhsa_fp16_overflow 0
		.amdhsa_exception_fp_ieee_invalid_op 0
		.amdhsa_exception_fp_denorm_src 0
		.amdhsa_exception_fp_ieee_div_zero 0
		.amdhsa_exception_fp_ieee_overflow 0
		.amdhsa_exception_fp_ieee_underflow 0
		.amdhsa_exception_fp_ieee_inexact 0
		.amdhsa_exception_int_div_zero 0
	.end_amdhsa_kernel
	.section	.text._ZL41rocblas_syrkx_herkx_small_restrict_kernelIi19rocblas_complex_numIfELi16ELb0ELb0ELc84ELc85EKPKS1_KPS1_EviT_T0_PT6_S7_lSA_S7_lS8_PT7_S7_li,"axG",@progbits,_ZL41rocblas_syrkx_herkx_small_restrict_kernelIi19rocblas_complex_numIfELi16ELb0ELb0ELc84ELc85EKPKS1_KPS1_EviT_T0_PT6_S7_lSA_S7_lS8_PT7_S7_li,comdat
.Lfunc_end663:
	.size	_ZL41rocblas_syrkx_herkx_small_restrict_kernelIi19rocblas_complex_numIfELi16ELb0ELb0ELc84ELc85EKPKS1_KPS1_EviT_T0_PT6_S7_lSA_S7_lS8_PT7_S7_li, .Lfunc_end663-_ZL41rocblas_syrkx_herkx_small_restrict_kernelIi19rocblas_complex_numIfELi16ELb0ELb0ELc84ELc85EKPKS1_KPS1_EviT_T0_PT6_S7_lSA_S7_lS8_PT7_S7_li
                                        ; -- End function
	.set _ZL41rocblas_syrkx_herkx_small_restrict_kernelIi19rocblas_complex_numIfELi16ELb0ELb0ELc84ELc85EKPKS1_KPS1_EviT_T0_PT6_S7_lSA_S7_lS8_PT7_S7_li.num_vgpr, 66
	.set _ZL41rocblas_syrkx_herkx_small_restrict_kernelIi19rocblas_complex_numIfELi16ELb0ELb0ELc84ELc85EKPKS1_KPS1_EviT_T0_PT6_S7_lSA_S7_lS8_PT7_S7_li.num_agpr, 0
	.set _ZL41rocblas_syrkx_herkx_small_restrict_kernelIi19rocblas_complex_numIfELi16ELb0ELb0ELc84ELc85EKPKS1_KPS1_EviT_T0_PT6_S7_lSA_S7_lS8_PT7_S7_li.numbered_sgpr, 20
	.set _ZL41rocblas_syrkx_herkx_small_restrict_kernelIi19rocblas_complex_numIfELi16ELb0ELb0ELc84ELc85EKPKS1_KPS1_EviT_T0_PT6_S7_lSA_S7_lS8_PT7_S7_li.num_named_barrier, 0
	.set _ZL41rocblas_syrkx_herkx_small_restrict_kernelIi19rocblas_complex_numIfELi16ELb0ELb0ELc84ELc85EKPKS1_KPS1_EviT_T0_PT6_S7_lSA_S7_lS8_PT7_S7_li.private_seg_size, 0
	.set _ZL41rocblas_syrkx_herkx_small_restrict_kernelIi19rocblas_complex_numIfELi16ELb0ELb0ELc84ELc85EKPKS1_KPS1_EviT_T0_PT6_S7_lSA_S7_lS8_PT7_S7_li.uses_vcc, 1
	.set _ZL41rocblas_syrkx_herkx_small_restrict_kernelIi19rocblas_complex_numIfELi16ELb0ELb0ELc84ELc85EKPKS1_KPS1_EviT_T0_PT6_S7_lSA_S7_lS8_PT7_S7_li.uses_flat_scratch, 0
	.set _ZL41rocblas_syrkx_herkx_small_restrict_kernelIi19rocblas_complex_numIfELi16ELb0ELb0ELc84ELc85EKPKS1_KPS1_EviT_T0_PT6_S7_lSA_S7_lS8_PT7_S7_li.has_dyn_sized_stack, 0
	.set _ZL41rocblas_syrkx_herkx_small_restrict_kernelIi19rocblas_complex_numIfELi16ELb0ELb0ELc84ELc85EKPKS1_KPS1_EviT_T0_PT6_S7_lSA_S7_lS8_PT7_S7_li.has_recursion, 0
	.set _ZL41rocblas_syrkx_herkx_small_restrict_kernelIi19rocblas_complex_numIfELi16ELb0ELb0ELc84ELc85EKPKS1_KPS1_EviT_T0_PT6_S7_lSA_S7_lS8_PT7_S7_li.has_indirect_call, 0
	.section	.AMDGPU.csdata,"",@progbits
; Kernel info:
; codeLenInByte = 1120
; TotalNumSgprs: 24
; NumVgprs: 66
; ScratchSize: 0
; MemoryBound: 0
; FloatMode: 240
; IeeeMode: 1
; LDSByteSize: 4096 bytes/workgroup (compile time only)
; SGPRBlocks: 2
; VGPRBlocks: 16
; NumSGPRsForWavesPerEU: 24
; NumVGPRsForWavesPerEU: 66
; Occupancy: 3
; WaveLimiterHint : 1
; COMPUTE_PGM_RSRC2:SCRATCH_EN: 0
; COMPUTE_PGM_RSRC2:USER_SGPR: 6
; COMPUTE_PGM_RSRC2:TRAP_HANDLER: 0
; COMPUTE_PGM_RSRC2:TGID_X_EN: 1
; COMPUTE_PGM_RSRC2:TGID_Y_EN: 1
; COMPUTE_PGM_RSRC2:TGID_Z_EN: 1
; COMPUTE_PGM_RSRC2:TIDIG_COMP_CNT: 1
	.section	.text._ZL41rocblas_syrkx_herkx_small_restrict_kernelIi19rocblas_complex_numIfELi16ELb0ELb0ELc67ELc85EKPKS1_KPS1_EviT_T0_PT6_S7_lSA_S7_lS8_PT7_S7_li,"axG",@progbits,_ZL41rocblas_syrkx_herkx_small_restrict_kernelIi19rocblas_complex_numIfELi16ELb0ELb0ELc67ELc85EKPKS1_KPS1_EviT_T0_PT6_S7_lSA_S7_lS8_PT7_S7_li,comdat
	.globl	_ZL41rocblas_syrkx_herkx_small_restrict_kernelIi19rocblas_complex_numIfELi16ELb0ELb0ELc67ELc85EKPKS1_KPS1_EviT_T0_PT6_S7_lSA_S7_lS8_PT7_S7_li ; -- Begin function _ZL41rocblas_syrkx_herkx_small_restrict_kernelIi19rocblas_complex_numIfELi16ELb0ELb0ELc67ELc85EKPKS1_KPS1_EviT_T0_PT6_S7_lSA_S7_lS8_PT7_S7_li
	.p2align	8
	.type	_ZL41rocblas_syrkx_herkx_small_restrict_kernelIi19rocblas_complex_numIfELi16ELb0ELb0ELc67ELc85EKPKS1_KPS1_EviT_T0_PT6_S7_lSA_S7_lS8_PT7_S7_li,@function
_ZL41rocblas_syrkx_herkx_small_restrict_kernelIi19rocblas_complex_numIfELi16ELb0ELb0ELc67ELc85EKPKS1_KPS1_EviT_T0_PT6_S7_lSA_S7_lS8_PT7_S7_li: ; @_ZL41rocblas_syrkx_herkx_small_restrict_kernelIi19rocblas_complex_numIfELi16ELb0ELb0ELc67ELc85EKPKS1_KPS1_EviT_T0_PT6_S7_lSA_S7_lS8_PT7_S7_li
; %bb.0:
	s_load_dwordx4 s[12:15], s[4:5], 0x40
	s_load_dword s10, s[4:5], 0x4
	s_load_dwordx4 s[16:19], s[4:5], 0x8
	s_mov_b32 s9, 0
	s_lshl_b64 s[0:1], s[8:9], 3
	s_waitcnt lgkmcnt(0)
	s_add_u32 s2, s14, s0
	s_addc_u32 s3, s15, s1
	s_load_dwordx2 s[2:3], s[2:3], 0x0
	v_lshl_add_u32 v2, s6, 4, v0
	s_cmp_lt_i32 s10, 1
	v_lshl_add_u32 v5, s7, 4, v1
	s_cbranch_scc1 .LBB664_6
; %bb.1:
	s_load_dwordx2 s[6:7], s[4:5], 0x28
	s_load_dword s8, s[4:5], 0x18
	s_load_dword s11, s[4:5], 0x30
	v_lshlrev_b32_e32 v7, 3, v0
	v_lshlrev_b32_e32 v6, 7, v1
	s_waitcnt lgkmcnt(0)
	s_add_u32 s6, s6, s0
	s_addc_u32 s7, s7, s1
	v_mad_i64_i32 v[3:4], s[14:15], s11, v5, 0
	s_load_dwordx2 s[6:7], s[6:7], 0x0
	v_mad_i64_i32 v[11:12], s[14:15], s8, v2, 0
	v_lshlrev_b64 v[3:4], 3, v[3:4]
	s_add_u32 s0, s18, s0
	s_addc_u32 s1, s19, s1
	v_add_co_u32_e32 v0, vcc, v3, v7
	s_load_dwordx2 s[0:1], s[0:1], 0x0
	v_addc_co_u32_e32 v4, vcc, 0, v4, vcc
	s_waitcnt lgkmcnt(0)
	v_mov_b32_e32 v13, s7
	v_add_co_u32_e32 v3, vcc, s6, v0
	v_lshlrev_b64 v[11:12], 3, v[11:12]
	v_addc_co_u32_e32 v4, vcc, v13, v4, vcc
	v_lshlrev_b32_e32 v0, 3, v1
	v_add_co_u32_e32 v0, vcc, v11, v0
	v_addc_co_u32_e32 v1, vcc, 0, v12, vcc
	v_add_u32_e32 v9, 0x800, v6
	v_mov_b32_e32 v11, s1
	v_add_co_u32_e32 v0, vcc, s0, v0
	v_add_u32_e32 v8, v7, v6
	v_add_u32_e32 v10, v9, v7
	v_mov_b32_e32 v6, 0
	v_addc_co_u32_e32 v1, vcc, v11, v1, vcc
	v_mov_b32_e32 v11, 0
.LBB664_2:                              ; =>This Inner Loop Header: Depth=1
	flat_load_dwordx2 v[12:13], v[0:1]
	s_add_i32 s9, s9, 16
	s_cmp_lt_i32 s9, s10
	s_waitcnt vmcnt(0) lgkmcnt(0)
	ds_write_b64 v8, v[12:13]
	flat_load_dwordx2 v[12:13], v[3:4]
	v_add_co_u32_e32 v3, vcc, 0x80, v3
	s_mov_b64 s[0:1], vcc
	v_add_co_u32_e32 v0, vcc, 0x80, v0
	v_addc_co_u32_e64 v4, s[0:1], 0, v4, s[0:1]
	v_addc_co_u32_e32 v1, vcc, 0, v1, vcc
	s_waitcnt vmcnt(0) lgkmcnt(0)
	ds_write_b64 v10, v[12:13]
	s_waitcnt lgkmcnt(0)
	s_barrier
	ds_read2_b64 v[12:15], v7 offset1:16
	ds_read_b128 v[16:19], v9
	ds_read_b128 v[20:23], v9 offset:16
	ds_read2_b64 v[24:27], v7 offset0:32 offset1:48
	ds_read2_b64 v[28:31], v7 offset0:64 offset1:80
	ds_read_b128 v[32:35], v9 offset:32
	ds_read_b128 v[36:39], v9 offset:48
	ds_read2_b64 v[40:43], v7 offset0:96 offset1:112
	ds_read2_b64 v[44:47], v7 offset0:128 offset1:144
	ds_read_b128 v[48:51], v9 offset:64
	ds_read_b128 v[52:55], v9 offset:80
	s_waitcnt lgkmcnt(9)
	v_mul_f32_e32 v56, v17, v13
	v_mul_f32_e32 v57, v16, v13
	;; [unrolled: 1-line block ×4, first 2 shown]
	v_fma_f32 v56, v16, v12, -v56
	v_fmac_f32_e32 v57, v17, v12
	v_fma_f32 v59, v18, v14, -v13
	v_fmac_f32_e32 v58, v19, v14
	s_waitcnt lgkmcnt(7)
	v_mul_f32_e32 v16, v21, v25
	v_mul_f32_e32 v60, v20, v25
	v_add_f32_e32 v11, v11, v56
	v_add_f32_e32 v6, v6, v57
	v_mul_f32_e32 v17, v23, v27
	v_mul_f32_e32 v61, v22, v27
	v_fma_f32 v62, v20, v24, -v16
	v_fmac_f32_e32 v60, v21, v24
	v_add_f32_e32 v11, v11, v59
	v_add_f32_e32 v6, v6, v58
	v_fma_f32 v63, v22, v26, -v17
	v_fmac_f32_e32 v61, v23, v26
	s_waitcnt lgkmcnt(5)
	v_mul_f32_e32 v20, v33, v29
	v_mul_f32_e32 v64, v32, v29
	v_add_f32_e32 v11, v11, v62
	v_add_f32_e32 v6, v6, v60
	ds_read2_b64 v[12:15], v7 offset0:160 offset1:176
	v_mul_f32_e32 v21, v35, v31
	v_mul_f32_e32 v65, v34, v31
	v_fma_f32 v32, v32, v28, -v20
	v_fmac_f32_e32 v64, v33, v28
	v_add_f32_e32 v11, v11, v63
	v_add_f32_e32 v6, v6, v61
	v_fma_f32 v33, v34, v30, -v21
	v_fmac_f32_e32 v65, v35, v30
	s_waitcnt lgkmcnt(4)
	v_mul_f32_e32 v24, v37, v41
	v_mul_f32_e32 v34, v36, v41
	v_add_f32_e32 v11, v11, v32
	v_add_f32_e32 v6, v6, v64
	ds_read2_b64 v[16:19], v7 offset0:192 offset1:208
	ds_read_b128 v[20:23], v9 offset:96
	v_mul_f32_e32 v25, v39, v43
	v_mul_f32_e32 v35, v38, v43
	v_fma_f32 v36, v36, v40, -v24
	v_fmac_f32_e32 v34, v37, v40
	v_add_f32_e32 v11, v11, v33
	v_add_f32_e32 v6, v6, v65
	v_fma_f32 v37, v38, v42, -v25
	v_fmac_f32_e32 v35, v39, v42
	s_waitcnt lgkmcnt(4)
	v_mul_f32_e32 v28, v49, v45
	v_mul_f32_e32 v38, v48, v45
	;; [unrolled: 1-line block ×3, first 2 shown]
	v_add_f32_e32 v11, v11, v36
	v_add_f32_e32 v6, v6, v34
	ds_read_b128 v[24:27], v9 offset:112
	v_mul_f32_e32 v39, v50, v47
	v_fma_f32 v40, v48, v44, -v28
	v_fmac_f32_e32 v38, v49, v44
	v_fma_f32 v41, v50, v46, -v29
	ds_read2_b64 v[28:31], v7 offset0:224 offset1:240
	v_add_f32_e32 v11, v11, v37
	v_add_f32_e32 v6, v6, v35
	v_fmac_f32_e32 v39, v51, v46
	s_waitcnt lgkmcnt(4)
	v_mul_f32_e32 v42, v53, v13
	v_mul_f32_e32 v13, v52, v13
	v_add_f32_e32 v11, v11, v40
	v_add_f32_e32 v6, v6, v38
	v_mul_f32_e32 v43, v55, v15
	v_mul_f32_e32 v15, v54, v15
	v_fma_f32 v42, v52, v12, -v42
	v_fmac_f32_e32 v13, v53, v12
	v_add_f32_e32 v11, v11, v41
	v_add_f32_e32 v6, v6, v39
	s_waitcnt lgkmcnt(2)
	v_mul_f32_e32 v44, v21, v17
	v_mul_f32_e32 v17, v20, v17
	v_fma_f32 v12, v54, v14, -v43
	v_fmac_f32_e32 v15, v55, v14
	v_add_f32_e32 v11, v11, v42
	v_add_f32_e32 v6, v6, v13
	v_mul_f32_e32 v14, v23, v19
	v_mul_f32_e32 v19, v22, v19
	v_fma_f32 v20, v20, v16, -v44
	v_fmac_f32_e32 v17, v21, v16
	v_add_f32_e32 v11, v11, v12
	v_add_f32_e32 v6, v6, v15
	s_waitcnt lgkmcnt(0)
	v_mul_f32_e32 v43, v25, v29
	v_mul_f32_e32 v29, v24, v29
	v_fma_f32 v14, v22, v18, -v14
	v_fmac_f32_e32 v19, v23, v18
	v_add_f32_e32 v11, v11, v20
	v_add_f32_e32 v6, v6, v17
	v_mul_f32_e32 v45, v27, v31
	v_mul_f32_e32 v31, v26, v31
	v_fma_f32 v16, v24, v28, -v43
	v_fmac_f32_e32 v29, v25, v28
	v_add_f32_e32 v11, v11, v14
	v_add_f32_e32 v6, v6, v19
	v_fma_f32 v18, v26, v30, -v45
	v_fmac_f32_e32 v31, v27, v30
	v_add_f32_e32 v11, v11, v16
	v_add_f32_e32 v6, v6, v29
	;; [unrolled: 1-line block ×4, first 2 shown]
	s_barrier
	s_cbranch_scc1 .LBB664_2
; %bb.3:
	v_cmp_le_i32_e32 vcc, v2, v5
	s_and_saveexec_b64 s[0:1], vcc
	s_cbranch_execz .LBB664_5
.LBB664_4:
	s_load_dword s0, s[4:5], 0x50
	v_ashrrev_i32_e32 v3, 31, v2
	s_waitcnt lgkmcnt(0)
	v_mov_b32_e32 v4, s3
	v_lshlrev_b64 v[2:3], 3, v[2:3]
	v_mad_i64_i32 v[0:1], s[0:1], s0, v5, 0
	v_mul_f32_e32 v5, s16, v6
	v_fmac_f32_e32 v5, s17, v11
	v_lshlrev_b64 v[0:1], 3, v[0:1]
	v_add_co_u32_e32 v0, vcc, s2, v0
	v_addc_co_u32_e32 v1, vcc, v4, v1, vcc
	v_add_co_u32_e32 v0, vcc, v0, v2
	v_addc_co_u32_e32 v1, vcc, v1, v3, vcc
	flat_load_dwordx2 v[2:3], v[0:1]
	v_mul_f32_e32 v4, s17, v6
	v_fma_f32 v4, v11, s16, -v4
	s_waitcnt vmcnt(0) lgkmcnt(0)
	v_mul_f32_e32 v6, s13, v3
	v_mul_f32_e32 v3, s12, v3
	v_fma_f32 v6, v2, s12, -v6
	v_fmac_f32_e32 v3, s13, v2
	v_add_f32_e32 v2, v4, v6
	v_add_f32_e32 v3, v5, v3
	flat_store_dwordx2 v[0:1], v[2:3]
.LBB664_5:
	s_endpgm
.LBB664_6:
	v_mov_b32_e32 v6, 0
	v_mov_b32_e32 v11, 0
	v_cmp_le_i32_e32 vcc, v2, v5
	s_and_saveexec_b64 s[0:1], vcc
	s_cbranch_execnz .LBB664_4
	s_branch .LBB664_5
	.section	.rodata,"a",@progbits
	.p2align	6, 0x0
	.amdhsa_kernel _ZL41rocblas_syrkx_herkx_small_restrict_kernelIi19rocblas_complex_numIfELi16ELb0ELb0ELc67ELc85EKPKS1_KPS1_EviT_T0_PT6_S7_lSA_S7_lS8_PT7_S7_li
		.amdhsa_group_segment_fixed_size 4096
		.amdhsa_private_segment_fixed_size 0
		.amdhsa_kernarg_size 100
		.amdhsa_user_sgpr_count 6
		.amdhsa_user_sgpr_private_segment_buffer 1
		.amdhsa_user_sgpr_dispatch_ptr 0
		.amdhsa_user_sgpr_queue_ptr 0
		.amdhsa_user_sgpr_kernarg_segment_ptr 1
		.amdhsa_user_sgpr_dispatch_id 0
		.amdhsa_user_sgpr_flat_scratch_init 0
		.amdhsa_user_sgpr_private_segment_size 0
		.amdhsa_uses_dynamic_stack 0
		.amdhsa_system_sgpr_private_segment_wavefront_offset 0
		.amdhsa_system_sgpr_workgroup_id_x 1
		.amdhsa_system_sgpr_workgroup_id_y 1
		.amdhsa_system_sgpr_workgroup_id_z 1
		.amdhsa_system_sgpr_workgroup_info 0
		.amdhsa_system_vgpr_workitem_id 1
		.amdhsa_next_free_vgpr 66
		.amdhsa_next_free_sgpr 20
		.amdhsa_reserve_vcc 1
		.amdhsa_reserve_flat_scratch 0
		.amdhsa_float_round_mode_32 0
		.amdhsa_float_round_mode_16_64 0
		.amdhsa_float_denorm_mode_32 3
		.amdhsa_float_denorm_mode_16_64 3
		.amdhsa_dx10_clamp 1
		.amdhsa_ieee_mode 1
		.amdhsa_fp16_overflow 0
		.amdhsa_exception_fp_ieee_invalid_op 0
		.amdhsa_exception_fp_denorm_src 0
		.amdhsa_exception_fp_ieee_div_zero 0
		.amdhsa_exception_fp_ieee_overflow 0
		.amdhsa_exception_fp_ieee_underflow 0
		.amdhsa_exception_fp_ieee_inexact 0
		.amdhsa_exception_int_div_zero 0
	.end_amdhsa_kernel
	.section	.text._ZL41rocblas_syrkx_herkx_small_restrict_kernelIi19rocblas_complex_numIfELi16ELb0ELb0ELc67ELc85EKPKS1_KPS1_EviT_T0_PT6_S7_lSA_S7_lS8_PT7_S7_li,"axG",@progbits,_ZL41rocblas_syrkx_herkx_small_restrict_kernelIi19rocblas_complex_numIfELi16ELb0ELb0ELc67ELc85EKPKS1_KPS1_EviT_T0_PT6_S7_lSA_S7_lS8_PT7_S7_li,comdat
.Lfunc_end664:
	.size	_ZL41rocblas_syrkx_herkx_small_restrict_kernelIi19rocblas_complex_numIfELi16ELb0ELb0ELc67ELc85EKPKS1_KPS1_EviT_T0_PT6_S7_lSA_S7_lS8_PT7_S7_li, .Lfunc_end664-_ZL41rocblas_syrkx_herkx_small_restrict_kernelIi19rocblas_complex_numIfELi16ELb0ELb0ELc67ELc85EKPKS1_KPS1_EviT_T0_PT6_S7_lSA_S7_lS8_PT7_S7_li
                                        ; -- End function
	.set _ZL41rocblas_syrkx_herkx_small_restrict_kernelIi19rocblas_complex_numIfELi16ELb0ELb0ELc67ELc85EKPKS1_KPS1_EviT_T0_PT6_S7_lSA_S7_lS8_PT7_S7_li.num_vgpr, 66
	.set _ZL41rocblas_syrkx_herkx_small_restrict_kernelIi19rocblas_complex_numIfELi16ELb0ELb0ELc67ELc85EKPKS1_KPS1_EviT_T0_PT6_S7_lSA_S7_lS8_PT7_S7_li.num_agpr, 0
	.set _ZL41rocblas_syrkx_herkx_small_restrict_kernelIi19rocblas_complex_numIfELi16ELb0ELb0ELc67ELc85EKPKS1_KPS1_EviT_T0_PT6_S7_lSA_S7_lS8_PT7_S7_li.numbered_sgpr, 20
	.set _ZL41rocblas_syrkx_herkx_small_restrict_kernelIi19rocblas_complex_numIfELi16ELb0ELb0ELc67ELc85EKPKS1_KPS1_EviT_T0_PT6_S7_lSA_S7_lS8_PT7_S7_li.num_named_barrier, 0
	.set _ZL41rocblas_syrkx_herkx_small_restrict_kernelIi19rocblas_complex_numIfELi16ELb0ELb0ELc67ELc85EKPKS1_KPS1_EviT_T0_PT6_S7_lSA_S7_lS8_PT7_S7_li.private_seg_size, 0
	.set _ZL41rocblas_syrkx_herkx_small_restrict_kernelIi19rocblas_complex_numIfELi16ELb0ELb0ELc67ELc85EKPKS1_KPS1_EviT_T0_PT6_S7_lSA_S7_lS8_PT7_S7_li.uses_vcc, 1
	.set _ZL41rocblas_syrkx_herkx_small_restrict_kernelIi19rocblas_complex_numIfELi16ELb0ELb0ELc67ELc85EKPKS1_KPS1_EviT_T0_PT6_S7_lSA_S7_lS8_PT7_S7_li.uses_flat_scratch, 0
	.set _ZL41rocblas_syrkx_herkx_small_restrict_kernelIi19rocblas_complex_numIfELi16ELb0ELb0ELc67ELc85EKPKS1_KPS1_EviT_T0_PT6_S7_lSA_S7_lS8_PT7_S7_li.has_dyn_sized_stack, 0
	.set _ZL41rocblas_syrkx_herkx_small_restrict_kernelIi19rocblas_complex_numIfELi16ELb0ELb0ELc67ELc85EKPKS1_KPS1_EviT_T0_PT6_S7_lSA_S7_lS8_PT7_S7_li.has_recursion, 0
	.set _ZL41rocblas_syrkx_herkx_small_restrict_kernelIi19rocblas_complex_numIfELi16ELb0ELb0ELc67ELc85EKPKS1_KPS1_EviT_T0_PT6_S7_lSA_S7_lS8_PT7_S7_li.has_indirect_call, 0
	.section	.AMDGPU.csdata,"",@progbits
; Kernel info:
; codeLenInByte = 1120
; TotalNumSgprs: 24
; NumVgprs: 66
; ScratchSize: 0
; MemoryBound: 0
; FloatMode: 240
; IeeeMode: 1
; LDSByteSize: 4096 bytes/workgroup (compile time only)
; SGPRBlocks: 2
; VGPRBlocks: 16
; NumSGPRsForWavesPerEU: 24
; NumVGPRsForWavesPerEU: 66
; Occupancy: 3
; WaveLimiterHint : 1
; COMPUTE_PGM_RSRC2:SCRATCH_EN: 0
; COMPUTE_PGM_RSRC2:USER_SGPR: 6
; COMPUTE_PGM_RSRC2:TRAP_HANDLER: 0
; COMPUTE_PGM_RSRC2:TGID_X_EN: 1
; COMPUTE_PGM_RSRC2:TGID_Y_EN: 1
; COMPUTE_PGM_RSRC2:TGID_Z_EN: 1
; COMPUTE_PGM_RSRC2:TIDIG_COMP_CNT: 1
	.section	.text._ZL41rocblas_syrkx_herkx_small_restrict_kernelIi19rocblas_complex_numIfELi16ELb0ELb0ELc78ELc85EKPKS1_KPS1_EviT_T0_PT6_S7_lSA_S7_lS8_PT7_S7_li,"axG",@progbits,_ZL41rocblas_syrkx_herkx_small_restrict_kernelIi19rocblas_complex_numIfELi16ELb0ELb0ELc78ELc85EKPKS1_KPS1_EviT_T0_PT6_S7_lSA_S7_lS8_PT7_S7_li,comdat
	.globl	_ZL41rocblas_syrkx_herkx_small_restrict_kernelIi19rocblas_complex_numIfELi16ELb0ELb0ELc78ELc85EKPKS1_KPS1_EviT_T0_PT6_S7_lSA_S7_lS8_PT7_S7_li ; -- Begin function _ZL41rocblas_syrkx_herkx_small_restrict_kernelIi19rocblas_complex_numIfELi16ELb0ELb0ELc78ELc85EKPKS1_KPS1_EviT_T0_PT6_S7_lSA_S7_lS8_PT7_S7_li
	.p2align	8
	.type	_ZL41rocblas_syrkx_herkx_small_restrict_kernelIi19rocblas_complex_numIfELi16ELb0ELb0ELc78ELc85EKPKS1_KPS1_EviT_T0_PT6_S7_lSA_S7_lS8_PT7_S7_li,@function
_ZL41rocblas_syrkx_herkx_small_restrict_kernelIi19rocblas_complex_numIfELi16ELb0ELb0ELc78ELc85EKPKS1_KPS1_EviT_T0_PT6_S7_lSA_S7_lS8_PT7_S7_li: ; @_ZL41rocblas_syrkx_herkx_small_restrict_kernelIi19rocblas_complex_numIfELi16ELb0ELb0ELc78ELc85EKPKS1_KPS1_EviT_T0_PT6_S7_lSA_S7_lS8_PT7_S7_li
; %bb.0:
	s_load_dwordx4 s[0:3], s[4:5], 0x40
	s_load_dword s16, s[4:5], 0x4
	s_load_dwordx4 s[12:15], s[4:5], 0x8
	s_mov_b32 s9, 0
	s_lshl_b64 s[10:11], s[8:9], 3
	s_waitcnt lgkmcnt(0)
	s_add_u32 s2, s2, s10
	s_addc_u32 s3, s3, s11
	s_load_dwordx2 s[2:3], s[2:3], 0x0
	v_lshl_add_u32 v2, s6, 4, v0
	v_lshl_add_u32 v4, s7, 4, v1
	s_cmp_lt_i32 s16, 1
	v_ashrrev_i32_e32 v3, 31, v2
	s_cbranch_scc1 .LBB665_6
; %bb.1:
	s_load_dword s18, s[4:5], 0x18
	s_load_dword s6, s[4:5], 0x30
	s_load_dwordx2 s[20:21], s[4:5], 0x28
	v_lshlrev_b32_e32 v6, 7, v1
	v_lshlrev_b32_e32 v7, 3, v0
	s_waitcnt lgkmcnt(0)
	s_ashr_i32 s19, s18, 31
	s_ashr_i32 s7, s6, 31
	s_add_u32 s20, s20, s10
	s_addc_u32 s21, s21, s11
	s_add_u32 s10, s14, s10
	s_addc_u32 s11, s15, s11
	v_mad_i64_i32 v[11:12], s[14:15], s6, v0, 0
	v_ashrrev_i32_e32 v5, 31, v4
	v_add_u32_e32 v8, v7, v6
	v_add_u32_e32 v9, 0x800, v6
	v_lshlrev_b64 v[11:12], 3, v[11:12]
	v_lshlrev_b64 v[5:6], 3, v[4:5]
	s_load_dwordx2 s[20:21], s[20:21], 0x0
	v_add_co_u32_e32 v0, vcc, v11, v5
	v_addc_co_u32_e32 v11, vcc, v12, v6, vcc
	v_mad_i64_i32 v[5:6], s[14:15], s18, v1, 0
	s_load_dwordx2 s[10:11], s[10:11], 0x0
	s_waitcnt lgkmcnt(0)
	v_mov_b32_e32 v12, s21
	v_add_co_u32_e32 v0, vcc, s20, v0
	v_addc_co_u32_e32 v1, vcc, v12, v11, vcc
	v_lshlrev_b64 v[5:6], 3, v[5:6]
	v_lshlrev_b64 v[11:12], 3, v[2:3]
	s_lshl_b64 s[6:7], s[6:7], 7
	v_add_co_u32_e32 v5, vcc, v5, v11
	v_addc_co_u32_e32 v6, vcc, v6, v12, vcc
	v_mov_b32_e32 v11, s11
	v_add_co_u32_e32 v5, vcc, s10, v5
	s_lshl_b64 s[10:11], s[18:19], 7
	v_add_u32_e32 v10, v9, v7
	v_addc_co_u32_e32 v6, vcc, v11, v6, vcc
	v_mov_b32_e32 v11, 0
	v_mov_b32_e32 v13, s7
	;; [unrolled: 1-line block ×4, first 2 shown]
.LBB665_2:                              ; =>This Inner Loop Header: Depth=1
	flat_load_dwordx2 v[15:16], v[5:6]
	v_add_co_u32_e32 v5, vcc, s10, v5
	v_addc_co_u32_e32 v6, vcc, v6, v14, vcc
	s_add_i32 s9, s9, 16
	s_cmp_lt_i32 s9, s16
	s_waitcnt vmcnt(0) lgkmcnt(0)
	ds_write_b64 v8, v[15:16]
	flat_load_dwordx2 v[15:16], v[0:1]
	v_add_co_u32_e32 v0, vcc, s6, v0
	v_addc_co_u32_e32 v1, vcc, v1, v13, vcc
	s_waitcnt vmcnt(0) lgkmcnt(0)
	ds_write_b64 v10, v[15:16]
	s_waitcnt lgkmcnt(0)
	s_barrier
	ds_read2_b64 v[15:18], v7 offset1:16
	ds_read_b128 v[19:22], v9
	ds_read_b128 v[23:26], v9 offset:16
	ds_read2_b64 v[27:30], v7 offset0:32 offset1:48
	ds_read2_b64 v[31:34], v7 offset0:64 offset1:80
	ds_read_b128 v[35:38], v9 offset:32
	ds_read_b128 v[39:42], v9 offset:48
	ds_read2_b64 v[43:46], v7 offset0:96 offset1:112
	ds_read2_b64 v[47:50], v7 offset0:128 offset1:144
	ds_read_b128 v[51:54], v9 offset:64
	ds_read_b128 v[55:58], v9 offset:80
	s_waitcnt lgkmcnt(9)
	v_mul_f32_e32 v59, v20, v16
	v_mul_f32_e32 v60, v19, v16
	;; [unrolled: 1-line block ×4, first 2 shown]
	v_fma_f32 v59, v19, v15, -v59
	v_fmac_f32_e32 v60, v20, v15
	v_fma_f32 v62, v21, v17, -v16
	v_fmac_f32_e32 v61, v22, v17
	s_waitcnt lgkmcnt(7)
	v_mul_f32_e32 v19, v24, v28
	v_mul_f32_e32 v63, v23, v28
	v_add_f32_e32 v12, v12, v59
	v_add_f32_e32 v11, v11, v60
	v_mul_f32_e32 v20, v26, v30
	v_mul_f32_e32 v64, v25, v30
	v_fma_f32 v65, v23, v27, -v19
	v_fmac_f32_e32 v63, v24, v27
	v_add_f32_e32 v12, v12, v62
	v_add_f32_e32 v11, v11, v61
	v_fma_f32 v66, v25, v29, -v20
	v_fmac_f32_e32 v64, v26, v29
	s_waitcnt lgkmcnt(5)
	v_mul_f32_e32 v23, v36, v32
	v_mul_f32_e32 v67, v35, v32
	v_add_f32_e32 v12, v12, v65
	v_add_f32_e32 v11, v11, v63
	ds_read2_b64 v[15:18], v7 offset0:160 offset1:176
	v_mul_f32_e32 v24, v38, v34
	v_mul_f32_e32 v68, v37, v34
	v_fma_f32 v35, v35, v31, -v23
	v_fmac_f32_e32 v67, v36, v31
	v_add_f32_e32 v12, v12, v66
	v_add_f32_e32 v11, v11, v64
	v_fma_f32 v36, v37, v33, -v24
	v_fmac_f32_e32 v68, v38, v33
	s_waitcnt lgkmcnt(4)
	v_mul_f32_e32 v27, v40, v44
	v_mul_f32_e32 v37, v39, v44
	v_add_f32_e32 v12, v12, v35
	v_add_f32_e32 v11, v11, v67
	ds_read2_b64 v[19:22], v7 offset0:192 offset1:208
	ds_read_b128 v[23:26], v9 offset:96
	v_mul_f32_e32 v28, v42, v46
	v_mul_f32_e32 v38, v41, v46
	v_fma_f32 v39, v39, v43, -v27
	v_fmac_f32_e32 v37, v40, v43
	v_add_f32_e32 v12, v12, v36
	v_add_f32_e32 v11, v11, v68
	v_fma_f32 v40, v41, v45, -v28
	v_fmac_f32_e32 v38, v42, v45
	s_waitcnt lgkmcnt(4)
	v_mul_f32_e32 v31, v52, v48
	v_mul_f32_e32 v41, v51, v48
	;; [unrolled: 1-line block ×3, first 2 shown]
	v_add_f32_e32 v12, v12, v39
	v_add_f32_e32 v11, v11, v37
	ds_read_b128 v[27:30], v9 offset:112
	v_mul_f32_e32 v42, v53, v50
	v_fma_f32 v43, v51, v47, -v31
	v_fmac_f32_e32 v41, v52, v47
	v_fma_f32 v44, v53, v49, -v32
	ds_read2_b64 v[31:34], v7 offset0:224 offset1:240
	v_add_f32_e32 v12, v12, v40
	v_add_f32_e32 v11, v11, v38
	v_fmac_f32_e32 v42, v54, v49
	s_waitcnt lgkmcnt(4)
	v_mul_f32_e32 v45, v56, v16
	v_mul_f32_e32 v16, v55, v16
	v_add_f32_e32 v12, v12, v43
	v_add_f32_e32 v11, v11, v41
	v_mul_f32_e32 v46, v58, v18
	v_mul_f32_e32 v18, v57, v18
	v_fma_f32 v45, v55, v15, -v45
	v_fmac_f32_e32 v16, v56, v15
	v_add_f32_e32 v12, v12, v44
	v_add_f32_e32 v11, v11, v42
	v_fma_f32 v15, v57, v17, -v46
	v_fmac_f32_e32 v18, v58, v17
	s_waitcnt lgkmcnt(2)
	v_mul_f32_e32 v17, v24, v20
	v_mul_f32_e32 v20, v23, v20
	v_add_f32_e32 v12, v12, v45
	v_add_f32_e32 v11, v11, v16
	v_mul_f32_e32 v46, v26, v22
	v_mul_f32_e32 v22, v25, v22
	v_fma_f32 v17, v23, v19, -v17
	v_fmac_f32_e32 v20, v24, v19
	v_add_f32_e32 v12, v12, v15
	v_add_f32_e32 v11, v11, v18
	s_waitcnt lgkmcnt(0)
	v_mul_f32_e32 v47, v28, v32
	v_mul_f32_e32 v32, v27, v32
	v_fma_f32 v19, v25, v21, -v46
	v_fmac_f32_e32 v22, v26, v21
	v_add_f32_e32 v12, v12, v17
	v_add_f32_e32 v11, v11, v20
	v_mul_f32_e32 v48, v30, v34
	v_mul_f32_e32 v34, v29, v34
	v_fma_f32 v21, v27, v31, -v47
	v_fmac_f32_e32 v32, v28, v31
	v_add_f32_e32 v12, v12, v19
	v_add_f32_e32 v11, v11, v22
	v_fma_f32 v23, v29, v33, -v48
	v_fmac_f32_e32 v34, v30, v33
	v_add_f32_e32 v12, v12, v21
	v_add_f32_e32 v11, v11, v32
	;; [unrolled: 1-line block ×4, first 2 shown]
	s_barrier
	s_cbranch_scc1 .LBB665_2
; %bb.3:
	v_cmp_le_i32_e32 vcc, v2, v4
	s_and_saveexec_b64 s[6:7], vcc
	s_cbranch_execz .LBB665_5
.LBB665_4:
	s_load_dword s4, s[4:5], 0x50
	v_lshlrev_b64 v[2:3], 3, v[2:3]
	v_mul_f32_e32 v5, s12, v11
	v_fmac_f32_e32 v5, s13, v12
	s_waitcnt lgkmcnt(0)
	v_mad_i64_i32 v[0:1], s[4:5], s4, v4, 0
	v_mov_b32_e32 v4, s3
	v_lshlrev_b64 v[0:1], 3, v[0:1]
	v_add_co_u32_e32 v0, vcc, s2, v0
	v_addc_co_u32_e32 v1, vcc, v4, v1, vcc
	v_add_co_u32_e32 v0, vcc, v0, v2
	v_addc_co_u32_e32 v1, vcc, v1, v3, vcc
	flat_load_dwordx2 v[2:3], v[0:1]
	v_mul_f32_e32 v4, s13, v11
	v_fma_f32 v4, v12, s12, -v4
	s_waitcnt vmcnt(0) lgkmcnt(0)
	v_mul_f32_e32 v6, s1, v3
	v_mul_f32_e32 v3, s0, v3
	v_fma_f32 v6, v2, s0, -v6
	v_fmac_f32_e32 v3, s1, v2
	v_add_f32_e32 v2, v4, v6
	v_add_f32_e32 v3, v5, v3
	flat_store_dwordx2 v[0:1], v[2:3]
.LBB665_5:
	s_endpgm
.LBB665_6:
	v_mov_b32_e32 v11, 0
	v_mov_b32_e32 v12, 0
	v_cmp_le_i32_e32 vcc, v2, v4
	s_and_saveexec_b64 s[6:7], vcc
	s_cbranch_execnz .LBB665_4
	s_branch .LBB665_5
	.section	.rodata,"a",@progbits
	.p2align	6, 0x0
	.amdhsa_kernel _ZL41rocblas_syrkx_herkx_small_restrict_kernelIi19rocblas_complex_numIfELi16ELb0ELb0ELc78ELc85EKPKS1_KPS1_EviT_T0_PT6_S7_lSA_S7_lS8_PT7_S7_li
		.amdhsa_group_segment_fixed_size 4096
		.amdhsa_private_segment_fixed_size 0
		.amdhsa_kernarg_size 100
		.amdhsa_user_sgpr_count 6
		.amdhsa_user_sgpr_private_segment_buffer 1
		.amdhsa_user_sgpr_dispatch_ptr 0
		.amdhsa_user_sgpr_queue_ptr 0
		.amdhsa_user_sgpr_kernarg_segment_ptr 1
		.amdhsa_user_sgpr_dispatch_id 0
		.amdhsa_user_sgpr_flat_scratch_init 0
		.amdhsa_user_sgpr_private_segment_size 0
		.amdhsa_uses_dynamic_stack 0
		.amdhsa_system_sgpr_private_segment_wavefront_offset 0
		.amdhsa_system_sgpr_workgroup_id_x 1
		.amdhsa_system_sgpr_workgroup_id_y 1
		.amdhsa_system_sgpr_workgroup_id_z 1
		.amdhsa_system_sgpr_workgroup_info 0
		.amdhsa_system_vgpr_workitem_id 1
		.amdhsa_next_free_vgpr 69
		.amdhsa_next_free_sgpr 22
		.amdhsa_reserve_vcc 1
		.amdhsa_reserve_flat_scratch 0
		.amdhsa_float_round_mode_32 0
		.amdhsa_float_round_mode_16_64 0
		.amdhsa_float_denorm_mode_32 3
		.amdhsa_float_denorm_mode_16_64 3
		.amdhsa_dx10_clamp 1
		.amdhsa_ieee_mode 1
		.amdhsa_fp16_overflow 0
		.amdhsa_exception_fp_ieee_invalid_op 0
		.amdhsa_exception_fp_denorm_src 0
		.amdhsa_exception_fp_ieee_div_zero 0
		.amdhsa_exception_fp_ieee_overflow 0
		.amdhsa_exception_fp_ieee_underflow 0
		.amdhsa_exception_fp_ieee_inexact 0
		.amdhsa_exception_int_div_zero 0
	.end_amdhsa_kernel
	.section	.text._ZL41rocblas_syrkx_herkx_small_restrict_kernelIi19rocblas_complex_numIfELi16ELb0ELb0ELc78ELc85EKPKS1_KPS1_EviT_T0_PT6_S7_lSA_S7_lS8_PT7_S7_li,"axG",@progbits,_ZL41rocblas_syrkx_herkx_small_restrict_kernelIi19rocblas_complex_numIfELi16ELb0ELb0ELc78ELc85EKPKS1_KPS1_EviT_T0_PT6_S7_lSA_S7_lS8_PT7_S7_li,comdat
.Lfunc_end665:
	.size	_ZL41rocblas_syrkx_herkx_small_restrict_kernelIi19rocblas_complex_numIfELi16ELb0ELb0ELc78ELc85EKPKS1_KPS1_EviT_T0_PT6_S7_lSA_S7_lS8_PT7_S7_li, .Lfunc_end665-_ZL41rocblas_syrkx_herkx_small_restrict_kernelIi19rocblas_complex_numIfELi16ELb0ELb0ELc78ELc85EKPKS1_KPS1_EviT_T0_PT6_S7_lSA_S7_lS8_PT7_S7_li
                                        ; -- End function
	.set _ZL41rocblas_syrkx_herkx_small_restrict_kernelIi19rocblas_complex_numIfELi16ELb0ELb0ELc78ELc85EKPKS1_KPS1_EviT_T0_PT6_S7_lSA_S7_lS8_PT7_S7_li.num_vgpr, 69
	.set _ZL41rocblas_syrkx_herkx_small_restrict_kernelIi19rocblas_complex_numIfELi16ELb0ELb0ELc78ELc85EKPKS1_KPS1_EviT_T0_PT6_S7_lSA_S7_lS8_PT7_S7_li.num_agpr, 0
	.set _ZL41rocblas_syrkx_herkx_small_restrict_kernelIi19rocblas_complex_numIfELi16ELb0ELb0ELc78ELc85EKPKS1_KPS1_EviT_T0_PT6_S7_lSA_S7_lS8_PT7_S7_li.numbered_sgpr, 22
	.set _ZL41rocblas_syrkx_herkx_small_restrict_kernelIi19rocblas_complex_numIfELi16ELb0ELb0ELc78ELc85EKPKS1_KPS1_EviT_T0_PT6_S7_lSA_S7_lS8_PT7_S7_li.num_named_barrier, 0
	.set _ZL41rocblas_syrkx_herkx_small_restrict_kernelIi19rocblas_complex_numIfELi16ELb0ELb0ELc78ELc85EKPKS1_KPS1_EviT_T0_PT6_S7_lSA_S7_lS8_PT7_S7_li.private_seg_size, 0
	.set _ZL41rocblas_syrkx_herkx_small_restrict_kernelIi19rocblas_complex_numIfELi16ELb0ELb0ELc78ELc85EKPKS1_KPS1_EviT_T0_PT6_S7_lSA_S7_lS8_PT7_S7_li.uses_vcc, 1
	.set _ZL41rocblas_syrkx_herkx_small_restrict_kernelIi19rocblas_complex_numIfELi16ELb0ELb0ELc78ELc85EKPKS1_KPS1_EviT_T0_PT6_S7_lSA_S7_lS8_PT7_S7_li.uses_flat_scratch, 0
	.set _ZL41rocblas_syrkx_herkx_small_restrict_kernelIi19rocblas_complex_numIfELi16ELb0ELb0ELc78ELc85EKPKS1_KPS1_EviT_T0_PT6_S7_lSA_S7_lS8_PT7_S7_li.has_dyn_sized_stack, 0
	.set _ZL41rocblas_syrkx_herkx_small_restrict_kernelIi19rocblas_complex_numIfELi16ELb0ELb0ELc78ELc85EKPKS1_KPS1_EviT_T0_PT6_S7_lSA_S7_lS8_PT7_S7_li.has_recursion, 0
	.set _ZL41rocblas_syrkx_herkx_small_restrict_kernelIi19rocblas_complex_numIfELi16ELb0ELb0ELc78ELc85EKPKS1_KPS1_EviT_T0_PT6_S7_lSA_S7_lS8_PT7_S7_li.has_indirect_call, 0
	.section	.AMDGPU.csdata,"",@progbits
; Kernel info:
; codeLenInByte = 1144
; TotalNumSgprs: 26
; NumVgprs: 69
; ScratchSize: 0
; MemoryBound: 0
; FloatMode: 240
; IeeeMode: 1
; LDSByteSize: 4096 bytes/workgroup (compile time only)
; SGPRBlocks: 3
; VGPRBlocks: 17
; NumSGPRsForWavesPerEU: 26
; NumVGPRsForWavesPerEU: 69
; Occupancy: 3
; WaveLimiterHint : 1
; COMPUTE_PGM_RSRC2:SCRATCH_EN: 0
; COMPUTE_PGM_RSRC2:USER_SGPR: 6
; COMPUTE_PGM_RSRC2:TRAP_HANDLER: 0
; COMPUTE_PGM_RSRC2:TGID_X_EN: 1
; COMPUTE_PGM_RSRC2:TGID_Y_EN: 1
; COMPUTE_PGM_RSRC2:TGID_Z_EN: 1
; COMPUTE_PGM_RSRC2:TIDIG_COMP_CNT: 1
	.section	.text._ZL32rocblas_syrkx_herkx_small_kernelIi19rocblas_complex_numIfELi16ELb1ELb0ELc84ELc76EKPKS1_KPS1_EviT_T0_PT6_S7_lSA_S7_lS8_PT7_S7_li,"axG",@progbits,_ZL32rocblas_syrkx_herkx_small_kernelIi19rocblas_complex_numIfELi16ELb1ELb0ELc84ELc76EKPKS1_KPS1_EviT_T0_PT6_S7_lSA_S7_lS8_PT7_S7_li,comdat
	.globl	_ZL32rocblas_syrkx_herkx_small_kernelIi19rocblas_complex_numIfELi16ELb1ELb0ELc84ELc76EKPKS1_KPS1_EviT_T0_PT6_S7_lSA_S7_lS8_PT7_S7_li ; -- Begin function _ZL32rocblas_syrkx_herkx_small_kernelIi19rocblas_complex_numIfELi16ELb1ELb0ELc84ELc76EKPKS1_KPS1_EviT_T0_PT6_S7_lSA_S7_lS8_PT7_S7_li
	.p2align	8
	.type	_ZL32rocblas_syrkx_herkx_small_kernelIi19rocblas_complex_numIfELi16ELb1ELb0ELc84ELc76EKPKS1_KPS1_EviT_T0_PT6_S7_lSA_S7_lS8_PT7_S7_li,@function
_ZL32rocblas_syrkx_herkx_small_kernelIi19rocblas_complex_numIfELi16ELb1ELb0ELc84ELc76EKPKS1_KPS1_EviT_T0_PT6_S7_lSA_S7_lS8_PT7_S7_li: ; @_ZL32rocblas_syrkx_herkx_small_kernelIi19rocblas_complex_numIfELi16ELb1ELb0ELc84ELc76EKPKS1_KPS1_EviT_T0_PT6_S7_lSA_S7_lS8_PT7_S7_li
; %bb.0:
	s_load_dwordx2 s[2:3], s[4:5], 0x48
	s_load_dwordx2 s[16:17], s[4:5], 0x0
	s_load_dwordx4 s[12:15], s[4:5], 0x8
	s_mov_b32 s9, 0
	s_lshl_b64 s[0:1], s[8:9], 3
	s_waitcnt lgkmcnt(0)
	s_add_u32 s2, s2, s0
	s_addc_u32 s3, s3, s1
	s_load_dwordx2 s[10:11], s[2:3], 0x0
	v_lshl_add_u32 v2, s6, 4, v0
	v_lshl_add_u32 v9, s7, 4, v1
	s_cmp_lt_i32 s17, 1
	v_cmp_gt_i32_e32 vcc, s16, v2
	s_cbranch_scc1 .LBB666_11
; %bb.1:
	s_load_dwordx2 s[2:3], s[4:5], 0x28
	s_load_dword s8, s[4:5], 0x18
	s_load_dword s18, s[4:5], 0x30
	v_lshlrev_b32_e32 v5, 7, v1
	v_lshlrev_b32_e32 v10, 3, v0
	s_waitcnt lgkmcnt(0)
	s_add_u32 s2, s2, s0
	s_addc_u32 s3, s3, s1
	s_add_u32 s0, s14, s0
	s_addc_u32 s1, s15, s1
	s_load_dwordx2 s[14:15], s[0:1], 0x0
	v_mad_i64_i32 v[3:4], s[0:1], s18, v9, 0
	v_add_u32_e32 v11, v10, v5
	v_add_u32_e32 v12, 0x800, v5
	v_lshlrev_b64 v[4:5], 3, v[3:4]
	s_load_dwordx2 s[6:7], s[2:3], 0x0
	v_add_co_u32_e64 v4, s[2:3], v4, v10
	v_addc_co_u32_e64 v6, s[2:3], 0, v5, s[2:3]
	v_mad_i64_i32 v[7:8], s[2:3], s8, v2, 0
	s_waitcnt lgkmcnt(0)
	v_mov_b32_e32 v14, s7
	v_add_co_u32_e64 v5, s[2:3], s6, v4
	v_lshlrev_b64 v[7:8], 3, v[7:8]
	v_addc_co_u32_e64 v6, s[2:3], v14, v6, s[2:3]
	v_lshlrev_b32_e32 v4, 3, v1
	v_add_co_u32_e64 v4, s[2:3], v7, v4
	v_addc_co_u32_e64 v8, s[2:3], 0, v8, s[2:3]
	v_mov_b32_e32 v14, s15
	v_add_co_u32_e64 v7, s[2:3], s14, v4
	v_cmp_gt_i32_e64 s[0:1], s16, v9
	v_addc_co_u32_e64 v8, s[2:3], v14, v8, s[2:3]
	v_add_u32_e32 v13, v12, v10
	v_mov_b32_e32 v3, 0
	s_xor_b64 s[2:3], vcc, -1
	s_xor_b64 s[0:1], s[0:1], -1
	v_mov_b32_e32 v15, 0
	v_mov_b32_e32 v14, 0
	s_branch .LBB666_3
.LBB666_2:                              ;   in Loop: Header=BB666_3 Depth=1
	s_or_b64 exec, exec, s[6:7]
	s_waitcnt lgkmcnt(0)
	s_barrier
	ds_read2_b64 v[16:19], v10 offset1:16
	ds_read_b128 v[20:23], v12
	ds_read_b128 v[24:27], v12 offset:16
	ds_read2_b64 v[28:31], v10 offset0:32 offset1:48
	v_add_co_u32_e32 v5, vcc, 0x80, v5
	s_waitcnt lgkmcnt(2)
	v_mul_f32_e32 v4, v21, v17
	v_mul_f32_e32 v32, v20, v17
	v_fma_f32 v4, v20, v16, -v4
	v_fmac_f32_e32 v32, v21, v16
	v_mul_f32_e32 v16, v23, v19
	v_fma_f32 v33, v22, v18, -v16
	v_mul_f32_e32 v34, v22, v19
	s_waitcnt lgkmcnt(0)
	v_mul_f32_e32 v16, v25, v29
	v_fmac_f32_e32 v34, v23, v18
	v_fma_f32 v35, v24, v28, -v16
	ds_read2_b64 v[16:19], v10 offset0:64 offset1:80
	ds_read_b128 v[20:23], v12 offset:32
	v_mul_f32_e32 v36, v24, v29
	v_fmac_f32_e32 v36, v25, v28
	v_mul_f32_e32 v24, v27, v31
	v_mul_f32_e32 v38, v26, v31
	s_waitcnt lgkmcnt(0)
	v_mul_f32_e32 v28, v21, v17
	v_fma_f32 v37, v26, v30, -v24
	v_fmac_f32_e32 v38, v27, v30
	ds_read_b128 v[24:27], v12 offset:48
	v_fma_f32 v39, v20, v16, -v28
	ds_read2_b64 v[28:31], v10 offset0:96 offset1:112
	v_mul_f32_e32 v40, v20, v17
	v_fmac_f32_e32 v40, v21, v16
	v_mul_f32_e32 v16, v23, v19
	v_fma_f32 v41, v22, v18, -v16
	v_mul_f32_e32 v42, v22, v19
	s_waitcnt lgkmcnt(0)
	v_mul_f32_e32 v16, v25, v29
	v_fmac_f32_e32 v42, v23, v18
	v_fma_f32 v43, v24, v28, -v16
	ds_read2_b64 v[16:19], v10 offset0:128 offset1:144
	ds_read_b128 v[20:23], v12 offset:64
	v_mul_f32_e32 v44, v24, v29
	v_fmac_f32_e32 v44, v25, v28
	v_mul_f32_e32 v24, v27, v31
	v_mul_f32_e32 v46, v26, v31
	s_waitcnt lgkmcnt(0)
	v_mul_f32_e32 v28, v21, v17
	v_fma_f32 v45, v26, v30, -v24
	v_fmac_f32_e32 v46, v27, v30
	ds_read_b128 v[24:27], v12 offset:80
	v_fma_f32 v47, v20, v16, -v28
	ds_read2_b64 v[28:31], v10 offset0:160 offset1:176
	v_mul_f32_e32 v48, v20, v17
	v_add_f32_e32 v4, v14, v4
	v_add_f32_e32 v14, v15, v32
	v_fmac_f32_e32 v48, v21, v16
	v_mul_f32_e32 v16, v23, v19
	v_add_f32_e32 v14, v14, v34
	v_fma_f32 v49, v22, v18, -v16
	v_mul_f32_e32 v50, v22, v19
	s_waitcnt lgkmcnt(0)
	v_mul_f32_e32 v16, v25, v29
	v_add_f32_e32 v14, v14, v36
	v_fmac_f32_e32 v50, v23, v18
	v_fma_f32 v51, v24, v28, -v16
	ds_read2_b64 v[16:19], v10 offset0:192 offset1:208
	ds_read_b128 v[20:23], v12 offset:96
	v_add_f32_e32 v14, v14, v38
	v_add_f32_e32 v14, v14, v40
	;; [unrolled: 1-line block ×6, first 2 shown]
	v_mul_f32_e32 v29, v24, v29
	v_mul_f32_e32 v24, v27, v31
	;; [unrolled: 1-line block ×3, first 2 shown]
	v_add_f32_e32 v4, v4, v37
	v_add_f32_e32 v14, v14, v46
	v_fmac_f32_e32 v29, v25, v28
	v_fma_f32 v28, v26, v30, -v24
	v_fmac_f32_e32 v31, v27, v30
	s_waitcnt lgkmcnt(0)
	v_mul_f32_e32 v30, v21, v17
	v_add_f32_e32 v4, v4, v39
	v_add_f32_e32 v14, v14, v48
	v_fma_f32 v30, v20, v16, -v30
	v_mul_f32_e32 v20, v20, v17
	v_add_f32_e32 v4, v4, v41
	v_add_f32_e32 v14, v14, v50
	v_fmac_f32_e32 v20, v21, v16
	v_mul_f32_e32 v16, v23, v19
	v_mul_f32_e32 v19, v22, v19
	v_add_f32_e32 v4, v4, v43
	v_add_f32_e32 v14, v14, v29
	ds_read_b128 v[24:27], v12 offset:112
	v_fma_f32 v21, v22, v18, -v16
	v_fmac_f32_e32 v19, v23, v18
	v_add_f32_e32 v4, v4, v45
	v_add_f32_e32 v18, v14, v31
	ds_read2_b64 v[14:17], v10 offset0:224 offset1:240
	v_add_f32_e32 v4, v4, v47
	v_add_f32_e32 v4, v4, v49
	;; [unrolled: 1-line block ×7, first 2 shown]
	s_waitcnt lgkmcnt(0)
	v_mul_f32_e32 v19, v25, v15
	v_mul_f32_e32 v15, v24, v15
	v_add_f32_e32 v4, v4, v21
	v_fma_f32 v19, v24, v14, -v19
	v_fmac_f32_e32 v15, v25, v14
	v_mul_f32_e32 v14, v27, v17
	v_mul_f32_e32 v17, v26, v17
	v_addc_co_u32_e32 v6, vcc, 0, v6, vcc
	v_add_f32_e32 v4, v4, v19
	v_add_f32_e32 v15, v18, v15
	v_fma_f32 v14, v26, v16, -v14
	v_fmac_f32_e32 v17, v27, v16
	s_add_i32 s9, s9, 16
	v_add_co_u32_e32 v7, vcc, 0x80, v7
	v_add_f32_e32 v14, v4, v14
	v_add_f32_e32 v15, v15, v17
	s_cmp_ge_i32 s9, s17
	v_addc_co_u32_e32 v8, vcc, 0, v8, vcc
	s_barrier
	s_cbranch_scc1 .LBB666_12
.LBB666_3:                              ; =>This Inner Loop Header: Depth=1
	v_add_u32_e32 v4, s9, v1
	v_cmp_le_i32_e32 vcc, s17, v4
	s_or_b64 s[6:7], s[2:3], vcc
	s_and_saveexec_b64 s[14:15], s[6:7]
	s_xor_b64 s[6:7], exec, s[14:15]
; %bb.4:                                ;   in Loop: Header=BB666_3 Depth=1
	v_mov_b32_e32 v4, v3
	ds_write_b64 v11, v[3:4]
; %bb.5:                                ;   in Loop: Header=BB666_3 Depth=1
	s_andn2_saveexec_b64 s[6:7], s[6:7]
	s_cbranch_execz .LBB666_7
; %bb.6:                                ;   in Loop: Header=BB666_3 Depth=1
	flat_load_dwordx2 v[16:17], v[7:8]
	s_waitcnt vmcnt(0) lgkmcnt(0)
	ds_write_b64 v11, v[16:17]
.LBB666_7:                              ;   in Loop: Header=BB666_3 Depth=1
	s_or_b64 exec, exec, s[6:7]
	v_add_u32_e32 v4, s9, v0
	v_cmp_le_i32_e32 vcc, s17, v4
	s_or_b64 s[6:7], s[0:1], vcc
	s_and_saveexec_b64 s[14:15], s[6:7]
	s_xor_b64 s[6:7], exec, s[14:15]
; %bb.8:                                ;   in Loop: Header=BB666_3 Depth=1
	v_mov_b32_e32 v4, v3
	ds_write_b64 v13, v[3:4]
; %bb.9:                                ;   in Loop: Header=BB666_3 Depth=1
	s_andn2_saveexec_b64 s[6:7], s[6:7]
	s_cbranch_execz .LBB666_2
; %bb.10:                               ;   in Loop: Header=BB666_3 Depth=1
	flat_load_dwordx2 v[16:17], v[5:6]
	s_waitcnt vmcnt(0) lgkmcnt(0)
	ds_write_b64 v13, v[16:17]
	s_branch .LBB666_2
.LBB666_11:
	v_mov_b32_e32 v15, 0
	v_mov_b32_e32 v14, 0
.LBB666_12:
	v_cmp_le_i32_e32 vcc, v9, v2
	v_cmp_gt_i32_e64 s[0:1], s16, v2
	s_and_b64 s[0:1], vcc, s[0:1]
	s_and_saveexec_b64 s[2:3], s[0:1]
	s_cbranch_execz .LBB666_14
; %bb.13:
	s_load_dword s0, s[4:5], 0x50
	v_ashrrev_i32_e32 v3, 31, v2
	s_waitcnt lgkmcnt(0)
	v_mov_b32_e32 v6, s11
	v_lshlrev_b64 v[2:3], 3, v[2:3]
	v_mul_f32_e32 v0, s13, v15
	v_mad_i64_i32 v[4:5], s[0:1], s0, v9, 0
	v_mul_f32_e32 v1, s12, v15
	v_fma_f32 v0, v14, s12, -v0
	v_lshlrev_b64 v[4:5], 3, v[4:5]
	v_fmac_f32_e32 v1, s13, v14
	v_add_co_u32_e32 v4, vcc, s10, v4
	v_addc_co_u32_e32 v5, vcc, v6, v5, vcc
	v_add_co_u32_e32 v2, vcc, v4, v2
	v_addc_co_u32_e32 v3, vcc, v5, v3, vcc
	flat_store_dwordx2 v[2:3], v[0:1]
.LBB666_14:
	s_endpgm
	.section	.rodata,"a",@progbits
	.p2align	6, 0x0
	.amdhsa_kernel _ZL32rocblas_syrkx_herkx_small_kernelIi19rocblas_complex_numIfELi16ELb1ELb0ELc84ELc76EKPKS1_KPS1_EviT_T0_PT6_S7_lSA_S7_lS8_PT7_S7_li
		.amdhsa_group_segment_fixed_size 4096
		.amdhsa_private_segment_fixed_size 0
		.amdhsa_kernarg_size 100
		.amdhsa_user_sgpr_count 6
		.amdhsa_user_sgpr_private_segment_buffer 1
		.amdhsa_user_sgpr_dispatch_ptr 0
		.amdhsa_user_sgpr_queue_ptr 0
		.amdhsa_user_sgpr_kernarg_segment_ptr 1
		.amdhsa_user_sgpr_dispatch_id 0
		.amdhsa_user_sgpr_flat_scratch_init 0
		.amdhsa_user_sgpr_private_segment_size 0
		.amdhsa_uses_dynamic_stack 0
		.amdhsa_system_sgpr_private_segment_wavefront_offset 0
		.amdhsa_system_sgpr_workgroup_id_x 1
		.amdhsa_system_sgpr_workgroup_id_y 1
		.amdhsa_system_sgpr_workgroup_id_z 1
		.amdhsa_system_sgpr_workgroup_info 0
		.amdhsa_system_vgpr_workitem_id 1
		.amdhsa_next_free_vgpr 52
		.amdhsa_next_free_sgpr 19
		.amdhsa_reserve_vcc 1
		.amdhsa_reserve_flat_scratch 0
		.amdhsa_float_round_mode_32 0
		.amdhsa_float_round_mode_16_64 0
		.amdhsa_float_denorm_mode_32 3
		.amdhsa_float_denorm_mode_16_64 3
		.amdhsa_dx10_clamp 1
		.amdhsa_ieee_mode 1
		.amdhsa_fp16_overflow 0
		.amdhsa_exception_fp_ieee_invalid_op 0
		.amdhsa_exception_fp_denorm_src 0
		.amdhsa_exception_fp_ieee_div_zero 0
		.amdhsa_exception_fp_ieee_overflow 0
		.amdhsa_exception_fp_ieee_underflow 0
		.amdhsa_exception_fp_ieee_inexact 0
		.amdhsa_exception_int_div_zero 0
	.end_amdhsa_kernel
	.section	.text._ZL32rocblas_syrkx_herkx_small_kernelIi19rocblas_complex_numIfELi16ELb1ELb0ELc84ELc76EKPKS1_KPS1_EviT_T0_PT6_S7_lSA_S7_lS8_PT7_S7_li,"axG",@progbits,_ZL32rocblas_syrkx_herkx_small_kernelIi19rocblas_complex_numIfELi16ELb1ELb0ELc84ELc76EKPKS1_KPS1_EviT_T0_PT6_S7_lSA_S7_lS8_PT7_S7_li,comdat
.Lfunc_end666:
	.size	_ZL32rocblas_syrkx_herkx_small_kernelIi19rocblas_complex_numIfELi16ELb1ELb0ELc84ELc76EKPKS1_KPS1_EviT_T0_PT6_S7_lSA_S7_lS8_PT7_S7_li, .Lfunc_end666-_ZL32rocblas_syrkx_herkx_small_kernelIi19rocblas_complex_numIfELi16ELb1ELb0ELc84ELc76EKPKS1_KPS1_EviT_T0_PT6_S7_lSA_S7_lS8_PT7_S7_li
                                        ; -- End function
	.set _ZL32rocblas_syrkx_herkx_small_kernelIi19rocblas_complex_numIfELi16ELb1ELb0ELc84ELc76EKPKS1_KPS1_EviT_T0_PT6_S7_lSA_S7_lS8_PT7_S7_li.num_vgpr, 52
	.set _ZL32rocblas_syrkx_herkx_small_kernelIi19rocblas_complex_numIfELi16ELb1ELb0ELc84ELc76EKPKS1_KPS1_EviT_T0_PT6_S7_lSA_S7_lS8_PT7_S7_li.num_agpr, 0
	.set _ZL32rocblas_syrkx_herkx_small_kernelIi19rocblas_complex_numIfELi16ELb1ELb0ELc84ELc76EKPKS1_KPS1_EviT_T0_PT6_S7_lSA_S7_lS8_PT7_S7_li.numbered_sgpr, 19
	.set _ZL32rocblas_syrkx_herkx_small_kernelIi19rocblas_complex_numIfELi16ELb1ELb0ELc84ELc76EKPKS1_KPS1_EviT_T0_PT6_S7_lSA_S7_lS8_PT7_S7_li.num_named_barrier, 0
	.set _ZL32rocblas_syrkx_herkx_small_kernelIi19rocblas_complex_numIfELi16ELb1ELb0ELc84ELc76EKPKS1_KPS1_EviT_T0_PT6_S7_lSA_S7_lS8_PT7_S7_li.private_seg_size, 0
	.set _ZL32rocblas_syrkx_herkx_small_kernelIi19rocblas_complex_numIfELi16ELb1ELb0ELc84ELc76EKPKS1_KPS1_EviT_T0_PT6_S7_lSA_S7_lS8_PT7_S7_li.uses_vcc, 1
	.set _ZL32rocblas_syrkx_herkx_small_kernelIi19rocblas_complex_numIfELi16ELb1ELb0ELc84ELc76EKPKS1_KPS1_EviT_T0_PT6_S7_lSA_S7_lS8_PT7_S7_li.uses_flat_scratch, 0
	.set _ZL32rocblas_syrkx_herkx_small_kernelIi19rocblas_complex_numIfELi16ELb1ELb0ELc84ELc76EKPKS1_KPS1_EviT_T0_PT6_S7_lSA_S7_lS8_PT7_S7_li.has_dyn_sized_stack, 0
	.set _ZL32rocblas_syrkx_herkx_small_kernelIi19rocblas_complex_numIfELi16ELb1ELb0ELc84ELc76EKPKS1_KPS1_EviT_T0_PT6_S7_lSA_S7_lS8_PT7_S7_li.has_recursion, 0
	.set _ZL32rocblas_syrkx_herkx_small_kernelIi19rocblas_complex_numIfELi16ELb1ELb0ELc84ELc76EKPKS1_KPS1_EviT_T0_PT6_S7_lSA_S7_lS8_PT7_S7_li.has_indirect_call, 0
	.section	.AMDGPU.csdata,"",@progbits
; Kernel info:
; codeLenInByte = 1220
; TotalNumSgprs: 23
; NumVgprs: 52
; ScratchSize: 0
; MemoryBound: 1
; FloatMode: 240
; IeeeMode: 1
; LDSByteSize: 4096 bytes/workgroup (compile time only)
; SGPRBlocks: 2
; VGPRBlocks: 12
; NumSGPRsForWavesPerEU: 23
; NumVGPRsForWavesPerEU: 52
; Occupancy: 4
; WaveLimiterHint : 1
; COMPUTE_PGM_RSRC2:SCRATCH_EN: 0
; COMPUTE_PGM_RSRC2:USER_SGPR: 6
; COMPUTE_PGM_RSRC2:TRAP_HANDLER: 0
; COMPUTE_PGM_RSRC2:TGID_X_EN: 1
; COMPUTE_PGM_RSRC2:TGID_Y_EN: 1
; COMPUTE_PGM_RSRC2:TGID_Z_EN: 1
; COMPUTE_PGM_RSRC2:TIDIG_COMP_CNT: 1
	.section	.text._ZL32rocblas_syrkx_herkx_small_kernelIi19rocblas_complex_numIfELi16ELb1ELb0ELc67ELc76EKPKS1_KPS1_EviT_T0_PT6_S7_lSA_S7_lS8_PT7_S7_li,"axG",@progbits,_ZL32rocblas_syrkx_herkx_small_kernelIi19rocblas_complex_numIfELi16ELb1ELb0ELc67ELc76EKPKS1_KPS1_EviT_T0_PT6_S7_lSA_S7_lS8_PT7_S7_li,comdat
	.globl	_ZL32rocblas_syrkx_herkx_small_kernelIi19rocblas_complex_numIfELi16ELb1ELb0ELc67ELc76EKPKS1_KPS1_EviT_T0_PT6_S7_lSA_S7_lS8_PT7_S7_li ; -- Begin function _ZL32rocblas_syrkx_herkx_small_kernelIi19rocblas_complex_numIfELi16ELb1ELb0ELc67ELc76EKPKS1_KPS1_EviT_T0_PT6_S7_lSA_S7_lS8_PT7_S7_li
	.p2align	8
	.type	_ZL32rocblas_syrkx_herkx_small_kernelIi19rocblas_complex_numIfELi16ELb1ELb0ELc67ELc76EKPKS1_KPS1_EviT_T0_PT6_S7_lSA_S7_lS8_PT7_S7_li,@function
_ZL32rocblas_syrkx_herkx_small_kernelIi19rocblas_complex_numIfELi16ELb1ELb0ELc67ELc76EKPKS1_KPS1_EviT_T0_PT6_S7_lSA_S7_lS8_PT7_S7_li: ; @_ZL32rocblas_syrkx_herkx_small_kernelIi19rocblas_complex_numIfELi16ELb1ELb0ELc67ELc76EKPKS1_KPS1_EviT_T0_PT6_S7_lSA_S7_lS8_PT7_S7_li
; %bb.0:
	s_load_dwordx2 s[0:1], s[4:5], 0x48
	s_load_dwordx2 s[16:17], s[4:5], 0x0
	s_load_dwordx4 s[12:15], s[4:5], 0x8
	s_mov_b32 s9, 0
	s_lshl_b64 s[2:3], s[8:9], 3
	s_waitcnt lgkmcnt(0)
	s_add_u32 s0, s0, s2
	s_addc_u32 s1, s1, s3
	s_load_dwordx2 s[10:11], s[0:1], 0x0
	v_lshl_add_u32 v2, s6, 4, v0
	v_lshl_add_u32 v11, s7, 4, v1
	s_cmp_lt_i32 s17, 1
	v_cmp_gt_i32_e64 s[0:1], s16, v2
	s_cbranch_scc1 .LBB667_9
; %bb.1:
	s_load_dwordx2 s[6:7], s[4:5], 0x28
	s_load_dword s8, s[4:5], 0x18
	s_load_dword s18, s[4:5], 0x30
	v_lshlrev_b32_e32 v5, 7, v1
	v_lshlrev_b32_e32 v12, 3, v0
	s_waitcnt lgkmcnt(0)
	s_add_u32 s6, s6, s2
	s_addc_u32 s7, s7, s3
	s_add_u32 s2, s14, s2
	s_addc_u32 s3, s15, s3
	s_load_dwordx2 s[14:15], s[2:3], 0x0
	v_mad_i64_i32 v[3:4], s[2:3], s18, v11, 0
	v_add_u32_e32 v13, v12, v5
	v_add_u32_e32 v14, 0x800, v5
	v_lshlrev_b64 v[4:5], 3, v[3:4]
	s_load_dwordx2 s[6:7], s[6:7], 0x0
	v_add_co_u32_e64 v4, s[2:3], v4, v12
	v_addc_co_u32_e64 v6, s[2:3], 0, v5, s[2:3]
	v_mad_i64_i32 v[7:8], s[2:3], s8, v2, 0
	s_waitcnt lgkmcnt(0)
	v_mov_b32_e32 v9, s7
	v_add_co_u32_e64 v5, s[2:3], s6, v4
	v_lshlrev_b64 v[7:8], 3, v[7:8]
	v_addc_co_u32_e64 v6, s[2:3], v9, v6, s[2:3]
	v_lshlrev_b32_e32 v4, 3, v1
	v_add_co_u32_e64 v4, s[2:3], v7, v4
	v_addc_co_u32_e64 v8, s[2:3], 0, v8, s[2:3]
	v_mov_b32_e32 v9, s15
	v_add_co_u32_e64 v7, s[2:3], s14, v4
	v_cmp_gt_i32_e32 vcc, s16, v11
	v_addc_co_u32_e64 v8, s[2:3], v9, v8, s[2:3]
	v_add_u32_e32 v15, v14, v12
	v_mov_b32_e32 v3, 0
	s_xor_b64 s[2:3], vcc, -1
	v_mov_b32_e32 v17, 0
	v_mov_b32_e32 v16, 0
	s_branch .LBB667_3
.LBB667_2:                              ;   in Loop: Header=BB667_3 Depth=1
	s_or_b64 exec, exec, s[6:7]
	s_waitcnt lgkmcnt(0)
	s_barrier
	ds_read2_b64 v[18:21], v12 offset1:16
	ds_read_b128 v[22:25], v14
	ds_read_b128 v[26:29], v14 offset:16
	ds_read2_b64 v[30:33], v12 offset0:32 offset1:48
	v_add_co_u32_e32 v5, vcc, 0x80, v5
	s_waitcnt lgkmcnt(2)
	v_mul_f32_e32 v4, v23, v19
	v_mul_f32_e32 v9, v22, v19
	v_fma_f32 v4, v22, v18, -v4
	v_fmac_f32_e32 v9, v23, v18
	v_mul_f32_e32 v10, v25, v21
	v_mul_f32_e32 v34, v24, v21
	s_waitcnt lgkmcnt(0)
	v_mul_f32_e32 v18, v27, v31
	v_fma_f32 v10, v24, v20, -v10
	v_fmac_f32_e32 v34, v25, v20
	v_fma_f32 v35, v26, v30, -v18
	ds_read2_b64 v[18:21], v12 offset0:64 offset1:80
	ds_read_b128 v[22:25], v14 offset:32
	v_mul_f32_e32 v36, v26, v31
	v_fmac_f32_e32 v36, v27, v30
	v_mul_f32_e32 v26, v29, v33
	v_mul_f32_e32 v38, v28, v33
	s_waitcnt lgkmcnt(0)
	v_mul_f32_e32 v30, v23, v19
	v_fma_f32 v37, v28, v32, -v26
	v_fmac_f32_e32 v38, v29, v32
	ds_read_b128 v[26:29], v14 offset:48
	v_fma_f32 v39, v22, v18, -v30
	ds_read2_b64 v[30:33], v12 offset0:96 offset1:112
	v_mul_f32_e32 v40, v22, v19
	v_fmac_f32_e32 v40, v23, v18
	v_mul_f32_e32 v18, v25, v21
	v_fma_f32 v41, v24, v20, -v18
	v_mul_f32_e32 v42, v24, v21
	s_waitcnt lgkmcnt(0)
	v_mul_f32_e32 v18, v27, v31
	v_fmac_f32_e32 v42, v25, v20
	v_fma_f32 v43, v26, v30, -v18
	ds_read2_b64 v[18:21], v12 offset0:128 offset1:144
	ds_read_b128 v[22:25], v14 offset:64
	v_mul_f32_e32 v44, v26, v31
	v_fmac_f32_e32 v44, v27, v30
	v_mul_f32_e32 v26, v29, v33
	v_mul_f32_e32 v46, v28, v33
	s_waitcnt lgkmcnt(0)
	v_mul_f32_e32 v30, v23, v19
	v_fma_f32 v45, v28, v32, -v26
	v_fmac_f32_e32 v46, v29, v32
	ds_read_b128 v[26:29], v14 offset:80
	v_fma_f32 v47, v22, v18, -v30
	ds_read2_b64 v[30:33], v12 offset0:160 offset1:176
	v_mul_f32_e32 v48, v22, v19
	v_fmac_f32_e32 v48, v23, v18
	v_mul_f32_e32 v18, v25, v21
	v_fma_f32 v49, v24, v20, -v18
	v_mul_f32_e32 v50, v24, v21
	s_waitcnt lgkmcnt(0)
	v_mul_f32_e32 v18, v27, v31
	v_fmac_f32_e32 v50, v25, v20
	v_fma_f32 v51, v26, v30, -v18
	ds_read2_b64 v[18:21], v12 offset0:192 offset1:208
	ds_read_b128 v[22:25], v14 offset:96
	v_add_f32_e32 v4, v16, v4
	v_add_f32_e32 v9, v17, v9
	;; [unrolled: 1-line block ×6, first 2 shown]
	v_mul_f32_e32 v31, v26, v31
	v_mul_f32_e32 v26, v29, v33
	;; [unrolled: 1-line block ×3, first 2 shown]
	v_add_f32_e32 v4, v4, v37
	v_add_f32_e32 v9, v9, v38
	v_fmac_f32_e32 v31, v27, v30
	v_fma_f32 v30, v28, v32, -v26
	v_fmac_f32_e32 v33, v29, v32
	s_waitcnt lgkmcnt(0)
	v_mul_f32_e32 v32, v23, v19
	v_add_f32_e32 v4, v4, v39
	v_add_f32_e32 v9, v9, v40
	v_fma_f32 v32, v22, v18, -v32
	v_mul_f32_e32 v22, v22, v19
	v_add_f32_e32 v4, v4, v41
	v_add_f32_e32 v9, v9, v42
	v_fmac_f32_e32 v22, v23, v18
	v_mul_f32_e32 v18, v25, v21
	v_add_f32_e32 v4, v4, v43
	v_add_f32_e32 v9, v9, v44
	ds_read_b128 v[26:29], v14 offset:112
	v_fma_f32 v23, v24, v20, -v18
	v_add_f32_e32 v4, v4, v45
	v_add_f32_e32 v9, v9, v46
	ds_read2_b64 v[16:19], v12 offset0:224 offset1:240
	v_add_f32_e32 v4, v4, v47
	v_add_f32_e32 v9, v9, v48
	;; [unrolled: 1-line block ×6, first 2 shown]
	v_mul_f32_e32 v21, v24, v21
	v_add_f32_e32 v4, v4, v30
	v_add_f32_e32 v9, v9, v33
	v_fmac_f32_e32 v21, v25, v20
	v_add_f32_e32 v4, v4, v32
	v_add_f32_e32 v9, v9, v22
	s_waitcnt lgkmcnt(0)
	v_mul_f32_e32 v10, v27, v17
	v_mul_f32_e32 v17, v26, v17
	v_add_f32_e32 v4, v4, v23
	v_add_f32_e32 v9, v9, v21
	v_fma_f32 v10, v26, v16, -v10
	v_fmac_f32_e32 v17, v27, v16
	v_add_f32_e32 v4, v4, v10
	v_add_f32_e32 v9, v9, v17
	v_mul_f32_e32 v10, v29, v19
	v_mul_f32_e32 v17, v28, v19
	v_addc_co_u32_e32 v6, vcc, 0, v6, vcc
	v_fma_f32 v10, v28, v18, -v10
	v_fmac_f32_e32 v17, v29, v18
	s_add_i32 s9, s9, 16
	v_add_co_u32_e32 v7, vcc, 0x80, v7
	v_add_f32_e32 v16, v4, v10
	v_add_f32_e32 v17, v9, v17
	s_cmp_ge_i32 s9, s17
	v_addc_co_u32_e32 v8, vcc, 0, v8, vcc
	s_barrier
	s_cbranch_scc1 .LBB667_10
.LBB667_3:                              ; =>This Inner Loop Header: Depth=1
	v_add_u32_e32 v4, s9, v1
	v_cmp_gt_i32_e32 vcc, s17, v4
	s_and_b64 s[14:15], s[0:1], vcc
	v_mov_b32_e32 v9, 0
	v_mov_b32_e32 v10, 0
	s_and_saveexec_b64 s[6:7], s[14:15]
	s_cbranch_execz .LBB667_5
; %bb.4:                                ;   in Loop: Header=BB667_3 Depth=1
	flat_load_dwordx2 v[9:10], v[7:8]
.LBB667_5:                              ;   in Loop: Header=BB667_3 Depth=1
	s_or_b64 exec, exec, s[6:7]
	v_add_u32_e32 v4, s9, v0
	v_cmp_le_i32_e32 vcc, s17, v4
	s_or_b64 s[6:7], s[2:3], vcc
	s_waitcnt vmcnt(0) lgkmcnt(0)
	ds_write_b64 v13, v[9:10]
	s_and_saveexec_b64 s[14:15], s[6:7]
	s_xor_b64 s[6:7], exec, s[14:15]
; %bb.6:                                ;   in Loop: Header=BB667_3 Depth=1
	v_mov_b32_e32 v4, v3
	ds_write_b64 v15, v[3:4]
; %bb.7:                                ;   in Loop: Header=BB667_3 Depth=1
	s_andn2_saveexec_b64 s[6:7], s[6:7]
	s_cbranch_execz .LBB667_2
; %bb.8:                                ;   in Loop: Header=BB667_3 Depth=1
	flat_load_dwordx2 v[9:10], v[5:6]
	s_waitcnt vmcnt(0) lgkmcnt(0)
	ds_write_b64 v15, v[9:10]
	s_branch .LBB667_2
.LBB667_9:
	v_mov_b32_e32 v17, 0
	v_mov_b32_e32 v16, 0
.LBB667_10:
	v_cmp_le_i32_e32 vcc, v11, v2
	v_cmp_gt_i32_e64 s[0:1], s16, v2
	s_and_b64 s[0:1], vcc, s[0:1]
	s_and_saveexec_b64 s[2:3], s[0:1]
	s_cbranch_execz .LBB667_12
; %bb.11:
	s_load_dword s0, s[4:5], 0x50
	v_ashrrev_i32_e32 v3, 31, v2
	s_waitcnt lgkmcnt(0)
	v_mov_b32_e32 v6, s11
	v_lshlrev_b64 v[2:3], 3, v[2:3]
	v_mul_f32_e32 v0, s13, v17
	v_mad_i64_i32 v[4:5], s[0:1], s0, v11, 0
	v_mul_f32_e32 v1, s12, v17
	v_fma_f32 v0, v16, s12, -v0
	v_lshlrev_b64 v[4:5], 3, v[4:5]
	v_fmac_f32_e32 v1, s13, v16
	v_add_co_u32_e32 v4, vcc, s10, v4
	v_addc_co_u32_e32 v5, vcc, v6, v5, vcc
	v_add_co_u32_e32 v2, vcc, v4, v2
	v_addc_co_u32_e32 v3, vcc, v5, v3, vcc
	flat_store_dwordx2 v[2:3], v[0:1]
.LBB667_12:
	s_endpgm
	.section	.rodata,"a",@progbits
	.p2align	6, 0x0
	.amdhsa_kernel _ZL32rocblas_syrkx_herkx_small_kernelIi19rocblas_complex_numIfELi16ELb1ELb0ELc67ELc76EKPKS1_KPS1_EviT_T0_PT6_S7_lSA_S7_lS8_PT7_S7_li
		.amdhsa_group_segment_fixed_size 4096
		.amdhsa_private_segment_fixed_size 0
		.amdhsa_kernarg_size 100
		.amdhsa_user_sgpr_count 6
		.amdhsa_user_sgpr_private_segment_buffer 1
		.amdhsa_user_sgpr_dispatch_ptr 0
		.amdhsa_user_sgpr_queue_ptr 0
		.amdhsa_user_sgpr_kernarg_segment_ptr 1
		.amdhsa_user_sgpr_dispatch_id 0
		.amdhsa_user_sgpr_flat_scratch_init 0
		.amdhsa_user_sgpr_private_segment_size 0
		.amdhsa_uses_dynamic_stack 0
		.amdhsa_system_sgpr_private_segment_wavefront_offset 0
		.amdhsa_system_sgpr_workgroup_id_x 1
		.amdhsa_system_sgpr_workgroup_id_y 1
		.amdhsa_system_sgpr_workgroup_id_z 1
		.amdhsa_system_sgpr_workgroup_info 0
		.amdhsa_system_vgpr_workitem_id 1
		.amdhsa_next_free_vgpr 52
		.amdhsa_next_free_sgpr 19
		.amdhsa_reserve_vcc 1
		.amdhsa_reserve_flat_scratch 0
		.amdhsa_float_round_mode_32 0
		.amdhsa_float_round_mode_16_64 0
		.amdhsa_float_denorm_mode_32 3
		.amdhsa_float_denorm_mode_16_64 3
		.amdhsa_dx10_clamp 1
		.amdhsa_ieee_mode 1
		.amdhsa_fp16_overflow 0
		.amdhsa_exception_fp_ieee_invalid_op 0
		.amdhsa_exception_fp_denorm_src 0
		.amdhsa_exception_fp_ieee_div_zero 0
		.amdhsa_exception_fp_ieee_overflow 0
		.amdhsa_exception_fp_ieee_underflow 0
		.amdhsa_exception_fp_ieee_inexact 0
		.amdhsa_exception_int_div_zero 0
	.end_amdhsa_kernel
	.section	.text._ZL32rocblas_syrkx_herkx_small_kernelIi19rocblas_complex_numIfELi16ELb1ELb0ELc67ELc76EKPKS1_KPS1_EviT_T0_PT6_S7_lSA_S7_lS8_PT7_S7_li,"axG",@progbits,_ZL32rocblas_syrkx_herkx_small_kernelIi19rocblas_complex_numIfELi16ELb1ELb0ELc67ELc76EKPKS1_KPS1_EviT_T0_PT6_S7_lSA_S7_lS8_PT7_S7_li,comdat
.Lfunc_end667:
	.size	_ZL32rocblas_syrkx_herkx_small_kernelIi19rocblas_complex_numIfELi16ELb1ELb0ELc67ELc76EKPKS1_KPS1_EviT_T0_PT6_S7_lSA_S7_lS8_PT7_S7_li, .Lfunc_end667-_ZL32rocblas_syrkx_herkx_small_kernelIi19rocblas_complex_numIfELi16ELb1ELb0ELc67ELc76EKPKS1_KPS1_EviT_T0_PT6_S7_lSA_S7_lS8_PT7_S7_li
                                        ; -- End function
	.set _ZL32rocblas_syrkx_herkx_small_kernelIi19rocblas_complex_numIfELi16ELb1ELb0ELc67ELc76EKPKS1_KPS1_EviT_T0_PT6_S7_lSA_S7_lS8_PT7_S7_li.num_vgpr, 52
	.set _ZL32rocblas_syrkx_herkx_small_kernelIi19rocblas_complex_numIfELi16ELb1ELb0ELc67ELc76EKPKS1_KPS1_EviT_T0_PT6_S7_lSA_S7_lS8_PT7_S7_li.num_agpr, 0
	.set _ZL32rocblas_syrkx_herkx_small_kernelIi19rocblas_complex_numIfELi16ELb1ELb0ELc67ELc76EKPKS1_KPS1_EviT_T0_PT6_S7_lSA_S7_lS8_PT7_S7_li.numbered_sgpr, 19
	.set _ZL32rocblas_syrkx_herkx_small_kernelIi19rocblas_complex_numIfELi16ELb1ELb0ELc67ELc76EKPKS1_KPS1_EviT_T0_PT6_S7_lSA_S7_lS8_PT7_S7_li.num_named_barrier, 0
	.set _ZL32rocblas_syrkx_herkx_small_kernelIi19rocblas_complex_numIfELi16ELb1ELb0ELc67ELc76EKPKS1_KPS1_EviT_T0_PT6_S7_lSA_S7_lS8_PT7_S7_li.private_seg_size, 0
	.set _ZL32rocblas_syrkx_herkx_small_kernelIi19rocblas_complex_numIfELi16ELb1ELb0ELc67ELc76EKPKS1_KPS1_EviT_T0_PT6_S7_lSA_S7_lS8_PT7_S7_li.uses_vcc, 1
	.set _ZL32rocblas_syrkx_herkx_small_kernelIi19rocblas_complex_numIfELi16ELb1ELb0ELc67ELc76EKPKS1_KPS1_EviT_T0_PT6_S7_lSA_S7_lS8_PT7_S7_li.uses_flat_scratch, 0
	.set _ZL32rocblas_syrkx_herkx_small_kernelIi19rocblas_complex_numIfELi16ELb1ELb0ELc67ELc76EKPKS1_KPS1_EviT_T0_PT6_S7_lSA_S7_lS8_PT7_S7_li.has_dyn_sized_stack, 0
	.set _ZL32rocblas_syrkx_herkx_small_kernelIi19rocblas_complex_numIfELi16ELb1ELb0ELc67ELc76EKPKS1_KPS1_EviT_T0_PT6_S7_lSA_S7_lS8_PT7_S7_li.has_recursion, 0
	.set _ZL32rocblas_syrkx_herkx_small_kernelIi19rocblas_complex_numIfELi16ELb1ELb0ELc67ELc76EKPKS1_KPS1_EviT_T0_PT6_S7_lSA_S7_lS8_PT7_S7_li.has_indirect_call, 0
	.section	.AMDGPU.csdata,"",@progbits
; Kernel info:
; codeLenInByte = 1204
; TotalNumSgprs: 23
; NumVgprs: 52
; ScratchSize: 0
; MemoryBound: 1
; FloatMode: 240
; IeeeMode: 1
; LDSByteSize: 4096 bytes/workgroup (compile time only)
; SGPRBlocks: 2
; VGPRBlocks: 12
; NumSGPRsForWavesPerEU: 23
; NumVGPRsForWavesPerEU: 52
; Occupancy: 4
; WaveLimiterHint : 1
; COMPUTE_PGM_RSRC2:SCRATCH_EN: 0
; COMPUTE_PGM_RSRC2:USER_SGPR: 6
; COMPUTE_PGM_RSRC2:TRAP_HANDLER: 0
; COMPUTE_PGM_RSRC2:TGID_X_EN: 1
; COMPUTE_PGM_RSRC2:TGID_Y_EN: 1
; COMPUTE_PGM_RSRC2:TGID_Z_EN: 1
; COMPUTE_PGM_RSRC2:TIDIG_COMP_CNT: 1
	.section	.text._ZL32rocblas_syrkx_herkx_small_kernelIi19rocblas_complex_numIfELi16ELb1ELb0ELc78ELc76EKPKS1_KPS1_EviT_T0_PT6_S7_lSA_S7_lS8_PT7_S7_li,"axG",@progbits,_ZL32rocblas_syrkx_herkx_small_kernelIi19rocblas_complex_numIfELi16ELb1ELb0ELc78ELc76EKPKS1_KPS1_EviT_T0_PT6_S7_lSA_S7_lS8_PT7_S7_li,comdat
	.globl	_ZL32rocblas_syrkx_herkx_small_kernelIi19rocblas_complex_numIfELi16ELb1ELb0ELc78ELc76EKPKS1_KPS1_EviT_T0_PT6_S7_lSA_S7_lS8_PT7_S7_li ; -- Begin function _ZL32rocblas_syrkx_herkx_small_kernelIi19rocblas_complex_numIfELi16ELb1ELb0ELc78ELc76EKPKS1_KPS1_EviT_T0_PT6_S7_lSA_S7_lS8_PT7_S7_li
	.p2align	8
	.type	_ZL32rocblas_syrkx_herkx_small_kernelIi19rocblas_complex_numIfELi16ELb1ELb0ELc78ELc76EKPKS1_KPS1_EviT_T0_PT6_S7_lSA_S7_lS8_PT7_S7_li,@function
_ZL32rocblas_syrkx_herkx_small_kernelIi19rocblas_complex_numIfELi16ELb1ELb0ELc78ELc76EKPKS1_KPS1_EviT_T0_PT6_S7_lSA_S7_lS8_PT7_S7_li: ; @_ZL32rocblas_syrkx_herkx_small_kernelIi19rocblas_complex_numIfELi16ELb1ELb0ELc78ELc76EKPKS1_KPS1_EviT_T0_PT6_S7_lSA_S7_lS8_PT7_S7_li
; %bb.0:
	s_load_dwordx2 s[0:1], s[4:5], 0x48
	s_load_dwordx2 s[16:17], s[4:5], 0x0
	s_load_dwordx4 s[12:15], s[4:5], 0x8
	s_mov_b32 s9, 0
	s_lshl_b64 s[2:3], s[8:9], 3
	s_waitcnt lgkmcnt(0)
	s_add_u32 s0, s0, s2
	s_addc_u32 s1, s1, s3
	s_load_dwordx2 s[10:11], s[0:1], 0x0
	v_lshl_add_u32 v2, s6, 4, v0
	v_lshl_add_u32 v4, s7, 4, v1
	s_cmp_lt_i32 s17, 1
	v_cmp_gt_i32_e64 s[0:1], s16, v2
	v_ashrrev_i32_e32 v3, 31, v2
	s_cbranch_scc1 .LBB668_9
; %bb.1:
	s_load_dword s18, s[4:5], 0x18
	s_load_dword s6, s[4:5], 0x30
	s_load_dwordx2 s[20:21], s[4:5], 0x28
	v_lshlrev_b32_e32 v5, 7, v1
	v_lshlrev_b32_e32 v12, 3, v0
	s_waitcnt lgkmcnt(0)
	s_ashr_i32 s19, s18, 31
	s_ashr_i32 s7, s6, 31
	s_add_u32 s20, s20, s2
	s_addc_u32 s21, s21, s3
	s_add_u32 s2, s14, s2
	s_addc_u32 s3, s15, s3
	s_load_dwordx2 s[14:15], s[2:3], 0x0
	v_mad_i64_i32 v[6:7], s[2:3], s6, v0, 0
	v_add_u32_e32 v13, v12, v5
	v_add_u32_e32 v14, 0x800, v5
	v_ashrrev_i32_e32 v5, 31, v4
	v_lshlrev_b64 v[6:7], 3, v[6:7]
	v_lshlrev_b64 v[8:9], 3, v[4:5]
	s_load_dwordx2 s[20:21], s[20:21], 0x0
	v_add_co_u32_e64 v5, s[2:3], v6, v8
	v_addc_co_u32_e64 v6, s[2:3], v7, v9, s[2:3]
	v_mad_i64_i32 v[7:8], s[2:3], s18, v1, 0
	s_waitcnt lgkmcnt(0)
	v_mov_b32_e32 v9, s21
	v_add_co_u32_e64 v5, s[2:3], s20, v5
	v_addc_co_u32_e64 v6, s[2:3], v9, v6, s[2:3]
	v_lshlrev_b64 v[7:8], 3, v[7:8]
	v_lshlrev_b64 v[9:10], 3, v[2:3]
	s_lshl_b64 s[6:7], s[6:7], 7
	v_add_co_u32_e64 v7, s[2:3], v7, v9
	v_addc_co_u32_e64 v8, s[2:3], v8, v10, s[2:3]
	v_mov_b32_e32 v9, s15
	v_add_co_u32_e64 v7, s[2:3], s14, v7
	v_addc_co_u32_e64 v8, s[2:3], v9, v8, s[2:3]
	s_lshl_b64 s[2:3], s[18:19], 7
	v_cmp_gt_i32_e32 vcc, s16, v4
	v_add_u32_e32 v15, v14, v12
	v_mov_b32_e32 v9, 0
	s_xor_b64 s[14:15], s[0:1], -1
	v_mov_b32_e32 v16, s7
	v_mov_b32_e32 v18, s3
	;; [unrolled: 1-line block ×4, first 2 shown]
	s_branch .LBB668_3
.LBB668_2:                              ;   in Loop: Header=BB668_3 Depth=1
	s_or_b64 exec, exec, s[0:1]
	s_waitcnt vmcnt(0) lgkmcnt(0)
	ds_write_b64 v15, v[10:11]
	s_waitcnt lgkmcnt(0)
	s_barrier
	ds_read2_b64 v[20:23], v12 offset1:16
	ds_read_b128 v[24:27], v14
	ds_read_b128 v[28:31], v14 offset:16
	ds_read2_b64 v[32:35], v12 offset0:32 offset1:48
	v_add_co_u32_e64 v5, s[0:1], s6, v5
	s_waitcnt lgkmcnt(2)
	v_mul_f32_e32 v10, v25, v21
	v_mul_f32_e32 v11, v24, v21
	v_fma_f32 v10, v24, v20, -v10
	v_fmac_f32_e32 v11, v25, v20
	v_mul_f32_e32 v20, v27, v23
	v_fma_f32 v36, v26, v22, -v20
	v_mul_f32_e32 v37, v26, v23
	s_waitcnt lgkmcnt(0)
	v_mul_f32_e32 v20, v29, v33
	v_fmac_f32_e32 v37, v27, v22
	v_fma_f32 v38, v28, v32, -v20
	ds_read2_b64 v[20:23], v12 offset0:64 offset1:80
	ds_read_b128 v[24:27], v14 offset:32
	v_mul_f32_e32 v39, v28, v33
	v_fmac_f32_e32 v39, v29, v32
	v_mul_f32_e32 v28, v31, v35
	v_mul_f32_e32 v41, v30, v35
	s_waitcnt lgkmcnt(0)
	v_mul_f32_e32 v32, v25, v21
	v_fma_f32 v40, v30, v34, -v28
	v_fmac_f32_e32 v41, v31, v34
	ds_read_b128 v[28:31], v14 offset:48
	v_fma_f32 v42, v24, v20, -v32
	ds_read2_b64 v[32:35], v12 offset0:96 offset1:112
	v_mul_f32_e32 v43, v24, v21
	v_fmac_f32_e32 v43, v25, v20
	v_mul_f32_e32 v20, v27, v23
	v_fma_f32 v44, v26, v22, -v20
	v_mul_f32_e32 v45, v26, v23
	s_waitcnt lgkmcnt(0)
	v_mul_f32_e32 v20, v29, v33
	v_fmac_f32_e32 v45, v27, v22
	v_fma_f32 v46, v28, v32, -v20
	ds_read2_b64 v[20:23], v12 offset0:128 offset1:144
	ds_read_b128 v[24:27], v14 offset:64
	v_mul_f32_e32 v47, v28, v33
	v_fmac_f32_e32 v47, v29, v32
	v_mul_f32_e32 v28, v31, v35
	v_mul_f32_e32 v49, v30, v35
	s_waitcnt lgkmcnt(0)
	v_mul_f32_e32 v32, v25, v21
	v_fma_f32 v48, v30, v34, -v28
	v_fmac_f32_e32 v49, v31, v34
	ds_read_b128 v[28:31], v14 offset:80
	v_fma_f32 v50, v24, v20, -v32
	ds_read2_b64 v[32:35], v12 offset0:160 offset1:176
	v_mul_f32_e32 v51, v24, v21
	v_fmac_f32_e32 v51, v25, v20
	v_mul_f32_e32 v20, v27, v23
	v_fma_f32 v52, v26, v22, -v20
	v_mul_f32_e32 v53, v26, v23
	s_waitcnt lgkmcnt(0)
	v_mul_f32_e32 v20, v29, v33
	v_add_f32_e32 v10, v17, v10
	v_add_f32_e32 v11, v19, v11
	v_fmac_f32_e32 v53, v27, v22
	v_fma_f32 v54, v28, v32, -v20
	ds_read2_b64 v[20:23], v12 offset0:192 offset1:208
	ds_read_b128 v[24:27], v14 offset:96
	v_add_f32_e32 v10, v10, v36
	v_add_f32_e32 v11, v11, v37
	;; [unrolled: 1-line block ×8, first 2 shown]
	v_mul_f32_e32 v55, v28, v33
	v_add_f32_e32 v10, v10, v44
	v_add_f32_e32 v11, v11, v45
	v_fmac_f32_e32 v55, v29, v32
	v_mul_f32_e32 v28, v31, v35
	v_mul_f32_e32 v57, v30, v35
	s_waitcnt lgkmcnt(0)
	v_mul_f32_e32 v32, v25, v21
	v_add_f32_e32 v10, v10, v46
	v_add_f32_e32 v11, v11, v47
	v_fma_f32 v56, v30, v34, -v28
	v_fmac_f32_e32 v57, v31, v34
	ds_read_b128 v[28:31], v14 offset:112
	v_fma_f32 v58, v24, v20, -v32
	ds_read2_b64 v[32:35], v12 offset0:224 offset1:240
	v_add_f32_e32 v10, v10, v48
	v_add_f32_e32 v11, v11, v49
	;; [unrolled: 1-line block ×6, first 2 shown]
	v_mul_f32_e32 v21, v24, v21
	v_add_f32_e32 v10, v10, v54
	v_add_f32_e32 v11, v11, v55
	v_fmac_f32_e32 v21, v25, v20
	v_mul_f32_e32 v20, v27, v23
	v_mul_f32_e32 v23, v26, v23
	v_add_f32_e32 v10, v10, v56
	v_add_f32_e32 v11, v11, v57
	v_fma_f32 v20, v26, v22, -v20
	v_fmac_f32_e32 v23, v27, v22
	s_waitcnt lgkmcnt(0)
	v_mul_f32_e32 v22, v29, v33
	v_mul_f32_e32 v24, v28, v33
	v_add_f32_e32 v10, v10, v58
	v_add_f32_e32 v11, v11, v21
	v_fma_f32 v22, v28, v32, -v22
	v_fmac_f32_e32 v24, v29, v32
	v_mul_f32_e32 v25, v31, v35
	v_mul_f32_e32 v26, v30, v35
	v_add_f32_e32 v10, v10, v20
	v_add_f32_e32 v11, v11, v23
	v_addc_co_u32_e64 v6, s[0:1], v6, v16, s[0:1]
	v_fma_f32 v25, v30, v34, -v25
	v_fmac_f32_e32 v26, v31, v34
	v_add_f32_e32 v10, v10, v22
	v_add_f32_e32 v11, v11, v24
	s_add_i32 s9, s9, 16
	v_add_co_u32_e64 v7, s[0:1], s2, v7
	v_add_f32_e32 v17, v10, v25
	v_add_f32_e32 v19, v11, v26
	s_cmp_ge_i32 s9, s17
	v_addc_co_u32_e64 v8, s[0:1], v8, v18, s[0:1]
	s_barrier
	s_cbranch_scc1 .LBB668_10
.LBB668_3:                              ; =>This Inner Loop Header: Depth=1
	v_add_u32_e32 v10, s9, v1
	v_cmp_le_i32_e64 s[0:1], s17, v10
	s_or_b64 s[0:1], s[14:15], s[0:1]
	s_and_saveexec_b64 s[18:19], s[0:1]
	s_xor_b64 s[0:1], exec, s[18:19]
; %bb.4:                                ;   in Loop: Header=BB668_3 Depth=1
	v_mov_b32_e32 v10, v9
	ds_write_b64 v13, v[9:10]
; %bb.5:                                ;   in Loop: Header=BB668_3 Depth=1
	s_andn2_saveexec_b64 s[0:1], s[0:1]
	s_cbranch_execz .LBB668_7
; %bb.6:                                ;   in Loop: Header=BB668_3 Depth=1
	flat_load_dwordx2 v[10:11], v[7:8]
	s_waitcnt vmcnt(0) lgkmcnt(0)
	ds_write_b64 v13, v[10:11]
.LBB668_7:                              ;   in Loop: Header=BB668_3 Depth=1
	s_or_b64 exec, exec, s[0:1]
	v_add_u32_e32 v10, s9, v0
	v_cmp_gt_i32_e64 s[0:1], s17, v10
	s_and_b64 s[18:19], vcc, s[0:1]
	v_mov_b32_e32 v10, 0
	v_mov_b32_e32 v11, 0
	s_and_saveexec_b64 s[0:1], s[18:19]
	s_cbranch_execz .LBB668_2
; %bb.8:                                ;   in Loop: Header=BB668_3 Depth=1
	flat_load_dwordx2 v[10:11], v[5:6]
	s_branch .LBB668_2
.LBB668_9:
	v_mov_b32_e32 v19, 0
	v_mov_b32_e32 v17, 0
.LBB668_10:
	v_cmp_le_i32_e32 vcc, v4, v2
	v_cmp_gt_i32_e64 s[0:1], s16, v2
	s_and_b64 s[0:1], vcc, s[0:1]
	s_and_saveexec_b64 s[2:3], s[0:1]
	s_cbranch_execz .LBB668_12
; %bb.11:
	s_load_dword s0, s[4:5], 0x50
	s_waitcnt lgkmcnt(0)
	v_mov_b32_e32 v6, s11
	v_lshlrev_b64 v[2:3], 3, v[2:3]
	v_mul_f32_e32 v0, s13, v19
	v_mul_f32_e32 v1, s12, v19
	v_mad_i64_i32 v[4:5], s[0:1], s0, v4, 0
	v_fma_f32 v0, v17, s12, -v0
	v_fmac_f32_e32 v1, s13, v17
	v_lshlrev_b64 v[4:5], 3, v[4:5]
	v_add_co_u32_e32 v4, vcc, s10, v4
	v_addc_co_u32_e32 v5, vcc, v6, v5, vcc
	v_add_co_u32_e32 v2, vcc, v4, v2
	v_addc_co_u32_e32 v3, vcc, v5, v3, vcc
	flat_store_dwordx2 v[2:3], v[0:1]
.LBB668_12:
	s_endpgm
	.section	.rodata,"a",@progbits
	.p2align	6, 0x0
	.amdhsa_kernel _ZL32rocblas_syrkx_herkx_small_kernelIi19rocblas_complex_numIfELi16ELb1ELb0ELc78ELc76EKPKS1_KPS1_EviT_T0_PT6_S7_lSA_S7_lS8_PT7_S7_li
		.amdhsa_group_segment_fixed_size 4096
		.amdhsa_private_segment_fixed_size 0
		.amdhsa_kernarg_size 100
		.amdhsa_user_sgpr_count 6
		.amdhsa_user_sgpr_private_segment_buffer 1
		.amdhsa_user_sgpr_dispatch_ptr 0
		.amdhsa_user_sgpr_queue_ptr 0
		.amdhsa_user_sgpr_kernarg_segment_ptr 1
		.amdhsa_user_sgpr_dispatch_id 0
		.amdhsa_user_sgpr_flat_scratch_init 0
		.amdhsa_user_sgpr_private_segment_size 0
		.amdhsa_uses_dynamic_stack 0
		.amdhsa_system_sgpr_private_segment_wavefront_offset 0
		.amdhsa_system_sgpr_workgroup_id_x 1
		.amdhsa_system_sgpr_workgroup_id_y 1
		.amdhsa_system_sgpr_workgroup_id_z 1
		.amdhsa_system_sgpr_workgroup_info 0
		.amdhsa_system_vgpr_workitem_id 1
		.amdhsa_next_free_vgpr 59
		.amdhsa_next_free_sgpr 22
		.amdhsa_reserve_vcc 1
		.amdhsa_reserve_flat_scratch 0
		.amdhsa_float_round_mode_32 0
		.amdhsa_float_round_mode_16_64 0
		.amdhsa_float_denorm_mode_32 3
		.amdhsa_float_denorm_mode_16_64 3
		.amdhsa_dx10_clamp 1
		.amdhsa_ieee_mode 1
		.amdhsa_fp16_overflow 0
		.amdhsa_exception_fp_ieee_invalid_op 0
		.amdhsa_exception_fp_denorm_src 0
		.amdhsa_exception_fp_ieee_div_zero 0
		.amdhsa_exception_fp_ieee_overflow 0
		.amdhsa_exception_fp_ieee_underflow 0
		.amdhsa_exception_fp_ieee_inexact 0
		.amdhsa_exception_int_div_zero 0
	.end_amdhsa_kernel
	.section	.text._ZL32rocblas_syrkx_herkx_small_kernelIi19rocblas_complex_numIfELi16ELb1ELb0ELc78ELc76EKPKS1_KPS1_EviT_T0_PT6_S7_lSA_S7_lS8_PT7_S7_li,"axG",@progbits,_ZL32rocblas_syrkx_herkx_small_kernelIi19rocblas_complex_numIfELi16ELb1ELb0ELc78ELc76EKPKS1_KPS1_EviT_T0_PT6_S7_lSA_S7_lS8_PT7_S7_li,comdat
.Lfunc_end668:
	.size	_ZL32rocblas_syrkx_herkx_small_kernelIi19rocblas_complex_numIfELi16ELb1ELb0ELc78ELc76EKPKS1_KPS1_EviT_T0_PT6_S7_lSA_S7_lS8_PT7_S7_li, .Lfunc_end668-_ZL32rocblas_syrkx_herkx_small_kernelIi19rocblas_complex_numIfELi16ELb1ELb0ELc78ELc76EKPKS1_KPS1_EviT_T0_PT6_S7_lSA_S7_lS8_PT7_S7_li
                                        ; -- End function
	.set _ZL32rocblas_syrkx_herkx_small_kernelIi19rocblas_complex_numIfELi16ELb1ELb0ELc78ELc76EKPKS1_KPS1_EviT_T0_PT6_S7_lSA_S7_lS8_PT7_S7_li.num_vgpr, 59
	.set _ZL32rocblas_syrkx_herkx_small_kernelIi19rocblas_complex_numIfELi16ELb1ELb0ELc78ELc76EKPKS1_KPS1_EviT_T0_PT6_S7_lSA_S7_lS8_PT7_S7_li.num_agpr, 0
	.set _ZL32rocblas_syrkx_herkx_small_kernelIi19rocblas_complex_numIfELi16ELb1ELb0ELc78ELc76EKPKS1_KPS1_EviT_T0_PT6_S7_lSA_S7_lS8_PT7_S7_li.numbered_sgpr, 22
	.set _ZL32rocblas_syrkx_herkx_small_kernelIi19rocblas_complex_numIfELi16ELb1ELb0ELc78ELc76EKPKS1_KPS1_EviT_T0_PT6_S7_lSA_S7_lS8_PT7_S7_li.num_named_barrier, 0
	.set _ZL32rocblas_syrkx_herkx_small_kernelIi19rocblas_complex_numIfELi16ELb1ELb0ELc78ELc76EKPKS1_KPS1_EviT_T0_PT6_S7_lSA_S7_lS8_PT7_S7_li.private_seg_size, 0
	.set _ZL32rocblas_syrkx_herkx_small_kernelIi19rocblas_complex_numIfELi16ELb1ELb0ELc78ELc76EKPKS1_KPS1_EviT_T0_PT6_S7_lSA_S7_lS8_PT7_S7_li.uses_vcc, 1
	.set _ZL32rocblas_syrkx_herkx_small_kernelIi19rocblas_complex_numIfELi16ELb1ELb0ELc78ELc76EKPKS1_KPS1_EviT_T0_PT6_S7_lSA_S7_lS8_PT7_S7_li.uses_flat_scratch, 0
	.set _ZL32rocblas_syrkx_herkx_small_kernelIi19rocblas_complex_numIfELi16ELb1ELb0ELc78ELc76EKPKS1_KPS1_EviT_T0_PT6_S7_lSA_S7_lS8_PT7_S7_li.has_dyn_sized_stack, 0
	.set _ZL32rocblas_syrkx_herkx_small_kernelIi19rocblas_complex_numIfELi16ELb1ELb0ELc78ELc76EKPKS1_KPS1_EviT_T0_PT6_S7_lSA_S7_lS8_PT7_S7_li.has_recursion, 0
	.set _ZL32rocblas_syrkx_herkx_small_kernelIi19rocblas_complex_numIfELi16ELb1ELb0ELc78ELc76EKPKS1_KPS1_EviT_T0_PT6_S7_lSA_S7_lS8_PT7_S7_li.has_indirect_call, 0
	.section	.AMDGPU.csdata,"",@progbits
; Kernel info:
; codeLenInByte = 1260
; TotalNumSgprs: 26
; NumVgprs: 59
; ScratchSize: 0
; MemoryBound: 1
; FloatMode: 240
; IeeeMode: 1
; LDSByteSize: 4096 bytes/workgroup (compile time only)
; SGPRBlocks: 3
; VGPRBlocks: 14
; NumSGPRsForWavesPerEU: 26
; NumVGPRsForWavesPerEU: 59
; Occupancy: 4
; WaveLimiterHint : 1
; COMPUTE_PGM_RSRC2:SCRATCH_EN: 0
; COMPUTE_PGM_RSRC2:USER_SGPR: 6
; COMPUTE_PGM_RSRC2:TRAP_HANDLER: 0
; COMPUTE_PGM_RSRC2:TGID_X_EN: 1
; COMPUTE_PGM_RSRC2:TGID_Y_EN: 1
; COMPUTE_PGM_RSRC2:TGID_Z_EN: 1
; COMPUTE_PGM_RSRC2:TIDIG_COMP_CNT: 1
	.section	.text._ZL32rocblas_syrkx_herkx_small_kernelIi19rocblas_complex_numIfELi16ELb1ELb0ELc84ELc85EKPKS1_KPS1_EviT_T0_PT6_S7_lSA_S7_lS8_PT7_S7_li,"axG",@progbits,_ZL32rocblas_syrkx_herkx_small_kernelIi19rocblas_complex_numIfELi16ELb1ELb0ELc84ELc85EKPKS1_KPS1_EviT_T0_PT6_S7_lSA_S7_lS8_PT7_S7_li,comdat
	.globl	_ZL32rocblas_syrkx_herkx_small_kernelIi19rocblas_complex_numIfELi16ELb1ELb0ELc84ELc85EKPKS1_KPS1_EviT_T0_PT6_S7_lSA_S7_lS8_PT7_S7_li ; -- Begin function _ZL32rocblas_syrkx_herkx_small_kernelIi19rocblas_complex_numIfELi16ELb1ELb0ELc84ELc85EKPKS1_KPS1_EviT_T0_PT6_S7_lSA_S7_lS8_PT7_S7_li
	.p2align	8
	.type	_ZL32rocblas_syrkx_herkx_small_kernelIi19rocblas_complex_numIfELi16ELb1ELb0ELc84ELc85EKPKS1_KPS1_EviT_T0_PT6_S7_lSA_S7_lS8_PT7_S7_li,@function
_ZL32rocblas_syrkx_herkx_small_kernelIi19rocblas_complex_numIfELi16ELb1ELb0ELc84ELc85EKPKS1_KPS1_EviT_T0_PT6_S7_lSA_S7_lS8_PT7_S7_li: ; @_ZL32rocblas_syrkx_herkx_small_kernelIi19rocblas_complex_numIfELi16ELb1ELb0ELc84ELc85EKPKS1_KPS1_EviT_T0_PT6_S7_lSA_S7_lS8_PT7_S7_li
; %bb.0:
	s_load_dwordx2 s[0:1], s[4:5], 0x48
	s_load_dwordx2 s[16:17], s[4:5], 0x0
	s_load_dwordx4 s[12:15], s[4:5], 0x8
	s_mov_b32 s9, 0
	s_lshl_b64 s[2:3], s[8:9], 3
	s_waitcnt lgkmcnt(0)
	s_add_u32 s0, s0, s2
	s_addc_u32 s1, s1, s3
	s_load_dwordx2 s[10:11], s[0:1], 0x0
	v_lshl_add_u32 v9, s7, 4, v1
	v_lshl_add_u32 v2, s6, 4, v0
	s_cmp_lt_i32 s17, 1
	v_cmp_gt_i32_e32 vcc, s16, v9
	s_cbranch_scc1 .LBB669_11
; %bb.1:
	s_load_dwordx2 s[6:7], s[4:5], 0x28
	s_load_dword s8, s[4:5], 0x18
	s_load_dword s18, s[4:5], 0x30
	v_lshlrev_b32_e32 v5, 7, v1
	v_lshlrev_b32_e32 v10, 3, v0
	s_waitcnt lgkmcnt(0)
	s_add_u32 s6, s6, s2
	s_addc_u32 s7, s7, s3
	s_add_u32 s2, s14, s2
	s_addc_u32 s3, s15, s3
	s_load_dwordx2 s[14:15], s[2:3], 0x0
	v_mad_i64_i32 v[3:4], s[2:3], s18, v9, 0
	v_add_u32_e32 v11, v10, v5
	v_add_u32_e32 v12, 0x800, v5
	v_lshlrev_b64 v[4:5], 3, v[3:4]
	s_load_dwordx2 s[6:7], s[6:7], 0x0
	v_add_co_u32_e64 v4, s[2:3], v4, v10
	v_addc_co_u32_e64 v6, s[2:3], 0, v5, s[2:3]
	v_mad_i64_i32 v[7:8], s[2:3], s8, v2, 0
	s_waitcnt lgkmcnt(0)
	v_mov_b32_e32 v14, s7
	v_add_co_u32_e64 v5, s[2:3], s6, v4
	v_lshlrev_b64 v[7:8], 3, v[7:8]
	v_addc_co_u32_e64 v6, s[2:3], v14, v6, s[2:3]
	v_lshlrev_b32_e32 v4, 3, v1
	v_add_co_u32_e64 v4, s[2:3], v7, v4
	v_addc_co_u32_e64 v8, s[2:3], 0, v8, s[2:3]
	v_mov_b32_e32 v14, s15
	v_add_co_u32_e64 v7, s[2:3], s14, v4
	v_cmp_gt_i32_e64 s[0:1], s16, v2
	v_addc_co_u32_e64 v8, s[2:3], v14, v8, s[2:3]
	v_add_u32_e32 v13, v12, v10
	v_mov_b32_e32 v3, 0
	s_xor_b64 s[0:1], s[0:1], -1
	s_xor_b64 s[2:3], vcc, -1
	v_mov_b32_e32 v15, 0
	v_mov_b32_e32 v14, 0
	s_branch .LBB669_3
.LBB669_2:                              ;   in Loop: Header=BB669_3 Depth=1
	s_or_b64 exec, exec, s[6:7]
	s_waitcnt lgkmcnt(0)
	s_barrier
	ds_read2_b64 v[16:19], v10 offset1:16
	ds_read_b128 v[20:23], v12
	ds_read_b128 v[24:27], v12 offset:16
	ds_read2_b64 v[28:31], v10 offset0:32 offset1:48
	v_add_co_u32_e32 v5, vcc, 0x80, v5
	s_waitcnt lgkmcnt(2)
	v_mul_f32_e32 v4, v21, v17
	v_mul_f32_e32 v32, v20, v17
	v_fma_f32 v4, v20, v16, -v4
	v_fmac_f32_e32 v32, v21, v16
	v_mul_f32_e32 v16, v23, v19
	v_fma_f32 v33, v22, v18, -v16
	v_mul_f32_e32 v34, v22, v19
	s_waitcnt lgkmcnt(0)
	v_mul_f32_e32 v16, v25, v29
	v_fmac_f32_e32 v34, v23, v18
	v_fma_f32 v35, v24, v28, -v16
	ds_read2_b64 v[16:19], v10 offset0:64 offset1:80
	ds_read_b128 v[20:23], v12 offset:32
	v_mul_f32_e32 v36, v24, v29
	v_fmac_f32_e32 v36, v25, v28
	v_mul_f32_e32 v24, v27, v31
	v_mul_f32_e32 v38, v26, v31
	s_waitcnt lgkmcnt(0)
	v_mul_f32_e32 v28, v21, v17
	v_fma_f32 v37, v26, v30, -v24
	v_fmac_f32_e32 v38, v27, v30
	ds_read_b128 v[24:27], v12 offset:48
	v_fma_f32 v39, v20, v16, -v28
	ds_read2_b64 v[28:31], v10 offset0:96 offset1:112
	v_mul_f32_e32 v40, v20, v17
	v_fmac_f32_e32 v40, v21, v16
	v_mul_f32_e32 v16, v23, v19
	v_fma_f32 v41, v22, v18, -v16
	v_mul_f32_e32 v42, v22, v19
	s_waitcnt lgkmcnt(0)
	v_mul_f32_e32 v16, v25, v29
	v_fmac_f32_e32 v42, v23, v18
	v_fma_f32 v43, v24, v28, -v16
	ds_read2_b64 v[16:19], v10 offset0:128 offset1:144
	ds_read_b128 v[20:23], v12 offset:64
	v_mul_f32_e32 v44, v24, v29
	v_fmac_f32_e32 v44, v25, v28
	v_mul_f32_e32 v24, v27, v31
	v_mul_f32_e32 v46, v26, v31
	s_waitcnt lgkmcnt(0)
	v_mul_f32_e32 v28, v21, v17
	v_fma_f32 v45, v26, v30, -v24
	v_fmac_f32_e32 v46, v27, v30
	ds_read_b128 v[24:27], v12 offset:80
	v_fma_f32 v47, v20, v16, -v28
	ds_read2_b64 v[28:31], v10 offset0:160 offset1:176
	v_mul_f32_e32 v48, v20, v17
	v_add_f32_e32 v4, v14, v4
	v_add_f32_e32 v14, v15, v32
	v_fmac_f32_e32 v48, v21, v16
	v_mul_f32_e32 v16, v23, v19
	v_add_f32_e32 v14, v14, v34
	v_fma_f32 v49, v22, v18, -v16
	v_mul_f32_e32 v50, v22, v19
	s_waitcnt lgkmcnt(0)
	v_mul_f32_e32 v16, v25, v29
	v_add_f32_e32 v14, v14, v36
	v_fmac_f32_e32 v50, v23, v18
	v_fma_f32 v51, v24, v28, -v16
	ds_read2_b64 v[16:19], v10 offset0:192 offset1:208
	ds_read_b128 v[20:23], v12 offset:96
	v_add_f32_e32 v14, v14, v38
	v_add_f32_e32 v14, v14, v40
	v_add_f32_e32 v4, v4, v33
	v_add_f32_e32 v14, v14, v42
	v_add_f32_e32 v4, v4, v35
	v_add_f32_e32 v14, v14, v44
	v_mul_f32_e32 v29, v24, v29
	v_mul_f32_e32 v24, v27, v31
	;; [unrolled: 1-line block ×3, first 2 shown]
	v_add_f32_e32 v4, v4, v37
	v_add_f32_e32 v14, v14, v46
	v_fmac_f32_e32 v29, v25, v28
	v_fma_f32 v28, v26, v30, -v24
	v_fmac_f32_e32 v31, v27, v30
	s_waitcnt lgkmcnt(0)
	v_mul_f32_e32 v30, v21, v17
	v_add_f32_e32 v4, v4, v39
	v_add_f32_e32 v14, v14, v48
	v_fma_f32 v30, v20, v16, -v30
	v_mul_f32_e32 v20, v20, v17
	v_add_f32_e32 v4, v4, v41
	v_add_f32_e32 v14, v14, v50
	v_fmac_f32_e32 v20, v21, v16
	v_mul_f32_e32 v16, v23, v19
	v_mul_f32_e32 v19, v22, v19
	v_add_f32_e32 v4, v4, v43
	v_add_f32_e32 v14, v14, v29
	ds_read_b128 v[24:27], v12 offset:112
	v_fma_f32 v21, v22, v18, -v16
	v_fmac_f32_e32 v19, v23, v18
	v_add_f32_e32 v4, v4, v45
	v_add_f32_e32 v18, v14, v31
	ds_read2_b64 v[14:17], v10 offset0:224 offset1:240
	v_add_f32_e32 v4, v4, v47
	v_add_f32_e32 v4, v4, v49
	;; [unrolled: 1-line block ×7, first 2 shown]
	s_waitcnt lgkmcnt(0)
	v_mul_f32_e32 v19, v25, v15
	v_mul_f32_e32 v15, v24, v15
	v_add_f32_e32 v4, v4, v21
	v_fma_f32 v19, v24, v14, -v19
	v_fmac_f32_e32 v15, v25, v14
	v_mul_f32_e32 v14, v27, v17
	v_mul_f32_e32 v17, v26, v17
	v_addc_co_u32_e32 v6, vcc, 0, v6, vcc
	v_add_f32_e32 v4, v4, v19
	v_add_f32_e32 v15, v18, v15
	v_fma_f32 v14, v26, v16, -v14
	v_fmac_f32_e32 v17, v27, v16
	s_add_i32 s9, s9, 16
	v_add_co_u32_e32 v7, vcc, 0x80, v7
	v_add_f32_e32 v14, v4, v14
	v_add_f32_e32 v15, v15, v17
	s_cmp_ge_i32 s9, s17
	v_addc_co_u32_e32 v8, vcc, 0, v8, vcc
	s_barrier
	s_cbranch_scc1 .LBB669_12
.LBB669_3:                              ; =>This Inner Loop Header: Depth=1
	v_add_u32_e32 v4, s9, v1
	v_cmp_le_i32_e32 vcc, s17, v4
	s_or_b64 s[6:7], s[0:1], vcc
	s_and_saveexec_b64 s[14:15], s[6:7]
	s_xor_b64 s[6:7], exec, s[14:15]
; %bb.4:                                ;   in Loop: Header=BB669_3 Depth=1
	v_mov_b32_e32 v4, v3
	ds_write_b64 v11, v[3:4]
; %bb.5:                                ;   in Loop: Header=BB669_3 Depth=1
	s_andn2_saveexec_b64 s[6:7], s[6:7]
	s_cbranch_execz .LBB669_7
; %bb.6:                                ;   in Loop: Header=BB669_3 Depth=1
	flat_load_dwordx2 v[16:17], v[7:8]
	s_waitcnt vmcnt(0) lgkmcnt(0)
	ds_write_b64 v11, v[16:17]
.LBB669_7:                              ;   in Loop: Header=BB669_3 Depth=1
	s_or_b64 exec, exec, s[6:7]
	v_add_u32_e32 v4, s9, v0
	v_cmp_le_i32_e32 vcc, s17, v4
	s_or_b64 s[6:7], s[2:3], vcc
	s_and_saveexec_b64 s[14:15], s[6:7]
	s_xor_b64 s[6:7], exec, s[14:15]
; %bb.8:                                ;   in Loop: Header=BB669_3 Depth=1
	v_mov_b32_e32 v4, v3
	ds_write_b64 v13, v[3:4]
; %bb.9:                                ;   in Loop: Header=BB669_3 Depth=1
	s_andn2_saveexec_b64 s[6:7], s[6:7]
	s_cbranch_execz .LBB669_2
; %bb.10:                               ;   in Loop: Header=BB669_3 Depth=1
	flat_load_dwordx2 v[16:17], v[5:6]
	s_waitcnt vmcnt(0) lgkmcnt(0)
	ds_write_b64 v13, v[16:17]
	s_branch .LBB669_2
.LBB669_11:
	v_mov_b32_e32 v15, 0
	v_mov_b32_e32 v14, 0
.LBB669_12:
	v_cmp_le_i32_e32 vcc, v2, v9
	v_cmp_gt_i32_e64 s[0:1], s16, v9
	s_and_b64 s[0:1], vcc, s[0:1]
	s_and_saveexec_b64 s[2:3], s[0:1]
	s_cbranch_execz .LBB669_14
; %bb.13:
	s_load_dword s0, s[4:5], 0x50
	v_ashrrev_i32_e32 v3, 31, v2
	s_waitcnt lgkmcnt(0)
	v_mov_b32_e32 v6, s11
	v_lshlrev_b64 v[2:3], 3, v[2:3]
	v_mul_f32_e32 v0, s13, v15
	v_mad_i64_i32 v[4:5], s[0:1], s0, v9, 0
	v_mul_f32_e32 v1, s12, v15
	v_fma_f32 v0, v14, s12, -v0
	v_lshlrev_b64 v[4:5], 3, v[4:5]
	v_fmac_f32_e32 v1, s13, v14
	v_add_co_u32_e32 v4, vcc, s10, v4
	v_addc_co_u32_e32 v5, vcc, v6, v5, vcc
	v_add_co_u32_e32 v2, vcc, v4, v2
	v_addc_co_u32_e32 v3, vcc, v5, v3, vcc
	flat_store_dwordx2 v[2:3], v[0:1]
.LBB669_14:
	s_endpgm
	.section	.rodata,"a",@progbits
	.p2align	6, 0x0
	.amdhsa_kernel _ZL32rocblas_syrkx_herkx_small_kernelIi19rocblas_complex_numIfELi16ELb1ELb0ELc84ELc85EKPKS1_KPS1_EviT_T0_PT6_S7_lSA_S7_lS8_PT7_S7_li
		.amdhsa_group_segment_fixed_size 4096
		.amdhsa_private_segment_fixed_size 0
		.amdhsa_kernarg_size 100
		.amdhsa_user_sgpr_count 6
		.amdhsa_user_sgpr_private_segment_buffer 1
		.amdhsa_user_sgpr_dispatch_ptr 0
		.amdhsa_user_sgpr_queue_ptr 0
		.amdhsa_user_sgpr_kernarg_segment_ptr 1
		.amdhsa_user_sgpr_dispatch_id 0
		.amdhsa_user_sgpr_flat_scratch_init 0
		.amdhsa_user_sgpr_private_segment_size 0
		.amdhsa_uses_dynamic_stack 0
		.amdhsa_system_sgpr_private_segment_wavefront_offset 0
		.amdhsa_system_sgpr_workgroup_id_x 1
		.amdhsa_system_sgpr_workgroup_id_y 1
		.amdhsa_system_sgpr_workgroup_id_z 1
		.amdhsa_system_sgpr_workgroup_info 0
		.amdhsa_system_vgpr_workitem_id 1
		.amdhsa_next_free_vgpr 52
		.amdhsa_next_free_sgpr 19
		.amdhsa_reserve_vcc 1
		.amdhsa_reserve_flat_scratch 0
		.amdhsa_float_round_mode_32 0
		.amdhsa_float_round_mode_16_64 0
		.amdhsa_float_denorm_mode_32 3
		.amdhsa_float_denorm_mode_16_64 3
		.amdhsa_dx10_clamp 1
		.amdhsa_ieee_mode 1
		.amdhsa_fp16_overflow 0
		.amdhsa_exception_fp_ieee_invalid_op 0
		.amdhsa_exception_fp_denorm_src 0
		.amdhsa_exception_fp_ieee_div_zero 0
		.amdhsa_exception_fp_ieee_overflow 0
		.amdhsa_exception_fp_ieee_underflow 0
		.amdhsa_exception_fp_ieee_inexact 0
		.amdhsa_exception_int_div_zero 0
	.end_amdhsa_kernel
	.section	.text._ZL32rocblas_syrkx_herkx_small_kernelIi19rocblas_complex_numIfELi16ELb1ELb0ELc84ELc85EKPKS1_KPS1_EviT_T0_PT6_S7_lSA_S7_lS8_PT7_S7_li,"axG",@progbits,_ZL32rocblas_syrkx_herkx_small_kernelIi19rocblas_complex_numIfELi16ELb1ELb0ELc84ELc85EKPKS1_KPS1_EviT_T0_PT6_S7_lSA_S7_lS8_PT7_S7_li,comdat
.Lfunc_end669:
	.size	_ZL32rocblas_syrkx_herkx_small_kernelIi19rocblas_complex_numIfELi16ELb1ELb0ELc84ELc85EKPKS1_KPS1_EviT_T0_PT6_S7_lSA_S7_lS8_PT7_S7_li, .Lfunc_end669-_ZL32rocblas_syrkx_herkx_small_kernelIi19rocblas_complex_numIfELi16ELb1ELb0ELc84ELc85EKPKS1_KPS1_EviT_T0_PT6_S7_lSA_S7_lS8_PT7_S7_li
                                        ; -- End function
	.set _ZL32rocblas_syrkx_herkx_small_kernelIi19rocblas_complex_numIfELi16ELb1ELb0ELc84ELc85EKPKS1_KPS1_EviT_T0_PT6_S7_lSA_S7_lS8_PT7_S7_li.num_vgpr, 52
	.set _ZL32rocblas_syrkx_herkx_small_kernelIi19rocblas_complex_numIfELi16ELb1ELb0ELc84ELc85EKPKS1_KPS1_EviT_T0_PT6_S7_lSA_S7_lS8_PT7_S7_li.num_agpr, 0
	.set _ZL32rocblas_syrkx_herkx_small_kernelIi19rocblas_complex_numIfELi16ELb1ELb0ELc84ELc85EKPKS1_KPS1_EviT_T0_PT6_S7_lSA_S7_lS8_PT7_S7_li.numbered_sgpr, 19
	.set _ZL32rocblas_syrkx_herkx_small_kernelIi19rocblas_complex_numIfELi16ELb1ELb0ELc84ELc85EKPKS1_KPS1_EviT_T0_PT6_S7_lSA_S7_lS8_PT7_S7_li.num_named_barrier, 0
	.set _ZL32rocblas_syrkx_herkx_small_kernelIi19rocblas_complex_numIfELi16ELb1ELb0ELc84ELc85EKPKS1_KPS1_EviT_T0_PT6_S7_lSA_S7_lS8_PT7_S7_li.private_seg_size, 0
	.set _ZL32rocblas_syrkx_herkx_small_kernelIi19rocblas_complex_numIfELi16ELb1ELb0ELc84ELc85EKPKS1_KPS1_EviT_T0_PT6_S7_lSA_S7_lS8_PT7_S7_li.uses_vcc, 1
	.set _ZL32rocblas_syrkx_herkx_small_kernelIi19rocblas_complex_numIfELi16ELb1ELb0ELc84ELc85EKPKS1_KPS1_EviT_T0_PT6_S7_lSA_S7_lS8_PT7_S7_li.uses_flat_scratch, 0
	.set _ZL32rocblas_syrkx_herkx_small_kernelIi19rocblas_complex_numIfELi16ELb1ELb0ELc84ELc85EKPKS1_KPS1_EviT_T0_PT6_S7_lSA_S7_lS8_PT7_S7_li.has_dyn_sized_stack, 0
	.set _ZL32rocblas_syrkx_herkx_small_kernelIi19rocblas_complex_numIfELi16ELb1ELb0ELc84ELc85EKPKS1_KPS1_EviT_T0_PT6_S7_lSA_S7_lS8_PT7_S7_li.has_recursion, 0
	.set _ZL32rocblas_syrkx_herkx_small_kernelIi19rocblas_complex_numIfELi16ELb1ELb0ELc84ELc85EKPKS1_KPS1_EviT_T0_PT6_S7_lSA_S7_lS8_PT7_S7_li.has_indirect_call, 0
	.section	.AMDGPU.csdata,"",@progbits
; Kernel info:
; codeLenInByte = 1220
; TotalNumSgprs: 23
; NumVgprs: 52
; ScratchSize: 0
; MemoryBound: 1
; FloatMode: 240
; IeeeMode: 1
; LDSByteSize: 4096 bytes/workgroup (compile time only)
; SGPRBlocks: 2
; VGPRBlocks: 12
; NumSGPRsForWavesPerEU: 23
; NumVGPRsForWavesPerEU: 52
; Occupancy: 4
; WaveLimiterHint : 1
; COMPUTE_PGM_RSRC2:SCRATCH_EN: 0
; COMPUTE_PGM_RSRC2:USER_SGPR: 6
; COMPUTE_PGM_RSRC2:TRAP_HANDLER: 0
; COMPUTE_PGM_RSRC2:TGID_X_EN: 1
; COMPUTE_PGM_RSRC2:TGID_Y_EN: 1
; COMPUTE_PGM_RSRC2:TGID_Z_EN: 1
; COMPUTE_PGM_RSRC2:TIDIG_COMP_CNT: 1
	.section	.text._ZL32rocblas_syrkx_herkx_small_kernelIi19rocblas_complex_numIfELi16ELb1ELb0ELc67ELc85EKPKS1_KPS1_EviT_T0_PT6_S7_lSA_S7_lS8_PT7_S7_li,"axG",@progbits,_ZL32rocblas_syrkx_herkx_small_kernelIi19rocblas_complex_numIfELi16ELb1ELb0ELc67ELc85EKPKS1_KPS1_EviT_T0_PT6_S7_lSA_S7_lS8_PT7_S7_li,comdat
	.globl	_ZL32rocblas_syrkx_herkx_small_kernelIi19rocblas_complex_numIfELi16ELb1ELb0ELc67ELc85EKPKS1_KPS1_EviT_T0_PT6_S7_lSA_S7_lS8_PT7_S7_li ; -- Begin function _ZL32rocblas_syrkx_herkx_small_kernelIi19rocblas_complex_numIfELi16ELb1ELb0ELc67ELc85EKPKS1_KPS1_EviT_T0_PT6_S7_lSA_S7_lS8_PT7_S7_li
	.p2align	8
	.type	_ZL32rocblas_syrkx_herkx_small_kernelIi19rocblas_complex_numIfELi16ELb1ELb0ELc67ELc85EKPKS1_KPS1_EviT_T0_PT6_S7_lSA_S7_lS8_PT7_S7_li,@function
_ZL32rocblas_syrkx_herkx_small_kernelIi19rocblas_complex_numIfELi16ELb1ELb0ELc67ELc85EKPKS1_KPS1_EviT_T0_PT6_S7_lSA_S7_lS8_PT7_S7_li: ; @_ZL32rocblas_syrkx_herkx_small_kernelIi19rocblas_complex_numIfELi16ELb1ELb0ELc67ELc85EKPKS1_KPS1_EviT_T0_PT6_S7_lSA_S7_lS8_PT7_S7_li
; %bb.0:
	s_load_dwordx2 s[0:1], s[4:5], 0x48
	s_load_dwordx2 s[16:17], s[4:5], 0x0
	s_load_dwordx4 s[12:15], s[4:5], 0x8
	s_mov_b32 s9, 0
	s_lshl_b64 s[2:3], s[8:9], 3
	s_waitcnt lgkmcnt(0)
	s_add_u32 s0, s0, s2
	s_addc_u32 s1, s1, s3
	s_load_dwordx2 s[10:11], s[0:1], 0x0
	v_lshl_add_u32 v11, s7, 4, v1
	v_lshl_add_u32 v2, s6, 4, v0
	s_cmp_lt_i32 s17, 1
	v_cmp_gt_i32_e32 vcc, s16, v11
	s_cbranch_scc1 .LBB670_9
; %bb.1:
	s_load_dwordx2 s[6:7], s[4:5], 0x28
	s_load_dword s8, s[4:5], 0x18
	s_load_dword s18, s[4:5], 0x30
	v_lshlrev_b32_e32 v5, 7, v1
	v_lshlrev_b32_e32 v12, 3, v0
	s_waitcnt lgkmcnt(0)
	s_add_u32 s6, s6, s2
	s_addc_u32 s7, s7, s3
	s_add_u32 s2, s14, s2
	s_addc_u32 s3, s15, s3
	s_load_dwordx2 s[14:15], s[2:3], 0x0
	v_mad_i64_i32 v[3:4], s[2:3], s18, v11, 0
	v_add_u32_e32 v13, v12, v5
	v_add_u32_e32 v14, 0x800, v5
	v_lshlrev_b64 v[4:5], 3, v[3:4]
	s_load_dwordx2 s[6:7], s[6:7], 0x0
	v_add_co_u32_e64 v4, s[2:3], v4, v12
	v_addc_co_u32_e64 v6, s[2:3], 0, v5, s[2:3]
	v_mad_i64_i32 v[7:8], s[2:3], s8, v2, 0
	s_waitcnt lgkmcnt(0)
	v_mov_b32_e32 v9, s7
	v_add_co_u32_e64 v5, s[2:3], s6, v4
	v_lshlrev_b64 v[7:8], 3, v[7:8]
	v_addc_co_u32_e64 v6, s[2:3], v9, v6, s[2:3]
	v_lshlrev_b32_e32 v4, 3, v1
	v_add_co_u32_e64 v4, s[2:3], v7, v4
	v_addc_co_u32_e64 v8, s[2:3], 0, v8, s[2:3]
	v_mov_b32_e32 v9, s15
	v_add_co_u32_e64 v7, s[2:3], s14, v4
	v_addc_co_u32_e64 v8, s[2:3], v9, v8, s[2:3]
	v_cmp_gt_i32_e64 s[0:1], s16, v2
	v_add_u32_e32 v15, v14, v12
	v_mov_b32_e32 v3, 0
	s_xor_b64 s[2:3], vcc, -1
	v_mov_b32_e32 v17, 0
	v_mov_b32_e32 v16, 0
	s_branch .LBB670_3
.LBB670_2:                              ;   in Loop: Header=BB670_3 Depth=1
	s_or_b64 exec, exec, s[6:7]
	s_waitcnt lgkmcnt(0)
	s_barrier
	ds_read2_b64 v[18:21], v12 offset1:16
	ds_read_b128 v[22:25], v14
	ds_read_b128 v[26:29], v14 offset:16
	ds_read2_b64 v[30:33], v12 offset0:32 offset1:48
	v_add_co_u32_e32 v5, vcc, 0x80, v5
	s_waitcnt lgkmcnt(2)
	v_mul_f32_e32 v4, v23, v19
	v_mul_f32_e32 v9, v22, v19
	v_fma_f32 v4, v22, v18, -v4
	v_fmac_f32_e32 v9, v23, v18
	v_mul_f32_e32 v10, v25, v21
	v_mul_f32_e32 v34, v24, v21
	s_waitcnt lgkmcnt(0)
	v_mul_f32_e32 v18, v27, v31
	v_fma_f32 v10, v24, v20, -v10
	v_fmac_f32_e32 v34, v25, v20
	v_fma_f32 v35, v26, v30, -v18
	ds_read2_b64 v[18:21], v12 offset0:64 offset1:80
	ds_read_b128 v[22:25], v14 offset:32
	v_mul_f32_e32 v36, v26, v31
	v_fmac_f32_e32 v36, v27, v30
	v_mul_f32_e32 v26, v29, v33
	v_mul_f32_e32 v38, v28, v33
	s_waitcnt lgkmcnt(0)
	v_mul_f32_e32 v30, v23, v19
	v_fma_f32 v37, v28, v32, -v26
	v_fmac_f32_e32 v38, v29, v32
	ds_read_b128 v[26:29], v14 offset:48
	v_fma_f32 v39, v22, v18, -v30
	ds_read2_b64 v[30:33], v12 offset0:96 offset1:112
	v_mul_f32_e32 v40, v22, v19
	v_fmac_f32_e32 v40, v23, v18
	v_mul_f32_e32 v18, v25, v21
	v_fma_f32 v41, v24, v20, -v18
	v_mul_f32_e32 v42, v24, v21
	s_waitcnt lgkmcnt(0)
	v_mul_f32_e32 v18, v27, v31
	v_fmac_f32_e32 v42, v25, v20
	v_fma_f32 v43, v26, v30, -v18
	ds_read2_b64 v[18:21], v12 offset0:128 offset1:144
	ds_read_b128 v[22:25], v14 offset:64
	v_mul_f32_e32 v44, v26, v31
	v_fmac_f32_e32 v44, v27, v30
	v_mul_f32_e32 v26, v29, v33
	v_mul_f32_e32 v46, v28, v33
	s_waitcnt lgkmcnt(0)
	v_mul_f32_e32 v30, v23, v19
	v_fma_f32 v45, v28, v32, -v26
	v_fmac_f32_e32 v46, v29, v32
	ds_read_b128 v[26:29], v14 offset:80
	v_fma_f32 v47, v22, v18, -v30
	ds_read2_b64 v[30:33], v12 offset0:160 offset1:176
	v_mul_f32_e32 v48, v22, v19
	v_fmac_f32_e32 v48, v23, v18
	v_mul_f32_e32 v18, v25, v21
	v_fma_f32 v49, v24, v20, -v18
	v_mul_f32_e32 v50, v24, v21
	s_waitcnt lgkmcnt(0)
	v_mul_f32_e32 v18, v27, v31
	v_fmac_f32_e32 v50, v25, v20
	v_fma_f32 v51, v26, v30, -v18
	ds_read2_b64 v[18:21], v12 offset0:192 offset1:208
	ds_read_b128 v[22:25], v14 offset:96
	v_add_f32_e32 v4, v16, v4
	v_add_f32_e32 v9, v17, v9
	;; [unrolled: 1-line block ×6, first 2 shown]
	v_mul_f32_e32 v31, v26, v31
	v_mul_f32_e32 v26, v29, v33
	;; [unrolled: 1-line block ×3, first 2 shown]
	v_add_f32_e32 v4, v4, v37
	v_add_f32_e32 v9, v9, v38
	v_fmac_f32_e32 v31, v27, v30
	v_fma_f32 v30, v28, v32, -v26
	v_fmac_f32_e32 v33, v29, v32
	s_waitcnt lgkmcnt(0)
	v_mul_f32_e32 v32, v23, v19
	v_add_f32_e32 v4, v4, v39
	v_add_f32_e32 v9, v9, v40
	v_fma_f32 v32, v22, v18, -v32
	v_mul_f32_e32 v22, v22, v19
	v_add_f32_e32 v4, v4, v41
	v_add_f32_e32 v9, v9, v42
	v_fmac_f32_e32 v22, v23, v18
	v_mul_f32_e32 v18, v25, v21
	v_add_f32_e32 v4, v4, v43
	v_add_f32_e32 v9, v9, v44
	ds_read_b128 v[26:29], v14 offset:112
	v_fma_f32 v23, v24, v20, -v18
	v_add_f32_e32 v4, v4, v45
	v_add_f32_e32 v9, v9, v46
	ds_read2_b64 v[16:19], v12 offset0:224 offset1:240
	v_add_f32_e32 v4, v4, v47
	v_add_f32_e32 v9, v9, v48
	v_add_f32_e32 v4, v4, v49
	v_add_f32_e32 v9, v9, v50
	v_add_f32_e32 v4, v4, v51
	v_add_f32_e32 v9, v9, v31
	v_mul_f32_e32 v21, v24, v21
	v_add_f32_e32 v4, v4, v30
	v_add_f32_e32 v9, v9, v33
	v_fmac_f32_e32 v21, v25, v20
	v_add_f32_e32 v4, v4, v32
	v_add_f32_e32 v9, v9, v22
	s_waitcnt lgkmcnt(0)
	v_mul_f32_e32 v10, v27, v17
	v_mul_f32_e32 v17, v26, v17
	v_add_f32_e32 v4, v4, v23
	v_add_f32_e32 v9, v9, v21
	v_fma_f32 v10, v26, v16, -v10
	v_fmac_f32_e32 v17, v27, v16
	v_add_f32_e32 v4, v4, v10
	v_add_f32_e32 v9, v9, v17
	v_mul_f32_e32 v10, v29, v19
	v_mul_f32_e32 v17, v28, v19
	v_addc_co_u32_e32 v6, vcc, 0, v6, vcc
	v_fma_f32 v10, v28, v18, -v10
	v_fmac_f32_e32 v17, v29, v18
	s_add_i32 s9, s9, 16
	v_add_co_u32_e32 v7, vcc, 0x80, v7
	v_add_f32_e32 v16, v4, v10
	v_add_f32_e32 v17, v9, v17
	s_cmp_ge_i32 s9, s17
	v_addc_co_u32_e32 v8, vcc, 0, v8, vcc
	s_barrier
	s_cbranch_scc1 .LBB670_10
.LBB670_3:                              ; =>This Inner Loop Header: Depth=1
	v_add_u32_e32 v4, s9, v1
	v_cmp_gt_i32_e32 vcc, s17, v4
	s_and_b64 s[14:15], s[0:1], vcc
	v_mov_b32_e32 v9, 0
	v_mov_b32_e32 v10, 0
	s_and_saveexec_b64 s[6:7], s[14:15]
	s_cbranch_execz .LBB670_5
; %bb.4:                                ;   in Loop: Header=BB670_3 Depth=1
	flat_load_dwordx2 v[9:10], v[7:8]
.LBB670_5:                              ;   in Loop: Header=BB670_3 Depth=1
	s_or_b64 exec, exec, s[6:7]
	v_add_u32_e32 v4, s9, v0
	v_cmp_le_i32_e32 vcc, s17, v4
	s_or_b64 s[6:7], s[2:3], vcc
	s_waitcnt vmcnt(0) lgkmcnt(0)
	ds_write_b64 v13, v[9:10]
	s_and_saveexec_b64 s[14:15], s[6:7]
	s_xor_b64 s[6:7], exec, s[14:15]
; %bb.6:                                ;   in Loop: Header=BB670_3 Depth=1
	v_mov_b32_e32 v4, v3
	ds_write_b64 v15, v[3:4]
; %bb.7:                                ;   in Loop: Header=BB670_3 Depth=1
	s_andn2_saveexec_b64 s[6:7], s[6:7]
	s_cbranch_execz .LBB670_2
; %bb.8:                                ;   in Loop: Header=BB670_3 Depth=1
	flat_load_dwordx2 v[9:10], v[5:6]
	s_waitcnt vmcnt(0) lgkmcnt(0)
	ds_write_b64 v15, v[9:10]
	s_branch .LBB670_2
.LBB670_9:
	v_mov_b32_e32 v17, 0
	v_mov_b32_e32 v16, 0
.LBB670_10:
	v_cmp_le_i32_e32 vcc, v2, v11
	v_cmp_gt_i32_e64 s[0:1], s16, v11
	s_and_b64 s[0:1], vcc, s[0:1]
	s_and_saveexec_b64 s[2:3], s[0:1]
	s_cbranch_execz .LBB670_12
; %bb.11:
	s_load_dword s0, s[4:5], 0x50
	v_ashrrev_i32_e32 v3, 31, v2
	s_waitcnt lgkmcnt(0)
	v_mov_b32_e32 v6, s11
	v_lshlrev_b64 v[2:3], 3, v[2:3]
	v_mul_f32_e32 v0, s13, v17
	v_mad_i64_i32 v[4:5], s[0:1], s0, v11, 0
	v_mul_f32_e32 v1, s12, v17
	v_fma_f32 v0, v16, s12, -v0
	v_lshlrev_b64 v[4:5], 3, v[4:5]
	v_fmac_f32_e32 v1, s13, v16
	v_add_co_u32_e32 v4, vcc, s10, v4
	v_addc_co_u32_e32 v5, vcc, v6, v5, vcc
	v_add_co_u32_e32 v2, vcc, v4, v2
	v_addc_co_u32_e32 v3, vcc, v5, v3, vcc
	flat_store_dwordx2 v[2:3], v[0:1]
.LBB670_12:
	s_endpgm
	.section	.rodata,"a",@progbits
	.p2align	6, 0x0
	.amdhsa_kernel _ZL32rocblas_syrkx_herkx_small_kernelIi19rocblas_complex_numIfELi16ELb1ELb0ELc67ELc85EKPKS1_KPS1_EviT_T0_PT6_S7_lSA_S7_lS8_PT7_S7_li
		.amdhsa_group_segment_fixed_size 4096
		.amdhsa_private_segment_fixed_size 0
		.amdhsa_kernarg_size 100
		.amdhsa_user_sgpr_count 6
		.amdhsa_user_sgpr_private_segment_buffer 1
		.amdhsa_user_sgpr_dispatch_ptr 0
		.amdhsa_user_sgpr_queue_ptr 0
		.amdhsa_user_sgpr_kernarg_segment_ptr 1
		.amdhsa_user_sgpr_dispatch_id 0
		.amdhsa_user_sgpr_flat_scratch_init 0
		.amdhsa_user_sgpr_private_segment_size 0
		.amdhsa_uses_dynamic_stack 0
		.amdhsa_system_sgpr_private_segment_wavefront_offset 0
		.amdhsa_system_sgpr_workgroup_id_x 1
		.amdhsa_system_sgpr_workgroup_id_y 1
		.amdhsa_system_sgpr_workgroup_id_z 1
		.amdhsa_system_sgpr_workgroup_info 0
		.amdhsa_system_vgpr_workitem_id 1
		.amdhsa_next_free_vgpr 52
		.amdhsa_next_free_sgpr 19
		.amdhsa_reserve_vcc 1
		.amdhsa_reserve_flat_scratch 0
		.amdhsa_float_round_mode_32 0
		.amdhsa_float_round_mode_16_64 0
		.amdhsa_float_denorm_mode_32 3
		.amdhsa_float_denorm_mode_16_64 3
		.amdhsa_dx10_clamp 1
		.amdhsa_ieee_mode 1
		.amdhsa_fp16_overflow 0
		.amdhsa_exception_fp_ieee_invalid_op 0
		.amdhsa_exception_fp_denorm_src 0
		.amdhsa_exception_fp_ieee_div_zero 0
		.amdhsa_exception_fp_ieee_overflow 0
		.amdhsa_exception_fp_ieee_underflow 0
		.amdhsa_exception_fp_ieee_inexact 0
		.amdhsa_exception_int_div_zero 0
	.end_amdhsa_kernel
	.section	.text._ZL32rocblas_syrkx_herkx_small_kernelIi19rocblas_complex_numIfELi16ELb1ELb0ELc67ELc85EKPKS1_KPS1_EviT_T0_PT6_S7_lSA_S7_lS8_PT7_S7_li,"axG",@progbits,_ZL32rocblas_syrkx_herkx_small_kernelIi19rocblas_complex_numIfELi16ELb1ELb0ELc67ELc85EKPKS1_KPS1_EviT_T0_PT6_S7_lSA_S7_lS8_PT7_S7_li,comdat
.Lfunc_end670:
	.size	_ZL32rocblas_syrkx_herkx_small_kernelIi19rocblas_complex_numIfELi16ELb1ELb0ELc67ELc85EKPKS1_KPS1_EviT_T0_PT6_S7_lSA_S7_lS8_PT7_S7_li, .Lfunc_end670-_ZL32rocblas_syrkx_herkx_small_kernelIi19rocblas_complex_numIfELi16ELb1ELb0ELc67ELc85EKPKS1_KPS1_EviT_T0_PT6_S7_lSA_S7_lS8_PT7_S7_li
                                        ; -- End function
	.set _ZL32rocblas_syrkx_herkx_small_kernelIi19rocblas_complex_numIfELi16ELb1ELb0ELc67ELc85EKPKS1_KPS1_EviT_T0_PT6_S7_lSA_S7_lS8_PT7_S7_li.num_vgpr, 52
	.set _ZL32rocblas_syrkx_herkx_small_kernelIi19rocblas_complex_numIfELi16ELb1ELb0ELc67ELc85EKPKS1_KPS1_EviT_T0_PT6_S7_lSA_S7_lS8_PT7_S7_li.num_agpr, 0
	.set _ZL32rocblas_syrkx_herkx_small_kernelIi19rocblas_complex_numIfELi16ELb1ELb0ELc67ELc85EKPKS1_KPS1_EviT_T0_PT6_S7_lSA_S7_lS8_PT7_S7_li.numbered_sgpr, 19
	.set _ZL32rocblas_syrkx_herkx_small_kernelIi19rocblas_complex_numIfELi16ELb1ELb0ELc67ELc85EKPKS1_KPS1_EviT_T0_PT6_S7_lSA_S7_lS8_PT7_S7_li.num_named_barrier, 0
	.set _ZL32rocblas_syrkx_herkx_small_kernelIi19rocblas_complex_numIfELi16ELb1ELb0ELc67ELc85EKPKS1_KPS1_EviT_T0_PT6_S7_lSA_S7_lS8_PT7_S7_li.private_seg_size, 0
	.set _ZL32rocblas_syrkx_herkx_small_kernelIi19rocblas_complex_numIfELi16ELb1ELb0ELc67ELc85EKPKS1_KPS1_EviT_T0_PT6_S7_lSA_S7_lS8_PT7_S7_li.uses_vcc, 1
	.set _ZL32rocblas_syrkx_herkx_small_kernelIi19rocblas_complex_numIfELi16ELb1ELb0ELc67ELc85EKPKS1_KPS1_EviT_T0_PT6_S7_lSA_S7_lS8_PT7_S7_li.uses_flat_scratch, 0
	.set _ZL32rocblas_syrkx_herkx_small_kernelIi19rocblas_complex_numIfELi16ELb1ELb0ELc67ELc85EKPKS1_KPS1_EviT_T0_PT6_S7_lSA_S7_lS8_PT7_S7_li.has_dyn_sized_stack, 0
	.set _ZL32rocblas_syrkx_herkx_small_kernelIi19rocblas_complex_numIfELi16ELb1ELb0ELc67ELc85EKPKS1_KPS1_EviT_T0_PT6_S7_lSA_S7_lS8_PT7_S7_li.has_recursion, 0
	.set _ZL32rocblas_syrkx_herkx_small_kernelIi19rocblas_complex_numIfELi16ELb1ELb0ELc67ELc85EKPKS1_KPS1_EviT_T0_PT6_S7_lSA_S7_lS8_PT7_S7_li.has_indirect_call, 0
	.section	.AMDGPU.csdata,"",@progbits
; Kernel info:
; codeLenInByte = 1204
; TotalNumSgprs: 23
; NumVgprs: 52
; ScratchSize: 0
; MemoryBound: 1
; FloatMode: 240
; IeeeMode: 1
; LDSByteSize: 4096 bytes/workgroup (compile time only)
; SGPRBlocks: 2
; VGPRBlocks: 12
; NumSGPRsForWavesPerEU: 23
; NumVGPRsForWavesPerEU: 52
; Occupancy: 4
; WaveLimiterHint : 1
; COMPUTE_PGM_RSRC2:SCRATCH_EN: 0
; COMPUTE_PGM_RSRC2:USER_SGPR: 6
; COMPUTE_PGM_RSRC2:TRAP_HANDLER: 0
; COMPUTE_PGM_RSRC2:TGID_X_EN: 1
; COMPUTE_PGM_RSRC2:TGID_Y_EN: 1
; COMPUTE_PGM_RSRC2:TGID_Z_EN: 1
; COMPUTE_PGM_RSRC2:TIDIG_COMP_CNT: 1
	.section	.text._ZL32rocblas_syrkx_herkx_small_kernelIi19rocblas_complex_numIfELi16ELb1ELb0ELc78ELc85EKPKS1_KPS1_EviT_T0_PT6_S7_lSA_S7_lS8_PT7_S7_li,"axG",@progbits,_ZL32rocblas_syrkx_herkx_small_kernelIi19rocblas_complex_numIfELi16ELb1ELb0ELc78ELc85EKPKS1_KPS1_EviT_T0_PT6_S7_lSA_S7_lS8_PT7_S7_li,comdat
	.globl	_ZL32rocblas_syrkx_herkx_small_kernelIi19rocblas_complex_numIfELi16ELb1ELb0ELc78ELc85EKPKS1_KPS1_EviT_T0_PT6_S7_lSA_S7_lS8_PT7_S7_li ; -- Begin function _ZL32rocblas_syrkx_herkx_small_kernelIi19rocblas_complex_numIfELi16ELb1ELb0ELc78ELc85EKPKS1_KPS1_EviT_T0_PT6_S7_lSA_S7_lS8_PT7_S7_li
	.p2align	8
	.type	_ZL32rocblas_syrkx_herkx_small_kernelIi19rocblas_complex_numIfELi16ELb1ELb0ELc78ELc85EKPKS1_KPS1_EviT_T0_PT6_S7_lSA_S7_lS8_PT7_S7_li,@function
_ZL32rocblas_syrkx_herkx_small_kernelIi19rocblas_complex_numIfELi16ELb1ELb0ELc78ELc85EKPKS1_KPS1_EviT_T0_PT6_S7_lSA_S7_lS8_PT7_S7_li: ; @_ZL32rocblas_syrkx_herkx_small_kernelIi19rocblas_complex_numIfELi16ELb1ELb0ELc78ELc85EKPKS1_KPS1_EviT_T0_PT6_S7_lSA_S7_lS8_PT7_S7_li
; %bb.0:
	s_load_dwordx2 s[2:3], s[4:5], 0x48
	s_load_dwordx2 s[16:17], s[4:5], 0x0
	s_load_dwordx4 s[12:15], s[4:5], 0x8
	s_mov_b32 s9, 0
	s_lshl_b64 s[0:1], s[8:9], 3
	s_waitcnt lgkmcnt(0)
	s_add_u32 s2, s2, s0
	s_addc_u32 s3, s3, s1
	s_load_dwordx2 s[10:11], s[2:3], 0x0
	v_lshl_add_u32 v2, s6, 4, v0
	v_lshl_add_u32 v4, s7, 4, v1
	s_cmp_lt_i32 s17, 1
	v_ashrrev_i32_e32 v3, 31, v2
	v_cmp_gt_i32_e32 vcc, s16, v4
	s_cbranch_scc1 .LBB671_9
; %bb.1:
	s_load_dword s18, s[4:5], 0x18
	s_load_dword s6, s[4:5], 0x30
	s_load_dwordx2 s[2:3], s[4:5], 0x28
	v_lshlrev_b32_e32 v5, 7, v1
	v_lshlrev_b32_e32 v12, 3, v0
	s_waitcnt lgkmcnt(0)
	s_ashr_i32 s19, s18, 31
	s_ashr_i32 s7, s6, 31
	s_add_u32 s2, s2, s0
	s_addc_u32 s3, s3, s1
	s_load_dwordx2 s[20:21], s[2:3], 0x0
	v_mad_i64_i32 v[6:7], s[2:3], s6, v0, 0
	v_add_u32_e32 v13, v12, v5
	v_add_u32_e32 v14, 0x800, v5
	v_ashrrev_i32_e32 v5, 31, v4
	v_lshlrev_b64 v[6:7], 3, v[6:7]
	v_lshlrev_b64 v[8:9], 3, v[4:5]
	s_add_u32 s0, s14, s0
	v_add_co_u32_e64 v5, s[2:3], v6, v8
	v_addc_co_u32_e64 v6, s[2:3], v7, v9, s[2:3]
	v_mad_i64_i32 v[7:8], s[2:3], s18, v1, 0
	s_addc_u32 s1, s15, s1
	s_load_dwordx2 s[14:15], s[0:1], 0x0
	s_waitcnt lgkmcnt(0)
	v_mov_b32_e32 v9, s21
	v_add_co_u32_e64 v5, s[2:3], s20, v5
	v_addc_co_u32_e64 v6, s[2:3], v9, v6, s[2:3]
	v_lshlrev_b64 v[7:8], 3, v[7:8]
	v_lshlrev_b64 v[9:10], 3, v[2:3]
	v_cmp_gt_i32_e64 s[0:1], s16, v2
	v_add_co_u32_e64 v7, s[2:3], v7, v9
	v_addc_co_u32_e64 v8, s[2:3], v8, v10, s[2:3]
	v_mov_b32_e32 v9, s15
	v_add_co_u32_e64 v7, s[2:3], s14, v7
	v_addc_co_u32_e64 v8, s[2:3], v9, v8, s[2:3]
	s_lshl_b64 s[6:7], s[6:7], 7
	s_lshl_b64 s[2:3], s[18:19], 7
	v_add_u32_e32 v15, v14, v12
	v_mov_b32_e32 v9, 0
	s_xor_b64 s[14:15], s[0:1], -1
	v_mov_b32_e32 v16, s7
	v_mov_b32_e32 v18, s3
	;; [unrolled: 1-line block ×4, first 2 shown]
	s_branch .LBB671_3
.LBB671_2:                              ;   in Loop: Header=BB671_3 Depth=1
	s_or_b64 exec, exec, s[0:1]
	s_waitcnt vmcnt(0) lgkmcnt(0)
	ds_write_b64 v15, v[10:11]
	s_waitcnt lgkmcnt(0)
	s_barrier
	ds_read2_b64 v[20:23], v12 offset1:16
	ds_read_b128 v[24:27], v14
	ds_read_b128 v[28:31], v14 offset:16
	ds_read2_b64 v[32:35], v12 offset0:32 offset1:48
	v_add_co_u32_e64 v5, s[0:1], s6, v5
	s_waitcnt lgkmcnt(2)
	v_mul_f32_e32 v10, v25, v21
	v_mul_f32_e32 v11, v24, v21
	v_fma_f32 v10, v24, v20, -v10
	v_fmac_f32_e32 v11, v25, v20
	v_mul_f32_e32 v20, v27, v23
	v_fma_f32 v36, v26, v22, -v20
	v_mul_f32_e32 v37, v26, v23
	s_waitcnt lgkmcnt(0)
	v_mul_f32_e32 v20, v29, v33
	v_fmac_f32_e32 v37, v27, v22
	v_fma_f32 v38, v28, v32, -v20
	ds_read2_b64 v[20:23], v12 offset0:64 offset1:80
	ds_read_b128 v[24:27], v14 offset:32
	v_mul_f32_e32 v39, v28, v33
	v_fmac_f32_e32 v39, v29, v32
	v_mul_f32_e32 v28, v31, v35
	v_mul_f32_e32 v41, v30, v35
	s_waitcnt lgkmcnt(0)
	v_mul_f32_e32 v32, v25, v21
	v_fma_f32 v40, v30, v34, -v28
	v_fmac_f32_e32 v41, v31, v34
	ds_read_b128 v[28:31], v14 offset:48
	v_fma_f32 v42, v24, v20, -v32
	ds_read2_b64 v[32:35], v12 offset0:96 offset1:112
	v_mul_f32_e32 v43, v24, v21
	v_fmac_f32_e32 v43, v25, v20
	v_mul_f32_e32 v20, v27, v23
	v_fma_f32 v44, v26, v22, -v20
	v_mul_f32_e32 v45, v26, v23
	s_waitcnt lgkmcnt(0)
	v_mul_f32_e32 v20, v29, v33
	v_fmac_f32_e32 v45, v27, v22
	v_fma_f32 v46, v28, v32, -v20
	ds_read2_b64 v[20:23], v12 offset0:128 offset1:144
	ds_read_b128 v[24:27], v14 offset:64
	v_mul_f32_e32 v47, v28, v33
	v_fmac_f32_e32 v47, v29, v32
	v_mul_f32_e32 v28, v31, v35
	v_mul_f32_e32 v49, v30, v35
	s_waitcnt lgkmcnt(0)
	v_mul_f32_e32 v32, v25, v21
	v_fma_f32 v48, v30, v34, -v28
	v_fmac_f32_e32 v49, v31, v34
	ds_read_b128 v[28:31], v14 offset:80
	v_fma_f32 v50, v24, v20, -v32
	ds_read2_b64 v[32:35], v12 offset0:160 offset1:176
	v_mul_f32_e32 v51, v24, v21
	v_fmac_f32_e32 v51, v25, v20
	v_mul_f32_e32 v20, v27, v23
	v_fma_f32 v52, v26, v22, -v20
	v_mul_f32_e32 v53, v26, v23
	s_waitcnt lgkmcnt(0)
	v_mul_f32_e32 v20, v29, v33
	v_add_f32_e32 v10, v17, v10
	v_add_f32_e32 v11, v19, v11
	v_fmac_f32_e32 v53, v27, v22
	v_fma_f32 v54, v28, v32, -v20
	ds_read2_b64 v[20:23], v12 offset0:192 offset1:208
	ds_read_b128 v[24:27], v14 offset:96
	v_add_f32_e32 v10, v10, v36
	v_add_f32_e32 v11, v11, v37
	;; [unrolled: 1-line block ×8, first 2 shown]
	v_mul_f32_e32 v55, v28, v33
	v_add_f32_e32 v10, v10, v44
	v_add_f32_e32 v11, v11, v45
	v_fmac_f32_e32 v55, v29, v32
	v_mul_f32_e32 v28, v31, v35
	v_mul_f32_e32 v57, v30, v35
	s_waitcnt lgkmcnt(0)
	v_mul_f32_e32 v32, v25, v21
	v_add_f32_e32 v10, v10, v46
	v_add_f32_e32 v11, v11, v47
	v_fma_f32 v56, v30, v34, -v28
	v_fmac_f32_e32 v57, v31, v34
	ds_read_b128 v[28:31], v14 offset:112
	v_fma_f32 v58, v24, v20, -v32
	ds_read2_b64 v[32:35], v12 offset0:224 offset1:240
	v_add_f32_e32 v10, v10, v48
	v_add_f32_e32 v11, v11, v49
	;; [unrolled: 1-line block ×6, first 2 shown]
	v_mul_f32_e32 v21, v24, v21
	v_add_f32_e32 v10, v10, v54
	v_add_f32_e32 v11, v11, v55
	v_fmac_f32_e32 v21, v25, v20
	v_mul_f32_e32 v20, v27, v23
	v_mul_f32_e32 v23, v26, v23
	v_add_f32_e32 v10, v10, v56
	v_add_f32_e32 v11, v11, v57
	v_fma_f32 v20, v26, v22, -v20
	v_fmac_f32_e32 v23, v27, v22
	s_waitcnt lgkmcnt(0)
	v_mul_f32_e32 v22, v29, v33
	v_mul_f32_e32 v24, v28, v33
	v_add_f32_e32 v10, v10, v58
	v_add_f32_e32 v11, v11, v21
	v_fma_f32 v22, v28, v32, -v22
	v_fmac_f32_e32 v24, v29, v32
	v_mul_f32_e32 v25, v31, v35
	v_mul_f32_e32 v26, v30, v35
	v_add_f32_e32 v10, v10, v20
	v_add_f32_e32 v11, v11, v23
	v_addc_co_u32_e64 v6, s[0:1], v6, v16, s[0:1]
	v_fma_f32 v25, v30, v34, -v25
	v_fmac_f32_e32 v26, v31, v34
	v_add_f32_e32 v10, v10, v22
	v_add_f32_e32 v11, v11, v24
	s_add_i32 s9, s9, 16
	v_add_co_u32_e64 v7, s[0:1], s2, v7
	v_add_f32_e32 v17, v10, v25
	v_add_f32_e32 v19, v11, v26
	s_cmp_ge_i32 s9, s17
	v_addc_co_u32_e64 v8, s[0:1], v8, v18, s[0:1]
	s_barrier
	s_cbranch_scc1 .LBB671_10
.LBB671_3:                              ; =>This Inner Loop Header: Depth=1
	v_add_u32_e32 v10, s9, v1
	v_cmp_le_i32_e64 s[0:1], s17, v10
	s_or_b64 s[0:1], s[14:15], s[0:1]
	s_and_saveexec_b64 s[18:19], s[0:1]
	s_xor_b64 s[0:1], exec, s[18:19]
; %bb.4:                                ;   in Loop: Header=BB671_3 Depth=1
	v_mov_b32_e32 v10, v9
	ds_write_b64 v13, v[9:10]
; %bb.5:                                ;   in Loop: Header=BB671_3 Depth=1
	s_andn2_saveexec_b64 s[0:1], s[0:1]
	s_cbranch_execz .LBB671_7
; %bb.6:                                ;   in Loop: Header=BB671_3 Depth=1
	flat_load_dwordx2 v[10:11], v[7:8]
	s_waitcnt vmcnt(0) lgkmcnt(0)
	ds_write_b64 v13, v[10:11]
.LBB671_7:                              ;   in Loop: Header=BB671_3 Depth=1
	s_or_b64 exec, exec, s[0:1]
	v_add_u32_e32 v10, s9, v0
	v_cmp_gt_i32_e64 s[0:1], s17, v10
	s_and_b64 s[18:19], vcc, s[0:1]
	v_mov_b32_e32 v10, 0
	v_mov_b32_e32 v11, 0
	s_and_saveexec_b64 s[0:1], s[18:19]
	s_cbranch_execz .LBB671_2
; %bb.8:                                ;   in Loop: Header=BB671_3 Depth=1
	flat_load_dwordx2 v[10:11], v[5:6]
	s_branch .LBB671_2
.LBB671_9:
	v_mov_b32_e32 v19, 0
	v_mov_b32_e32 v17, 0
.LBB671_10:
	v_cmp_le_i32_e32 vcc, v2, v4
	v_cmp_gt_i32_e64 s[0:1], s16, v4
	s_and_b64 s[0:1], vcc, s[0:1]
	s_and_saveexec_b64 s[2:3], s[0:1]
	s_cbranch_execz .LBB671_12
; %bb.11:
	s_load_dword s0, s[4:5], 0x50
	s_waitcnt lgkmcnt(0)
	v_mov_b32_e32 v6, s11
	v_lshlrev_b64 v[2:3], 3, v[2:3]
	v_mul_f32_e32 v0, s13, v19
	v_mul_f32_e32 v1, s12, v19
	v_mad_i64_i32 v[4:5], s[0:1], s0, v4, 0
	v_fma_f32 v0, v17, s12, -v0
	v_fmac_f32_e32 v1, s13, v17
	v_lshlrev_b64 v[4:5], 3, v[4:5]
	v_add_co_u32_e32 v4, vcc, s10, v4
	v_addc_co_u32_e32 v5, vcc, v6, v5, vcc
	v_add_co_u32_e32 v2, vcc, v4, v2
	v_addc_co_u32_e32 v3, vcc, v5, v3, vcc
	flat_store_dwordx2 v[2:3], v[0:1]
.LBB671_12:
	s_endpgm
	.section	.rodata,"a",@progbits
	.p2align	6, 0x0
	.amdhsa_kernel _ZL32rocblas_syrkx_herkx_small_kernelIi19rocblas_complex_numIfELi16ELb1ELb0ELc78ELc85EKPKS1_KPS1_EviT_T0_PT6_S7_lSA_S7_lS8_PT7_S7_li
		.amdhsa_group_segment_fixed_size 4096
		.amdhsa_private_segment_fixed_size 0
		.amdhsa_kernarg_size 100
		.amdhsa_user_sgpr_count 6
		.amdhsa_user_sgpr_private_segment_buffer 1
		.amdhsa_user_sgpr_dispatch_ptr 0
		.amdhsa_user_sgpr_queue_ptr 0
		.amdhsa_user_sgpr_kernarg_segment_ptr 1
		.amdhsa_user_sgpr_dispatch_id 0
		.amdhsa_user_sgpr_flat_scratch_init 0
		.amdhsa_user_sgpr_private_segment_size 0
		.amdhsa_uses_dynamic_stack 0
		.amdhsa_system_sgpr_private_segment_wavefront_offset 0
		.amdhsa_system_sgpr_workgroup_id_x 1
		.amdhsa_system_sgpr_workgroup_id_y 1
		.amdhsa_system_sgpr_workgroup_id_z 1
		.amdhsa_system_sgpr_workgroup_info 0
		.amdhsa_system_vgpr_workitem_id 1
		.amdhsa_next_free_vgpr 59
		.amdhsa_next_free_sgpr 22
		.amdhsa_reserve_vcc 1
		.amdhsa_reserve_flat_scratch 0
		.amdhsa_float_round_mode_32 0
		.amdhsa_float_round_mode_16_64 0
		.amdhsa_float_denorm_mode_32 3
		.amdhsa_float_denorm_mode_16_64 3
		.amdhsa_dx10_clamp 1
		.amdhsa_ieee_mode 1
		.amdhsa_fp16_overflow 0
		.amdhsa_exception_fp_ieee_invalid_op 0
		.amdhsa_exception_fp_denorm_src 0
		.amdhsa_exception_fp_ieee_div_zero 0
		.amdhsa_exception_fp_ieee_overflow 0
		.amdhsa_exception_fp_ieee_underflow 0
		.amdhsa_exception_fp_ieee_inexact 0
		.amdhsa_exception_int_div_zero 0
	.end_amdhsa_kernel
	.section	.text._ZL32rocblas_syrkx_herkx_small_kernelIi19rocblas_complex_numIfELi16ELb1ELb0ELc78ELc85EKPKS1_KPS1_EviT_T0_PT6_S7_lSA_S7_lS8_PT7_S7_li,"axG",@progbits,_ZL32rocblas_syrkx_herkx_small_kernelIi19rocblas_complex_numIfELi16ELb1ELb0ELc78ELc85EKPKS1_KPS1_EviT_T0_PT6_S7_lSA_S7_lS8_PT7_S7_li,comdat
.Lfunc_end671:
	.size	_ZL32rocblas_syrkx_herkx_small_kernelIi19rocblas_complex_numIfELi16ELb1ELb0ELc78ELc85EKPKS1_KPS1_EviT_T0_PT6_S7_lSA_S7_lS8_PT7_S7_li, .Lfunc_end671-_ZL32rocblas_syrkx_herkx_small_kernelIi19rocblas_complex_numIfELi16ELb1ELb0ELc78ELc85EKPKS1_KPS1_EviT_T0_PT6_S7_lSA_S7_lS8_PT7_S7_li
                                        ; -- End function
	.set _ZL32rocblas_syrkx_herkx_small_kernelIi19rocblas_complex_numIfELi16ELb1ELb0ELc78ELc85EKPKS1_KPS1_EviT_T0_PT6_S7_lSA_S7_lS8_PT7_S7_li.num_vgpr, 59
	.set _ZL32rocblas_syrkx_herkx_small_kernelIi19rocblas_complex_numIfELi16ELb1ELb0ELc78ELc85EKPKS1_KPS1_EviT_T0_PT6_S7_lSA_S7_lS8_PT7_S7_li.num_agpr, 0
	.set _ZL32rocblas_syrkx_herkx_small_kernelIi19rocblas_complex_numIfELi16ELb1ELb0ELc78ELc85EKPKS1_KPS1_EviT_T0_PT6_S7_lSA_S7_lS8_PT7_S7_li.numbered_sgpr, 22
	.set _ZL32rocblas_syrkx_herkx_small_kernelIi19rocblas_complex_numIfELi16ELb1ELb0ELc78ELc85EKPKS1_KPS1_EviT_T0_PT6_S7_lSA_S7_lS8_PT7_S7_li.num_named_barrier, 0
	.set _ZL32rocblas_syrkx_herkx_small_kernelIi19rocblas_complex_numIfELi16ELb1ELb0ELc78ELc85EKPKS1_KPS1_EviT_T0_PT6_S7_lSA_S7_lS8_PT7_S7_li.private_seg_size, 0
	.set _ZL32rocblas_syrkx_herkx_small_kernelIi19rocblas_complex_numIfELi16ELb1ELb0ELc78ELc85EKPKS1_KPS1_EviT_T0_PT6_S7_lSA_S7_lS8_PT7_S7_li.uses_vcc, 1
	.set _ZL32rocblas_syrkx_herkx_small_kernelIi19rocblas_complex_numIfELi16ELb1ELb0ELc78ELc85EKPKS1_KPS1_EviT_T0_PT6_S7_lSA_S7_lS8_PT7_S7_li.uses_flat_scratch, 0
	.set _ZL32rocblas_syrkx_herkx_small_kernelIi19rocblas_complex_numIfELi16ELb1ELb0ELc78ELc85EKPKS1_KPS1_EviT_T0_PT6_S7_lSA_S7_lS8_PT7_S7_li.has_dyn_sized_stack, 0
	.set _ZL32rocblas_syrkx_herkx_small_kernelIi19rocblas_complex_numIfELi16ELb1ELb0ELc78ELc85EKPKS1_KPS1_EviT_T0_PT6_S7_lSA_S7_lS8_PT7_S7_li.has_recursion, 0
	.set _ZL32rocblas_syrkx_herkx_small_kernelIi19rocblas_complex_numIfELi16ELb1ELb0ELc78ELc85EKPKS1_KPS1_EviT_T0_PT6_S7_lSA_S7_lS8_PT7_S7_li.has_indirect_call, 0
	.section	.AMDGPU.csdata,"",@progbits
; Kernel info:
; codeLenInByte = 1260
; TotalNumSgprs: 26
; NumVgprs: 59
; ScratchSize: 0
; MemoryBound: 1
; FloatMode: 240
; IeeeMode: 1
; LDSByteSize: 4096 bytes/workgroup (compile time only)
; SGPRBlocks: 3
; VGPRBlocks: 14
; NumSGPRsForWavesPerEU: 26
; NumVGPRsForWavesPerEU: 59
; Occupancy: 4
; WaveLimiterHint : 1
; COMPUTE_PGM_RSRC2:SCRATCH_EN: 0
; COMPUTE_PGM_RSRC2:USER_SGPR: 6
; COMPUTE_PGM_RSRC2:TRAP_HANDLER: 0
; COMPUTE_PGM_RSRC2:TGID_X_EN: 1
; COMPUTE_PGM_RSRC2:TGID_Y_EN: 1
; COMPUTE_PGM_RSRC2:TGID_Z_EN: 1
; COMPUTE_PGM_RSRC2:TIDIG_COMP_CNT: 1
	.section	.text._ZL32rocblas_syrkx_herkx_small_kernelIi19rocblas_complex_numIfELi16ELb0ELb0ELc84ELc76EKPKS1_KPS1_EviT_T0_PT6_S7_lSA_S7_lS8_PT7_S7_li,"axG",@progbits,_ZL32rocblas_syrkx_herkx_small_kernelIi19rocblas_complex_numIfELi16ELb0ELb0ELc84ELc76EKPKS1_KPS1_EviT_T0_PT6_S7_lSA_S7_lS8_PT7_S7_li,comdat
	.globl	_ZL32rocblas_syrkx_herkx_small_kernelIi19rocblas_complex_numIfELi16ELb0ELb0ELc84ELc76EKPKS1_KPS1_EviT_T0_PT6_S7_lSA_S7_lS8_PT7_S7_li ; -- Begin function _ZL32rocblas_syrkx_herkx_small_kernelIi19rocblas_complex_numIfELi16ELb0ELb0ELc84ELc76EKPKS1_KPS1_EviT_T0_PT6_S7_lSA_S7_lS8_PT7_S7_li
	.p2align	8
	.type	_ZL32rocblas_syrkx_herkx_small_kernelIi19rocblas_complex_numIfELi16ELb0ELb0ELc84ELc76EKPKS1_KPS1_EviT_T0_PT6_S7_lSA_S7_lS8_PT7_S7_li,@function
_ZL32rocblas_syrkx_herkx_small_kernelIi19rocblas_complex_numIfELi16ELb0ELb0ELc84ELc76EKPKS1_KPS1_EviT_T0_PT6_S7_lSA_S7_lS8_PT7_S7_li: ; @_ZL32rocblas_syrkx_herkx_small_kernelIi19rocblas_complex_numIfELi16ELb0ELb0ELc84ELc76EKPKS1_KPS1_EviT_T0_PT6_S7_lSA_S7_lS8_PT7_S7_li
; %bb.0:
	s_load_dwordx4 s[12:15], s[4:5], 0x40
	s_load_dwordx2 s[20:21], s[4:5], 0x0
	s_load_dwordx4 s[16:19], s[4:5], 0x8
	s_mov_b32 s9, 0
	s_lshl_b64 s[0:1], s[8:9], 3
	s_waitcnt lgkmcnt(0)
	s_add_u32 s2, s14, s0
	s_addc_u32 s3, s15, s1
	s_load_dwordx2 s[10:11], s[2:3], 0x0
	v_lshl_add_u32 v2, s6, 4, v0
	v_lshl_add_u32 v9, s7, 4, v1
	s_cmp_lt_i32 s21, 1
	v_cmp_gt_i32_e32 vcc, s20, v2
	s_cbranch_scc1 .LBB672_11
; %bb.1:
	s_load_dwordx2 s[2:3], s[4:5], 0x28
	s_load_dword s8, s[4:5], 0x18
	s_load_dword s22, s[4:5], 0x30
	v_lshlrev_b32_e32 v5, 7, v1
	v_lshlrev_b32_e32 v10, 3, v0
	s_waitcnt lgkmcnt(0)
	s_add_u32 s2, s2, s0
	s_addc_u32 s3, s3, s1
	s_add_u32 s0, s18, s0
	s_addc_u32 s1, s19, s1
	s_load_dwordx2 s[14:15], s[0:1], 0x0
	v_mad_i64_i32 v[3:4], s[0:1], s22, v9, 0
	v_add_u32_e32 v11, v10, v5
	v_add_u32_e32 v12, 0x800, v5
	v_lshlrev_b64 v[4:5], 3, v[3:4]
	s_load_dwordx2 s[6:7], s[2:3], 0x0
	v_add_co_u32_e64 v4, s[2:3], v4, v10
	v_addc_co_u32_e64 v6, s[2:3], 0, v5, s[2:3]
	v_mad_i64_i32 v[7:8], s[2:3], s8, v2, 0
	s_waitcnt lgkmcnt(0)
	v_mov_b32_e32 v14, s7
	v_add_co_u32_e64 v5, s[2:3], s6, v4
	v_lshlrev_b64 v[7:8], 3, v[7:8]
	v_addc_co_u32_e64 v6, s[2:3], v14, v6, s[2:3]
	v_lshlrev_b32_e32 v4, 3, v1
	v_add_co_u32_e64 v4, s[2:3], v7, v4
	v_addc_co_u32_e64 v8, s[2:3], 0, v8, s[2:3]
	v_mov_b32_e32 v14, s15
	v_add_co_u32_e64 v7, s[2:3], s14, v4
	v_cmp_gt_i32_e64 s[0:1], s20, v9
	v_addc_co_u32_e64 v8, s[2:3], v14, v8, s[2:3]
	v_add_u32_e32 v13, v12, v10
	v_mov_b32_e32 v3, 0
	s_xor_b64 s[2:3], vcc, -1
	s_xor_b64 s[0:1], s[0:1], -1
	v_mov_b32_e32 v14, 0
	v_mov_b32_e32 v15, 0
	s_branch .LBB672_3
.LBB672_2:                              ;   in Loop: Header=BB672_3 Depth=1
	s_or_b64 exec, exec, s[6:7]
	s_waitcnt lgkmcnt(0)
	s_barrier
	ds_read2_b64 v[16:19], v10 offset1:16
	ds_read_b128 v[20:23], v12
	ds_read_b128 v[24:27], v12 offset:16
	ds_read2_b64 v[28:31], v10 offset0:32 offset1:48
	v_add_co_u32_e32 v5, vcc, 0x80, v5
	s_waitcnt lgkmcnt(2)
	v_mul_f32_e32 v4, v21, v17
	v_mul_f32_e32 v32, v20, v17
	v_fma_f32 v4, v20, v16, -v4
	v_fmac_f32_e32 v32, v21, v16
	v_mul_f32_e32 v16, v23, v19
	v_fma_f32 v33, v22, v18, -v16
	v_mul_f32_e32 v34, v22, v19
	s_waitcnt lgkmcnt(0)
	v_mul_f32_e32 v16, v25, v29
	v_fmac_f32_e32 v34, v23, v18
	v_fma_f32 v35, v24, v28, -v16
	ds_read2_b64 v[16:19], v10 offset0:64 offset1:80
	ds_read_b128 v[20:23], v12 offset:32
	v_mul_f32_e32 v36, v24, v29
	v_fmac_f32_e32 v36, v25, v28
	v_mul_f32_e32 v24, v27, v31
	v_mul_f32_e32 v38, v26, v31
	s_waitcnt lgkmcnt(0)
	v_mul_f32_e32 v28, v21, v17
	v_fma_f32 v37, v26, v30, -v24
	v_fmac_f32_e32 v38, v27, v30
	ds_read_b128 v[24:27], v12 offset:48
	v_fma_f32 v39, v20, v16, -v28
	ds_read2_b64 v[28:31], v10 offset0:96 offset1:112
	v_mul_f32_e32 v40, v20, v17
	v_fmac_f32_e32 v40, v21, v16
	v_mul_f32_e32 v16, v23, v19
	v_fma_f32 v41, v22, v18, -v16
	v_mul_f32_e32 v42, v22, v19
	s_waitcnt lgkmcnt(0)
	v_mul_f32_e32 v16, v25, v29
	v_fmac_f32_e32 v42, v23, v18
	v_fma_f32 v43, v24, v28, -v16
	ds_read2_b64 v[16:19], v10 offset0:128 offset1:144
	ds_read_b128 v[20:23], v12 offset:64
	v_mul_f32_e32 v44, v24, v29
	v_fmac_f32_e32 v44, v25, v28
	v_mul_f32_e32 v24, v27, v31
	v_mul_f32_e32 v46, v26, v31
	s_waitcnt lgkmcnt(0)
	v_mul_f32_e32 v28, v21, v17
	v_fma_f32 v45, v26, v30, -v24
	v_fmac_f32_e32 v46, v27, v30
	ds_read_b128 v[24:27], v12 offset:80
	v_fma_f32 v47, v20, v16, -v28
	ds_read2_b64 v[28:31], v10 offset0:160 offset1:176
	v_mul_f32_e32 v48, v20, v17
	v_add_f32_e32 v14, v14, v32
	v_fmac_f32_e32 v48, v21, v16
	v_mul_f32_e32 v16, v23, v19
	v_add_f32_e32 v14, v14, v34
	v_fma_f32 v49, v22, v18, -v16
	v_mul_f32_e32 v50, v22, v19
	s_waitcnt lgkmcnt(0)
	v_mul_f32_e32 v16, v25, v29
	v_add_f32_e32 v14, v14, v36
	v_fmac_f32_e32 v50, v23, v18
	v_fma_f32 v51, v24, v28, -v16
	ds_read2_b64 v[16:19], v10 offset0:192 offset1:208
	ds_read_b128 v[20:23], v12 offset:96
	v_add_f32_e32 v14, v14, v38
	v_add_f32_e32 v14, v14, v40
	;; [unrolled: 1-line block ×6, first 2 shown]
	v_mul_f32_e32 v29, v24, v29
	v_mul_f32_e32 v24, v27, v31
	;; [unrolled: 1-line block ×3, first 2 shown]
	v_add_f32_e32 v4, v4, v35
	v_add_f32_e32 v14, v14, v46
	v_fmac_f32_e32 v29, v25, v28
	v_fma_f32 v28, v26, v30, -v24
	v_fmac_f32_e32 v31, v27, v30
	s_waitcnt lgkmcnt(0)
	v_mul_f32_e32 v30, v21, v17
	v_add_f32_e32 v4, v4, v37
	v_add_f32_e32 v14, v14, v48
	v_fma_f32 v30, v20, v16, -v30
	v_mul_f32_e32 v20, v20, v17
	v_add_f32_e32 v4, v4, v39
	v_add_f32_e32 v14, v14, v50
	v_fmac_f32_e32 v20, v21, v16
	v_mul_f32_e32 v16, v23, v19
	v_mul_f32_e32 v19, v22, v19
	v_add_f32_e32 v4, v4, v41
	v_add_f32_e32 v14, v14, v29
	ds_read_b128 v[24:27], v12 offset:112
	v_fma_f32 v21, v22, v18, -v16
	v_fmac_f32_e32 v19, v23, v18
	v_add_f32_e32 v4, v4, v43
	v_add_f32_e32 v18, v14, v31
	ds_read2_b64 v[14:17], v10 offset0:224 offset1:240
	v_add_f32_e32 v4, v4, v45
	v_add_f32_e32 v4, v4, v47
	;; [unrolled: 1-line block ×7, first 2 shown]
	s_waitcnt lgkmcnt(0)
	v_mul_f32_e32 v19, v25, v15
	v_mul_f32_e32 v15, v24, v15
	v_add_f32_e32 v4, v4, v30
	v_fmac_f32_e32 v15, v25, v14
	v_add_f32_e32 v4, v4, v21
	v_fma_f32 v19, v24, v14, -v19
	v_add_f32_e32 v14, v18, v15
	v_mul_f32_e32 v15, v27, v17
	v_mul_f32_e32 v17, v26, v17
	v_addc_co_u32_e32 v6, vcc, 0, v6, vcc
	v_add_f32_e32 v4, v4, v19
	v_fma_f32 v15, v26, v16, -v15
	v_fmac_f32_e32 v17, v27, v16
	s_add_i32 s9, s9, 16
	v_add_co_u32_e32 v7, vcc, 0x80, v7
	v_add_f32_e32 v15, v4, v15
	v_add_f32_e32 v14, v14, v17
	s_cmp_ge_i32 s9, s21
	v_addc_co_u32_e32 v8, vcc, 0, v8, vcc
	s_barrier
	s_cbranch_scc1 .LBB672_12
.LBB672_3:                              ; =>This Inner Loop Header: Depth=1
	v_add_u32_e32 v4, s9, v1
	v_cmp_le_i32_e32 vcc, s21, v4
	s_or_b64 s[6:7], s[2:3], vcc
	s_and_saveexec_b64 s[14:15], s[6:7]
	s_xor_b64 s[6:7], exec, s[14:15]
; %bb.4:                                ;   in Loop: Header=BB672_3 Depth=1
	v_mov_b32_e32 v4, v3
	ds_write_b64 v11, v[3:4]
; %bb.5:                                ;   in Loop: Header=BB672_3 Depth=1
	s_andn2_saveexec_b64 s[6:7], s[6:7]
	s_cbranch_execz .LBB672_7
; %bb.6:                                ;   in Loop: Header=BB672_3 Depth=1
	flat_load_dwordx2 v[16:17], v[7:8]
	s_waitcnt vmcnt(0) lgkmcnt(0)
	ds_write_b64 v11, v[16:17]
.LBB672_7:                              ;   in Loop: Header=BB672_3 Depth=1
	s_or_b64 exec, exec, s[6:7]
	v_add_u32_e32 v4, s9, v0
	v_cmp_le_i32_e32 vcc, s21, v4
	s_or_b64 s[6:7], s[0:1], vcc
	s_and_saveexec_b64 s[14:15], s[6:7]
	s_xor_b64 s[6:7], exec, s[14:15]
; %bb.8:                                ;   in Loop: Header=BB672_3 Depth=1
	v_mov_b32_e32 v4, v3
	ds_write_b64 v13, v[3:4]
; %bb.9:                                ;   in Loop: Header=BB672_3 Depth=1
	s_andn2_saveexec_b64 s[6:7], s[6:7]
	s_cbranch_execz .LBB672_2
; %bb.10:                               ;   in Loop: Header=BB672_3 Depth=1
	flat_load_dwordx2 v[16:17], v[5:6]
	s_waitcnt vmcnt(0) lgkmcnt(0)
	ds_write_b64 v13, v[16:17]
	s_branch .LBB672_2
.LBB672_11:
	v_mov_b32_e32 v14, 0
	v_mov_b32_e32 v15, 0
.LBB672_12:
	v_cmp_le_i32_e32 vcc, v9, v2
	v_cmp_gt_i32_e64 s[0:1], s20, v2
	s_and_b64 s[0:1], vcc, s[0:1]
	s_and_saveexec_b64 s[2:3], s[0:1]
	s_cbranch_execz .LBB672_14
; %bb.13:
	s_load_dword s0, s[4:5], 0x50
	v_ashrrev_i32_e32 v3, 31, v2
	s_waitcnt lgkmcnt(0)
	v_mov_b32_e32 v4, s11
	v_lshlrev_b64 v[2:3], 3, v[2:3]
	v_mul_f32_e32 v5, s16, v14
	v_mad_i64_i32 v[0:1], s[0:1], s0, v9, 0
	v_fmac_f32_e32 v5, s17, v15
	v_lshlrev_b64 v[0:1], 3, v[0:1]
	v_add_co_u32_e32 v0, vcc, s10, v0
	v_addc_co_u32_e32 v1, vcc, v4, v1, vcc
	v_add_co_u32_e32 v0, vcc, v0, v2
	v_addc_co_u32_e32 v1, vcc, v1, v3, vcc
	flat_load_dwordx2 v[2:3], v[0:1]
	v_mul_f32_e32 v4, s17, v14
	v_fma_f32 v4, v15, s16, -v4
	s_waitcnt vmcnt(0) lgkmcnt(0)
	v_mul_f32_e32 v6, s13, v3
	v_mul_f32_e32 v3, s12, v3
	v_fma_f32 v6, v2, s12, -v6
	v_fmac_f32_e32 v3, s13, v2
	v_add_f32_e32 v2, v4, v6
	v_add_f32_e32 v3, v5, v3
	flat_store_dwordx2 v[0:1], v[2:3]
.LBB672_14:
	s_endpgm
	.section	.rodata,"a",@progbits
	.p2align	6, 0x0
	.amdhsa_kernel _ZL32rocblas_syrkx_herkx_small_kernelIi19rocblas_complex_numIfELi16ELb0ELb0ELc84ELc76EKPKS1_KPS1_EviT_T0_PT6_S7_lSA_S7_lS8_PT7_S7_li
		.amdhsa_group_segment_fixed_size 4096
		.amdhsa_private_segment_fixed_size 0
		.amdhsa_kernarg_size 100
		.amdhsa_user_sgpr_count 6
		.amdhsa_user_sgpr_private_segment_buffer 1
		.amdhsa_user_sgpr_dispatch_ptr 0
		.amdhsa_user_sgpr_queue_ptr 0
		.amdhsa_user_sgpr_kernarg_segment_ptr 1
		.amdhsa_user_sgpr_dispatch_id 0
		.amdhsa_user_sgpr_flat_scratch_init 0
		.amdhsa_user_sgpr_private_segment_size 0
		.amdhsa_uses_dynamic_stack 0
		.amdhsa_system_sgpr_private_segment_wavefront_offset 0
		.amdhsa_system_sgpr_workgroup_id_x 1
		.amdhsa_system_sgpr_workgroup_id_y 1
		.amdhsa_system_sgpr_workgroup_id_z 1
		.amdhsa_system_sgpr_workgroup_info 0
		.amdhsa_system_vgpr_workitem_id 1
		.amdhsa_next_free_vgpr 52
		.amdhsa_next_free_sgpr 23
		.amdhsa_reserve_vcc 1
		.amdhsa_reserve_flat_scratch 0
		.amdhsa_float_round_mode_32 0
		.amdhsa_float_round_mode_16_64 0
		.amdhsa_float_denorm_mode_32 3
		.amdhsa_float_denorm_mode_16_64 3
		.amdhsa_dx10_clamp 1
		.amdhsa_ieee_mode 1
		.amdhsa_fp16_overflow 0
		.amdhsa_exception_fp_ieee_invalid_op 0
		.amdhsa_exception_fp_denorm_src 0
		.amdhsa_exception_fp_ieee_div_zero 0
		.amdhsa_exception_fp_ieee_overflow 0
		.amdhsa_exception_fp_ieee_underflow 0
		.amdhsa_exception_fp_ieee_inexact 0
		.amdhsa_exception_int_div_zero 0
	.end_amdhsa_kernel
	.section	.text._ZL32rocblas_syrkx_herkx_small_kernelIi19rocblas_complex_numIfELi16ELb0ELb0ELc84ELc76EKPKS1_KPS1_EviT_T0_PT6_S7_lSA_S7_lS8_PT7_S7_li,"axG",@progbits,_ZL32rocblas_syrkx_herkx_small_kernelIi19rocblas_complex_numIfELi16ELb0ELb0ELc84ELc76EKPKS1_KPS1_EviT_T0_PT6_S7_lSA_S7_lS8_PT7_S7_li,comdat
.Lfunc_end672:
	.size	_ZL32rocblas_syrkx_herkx_small_kernelIi19rocblas_complex_numIfELi16ELb0ELb0ELc84ELc76EKPKS1_KPS1_EviT_T0_PT6_S7_lSA_S7_lS8_PT7_S7_li, .Lfunc_end672-_ZL32rocblas_syrkx_herkx_small_kernelIi19rocblas_complex_numIfELi16ELb0ELb0ELc84ELc76EKPKS1_KPS1_EviT_T0_PT6_S7_lSA_S7_lS8_PT7_S7_li
                                        ; -- End function
	.set _ZL32rocblas_syrkx_herkx_small_kernelIi19rocblas_complex_numIfELi16ELb0ELb0ELc84ELc76EKPKS1_KPS1_EviT_T0_PT6_S7_lSA_S7_lS8_PT7_S7_li.num_vgpr, 52
	.set _ZL32rocblas_syrkx_herkx_small_kernelIi19rocblas_complex_numIfELi16ELb0ELb0ELc84ELc76EKPKS1_KPS1_EviT_T0_PT6_S7_lSA_S7_lS8_PT7_S7_li.num_agpr, 0
	.set _ZL32rocblas_syrkx_herkx_small_kernelIi19rocblas_complex_numIfELi16ELb0ELb0ELc84ELc76EKPKS1_KPS1_EviT_T0_PT6_S7_lSA_S7_lS8_PT7_S7_li.numbered_sgpr, 23
	.set _ZL32rocblas_syrkx_herkx_small_kernelIi19rocblas_complex_numIfELi16ELb0ELb0ELc84ELc76EKPKS1_KPS1_EviT_T0_PT6_S7_lSA_S7_lS8_PT7_S7_li.num_named_barrier, 0
	.set _ZL32rocblas_syrkx_herkx_small_kernelIi19rocblas_complex_numIfELi16ELb0ELb0ELc84ELc76EKPKS1_KPS1_EviT_T0_PT6_S7_lSA_S7_lS8_PT7_S7_li.private_seg_size, 0
	.set _ZL32rocblas_syrkx_herkx_small_kernelIi19rocblas_complex_numIfELi16ELb0ELb0ELc84ELc76EKPKS1_KPS1_EviT_T0_PT6_S7_lSA_S7_lS8_PT7_S7_li.uses_vcc, 1
	.set _ZL32rocblas_syrkx_herkx_small_kernelIi19rocblas_complex_numIfELi16ELb0ELb0ELc84ELc76EKPKS1_KPS1_EviT_T0_PT6_S7_lSA_S7_lS8_PT7_S7_li.uses_flat_scratch, 0
	.set _ZL32rocblas_syrkx_herkx_small_kernelIi19rocblas_complex_numIfELi16ELb0ELb0ELc84ELc76EKPKS1_KPS1_EviT_T0_PT6_S7_lSA_S7_lS8_PT7_S7_li.has_dyn_sized_stack, 0
	.set _ZL32rocblas_syrkx_herkx_small_kernelIi19rocblas_complex_numIfELi16ELb0ELb0ELc84ELc76EKPKS1_KPS1_EviT_T0_PT6_S7_lSA_S7_lS8_PT7_S7_li.has_recursion, 0
	.set _ZL32rocblas_syrkx_herkx_small_kernelIi19rocblas_complex_numIfELi16ELb0ELb0ELc84ELc76EKPKS1_KPS1_EviT_T0_PT6_S7_lSA_S7_lS8_PT7_S7_li.has_indirect_call, 0
	.section	.AMDGPU.csdata,"",@progbits
; Kernel info:
; codeLenInByte = 1260
; TotalNumSgprs: 27
; NumVgprs: 52
; ScratchSize: 0
; MemoryBound: 1
; FloatMode: 240
; IeeeMode: 1
; LDSByteSize: 4096 bytes/workgroup (compile time only)
; SGPRBlocks: 3
; VGPRBlocks: 12
; NumSGPRsForWavesPerEU: 27
; NumVGPRsForWavesPerEU: 52
; Occupancy: 4
; WaveLimiterHint : 1
; COMPUTE_PGM_RSRC2:SCRATCH_EN: 0
; COMPUTE_PGM_RSRC2:USER_SGPR: 6
; COMPUTE_PGM_RSRC2:TRAP_HANDLER: 0
; COMPUTE_PGM_RSRC2:TGID_X_EN: 1
; COMPUTE_PGM_RSRC2:TGID_Y_EN: 1
; COMPUTE_PGM_RSRC2:TGID_Z_EN: 1
; COMPUTE_PGM_RSRC2:TIDIG_COMP_CNT: 1
	.section	.text._ZL32rocblas_syrkx_herkx_small_kernelIi19rocblas_complex_numIfELi16ELb0ELb0ELc67ELc76EKPKS1_KPS1_EviT_T0_PT6_S7_lSA_S7_lS8_PT7_S7_li,"axG",@progbits,_ZL32rocblas_syrkx_herkx_small_kernelIi19rocblas_complex_numIfELi16ELb0ELb0ELc67ELc76EKPKS1_KPS1_EviT_T0_PT6_S7_lSA_S7_lS8_PT7_S7_li,comdat
	.globl	_ZL32rocblas_syrkx_herkx_small_kernelIi19rocblas_complex_numIfELi16ELb0ELb0ELc67ELc76EKPKS1_KPS1_EviT_T0_PT6_S7_lSA_S7_lS8_PT7_S7_li ; -- Begin function _ZL32rocblas_syrkx_herkx_small_kernelIi19rocblas_complex_numIfELi16ELb0ELb0ELc67ELc76EKPKS1_KPS1_EviT_T0_PT6_S7_lSA_S7_lS8_PT7_S7_li
	.p2align	8
	.type	_ZL32rocblas_syrkx_herkx_small_kernelIi19rocblas_complex_numIfELi16ELb0ELb0ELc67ELc76EKPKS1_KPS1_EviT_T0_PT6_S7_lSA_S7_lS8_PT7_S7_li,@function
_ZL32rocblas_syrkx_herkx_small_kernelIi19rocblas_complex_numIfELi16ELb0ELb0ELc67ELc76EKPKS1_KPS1_EviT_T0_PT6_S7_lSA_S7_lS8_PT7_S7_li: ; @_ZL32rocblas_syrkx_herkx_small_kernelIi19rocblas_complex_numIfELi16ELb0ELb0ELc67ELc76EKPKS1_KPS1_EviT_T0_PT6_S7_lSA_S7_lS8_PT7_S7_li
; %bb.0:
	s_load_dwordx4 s[12:15], s[4:5], 0x40
	s_load_dwordx2 s[20:21], s[4:5], 0x0
	s_load_dwordx4 s[16:19], s[4:5], 0x8
	s_mov_b32 s9, 0
	s_lshl_b64 s[2:3], s[8:9], 3
	s_waitcnt lgkmcnt(0)
	s_add_u32 s0, s14, s2
	s_addc_u32 s1, s15, s3
	s_load_dwordx2 s[10:11], s[0:1], 0x0
	v_lshl_add_u32 v2, s6, 4, v0
	v_lshl_add_u32 v11, s7, 4, v1
	s_cmp_lt_i32 s21, 1
	v_cmp_gt_i32_e64 s[0:1], s20, v2
	s_cbranch_scc1 .LBB673_9
; %bb.1:
	s_load_dwordx2 s[6:7], s[4:5], 0x28
	s_load_dword s8, s[4:5], 0x18
	s_load_dword s22, s[4:5], 0x30
	v_lshlrev_b32_e32 v5, 7, v1
	v_lshlrev_b32_e32 v12, 3, v0
	s_waitcnt lgkmcnt(0)
	s_add_u32 s6, s6, s2
	s_addc_u32 s7, s7, s3
	s_add_u32 s2, s18, s2
	s_addc_u32 s3, s19, s3
	s_load_dwordx2 s[14:15], s[2:3], 0x0
	v_mad_i64_i32 v[3:4], s[2:3], s22, v11, 0
	v_add_u32_e32 v13, v12, v5
	v_add_u32_e32 v14, 0x800, v5
	v_lshlrev_b64 v[4:5], 3, v[3:4]
	s_load_dwordx2 s[6:7], s[6:7], 0x0
	v_add_co_u32_e64 v4, s[2:3], v4, v12
	v_addc_co_u32_e64 v6, s[2:3], 0, v5, s[2:3]
	v_mad_i64_i32 v[7:8], s[2:3], s8, v2, 0
	s_waitcnt lgkmcnt(0)
	v_mov_b32_e32 v9, s7
	v_add_co_u32_e64 v5, s[2:3], s6, v4
	v_lshlrev_b64 v[7:8], 3, v[7:8]
	v_addc_co_u32_e64 v6, s[2:3], v9, v6, s[2:3]
	v_lshlrev_b32_e32 v4, 3, v1
	v_add_co_u32_e64 v4, s[2:3], v7, v4
	v_addc_co_u32_e64 v8, s[2:3], 0, v8, s[2:3]
	v_mov_b32_e32 v9, s15
	v_add_co_u32_e64 v7, s[2:3], s14, v4
	v_cmp_gt_i32_e32 vcc, s20, v11
	v_addc_co_u32_e64 v8, s[2:3], v9, v8, s[2:3]
	v_add_u32_e32 v15, v14, v12
	v_mov_b32_e32 v3, 0
	s_xor_b64 s[2:3], vcc, -1
	v_mov_b32_e32 v16, 0
	v_mov_b32_e32 v17, 0
	s_branch .LBB673_3
.LBB673_2:                              ;   in Loop: Header=BB673_3 Depth=1
	s_or_b64 exec, exec, s[6:7]
	s_waitcnt lgkmcnt(0)
	s_barrier
	ds_read2_b64 v[18:21], v12 offset1:16
	ds_read_b128 v[22:25], v14
	ds_read_b128 v[26:29], v14 offset:16
	ds_read2_b64 v[30:33], v12 offset0:32 offset1:48
	v_add_co_u32_e32 v5, vcc, 0x80, v5
	s_waitcnt lgkmcnt(2)
	v_mul_f32_e32 v4, v23, v19
	v_mul_f32_e32 v9, v22, v19
	v_fma_f32 v4, v22, v18, -v4
	v_fmac_f32_e32 v9, v23, v18
	v_mul_f32_e32 v10, v25, v21
	v_mul_f32_e32 v34, v24, v21
	s_waitcnt lgkmcnt(0)
	v_mul_f32_e32 v18, v27, v31
	v_fma_f32 v10, v24, v20, -v10
	v_fmac_f32_e32 v34, v25, v20
	v_fma_f32 v35, v26, v30, -v18
	ds_read2_b64 v[18:21], v12 offset0:64 offset1:80
	ds_read_b128 v[22:25], v14 offset:32
	v_mul_f32_e32 v36, v26, v31
	v_fmac_f32_e32 v36, v27, v30
	v_mul_f32_e32 v26, v29, v33
	v_mul_f32_e32 v38, v28, v33
	s_waitcnt lgkmcnt(0)
	v_mul_f32_e32 v30, v23, v19
	v_fma_f32 v37, v28, v32, -v26
	v_fmac_f32_e32 v38, v29, v32
	ds_read_b128 v[26:29], v14 offset:48
	v_fma_f32 v39, v22, v18, -v30
	ds_read2_b64 v[30:33], v12 offset0:96 offset1:112
	v_mul_f32_e32 v40, v22, v19
	v_fmac_f32_e32 v40, v23, v18
	v_mul_f32_e32 v18, v25, v21
	v_fma_f32 v41, v24, v20, -v18
	v_mul_f32_e32 v42, v24, v21
	s_waitcnt lgkmcnt(0)
	v_mul_f32_e32 v18, v27, v31
	v_fmac_f32_e32 v42, v25, v20
	v_fma_f32 v43, v26, v30, -v18
	ds_read2_b64 v[18:21], v12 offset0:128 offset1:144
	ds_read_b128 v[22:25], v14 offset:64
	v_mul_f32_e32 v44, v26, v31
	v_fmac_f32_e32 v44, v27, v30
	v_mul_f32_e32 v26, v29, v33
	v_mul_f32_e32 v46, v28, v33
	s_waitcnt lgkmcnt(0)
	v_mul_f32_e32 v30, v23, v19
	v_fma_f32 v45, v28, v32, -v26
	v_fmac_f32_e32 v46, v29, v32
	ds_read_b128 v[26:29], v14 offset:80
	v_fma_f32 v47, v22, v18, -v30
	ds_read2_b64 v[30:33], v12 offset0:160 offset1:176
	v_mul_f32_e32 v48, v22, v19
	v_fmac_f32_e32 v48, v23, v18
	v_mul_f32_e32 v18, v25, v21
	v_fma_f32 v49, v24, v20, -v18
	v_mul_f32_e32 v50, v24, v21
	s_waitcnt lgkmcnt(0)
	v_mul_f32_e32 v18, v27, v31
	v_fmac_f32_e32 v50, v25, v20
	v_fma_f32 v51, v26, v30, -v18
	ds_read2_b64 v[18:21], v12 offset0:192 offset1:208
	ds_read_b128 v[22:25], v14 offset:96
	v_add_f32_e32 v4, v17, v4
	v_add_f32_e32 v9, v16, v9
	;; [unrolled: 1-line block ×5, first 2 shown]
	v_mul_f32_e32 v31, v26, v31
	v_mul_f32_e32 v26, v29, v33
	;; [unrolled: 1-line block ×3, first 2 shown]
	v_add_f32_e32 v9, v9, v36
	v_add_f32_e32 v4, v4, v37
	v_fmac_f32_e32 v31, v27, v30
	v_fma_f32 v30, v28, v32, -v26
	v_fmac_f32_e32 v33, v29, v32
	s_waitcnt lgkmcnt(0)
	v_mul_f32_e32 v32, v23, v19
	v_add_f32_e32 v9, v9, v38
	v_add_f32_e32 v4, v4, v39
	v_fma_f32 v32, v22, v18, -v32
	v_mul_f32_e32 v22, v22, v19
	v_add_f32_e32 v9, v9, v40
	v_add_f32_e32 v4, v4, v41
	v_fmac_f32_e32 v22, v23, v18
	v_mul_f32_e32 v18, v25, v21
	v_add_f32_e32 v9, v9, v42
	v_add_f32_e32 v4, v4, v43
	ds_read_b128 v[26:29], v14 offset:112
	v_fma_f32 v23, v24, v20, -v18
	v_add_f32_e32 v9, v9, v44
	v_add_f32_e32 v4, v4, v45
	ds_read2_b64 v[16:19], v12 offset0:224 offset1:240
	v_add_f32_e32 v9, v9, v46
	v_add_f32_e32 v4, v4, v47
	;; [unrolled: 1-line block ×8, first 2 shown]
	v_mul_f32_e32 v21, v24, v21
	v_add_f32_e32 v9, v9, v33
	v_add_f32_e32 v4, v4, v32
	s_waitcnt lgkmcnt(0)
	v_mul_f32_e32 v10, v27, v17
	v_fmac_f32_e32 v21, v25, v20
	v_add_f32_e32 v9, v9, v22
	v_add_f32_e32 v4, v4, v23
	v_fma_f32 v10, v26, v16, -v10
	v_mul_f32_e32 v17, v26, v17
	v_add_f32_e32 v9, v9, v21
	v_fmac_f32_e32 v17, v27, v16
	v_add_f32_e32 v4, v4, v10
	v_mul_f32_e32 v10, v29, v19
	v_mul_f32_e32 v16, v28, v19
	v_addc_co_u32_e32 v6, vcc, 0, v6, vcc
	v_add_f32_e32 v9, v9, v17
	v_fma_f32 v10, v28, v18, -v10
	v_fmac_f32_e32 v16, v29, v18
	s_add_i32 s9, s9, 16
	v_add_co_u32_e32 v7, vcc, 0x80, v7
	v_add_f32_e32 v17, v4, v10
	v_add_f32_e32 v16, v9, v16
	s_cmp_ge_i32 s9, s21
	v_addc_co_u32_e32 v8, vcc, 0, v8, vcc
	s_barrier
	s_cbranch_scc1 .LBB673_10
.LBB673_3:                              ; =>This Inner Loop Header: Depth=1
	v_add_u32_e32 v4, s9, v1
	v_cmp_gt_i32_e32 vcc, s21, v4
	s_and_b64 s[14:15], s[0:1], vcc
	v_mov_b32_e32 v9, 0
	v_mov_b32_e32 v10, 0
	s_and_saveexec_b64 s[6:7], s[14:15]
	s_cbranch_execz .LBB673_5
; %bb.4:                                ;   in Loop: Header=BB673_3 Depth=1
	flat_load_dwordx2 v[9:10], v[7:8]
.LBB673_5:                              ;   in Loop: Header=BB673_3 Depth=1
	s_or_b64 exec, exec, s[6:7]
	v_add_u32_e32 v4, s9, v0
	v_cmp_le_i32_e32 vcc, s21, v4
	s_or_b64 s[6:7], s[2:3], vcc
	s_waitcnt vmcnt(0) lgkmcnt(0)
	ds_write_b64 v13, v[9:10]
	s_and_saveexec_b64 s[14:15], s[6:7]
	s_xor_b64 s[6:7], exec, s[14:15]
; %bb.6:                                ;   in Loop: Header=BB673_3 Depth=1
	v_mov_b32_e32 v4, v3
	ds_write_b64 v15, v[3:4]
; %bb.7:                                ;   in Loop: Header=BB673_3 Depth=1
	s_andn2_saveexec_b64 s[6:7], s[6:7]
	s_cbranch_execz .LBB673_2
; %bb.8:                                ;   in Loop: Header=BB673_3 Depth=1
	flat_load_dwordx2 v[9:10], v[5:6]
	s_waitcnt vmcnt(0) lgkmcnt(0)
	ds_write_b64 v15, v[9:10]
	s_branch .LBB673_2
.LBB673_9:
	v_mov_b32_e32 v16, 0
	v_mov_b32_e32 v17, 0
.LBB673_10:
	v_cmp_le_i32_e32 vcc, v11, v2
	v_cmp_gt_i32_e64 s[0:1], s20, v2
	s_and_b64 s[0:1], vcc, s[0:1]
	s_and_saveexec_b64 s[2:3], s[0:1]
	s_cbranch_execz .LBB673_12
; %bb.11:
	s_load_dword s0, s[4:5], 0x50
	v_ashrrev_i32_e32 v3, 31, v2
	s_waitcnt lgkmcnt(0)
	v_mov_b32_e32 v4, s11
	v_lshlrev_b64 v[2:3], 3, v[2:3]
	v_mul_f32_e32 v5, s16, v16
	v_mad_i64_i32 v[0:1], s[0:1], s0, v11, 0
	v_fmac_f32_e32 v5, s17, v17
	v_lshlrev_b64 v[0:1], 3, v[0:1]
	v_add_co_u32_e32 v0, vcc, s10, v0
	v_addc_co_u32_e32 v1, vcc, v4, v1, vcc
	v_add_co_u32_e32 v0, vcc, v0, v2
	v_addc_co_u32_e32 v1, vcc, v1, v3, vcc
	flat_load_dwordx2 v[2:3], v[0:1]
	v_mul_f32_e32 v4, s17, v16
	v_fma_f32 v4, v17, s16, -v4
	s_waitcnt vmcnt(0) lgkmcnt(0)
	v_mul_f32_e32 v6, s13, v3
	v_mul_f32_e32 v3, s12, v3
	v_fma_f32 v6, v2, s12, -v6
	v_fmac_f32_e32 v3, s13, v2
	v_add_f32_e32 v2, v4, v6
	v_add_f32_e32 v3, v5, v3
	flat_store_dwordx2 v[0:1], v[2:3]
.LBB673_12:
	s_endpgm
	.section	.rodata,"a",@progbits
	.p2align	6, 0x0
	.amdhsa_kernel _ZL32rocblas_syrkx_herkx_small_kernelIi19rocblas_complex_numIfELi16ELb0ELb0ELc67ELc76EKPKS1_KPS1_EviT_T0_PT6_S7_lSA_S7_lS8_PT7_S7_li
		.amdhsa_group_segment_fixed_size 4096
		.amdhsa_private_segment_fixed_size 0
		.amdhsa_kernarg_size 100
		.amdhsa_user_sgpr_count 6
		.amdhsa_user_sgpr_private_segment_buffer 1
		.amdhsa_user_sgpr_dispatch_ptr 0
		.amdhsa_user_sgpr_queue_ptr 0
		.amdhsa_user_sgpr_kernarg_segment_ptr 1
		.amdhsa_user_sgpr_dispatch_id 0
		.amdhsa_user_sgpr_flat_scratch_init 0
		.amdhsa_user_sgpr_private_segment_size 0
		.amdhsa_uses_dynamic_stack 0
		.amdhsa_system_sgpr_private_segment_wavefront_offset 0
		.amdhsa_system_sgpr_workgroup_id_x 1
		.amdhsa_system_sgpr_workgroup_id_y 1
		.amdhsa_system_sgpr_workgroup_id_z 1
		.amdhsa_system_sgpr_workgroup_info 0
		.amdhsa_system_vgpr_workitem_id 1
		.amdhsa_next_free_vgpr 52
		.amdhsa_next_free_sgpr 23
		.amdhsa_reserve_vcc 1
		.amdhsa_reserve_flat_scratch 0
		.amdhsa_float_round_mode_32 0
		.amdhsa_float_round_mode_16_64 0
		.amdhsa_float_denorm_mode_32 3
		.amdhsa_float_denorm_mode_16_64 3
		.amdhsa_dx10_clamp 1
		.amdhsa_ieee_mode 1
		.amdhsa_fp16_overflow 0
		.amdhsa_exception_fp_ieee_invalid_op 0
		.amdhsa_exception_fp_denorm_src 0
		.amdhsa_exception_fp_ieee_div_zero 0
		.amdhsa_exception_fp_ieee_overflow 0
		.amdhsa_exception_fp_ieee_underflow 0
		.amdhsa_exception_fp_ieee_inexact 0
		.amdhsa_exception_int_div_zero 0
	.end_amdhsa_kernel
	.section	.text._ZL32rocblas_syrkx_herkx_small_kernelIi19rocblas_complex_numIfELi16ELb0ELb0ELc67ELc76EKPKS1_KPS1_EviT_T0_PT6_S7_lSA_S7_lS8_PT7_S7_li,"axG",@progbits,_ZL32rocblas_syrkx_herkx_small_kernelIi19rocblas_complex_numIfELi16ELb0ELb0ELc67ELc76EKPKS1_KPS1_EviT_T0_PT6_S7_lSA_S7_lS8_PT7_S7_li,comdat
.Lfunc_end673:
	.size	_ZL32rocblas_syrkx_herkx_small_kernelIi19rocblas_complex_numIfELi16ELb0ELb0ELc67ELc76EKPKS1_KPS1_EviT_T0_PT6_S7_lSA_S7_lS8_PT7_S7_li, .Lfunc_end673-_ZL32rocblas_syrkx_herkx_small_kernelIi19rocblas_complex_numIfELi16ELb0ELb0ELc67ELc76EKPKS1_KPS1_EviT_T0_PT6_S7_lSA_S7_lS8_PT7_S7_li
                                        ; -- End function
	.set _ZL32rocblas_syrkx_herkx_small_kernelIi19rocblas_complex_numIfELi16ELb0ELb0ELc67ELc76EKPKS1_KPS1_EviT_T0_PT6_S7_lSA_S7_lS8_PT7_S7_li.num_vgpr, 52
	.set _ZL32rocblas_syrkx_herkx_small_kernelIi19rocblas_complex_numIfELi16ELb0ELb0ELc67ELc76EKPKS1_KPS1_EviT_T0_PT6_S7_lSA_S7_lS8_PT7_S7_li.num_agpr, 0
	.set _ZL32rocblas_syrkx_herkx_small_kernelIi19rocblas_complex_numIfELi16ELb0ELb0ELc67ELc76EKPKS1_KPS1_EviT_T0_PT6_S7_lSA_S7_lS8_PT7_S7_li.numbered_sgpr, 23
	.set _ZL32rocblas_syrkx_herkx_small_kernelIi19rocblas_complex_numIfELi16ELb0ELb0ELc67ELc76EKPKS1_KPS1_EviT_T0_PT6_S7_lSA_S7_lS8_PT7_S7_li.num_named_barrier, 0
	.set _ZL32rocblas_syrkx_herkx_small_kernelIi19rocblas_complex_numIfELi16ELb0ELb0ELc67ELc76EKPKS1_KPS1_EviT_T0_PT6_S7_lSA_S7_lS8_PT7_S7_li.private_seg_size, 0
	.set _ZL32rocblas_syrkx_herkx_small_kernelIi19rocblas_complex_numIfELi16ELb0ELb0ELc67ELc76EKPKS1_KPS1_EviT_T0_PT6_S7_lSA_S7_lS8_PT7_S7_li.uses_vcc, 1
	.set _ZL32rocblas_syrkx_herkx_small_kernelIi19rocblas_complex_numIfELi16ELb0ELb0ELc67ELc76EKPKS1_KPS1_EviT_T0_PT6_S7_lSA_S7_lS8_PT7_S7_li.uses_flat_scratch, 0
	.set _ZL32rocblas_syrkx_herkx_small_kernelIi19rocblas_complex_numIfELi16ELb0ELb0ELc67ELc76EKPKS1_KPS1_EviT_T0_PT6_S7_lSA_S7_lS8_PT7_S7_li.has_dyn_sized_stack, 0
	.set _ZL32rocblas_syrkx_herkx_small_kernelIi19rocblas_complex_numIfELi16ELb0ELb0ELc67ELc76EKPKS1_KPS1_EviT_T0_PT6_S7_lSA_S7_lS8_PT7_S7_li.has_recursion, 0
	.set _ZL32rocblas_syrkx_herkx_small_kernelIi19rocblas_complex_numIfELi16ELb0ELb0ELc67ELc76EKPKS1_KPS1_EviT_T0_PT6_S7_lSA_S7_lS8_PT7_S7_li.has_indirect_call, 0
	.section	.AMDGPU.csdata,"",@progbits
; Kernel info:
; codeLenInByte = 1244
; TotalNumSgprs: 27
; NumVgprs: 52
; ScratchSize: 0
; MemoryBound: 1
; FloatMode: 240
; IeeeMode: 1
; LDSByteSize: 4096 bytes/workgroup (compile time only)
; SGPRBlocks: 3
; VGPRBlocks: 12
; NumSGPRsForWavesPerEU: 27
; NumVGPRsForWavesPerEU: 52
; Occupancy: 4
; WaveLimiterHint : 1
; COMPUTE_PGM_RSRC2:SCRATCH_EN: 0
; COMPUTE_PGM_RSRC2:USER_SGPR: 6
; COMPUTE_PGM_RSRC2:TRAP_HANDLER: 0
; COMPUTE_PGM_RSRC2:TGID_X_EN: 1
; COMPUTE_PGM_RSRC2:TGID_Y_EN: 1
; COMPUTE_PGM_RSRC2:TGID_Z_EN: 1
; COMPUTE_PGM_RSRC2:TIDIG_COMP_CNT: 1
	.section	.text._ZL32rocblas_syrkx_herkx_small_kernelIi19rocblas_complex_numIfELi16ELb0ELb0ELc78ELc76EKPKS1_KPS1_EviT_T0_PT6_S7_lSA_S7_lS8_PT7_S7_li,"axG",@progbits,_ZL32rocblas_syrkx_herkx_small_kernelIi19rocblas_complex_numIfELi16ELb0ELb0ELc78ELc76EKPKS1_KPS1_EviT_T0_PT6_S7_lSA_S7_lS8_PT7_S7_li,comdat
	.globl	_ZL32rocblas_syrkx_herkx_small_kernelIi19rocblas_complex_numIfELi16ELb0ELb0ELc78ELc76EKPKS1_KPS1_EviT_T0_PT6_S7_lSA_S7_lS8_PT7_S7_li ; -- Begin function _ZL32rocblas_syrkx_herkx_small_kernelIi19rocblas_complex_numIfELi16ELb0ELb0ELc78ELc76EKPKS1_KPS1_EviT_T0_PT6_S7_lSA_S7_lS8_PT7_S7_li
	.p2align	8
	.type	_ZL32rocblas_syrkx_herkx_small_kernelIi19rocblas_complex_numIfELi16ELb0ELb0ELc78ELc76EKPKS1_KPS1_EviT_T0_PT6_S7_lSA_S7_lS8_PT7_S7_li,@function
_ZL32rocblas_syrkx_herkx_small_kernelIi19rocblas_complex_numIfELi16ELb0ELb0ELc78ELc76EKPKS1_KPS1_EviT_T0_PT6_S7_lSA_S7_lS8_PT7_S7_li: ; @_ZL32rocblas_syrkx_herkx_small_kernelIi19rocblas_complex_numIfELi16ELb0ELb0ELc78ELc76EKPKS1_KPS1_EviT_T0_PT6_S7_lSA_S7_lS8_PT7_S7_li
; %bb.0:
	s_load_dwordx4 s[12:15], s[4:5], 0x40
	s_load_dwordx2 s[20:21], s[4:5], 0x0
	s_load_dwordx4 s[16:19], s[4:5], 0x8
	s_mov_b32 s9, 0
	s_lshl_b64 s[2:3], s[8:9], 3
	s_waitcnt lgkmcnt(0)
	s_add_u32 s0, s14, s2
	s_addc_u32 s1, s15, s3
	s_load_dwordx2 s[10:11], s[0:1], 0x0
	v_lshl_add_u32 v2, s6, 4, v0
	v_lshl_add_u32 v4, s7, 4, v1
	s_cmp_lt_i32 s21, 1
	v_cmp_gt_i32_e64 s[0:1], s20, v2
	v_ashrrev_i32_e32 v3, 31, v2
	s_cbranch_scc1 .LBB674_9
; %bb.1:
	s_load_dword s14, s[4:5], 0x18
	s_load_dword s6, s[4:5], 0x30
	s_load_dwordx2 s[22:23], s[4:5], 0x28
	v_lshlrev_b32_e32 v5, 7, v1
	v_lshlrev_b32_e32 v12, 3, v0
	s_waitcnt lgkmcnt(0)
	s_ashr_i32 s15, s14, 31
	s_ashr_i32 s7, s6, 31
	s_add_u32 s22, s22, s2
	s_addc_u32 s23, s23, s3
	s_add_u32 s2, s18, s2
	s_addc_u32 s3, s19, s3
	s_load_dwordx2 s[18:19], s[2:3], 0x0
	v_mad_i64_i32 v[6:7], s[2:3], s6, v0, 0
	v_add_u32_e32 v13, v12, v5
	v_add_u32_e32 v14, 0x800, v5
	v_ashrrev_i32_e32 v5, 31, v4
	v_lshlrev_b64 v[6:7], 3, v[6:7]
	v_lshlrev_b64 v[8:9], 3, v[4:5]
	s_load_dwordx2 s[22:23], s[22:23], 0x0
	v_add_co_u32_e64 v5, s[2:3], v6, v8
	v_addc_co_u32_e64 v6, s[2:3], v7, v9, s[2:3]
	v_mad_i64_i32 v[7:8], s[2:3], s14, v1, 0
	s_waitcnt lgkmcnt(0)
	v_mov_b32_e32 v9, s23
	v_add_co_u32_e64 v5, s[2:3], s22, v5
	v_addc_co_u32_e64 v6, s[2:3], v9, v6, s[2:3]
	v_lshlrev_b64 v[7:8], 3, v[7:8]
	v_lshlrev_b64 v[9:10], 3, v[2:3]
	s_lshl_b64 s[6:7], s[6:7], 7
	v_add_co_u32_e64 v7, s[2:3], v7, v9
	v_addc_co_u32_e64 v8, s[2:3], v8, v10, s[2:3]
	v_mov_b32_e32 v9, s19
	v_add_co_u32_e64 v7, s[2:3], s18, v7
	v_addc_co_u32_e64 v8, s[2:3], v9, v8, s[2:3]
	s_lshl_b64 s[2:3], s[14:15], 7
	v_cmp_gt_i32_e32 vcc, s20, v4
	v_add_u32_e32 v15, v14, v12
	v_mov_b32_e32 v9, 0
	s_xor_b64 s[14:15], s[0:1], -1
	v_mov_b32_e32 v18, s7
	v_mov_b32_e32 v19, s3
	v_mov_b32_e32 v16, 0
	v_mov_b32_e32 v17, 0
	s_branch .LBB674_3
.LBB674_2:                              ;   in Loop: Header=BB674_3 Depth=1
	s_or_b64 exec, exec, s[0:1]
	s_waitcnt vmcnt(0) lgkmcnt(0)
	ds_write_b64 v15, v[10:11]
	s_waitcnt lgkmcnt(0)
	s_barrier
	ds_read2_b64 v[20:23], v12 offset1:16
	ds_read_b128 v[24:27], v14
	ds_read_b128 v[28:31], v14 offset:16
	ds_read2_b64 v[32:35], v12 offset0:32 offset1:48
	v_add_co_u32_e64 v5, s[0:1], s6, v5
	s_waitcnt lgkmcnt(2)
	v_mul_f32_e32 v10, v25, v21
	v_mul_f32_e32 v11, v24, v21
	v_fma_f32 v10, v24, v20, -v10
	v_fmac_f32_e32 v11, v25, v20
	v_mul_f32_e32 v20, v27, v23
	v_fma_f32 v36, v26, v22, -v20
	v_mul_f32_e32 v37, v26, v23
	s_waitcnt lgkmcnt(0)
	v_mul_f32_e32 v20, v29, v33
	v_fmac_f32_e32 v37, v27, v22
	v_fma_f32 v38, v28, v32, -v20
	ds_read2_b64 v[20:23], v12 offset0:64 offset1:80
	ds_read_b128 v[24:27], v14 offset:32
	v_mul_f32_e32 v39, v28, v33
	v_fmac_f32_e32 v39, v29, v32
	v_mul_f32_e32 v28, v31, v35
	v_mul_f32_e32 v41, v30, v35
	s_waitcnt lgkmcnt(0)
	v_mul_f32_e32 v32, v25, v21
	v_fma_f32 v40, v30, v34, -v28
	v_fmac_f32_e32 v41, v31, v34
	ds_read_b128 v[28:31], v14 offset:48
	v_fma_f32 v42, v24, v20, -v32
	ds_read2_b64 v[32:35], v12 offset0:96 offset1:112
	v_mul_f32_e32 v43, v24, v21
	v_fmac_f32_e32 v43, v25, v20
	v_mul_f32_e32 v20, v27, v23
	v_fma_f32 v44, v26, v22, -v20
	v_mul_f32_e32 v45, v26, v23
	s_waitcnt lgkmcnt(0)
	v_mul_f32_e32 v20, v29, v33
	v_fmac_f32_e32 v45, v27, v22
	v_fma_f32 v46, v28, v32, -v20
	ds_read2_b64 v[20:23], v12 offset0:128 offset1:144
	ds_read_b128 v[24:27], v14 offset:64
	v_mul_f32_e32 v47, v28, v33
	v_fmac_f32_e32 v47, v29, v32
	v_mul_f32_e32 v28, v31, v35
	v_mul_f32_e32 v49, v30, v35
	s_waitcnt lgkmcnt(0)
	v_mul_f32_e32 v32, v25, v21
	v_fma_f32 v48, v30, v34, -v28
	v_fmac_f32_e32 v49, v31, v34
	ds_read_b128 v[28:31], v14 offset:80
	v_fma_f32 v50, v24, v20, -v32
	ds_read2_b64 v[32:35], v12 offset0:160 offset1:176
	v_mul_f32_e32 v51, v24, v21
	v_fmac_f32_e32 v51, v25, v20
	v_mul_f32_e32 v20, v27, v23
	v_fma_f32 v52, v26, v22, -v20
	v_mul_f32_e32 v53, v26, v23
	s_waitcnt lgkmcnt(0)
	v_mul_f32_e32 v20, v29, v33
	v_add_f32_e32 v10, v17, v10
	v_add_f32_e32 v11, v16, v11
	v_fmac_f32_e32 v53, v27, v22
	v_fma_f32 v54, v28, v32, -v20
	ds_read2_b64 v[20:23], v12 offset0:192 offset1:208
	ds_read_b128 v[24:27], v14 offset:96
	v_add_f32_e32 v10, v10, v36
	v_add_f32_e32 v11, v11, v37
	;; [unrolled: 1-line block ×8, first 2 shown]
	v_mul_f32_e32 v55, v28, v33
	v_add_f32_e32 v10, v10, v44
	v_add_f32_e32 v11, v11, v45
	v_fmac_f32_e32 v55, v29, v32
	v_mul_f32_e32 v28, v31, v35
	v_mul_f32_e32 v57, v30, v35
	s_waitcnt lgkmcnt(0)
	v_mul_f32_e32 v32, v25, v21
	v_add_f32_e32 v10, v10, v46
	v_add_f32_e32 v11, v11, v47
	v_fma_f32 v56, v30, v34, -v28
	v_fmac_f32_e32 v57, v31, v34
	ds_read_b128 v[28:31], v14 offset:112
	v_fma_f32 v58, v24, v20, -v32
	ds_read2_b64 v[32:35], v12 offset0:224 offset1:240
	v_add_f32_e32 v10, v10, v48
	v_add_f32_e32 v11, v11, v49
	;; [unrolled: 1-line block ×6, first 2 shown]
	v_mul_f32_e32 v21, v24, v21
	v_add_f32_e32 v10, v10, v54
	v_add_f32_e32 v11, v11, v55
	v_fmac_f32_e32 v21, v25, v20
	v_mul_f32_e32 v20, v27, v23
	v_mul_f32_e32 v23, v26, v23
	v_add_f32_e32 v10, v10, v56
	v_add_f32_e32 v11, v11, v57
	v_fma_f32 v20, v26, v22, -v20
	v_fmac_f32_e32 v23, v27, v22
	s_waitcnt lgkmcnt(0)
	v_mul_f32_e32 v22, v29, v33
	v_mul_f32_e32 v24, v28, v33
	v_add_f32_e32 v10, v10, v58
	v_add_f32_e32 v11, v11, v21
	v_fma_f32 v22, v28, v32, -v22
	v_fmac_f32_e32 v24, v29, v32
	v_mul_f32_e32 v25, v31, v35
	v_mul_f32_e32 v26, v30, v35
	v_add_f32_e32 v10, v10, v20
	v_add_f32_e32 v11, v11, v23
	v_addc_co_u32_e64 v6, s[0:1], v6, v18, s[0:1]
	v_fma_f32 v25, v30, v34, -v25
	v_fmac_f32_e32 v26, v31, v34
	v_add_f32_e32 v10, v10, v22
	v_add_f32_e32 v11, v11, v24
	s_add_i32 s9, s9, 16
	v_add_co_u32_e64 v7, s[0:1], s2, v7
	v_add_f32_e32 v17, v10, v25
	v_add_f32_e32 v16, v11, v26
	s_cmp_ge_i32 s9, s21
	v_addc_co_u32_e64 v8, s[0:1], v8, v19, s[0:1]
	s_barrier
	s_cbranch_scc1 .LBB674_10
.LBB674_3:                              ; =>This Inner Loop Header: Depth=1
	v_add_u32_e32 v10, s9, v1
	v_cmp_le_i32_e64 s[0:1], s21, v10
	s_or_b64 s[0:1], s[14:15], s[0:1]
	s_and_saveexec_b64 s[18:19], s[0:1]
	s_xor_b64 s[0:1], exec, s[18:19]
; %bb.4:                                ;   in Loop: Header=BB674_3 Depth=1
	v_mov_b32_e32 v10, v9
	ds_write_b64 v13, v[9:10]
; %bb.5:                                ;   in Loop: Header=BB674_3 Depth=1
	s_andn2_saveexec_b64 s[0:1], s[0:1]
	s_cbranch_execz .LBB674_7
; %bb.6:                                ;   in Loop: Header=BB674_3 Depth=1
	flat_load_dwordx2 v[10:11], v[7:8]
	s_waitcnt vmcnt(0) lgkmcnt(0)
	ds_write_b64 v13, v[10:11]
.LBB674_7:                              ;   in Loop: Header=BB674_3 Depth=1
	s_or_b64 exec, exec, s[0:1]
	v_add_u32_e32 v10, s9, v0
	v_cmp_gt_i32_e64 s[0:1], s21, v10
	s_and_b64 s[18:19], vcc, s[0:1]
	v_mov_b32_e32 v10, 0
	v_mov_b32_e32 v11, 0
	s_and_saveexec_b64 s[0:1], s[18:19]
	s_cbranch_execz .LBB674_2
; %bb.8:                                ;   in Loop: Header=BB674_3 Depth=1
	flat_load_dwordx2 v[10:11], v[5:6]
	s_branch .LBB674_2
.LBB674_9:
	v_mov_b32_e32 v16, 0
	v_mov_b32_e32 v17, 0
.LBB674_10:
	v_cmp_le_i32_e32 vcc, v4, v2
	v_cmp_gt_i32_e64 s[0:1], s20, v2
	s_and_b64 s[0:1], vcc, s[0:1]
	s_and_saveexec_b64 s[2:3], s[0:1]
	s_cbranch_execz .LBB674_12
; %bb.11:
	s_load_dword s0, s[4:5], 0x50
	v_lshlrev_b64 v[2:3], 3, v[2:3]
	v_mul_f32_e32 v5, s16, v16
	v_fmac_f32_e32 v5, s17, v17
	s_waitcnt lgkmcnt(0)
	v_mad_i64_i32 v[0:1], s[0:1], s0, v4, 0
	v_mov_b32_e32 v4, s11
	v_lshlrev_b64 v[0:1], 3, v[0:1]
	v_add_co_u32_e32 v0, vcc, s10, v0
	v_addc_co_u32_e32 v1, vcc, v4, v1, vcc
	v_add_co_u32_e32 v0, vcc, v0, v2
	v_addc_co_u32_e32 v1, vcc, v1, v3, vcc
	flat_load_dwordx2 v[2:3], v[0:1]
	v_mul_f32_e32 v4, s17, v16
	v_fma_f32 v4, v17, s16, -v4
	s_waitcnt vmcnt(0) lgkmcnt(0)
	v_mul_f32_e32 v6, s13, v3
	v_mul_f32_e32 v3, s12, v3
	v_fma_f32 v6, v2, s12, -v6
	v_fmac_f32_e32 v3, s13, v2
	v_add_f32_e32 v2, v4, v6
	v_add_f32_e32 v3, v5, v3
	flat_store_dwordx2 v[0:1], v[2:3]
.LBB674_12:
	s_endpgm
	.section	.rodata,"a",@progbits
	.p2align	6, 0x0
	.amdhsa_kernel _ZL32rocblas_syrkx_herkx_small_kernelIi19rocblas_complex_numIfELi16ELb0ELb0ELc78ELc76EKPKS1_KPS1_EviT_T0_PT6_S7_lSA_S7_lS8_PT7_S7_li
		.amdhsa_group_segment_fixed_size 4096
		.amdhsa_private_segment_fixed_size 0
		.amdhsa_kernarg_size 100
		.amdhsa_user_sgpr_count 6
		.amdhsa_user_sgpr_private_segment_buffer 1
		.amdhsa_user_sgpr_dispatch_ptr 0
		.amdhsa_user_sgpr_queue_ptr 0
		.amdhsa_user_sgpr_kernarg_segment_ptr 1
		.amdhsa_user_sgpr_dispatch_id 0
		.amdhsa_user_sgpr_flat_scratch_init 0
		.amdhsa_user_sgpr_private_segment_size 0
		.amdhsa_uses_dynamic_stack 0
		.amdhsa_system_sgpr_private_segment_wavefront_offset 0
		.amdhsa_system_sgpr_workgroup_id_x 1
		.amdhsa_system_sgpr_workgroup_id_y 1
		.amdhsa_system_sgpr_workgroup_id_z 1
		.amdhsa_system_sgpr_workgroup_info 0
		.amdhsa_system_vgpr_workitem_id 1
		.amdhsa_next_free_vgpr 59
		.amdhsa_next_free_sgpr 24
		.amdhsa_reserve_vcc 1
		.amdhsa_reserve_flat_scratch 0
		.amdhsa_float_round_mode_32 0
		.amdhsa_float_round_mode_16_64 0
		.amdhsa_float_denorm_mode_32 3
		.amdhsa_float_denorm_mode_16_64 3
		.amdhsa_dx10_clamp 1
		.amdhsa_ieee_mode 1
		.amdhsa_fp16_overflow 0
		.amdhsa_exception_fp_ieee_invalid_op 0
		.amdhsa_exception_fp_denorm_src 0
		.amdhsa_exception_fp_ieee_div_zero 0
		.amdhsa_exception_fp_ieee_overflow 0
		.amdhsa_exception_fp_ieee_underflow 0
		.amdhsa_exception_fp_ieee_inexact 0
		.amdhsa_exception_int_div_zero 0
	.end_amdhsa_kernel
	.section	.text._ZL32rocblas_syrkx_herkx_small_kernelIi19rocblas_complex_numIfELi16ELb0ELb0ELc78ELc76EKPKS1_KPS1_EviT_T0_PT6_S7_lSA_S7_lS8_PT7_S7_li,"axG",@progbits,_ZL32rocblas_syrkx_herkx_small_kernelIi19rocblas_complex_numIfELi16ELb0ELb0ELc78ELc76EKPKS1_KPS1_EviT_T0_PT6_S7_lSA_S7_lS8_PT7_S7_li,comdat
.Lfunc_end674:
	.size	_ZL32rocblas_syrkx_herkx_small_kernelIi19rocblas_complex_numIfELi16ELb0ELb0ELc78ELc76EKPKS1_KPS1_EviT_T0_PT6_S7_lSA_S7_lS8_PT7_S7_li, .Lfunc_end674-_ZL32rocblas_syrkx_herkx_small_kernelIi19rocblas_complex_numIfELi16ELb0ELb0ELc78ELc76EKPKS1_KPS1_EviT_T0_PT6_S7_lSA_S7_lS8_PT7_S7_li
                                        ; -- End function
	.set _ZL32rocblas_syrkx_herkx_small_kernelIi19rocblas_complex_numIfELi16ELb0ELb0ELc78ELc76EKPKS1_KPS1_EviT_T0_PT6_S7_lSA_S7_lS8_PT7_S7_li.num_vgpr, 59
	.set _ZL32rocblas_syrkx_herkx_small_kernelIi19rocblas_complex_numIfELi16ELb0ELb0ELc78ELc76EKPKS1_KPS1_EviT_T0_PT6_S7_lSA_S7_lS8_PT7_S7_li.num_agpr, 0
	.set _ZL32rocblas_syrkx_herkx_small_kernelIi19rocblas_complex_numIfELi16ELb0ELb0ELc78ELc76EKPKS1_KPS1_EviT_T0_PT6_S7_lSA_S7_lS8_PT7_S7_li.numbered_sgpr, 24
	.set _ZL32rocblas_syrkx_herkx_small_kernelIi19rocblas_complex_numIfELi16ELb0ELb0ELc78ELc76EKPKS1_KPS1_EviT_T0_PT6_S7_lSA_S7_lS8_PT7_S7_li.num_named_barrier, 0
	.set _ZL32rocblas_syrkx_herkx_small_kernelIi19rocblas_complex_numIfELi16ELb0ELb0ELc78ELc76EKPKS1_KPS1_EviT_T0_PT6_S7_lSA_S7_lS8_PT7_S7_li.private_seg_size, 0
	.set _ZL32rocblas_syrkx_herkx_small_kernelIi19rocblas_complex_numIfELi16ELb0ELb0ELc78ELc76EKPKS1_KPS1_EviT_T0_PT6_S7_lSA_S7_lS8_PT7_S7_li.uses_vcc, 1
	.set _ZL32rocblas_syrkx_herkx_small_kernelIi19rocblas_complex_numIfELi16ELb0ELb0ELc78ELc76EKPKS1_KPS1_EviT_T0_PT6_S7_lSA_S7_lS8_PT7_S7_li.uses_flat_scratch, 0
	.set _ZL32rocblas_syrkx_herkx_small_kernelIi19rocblas_complex_numIfELi16ELb0ELb0ELc78ELc76EKPKS1_KPS1_EviT_T0_PT6_S7_lSA_S7_lS8_PT7_S7_li.has_dyn_sized_stack, 0
	.set _ZL32rocblas_syrkx_herkx_small_kernelIi19rocblas_complex_numIfELi16ELb0ELb0ELc78ELc76EKPKS1_KPS1_EviT_T0_PT6_S7_lSA_S7_lS8_PT7_S7_li.has_recursion, 0
	.set _ZL32rocblas_syrkx_herkx_small_kernelIi19rocblas_complex_numIfELi16ELb0ELb0ELc78ELc76EKPKS1_KPS1_EviT_T0_PT6_S7_lSA_S7_lS8_PT7_S7_li.has_indirect_call, 0
	.section	.AMDGPU.csdata,"",@progbits
; Kernel info:
; codeLenInByte = 1300
; TotalNumSgprs: 28
; NumVgprs: 59
; ScratchSize: 0
; MemoryBound: 1
; FloatMode: 240
; IeeeMode: 1
; LDSByteSize: 4096 bytes/workgroup (compile time only)
; SGPRBlocks: 3
; VGPRBlocks: 14
; NumSGPRsForWavesPerEU: 28
; NumVGPRsForWavesPerEU: 59
; Occupancy: 4
; WaveLimiterHint : 1
; COMPUTE_PGM_RSRC2:SCRATCH_EN: 0
; COMPUTE_PGM_RSRC2:USER_SGPR: 6
; COMPUTE_PGM_RSRC2:TRAP_HANDLER: 0
; COMPUTE_PGM_RSRC2:TGID_X_EN: 1
; COMPUTE_PGM_RSRC2:TGID_Y_EN: 1
; COMPUTE_PGM_RSRC2:TGID_Z_EN: 1
; COMPUTE_PGM_RSRC2:TIDIG_COMP_CNT: 1
	.section	.text._ZL32rocblas_syrkx_herkx_small_kernelIi19rocblas_complex_numIfELi16ELb0ELb0ELc84ELc85EKPKS1_KPS1_EviT_T0_PT6_S7_lSA_S7_lS8_PT7_S7_li,"axG",@progbits,_ZL32rocblas_syrkx_herkx_small_kernelIi19rocblas_complex_numIfELi16ELb0ELb0ELc84ELc85EKPKS1_KPS1_EviT_T0_PT6_S7_lSA_S7_lS8_PT7_S7_li,comdat
	.globl	_ZL32rocblas_syrkx_herkx_small_kernelIi19rocblas_complex_numIfELi16ELb0ELb0ELc84ELc85EKPKS1_KPS1_EviT_T0_PT6_S7_lSA_S7_lS8_PT7_S7_li ; -- Begin function _ZL32rocblas_syrkx_herkx_small_kernelIi19rocblas_complex_numIfELi16ELb0ELb0ELc84ELc85EKPKS1_KPS1_EviT_T0_PT6_S7_lSA_S7_lS8_PT7_S7_li
	.p2align	8
	.type	_ZL32rocblas_syrkx_herkx_small_kernelIi19rocblas_complex_numIfELi16ELb0ELb0ELc84ELc85EKPKS1_KPS1_EviT_T0_PT6_S7_lSA_S7_lS8_PT7_S7_li,@function
_ZL32rocblas_syrkx_herkx_small_kernelIi19rocblas_complex_numIfELi16ELb0ELb0ELc84ELc85EKPKS1_KPS1_EviT_T0_PT6_S7_lSA_S7_lS8_PT7_S7_li: ; @_ZL32rocblas_syrkx_herkx_small_kernelIi19rocblas_complex_numIfELi16ELb0ELb0ELc84ELc85EKPKS1_KPS1_EviT_T0_PT6_S7_lSA_S7_lS8_PT7_S7_li
; %bb.0:
	s_load_dwordx4 s[12:15], s[4:5], 0x40
	s_load_dwordx2 s[20:21], s[4:5], 0x0
	s_load_dwordx4 s[16:19], s[4:5], 0x8
	s_mov_b32 s9, 0
	s_lshl_b64 s[2:3], s[8:9], 3
	s_waitcnt lgkmcnt(0)
	s_add_u32 s0, s14, s2
	s_addc_u32 s1, s15, s3
	s_load_dwordx2 s[10:11], s[0:1], 0x0
	v_lshl_add_u32 v9, s7, 4, v1
	v_lshl_add_u32 v2, s6, 4, v0
	s_cmp_lt_i32 s21, 1
	v_cmp_gt_i32_e32 vcc, s20, v9
	s_cbranch_scc1 .LBB675_11
; %bb.1:
	s_load_dwordx2 s[6:7], s[4:5], 0x28
	s_load_dword s8, s[4:5], 0x18
	s_load_dword s22, s[4:5], 0x30
	v_lshlrev_b32_e32 v5, 7, v1
	v_lshlrev_b32_e32 v10, 3, v0
	s_waitcnt lgkmcnt(0)
	s_add_u32 s6, s6, s2
	s_addc_u32 s7, s7, s3
	s_add_u32 s2, s18, s2
	s_addc_u32 s3, s19, s3
	s_load_dwordx2 s[14:15], s[2:3], 0x0
	v_mad_i64_i32 v[3:4], s[2:3], s22, v9, 0
	v_add_u32_e32 v11, v10, v5
	v_add_u32_e32 v12, 0x800, v5
	v_lshlrev_b64 v[4:5], 3, v[3:4]
	s_load_dwordx2 s[6:7], s[6:7], 0x0
	v_add_co_u32_e64 v4, s[2:3], v4, v10
	v_addc_co_u32_e64 v6, s[2:3], 0, v5, s[2:3]
	v_mad_i64_i32 v[7:8], s[2:3], s8, v2, 0
	s_waitcnt lgkmcnt(0)
	v_mov_b32_e32 v14, s7
	v_add_co_u32_e64 v5, s[2:3], s6, v4
	v_lshlrev_b64 v[7:8], 3, v[7:8]
	v_addc_co_u32_e64 v6, s[2:3], v14, v6, s[2:3]
	v_lshlrev_b32_e32 v4, 3, v1
	v_add_co_u32_e64 v4, s[2:3], v7, v4
	v_addc_co_u32_e64 v8, s[2:3], 0, v8, s[2:3]
	v_mov_b32_e32 v14, s15
	v_add_co_u32_e64 v7, s[2:3], s14, v4
	v_cmp_gt_i32_e64 s[0:1], s20, v2
	v_addc_co_u32_e64 v8, s[2:3], v14, v8, s[2:3]
	v_add_u32_e32 v13, v12, v10
	v_mov_b32_e32 v3, 0
	s_xor_b64 s[0:1], s[0:1], -1
	s_xor_b64 s[2:3], vcc, -1
	v_mov_b32_e32 v14, 0
	v_mov_b32_e32 v15, 0
	s_branch .LBB675_3
.LBB675_2:                              ;   in Loop: Header=BB675_3 Depth=1
	s_or_b64 exec, exec, s[6:7]
	s_waitcnt lgkmcnt(0)
	s_barrier
	ds_read2_b64 v[16:19], v10 offset1:16
	ds_read_b128 v[20:23], v12
	ds_read_b128 v[24:27], v12 offset:16
	ds_read2_b64 v[28:31], v10 offset0:32 offset1:48
	v_add_co_u32_e32 v5, vcc, 0x80, v5
	s_waitcnt lgkmcnt(2)
	v_mul_f32_e32 v4, v21, v17
	v_mul_f32_e32 v32, v20, v17
	v_fma_f32 v4, v20, v16, -v4
	v_fmac_f32_e32 v32, v21, v16
	v_mul_f32_e32 v16, v23, v19
	v_fma_f32 v33, v22, v18, -v16
	v_mul_f32_e32 v34, v22, v19
	s_waitcnt lgkmcnt(0)
	v_mul_f32_e32 v16, v25, v29
	v_fmac_f32_e32 v34, v23, v18
	v_fma_f32 v35, v24, v28, -v16
	ds_read2_b64 v[16:19], v10 offset0:64 offset1:80
	ds_read_b128 v[20:23], v12 offset:32
	v_mul_f32_e32 v36, v24, v29
	v_fmac_f32_e32 v36, v25, v28
	v_mul_f32_e32 v24, v27, v31
	v_mul_f32_e32 v38, v26, v31
	s_waitcnt lgkmcnt(0)
	v_mul_f32_e32 v28, v21, v17
	v_fma_f32 v37, v26, v30, -v24
	v_fmac_f32_e32 v38, v27, v30
	ds_read_b128 v[24:27], v12 offset:48
	v_fma_f32 v39, v20, v16, -v28
	ds_read2_b64 v[28:31], v10 offset0:96 offset1:112
	v_mul_f32_e32 v40, v20, v17
	v_fmac_f32_e32 v40, v21, v16
	v_mul_f32_e32 v16, v23, v19
	v_fma_f32 v41, v22, v18, -v16
	v_mul_f32_e32 v42, v22, v19
	s_waitcnt lgkmcnt(0)
	v_mul_f32_e32 v16, v25, v29
	v_fmac_f32_e32 v42, v23, v18
	v_fma_f32 v43, v24, v28, -v16
	ds_read2_b64 v[16:19], v10 offset0:128 offset1:144
	ds_read_b128 v[20:23], v12 offset:64
	v_mul_f32_e32 v44, v24, v29
	v_fmac_f32_e32 v44, v25, v28
	v_mul_f32_e32 v24, v27, v31
	v_mul_f32_e32 v46, v26, v31
	s_waitcnt lgkmcnt(0)
	v_mul_f32_e32 v28, v21, v17
	v_fma_f32 v45, v26, v30, -v24
	v_fmac_f32_e32 v46, v27, v30
	ds_read_b128 v[24:27], v12 offset:80
	v_fma_f32 v47, v20, v16, -v28
	ds_read2_b64 v[28:31], v10 offset0:160 offset1:176
	v_mul_f32_e32 v48, v20, v17
	v_add_f32_e32 v14, v14, v32
	v_fmac_f32_e32 v48, v21, v16
	v_mul_f32_e32 v16, v23, v19
	v_add_f32_e32 v14, v14, v34
	v_fma_f32 v49, v22, v18, -v16
	v_mul_f32_e32 v50, v22, v19
	s_waitcnt lgkmcnt(0)
	v_mul_f32_e32 v16, v25, v29
	v_add_f32_e32 v14, v14, v36
	v_fmac_f32_e32 v50, v23, v18
	v_fma_f32 v51, v24, v28, -v16
	ds_read2_b64 v[16:19], v10 offset0:192 offset1:208
	ds_read_b128 v[20:23], v12 offset:96
	v_add_f32_e32 v14, v14, v38
	v_add_f32_e32 v14, v14, v40
	v_add_f32_e32 v4, v15, v4
	v_add_f32_e32 v14, v14, v42
	v_add_f32_e32 v4, v4, v33
	v_add_f32_e32 v14, v14, v44
	v_mul_f32_e32 v29, v24, v29
	v_mul_f32_e32 v24, v27, v31
	;; [unrolled: 1-line block ×3, first 2 shown]
	v_add_f32_e32 v4, v4, v35
	v_add_f32_e32 v14, v14, v46
	v_fmac_f32_e32 v29, v25, v28
	v_fma_f32 v28, v26, v30, -v24
	v_fmac_f32_e32 v31, v27, v30
	s_waitcnt lgkmcnt(0)
	v_mul_f32_e32 v30, v21, v17
	v_add_f32_e32 v4, v4, v37
	v_add_f32_e32 v14, v14, v48
	v_fma_f32 v30, v20, v16, -v30
	v_mul_f32_e32 v20, v20, v17
	v_add_f32_e32 v4, v4, v39
	v_add_f32_e32 v14, v14, v50
	v_fmac_f32_e32 v20, v21, v16
	v_mul_f32_e32 v16, v23, v19
	v_mul_f32_e32 v19, v22, v19
	v_add_f32_e32 v4, v4, v41
	v_add_f32_e32 v14, v14, v29
	ds_read_b128 v[24:27], v12 offset:112
	v_fma_f32 v21, v22, v18, -v16
	v_fmac_f32_e32 v19, v23, v18
	v_add_f32_e32 v4, v4, v43
	v_add_f32_e32 v18, v14, v31
	ds_read2_b64 v[14:17], v10 offset0:224 offset1:240
	v_add_f32_e32 v4, v4, v45
	v_add_f32_e32 v4, v4, v47
	;; [unrolled: 1-line block ×7, first 2 shown]
	s_waitcnt lgkmcnt(0)
	v_mul_f32_e32 v19, v25, v15
	v_mul_f32_e32 v15, v24, v15
	v_add_f32_e32 v4, v4, v30
	v_fmac_f32_e32 v15, v25, v14
	v_add_f32_e32 v4, v4, v21
	v_fma_f32 v19, v24, v14, -v19
	v_add_f32_e32 v14, v18, v15
	v_mul_f32_e32 v15, v27, v17
	v_mul_f32_e32 v17, v26, v17
	v_addc_co_u32_e32 v6, vcc, 0, v6, vcc
	v_add_f32_e32 v4, v4, v19
	v_fma_f32 v15, v26, v16, -v15
	v_fmac_f32_e32 v17, v27, v16
	s_add_i32 s9, s9, 16
	v_add_co_u32_e32 v7, vcc, 0x80, v7
	v_add_f32_e32 v15, v4, v15
	v_add_f32_e32 v14, v14, v17
	s_cmp_ge_i32 s9, s21
	v_addc_co_u32_e32 v8, vcc, 0, v8, vcc
	s_barrier
	s_cbranch_scc1 .LBB675_12
.LBB675_3:                              ; =>This Inner Loop Header: Depth=1
	v_add_u32_e32 v4, s9, v1
	v_cmp_le_i32_e32 vcc, s21, v4
	s_or_b64 s[6:7], s[0:1], vcc
	s_and_saveexec_b64 s[14:15], s[6:7]
	s_xor_b64 s[6:7], exec, s[14:15]
; %bb.4:                                ;   in Loop: Header=BB675_3 Depth=1
	v_mov_b32_e32 v4, v3
	ds_write_b64 v11, v[3:4]
; %bb.5:                                ;   in Loop: Header=BB675_3 Depth=1
	s_andn2_saveexec_b64 s[6:7], s[6:7]
	s_cbranch_execz .LBB675_7
; %bb.6:                                ;   in Loop: Header=BB675_3 Depth=1
	flat_load_dwordx2 v[16:17], v[7:8]
	s_waitcnt vmcnt(0) lgkmcnt(0)
	ds_write_b64 v11, v[16:17]
.LBB675_7:                              ;   in Loop: Header=BB675_3 Depth=1
	s_or_b64 exec, exec, s[6:7]
	v_add_u32_e32 v4, s9, v0
	v_cmp_le_i32_e32 vcc, s21, v4
	s_or_b64 s[6:7], s[2:3], vcc
	s_and_saveexec_b64 s[14:15], s[6:7]
	s_xor_b64 s[6:7], exec, s[14:15]
; %bb.8:                                ;   in Loop: Header=BB675_3 Depth=1
	v_mov_b32_e32 v4, v3
	ds_write_b64 v13, v[3:4]
; %bb.9:                                ;   in Loop: Header=BB675_3 Depth=1
	s_andn2_saveexec_b64 s[6:7], s[6:7]
	s_cbranch_execz .LBB675_2
; %bb.10:                               ;   in Loop: Header=BB675_3 Depth=1
	flat_load_dwordx2 v[16:17], v[5:6]
	s_waitcnt vmcnt(0) lgkmcnt(0)
	ds_write_b64 v13, v[16:17]
	s_branch .LBB675_2
.LBB675_11:
	v_mov_b32_e32 v14, 0
	v_mov_b32_e32 v15, 0
.LBB675_12:
	v_cmp_le_i32_e32 vcc, v2, v9
	v_cmp_gt_i32_e64 s[0:1], s20, v9
	s_and_b64 s[0:1], vcc, s[0:1]
	s_and_saveexec_b64 s[2:3], s[0:1]
	s_cbranch_execz .LBB675_14
; %bb.13:
	s_load_dword s0, s[4:5], 0x50
	v_ashrrev_i32_e32 v3, 31, v2
	s_waitcnt lgkmcnt(0)
	v_mov_b32_e32 v4, s11
	v_lshlrev_b64 v[2:3], 3, v[2:3]
	v_mul_f32_e32 v5, s16, v14
	v_mad_i64_i32 v[0:1], s[0:1], s0, v9, 0
	v_fmac_f32_e32 v5, s17, v15
	v_lshlrev_b64 v[0:1], 3, v[0:1]
	v_add_co_u32_e32 v0, vcc, s10, v0
	v_addc_co_u32_e32 v1, vcc, v4, v1, vcc
	v_add_co_u32_e32 v0, vcc, v0, v2
	v_addc_co_u32_e32 v1, vcc, v1, v3, vcc
	flat_load_dwordx2 v[2:3], v[0:1]
	v_mul_f32_e32 v4, s17, v14
	v_fma_f32 v4, v15, s16, -v4
	s_waitcnt vmcnt(0) lgkmcnt(0)
	v_mul_f32_e32 v6, s13, v3
	v_mul_f32_e32 v3, s12, v3
	v_fma_f32 v6, v2, s12, -v6
	v_fmac_f32_e32 v3, s13, v2
	v_add_f32_e32 v2, v4, v6
	v_add_f32_e32 v3, v5, v3
	flat_store_dwordx2 v[0:1], v[2:3]
.LBB675_14:
	s_endpgm
	.section	.rodata,"a",@progbits
	.p2align	6, 0x0
	.amdhsa_kernel _ZL32rocblas_syrkx_herkx_small_kernelIi19rocblas_complex_numIfELi16ELb0ELb0ELc84ELc85EKPKS1_KPS1_EviT_T0_PT6_S7_lSA_S7_lS8_PT7_S7_li
		.amdhsa_group_segment_fixed_size 4096
		.amdhsa_private_segment_fixed_size 0
		.amdhsa_kernarg_size 100
		.amdhsa_user_sgpr_count 6
		.amdhsa_user_sgpr_private_segment_buffer 1
		.amdhsa_user_sgpr_dispatch_ptr 0
		.amdhsa_user_sgpr_queue_ptr 0
		.amdhsa_user_sgpr_kernarg_segment_ptr 1
		.amdhsa_user_sgpr_dispatch_id 0
		.amdhsa_user_sgpr_flat_scratch_init 0
		.amdhsa_user_sgpr_private_segment_size 0
		.amdhsa_uses_dynamic_stack 0
		.amdhsa_system_sgpr_private_segment_wavefront_offset 0
		.amdhsa_system_sgpr_workgroup_id_x 1
		.amdhsa_system_sgpr_workgroup_id_y 1
		.amdhsa_system_sgpr_workgroup_id_z 1
		.amdhsa_system_sgpr_workgroup_info 0
		.amdhsa_system_vgpr_workitem_id 1
		.amdhsa_next_free_vgpr 52
		.amdhsa_next_free_sgpr 23
		.amdhsa_reserve_vcc 1
		.amdhsa_reserve_flat_scratch 0
		.amdhsa_float_round_mode_32 0
		.amdhsa_float_round_mode_16_64 0
		.amdhsa_float_denorm_mode_32 3
		.amdhsa_float_denorm_mode_16_64 3
		.amdhsa_dx10_clamp 1
		.amdhsa_ieee_mode 1
		.amdhsa_fp16_overflow 0
		.amdhsa_exception_fp_ieee_invalid_op 0
		.amdhsa_exception_fp_denorm_src 0
		.amdhsa_exception_fp_ieee_div_zero 0
		.amdhsa_exception_fp_ieee_overflow 0
		.amdhsa_exception_fp_ieee_underflow 0
		.amdhsa_exception_fp_ieee_inexact 0
		.amdhsa_exception_int_div_zero 0
	.end_amdhsa_kernel
	.section	.text._ZL32rocblas_syrkx_herkx_small_kernelIi19rocblas_complex_numIfELi16ELb0ELb0ELc84ELc85EKPKS1_KPS1_EviT_T0_PT6_S7_lSA_S7_lS8_PT7_S7_li,"axG",@progbits,_ZL32rocblas_syrkx_herkx_small_kernelIi19rocblas_complex_numIfELi16ELb0ELb0ELc84ELc85EKPKS1_KPS1_EviT_T0_PT6_S7_lSA_S7_lS8_PT7_S7_li,comdat
.Lfunc_end675:
	.size	_ZL32rocblas_syrkx_herkx_small_kernelIi19rocblas_complex_numIfELi16ELb0ELb0ELc84ELc85EKPKS1_KPS1_EviT_T0_PT6_S7_lSA_S7_lS8_PT7_S7_li, .Lfunc_end675-_ZL32rocblas_syrkx_herkx_small_kernelIi19rocblas_complex_numIfELi16ELb0ELb0ELc84ELc85EKPKS1_KPS1_EviT_T0_PT6_S7_lSA_S7_lS8_PT7_S7_li
                                        ; -- End function
	.set _ZL32rocblas_syrkx_herkx_small_kernelIi19rocblas_complex_numIfELi16ELb0ELb0ELc84ELc85EKPKS1_KPS1_EviT_T0_PT6_S7_lSA_S7_lS8_PT7_S7_li.num_vgpr, 52
	.set _ZL32rocblas_syrkx_herkx_small_kernelIi19rocblas_complex_numIfELi16ELb0ELb0ELc84ELc85EKPKS1_KPS1_EviT_T0_PT6_S7_lSA_S7_lS8_PT7_S7_li.num_agpr, 0
	.set _ZL32rocblas_syrkx_herkx_small_kernelIi19rocblas_complex_numIfELi16ELb0ELb0ELc84ELc85EKPKS1_KPS1_EviT_T0_PT6_S7_lSA_S7_lS8_PT7_S7_li.numbered_sgpr, 23
	.set _ZL32rocblas_syrkx_herkx_small_kernelIi19rocblas_complex_numIfELi16ELb0ELb0ELc84ELc85EKPKS1_KPS1_EviT_T0_PT6_S7_lSA_S7_lS8_PT7_S7_li.num_named_barrier, 0
	.set _ZL32rocblas_syrkx_herkx_small_kernelIi19rocblas_complex_numIfELi16ELb0ELb0ELc84ELc85EKPKS1_KPS1_EviT_T0_PT6_S7_lSA_S7_lS8_PT7_S7_li.private_seg_size, 0
	.set _ZL32rocblas_syrkx_herkx_small_kernelIi19rocblas_complex_numIfELi16ELb0ELb0ELc84ELc85EKPKS1_KPS1_EviT_T0_PT6_S7_lSA_S7_lS8_PT7_S7_li.uses_vcc, 1
	.set _ZL32rocblas_syrkx_herkx_small_kernelIi19rocblas_complex_numIfELi16ELb0ELb0ELc84ELc85EKPKS1_KPS1_EviT_T0_PT6_S7_lSA_S7_lS8_PT7_S7_li.uses_flat_scratch, 0
	.set _ZL32rocblas_syrkx_herkx_small_kernelIi19rocblas_complex_numIfELi16ELb0ELb0ELc84ELc85EKPKS1_KPS1_EviT_T0_PT6_S7_lSA_S7_lS8_PT7_S7_li.has_dyn_sized_stack, 0
	.set _ZL32rocblas_syrkx_herkx_small_kernelIi19rocblas_complex_numIfELi16ELb0ELb0ELc84ELc85EKPKS1_KPS1_EviT_T0_PT6_S7_lSA_S7_lS8_PT7_S7_li.has_recursion, 0
	.set _ZL32rocblas_syrkx_herkx_small_kernelIi19rocblas_complex_numIfELi16ELb0ELb0ELc84ELc85EKPKS1_KPS1_EviT_T0_PT6_S7_lSA_S7_lS8_PT7_S7_li.has_indirect_call, 0
	.section	.AMDGPU.csdata,"",@progbits
; Kernel info:
; codeLenInByte = 1260
; TotalNumSgprs: 27
; NumVgprs: 52
; ScratchSize: 0
; MemoryBound: 1
; FloatMode: 240
; IeeeMode: 1
; LDSByteSize: 4096 bytes/workgroup (compile time only)
; SGPRBlocks: 3
; VGPRBlocks: 12
; NumSGPRsForWavesPerEU: 27
; NumVGPRsForWavesPerEU: 52
; Occupancy: 4
; WaveLimiterHint : 1
; COMPUTE_PGM_RSRC2:SCRATCH_EN: 0
; COMPUTE_PGM_RSRC2:USER_SGPR: 6
; COMPUTE_PGM_RSRC2:TRAP_HANDLER: 0
; COMPUTE_PGM_RSRC2:TGID_X_EN: 1
; COMPUTE_PGM_RSRC2:TGID_Y_EN: 1
; COMPUTE_PGM_RSRC2:TGID_Z_EN: 1
; COMPUTE_PGM_RSRC2:TIDIG_COMP_CNT: 1
	.section	.text._ZL32rocblas_syrkx_herkx_small_kernelIi19rocblas_complex_numIfELi16ELb0ELb0ELc67ELc85EKPKS1_KPS1_EviT_T0_PT6_S7_lSA_S7_lS8_PT7_S7_li,"axG",@progbits,_ZL32rocblas_syrkx_herkx_small_kernelIi19rocblas_complex_numIfELi16ELb0ELb0ELc67ELc85EKPKS1_KPS1_EviT_T0_PT6_S7_lSA_S7_lS8_PT7_S7_li,comdat
	.globl	_ZL32rocblas_syrkx_herkx_small_kernelIi19rocblas_complex_numIfELi16ELb0ELb0ELc67ELc85EKPKS1_KPS1_EviT_T0_PT6_S7_lSA_S7_lS8_PT7_S7_li ; -- Begin function _ZL32rocblas_syrkx_herkx_small_kernelIi19rocblas_complex_numIfELi16ELb0ELb0ELc67ELc85EKPKS1_KPS1_EviT_T0_PT6_S7_lSA_S7_lS8_PT7_S7_li
	.p2align	8
	.type	_ZL32rocblas_syrkx_herkx_small_kernelIi19rocblas_complex_numIfELi16ELb0ELb0ELc67ELc85EKPKS1_KPS1_EviT_T0_PT6_S7_lSA_S7_lS8_PT7_S7_li,@function
_ZL32rocblas_syrkx_herkx_small_kernelIi19rocblas_complex_numIfELi16ELb0ELb0ELc67ELc85EKPKS1_KPS1_EviT_T0_PT6_S7_lSA_S7_lS8_PT7_S7_li: ; @_ZL32rocblas_syrkx_herkx_small_kernelIi19rocblas_complex_numIfELi16ELb0ELb0ELc67ELc85EKPKS1_KPS1_EviT_T0_PT6_S7_lSA_S7_lS8_PT7_S7_li
; %bb.0:
	s_load_dwordx4 s[12:15], s[4:5], 0x40
	s_load_dwordx2 s[20:21], s[4:5], 0x0
	s_load_dwordx4 s[16:19], s[4:5], 0x8
	s_mov_b32 s9, 0
	s_lshl_b64 s[2:3], s[8:9], 3
	s_waitcnt lgkmcnt(0)
	s_add_u32 s0, s14, s2
	s_addc_u32 s1, s15, s3
	s_load_dwordx2 s[10:11], s[0:1], 0x0
	v_lshl_add_u32 v11, s7, 4, v1
	v_lshl_add_u32 v2, s6, 4, v0
	s_cmp_lt_i32 s21, 1
	v_cmp_gt_i32_e32 vcc, s20, v11
	s_cbranch_scc1 .LBB676_9
; %bb.1:
	s_load_dwordx2 s[6:7], s[4:5], 0x28
	s_load_dword s8, s[4:5], 0x18
	s_load_dword s22, s[4:5], 0x30
	v_lshlrev_b32_e32 v5, 7, v1
	v_lshlrev_b32_e32 v12, 3, v0
	s_waitcnt lgkmcnt(0)
	s_add_u32 s6, s6, s2
	s_addc_u32 s7, s7, s3
	s_add_u32 s2, s18, s2
	s_addc_u32 s3, s19, s3
	s_load_dwordx2 s[14:15], s[2:3], 0x0
	v_mad_i64_i32 v[3:4], s[2:3], s22, v11, 0
	v_add_u32_e32 v13, v12, v5
	v_add_u32_e32 v14, 0x800, v5
	v_lshlrev_b64 v[4:5], 3, v[3:4]
	s_load_dwordx2 s[6:7], s[6:7], 0x0
	v_add_co_u32_e64 v4, s[2:3], v4, v12
	v_addc_co_u32_e64 v6, s[2:3], 0, v5, s[2:3]
	v_mad_i64_i32 v[7:8], s[2:3], s8, v2, 0
	s_waitcnt lgkmcnt(0)
	v_mov_b32_e32 v9, s7
	v_add_co_u32_e64 v5, s[2:3], s6, v4
	v_lshlrev_b64 v[7:8], 3, v[7:8]
	v_addc_co_u32_e64 v6, s[2:3], v9, v6, s[2:3]
	v_lshlrev_b32_e32 v4, 3, v1
	v_add_co_u32_e64 v4, s[2:3], v7, v4
	v_addc_co_u32_e64 v8, s[2:3], 0, v8, s[2:3]
	v_mov_b32_e32 v9, s15
	v_add_co_u32_e64 v7, s[2:3], s14, v4
	v_addc_co_u32_e64 v8, s[2:3], v9, v8, s[2:3]
	v_cmp_gt_i32_e64 s[0:1], s20, v2
	v_add_u32_e32 v15, v14, v12
	v_mov_b32_e32 v3, 0
	s_xor_b64 s[2:3], vcc, -1
	v_mov_b32_e32 v16, 0
	v_mov_b32_e32 v17, 0
	s_branch .LBB676_3
.LBB676_2:                              ;   in Loop: Header=BB676_3 Depth=1
	s_or_b64 exec, exec, s[6:7]
	s_waitcnt lgkmcnt(0)
	s_barrier
	ds_read2_b64 v[18:21], v12 offset1:16
	ds_read_b128 v[22:25], v14
	ds_read_b128 v[26:29], v14 offset:16
	ds_read2_b64 v[30:33], v12 offset0:32 offset1:48
	v_add_co_u32_e32 v5, vcc, 0x80, v5
	s_waitcnt lgkmcnt(2)
	v_mul_f32_e32 v4, v23, v19
	v_mul_f32_e32 v9, v22, v19
	v_fma_f32 v4, v22, v18, -v4
	v_fmac_f32_e32 v9, v23, v18
	v_mul_f32_e32 v10, v25, v21
	v_mul_f32_e32 v34, v24, v21
	s_waitcnt lgkmcnt(0)
	v_mul_f32_e32 v18, v27, v31
	v_fma_f32 v10, v24, v20, -v10
	v_fmac_f32_e32 v34, v25, v20
	v_fma_f32 v35, v26, v30, -v18
	ds_read2_b64 v[18:21], v12 offset0:64 offset1:80
	ds_read_b128 v[22:25], v14 offset:32
	v_mul_f32_e32 v36, v26, v31
	v_fmac_f32_e32 v36, v27, v30
	v_mul_f32_e32 v26, v29, v33
	v_mul_f32_e32 v38, v28, v33
	s_waitcnt lgkmcnt(0)
	v_mul_f32_e32 v30, v23, v19
	v_fma_f32 v37, v28, v32, -v26
	v_fmac_f32_e32 v38, v29, v32
	ds_read_b128 v[26:29], v14 offset:48
	v_fma_f32 v39, v22, v18, -v30
	ds_read2_b64 v[30:33], v12 offset0:96 offset1:112
	v_mul_f32_e32 v40, v22, v19
	v_fmac_f32_e32 v40, v23, v18
	v_mul_f32_e32 v18, v25, v21
	v_fma_f32 v41, v24, v20, -v18
	v_mul_f32_e32 v42, v24, v21
	s_waitcnt lgkmcnt(0)
	v_mul_f32_e32 v18, v27, v31
	v_fmac_f32_e32 v42, v25, v20
	v_fma_f32 v43, v26, v30, -v18
	ds_read2_b64 v[18:21], v12 offset0:128 offset1:144
	ds_read_b128 v[22:25], v14 offset:64
	v_mul_f32_e32 v44, v26, v31
	v_fmac_f32_e32 v44, v27, v30
	v_mul_f32_e32 v26, v29, v33
	v_mul_f32_e32 v46, v28, v33
	s_waitcnt lgkmcnt(0)
	v_mul_f32_e32 v30, v23, v19
	v_fma_f32 v45, v28, v32, -v26
	v_fmac_f32_e32 v46, v29, v32
	ds_read_b128 v[26:29], v14 offset:80
	v_fma_f32 v47, v22, v18, -v30
	ds_read2_b64 v[30:33], v12 offset0:160 offset1:176
	v_mul_f32_e32 v48, v22, v19
	v_fmac_f32_e32 v48, v23, v18
	v_mul_f32_e32 v18, v25, v21
	v_fma_f32 v49, v24, v20, -v18
	v_mul_f32_e32 v50, v24, v21
	s_waitcnt lgkmcnt(0)
	v_mul_f32_e32 v18, v27, v31
	v_fmac_f32_e32 v50, v25, v20
	v_fma_f32 v51, v26, v30, -v18
	ds_read2_b64 v[18:21], v12 offset0:192 offset1:208
	ds_read_b128 v[22:25], v14 offset:96
	v_add_f32_e32 v4, v17, v4
	v_add_f32_e32 v9, v16, v9
	;; [unrolled: 1-line block ×5, first 2 shown]
	v_mul_f32_e32 v31, v26, v31
	v_mul_f32_e32 v26, v29, v33
	;; [unrolled: 1-line block ×3, first 2 shown]
	v_add_f32_e32 v9, v9, v36
	v_add_f32_e32 v4, v4, v37
	v_fmac_f32_e32 v31, v27, v30
	v_fma_f32 v30, v28, v32, -v26
	v_fmac_f32_e32 v33, v29, v32
	s_waitcnt lgkmcnt(0)
	v_mul_f32_e32 v32, v23, v19
	v_add_f32_e32 v9, v9, v38
	v_add_f32_e32 v4, v4, v39
	v_fma_f32 v32, v22, v18, -v32
	v_mul_f32_e32 v22, v22, v19
	v_add_f32_e32 v9, v9, v40
	v_add_f32_e32 v4, v4, v41
	v_fmac_f32_e32 v22, v23, v18
	v_mul_f32_e32 v18, v25, v21
	v_add_f32_e32 v9, v9, v42
	v_add_f32_e32 v4, v4, v43
	ds_read_b128 v[26:29], v14 offset:112
	v_fma_f32 v23, v24, v20, -v18
	v_add_f32_e32 v9, v9, v44
	v_add_f32_e32 v4, v4, v45
	ds_read2_b64 v[16:19], v12 offset0:224 offset1:240
	v_add_f32_e32 v9, v9, v46
	v_add_f32_e32 v4, v4, v47
	;; [unrolled: 1-line block ×8, first 2 shown]
	v_mul_f32_e32 v21, v24, v21
	v_add_f32_e32 v9, v9, v33
	v_add_f32_e32 v4, v4, v32
	s_waitcnt lgkmcnt(0)
	v_mul_f32_e32 v10, v27, v17
	v_fmac_f32_e32 v21, v25, v20
	v_add_f32_e32 v9, v9, v22
	v_add_f32_e32 v4, v4, v23
	v_fma_f32 v10, v26, v16, -v10
	v_mul_f32_e32 v17, v26, v17
	v_add_f32_e32 v9, v9, v21
	v_fmac_f32_e32 v17, v27, v16
	v_add_f32_e32 v4, v4, v10
	v_mul_f32_e32 v10, v29, v19
	v_mul_f32_e32 v16, v28, v19
	v_addc_co_u32_e32 v6, vcc, 0, v6, vcc
	v_add_f32_e32 v9, v9, v17
	v_fma_f32 v10, v28, v18, -v10
	v_fmac_f32_e32 v16, v29, v18
	s_add_i32 s9, s9, 16
	v_add_co_u32_e32 v7, vcc, 0x80, v7
	v_add_f32_e32 v17, v4, v10
	v_add_f32_e32 v16, v9, v16
	s_cmp_ge_i32 s9, s21
	v_addc_co_u32_e32 v8, vcc, 0, v8, vcc
	s_barrier
	s_cbranch_scc1 .LBB676_10
.LBB676_3:                              ; =>This Inner Loop Header: Depth=1
	v_add_u32_e32 v4, s9, v1
	v_cmp_gt_i32_e32 vcc, s21, v4
	s_and_b64 s[14:15], s[0:1], vcc
	v_mov_b32_e32 v9, 0
	v_mov_b32_e32 v10, 0
	s_and_saveexec_b64 s[6:7], s[14:15]
	s_cbranch_execz .LBB676_5
; %bb.4:                                ;   in Loop: Header=BB676_3 Depth=1
	flat_load_dwordx2 v[9:10], v[7:8]
.LBB676_5:                              ;   in Loop: Header=BB676_3 Depth=1
	s_or_b64 exec, exec, s[6:7]
	v_add_u32_e32 v4, s9, v0
	v_cmp_le_i32_e32 vcc, s21, v4
	s_or_b64 s[6:7], s[2:3], vcc
	s_waitcnt vmcnt(0) lgkmcnt(0)
	ds_write_b64 v13, v[9:10]
	s_and_saveexec_b64 s[14:15], s[6:7]
	s_xor_b64 s[6:7], exec, s[14:15]
; %bb.6:                                ;   in Loop: Header=BB676_3 Depth=1
	v_mov_b32_e32 v4, v3
	ds_write_b64 v15, v[3:4]
; %bb.7:                                ;   in Loop: Header=BB676_3 Depth=1
	s_andn2_saveexec_b64 s[6:7], s[6:7]
	s_cbranch_execz .LBB676_2
; %bb.8:                                ;   in Loop: Header=BB676_3 Depth=1
	flat_load_dwordx2 v[9:10], v[5:6]
	s_waitcnt vmcnt(0) lgkmcnt(0)
	ds_write_b64 v15, v[9:10]
	s_branch .LBB676_2
.LBB676_9:
	v_mov_b32_e32 v16, 0
	v_mov_b32_e32 v17, 0
.LBB676_10:
	v_cmp_le_i32_e32 vcc, v2, v11
	v_cmp_gt_i32_e64 s[0:1], s20, v11
	s_and_b64 s[0:1], vcc, s[0:1]
	s_and_saveexec_b64 s[2:3], s[0:1]
	s_cbranch_execz .LBB676_12
; %bb.11:
	s_load_dword s0, s[4:5], 0x50
	v_ashrrev_i32_e32 v3, 31, v2
	s_waitcnt lgkmcnt(0)
	v_mov_b32_e32 v4, s11
	v_lshlrev_b64 v[2:3], 3, v[2:3]
	v_mul_f32_e32 v5, s16, v16
	v_mad_i64_i32 v[0:1], s[0:1], s0, v11, 0
	v_fmac_f32_e32 v5, s17, v17
	v_lshlrev_b64 v[0:1], 3, v[0:1]
	v_add_co_u32_e32 v0, vcc, s10, v0
	v_addc_co_u32_e32 v1, vcc, v4, v1, vcc
	v_add_co_u32_e32 v0, vcc, v0, v2
	v_addc_co_u32_e32 v1, vcc, v1, v3, vcc
	flat_load_dwordx2 v[2:3], v[0:1]
	v_mul_f32_e32 v4, s17, v16
	v_fma_f32 v4, v17, s16, -v4
	s_waitcnt vmcnt(0) lgkmcnt(0)
	v_mul_f32_e32 v6, s13, v3
	v_mul_f32_e32 v3, s12, v3
	v_fma_f32 v6, v2, s12, -v6
	v_fmac_f32_e32 v3, s13, v2
	v_add_f32_e32 v2, v4, v6
	v_add_f32_e32 v3, v5, v3
	flat_store_dwordx2 v[0:1], v[2:3]
.LBB676_12:
	s_endpgm
	.section	.rodata,"a",@progbits
	.p2align	6, 0x0
	.amdhsa_kernel _ZL32rocblas_syrkx_herkx_small_kernelIi19rocblas_complex_numIfELi16ELb0ELb0ELc67ELc85EKPKS1_KPS1_EviT_T0_PT6_S7_lSA_S7_lS8_PT7_S7_li
		.amdhsa_group_segment_fixed_size 4096
		.amdhsa_private_segment_fixed_size 0
		.amdhsa_kernarg_size 100
		.amdhsa_user_sgpr_count 6
		.amdhsa_user_sgpr_private_segment_buffer 1
		.amdhsa_user_sgpr_dispatch_ptr 0
		.amdhsa_user_sgpr_queue_ptr 0
		.amdhsa_user_sgpr_kernarg_segment_ptr 1
		.amdhsa_user_sgpr_dispatch_id 0
		.amdhsa_user_sgpr_flat_scratch_init 0
		.amdhsa_user_sgpr_private_segment_size 0
		.amdhsa_uses_dynamic_stack 0
		.amdhsa_system_sgpr_private_segment_wavefront_offset 0
		.amdhsa_system_sgpr_workgroup_id_x 1
		.amdhsa_system_sgpr_workgroup_id_y 1
		.amdhsa_system_sgpr_workgroup_id_z 1
		.amdhsa_system_sgpr_workgroup_info 0
		.amdhsa_system_vgpr_workitem_id 1
		.amdhsa_next_free_vgpr 52
		.amdhsa_next_free_sgpr 23
		.amdhsa_reserve_vcc 1
		.amdhsa_reserve_flat_scratch 0
		.amdhsa_float_round_mode_32 0
		.amdhsa_float_round_mode_16_64 0
		.amdhsa_float_denorm_mode_32 3
		.amdhsa_float_denorm_mode_16_64 3
		.amdhsa_dx10_clamp 1
		.amdhsa_ieee_mode 1
		.amdhsa_fp16_overflow 0
		.amdhsa_exception_fp_ieee_invalid_op 0
		.amdhsa_exception_fp_denorm_src 0
		.amdhsa_exception_fp_ieee_div_zero 0
		.amdhsa_exception_fp_ieee_overflow 0
		.amdhsa_exception_fp_ieee_underflow 0
		.amdhsa_exception_fp_ieee_inexact 0
		.amdhsa_exception_int_div_zero 0
	.end_amdhsa_kernel
	.section	.text._ZL32rocblas_syrkx_herkx_small_kernelIi19rocblas_complex_numIfELi16ELb0ELb0ELc67ELc85EKPKS1_KPS1_EviT_T0_PT6_S7_lSA_S7_lS8_PT7_S7_li,"axG",@progbits,_ZL32rocblas_syrkx_herkx_small_kernelIi19rocblas_complex_numIfELi16ELb0ELb0ELc67ELc85EKPKS1_KPS1_EviT_T0_PT6_S7_lSA_S7_lS8_PT7_S7_li,comdat
.Lfunc_end676:
	.size	_ZL32rocblas_syrkx_herkx_small_kernelIi19rocblas_complex_numIfELi16ELb0ELb0ELc67ELc85EKPKS1_KPS1_EviT_T0_PT6_S7_lSA_S7_lS8_PT7_S7_li, .Lfunc_end676-_ZL32rocblas_syrkx_herkx_small_kernelIi19rocblas_complex_numIfELi16ELb0ELb0ELc67ELc85EKPKS1_KPS1_EviT_T0_PT6_S7_lSA_S7_lS8_PT7_S7_li
                                        ; -- End function
	.set _ZL32rocblas_syrkx_herkx_small_kernelIi19rocblas_complex_numIfELi16ELb0ELb0ELc67ELc85EKPKS1_KPS1_EviT_T0_PT6_S7_lSA_S7_lS8_PT7_S7_li.num_vgpr, 52
	.set _ZL32rocblas_syrkx_herkx_small_kernelIi19rocblas_complex_numIfELi16ELb0ELb0ELc67ELc85EKPKS1_KPS1_EviT_T0_PT6_S7_lSA_S7_lS8_PT7_S7_li.num_agpr, 0
	.set _ZL32rocblas_syrkx_herkx_small_kernelIi19rocblas_complex_numIfELi16ELb0ELb0ELc67ELc85EKPKS1_KPS1_EviT_T0_PT6_S7_lSA_S7_lS8_PT7_S7_li.numbered_sgpr, 23
	.set _ZL32rocblas_syrkx_herkx_small_kernelIi19rocblas_complex_numIfELi16ELb0ELb0ELc67ELc85EKPKS1_KPS1_EviT_T0_PT6_S7_lSA_S7_lS8_PT7_S7_li.num_named_barrier, 0
	.set _ZL32rocblas_syrkx_herkx_small_kernelIi19rocblas_complex_numIfELi16ELb0ELb0ELc67ELc85EKPKS1_KPS1_EviT_T0_PT6_S7_lSA_S7_lS8_PT7_S7_li.private_seg_size, 0
	.set _ZL32rocblas_syrkx_herkx_small_kernelIi19rocblas_complex_numIfELi16ELb0ELb0ELc67ELc85EKPKS1_KPS1_EviT_T0_PT6_S7_lSA_S7_lS8_PT7_S7_li.uses_vcc, 1
	.set _ZL32rocblas_syrkx_herkx_small_kernelIi19rocblas_complex_numIfELi16ELb0ELb0ELc67ELc85EKPKS1_KPS1_EviT_T0_PT6_S7_lSA_S7_lS8_PT7_S7_li.uses_flat_scratch, 0
	.set _ZL32rocblas_syrkx_herkx_small_kernelIi19rocblas_complex_numIfELi16ELb0ELb0ELc67ELc85EKPKS1_KPS1_EviT_T0_PT6_S7_lSA_S7_lS8_PT7_S7_li.has_dyn_sized_stack, 0
	.set _ZL32rocblas_syrkx_herkx_small_kernelIi19rocblas_complex_numIfELi16ELb0ELb0ELc67ELc85EKPKS1_KPS1_EviT_T0_PT6_S7_lSA_S7_lS8_PT7_S7_li.has_recursion, 0
	.set _ZL32rocblas_syrkx_herkx_small_kernelIi19rocblas_complex_numIfELi16ELb0ELb0ELc67ELc85EKPKS1_KPS1_EviT_T0_PT6_S7_lSA_S7_lS8_PT7_S7_li.has_indirect_call, 0
	.section	.AMDGPU.csdata,"",@progbits
; Kernel info:
; codeLenInByte = 1244
; TotalNumSgprs: 27
; NumVgprs: 52
; ScratchSize: 0
; MemoryBound: 1
; FloatMode: 240
; IeeeMode: 1
; LDSByteSize: 4096 bytes/workgroup (compile time only)
; SGPRBlocks: 3
; VGPRBlocks: 12
; NumSGPRsForWavesPerEU: 27
; NumVGPRsForWavesPerEU: 52
; Occupancy: 4
; WaveLimiterHint : 1
; COMPUTE_PGM_RSRC2:SCRATCH_EN: 0
; COMPUTE_PGM_RSRC2:USER_SGPR: 6
; COMPUTE_PGM_RSRC2:TRAP_HANDLER: 0
; COMPUTE_PGM_RSRC2:TGID_X_EN: 1
; COMPUTE_PGM_RSRC2:TGID_Y_EN: 1
; COMPUTE_PGM_RSRC2:TGID_Z_EN: 1
; COMPUTE_PGM_RSRC2:TIDIG_COMP_CNT: 1
	.section	.text._ZL32rocblas_syrkx_herkx_small_kernelIi19rocblas_complex_numIfELi16ELb0ELb0ELc78ELc85EKPKS1_KPS1_EviT_T0_PT6_S7_lSA_S7_lS8_PT7_S7_li,"axG",@progbits,_ZL32rocblas_syrkx_herkx_small_kernelIi19rocblas_complex_numIfELi16ELb0ELb0ELc78ELc85EKPKS1_KPS1_EviT_T0_PT6_S7_lSA_S7_lS8_PT7_S7_li,comdat
	.globl	_ZL32rocblas_syrkx_herkx_small_kernelIi19rocblas_complex_numIfELi16ELb0ELb0ELc78ELc85EKPKS1_KPS1_EviT_T0_PT6_S7_lSA_S7_lS8_PT7_S7_li ; -- Begin function _ZL32rocblas_syrkx_herkx_small_kernelIi19rocblas_complex_numIfELi16ELb0ELb0ELc78ELc85EKPKS1_KPS1_EviT_T0_PT6_S7_lSA_S7_lS8_PT7_S7_li
	.p2align	8
	.type	_ZL32rocblas_syrkx_herkx_small_kernelIi19rocblas_complex_numIfELi16ELb0ELb0ELc78ELc85EKPKS1_KPS1_EviT_T0_PT6_S7_lSA_S7_lS8_PT7_S7_li,@function
_ZL32rocblas_syrkx_herkx_small_kernelIi19rocblas_complex_numIfELi16ELb0ELb0ELc78ELc85EKPKS1_KPS1_EviT_T0_PT6_S7_lSA_S7_lS8_PT7_S7_li: ; @_ZL32rocblas_syrkx_herkx_small_kernelIi19rocblas_complex_numIfELi16ELb0ELb0ELc78ELc85EKPKS1_KPS1_EviT_T0_PT6_S7_lSA_S7_lS8_PT7_S7_li
; %bb.0:
	s_load_dwordx4 s[12:15], s[4:5], 0x40
	s_load_dwordx2 s[20:21], s[4:5], 0x0
	s_load_dwordx4 s[16:19], s[4:5], 0x8
	s_mov_b32 s9, 0
	s_lshl_b64 s[0:1], s[8:9], 3
	s_waitcnt lgkmcnt(0)
	s_add_u32 s2, s14, s0
	s_addc_u32 s3, s15, s1
	s_load_dwordx2 s[10:11], s[2:3], 0x0
	v_lshl_add_u32 v2, s6, 4, v0
	v_lshl_add_u32 v4, s7, 4, v1
	s_cmp_lt_i32 s21, 1
	v_ashrrev_i32_e32 v3, 31, v2
	v_cmp_gt_i32_e32 vcc, s20, v4
	s_cbranch_scc1 .LBB677_9
; %bb.1:
	s_load_dword s14, s[4:5], 0x18
	s_load_dword s6, s[4:5], 0x30
	s_load_dwordx2 s[2:3], s[4:5], 0x28
	v_lshlrev_b32_e32 v5, 7, v1
	v_lshlrev_b32_e32 v12, 3, v0
	s_waitcnt lgkmcnt(0)
	s_ashr_i32 s15, s14, 31
	s_ashr_i32 s7, s6, 31
	s_add_u32 s2, s2, s0
	s_addc_u32 s3, s3, s1
	s_load_dwordx2 s[22:23], s[2:3], 0x0
	v_mad_i64_i32 v[6:7], s[2:3], s6, v0, 0
	v_add_u32_e32 v13, v12, v5
	v_add_u32_e32 v14, 0x800, v5
	v_ashrrev_i32_e32 v5, 31, v4
	v_lshlrev_b64 v[6:7], 3, v[6:7]
	v_lshlrev_b64 v[8:9], 3, v[4:5]
	s_add_u32 s0, s18, s0
	v_add_co_u32_e64 v5, s[2:3], v6, v8
	v_addc_co_u32_e64 v6, s[2:3], v7, v9, s[2:3]
	v_mad_i64_i32 v[7:8], s[2:3], s14, v1, 0
	s_addc_u32 s1, s19, s1
	s_load_dwordx2 s[18:19], s[0:1], 0x0
	s_waitcnt lgkmcnt(0)
	v_mov_b32_e32 v9, s23
	v_add_co_u32_e64 v5, s[2:3], s22, v5
	v_addc_co_u32_e64 v6, s[2:3], v9, v6, s[2:3]
	v_lshlrev_b64 v[7:8], 3, v[7:8]
	v_lshlrev_b64 v[9:10], 3, v[2:3]
	v_cmp_gt_i32_e64 s[0:1], s20, v2
	v_add_co_u32_e64 v7, s[2:3], v7, v9
	v_addc_co_u32_e64 v8, s[2:3], v8, v10, s[2:3]
	v_mov_b32_e32 v9, s19
	v_add_co_u32_e64 v7, s[2:3], s18, v7
	v_addc_co_u32_e64 v8, s[2:3], v9, v8, s[2:3]
	s_lshl_b64 s[6:7], s[6:7], 7
	s_lshl_b64 s[2:3], s[14:15], 7
	v_add_u32_e32 v15, v14, v12
	v_mov_b32_e32 v9, 0
	s_xor_b64 s[14:15], s[0:1], -1
	v_mov_b32_e32 v18, s7
	v_mov_b32_e32 v19, s3
	;; [unrolled: 1-line block ×4, first 2 shown]
	s_branch .LBB677_3
.LBB677_2:                              ;   in Loop: Header=BB677_3 Depth=1
	s_or_b64 exec, exec, s[0:1]
	s_waitcnt vmcnt(0) lgkmcnt(0)
	ds_write_b64 v15, v[10:11]
	s_waitcnt lgkmcnt(0)
	s_barrier
	ds_read2_b64 v[20:23], v12 offset1:16
	ds_read_b128 v[24:27], v14
	ds_read_b128 v[28:31], v14 offset:16
	ds_read2_b64 v[32:35], v12 offset0:32 offset1:48
	v_add_co_u32_e64 v5, s[0:1], s6, v5
	s_waitcnt lgkmcnt(2)
	v_mul_f32_e32 v10, v25, v21
	v_mul_f32_e32 v11, v24, v21
	v_fma_f32 v10, v24, v20, -v10
	v_fmac_f32_e32 v11, v25, v20
	v_mul_f32_e32 v20, v27, v23
	v_fma_f32 v36, v26, v22, -v20
	v_mul_f32_e32 v37, v26, v23
	s_waitcnt lgkmcnt(0)
	v_mul_f32_e32 v20, v29, v33
	v_fmac_f32_e32 v37, v27, v22
	v_fma_f32 v38, v28, v32, -v20
	ds_read2_b64 v[20:23], v12 offset0:64 offset1:80
	ds_read_b128 v[24:27], v14 offset:32
	v_mul_f32_e32 v39, v28, v33
	v_fmac_f32_e32 v39, v29, v32
	v_mul_f32_e32 v28, v31, v35
	v_mul_f32_e32 v41, v30, v35
	s_waitcnt lgkmcnt(0)
	v_mul_f32_e32 v32, v25, v21
	v_fma_f32 v40, v30, v34, -v28
	v_fmac_f32_e32 v41, v31, v34
	ds_read_b128 v[28:31], v14 offset:48
	v_fma_f32 v42, v24, v20, -v32
	ds_read2_b64 v[32:35], v12 offset0:96 offset1:112
	v_mul_f32_e32 v43, v24, v21
	v_fmac_f32_e32 v43, v25, v20
	v_mul_f32_e32 v20, v27, v23
	v_fma_f32 v44, v26, v22, -v20
	v_mul_f32_e32 v45, v26, v23
	s_waitcnt lgkmcnt(0)
	v_mul_f32_e32 v20, v29, v33
	v_fmac_f32_e32 v45, v27, v22
	v_fma_f32 v46, v28, v32, -v20
	ds_read2_b64 v[20:23], v12 offset0:128 offset1:144
	ds_read_b128 v[24:27], v14 offset:64
	v_mul_f32_e32 v47, v28, v33
	v_fmac_f32_e32 v47, v29, v32
	v_mul_f32_e32 v28, v31, v35
	v_mul_f32_e32 v49, v30, v35
	s_waitcnt lgkmcnt(0)
	v_mul_f32_e32 v32, v25, v21
	v_fma_f32 v48, v30, v34, -v28
	v_fmac_f32_e32 v49, v31, v34
	ds_read_b128 v[28:31], v14 offset:80
	v_fma_f32 v50, v24, v20, -v32
	ds_read2_b64 v[32:35], v12 offset0:160 offset1:176
	v_mul_f32_e32 v51, v24, v21
	v_fmac_f32_e32 v51, v25, v20
	v_mul_f32_e32 v20, v27, v23
	v_fma_f32 v52, v26, v22, -v20
	v_mul_f32_e32 v53, v26, v23
	s_waitcnt lgkmcnt(0)
	v_mul_f32_e32 v20, v29, v33
	v_add_f32_e32 v10, v17, v10
	v_add_f32_e32 v11, v16, v11
	v_fmac_f32_e32 v53, v27, v22
	v_fma_f32 v54, v28, v32, -v20
	ds_read2_b64 v[20:23], v12 offset0:192 offset1:208
	ds_read_b128 v[24:27], v14 offset:96
	v_add_f32_e32 v10, v10, v36
	v_add_f32_e32 v11, v11, v37
	;; [unrolled: 1-line block ×8, first 2 shown]
	v_mul_f32_e32 v55, v28, v33
	v_add_f32_e32 v10, v10, v44
	v_add_f32_e32 v11, v11, v45
	v_fmac_f32_e32 v55, v29, v32
	v_mul_f32_e32 v28, v31, v35
	v_mul_f32_e32 v57, v30, v35
	s_waitcnt lgkmcnt(0)
	v_mul_f32_e32 v32, v25, v21
	v_add_f32_e32 v10, v10, v46
	v_add_f32_e32 v11, v11, v47
	v_fma_f32 v56, v30, v34, -v28
	v_fmac_f32_e32 v57, v31, v34
	ds_read_b128 v[28:31], v14 offset:112
	v_fma_f32 v58, v24, v20, -v32
	ds_read2_b64 v[32:35], v12 offset0:224 offset1:240
	v_add_f32_e32 v10, v10, v48
	v_add_f32_e32 v11, v11, v49
	;; [unrolled: 1-line block ×6, first 2 shown]
	v_mul_f32_e32 v21, v24, v21
	v_add_f32_e32 v10, v10, v54
	v_add_f32_e32 v11, v11, v55
	v_fmac_f32_e32 v21, v25, v20
	v_mul_f32_e32 v20, v27, v23
	v_mul_f32_e32 v23, v26, v23
	v_add_f32_e32 v10, v10, v56
	v_add_f32_e32 v11, v11, v57
	v_fma_f32 v20, v26, v22, -v20
	v_fmac_f32_e32 v23, v27, v22
	s_waitcnt lgkmcnt(0)
	v_mul_f32_e32 v22, v29, v33
	v_mul_f32_e32 v24, v28, v33
	v_add_f32_e32 v10, v10, v58
	v_add_f32_e32 v11, v11, v21
	v_fma_f32 v22, v28, v32, -v22
	v_fmac_f32_e32 v24, v29, v32
	v_mul_f32_e32 v25, v31, v35
	v_mul_f32_e32 v26, v30, v35
	v_add_f32_e32 v10, v10, v20
	v_add_f32_e32 v11, v11, v23
	v_addc_co_u32_e64 v6, s[0:1], v6, v18, s[0:1]
	v_fma_f32 v25, v30, v34, -v25
	v_fmac_f32_e32 v26, v31, v34
	v_add_f32_e32 v10, v10, v22
	v_add_f32_e32 v11, v11, v24
	s_add_i32 s9, s9, 16
	v_add_co_u32_e64 v7, s[0:1], s2, v7
	v_add_f32_e32 v17, v10, v25
	v_add_f32_e32 v16, v11, v26
	s_cmp_ge_i32 s9, s21
	v_addc_co_u32_e64 v8, s[0:1], v8, v19, s[0:1]
	s_barrier
	s_cbranch_scc1 .LBB677_10
.LBB677_3:                              ; =>This Inner Loop Header: Depth=1
	v_add_u32_e32 v10, s9, v1
	v_cmp_le_i32_e64 s[0:1], s21, v10
	s_or_b64 s[0:1], s[14:15], s[0:1]
	s_and_saveexec_b64 s[18:19], s[0:1]
	s_xor_b64 s[0:1], exec, s[18:19]
; %bb.4:                                ;   in Loop: Header=BB677_3 Depth=1
	v_mov_b32_e32 v10, v9
	ds_write_b64 v13, v[9:10]
; %bb.5:                                ;   in Loop: Header=BB677_3 Depth=1
	s_andn2_saveexec_b64 s[0:1], s[0:1]
	s_cbranch_execz .LBB677_7
; %bb.6:                                ;   in Loop: Header=BB677_3 Depth=1
	flat_load_dwordx2 v[10:11], v[7:8]
	s_waitcnt vmcnt(0) lgkmcnt(0)
	ds_write_b64 v13, v[10:11]
.LBB677_7:                              ;   in Loop: Header=BB677_3 Depth=1
	s_or_b64 exec, exec, s[0:1]
	v_add_u32_e32 v10, s9, v0
	v_cmp_gt_i32_e64 s[0:1], s21, v10
	s_and_b64 s[18:19], vcc, s[0:1]
	v_mov_b32_e32 v10, 0
	v_mov_b32_e32 v11, 0
	s_and_saveexec_b64 s[0:1], s[18:19]
	s_cbranch_execz .LBB677_2
; %bb.8:                                ;   in Loop: Header=BB677_3 Depth=1
	flat_load_dwordx2 v[10:11], v[5:6]
	s_branch .LBB677_2
.LBB677_9:
	v_mov_b32_e32 v16, 0
	v_mov_b32_e32 v17, 0
.LBB677_10:
	v_cmp_le_i32_e32 vcc, v2, v4
	v_cmp_gt_i32_e64 s[0:1], s20, v4
	s_and_b64 s[0:1], vcc, s[0:1]
	s_and_saveexec_b64 s[2:3], s[0:1]
	s_cbranch_execz .LBB677_12
; %bb.11:
	s_load_dword s0, s[4:5], 0x50
	v_lshlrev_b64 v[2:3], 3, v[2:3]
	v_mul_f32_e32 v5, s16, v16
	v_fmac_f32_e32 v5, s17, v17
	s_waitcnt lgkmcnt(0)
	v_mad_i64_i32 v[0:1], s[0:1], s0, v4, 0
	v_mov_b32_e32 v4, s11
	v_lshlrev_b64 v[0:1], 3, v[0:1]
	v_add_co_u32_e32 v0, vcc, s10, v0
	v_addc_co_u32_e32 v1, vcc, v4, v1, vcc
	v_add_co_u32_e32 v0, vcc, v0, v2
	v_addc_co_u32_e32 v1, vcc, v1, v3, vcc
	flat_load_dwordx2 v[2:3], v[0:1]
	v_mul_f32_e32 v4, s17, v16
	v_fma_f32 v4, v17, s16, -v4
	s_waitcnt vmcnt(0) lgkmcnt(0)
	v_mul_f32_e32 v6, s13, v3
	v_mul_f32_e32 v3, s12, v3
	v_fma_f32 v6, v2, s12, -v6
	v_fmac_f32_e32 v3, s13, v2
	v_add_f32_e32 v2, v4, v6
	v_add_f32_e32 v3, v5, v3
	flat_store_dwordx2 v[0:1], v[2:3]
.LBB677_12:
	s_endpgm
	.section	.rodata,"a",@progbits
	.p2align	6, 0x0
	.amdhsa_kernel _ZL32rocblas_syrkx_herkx_small_kernelIi19rocblas_complex_numIfELi16ELb0ELb0ELc78ELc85EKPKS1_KPS1_EviT_T0_PT6_S7_lSA_S7_lS8_PT7_S7_li
		.amdhsa_group_segment_fixed_size 4096
		.amdhsa_private_segment_fixed_size 0
		.amdhsa_kernarg_size 100
		.amdhsa_user_sgpr_count 6
		.amdhsa_user_sgpr_private_segment_buffer 1
		.amdhsa_user_sgpr_dispatch_ptr 0
		.amdhsa_user_sgpr_queue_ptr 0
		.amdhsa_user_sgpr_kernarg_segment_ptr 1
		.amdhsa_user_sgpr_dispatch_id 0
		.amdhsa_user_sgpr_flat_scratch_init 0
		.amdhsa_user_sgpr_private_segment_size 0
		.amdhsa_uses_dynamic_stack 0
		.amdhsa_system_sgpr_private_segment_wavefront_offset 0
		.amdhsa_system_sgpr_workgroup_id_x 1
		.amdhsa_system_sgpr_workgroup_id_y 1
		.amdhsa_system_sgpr_workgroup_id_z 1
		.amdhsa_system_sgpr_workgroup_info 0
		.amdhsa_system_vgpr_workitem_id 1
		.amdhsa_next_free_vgpr 59
		.amdhsa_next_free_sgpr 24
		.amdhsa_reserve_vcc 1
		.amdhsa_reserve_flat_scratch 0
		.amdhsa_float_round_mode_32 0
		.amdhsa_float_round_mode_16_64 0
		.amdhsa_float_denorm_mode_32 3
		.amdhsa_float_denorm_mode_16_64 3
		.amdhsa_dx10_clamp 1
		.amdhsa_ieee_mode 1
		.amdhsa_fp16_overflow 0
		.amdhsa_exception_fp_ieee_invalid_op 0
		.amdhsa_exception_fp_denorm_src 0
		.amdhsa_exception_fp_ieee_div_zero 0
		.amdhsa_exception_fp_ieee_overflow 0
		.amdhsa_exception_fp_ieee_underflow 0
		.amdhsa_exception_fp_ieee_inexact 0
		.amdhsa_exception_int_div_zero 0
	.end_amdhsa_kernel
	.section	.text._ZL32rocblas_syrkx_herkx_small_kernelIi19rocblas_complex_numIfELi16ELb0ELb0ELc78ELc85EKPKS1_KPS1_EviT_T0_PT6_S7_lSA_S7_lS8_PT7_S7_li,"axG",@progbits,_ZL32rocblas_syrkx_herkx_small_kernelIi19rocblas_complex_numIfELi16ELb0ELb0ELc78ELc85EKPKS1_KPS1_EviT_T0_PT6_S7_lSA_S7_lS8_PT7_S7_li,comdat
.Lfunc_end677:
	.size	_ZL32rocblas_syrkx_herkx_small_kernelIi19rocblas_complex_numIfELi16ELb0ELb0ELc78ELc85EKPKS1_KPS1_EviT_T0_PT6_S7_lSA_S7_lS8_PT7_S7_li, .Lfunc_end677-_ZL32rocblas_syrkx_herkx_small_kernelIi19rocblas_complex_numIfELi16ELb0ELb0ELc78ELc85EKPKS1_KPS1_EviT_T0_PT6_S7_lSA_S7_lS8_PT7_S7_li
                                        ; -- End function
	.set _ZL32rocblas_syrkx_herkx_small_kernelIi19rocblas_complex_numIfELi16ELb0ELb0ELc78ELc85EKPKS1_KPS1_EviT_T0_PT6_S7_lSA_S7_lS8_PT7_S7_li.num_vgpr, 59
	.set _ZL32rocblas_syrkx_herkx_small_kernelIi19rocblas_complex_numIfELi16ELb0ELb0ELc78ELc85EKPKS1_KPS1_EviT_T0_PT6_S7_lSA_S7_lS8_PT7_S7_li.num_agpr, 0
	.set _ZL32rocblas_syrkx_herkx_small_kernelIi19rocblas_complex_numIfELi16ELb0ELb0ELc78ELc85EKPKS1_KPS1_EviT_T0_PT6_S7_lSA_S7_lS8_PT7_S7_li.numbered_sgpr, 24
	.set _ZL32rocblas_syrkx_herkx_small_kernelIi19rocblas_complex_numIfELi16ELb0ELb0ELc78ELc85EKPKS1_KPS1_EviT_T0_PT6_S7_lSA_S7_lS8_PT7_S7_li.num_named_barrier, 0
	.set _ZL32rocblas_syrkx_herkx_small_kernelIi19rocblas_complex_numIfELi16ELb0ELb0ELc78ELc85EKPKS1_KPS1_EviT_T0_PT6_S7_lSA_S7_lS8_PT7_S7_li.private_seg_size, 0
	.set _ZL32rocblas_syrkx_herkx_small_kernelIi19rocblas_complex_numIfELi16ELb0ELb0ELc78ELc85EKPKS1_KPS1_EviT_T0_PT6_S7_lSA_S7_lS8_PT7_S7_li.uses_vcc, 1
	.set _ZL32rocblas_syrkx_herkx_small_kernelIi19rocblas_complex_numIfELi16ELb0ELb0ELc78ELc85EKPKS1_KPS1_EviT_T0_PT6_S7_lSA_S7_lS8_PT7_S7_li.uses_flat_scratch, 0
	.set _ZL32rocblas_syrkx_herkx_small_kernelIi19rocblas_complex_numIfELi16ELb0ELb0ELc78ELc85EKPKS1_KPS1_EviT_T0_PT6_S7_lSA_S7_lS8_PT7_S7_li.has_dyn_sized_stack, 0
	.set _ZL32rocblas_syrkx_herkx_small_kernelIi19rocblas_complex_numIfELi16ELb0ELb0ELc78ELc85EKPKS1_KPS1_EviT_T0_PT6_S7_lSA_S7_lS8_PT7_S7_li.has_recursion, 0
	.set _ZL32rocblas_syrkx_herkx_small_kernelIi19rocblas_complex_numIfELi16ELb0ELb0ELc78ELc85EKPKS1_KPS1_EviT_T0_PT6_S7_lSA_S7_lS8_PT7_S7_li.has_indirect_call, 0
	.section	.AMDGPU.csdata,"",@progbits
; Kernel info:
; codeLenInByte = 1300
; TotalNumSgprs: 28
; NumVgprs: 59
; ScratchSize: 0
; MemoryBound: 1
; FloatMode: 240
; IeeeMode: 1
; LDSByteSize: 4096 bytes/workgroup (compile time only)
; SGPRBlocks: 3
; VGPRBlocks: 14
; NumSGPRsForWavesPerEU: 28
; NumVGPRsForWavesPerEU: 59
; Occupancy: 4
; WaveLimiterHint : 1
; COMPUTE_PGM_RSRC2:SCRATCH_EN: 0
; COMPUTE_PGM_RSRC2:USER_SGPR: 6
; COMPUTE_PGM_RSRC2:TRAP_HANDLER: 0
; COMPUTE_PGM_RSRC2:TGID_X_EN: 1
; COMPUTE_PGM_RSRC2:TGID_Y_EN: 1
; COMPUTE_PGM_RSRC2:TGID_Z_EN: 1
; COMPUTE_PGM_RSRC2:TIDIG_COMP_CNT: 1
	.section	.text._ZL34rocblas_syrkx_herkx_general_kernelIi19rocblas_complex_numIfELi16ELi32ELi8ELb1ELb0ELc84ELc76EKPKS1_KPS1_EviT_T0_PT8_S7_lSA_S7_lS8_PT9_S7_li,"axG",@progbits,_ZL34rocblas_syrkx_herkx_general_kernelIi19rocblas_complex_numIfELi16ELi32ELi8ELb1ELb0ELc84ELc76EKPKS1_KPS1_EviT_T0_PT8_S7_lSA_S7_lS8_PT9_S7_li,comdat
	.globl	_ZL34rocblas_syrkx_herkx_general_kernelIi19rocblas_complex_numIfELi16ELi32ELi8ELb1ELb0ELc84ELc76EKPKS1_KPS1_EviT_T0_PT8_S7_lSA_S7_lS8_PT9_S7_li ; -- Begin function _ZL34rocblas_syrkx_herkx_general_kernelIi19rocblas_complex_numIfELi16ELi32ELi8ELb1ELb0ELc84ELc76EKPKS1_KPS1_EviT_T0_PT8_S7_lSA_S7_lS8_PT9_S7_li
	.p2align	8
	.type	_ZL34rocblas_syrkx_herkx_general_kernelIi19rocblas_complex_numIfELi16ELi32ELi8ELb1ELb0ELc84ELc76EKPKS1_KPS1_EviT_T0_PT8_S7_lSA_S7_lS8_PT9_S7_li,@function
_ZL34rocblas_syrkx_herkx_general_kernelIi19rocblas_complex_numIfELi16ELi32ELi8ELb1ELb0ELc84ELc76EKPKS1_KPS1_EviT_T0_PT8_S7_lSA_S7_lS8_PT9_S7_li: ; @_ZL34rocblas_syrkx_herkx_general_kernelIi19rocblas_complex_numIfELi16ELi32ELi8ELb1ELb0ELc84ELc76EKPKS1_KPS1_EviT_T0_PT8_S7_lSA_S7_lS8_PT9_S7_li
; %bb.0:
	s_load_dwordx2 s[2:3], s[4:5], 0x48
	s_load_dwordx2 s[16:17], s[4:5], 0x0
	s_load_dwordx4 s[12:15], s[4:5], 0x8
	s_mov_b32 s9, 0
	s_lshl_b64 s[0:1], s[8:9], 3
	s_waitcnt lgkmcnt(0)
	s_add_u32 s2, s2, s0
	s_addc_u32 s3, s3, s1
	s_load_dwordx2 s[10:11], s[2:3], 0x0
	s_lshl_b32 s8, s6, 5
	s_lshl_b32 s18, s7, 5
	s_cmp_lt_i32 s17, 1
	s_cbranch_scc1 .LBB678_11
; %bb.1:
	s_load_dword s19, s[4:5], 0x18
	s_load_dwordx2 s[2:3], s[4:5], 0x28
	s_load_dword s20, s[4:5], 0x30
	v_lshl_add_u32 v2, v1, 4, v0
	v_and_b32_e32 v8, 7, v0
	v_lshrrev_b32_e32 v9, 5, v2
	v_lshrrev_b32_e32 v3, 3, v2
	v_and_b32_e32 v2, 31, v2
	v_or_b32_e32 v5, s8, v2
	s_waitcnt lgkmcnt(0)
	s_add_u32 s2, s2, s0
	v_lshlrev_b32_e32 v6, 3, v8
	v_add_u32_e32 v4, s18, v3
	s_addc_u32 s3, s3, s1
	v_cmp_gt_i32_e32 vcc, s16, v5
	v_lshlrev_b32_e32 v5, 3, v2
	v_lshl_or_b32 v3, v3, 6, v6
	v_add_u32_e32 v2, s8, v2
	s_load_dwordx2 s[6:7], s[2:3], 0x0
	v_add_u32_e32 v11, 0x800, v3
	v_mad_i64_i32 v[2:3], s[2:3], s19, v2, 0
	s_add_u32 s0, s14, s0
	v_lshl_or_b32 v10, v9, 8, v5
	v_mov_b32_e32 v5, 0x800
	v_lshlrev_b64 v[2:3], 3, v[2:3]
	s_addc_u32 s1, s15, s1
	v_lshl_add_u32 v13, v1, 6, v5
	v_lshlrev_b32_e32 v5, 3, v9
	s_load_dwordx2 s[14:15], s[0:1], 0x0
	v_add_co_u32_e64 v2, s[2:3], v2, v5
	v_cmp_gt_i32_e64 s[0:1], s16, v4
	v_addc_co_u32_e64 v3, s[2:3], 0, v3, s[2:3]
	v_mad_i64_i32 v[4:5], s[2:3], s20, v4, 0
	s_waitcnt lgkmcnt(0)
	v_mov_b32_e32 v7, s15
	v_add_co_u32_e64 v2, s[2:3], s14, v2
	v_lshlrev_b64 v[4:5], 3, v[4:5]
	v_addc_co_u32_e64 v3, s[2:3], v7, v3, s[2:3]
	v_add_co_u32_e64 v4, s[2:3], v4, v6
	v_addc_co_u32_e64 v5, s[2:3], 0, v5, s[2:3]
	v_mov_b32_e32 v6, s7
	v_add_co_u32_e64 v4, s[2:3], s6, v4
	v_addc_co_u32_e64 v5, s[2:3], v6, v5, s[2:3]
	v_lshlrev_b32_e32 v12, 3, v0
	s_xor_b64 s[2:3], vcc, -1
	s_xor_b64 s[0:1], s[0:1], -1
	v_mov_b32_e32 v17, 0
	v_mov_b32_e32 v16, 0
	;; [unrolled: 1-line block ×9, first 2 shown]
	s_branch .LBB678_3
.LBB678_2:                              ;   in Loop: Header=BB678_3 Depth=1
	s_or_b64 exec, exec, s[6:7]
	s_waitcnt lgkmcnt(0)
	s_barrier
	ds_read2_b64 v[22:25], v12 offset1:16
	ds_read_b128 v[26:29], v13
	ds_read_b128 v[30:33], v13 offset:16
	v_add_co_u32_e32 v2, vcc, 64, v2
	v_addc_co_u32_e32 v3, vcc, 0, v3, vcc
	s_waitcnt lgkmcnt(1)
	v_mul_f32_e32 v34, v26, v23
	v_fmac_f32_e32 v34, v27, v22
	v_add_f32_e32 v46, v21, v34
	ds_read_b128 v[34:37], v13 offset:1024
	v_mul_f32_e32 v7, v27, v23
	v_fma_f32 v7, v26, v22, -v7
	v_add_f32_e32 v7, v20, v7
	v_mul_f32_e32 v20, v27, v25
	v_mul_f32_e32 v21, v26, v25
	v_fma_f32 v20, v26, v24, -v20
	v_fmac_f32_e32 v21, v27, v24
	v_add_f32_e32 v26, v18, v20
	v_add_f32_e32 v27, v19, v21
	ds_read_b128 v[18:21], v13 offset:1040
	s_waitcnt lgkmcnt(1)
	v_mul_f32_e32 v38, v35, v23
	v_mul_f32_e32 v23, v34, v23
	v_fma_f32 v38, v34, v22, -v38
	v_fmac_f32_e32 v23, v35, v22
	v_mul_f32_e32 v22, v35, v25
	v_fma_f32 v47, v34, v24, -v22
	v_mul_f32_e32 v34, v34, v25
	v_add_f32_e32 v14, v14, v38
	v_add_f32_e32 v15, v15, v23
	v_fmac_f32_e32 v34, v35, v24
	ds_read2_b64 v[22:25], v12 offset0:32 offset1:48
	ds_read_b128 v[38:41], v13 offset:32
	ds_read_b128 v[42:45], v13 offset:48
	v_add_f32_e32 v35, v16, v47
	v_add_f32_e32 v34, v17, v34
	s_waitcnt lgkmcnt(2)
	v_mul_f32_e32 v16, v29, v23
	v_fma_f32 v16, v28, v22, -v16
	v_mul_f32_e32 v17, v28, v23
	v_fmac_f32_e32 v17, v29, v22
	v_add_f32_e32 v7, v7, v16
	v_mul_f32_e32 v16, v29, v25
	v_add_f32_e32 v46, v46, v17
	v_fma_f32 v16, v28, v24, -v16
	v_mul_f32_e32 v17, v28, v25
	v_fmac_f32_e32 v17, v29, v24
	v_add_f32_e32 v26, v26, v16
	v_mul_f32_e32 v16, v37, v23
	v_add_f32_e32 v27, v27, v17
	;; [unrolled: 6-line block ×3, first 2 shown]
	v_fma_f32 v28, v36, v24, -v14
	ds_read2_b64 v[14:17], v12 offset0:64 offset1:80
	v_mul_f32_e32 v25, v36, v25
	v_fmac_f32_e32 v25, v37, v24
	v_add_f32_e32 v29, v34, v25
	v_add_f32_e32 v28, v35, v28
	s_waitcnt lgkmcnt(0)
	v_mul_f32_e32 v24, v31, v15
	v_fma_f32 v24, v30, v14, -v24
	v_add_f32_e32 v7, v7, v24
	v_mul_f32_e32 v24, v31, v17
	v_mul_f32_e32 v25, v30, v15
	v_fma_f32 v24, v30, v16, -v24
	v_fmac_f32_e32 v25, v31, v14
	v_add_f32_e32 v26, v26, v24
	v_mul_f32_e32 v24, v19, v15
	v_add_f32_e32 v34, v46, v25
	v_mul_f32_e32 v25, v30, v17
	v_fma_f32 v24, v18, v14, -v24
	v_mul_f32_e32 v15, v18, v15
	v_fmac_f32_e32 v25, v31, v16
	v_fmac_f32_e32 v15, v19, v14
	v_add_f32_e32 v14, v22, v24
	v_mul_f32_e32 v22, v19, v17
	v_add_f32_e32 v27, v27, v25
	v_add_f32_e32 v15, v23, v15
	v_fma_f32 v30, v18, v16, -v22
	ds_read2_b64 v[22:25], v12 offset0:96 offset1:112
	v_mul_f32_e32 v17, v18, v17
	v_fmac_f32_e32 v17, v19, v16
	v_add_f32_e32 v19, v29, v17
	v_add_f32_e32 v18, v28, v30
	s_waitcnt lgkmcnt(0)
	v_mul_f32_e32 v16, v33, v23
	v_fma_f32 v16, v32, v22, -v16
	v_mul_f32_e32 v17, v32, v23
	v_fmac_f32_e32 v17, v33, v22
	v_add_f32_e32 v7, v7, v16
	v_mul_f32_e32 v16, v33, v25
	v_add_f32_e32 v28, v34, v17
	v_fma_f32 v16, v32, v24, -v16
	v_mul_f32_e32 v17, v32, v25
	v_fmac_f32_e32 v17, v33, v24
	v_add_f32_e32 v26, v26, v16
	v_mul_f32_e32 v16, v21, v23
	v_add_f32_e32 v27, v27, v17
	;; [unrolled: 6-line block ×3, first 2 shown]
	v_fma_f32 v22, v20, v24, -v14
	ds_read2_b64 v[14:17], v12 offset0:128 offset1:144
	v_mul_f32_e32 v20, v20, v25
	v_fmac_f32_e32 v20, v21, v24
	v_add_f32_e32 v31, v18, v22
	v_add_f32_e32 v32, v19, v20
	s_waitcnt lgkmcnt(0)
	v_mul_f32_e32 v18, v39, v15
	v_fma_f32 v18, v38, v14, -v18
	v_mul_f32_e32 v19, v38, v15
	v_fmac_f32_e32 v19, v39, v14
	v_add_f32_e32 v7, v7, v18
	v_mul_f32_e32 v18, v39, v17
	v_add_f32_e32 v33, v28, v19
	v_fma_f32 v22, v38, v16, -v18
	ds_read_b128 v[18:21], v13 offset:1056
	v_mul_f32_e32 v23, v38, v17
	v_fmac_f32_e32 v23, v39, v16
	v_add_f32_e32 v34, v26, v22
	v_add_f32_e32 v35, v27, v23
	ds_read_b128 v[22:25], v13 offset:1072
	s_waitcnt lgkmcnt(1)
	v_mul_f32_e32 v26, v19, v15
	v_fma_f32 v26, v18, v14, -v26
	v_mul_f32_e32 v15, v18, v15
	v_fmac_f32_e32 v15, v19, v14
	v_add_f32_e32 v14, v29, v26
	v_mul_f32_e32 v26, v19, v17
	v_add_f32_e32 v15, v30, v15
	v_fma_f32 v30, v18, v16, -v26
	ds_read2_b64 v[26:29], v12 offset0:160 offset1:176
	v_mul_f32_e32 v17, v18, v17
	v_fmac_f32_e32 v17, v19, v16
	v_add_f32_e32 v19, v32, v17
	v_add_f32_e32 v18, v31, v30
	s_waitcnt lgkmcnt(0)
	v_mul_f32_e32 v16, v41, v27
	v_fma_f32 v16, v40, v26, -v16
	v_mul_f32_e32 v17, v40, v27
	v_fmac_f32_e32 v17, v41, v26
	v_add_f32_e32 v7, v7, v16
	v_mul_f32_e32 v16, v41, v29
	v_add_f32_e32 v30, v33, v17
	v_fma_f32 v16, v40, v28, -v16
	v_mul_f32_e32 v17, v40, v29
	v_fmac_f32_e32 v17, v41, v28
	v_add_f32_e32 v31, v34, v16
	v_mul_f32_e32 v16, v21, v27
	v_add_f32_e32 v32, v35, v17
	;; [unrolled: 6-line block ×3, first 2 shown]
	v_fma_f32 v33, v20, v28, -v14
	ds_read2_b64 v[14:17], v12 offset0:192 offset1:208
	v_mul_f32_e32 v20, v20, v29
	v_fmac_f32_e32 v20, v21, v28
	v_add_f32_e32 v19, v19, v20
	v_add_f32_e32 v18, v18, v33
	s_waitcnt lgkmcnt(0)
	v_mul_f32_e32 v20, v43, v15
	v_fma_f32 v20, v42, v14, -v20
	v_mul_f32_e32 v21, v42, v15
	v_add_f32_e32 v7, v7, v20
	v_mul_f32_e32 v20, v43, v17
	v_fmac_f32_e32 v21, v43, v14
	v_fma_f32 v20, v42, v16, -v20
	v_add_f32_e32 v21, v30, v21
	v_mul_f32_e32 v28, v42, v17
	v_add_f32_e32 v30, v31, v20
	v_mul_f32_e32 v20, v23, v15
	v_mul_f32_e32 v15, v22, v15
	v_fmac_f32_e32 v28, v43, v16
	v_fma_f32 v20, v22, v14, -v20
	v_fmac_f32_e32 v15, v23, v14
	v_add_f32_e32 v31, v32, v28
	v_add_f32_e32 v14, v26, v20
	;; [unrolled: 1-line block ×3, first 2 shown]
	ds_read2_b64 v[26:29], v12 offset0:224 offset1:240
	v_mul_f32_e32 v20, v23, v17
	v_fma_f32 v20, v22, v16, -v20
	v_mul_f32_e32 v17, v22, v17
	v_fmac_f32_e32 v17, v23, v16
	v_add_f32_e32 v16, v18, v20
	s_waitcnt lgkmcnt(0)
	v_mul_f32_e32 v18, v45, v27
	v_fma_f32 v18, v44, v26, -v18
	v_add_f32_e32 v20, v7, v18
	v_mul_f32_e32 v7, v45, v29
	v_fma_f32 v7, v44, v28, -v7
	v_add_f32_e32 v17, v19, v17
	v_mul_f32_e32 v19, v44, v27
	v_add_f32_e32 v18, v30, v7
	v_mul_f32_e32 v7, v25, v27
	v_mul_f32_e32 v22, v24, v27
	v_fmac_f32_e32 v19, v45, v26
	v_fma_f32 v7, v24, v26, -v7
	v_fmac_f32_e32 v22, v25, v26
	v_add_f32_e32 v21, v21, v19
	v_mul_f32_e32 v19, v44, v29
	v_add_f32_e32 v14, v14, v7
	v_add_f32_e32 v15, v15, v22
	v_mul_f32_e32 v7, v25, v29
	v_mul_f32_e32 v22, v24, v29
	v_fmac_f32_e32 v19, v45, v28
	v_fma_f32 v7, v24, v28, -v7
	v_fmac_f32_e32 v22, v25, v28
	s_add_i32 s9, s9, 8
	v_add_co_u32_e32 v4, vcc, 64, v4
	v_add_f32_e32 v19, v31, v19
	v_add_f32_e32 v16, v16, v7
	;; [unrolled: 1-line block ×3, first 2 shown]
	s_cmp_ge_i32 s9, s17
	v_addc_co_u32_e32 v5, vcc, 0, v5, vcc
	s_barrier
	s_cbranch_scc1 .LBB678_12
.LBB678_3:                              ; =>This Inner Loop Header: Depth=1
	v_add_u32_e32 v7, s9, v9
	v_cmp_le_i32_e32 vcc, s17, v7
	s_or_b64 s[6:7], s[2:3], vcc
	s_and_saveexec_b64 s[14:15], s[6:7]
	s_xor_b64 s[6:7], exec, s[14:15]
; %bb.4:                                ;   in Loop: Header=BB678_3 Depth=1
	v_mov_b32_e32 v7, v6
	ds_write_b64 v10, v[6:7]
; %bb.5:                                ;   in Loop: Header=BB678_3 Depth=1
	s_andn2_saveexec_b64 s[6:7], s[6:7]
	s_cbranch_execz .LBB678_7
; %bb.6:                                ;   in Loop: Header=BB678_3 Depth=1
	flat_load_dwordx2 v[22:23], v[2:3]
	s_waitcnt vmcnt(0) lgkmcnt(0)
	ds_write_b64 v10, v[22:23]
.LBB678_7:                              ;   in Loop: Header=BB678_3 Depth=1
	s_or_b64 exec, exec, s[6:7]
	v_add_u32_e32 v7, s9, v8
	v_cmp_le_i32_e32 vcc, s17, v7
	s_or_b64 s[6:7], vcc, s[0:1]
	s_and_saveexec_b64 s[14:15], s[6:7]
	s_xor_b64 s[6:7], exec, s[14:15]
; %bb.8:                                ;   in Loop: Header=BB678_3 Depth=1
	v_mov_b32_e32 v7, v6
	ds_write_b64 v11, v[6:7]
; %bb.9:                                ;   in Loop: Header=BB678_3 Depth=1
	s_andn2_saveexec_b64 s[6:7], s[6:7]
	s_cbranch_execz .LBB678_2
; %bb.10:                               ;   in Loop: Header=BB678_3 Depth=1
	flat_load_dwordx2 v[22:23], v[4:5]
	s_waitcnt vmcnt(0) lgkmcnt(0)
	ds_write_b64 v11, v[22:23]
	s_branch .LBB678_2
.LBB678_11:
	v_mov_b32_e32 v20, 0
	v_mov_b32_e32 v21, 0
	;; [unrolled: 1-line block ×8, first 2 shown]
.LBB678_12:
	s_load_dword s6, s[4:5], 0x50
	v_add_u32_e32 v4, s18, v1
	s_waitcnt lgkmcnt(0)
	v_mov_b32_e32 v3, s11
	v_add_u32_e32 v0, s8, v0
	v_mad_i64_i32 v[1:2], s[0:1], v4, s6, 0
	v_cmp_le_i32_e64 s[0:1], v4, v0
	v_lshlrev_b64 v[1:2], 3, v[1:2]
	v_add_co_u32_e32 v5, vcc, s10, v1
	v_addc_co_u32_e32 v6, vcc, v3, v2, vcc
	v_cmp_gt_i32_e32 vcc, s16, v0
	s_and_b64 s[0:1], s[0:1], vcc
	s_and_saveexec_b64 s[2:3], s[0:1]
	s_cbranch_execz .LBB678_14
; %bb.13:
	v_mul_f32_e32 v1, s13, v21
	v_fma_f32 v2, v20, s12, -v1
	v_ashrrev_i32_e32 v1, 31, v0
	v_lshlrev_b64 v[7:8], 3, v[0:1]
	v_mul_f32_e32 v3, s12, v21
	v_add_co_u32_e64 v7, s[0:1], v5, v7
	v_fmac_f32_e32 v3, s13, v20
	v_addc_co_u32_e64 v8, s[0:1], v6, v8, s[0:1]
	flat_store_dwordx2 v[7:8], v[2:3]
.LBB678_14:
	s_or_b64 exec, exec, s[2:3]
	v_add_u32_e32 v2, 16, v0
	v_cmp_le_i32_e64 s[2:3], v4, v2
	v_cmp_gt_i32_e64 s[0:1], s16, v2
	s_and_b64 s[2:3], s[2:3], s[0:1]
	s_and_saveexec_b64 s[4:5], s[2:3]
	s_cbranch_execz .LBB678_16
; %bb.15:
	v_ashrrev_i32_e32 v3, 31, v2
	v_lshlrev_b64 v[9:10], 3, v[2:3]
	v_mul_f32_e32 v1, s13, v19
	v_mul_f32_e32 v8, s12, v19
	v_add_co_u32_e64 v5, s[2:3], v5, v9
	v_fma_f32 v7, v18, s12, -v1
	v_fmac_f32_e32 v8, s13, v18
	v_addc_co_u32_e64 v6, s[2:3], v6, v10, s[2:3]
	flat_store_dwordx2 v[5:6], v[7:8]
.LBB678_16:
	s_or_b64 exec, exec, s[4:5]
	v_add_u32_e32 v3, 16, v4
	v_mad_i64_i32 v[4:5], s[2:3], v3, s6, 0
	v_mov_b32_e32 v1, s11
	v_lshlrev_b64 v[4:5], 3, v[4:5]
	v_add_co_u32_e64 v4, s[2:3], s10, v4
	v_addc_co_u32_e64 v5, s[2:3], v1, v5, s[2:3]
	v_cmp_le_i32_e64 s[2:3], v3, v0
	s_and_b64 s[4:5], s[2:3], vcc
	s_and_saveexec_b64 s[2:3], s[4:5]
	s_cbranch_execz .LBB678_18
; %bb.17:
	v_mul_f32_e32 v1, s13, v15
	v_fma_f32 v6, v14, s12, -v1
	v_ashrrev_i32_e32 v1, 31, v0
	v_lshlrev_b64 v[0:1], 3, v[0:1]
	v_mul_f32_e32 v7, s12, v15
	v_add_co_u32_e32 v0, vcc, v4, v0
	v_fmac_f32_e32 v7, s13, v14
	v_addc_co_u32_e32 v1, vcc, v5, v1, vcc
	flat_store_dwordx2 v[0:1], v[6:7]
.LBB678_18:
	s_or_b64 exec, exec, s[2:3]
	v_cmp_le_i32_e32 vcc, v3, v2
	s_and_b64 s[0:1], vcc, s[0:1]
	s_and_saveexec_b64 s[2:3], s[0:1]
	s_cbranch_execz .LBB678_20
; %bb.19:
	v_ashrrev_i32_e32 v3, 31, v2
	v_lshlrev_b64 v[2:3], 3, v[2:3]
	v_mul_f32_e32 v0, s13, v17
	v_mul_f32_e32 v1, s12, v17
	v_add_co_u32_e32 v2, vcc, v4, v2
	v_fma_f32 v0, v16, s12, -v0
	v_fmac_f32_e32 v1, s13, v16
	v_addc_co_u32_e32 v3, vcc, v5, v3, vcc
	flat_store_dwordx2 v[2:3], v[0:1]
.LBB678_20:
	s_endpgm
	.section	.rodata,"a",@progbits
	.p2align	6, 0x0
	.amdhsa_kernel _ZL34rocblas_syrkx_herkx_general_kernelIi19rocblas_complex_numIfELi16ELi32ELi8ELb1ELb0ELc84ELc76EKPKS1_KPS1_EviT_T0_PT8_S7_lSA_S7_lS8_PT9_S7_li
		.amdhsa_group_segment_fixed_size 4096
		.amdhsa_private_segment_fixed_size 0
		.amdhsa_kernarg_size 100
		.amdhsa_user_sgpr_count 6
		.amdhsa_user_sgpr_private_segment_buffer 1
		.amdhsa_user_sgpr_dispatch_ptr 0
		.amdhsa_user_sgpr_queue_ptr 0
		.amdhsa_user_sgpr_kernarg_segment_ptr 1
		.amdhsa_user_sgpr_dispatch_id 0
		.amdhsa_user_sgpr_flat_scratch_init 0
		.amdhsa_user_sgpr_private_segment_size 0
		.amdhsa_uses_dynamic_stack 0
		.amdhsa_system_sgpr_private_segment_wavefront_offset 0
		.amdhsa_system_sgpr_workgroup_id_x 1
		.amdhsa_system_sgpr_workgroup_id_y 1
		.amdhsa_system_sgpr_workgroup_id_z 1
		.amdhsa_system_sgpr_workgroup_info 0
		.amdhsa_system_vgpr_workitem_id 1
		.amdhsa_next_free_vgpr 48
		.amdhsa_next_free_sgpr 21
		.amdhsa_reserve_vcc 1
		.amdhsa_reserve_flat_scratch 0
		.amdhsa_float_round_mode_32 0
		.amdhsa_float_round_mode_16_64 0
		.amdhsa_float_denorm_mode_32 3
		.amdhsa_float_denorm_mode_16_64 3
		.amdhsa_dx10_clamp 1
		.amdhsa_ieee_mode 1
		.amdhsa_fp16_overflow 0
		.amdhsa_exception_fp_ieee_invalid_op 0
		.amdhsa_exception_fp_denorm_src 0
		.amdhsa_exception_fp_ieee_div_zero 0
		.amdhsa_exception_fp_ieee_overflow 0
		.amdhsa_exception_fp_ieee_underflow 0
		.amdhsa_exception_fp_ieee_inexact 0
		.amdhsa_exception_int_div_zero 0
	.end_amdhsa_kernel
	.section	.text._ZL34rocblas_syrkx_herkx_general_kernelIi19rocblas_complex_numIfELi16ELi32ELi8ELb1ELb0ELc84ELc76EKPKS1_KPS1_EviT_T0_PT8_S7_lSA_S7_lS8_PT9_S7_li,"axG",@progbits,_ZL34rocblas_syrkx_herkx_general_kernelIi19rocblas_complex_numIfELi16ELi32ELi8ELb1ELb0ELc84ELc76EKPKS1_KPS1_EviT_T0_PT8_S7_lSA_S7_lS8_PT9_S7_li,comdat
.Lfunc_end678:
	.size	_ZL34rocblas_syrkx_herkx_general_kernelIi19rocblas_complex_numIfELi16ELi32ELi8ELb1ELb0ELc84ELc76EKPKS1_KPS1_EviT_T0_PT8_S7_lSA_S7_lS8_PT9_S7_li, .Lfunc_end678-_ZL34rocblas_syrkx_herkx_general_kernelIi19rocblas_complex_numIfELi16ELi32ELi8ELb1ELb0ELc84ELc76EKPKS1_KPS1_EviT_T0_PT8_S7_lSA_S7_lS8_PT9_S7_li
                                        ; -- End function
	.set _ZL34rocblas_syrkx_herkx_general_kernelIi19rocblas_complex_numIfELi16ELi32ELi8ELb1ELb0ELc84ELc76EKPKS1_KPS1_EviT_T0_PT8_S7_lSA_S7_lS8_PT9_S7_li.num_vgpr, 48
	.set _ZL34rocblas_syrkx_herkx_general_kernelIi19rocblas_complex_numIfELi16ELi32ELi8ELb1ELb0ELc84ELc76EKPKS1_KPS1_EviT_T0_PT8_S7_lSA_S7_lS8_PT9_S7_li.num_agpr, 0
	.set _ZL34rocblas_syrkx_herkx_general_kernelIi19rocblas_complex_numIfELi16ELi32ELi8ELb1ELb0ELc84ELc76EKPKS1_KPS1_EviT_T0_PT8_S7_lSA_S7_lS8_PT9_S7_li.numbered_sgpr, 21
	.set _ZL34rocblas_syrkx_herkx_general_kernelIi19rocblas_complex_numIfELi16ELi32ELi8ELb1ELb0ELc84ELc76EKPKS1_KPS1_EviT_T0_PT8_S7_lSA_S7_lS8_PT9_S7_li.num_named_barrier, 0
	.set _ZL34rocblas_syrkx_herkx_general_kernelIi19rocblas_complex_numIfELi16ELi32ELi8ELb1ELb0ELc84ELc76EKPKS1_KPS1_EviT_T0_PT8_S7_lSA_S7_lS8_PT9_S7_li.private_seg_size, 0
	.set _ZL34rocblas_syrkx_herkx_general_kernelIi19rocblas_complex_numIfELi16ELi32ELi8ELb1ELb0ELc84ELc76EKPKS1_KPS1_EviT_T0_PT8_S7_lSA_S7_lS8_PT9_S7_li.uses_vcc, 1
	.set _ZL34rocblas_syrkx_herkx_general_kernelIi19rocblas_complex_numIfELi16ELi32ELi8ELb1ELb0ELc84ELc76EKPKS1_KPS1_EviT_T0_PT8_S7_lSA_S7_lS8_PT9_S7_li.uses_flat_scratch, 0
	.set _ZL34rocblas_syrkx_herkx_general_kernelIi19rocblas_complex_numIfELi16ELi32ELi8ELb1ELb0ELc84ELc76EKPKS1_KPS1_EviT_T0_PT8_S7_lSA_S7_lS8_PT9_S7_li.has_dyn_sized_stack, 0
	.set _ZL34rocblas_syrkx_herkx_general_kernelIi19rocblas_complex_numIfELi16ELi32ELi8ELb1ELb0ELc84ELc76EKPKS1_KPS1_EviT_T0_PT8_S7_lSA_S7_lS8_PT9_S7_li.has_recursion, 0
	.set _ZL34rocblas_syrkx_herkx_general_kernelIi19rocblas_complex_numIfELi16ELi32ELi8ELb1ELb0ELc84ELc76EKPKS1_KPS1_EviT_T0_PT8_S7_lSA_S7_lS8_PT9_S7_li.has_indirect_call, 0
	.section	.AMDGPU.csdata,"",@progbits
; Kernel info:
; codeLenInByte = 2060
; TotalNumSgprs: 25
; NumVgprs: 48
; ScratchSize: 0
; MemoryBound: 1
; FloatMode: 240
; IeeeMode: 1
; LDSByteSize: 4096 bytes/workgroup (compile time only)
; SGPRBlocks: 3
; VGPRBlocks: 11
; NumSGPRsForWavesPerEU: 25
; NumVGPRsForWavesPerEU: 48
; Occupancy: 5
; WaveLimiterHint : 1
; COMPUTE_PGM_RSRC2:SCRATCH_EN: 0
; COMPUTE_PGM_RSRC2:USER_SGPR: 6
; COMPUTE_PGM_RSRC2:TRAP_HANDLER: 0
; COMPUTE_PGM_RSRC2:TGID_X_EN: 1
; COMPUTE_PGM_RSRC2:TGID_Y_EN: 1
; COMPUTE_PGM_RSRC2:TGID_Z_EN: 1
; COMPUTE_PGM_RSRC2:TIDIG_COMP_CNT: 1
	.section	.text._ZL34rocblas_syrkx_herkx_general_kernelIi19rocblas_complex_numIfELi16ELi32ELi8ELb1ELb0ELc67ELc76EKPKS1_KPS1_EviT_T0_PT8_S7_lSA_S7_lS8_PT9_S7_li,"axG",@progbits,_ZL34rocblas_syrkx_herkx_general_kernelIi19rocblas_complex_numIfELi16ELi32ELi8ELb1ELb0ELc67ELc76EKPKS1_KPS1_EviT_T0_PT8_S7_lSA_S7_lS8_PT9_S7_li,comdat
	.globl	_ZL34rocblas_syrkx_herkx_general_kernelIi19rocblas_complex_numIfELi16ELi32ELi8ELb1ELb0ELc67ELc76EKPKS1_KPS1_EviT_T0_PT8_S7_lSA_S7_lS8_PT9_S7_li ; -- Begin function _ZL34rocblas_syrkx_herkx_general_kernelIi19rocblas_complex_numIfELi16ELi32ELi8ELb1ELb0ELc67ELc76EKPKS1_KPS1_EviT_T0_PT8_S7_lSA_S7_lS8_PT9_S7_li
	.p2align	8
	.type	_ZL34rocblas_syrkx_herkx_general_kernelIi19rocblas_complex_numIfELi16ELi32ELi8ELb1ELb0ELc67ELc76EKPKS1_KPS1_EviT_T0_PT8_S7_lSA_S7_lS8_PT9_S7_li,@function
_ZL34rocblas_syrkx_herkx_general_kernelIi19rocblas_complex_numIfELi16ELi32ELi8ELb1ELb0ELc67ELc76EKPKS1_KPS1_EviT_T0_PT8_S7_lSA_S7_lS8_PT9_S7_li: ; @_ZL34rocblas_syrkx_herkx_general_kernelIi19rocblas_complex_numIfELi16ELi32ELi8ELb1ELb0ELc67ELc76EKPKS1_KPS1_EviT_T0_PT8_S7_lSA_S7_lS8_PT9_S7_li
; %bb.0:
	s_load_dwordx2 s[2:3], s[4:5], 0x48
	s_load_dwordx2 s[16:17], s[4:5], 0x0
	s_load_dwordx4 s[12:15], s[4:5], 0x8
	s_mov_b32 s9, 0
	s_lshl_b64 s[0:1], s[8:9], 3
	s_waitcnt lgkmcnt(0)
	s_add_u32 s2, s2, s0
	s_addc_u32 s3, s3, s1
	s_load_dwordx2 s[10:11], s[2:3], 0x0
	s_lshl_b32 s6, s6, 5
	s_lshl_b32 s7, s7, 5
	s_cmp_lt_i32 s17, 1
	s_cbranch_scc1 .LBB679_9
; %bb.1:
	s_load_dword s8, s[4:5], 0x18
	s_load_dwordx2 s[2:3], s[4:5], 0x28
	s_load_dword s20, s[4:5], 0x30
	v_lshl_add_u32 v2, v1, 4, v0
	v_and_b32_e32 v9, 7, v0
	v_lshrrev_b32_e32 v10, 5, v2
	v_lshrrev_b32_e32 v3, 3, v2
	v_and_b32_e32 v2, 31, v2
	v_or_b32_e32 v5, s6, v2
	s_waitcnt lgkmcnt(0)
	s_add_u32 s2, s2, s0
	v_lshlrev_b32_e32 v6, 3, v9
	v_add_u32_e32 v4, s7, v3
	s_addc_u32 s3, s3, s1
	v_cmp_gt_i32_e32 vcc, s16, v5
	v_lshlrev_b32_e32 v5, 3, v2
	v_lshl_or_b32 v3, v3, 6, v6
	v_add_u32_e32 v2, s6, v2
	s_load_dwordx2 s[18:19], s[2:3], 0x0
	v_add_u32_e32 v12, 0x800, v3
	v_mad_i64_i32 v[2:3], s[2:3], s8, v2, 0
	s_add_u32 s0, s14, s0
	v_lshl_or_b32 v11, v10, 8, v5
	v_mov_b32_e32 v5, 0x800
	v_lshlrev_b64 v[2:3], 3, v[2:3]
	s_addc_u32 s1, s15, s1
	v_lshl_add_u32 v14, v1, 6, v5
	v_lshlrev_b32_e32 v5, 3, v10
	s_load_dwordx2 s[14:15], s[0:1], 0x0
	v_add_co_u32_e64 v2, s[2:3], v2, v5
	v_cmp_gt_i32_e64 s[0:1], s16, v4
	v_addc_co_u32_e64 v3, s[2:3], 0, v3, s[2:3]
	v_mad_i64_i32 v[4:5], s[2:3], s20, v4, 0
	s_waitcnt lgkmcnt(0)
	v_mov_b32_e32 v7, s15
	v_add_co_u32_e64 v2, s[2:3], s14, v2
	v_lshlrev_b64 v[4:5], 3, v[4:5]
	v_addc_co_u32_e64 v3, s[2:3], v7, v3, s[2:3]
	v_add_co_u32_e64 v4, s[2:3], v4, v6
	v_addc_co_u32_e64 v5, s[2:3], 0, v5, s[2:3]
	v_mov_b32_e32 v6, s19
	v_add_co_u32_e64 v4, s[2:3], s18, v4
	v_addc_co_u32_e64 v5, s[2:3], v6, v5, s[2:3]
	v_lshlrev_b32_e32 v13, 3, v0
	s_xor_b64 s[2:3], s[0:1], -1
	v_mov_b32_e32 v18, 0
	v_mov_b32_e32 v17, 0
	;; [unrolled: 1-line block ×9, first 2 shown]
	s_branch .LBB679_3
.LBB679_2:                              ;   in Loop: Header=BB679_3 Depth=1
	s_or_b64 exec, exec, s[0:1]
	s_waitcnt lgkmcnt(0)
	s_barrier
	ds_read2_b64 v[23:26], v13 offset1:16
	ds_read_b128 v[27:30], v14
	ds_read_b128 v[31:34], v14 offset:16
	ds_read_b128 v[35:38], v14 offset:1024
	v_add_co_u32_e64 v2, s[0:1], 64, v2
	s_waitcnt lgkmcnt(2)
	v_mul_f32_e32 v7, v28, v24
	v_mul_f32_e32 v8, v27, v24
	v_fma_f32 v7, v27, v23, -v7
	v_fmac_f32_e32 v8, v28, v23
	v_add_f32_e32 v7, v21, v7
	v_add_f32_e32 v8, v22, v8
	v_mul_f32_e32 v21, v28, v26
	v_mul_f32_e32 v22, v27, v26
	v_fma_f32 v21, v27, v25, -v21
	v_fmac_f32_e32 v22, v28, v25
	v_add_f32_e32 v27, v19, v21
	v_add_f32_e32 v28, v20, v22
	ds_read_b128 v[19:22], v14 offset:1040
	s_waitcnt lgkmcnt(1)
	v_mul_f32_e32 v39, v36, v24
	v_mul_f32_e32 v24, v35, v24
	v_fma_f32 v39, v35, v23, -v39
	v_fmac_f32_e32 v24, v36, v23
	v_mul_f32_e32 v23, v36, v26
	v_fma_f32 v47, v35, v25, -v23
	v_mul_f32_e32 v35, v35, v26
	v_add_f32_e32 v15, v15, v39
	v_add_f32_e32 v16, v16, v24
	v_fmac_f32_e32 v35, v36, v25
	ds_read2_b64 v[23:26], v13 offset0:32 offset1:48
	ds_read_b128 v[39:42], v14 offset:32
	ds_read_b128 v[43:46], v14 offset:48
	v_add_f32_e32 v36, v17, v47
	v_add_f32_e32 v35, v18, v35
	s_waitcnt lgkmcnt(2)
	v_mul_f32_e32 v17, v30, v24
	v_fma_f32 v17, v29, v23, -v17
	v_mul_f32_e32 v18, v29, v24
	v_fmac_f32_e32 v18, v30, v23
	v_add_f32_e32 v7, v7, v17
	v_mul_f32_e32 v17, v30, v26
	v_add_f32_e32 v8, v8, v18
	v_fma_f32 v17, v29, v25, -v17
	v_mul_f32_e32 v18, v29, v26
	v_fmac_f32_e32 v18, v30, v25
	v_add_f32_e32 v27, v27, v17
	v_mul_f32_e32 v17, v38, v24
	v_add_f32_e32 v28, v28, v18
	;; [unrolled: 6-line block ×3, first 2 shown]
	v_fma_f32 v29, v37, v25, -v15
	ds_read2_b64 v[15:18], v13 offset0:64 offset1:80
	v_mul_f32_e32 v26, v37, v26
	v_fmac_f32_e32 v26, v38, v25
	v_add_f32_e32 v30, v35, v26
	v_add_f32_e32 v29, v36, v29
	s_waitcnt lgkmcnt(0)
	v_mul_f32_e32 v25, v32, v16
	v_fma_f32 v25, v31, v15, -v25
	v_add_f32_e32 v7, v7, v25
	v_mul_f32_e32 v25, v32, v18
	v_mul_f32_e32 v26, v31, v16
	v_fma_f32 v25, v31, v17, -v25
	v_fmac_f32_e32 v26, v32, v15
	v_add_f32_e32 v27, v27, v25
	v_mul_f32_e32 v25, v20, v16
	v_add_f32_e32 v8, v8, v26
	v_mul_f32_e32 v26, v31, v18
	v_fma_f32 v25, v19, v15, -v25
	v_mul_f32_e32 v16, v19, v16
	v_fmac_f32_e32 v26, v32, v17
	v_fmac_f32_e32 v16, v20, v15
	v_add_f32_e32 v15, v23, v25
	v_mul_f32_e32 v23, v20, v18
	v_add_f32_e32 v28, v28, v26
	v_add_f32_e32 v16, v24, v16
	v_fma_f32 v31, v19, v17, -v23
	ds_read2_b64 v[23:26], v13 offset0:96 offset1:112
	v_mul_f32_e32 v18, v19, v18
	v_fmac_f32_e32 v18, v20, v17
	v_add_f32_e32 v20, v30, v18
	v_add_f32_e32 v19, v29, v31
	s_waitcnt lgkmcnt(0)
	v_mul_f32_e32 v17, v34, v24
	v_fma_f32 v17, v33, v23, -v17
	v_mul_f32_e32 v18, v33, v24
	v_fmac_f32_e32 v18, v34, v23
	v_add_f32_e32 v7, v7, v17
	v_mul_f32_e32 v17, v34, v26
	v_add_f32_e32 v8, v8, v18
	v_fma_f32 v17, v33, v25, -v17
	v_mul_f32_e32 v18, v33, v26
	v_fmac_f32_e32 v18, v34, v25
	v_add_f32_e32 v27, v27, v17
	v_mul_f32_e32 v17, v22, v24
	v_add_f32_e32 v28, v28, v18
	;; [unrolled: 6-line block ×3, first 2 shown]
	v_fma_f32 v23, v21, v25, -v15
	ds_read2_b64 v[15:18], v13 offset0:128 offset1:144
	v_mul_f32_e32 v21, v21, v26
	v_fmac_f32_e32 v21, v22, v25
	v_add_f32_e32 v31, v19, v23
	v_add_f32_e32 v32, v20, v21
	s_waitcnt lgkmcnt(0)
	v_mul_f32_e32 v19, v40, v16
	v_fma_f32 v19, v39, v15, -v19
	v_mul_f32_e32 v20, v39, v16
	v_fmac_f32_e32 v20, v40, v15
	v_add_f32_e32 v7, v7, v19
	v_mul_f32_e32 v19, v40, v18
	v_add_f32_e32 v8, v8, v20
	v_fma_f32 v23, v39, v17, -v19
	ds_read_b128 v[19:22], v14 offset:1056
	v_mul_f32_e32 v24, v39, v18
	v_fmac_f32_e32 v24, v40, v17
	v_add_f32_e32 v33, v27, v23
	v_add_f32_e32 v34, v28, v24
	ds_read_b128 v[23:26], v14 offset:1072
	s_waitcnt lgkmcnt(1)
	v_mul_f32_e32 v27, v20, v16
	v_fma_f32 v27, v19, v15, -v27
	v_mul_f32_e32 v16, v19, v16
	v_fmac_f32_e32 v16, v20, v15
	v_add_f32_e32 v15, v29, v27
	v_mul_f32_e32 v27, v20, v18
	v_add_f32_e32 v16, v30, v16
	v_fma_f32 v35, v19, v17, -v27
	ds_read2_b64 v[27:30], v13 offset0:160 offset1:176
	v_mul_f32_e32 v18, v19, v18
	v_fmac_f32_e32 v18, v20, v17
	v_add_f32_e32 v20, v32, v18
	v_add_f32_e32 v19, v31, v35
	s_waitcnt lgkmcnt(0)
	v_mul_f32_e32 v17, v42, v28
	v_fma_f32 v17, v41, v27, -v17
	v_mul_f32_e32 v18, v41, v28
	v_fmac_f32_e32 v18, v42, v27
	v_add_f32_e32 v7, v7, v17
	v_mul_f32_e32 v17, v42, v30
	v_add_f32_e32 v8, v8, v18
	v_fma_f32 v17, v41, v29, -v17
	v_mul_f32_e32 v18, v41, v30
	v_fmac_f32_e32 v18, v42, v29
	v_add_f32_e32 v31, v33, v17
	v_mul_f32_e32 v17, v22, v28
	v_add_f32_e32 v32, v34, v18
	;; [unrolled: 6-line block ×3, first 2 shown]
	v_fma_f32 v33, v21, v29, -v15
	ds_read2_b64 v[15:18], v13 offset0:192 offset1:208
	v_mul_f32_e32 v21, v21, v30
	v_fmac_f32_e32 v21, v22, v29
	v_add_f32_e32 v20, v20, v21
	v_add_f32_e32 v19, v19, v33
	s_waitcnt lgkmcnt(0)
	v_mul_f32_e32 v21, v44, v16
	v_fma_f32 v21, v43, v15, -v21
	v_add_f32_e32 v7, v7, v21
	v_mul_f32_e32 v21, v44, v18
	v_fma_f32 v21, v43, v17, -v21
	v_mul_f32_e32 v22, v43, v16
	v_add_f32_e32 v31, v31, v21
	v_mul_f32_e32 v21, v24, v16
	v_mul_f32_e32 v16, v23, v16
	v_fma_f32 v21, v23, v15, -v21
	v_fmac_f32_e32 v16, v24, v15
	v_fmac_f32_e32 v22, v44, v15
	v_add_f32_e32 v15, v27, v21
	v_add_f32_e32 v16, v28, v16
	ds_read2_b64 v[27:30], v13 offset0:224 offset1:240
	v_add_f32_e32 v8, v8, v22
	v_mul_f32_e32 v22, v43, v18
	v_mul_f32_e32 v21, v24, v18
	;; [unrolled: 1-line block ×3, first 2 shown]
	v_fma_f32 v21, v23, v17, -v21
	v_fmac_f32_e32 v18, v24, v17
	v_fmac_f32_e32 v22, v44, v17
	v_add_f32_e32 v17, v19, v21
	v_add_f32_e32 v18, v20, v18
	s_waitcnt lgkmcnt(0)
	v_mul_f32_e32 v19, v46, v28
	v_mul_f32_e32 v20, v45, v28
	v_fma_f32 v19, v45, v27, -v19
	v_fmac_f32_e32 v20, v46, v27
	v_add_f32_e32 v32, v32, v22
	v_add_f32_e32 v21, v7, v19
	;; [unrolled: 1-line block ×3, first 2 shown]
	v_mul_f32_e32 v7, v46, v30
	v_mul_f32_e32 v8, v45, v30
	v_fma_f32 v7, v45, v29, -v7
	v_fmac_f32_e32 v8, v46, v29
	v_add_f32_e32 v19, v31, v7
	v_add_f32_e32 v20, v32, v8
	v_mul_f32_e32 v7, v26, v28
	v_mul_f32_e32 v8, v25, v28
	v_fma_f32 v7, v25, v27, -v7
	v_fmac_f32_e32 v8, v26, v27
	v_add_f32_e32 v15, v15, v7
	v_add_f32_e32 v16, v16, v8
	v_mul_f32_e32 v7, v26, v30
	v_mul_f32_e32 v8, v25, v30
	v_addc_co_u32_e64 v3, s[0:1], 0, v3, s[0:1]
	v_fma_f32 v7, v25, v29, -v7
	v_fmac_f32_e32 v8, v26, v29
	s_add_i32 s9, s9, 8
	v_add_co_u32_e64 v4, s[0:1], 64, v4
	v_add_f32_e32 v17, v17, v7
	v_add_f32_e32 v18, v18, v8
	s_cmp_ge_i32 s9, s17
	v_addc_co_u32_e64 v5, s[0:1], 0, v5, s[0:1]
	s_barrier
	s_cbranch_scc1 .LBB679_10
.LBB679_3:                              ; =>This Inner Loop Header: Depth=1
	v_add_u32_e32 v7, s9, v10
	v_cmp_gt_i32_e64 s[0:1], s17, v7
	s_and_b64 s[14:15], vcc, s[0:1]
	v_mov_b32_e32 v7, 0
	v_mov_b32_e32 v8, 0
	s_and_saveexec_b64 s[0:1], s[14:15]
	s_cbranch_execz .LBB679_5
; %bb.4:                                ;   in Loop: Header=BB679_3 Depth=1
	flat_load_dwordx2 v[7:8], v[2:3]
.LBB679_5:                              ;   in Loop: Header=BB679_3 Depth=1
	s_or_b64 exec, exec, s[0:1]
	s_waitcnt vmcnt(0) lgkmcnt(0)
	ds_write_b64 v11, v[7:8]
	v_add_u32_e32 v7, s9, v9
	v_cmp_le_i32_e64 s[0:1], s17, v7
	s_or_b64 s[0:1], s[0:1], s[2:3]
	s_and_saveexec_b64 s[14:15], s[0:1]
	s_xor_b64 s[0:1], exec, s[14:15]
; %bb.6:                                ;   in Loop: Header=BB679_3 Depth=1
	v_mov_b32_e32 v7, v6
	ds_write_b64 v12, v[6:7]
; %bb.7:                                ;   in Loop: Header=BB679_3 Depth=1
	s_andn2_saveexec_b64 s[0:1], s[0:1]
	s_cbranch_execz .LBB679_2
; %bb.8:                                ;   in Loop: Header=BB679_3 Depth=1
	flat_load_dwordx2 v[7:8], v[4:5]
	s_waitcnt vmcnt(0) lgkmcnt(0)
	ds_write_b64 v12, v[7:8]
	s_branch .LBB679_2
.LBB679_9:
	v_mov_b32_e32 v21, 0
	v_mov_b32_e32 v22, 0
	;; [unrolled: 1-line block ×8, first 2 shown]
.LBB679_10:
	s_load_dword s8, s[4:5], 0x50
	v_add_u32_e32 v4, s7, v1
	s_waitcnt lgkmcnt(0)
	v_mov_b32_e32 v3, s11
	v_add_u32_e32 v0, s6, v0
	v_mad_i64_i32 v[1:2], s[0:1], v4, s8, 0
	v_cmp_le_i32_e64 s[0:1], v4, v0
	v_lshlrev_b64 v[1:2], 3, v[1:2]
	v_add_co_u32_e32 v5, vcc, s10, v1
	v_addc_co_u32_e32 v6, vcc, v3, v2, vcc
	v_cmp_gt_i32_e32 vcc, s16, v0
	s_and_b64 s[0:1], s[0:1], vcc
	s_and_saveexec_b64 s[2:3], s[0:1]
	s_cbranch_execz .LBB679_12
; %bb.11:
	v_mul_f32_e32 v1, s13, v22
	v_fma_f32 v2, v21, s12, -v1
	v_ashrrev_i32_e32 v1, 31, v0
	v_lshlrev_b64 v[7:8], 3, v[0:1]
	v_mul_f32_e32 v3, s12, v22
	v_add_co_u32_e64 v7, s[0:1], v5, v7
	v_fmac_f32_e32 v3, s13, v21
	v_addc_co_u32_e64 v8, s[0:1], v6, v8, s[0:1]
	flat_store_dwordx2 v[7:8], v[2:3]
.LBB679_12:
	s_or_b64 exec, exec, s[2:3]
	v_add_u32_e32 v2, 16, v0
	v_cmp_le_i32_e64 s[2:3], v4, v2
	v_cmp_gt_i32_e64 s[0:1], s16, v2
	s_and_b64 s[2:3], s[2:3], s[0:1]
	s_and_saveexec_b64 s[4:5], s[2:3]
	s_cbranch_execz .LBB679_14
; %bb.13:
	v_ashrrev_i32_e32 v3, 31, v2
	v_lshlrev_b64 v[9:10], 3, v[2:3]
	v_mul_f32_e32 v1, s13, v20
	v_mul_f32_e32 v8, s12, v20
	v_add_co_u32_e64 v5, s[2:3], v5, v9
	v_fma_f32 v7, v19, s12, -v1
	v_fmac_f32_e32 v8, s13, v19
	v_addc_co_u32_e64 v6, s[2:3], v6, v10, s[2:3]
	flat_store_dwordx2 v[5:6], v[7:8]
.LBB679_14:
	s_or_b64 exec, exec, s[4:5]
	v_add_u32_e32 v3, 16, v4
	v_mad_i64_i32 v[4:5], s[2:3], v3, s8, 0
	v_mov_b32_e32 v1, s11
	v_lshlrev_b64 v[4:5], 3, v[4:5]
	v_add_co_u32_e64 v4, s[2:3], s10, v4
	v_addc_co_u32_e64 v5, s[2:3], v1, v5, s[2:3]
	v_cmp_le_i32_e64 s[2:3], v3, v0
	s_and_b64 s[4:5], s[2:3], vcc
	s_and_saveexec_b64 s[2:3], s[4:5]
	s_cbranch_execz .LBB679_16
; %bb.15:
	v_mul_f32_e32 v1, s13, v16
	v_fma_f32 v6, v15, s12, -v1
	v_ashrrev_i32_e32 v1, 31, v0
	v_lshlrev_b64 v[0:1], 3, v[0:1]
	v_mul_f32_e32 v7, s12, v16
	v_add_co_u32_e32 v0, vcc, v4, v0
	v_fmac_f32_e32 v7, s13, v15
	v_addc_co_u32_e32 v1, vcc, v5, v1, vcc
	flat_store_dwordx2 v[0:1], v[6:7]
.LBB679_16:
	s_or_b64 exec, exec, s[2:3]
	v_cmp_le_i32_e32 vcc, v3, v2
	s_and_b64 s[0:1], vcc, s[0:1]
	s_and_saveexec_b64 s[2:3], s[0:1]
	s_cbranch_execz .LBB679_18
; %bb.17:
	v_ashrrev_i32_e32 v3, 31, v2
	v_lshlrev_b64 v[2:3], 3, v[2:3]
	v_mul_f32_e32 v0, s13, v18
	v_mul_f32_e32 v1, s12, v18
	v_add_co_u32_e32 v2, vcc, v4, v2
	v_fma_f32 v0, v17, s12, -v0
	v_fmac_f32_e32 v1, s13, v17
	v_addc_co_u32_e32 v3, vcc, v5, v3, vcc
	flat_store_dwordx2 v[2:3], v[0:1]
.LBB679_18:
	s_endpgm
	.section	.rodata,"a",@progbits
	.p2align	6, 0x0
	.amdhsa_kernel _ZL34rocblas_syrkx_herkx_general_kernelIi19rocblas_complex_numIfELi16ELi32ELi8ELb1ELb0ELc67ELc76EKPKS1_KPS1_EviT_T0_PT8_S7_lSA_S7_lS8_PT9_S7_li
		.amdhsa_group_segment_fixed_size 4096
		.amdhsa_private_segment_fixed_size 0
		.amdhsa_kernarg_size 100
		.amdhsa_user_sgpr_count 6
		.amdhsa_user_sgpr_private_segment_buffer 1
		.amdhsa_user_sgpr_dispatch_ptr 0
		.amdhsa_user_sgpr_queue_ptr 0
		.amdhsa_user_sgpr_kernarg_segment_ptr 1
		.amdhsa_user_sgpr_dispatch_id 0
		.amdhsa_user_sgpr_flat_scratch_init 0
		.amdhsa_user_sgpr_private_segment_size 0
		.amdhsa_uses_dynamic_stack 0
		.amdhsa_system_sgpr_private_segment_wavefront_offset 0
		.amdhsa_system_sgpr_workgroup_id_x 1
		.amdhsa_system_sgpr_workgroup_id_y 1
		.amdhsa_system_sgpr_workgroup_id_z 1
		.amdhsa_system_sgpr_workgroup_info 0
		.amdhsa_system_vgpr_workitem_id 1
		.amdhsa_next_free_vgpr 48
		.amdhsa_next_free_sgpr 21
		.amdhsa_reserve_vcc 1
		.amdhsa_reserve_flat_scratch 0
		.amdhsa_float_round_mode_32 0
		.amdhsa_float_round_mode_16_64 0
		.amdhsa_float_denorm_mode_32 3
		.amdhsa_float_denorm_mode_16_64 3
		.amdhsa_dx10_clamp 1
		.amdhsa_ieee_mode 1
		.amdhsa_fp16_overflow 0
		.amdhsa_exception_fp_ieee_invalid_op 0
		.amdhsa_exception_fp_denorm_src 0
		.amdhsa_exception_fp_ieee_div_zero 0
		.amdhsa_exception_fp_ieee_overflow 0
		.amdhsa_exception_fp_ieee_underflow 0
		.amdhsa_exception_fp_ieee_inexact 0
		.amdhsa_exception_int_div_zero 0
	.end_amdhsa_kernel
	.section	.text._ZL34rocblas_syrkx_herkx_general_kernelIi19rocblas_complex_numIfELi16ELi32ELi8ELb1ELb0ELc67ELc76EKPKS1_KPS1_EviT_T0_PT8_S7_lSA_S7_lS8_PT9_S7_li,"axG",@progbits,_ZL34rocblas_syrkx_herkx_general_kernelIi19rocblas_complex_numIfELi16ELi32ELi8ELb1ELb0ELc67ELc76EKPKS1_KPS1_EviT_T0_PT8_S7_lSA_S7_lS8_PT9_S7_li,comdat
.Lfunc_end679:
	.size	_ZL34rocblas_syrkx_herkx_general_kernelIi19rocblas_complex_numIfELi16ELi32ELi8ELb1ELb0ELc67ELc76EKPKS1_KPS1_EviT_T0_PT8_S7_lSA_S7_lS8_PT9_S7_li, .Lfunc_end679-_ZL34rocblas_syrkx_herkx_general_kernelIi19rocblas_complex_numIfELi16ELi32ELi8ELb1ELb0ELc67ELc76EKPKS1_KPS1_EviT_T0_PT8_S7_lSA_S7_lS8_PT9_S7_li
                                        ; -- End function
	.set _ZL34rocblas_syrkx_herkx_general_kernelIi19rocblas_complex_numIfELi16ELi32ELi8ELb1ELb0ELc67ELc76EKPKS1_KPS1_EviT_T0_PT8_S7_lSA_S7_lS8_PT9_S7_li.num_vgpr, 48
	.set _ZL34rocblas_syrkx_herkx_general_kernelIi19rocblas_complex_numIfELi16ELi32ELi8ELb1ELb0ELc67ELc76EKPKS1_KPS1_EviT_T0_PT8_S7_lSA_S7_lS8_PT9_S7_li.num_agpr, 0
	.set _ZL34rocblas_syrkx_herkx_general_kernelIi19rocblas_complex_numIfELi16ELi32ELi8ELb1ELb0ELc67ELc76EKPKS1_KPS1_EviT_T0_PT8_S7_lSA_S7_lS8_PT9_S7_li.numbered_sgpr, 21
	.set _ZL34rocblas_syrkx_herkx_general_kernelIi19rocblas_complex_numIfELi16ELi32ELi8ELb1ELb0ELc67ELc76EKPKS1_KPS1_EviT_T0_PT8_S7_lSA_S7_lS8_PT9_S7_li.num_named_barrier, 0
	.set _ZL34rocblas_syrkx_herkx_general_kernelIi19rocblas_complex_numIfELi16ELi32ELi8ELb1ELb0ELc67ELc76EKPKS1_KPS1_EviT_T0_PT8_S7_lSA_S7_lS8_PT9_S7_li.private_seg_size, 0
	.set _ZL34rocblas_syrkx_herkx_general_kernelIi19rocblas_complex_numIfELi16ELi32ELi8ELb1ELb0ELc67ELc76EKPKS1_KPS1_EviT_T0_PT8_S7_lSA_S7_lS8_PT9_S7_li.uses_vcc, 1
	.set _ZL34rocblas_syrkx_herkx_general_kernelIi19rocblas_complex_numIfELi16ELi32ELi8ELb1ELb0ELc67ELc76EKPKS1_KPS1_EviT_T0_PT8_S7_lSA_S7_lS8_PT9_S7_li.uses_flat_scratch, 0
	.set _ZL34rocblas_syrkx_herkx_general_kernelIi19rocblas_complex_numIfELi16ELi32ELi8ELb1ELb0ELc67ELc76EKPKS1_KPS1_EviT_T0_PT8_S7_lSA_S7_lS8_PT9_S7_li.has_dyn_sized_stack, 0
	.set _ZL34rocblas_syrkx_herkx_general_kernelIi19rocblas_complex_numIfELi16ELi32ELi8ELb1ELb0ELc67ELc76EKPKS1_KPS1_EviT_T0_PT8_S7_lSA_S7_lS8_PT9_S7_li.has_recursion, 0
	.set _ZL34rocblas_syrkx_herkx_general_kernelIi19rocblas_complex_numIfELi16ELi32ELi8ELb1ELb0ELc67ELc76EKPKS1_KPS1_EviT_T0_PT8_S7_lSA_S7_lS8_PT9_S7_li.has_indirect_call, 0
	.section	.AMDGPU.csdata,"",@progbits
; Kernel info:
; codeLenInByte = 2068
; TotalNumSgprs: 25
; NumVgprs: 48
; ScratchSize: 0
; MemoryBound: 1
; FloatMode: 240
; IeeeMode: 1
; LDSByteSize: 4096 bytes/workgroup (compile time only)
; SGPRBlocks: 3
; VGPRBlocks: 11
; NumSGPRsForWavesPerEU: 25
; NumVGPRsForWavesPerEU: 48
; Occupancy: 5
; WaveLimiterHint : 1
; COMPUTE_PGM_RSRC2:SCRATCH_EN: 0
; COMPUTE_PGM_RSRC2:USER_SGPR: 6
; COMPUTE_PGM_RSRC2:TRAP_HANDLER: 0
; COMPUTE_PGM_RSRC2:TGID_X_EN: 1
; COMPUTE_PGM_RSRC2:TGID_Y_EN: 1
; COMPUTE_PGM_RSRC2:TGID_Z_EN: 1
; COMPUTE_PGM_RSRC2:TIDIG_COMP_CNT: 1
	.section	.text._ZL34rocblas_syrkx_herkx_general_kernelIi19rocblas_complex_numIfELi16ELi32ELi8ELb1ELb0ELc78ELc76EKPKS1_KPS1_EviT_T0_PT8_S7_lSA_S7_lS8_PT9_S7_li,"axG",@progbits,_ZL34rocblas_syrkx_herkx_general_kernelIi19rocblas_complex_numIfELi16ELi32ELi8ELb1ELb0ELc78ELc76EKPKS1_KPS1_EviT_T0_PT8_S7_lSA_S7_lS8_PT9_S7_li,comdat
	.globl	_ZL34rocblas_syrkx_herkx_general_kernelIi19rocblas_complex_numIfELi16ELi32ELi8ELb1ELb0ELc78ELc76EKPKS1_KPS1_EviT_T0_PT8_S7_lSA_S7_lS8_PT9_S7_li ; -- Begin function _ZL34rocblas_syrkx_herkx_general_kernelIi19rocblas_complex_numIfELi16ELi32ELi8ELb1ELb0ELc78ELc76EKPKS1_KPS1_EviT_T0_PT8_S7_lSA_S7_lS8_PT9_S7_li
	.p2align	8
	.type	_ZL34rocblas_syrkx_herkx_general_kernelIi19rocblas_complex_numIfELi16ELi32ELi8ELb1ELb0ELc78ELc76EKPKS1_KPS1_EviT_T0_PT8_S7_lSA_S7_lS8_PT9_S7_li,@function
_ZL34rocblas_syrkx_herkx_general_kernelIi19rocblas_complex_numIfELi16ELi32ELi8ELb1ELb0ELc78ELc76EKPKS1_KPS1_EviT_T0_PT8_S7_lSA_S7_lS8_PT9_S7_li: ; @_ZL34rocblas_syrkx_herkx_general_kernelIi19rocblas_complex_numIfELi16ELi32ELi8ELb1ELb0ELc78ELc76EKPKS1_KPS1_EviT_T0_PT8_S7_lSA_S7_lS8_PT9_S7_li
; %bb.0:
	s_load_dwordx2 s[2:3], s[4:5], 0x48
	s_load_dwordx2 s[16:17], s[4:5], 0x0
	s_load_dwordx4 s[12:15], s[4:5], 0x8
	s_mov_b32 s9, 0
	s_lshl_b64 s[0:1], s[8:9], 3
	s_waitcnt lgkmcnt(0)
	s_add_u32 s2, s2, s0
	s_addc_u32 s3, s3, s1
	s_load_dwordx2 s[10:11], s[2:3], 0x0
	s_lshl_b32 s8, s6, 5
	s_lshl_b32 s18, s7, 5
	s_cmp_lt_i32 s17, 1
	s_cbranch_scc1 .LBB680_9
; %bb.1:
	s_load_dword s6, s[4:5], 0x18
	s_load_dword s20, s[4:5], 0x30
	s_load_dwordx2 s[2:3], s[4:5], 0x28
	v_lshl_add_u32 v2, v1, 4, v0
	v_and_b32_e32 v6, 31, v2
	s_waitcnt lgkmcnt(0)
	s_ashr_i32 s7, s6, 31
	s_ashr_i32 s21, s20, 31
	s_add_u32 s2, s2, s0
	s_addc_u32 s3, s3, s1
	s_add_u32 s0, s14, s0
	v_lshrrev_b32_e32 v10, 5, v2
	v_lshrrev_b32_e32 v3, 3, v2
	v_or_b32_e32 v2, s8, v6
	s_addc_u32 s1, s15, s1
	v_and_b32_e32 v9, 7, v0
	s_load_dwordx2 s[14:15], s[0:1], 0x0
	v_cmp_gt_i32_e64 s[0:1], s16, v2
	v_lshlrev_b32_e32 v2, 3, v6
	v_lshl_or_b32 v11, v10, 8, v2
	v_lshlrev_b32_e32 v2, 3, v9
	v_lshl_or_b32 v2, v3, 6, v2
	v_add_u32_e32 v4, s18, v3
	s_load_dwordx2 s[22:23], s[2:3], 0x0
	v_add_u32_e32 v12, 0x800, v2
	v_mad_i64_i32 v[2:3], s[2:3], v10, s6, 0
	v_mov_b32_e32 v7, 0x800
	v_add_u32_e32 v6, s8, v6
	v_lshl_add_u32 v14, v1, 6, v7
	v_ashrrev_i32_e32 v7, 31, v6
	v_lshlrev_b64 v[2:3], 3, v[2:3]
	v_lshlrev_b64 v[6:7], 3, v[6:7]
	v_ashrrev_i32_e32 v5, 31, v4
	v_add_co_u32_e64 v2, s[2:3], v2, v6
	v_addc_co_u32_e64 v3, s[2:3], v3, v7, s[2:3]
	v_mad_i64_i32 v[6:7], s[2:3], s20, v9, 0
	v_cmp_gt_i32_e32 vcc, s16, v4
	s_waitcnt lgkmcnt(0)
	v_mov_b32_e32 v8, s15
	v_add_co_u32_e64 v2, s[2:3], s14, v2
	v_lshlrev_b64 v[6:7], 3, v[6:7]
	v_lshlrev_b64 v[4:5], 3, v[4:5]
	v_addc_co_u32_e64 v3, s[2:3], v8, v3, s[2:3]
	v_add_co_u32_e64 v4, s[2:3], v6, v4
	v_addc_co_u32_e64 v5, s[2:3], v7, v5, s[2:3]
	v_mov_b32_e32 v6, s23
	v_add_co_u32_e64 v4, s[2:3], s22, v4
	v_addc_co_u32_e64 v5, s[2:3], v6, v5, s[2:3]
	s_lshl_b64 s[6:7], s[6:7], 6
	s_lshl_b64 s[2:3], s[20:21], 6
	v_lshlrev_b32_e32 v13, 3, v0
	s_xor_b64 s[14:15], s[0:1], -1
	v_mov_b32_e32 v15, s7
	v_mov_b32_e32 v16, s3
	;; [unrolled: 1-line block ×11, first 2 shown]
	s_branch .LBB680_3
.LBB680_2:                              ;   in Loop: Header=BB680_3 Depth=1
	s_or_b64 exec, exec, s[0:1]
	s_waitcnt vmcnt(0) lgkmcnt(0)
	ds_write_b64 v12, v[7:8]
	s_waitcnt lgkmcnt(0)
	s_barrier
	ds_read2_b64 v[25:28], v13 offset1:16
	ds_read_b128 v[29:32], v14
	ds_read_b128 v[33:36], v14 offset:16
	ds_read_b128 v[37:40], v14 offset:1024
	ds_read2_b64 v[41:44], v13 offset0:32 offset1:48
	v_add_co_u32_e64 v2, s[0:1], s6, v2
	s_waitcnt lgkmcnt(3)
	v_mul_f32_e32 v7, v30, v26
	v_mul_f32_e32 v8, v29, v26
	v_fma_f32 v7, v29, v25, -v7
	v_fmac_f32_e32 v8, v30, v25
	v_add_f32_e32 v7, v21, v7
	v_add_f32_e32 v8, v22, v8
	v_mul_f32_e32 v21, v30, v28
	v_mul_f32_e32 v22, v29, v28
	v_fma_f32 v21, v29, v27, -v21
	v_fmac_f32_e32 v22, v30, v27
	v_add_f32_e32 v45, v23, v21
	v_add_f32_e32 v46, v24, v22
	ds_read_b128 v[21:24], v14 offset:1040
	s_waitcnt lgkmcnt(2)
	v_mul_f32_e32 v29, v38, v26
	v_fma_f32 v29, v37, v25, -v29
	v_mul_f32_e32 v47, v37, v26
	v_add_f32_e32 v48, v18, v29
	v_mul_f32_e32 v18, v38, v28
	v_fmac_f32_e32 v47, v38, v25
	v_fma_f32 v18, v37, v27, -v18
	v_mul_f32_e32 v37, v37, v28
	s_waitcnt lgkmcnt(1)
	v_mul_f32_e32 v25, v32, v42
	v_fmac_f32_e32 v37, v38, v27
	v_fma_f32 v38, v31, v41, -v25
	v_mul_f32_e32 v25, v32, v44
	v_fma_f32 v50, v31, v43, -v25
	v_mul_f32_e32 v25, v40, v42
	v_mul_f32_e32 v49, v31, v42
	v_fma_f32 v52, v39, v41, -v25
	v_mul_f32_e32 v42, v39, v42
	v_mul_f32_e32 v25, v40, v44
	v_fmac_f32_e32 v49, v32, v41
	v_mul_f32_e32 v51, v31, v44
	v_fmac_f32_e32 v42, v40, v41
	v_fma_f32 v41, v39, v43, -v25
	v_mul_f32_e32 v39, v39, v44
	v_fmac_f32_e32 v51, v32, v43
	v_fmac_f32_e32 v39, v40, v43
	ds_read_b128 v[25:28], v14 offset:32
	ds_read_b128 v[29:32], v14 offset:48
	v_add_f32_e32 v40, v17, v47
	v_add_f32_e32 v43, v19, v18
	;; [unrolled: 1-line block ×3, first 2 shown]
	ds_read2_b64 v[17:20], v13 offset0:64 offset1:80
	v_add_f32_e32 v40, v40, v42
	v_add_f32_e32 v42, v37, v39
	;; [unrolled: 1-line block ×4, first 2 shown]
	s_waitcnt lgkmcnt(0)
	v_mul_f32_e32 v37, v34, v18
	v_fma_f32 v37, v33, v17, -v37
	v_add_f32_e32 v7, v7, v37
	v_mul_f32_e32 v37, v34, v20
	v_mul_f32_e32 v39, v33, v18
	v_fma_f32 v37, v33, v19, -v37
	v_mul_f32_e32 v33, v33, v20
	v_fmac_f32_e32 v39, v34, v17
	v_fmac_f32_e32 v33, v34, v19
	v_add_f32_e32 v34, v38, v37
	v_mul_f32_e32 v37, v22, v18
	v_add_f32_e32 v45, v48, v52
	v_fma_f32 v37, v21, v17, -v37
	v_mul_f32_e32 v18, v21, v18
	v_add_f32_e32 v8, v8, v49
	v_fmac_f32_e32 v18, v22, v17
	v_add_f32_e32 v17, v45, v37
	v_mul_f32_e32 v37, v22, v20
	v_add_f32_e32 v41, v43, v41
	v_add_f32_e32 v8, v8, v39
	;; [unrolled: 1-line block ×3, first 2 shown]
	v_fma_f32 v43, v21, v19, -v37
	ds_read2_b64 v[37:40], v13 offset0:96 offset1:112
	v_mul_f32_e32 v20, v21, v20
	v_fmac_f32_e32 v20, v22, v19
	v_add_f32_e32 v22, v42, v20
	v_add_f32_e32 v44, v46, v51
	s_waitcnt lgkmcnt(0)
	v_mul_f32_e32 v19, v36, v38
	v_fma_f32 v19, v35, v37, -v19
	v_mul_f32_e32 v20, v35, v38
	v_fmac_f32_e32 v20, v36, v37
	v_add_f32_e32 v7, v7, v19
	v_mul_f32_e32 v19, v36, v40
	v_add_f32_e32 v8, v8, v20
	v_fma_f32 v19, v35, v39, -v19
	v_mul_f32_e32 v20, v35, v40
	v_add_f32_e32 v33, v44, v33
	v_fmac_f32_e32 v20, v36, v39
	v_add_f32_e32 v34, v34, v19
	v_mul_f32_e32 v19, v24, v38
	v_add_f32_e32 v33, v33, v20
	v_fma_f32 v19, v23, v37, -v19
	v_mul_f32_e32 v20, v23, v38
	v_fmac_f32_e32 v20, v24, v37
	v_add_f32_e32 v37, v17, v19
	v_mul_f32_e32 v17, v24, v40
	v_add_f32_e32 v38, v18, v20
	v_fma_f32 v35, v23, v39, -v17
	ds_read2_b64 v[17:20], v13 offset0:128 offset1:144
	v_add_f32_e32 v21, v41, v43
	v_mul_f32_e32 v23, v23, v40
	v_fmac_f32_e32 v23, v24, v39
	v_add_f32_e32 v41, v21, v35
	s_waitcnt lgkmcnt(0)
	v_mul_f32_e32 v21, v26, v18
	v_add_f32_e32 v42, v22, v23
	v_fma_f32 v21, v25, v17, -v21
	v_mul_f32_e32 v22, v25, v18
	v_fmac_f32_e32 v22, v26, v17
	v_add_f32_e32 v7, v7, v21
	v_mul_f32_e32 v21, v26, v20
	v_add_f32_e32 v8, v8, v22
	v_fma_f32 v35, v25, v19, -v21
	ds_read_b128 v[21:24], v14 offset:1056
	v_mul_f32_e32 v25, v25, v20
	v_fmac_f32_e32 v25, v26, v19
	v_add_f32_e32 v26, v34, v35
	v_add_f32_e32 v25, v33, v25
	ds_read_b128 v[33:36], v14 offset:1072
	s_waitcnt lgkmcnt(1)
	v_mul_f32_e32 v39, v22, v18
	v_fma_f32 v39, v21, v17, -v39
	v_mul_f32_e32 v18, v21, v18
	v_fmac_f32_e32 v18, v22, v17
	v_add_f32_e32 v17, v37, v39
	v_mul_f32_e32 v37, v22, v20
	v_add_f32_e32 v18, v38, v18
	v_fma_f32 v43, v21, v19, -v37
	ds_read2_b64 v[37:40], v13 offset0:160 offset1:176
	v_mul_f32_e32 v20, v21, v20
	v_fmac_f32_e32 v20, v22, v19
	v_add_f32_e32 v22, v42, v20
	v_add_f32_e32 v21, v41, v43
	s_waitcnt lgkmcnt(0)
	v_mul_f32_e32 v19, v28, v38
	v_fma_f32 v19, v27, v37, -v19
	v_mul_f32_e32 v20, v27, v38
	v_fmac_f32_e32 v20, v28, v37
	v_add_f32_e32 v7, v7, v19
	v_mul_f32_e32 v19, v28, v40
	v_add_f32_e32 v8, v8, v20
	v_fma_f32 v19, v27, v39, -v19
	v_mul_f32_e32 v20, v27, v40
	v_fmac_f32_e32 v20, v28, v39
	v_add_f32_e32 v26, v26, v19
	v_mul_f32_e32 v19, v24, v38
	v_add_f32_e32 v25, v25, v20
	;; [unrolled: 6-line block ×3, first 2 shown]
	v_fma_f32 v37, v23, v39, -v17
	ds_read2_b64 v[17:20], v13 offset0:192 offset1:208
	v_mul_f32_e32 v23, v23, v40
	v_fmac_f32_e32 v23, v24, v39
	v_add_f32_e32 v22, v22, v23
	v_add_f32_e32 v21, v21, v37
	s_waitcnt lgkmcnt(0)
	v_mul_f32_e32 v24, v29, v18
	v_fmac_f32_e32 v24, v30, v17
	v_mul_f32_e32 v23, v30, v18
	v_add_f32_e32 v8, v8, v24
	v_mul_f32_e32 v24, v29, v20
	v_fma_f32 v23, v29, v17, -v23
	v_fmac_f32_e32 v24, v30, v19
	v_add_f32_e32 v7, v7, v23
	v_mul_f32_e32 v23, v30, v20
	v_add_f32_e32 v24, v25, v24
	v_mul_f32_e32 v25, v34, v18
	v_mul_f32_e32 v18, v33, v18
	v_fma_f32 v23, v29, v19, -v23
	v_fma_f32 v25, v33, v17, -v25
	v_fmac_f32_e32 v18, v34, v17
	v_add_f32_e32 v23, v26, v23
	v_add_f32_e32 v17, v27, v25
	;; [unrolled: 1-line block ×3, first 2 shown]
	ds_read2_b64 v[25:28], v13 offset0:224 offset1:240
	v_mul_f32_e32 v18, v34, v20
	v_mul_f32_e32 v20, v33, v20
	v_fma_f32 v18, v33, v19, -v18
	v_fmac_f32_e32 v20, v34, v19
	v_add_f32_e32 v19, v21, v18
	v_add_f32_e32 v20, v22, v20
	s_waitcnt lgkmcnt(0)
	v_mul_f32_e32 v18, v32, v26
	v_mul_f32_e32 v22, v31, v26
	v_fma_f32 v18, v31, v25, -v18
	v_fmac_f32_e32 v22, v32, v25
	v_add_f32_e32 v21, v7, v18
	v_add_f32_e32 v22, v8, v22
	v_mul_f32_e32 v7, v32, v28
	v_mul_f32_e32 v8, v31, v28
	v_fma_f32 v7, v31, v27, -v7
	v_fmac_f32_e32 v8, v32, v27
	v_add_f32_e32 v23, v23, v7
	v_add_f32_e32 v24, v24, v8
	;; [unrolled: 6-line block ×3, first 2 shown]
	v_mul_f32_e32 v7, v36, v28
	v_mul_f32_e32 v8, v35, v28
	v_addc_co_u32_e64 v3, s[0:1], v3, v15, s[0:1]
	v_fma_f32 v7, v35, v27, -v7
	v_fmac_f32_e32 v8, v36, v27
	s_add_i32 s9, s9, 8
	v_add_co_u32_e64 v4, s[0:1], s2, v4
	v_add_f32_e32 v19, v19, v7
	v_add_f32_e32 v20, v20, v8
	s_cmp_ge_i32 s9, s17
	v_addc_co_u32_e64 v5, s[0:1], v5, v16, s[0:1]
	s_barrier
	s_cbranch_scc1 .LBB680_10
.LBB680_3:                              ; =>This Inner Loop Header: Depth=1
	v_add_u32_e32 v7, s9, v10
	v_cmp_le_i32_e64 s[0:1], s17, v7
	s_or_b64 s[0:1], s[14:15], s[0:1]
	s_and_saveexec_b64 s[20:21], s[0:1]
	s_xor_b64 s[0:1], exec, s[20:21]
; %bb.4:                                ;   in Loop: Header=BB680_3 Depth=1
	v_mov_b32_e32 v7, v6
	ds_write_b64 v11, v[6:7]
; %bb.5:                                ;   in Loop: Header=BB680_3 Depth=1
	s_andn2_saveexec_b64 s[0:1], s[0:1]
	s_cbranch_execz .LBB680_7
; %bb.6:                                ;   in Loop: Header=BB680_3 Depth=1
	flat_load_dwordx2 v[7:8], v[2:3]
	s_waitcnt vmcnt(0) lgkmcnt(0)
	ds_write_b64 v11, v[7:8]
.LBB680_7:                              ;   in Loop: Header=BB680_3 Depth=1
	s_or_b64 exec, exec, s[0:1]
	v_add_u32_e32 v7, s9, v9
	v_cmp_gt_i32_e64 s[0:1], s17, v7
	s_and_b64 s[20:21], s[0:1], vcc
	v_mov_b32_e32 v7, 0
	v_mov_b32_e32 v8, 0
	s_and_saveexec_b64 s[0:1], s[20:21]
	s_cbranch_execz .LBB680_2
; %bb.8:                                ;   in Loop: Header=BB680_3 Depth=1
	flat_load_dwordx2 v[7:8], v[4:5]
	s_branch .LBB680_2
.LBB680_9:
	v_mov_b32_e32 v21, 0
	v_mov_b32_e32 v22, 0
	;; [unrolled: 1-line block ×8, first 2 shown]
.LBB680_10:
	s_load_dword s6, s[4:5], 0x50
	v_add_u32_e32 v4, s18, v1
	s_waitcnt lgkmcnt(0)
	v_mov_b32_e32 v3, s11
	v_add_u32_e32 v0, s8, v0
	v_mad_i64_i32 v[1:2], s[0:1], v4, s6, 0
	v_cmp_le_i32_e64 s[0:1], v4, v0
	v_lshlrev_b64 v[1:2], 3, v[1:2]
	v_add_co_u32_e32 v5, vcc, s10, v1
	v_addc_co_u32_e32 v6, vcc, v3, v2, vcc
	v_cmp_gt_i32_e32 vcc, s16, v0
	s_and_b64 s[0:1], s[0:1], vcc
	s_and_saveexec_b64 s[2:3], s[0:1]
	s_cbranch_execz .LBB680_12
; %bb.11:
	v_mul_f32_e32 v1, s13, v22
	v_fma_f32 v2, v21, s12, -v1
	v_ashrrev_i32_e32 v1, 31, v0
	v_lshlrev_b64 v[7:8], 3, v[0:1]
	v_mul_f32_e32 v3, s12, v22
	v_add_co_u32_e64 v7, s[0:1], v5, v7
	v_fmac_f32_e32 v3, s13, v21
	v_addc_co_u32_e64 v8, s[0:1], v6, v8, s[0:1]
	flat_store_dwordx2 v[7:8], v[2:3]
.LBB680_12:
	s_or_b64 exec, exec, s[2:3]
	v_add_u32_e32 v2, 16, v0
	v_cmp_le_i32_e64 s[2:3], v4, v2
	v_cmp_gt_i32_e64 s[0:1], s16, v2
	s_and_b64 s[2:3], s[2:3], s[0:1]
	s_and_saveexec_b64 s[4:5], s[2:3]
	s_cbranch_execz .LBB680_14
; %bb.13:
	v_ashrrev_i32_e32 v3, 31, v2
	v_lshlrev_b64 v[9:10], 3, v[2:3]
	v_mul_f32_e32 v1, s13, v24
	v_mul_f32_e32 v8, s12, v24
	v_add_co_u32_e64 v5, s[2:3], v5, v9
	v_fma_f32 v7, v23, s12, -v1
	v_fmac_f32_e32 v8, s13, v23
	v_addc_co_u32_e64 v6, s[2:3], v6, v10, s[2:3]
	flat_store_dwordx2 v[5:6], v[7:8]
.LBB680_14:
	s_or_b64 exec, exec, s[4:5]
	v_add_u32_e32 v3, 16, v4
	v_mad_i64_i32 v[4:5], s[2:3], v3, s6, 0
	v_mov_b32_e32 v1, s11
	v_lshlrev_b64 v[4:5], 3, v[4:5]
	v_add_co_u32_e64 v4, s[2:3], s10, v4
	v_addc_co_u32_e64 v5, s[2:3], v1, v5, s[2:3]
	v_cmp_le_i32_e64 s[2:3], v3, v0
	s_and_b64 s[4:5], s[2:3], vcc
	s_and_saveexec_b64 s[2:3], s[4:5]
	s_cbranch_execz .LBB680_16
; %bb.15:
	v_mul_f32_e32 v1, s13, v17
	v_fma_f32 v6, v18, s12, -v1
	v_ashrrev_i32_e32 v1, 31, v0
	v_lshlrev_b64 v[0:1], 3, v[0:1]
	v_mul_f32_e32 v7, s12, v17
	v_add_co_u32_e32 v0, vcc, v4, v0
	v_fmac_f32_e32 v7, s13, v18
	v_addc_co_u32_e32 v1, vcc, v5, v1, vcc
	flat_store_dwordx2 v[0:1], v[6:7]
.LBB680_16:
	s_or_b64 exec, exec, s[2:3]
	v_cmp_le_i32_e32 vcc, v3, v2
	s_and_b64 s[0:1], vcc, s[0:1]
	s_and_saveexec_b64 s[2:3], s[0:1]
	s_cbranch_execz .LBB680_18
; %bb.17:
	v_ashrrev_i32_e32 v3, 31, v2
	v_lshlrev_b64 v[2:3], 3, v[2:3]
	v_mul_f32_e32 v0, s13, v20
	v_mul_f32_e32 v1, s12, v20
	v_add_co_u32_e32 v2, vcc, v4, v2
	v_fma_f32 v0, v19, s12, -v0
	v_fmac_f32_e32 v1, s13, v19
	v_addc_co_u32_e32 v3, vcc, v5, v3, vcc
	flat_store_dwordx2 v[2:3], v[0:1]
.LBB680_18:
	s_endpgm
	.section	.rodata,"a",@progbits
	.p2align	6, 0x0
	.amdhsa_kernel _ZL34rocblas_syrkx_herkx_general_kernelIi19rocblas_complex_numIfELi16ELi32ELi8ELb1ELb0ELc78ELc76EKPKS1_KPS1_EviT_T0_PT8_S7_lSA_S7_lS8_PT9_S7_li
		.amdhsa_group_segment_fixed_size 4096
		.amdhsa_private_segment_fixed_size 0
		.amdhsa_kernarg_size 100
		.amdhsa_user_sgpr_count 6
		.amdhsa_user_sgpr_private_segment_buffer 1
		.amdhsa_user_sgpr_dispatch_ptr 0
		.amdhsa_user_sgpr_queue_ptr 0
		.amdhsa_user_sgpr_kernarg_segment_ptr 1
		.amdhsa_user_sgpr_dispatch_id 0
		.amdhsa_user_sgpr_flat_scratch_init 0
		.amdhsa_user_sgpr_private_segment_size 0
		.amdhsa_uses_dynamic_stack 0
		.amdhsa_system_sgpr_private_segment_wavefront_offset 0
		.amdhsa_system_sgpr_workgroup_id_x 1
		.amdhsa_system_sgpr_workgroup_id_y 1
		.amdhsa_system_sgpr_workgroup_id_z 1
		.amdhsa_system_sgpr_workgroup_info 0
		.amdhsa_system_vgpr_workitem_id 1
		.amdhsa_next_free_vgpr 53
		.amdhsa_next_free_sgpr 24
		.amdhsa_reserve_vcc 1
		.amdhsa_reserve_flat_scratch 0
		.amdhsa_float_round_mode_32 0
		.amdhsa_float_round_mode_16_64 0
		.amdhsa_float_denorm_mode_32 3
		.amdhsa_float_denorm_mode_16_64 3
		.amdhsa_dx10_clamp 1
		.amdhsa_ieee_mode 1
		.amdhsa_fp16_overflow 0
		.amdhsa_exception_fp_ieee_invalid_op 0
		.amdhsa_exception_fp_denorm_src 0
		.amdhsa_exception_fp_ieee_div_zero 0
		.amdhsa_exception_fp_ieee_overflow 0
		.amdhsa_exception_fp_ieee_underflow 0
		.amdhsa_exception_fp_ieee_inexact 0
		.amdhsa_exception_int_div_zero 0
	.end_amdhsa_kernel
	.section	.text._ZL34rocblas_syrkx_herkx_general_kernelIi19rocblas_complex_numIfELi16ELi32ELi8ELb1ELb0ELc78ELc76EKPKS1_KPS1_EviT_T0_PT8_S7_lSA_S7_lS8_PT9_S7_li,"axG",@progbits,_ZL34rocblas_syrkx_herkx_general_kernelIi19rocblas_complex_numIfELi16ELi32ELi8ELb1ELb0ELc78ELc76EKPKS1_KPS1_EviT_T0_PT8_S7_lSA_S7_lS8_PT9_S7_li,comdat
.Lfunc_end680:
	.size	_ZL34rocblas_syrkx_herkx_general_kernelIi19rocblas_complex_numIfELi16ELi32ELi8ELb1ELb0ELc78ELc76EKPKS1_KPS1_EviT_T0_PT8_S7_lSA_S7_lS8_PT9_S7_li, .Lfunc_end680-_ZL34rocblas_syrkx_herkx_general_kernelIi19rocblas_complex_numIfELi16ELi32ELi8ELb1ELb0ELc78ELc76EKPKS1_KPS1_EviT_T0_PT8_S7_lSA_S7_lS8_PT9_S7_li
                                        ; -- End function
	.set _ZL34rocblas_syrkx_herkx_general_kernelIi19rocblas_complex_numIfELi16ELi32ELi8ELb1ELb0ELc78ELc76EKPKS1_KPS1_EviT_T0_PT8_S7_lSA_S7_lS8_PT9_S7_li.num_vgpr, 53
	.set _ZL34rocblas_syrkx_herkx_general_kernelIi19rocblas_complex_numIfELi16ELi32ELi8ELb1ELb0ELc78ELc76EKPKS1_KPS1_EviT_T0_PT8_S7_lSA_S7_lS8_PT9_S7_li.num_agpr, 0
	.set _ZL34rocblas_syrkx_herkx_general_kernelIi19rocblas_complex_numIfELi16ELi32ELi8ELb1ELb0ELc78ELc76EKPKS1_KPS1_EviT_T0_PT8_S7_lSA_S7_lS8_PT9_S7_li.numbered_sgpr, 24
	.set _ZL34rocblas_syrkx_herkx_general_kernelIi19rocblas_complex_numIfELi16ELi32ELi8ELb1ELb0ELc78ELc76EKPKS1_KPS1_EviT_T0_PT8_S7_lSA_S7_lS8_PT9_S7_li.num_named_barrier, 0
	.set _ZL34rocblas_syrkx_herkx_general_kernelIi19rocblas_complex_numIfELi16ELi32ELi8ELb1ELb0ELc78ELc76EKPKS1_KPS1_EviT_T0_PT8_S7_lSA_S7_lS8_PT9_S7_li.private_seg_size, 0
	.set _ZL34rocblas_syrkx_herkx_general_kernelIi19rocblas_complex_numIfELi16ELi32ELi8ELb1ELb0ELc78ELc76EKPKS1_KPS1_EviT_T0_PT8_S7_lSA_S7_lS8_PT9_S7_li.uses_vcc, 1
	.set _ZL34rocblas_syrkx_herkx_general_kernelIi19rocblas_complex_numIfELi16ELi32ELi8ELb1ELb0ELc78ELc76EKPKS1_KPS1_EviT_T0_PT8_S7_lSA_S7_lS8_PT9_S7_li.uses_flat_scratch, 0
	.set _ZL34rocblas_syrkx_herkx_general_kernelIi19rocblas_complex_numIfELi16ELi32ELi8ELb1ELb0ELc78ELc76EKPKS1_KPS1_EviT_T0_PT8_S7_lSA_S7_lS8_PT9_S7_li.has_dyn_sized_stack, 0
	.set _ZL34rocblas_syrkx_herkx_general_kernelIi19rocblas_complex_numIfELi16ELi32ELi8ELb1ELb0ELc78ELc76EKPKS1_KPS1_EviT_T0_PT8_S7_lSA_S7_lS8_PT9_S7_li.has_recursion, 0
	.set _ZL34rocblas_syrkx_herkx_general_kernelIi19rocblas_complex_numIfELi16ELi32ELi8ELb1ELb0ELc78ELc76EKPKS1_KPS1_EviT_T0_PT8_S7_lSA_S7_lS8_PT9_S7_li.has_indirect_call, 0
	.section	.AMDGPU.csdata,"",@progbits
; Kernel info:
; codeLenInByte = 2112
; TotalNumSgprs: 28
; NumVgprs: 53
; ScratchSize: 0
; MemoryBound: 1
; FloatMode: 240
; IeeeMode: 1
; LDSByteSize: 4096 bytes/workgroup (compile time only)
; SGPRBlocks: 3
; VGPRBlocks: 13
; NumSGPRsForWavesPerEU: 28
; NumVGPRsForWavesPerEU: 53
; Occupancy: 4
; WaveLimiterHint : 1
; COMPUTE_PGM_RSRC2:SCRATCH_EN: 0
; COMPUTE_PGM_RSRC2:USER_SGPR: 6
; COMPUTE_PGM_RSRC2:TRAP_HANDLER: 0
; COMPUTE_PGM_RSRC2:TGID_X_EN: 1
; COMPUTE_PGM_RSRC2:TGID_Y_EN: 1
; COMPUTE_PGM_RSRC2:TGID_Z_EN: 1
; COMPUTE_PGM_RSRC2:TIDIG_COMP_CNT: 1
	.section	.text._ZL34rocblas_syrkx_herkx_general_kernelIi19rocblas_complex_numIfELi16ELi32ELi8ELb1ELb0ELc84ELc85EKPKS1_KPS1_EviT_T0_PT8_S7_lSA_S7_lS8_PT9_S7_li,"axG",@progbits,_ZL34rocblas_syrkx_herkx_general_kernelIi19rocblas_complex_numIfELi16ELi32ELi8ELb1ELb0ELc84ELc85EKPKS1_KPS1_EviT_T0_PT8_S7_lSA_S7_lS8_PT9_S7_li,comdat
	.globl	_ZL34rocblas_syrkx_herkx_general_kernelIi19rocblas_complex_numIfELi16ELi32ELi8ELb1ELb0ELc84ELc85EKPKS1_KPS1_EviT_T0_PT8_S7_lSA_S7_lS8_PT9_S7_li ; -- Begin function _ZL34rocblas_syrkx_herkx_general_kernelIi19rocblas_complex_numIfELi16ELi32ELi8ELb1ELb0ELc84ELc85EKPKS1_KPS1_EviT_T0_PT8_S7_lSA_S7_lS8_PT9_S7_li
	.p2align	8
	.type	_ZL34rocblas_syrkx_herkx_general_kernelIi19rocblas_complex_numIfELi16ELi32ELi8ELb1ELb0ELc84ELc85EKPKS1_KPS1_EviT_T0_PT8_S7_lSA_S7_lS8_PT9_S7_li,@function
_ZL34rocblas_syrkx_herkx_general_kernelIi19rocblas_complex_numIfELi16ELi32ELi8ELb1ELb0ELc84ELc85EKPKS1_KPS1_EviT_T0_PT8_S7_lSA_S7_lS8_PT9_S7_li: ; @_ZL34rocblas_syrkx_herkx_general_kernelIi19rocblas_complex_numIfELi16ELi32ELi8ELb1ELb0ELc84ELc85EKPKS1_KPS1_EviT_T0_PT8_S7_lSA_S7_lS8_PT9_S7_li
; %bb.0:
	s_load_dwordx2 s[2:3], s[4:5], 0x48
	s_load_dwordx2 s[10:11], s[4:5], 0x0
	s_load_dwordx4 s[12:15], s[4:5], 0x8
	s_mov_b32 s9, 0
	s_lshl_b64 s[0:1], s[8:9], 3
	s_waitcnt lgkmcnt(0)
	s_add_u32 s2, s2, s0
	s_addc_u32 s3, s3, s1
	s_load_dwordx2 s[16:17], s[2:3], 0x0
	s_lshl_b32 s8, s6, 5
	s_lshl_b32 s18, s7, 5
	s_cmp_lt_i32 s11, 1
	s_cbranch_scc1 .LBB681_11
; %bb.1:
	s_load_dword s19, s[4:5], 0x18
	s_load_dwordx2 s[2:3], s[4:5], 0x28
	s_load_dword s20, s[4:5], 0x30
	v_lshl_add_u32 v2, v1, 4, v0
	v_and_b32_e32 v8, 7, v0
	v_lshrrev_b32_e32 v9, 5, v2
	v_lshrrev_b32_e32 v3, 3, v2
	v_and_b32_e32 v2, 31, v2
	v_or_b32_e32 v5, s8, v2
	s_waitcnt lgkmcnt(0)
	s_add_u32 s2, s2, s0
	v_lshlrev_b32_e32 v6, 3, v8
	v_add_u32_e32 v4, s18, v3
	s_addc_u32 s3, s3, s1
	v_cmp_gt_i32_e32 vcc, s10, v5
	v_lshlrev_b32_e32 v5, 3, v2
	v_lshl_or_b32 v3, v3, 6, v6
	v_add_u32_e32 v2, s8, v2
	s_load_dwordx2 s[6:7], s[2:3], 0x0
	v_add_u32_e32 v11, 0x800, v3
	v_mad_i64_i32 v[2:3], s[2:3], s19, v2, 0
	s_add_u32 s0, s14, s0
	v_lshl_or_b32 v10, v9, 8, v5
	v_mov_b32_e32 v5, 0x800
	v_lshlrev_b64 v[2:3], 3, v[2:3]
	s_addc_u32 s1, s15, s1
	v_lshl_add_u32 v13, v1, 6, v5
	v_lshlrev_b32_e32 v5, 3, v9
	s_load_dwordx2 s[14:15], s[0:1], 0x0
	v_add_co_u32_e64 v2, s[2:3], v2, v5
	v_cmp_gt_i32_e64 s[0:1], s10, v4
	v_addc_co_u32_e64 v3, s[2:3], 0, v3, s[2:3]
	v_mad_i64_i32 v[4:5], s[2:3], s20, v4, 0
	s_waitcnt lgkmcnt(0)
	v_mov_b32_e32 v7, s15
	v_add_co_u32_e64 v2, s[2:3], s14, v2
	v_lshlrev_b64 v[4:5], 3, v[4:5]
	v_addc_co_u32_e64 v3, s[2:3], v7, v3, s[2:3]
	v_add_co_u32_e64 v4, s[2:3], v4, v6
	v_addc_co_u32_e64 v5, s[2:3], 0, v5, s[2:3]
	v_mov_b32_e32 v6, s7
	v_add_co_u32_e64 v4, s[2:3], s6, v4
	v_addc_co_u32_e64 v5, s[2:3], v6, v5, s[2:3]
	v_lshlrev_b32_e32 v12, 3, v0
	s_xor_b64 s[2:3], vcc, -1
	s_xor_b64 s[0:1], s[0:1], -1
	v_mov_b32_e32 v17, 0
	v_mov_b32_e32 v16, 0
	;; [unrolled: 1-line block ×9, first 2 shown]
	s_branch .LBB681_3
.LBB681_2:                              ;   in Loop: Header=BB681_3 Depth=1
	s_or_b64 exec, exec, s[6:7]
	s_waitcnt lgkmcnt(0)
	s_barrier
	ds_read2_b64 v[22:25], v12 offset1:16
	ds_read_b128 v[26:29], v13
	ds_read_b128 v[30:33], v13 offset:16
	v_add_co_u32_e32 v2, vcc, 64, v2
	v_addc_co_u32_e32 v3, vcc, 0, v3, vcc
	s_waitcnt lgkmcnt(1)
	v_mul_f32_e32 v34, v26, v23
	v_fmac_f32_e32 v34, v27, v22
	v_add_f32_e32 v46, v21, v34
	ds_read_b128 v[34:37], v13 offset:1024
	v_mul_f32_e32 v7, v27, v23
	v_fma_f32 v7, v26, v22, -v7
	v_add_f32_e32 v7, v20, v7
	v_mul_f32_e32 v20, v27, v25
	v_mul_f32_e32 v21, v26, v25
	v_fma_f32 v20, v26, v24, -v20
	v_fmac_f32_e32 v21, v27, v24
	v_add_f32_e32 v26, v18, v20
	v_add_f32_e32 v27, v19, v21
	ds_read_b128 v[18:21], v13 offset:1040
	s_waitcnt lgkmcnt(1)
	v_mul_f32_e32 v38, v35, v23
	v_mul_f32_e32 v23, v34, v23
	v_fma_f32 v38, v34, v22, -v38
	v_fmac_f32_e32 v23, v35, v22
	v_mul_f32_e32 v22, v35, v25
	v_fma_f32 v47, v34, v24, -v22
	v_mul_f32_e32 v34, v34, v25
	v_add_f32_e32 v14, v14, v38
	v_add_f32_e32 v15, v15, v23
	v_fmac_f32_e32 v34, v35, v24
	ds_read2_b64 v[22:25], v12 offset0:32 offset1:48
	ds_read_b128 v[38:41], v13 offset:32
	ds_read_b128 v[42:45], v13 offset:48
	v_add_f32_e32 v35, v16, v47
	v_add_f32_e32 v34, v17, v34
	s_waitcnt lgkmcnt(2)
	v_mul_f32_e32 v16, v29, v23
	v_fma_f32 v16, v28, v22, -v16
	v_mul_f32_e32 v17, v28, v23
	v_fmac_f32_e32 v17, v29, v22
	v_add_f32_e32 v7, v7, v16
	v_mul_f32_e32 v16, v29, v25
	v_add_f32_e32 v46, v46, v17
	v_fma_f32 v16, v28, v24, -v16
	v_mul_f32_e32 v17, v28, v25
	v_fmac_f32_e32 v17, v29, v24
	v_add_f32_e32 v26, v26, v16
	v_mul_f32_e32 v16, v37, v23
	v_add_f32_e32 v27, v27, v17
	;; [unrolled: 6-line block ×3, first 2 shown]
	v_fma_f32 v28, v36, v24, -v14
	ds_read2_b64 v[14:17], v12 offset0:64 offset1:80
	v_mul_f32_e32 v25, v36, v25
	v_fmac_f32_e32 v25, v37, v24
	v_add_f32_e32 v29, v34, v25
	v_add_f32_e32 v28, v35, v28
	s_waitcnt lgkmcnt(0)
	v_mul_f32_e32 v24, v31, v15
	v_fma_f32 v24, v30, v14, -v24
	v_add_f32_e32 v7, v7, v24
	v_mul_f32_e32 v24, v31, v17
	v_mul_f32_e32 v25, v30, v15
	v_fma_f32 v24, v30, v16, -v24
	v_fmac_f32_e32 v25, v31, v14
	v_add_f32_e32 v26, v26, v24
	v_mul_f32_e32 v24, v19, v15
	v_add_f32_e32 v34, v46, v25
	v_mul_f32_e32 v25, v30, v17
	v_fma_f32 v24, v18, v14, -v24
	v_mul_f32_e32 v15, v18, v15
	v_fmac_f32_e32 v25, v31, v16
	v_fmac_f32_e32 v15, v19, v14
	v_add_f32_e32 v14, v22, v24
	v_mul_f32_e32 v22, v19, v17
	v_add_f32_e32 v27, v27, v25
	v_add_f32_e32 v15, v23, v15
	v_fma_f32 v30, v18, v16, -v22
	ds_read2_b64 v[22:25], v12 offset0:96 offset1:112
	v_mul_f32_e32 v17, v18, v17
	v_fmac_f32_e32 v17, v19, v16
	v_add_f32_e32 v19, v29, v17
	v_add_f32_e32 v18, v28, v30
	s_waitcnt lgkmcnt(0)
	v_mul_f32_e32 v16, v33, v23
	v_fma_f32 v16, v32, v22, -v16
	v_mul_f32_e32 v17, v32, v23
	v_fmac_f32_e32 v17, v33, v22
	v_add_f32_e32 v7, v7, v16
	v_mul_f32_e32 v16, v33, v25
	v_add_f32_e32 v28, v34, v17
	v_fma_f32 v16, v32, v24, -v16
	v_mul_f32_e32 v17, v32, v25
	v_fmac_f32_e32 v17, v33, v24
	v_add_f32_e32 v26, v26, v16
	v_mul_f32_e32 v16, v21, v23
	v_add_f32_e32 v27, v27, v17
	;; [unrolled: 6-line block ×3, first 2 shown]
	v_fma_f32 v22, v20, v24, -v14
	ds_read2_b64 v[14:17], v12 offset0:128 offset1:144
	v_mul_f32_e32 v20, v20, v25
	v_fmac_f32_e32 v20, v21, v24
	v_add_f32_e32 v31, v18, v22
	v_add_f32_e32 v32, v19, v20
	s_waitcnt lgkmcnt(0)
	v_mul_f32_e32 v18, v39, v15
	v_fma_f32 v18, v38, v14, -v18
	v_mul_f32_e32 v19, v38, v15
	v_fmac_f32_e32 v19, v39, v14
	v_add_f32_e32 v7, v7, v18
	v_mul_f32_e32 v18, v39, v17
	v_add_f32_e32 v33, v28, v19
	v_fma_f32 v22, v38, v16, -v18
	ds_read_b128 v[18:21], v13 offset:1056
	v_mul_f32_e32 v23, v38, v17
	v_fmac_f32_e32 v23, v39, v16
	v_add_f32_e32 v34, v26, v22
	v_add_f32_e32 v35, v27, v23
	ds_read_b128 v[22:25], v13 offset:1072
	s_waitcnt lgkmcnt(1)
	v_mul_f32_e32 v26, v19, v15
	v_fma_f32 v26, v18, v14, -v26
	v_mul_f32_e32 v15, v18, v15
	v_fmac_f32_e32 v15, v19, v14
	v_add_f32_e32 v14, v29, v26
	v_mul_f32_e32 v26, v19, v17
	v_add_f32_e32 v15, v30, v15
	v_fma_f32 v30, v18, v16, -v26
	ds_read2_b64 v[26:29], v12 offset0:160 offset1:176
	v_mul_f32_e32 v17, v18, v17
	v_fmac_f32_e32 v17, v19, v16
	v_add_f32_e32 v19, v32, v17
	v_add_f32_e32 v18, v31, v30
	s_waitcnt lgkmcnt(0)
	v_mul_f32_e32 v16, v41, v27
	v_fma_f32 v16, v40, v26, -v16
	v_mul_f32_e32 v17, v40, v27
	v_fmac_f32_e32 v17, v41, v26
	v_add_f32_e32 v7, v7, v16
	v_mul_f32_e32 v16, v41, v29
	v_add_f32_e32 v30, v33, v17
	v_fma_f32 v16, v40, v28, -v16
	v_mul_f32_e32 v17, v40, v29
	v_fmac_f32_e32 v17, v41, v28
	v_add_f32_e32 v31, v34, v16
	v_mul_f32_e32 v16, v21, v27
	v_add_f32_e32 v32, v35, v17
	v_fma_f32 v16, v20, v26, -v16
	v_mul_f32_e32 v17, v20, v27
	v_fmac_f32_e32 v17, v21, v26
	v_add_f32_e32 v26, v14, v16
	v_mul_f32_e32 v14, v21, v29
	v_add_f32_e32 v27, v15, v17
	v_fma_f32 v33, v20, v28, -v14
	ds_read2_b64 v[14:17], v12 offset0:192 offset1:208
	v_mul_f32_e32 v20, v20, v29
	v_fmac_f32_e32 v20, v21, v28
	v_add_f32_e32 v19, v19, v20
	v_add_f32_e32 v18, v18, v33
	s_waitcnt lgkmcnt(0)
	v_mul_f32_e32 v20, v43, v15
	v_fma_f32 v20, v42, v14, -v20
	v_mul_f32_e32 v21, v42, v15
	v_add_f32_e32 v7, v7, v20
	v_mul_f32_e32 v20, v43, v17
	v_fmac_f32_e32 v21, v43, v14
	v_fma_f32 v20, v42, v16, -v20
	v_add_f32_e32 v21, v30, v21
	v_mul_f32_e32 v28, v42, v17
	v_add_f32_e32 v30, v31, v20
	v_mul_f32_e32 v20, v23, v15
	v_mul_f32_e32 v15, v22, v15
	v_fmac_f32_e32 v28, v43, v16
	v_fma_f32 v20, v22, v14, -v20
	v_fmac_f32_e32 v15, v23, v14
	v_add_f32_e32 v31, v32, v28
	v_add_f32_e32 v14, v26, v20
	v_add_f32_e32 v15, v27, v15
	ds_read2_b64 v[26:29], v12 offset0:224 offset1:240
	v_mul_f32_e32 v20, v23, v17
	v_fma_f32 v20, v22, v16, -v20
	v_mul_f32_e32 v17, v22, v17
	v_fmac_f32_e32 v17, v23, v16
	v_add_f32_e32 v16, v18, v20
	s_waitcnt lgkmcnt(0)
	v_mul_f32_e32 v18, v45, v27
	v_fma_f32 v18, v44, v26, -v18
	v_add_f32_e32 v20, v7, v18
	v_mul_f32_e32 v7, v45, v29
	v_fma_f32 v7, v44, v28, -v7
	v_add_f32_e32 v17, v19, v17
	v_mul_f32_e32 v19, v44, v27
	v_add_f32_e32 v18, v30, v7
	v_mul_f32_e32 v7, v25, v27
	v_mul_f32_e32 v22, v24, v27
	v_fmac_f32_e32 v19, v45, v26
	v_fma_f32 v7, v24, v26, -v7
	v_fmac_f32_e32 v22, v25, v26
	v_add_f32_e32 v21, v21, v19
	v_mul_f32_e32 v19, v44, v29
	v_add_f32_e32 v14, v14, v7
	v_add_f32_e32 v15, v15, v22
	v_mul_f32_e32 v7, v25, v29
	v_mul_f32_e32 v22, v24, v29
	v_fmac_f32_e32 v19, v45, v28
	v_fma_f32 v7, v24, v28, -v7
	v_fmac_f32_e32 v22, v25, v28
	s_add_i32 s9, s9, 8
	v_add_co_u32_e32 v4, vcc, 64, v4
	v_add_f32_e32 v19, v31, v19
	v_add_f32_e32 v16, v16, v7
	;; [unrolled: 1-line block ×3, first 2 shown]
	s_cmp_ge_i32 s9, s11
	v_addc_co_u32_e32 v5, vcc, 0, v5, vcc
	s_barrier
	s_cbranch_scc1 .LBB681_12
.LBB681_3:                              ; =>This Inner Loop Header: Depth=1
	v_add_u32_e32 v7, s9, v9
	v_cmp_le_i32_e32 vcc, s11, v7
	s_or_b64 s[6:7], s[2:3], vcc
	s_and_saveexec_b64 s[14:15], s[6:7]
	s_xor_b64 s[6:7], exec, s[14:15]
; %bb.4:                                ;   in Loop: Header=BB681_3 Depth=1
	v_mov_b32_e32 v7, v6
	ds_write_b64 v10, v[6:7]
; %bb.5:                                ;   in Loop: Header=BB681_3 Depth=1
	s_andn2_saveexec_b64 s[6:7], s[6:7]
	s_cbranch_execz .LBB681_7
; %bb.6:                                ;   in Loop: Header=BB681_3 Depth=1
	flat_load_dwordx2 v[22:23], v[2:3]
	s_waitcnt vmcnt(0) lgkmcnt(0)
	ds_write_b64 v10, v[22:23]
.LBB681_7:                              ;   in Loop: Header=BB681_3 Depth=1
	s_or_b64 exec, exec, s[6:7]
	v_add_u32_e32 v7, s9, v8
	v_cmp_le_i32_e32 vcc, s11, v7
	s_or_b64 s[6:7], vcc, s[0:1]
	s_and_saveexec_b64 s[14:15], s[6:7]
	s_xor_b64 s[6:7], exec, s[14:15]
; %bb.8:                                ;   in Loop: Header=BB681_3 Depth=1
	v_mov_b32_e32 v7, v6
	ds_write_b64 v11, v[6:7]
; %bb.9:                                ;   in Loop: Header=BB681_3 Depth=1
	s_andn2_saveexec_b64 s[6:7], s[6:7]
	s_cbranch_execz .LBB681_2
; %bb.10:                               ;   in Loop: Header=BB681_3 Depth=1
	flat_load_dwordx2 v[22:23], v[4:5]
	s_waitcnt vmcnt(0) lgkmcnt(0)
	ds_write_b64 v11, v[22:23]
	s_branch .LBB681_2
.LBB681_11:
	v_mov_b32_e32 v20, 0
	v_mov_b32_e32 v21, 0
	;; [unrolled: 1-line block ×8, first 2 shown]
.LBB681_12:
	s_load_dword s4, s[4:5], 0x50
	v_add_u32_e32 v4, s18, v1
	s_waitcnt lgkmcnt(0)
	v_mov_b32_e32 v3, s17
	v_add_u32_e32 v0, s8, v0
	v_cmp_gt_i32_e32 vcc, s10, v4
	v_mad_i64_i32 v[1:2], s[0:1], v4, s4, 0
	v_lshlrev_b64 v[1:2], 3, v[1:2]
	v_add_co_u32_e64 v5, s[0:1], s16, v1
	v_addc_co_u32_e64 v6, s[0:1], v3, v2, s[0:1]
	v_cmp_le_i32_e64 s[0:1], v0, v4
	s_and_b64 s[0:1], vcc, s[0:1]
	s_and_saveexec_b64 s[2:3], s[0:1]
	s_cbranch_execz .LBB681_14
; %bb.13:
	v_mul_f32_e32 v1, s13, v21
	v_fma_f32 v2, v20, s12, -v1
	v_ashrrev_i32_e32 v1, 31, v0
	v_lshlrev_b64 v[7:8], 3, v[0:1]
	v_mul_f32_e32 v3, s12, v21
	v_add_co_u32_e64 v7, s[0:1], v5, v7
	v_fmac_f32_e32 v3, s13, v20
	v_addc_co_u32_e64 v8, s[0:1], v6, v8, s[0:1]
	flat_store_dwordx2 v[7:8], v[2:3]
.LBB681_14:
	s_or_b64 exec, exec, s[2:3]
	v_add_u32_e32 v2, 16, v0
	v_cmp_le_i32_e64 s[0:1], v2, v4
	s_and_b64 s[2:3], vcc, s[0:1]
	s_and_saveexec_b64 s[0:1], s[2:3]
	s_cbranch_execz .LBB681_16
; %bb.15:
	v_ashrrev_i32_e32 v3, 31, v2
	v_lshlrev_b64 v[9:10], 3, v[2:3]
	v_mul_f32_e32 v1, s13, v19
	v_mul_f32_e32 v8, s12, v19
	v_add_co_u32_e32 v5, vcc, v5, v9
	v_fma_f32 v7, v18, s12, -v1
	v_fmac_f32_e32 v8, s13, v18
	v_addc_co_u32_e32 v6, vcc, v6, v10, vcc
	flat_store_dwordx2 v[5:6], v[7:8]
.LBB681_16:
	s_or_b64 exec, exec, s[0:1]
	v_add_u32_e32 v3, 16, v4
	v_mad_i64_i32 v[4:5], s[0:1], v3, s4, 0
	v_mov_b32_e32 v1, s17
	v_cmp_gt_i32_e32 vcc, s10, v3
	v_lshlrev_b64 v[4:5], 3, v[4:5]
	v_add_co_u32_e64 v4, s[0:1], s16, v4
	v_addc_co_u32_e64 v5, s[0:1], v1, v5, s[0:1]
	v_cmp_le_i32_e64 s[0:1], v0, v3
	s_and_b64 s[0:1], vcc, s[0:1]
	s_and_saveexec_b64 s[2:3], s[0:1]
	s_cbranch_execz .LBB681_18
; %bb.17:
	v_mul_f32_e32 v1, s13, v15
	v_fma_f32 v6, v14, s12, -v1
	v_ashrrev_i32_e32 v1, 31, v0
	v_lshlrev_b64 v[0:1], 3, v[0:1]
	v_mul_f32_e32 v7, s12, v15
	v_add_co_u32_e64 v0, s[0:1], v4, v0
	v_fmac_f32_e32 v7, s13, v14
	v_addc_co_u32_e64 v1, s[0:1], v5, v1, s[0:1]
	flat_store_dwordx2 v[0:1], v[6:7]
.LBB681_18:
	s_or_b64 exec, exec, s[2:3]
	v_cmp_le_i32_e64 s[0:1], v2, v3
	s_and_b64 s[0:1], vcc, s[0:1]
	s_and_saveexec_b64 s[2:3], s[0:1]
	s_cbranch_execz .LBB681_20
; %bb.19:
	v_ashrrev_i32_e32 v3, 31, v2
	v_lshlrev_b64 v[2:3], 3, v[2:3]
	v_mul_f32_e32 v0, s13, v17
	v_mul_f32_e32 v1, s12, v17
	v_add_co_u32_e32 v2, vcc, v4, v2
	v_fma_f32 v0, v16, s12, -v0
	v_fmac_f32_e32 v1, s13, v16
	v_addc_co_u32_e32 v3, vcc, v5, v3, vcc
	flat_store_dwordx2 v[2:3], v[0:1]
.LBB681_20:
	s_endpgm
	.section	.rodata,"a",@progbits
	.p2align	6, 0x0
	.amdhsa_kernel _ZL34rocblas_syrkx_herkx_general_kernelIi19rocblas_complex_numIfELi16ELi32ELi8ELb1ELb0ELc84ELc85EKPKS1_KPS1_EviT_T0_PT8_S7_lSA_S7_lS8_PT9_S7_li
		.amdhsa_group_segment_fixed_size 4096
		.amdhsa_private_segment_fixed_size 0
		.amdhsa_kernarg_size 100
		.amdhsa_user_sgpr_count 6
		.amdhsa_user_sgpr_private_segment_buffer 1
		.amdhsa_user_sgpr_dispatch_ptr 0
		.amdhsa_user_sgpr_queue_ptr 0
		.amdhsa_user_sgpr_kernarg_segment_ptr 1
		.amdhsa_user_sgpr_dispatch_id 0
		.amdhsa_user_sgpr_flat_scratch_init 0
		.amdhsa_user_sgpr_private_segment_size 0
		.amdhsa_uses_dynamic_stack 0
		.amdhsa_system_sgpr_private_segment_wavefront_offset 0
		.amdhsa_system_sgpr_workgroup_id_x 1
		.amdhsa_system_sgpr_workgroup_id_y 1
		.amdhsa_system_sgpr_workgroup_id_z 1
		.amdhsa_system_sgpr_workgroup_info 0
		.amdhsa_system_vgpr_workitem_id 1
		.amdhsa_next_free_vgpr 48
		.amdhsa_next_free_sgpr 21
		.amdhsa_reserve_vcc 1
		.amdhsa_reserve_flat_scratch 0
		.amdhsa_float_round_mode_32 0
		.amdhsa_float_round_mode_16_64 0
		.amdhsa_float_denorm_mode_32 3
		.amdhsa_float_denorm_mode_16_64 3
		.amdhsa_dx10_clamp 1
		.amdhsa_ieee_mode 1
		.amdhsa_fp16_overflow 0
		.amdhsa_exception_fp_ieee_invalid_op 0
		.amdhsa_exception_fp_denorm_src 0
		.amdhsa_exception_fp_ieee_div_zero 0
		.amdhsa_exception_fp_ieee_overflow 0
		.amdhsa_exception_fp_ieee_underflow 0
		.amdhsa_exception_fp_ieee_inexact 0
		.amdhsa_exception_int_div_zero 0
	.end_amdhsa_kernel
	.section	.text._ZL34rocblas_syrkx_herkx_general_kernelIi19rocblas_complex_numIfELi16ELi32ELi8ELb1ELb0ELc84ELc85EKPKS1_KPS1_EviT_T0_PT8_S7_lSA_S7_lS8_PT9_S7_li,"axG",@progbits,_ZL34rocblas_syrkx_herkx_general_kernelIi19rocblas_complex_numIfELi16ELi32ELi8ELb1ELb0ELc84ELc85EKPKS1_KPS1_EviT_T0_PT8_S7_lSA_S7_lS8_PT9_S7_li,comdat
.Lfunc_end681:
	.size	_ZL34rocblas_syrkx_herkx_general_kernelIi19rocblas_complex_numIfELi16ELi32ELi8ELb1ELb0ELc84ELc85EKPKS1_KPS1_EviT_T0_PT8_S7_lSA_S7_lS8_PT9_S7_li, .Lfunc_end681-_ZL34rocblas_syrkx_herkx_general_kernelIi19rocblas_complex_numIfELi16ELi32ELi8ELb1ELb0ELc84ELc85EKPKS1_KPS1_EviT_T0_PT8_S7_lSA_S7_lS8_PT9_S7_li
                                        ; -- End function
	.set _ZL34rocblas_syrkx_herkx_general_kernelIi19rocblas_complex_numIfELi16ELi32ELi8ELb1ELb0ELc84ELc85EKPKS1_KPS1_EviT_T0_PT8_S7_lSA_S7_lS8_PT9_S7_li.num_vgpr, 48
	.set _ZL34rocblas_syrkx_herkx_general_kernelIi19rocblas_complex_numIfELi16ELi32ELi8ELb1ELb0ELc84ELc85EKPKS1_KPS1_EviT_T0_PT8_S7_lSA_S7_lS8_PT9_S7_li.num_agpr, 0
	.set _ZL34rocblas_syrkx_herkx_general_kernelIi19rocblas_complex_numIfELi16ELi32ELi8ELb1ELb0ELc84ELc85EKPKS1_KPS1_EviT_T0_PT8_S7_lSA_S7_lS8_PT9_S7_li.numbered_sgpr, 21
	.set _ZL34rocblas_syrkx_herkx_general_kernelIi19rocblas_complex_numIfELi16ELi32ELi8ELb1ELb0ELc84ELc85EKPKS1_KPS1_EviT_T0_PT8_S7_lSA_S7_lS8_PT9_S7_li.num_named_barrier, 0
	.set _ZL34rocblas_syrkx_herkx_general_kernelIi19rocblas_complex_numIfELi16ELi32ELi8ELb1ELb0ELc84ELc85EKPKS1_KPS1_EviT_T0_PT8_S7_lSA_S7_lS8_PT9_S7_li.private_seg_size, 0
	.set _ZL34rocblas_syrkx_herkx_general_kernelIi19rocblas_complex_numIfELi16ELi32ELi8ELb1ELb0ELc84ELc85EKPKS1_KPS1_EviT_T0_PT8_S7_lSA_S7_lS8_PT9_S7_li.uses_vcc, 1
	.set _ZL34rocblas_syrkx_herkx_general_kernelIi19rocblas_complex_numIfELi16ELi32ELi8ELb1ELb0ELc84ELc85EKPKS1_KPS1_EviT_T0_PT8_S7_lSA_S7_lS8_PT9_S7_li.uses_flat_scratch, 0
	.set _ZL34rocblas_syrkx_herkx_general_kernelIi19rocblas_complex_numIfELi16ELi32ELi8ELb1ELb0ELc84ELc85EKPKS1_KPS1_EviT_T0_PT8_S7_lSA_S7_lS8_PT9_S7_li.has_dyn_sized_stack, 0
	.set _ZL34rocblas_syrkx_herkx_general_kernelIi19rocblas_complex_numIfELi16ELi32ELi8ELb1ELb0ELc84ELc85EKPKS1_KPS1_EviT_T0_PT8_S7_lSA_S7_lS8_PT9_S7_li.has_recursion, 0
	.set _ZL34rocblas_syrkx_herkx_general_kernelIi19rocblas_complex_numIfELi16ELi32ELi8ELb1ELb0ELc84ELc85EKPKS1_KPS1_EviT_T0_PT8_S7_lSA_S7_lS8_PT9_S7_li.has_indirect_call, 0
	.section	.AMDGPU.csdata,"",@progbits
; Kernel info:
; codeLenInByte = 2068
; TotalNumSgprs: 25
; NumVgprs: 48
; ScratchSize: 0
; MemoryBound: 1
; FloatMode: 240
; IeeeMode: 1
; LDSByteSize: 4096 bytes/workgroup (compile time only)
; SGPRBlocks: 3
; VGPRBlocks: 11
; NumSGPRsForWavesPerEU: 25
; NumVGPRsForWavesPerEU: 48
; Occupancy: 5
; WaveLimiterHint : 1
; COMPUTE_PGM_RSRC2:SCRATCH_EN: 0
; COMPUTE_PGM_RSRC2:USER_SGPR: 6
; COMPUTE_PGM_RSRC2:TRAP_HANDLER: 0
; COMPUTE_PGM_RSRC2:TGID_X_EN: 1
; COMPUTE_PGM_RSRC2:TGID_Y_EN: 1
; COMPUTE_PGM_RSRC2:TGID_Z_EN: 1
; COMPUTE_PGM_RSRC2:TIDIG_COMP_CNT: 1
	.section	.text._ZL34rocblas_syrkx_herkx_general_kernelIi19rocblas_complex_numIfELi16ELi32ELi8ELb1ELb0ELc67ELc85EKPKS1_KPS1_EviT_T0_PT8_S7_lSA_S7_lS8_PT9_S7_li,"axG",@progbits,_ZL34rocblas_syrkx_herkx_general_kernelIi19rocblas_complex_numIfELi16ELi32ELi8ELb1ELb0ELc67ELc85EKPKS1_KPS1_EviT_T0_PT8_S7_lSA_S7_lS8_PT9_S7_li,comdat
	.globl	_ZL34rocblas_syrkx_herkx_general_kernelIi19rocblas_complex_numIfELi16ELi32ELi8ELb1ELb0ELc67ELc85EKPKS1_KPS1_EviT_T0_PT8_S7_lSA_S7_lS8_PT9_S7_li ; -- Begin function _ZL34rocblas_syrkx_herkx_general_kernelIi19rocblas_complex_numIfELi16ELi32ELi8ELb1ELb0ELc67ELc85EKPKS1_KPS1_EviT_T0_PT8_S7_lSA_S7_lS8_PT9_S7_li
	.p2align	8
	.type	_ZL34rocblas_syrkx_herkx_general_kernelIi19rocblas_complex_numIfELi16ELi32ELi8ELb1ELb0ELc67ELc85EKPKS1_KPS1_EviT_T0_PT8_S7_lSA_S7_lS8_PT9_S7_li,@function
_ZL34rocblas_syrkx_herkx_general_kernelIi19rocblas_complex_numIfELi16ELi32ELi8ELb1ELb0ELc67ELc85EKPKS1_KPS1_EviT_T0_PT8_S7_lSA_S7_lS8_PT9_S7_li: ; @_ZL34rocblas_syrkx_herkx_general_kernelIi19rocblas_complex_numIfELi16ELi32ELi8ELb1ELb0ELc67ELc85EKPKS1_KPS1_EviT_T0_PT8_S7_lSA_S7_lS8_PT9_S7_li
; %bb.0:
	s_load_dwordx2 s[2:3], s[4:5], 0x48
	s_load_dwordx2 s[10:11], s[4:5], 0x0
	s_load_dwordx4 s[12:15], s[4:5], 0x8
	s_mov_b32 s9, 0
	s_lshl_b64 s[0:1], s[8:9], 3
	s_waitcnt lgkmcnt(0)
	s_add_u32 s2, s2, s0
	s_addc_u32 s3, s3, s1
	s_load_dwordx2 s[16:17], s[2:3], 0x0
	s_lshl_b32 s6, s6, 5
	s_lshl_b32 s7, s7, 5
	s_cmp_lt_i32 s11, 1
	s_cbranch_scc1 .LBB682_9
; %bb.1:
	s_load_dword s8, s[4:5], 0x18
	s_load_dwordx2 s[2:3], s[4:5], 0x28
	s_load_dword s20, s[4:5], 0x30
	v_lshl_add_u32 v2, v1, 4, v0
	v_and_b32_e32 v9, 7, v0
	v_lshrrev_b32_e32 v10, 5, v2
	v_lshrrev_b32_e32 v3, 3, v2
	v_and_b32_e32 v2, 31, v2
	v_or_b32_e32 v5, s6, v2
	s_waitcnt lgkmcnt(0)
	s_add_u32 s2, s2, s0
	v_lshlrev_b32_e32 v6, 3, v9
	v_add_u32_e32 v4, s7, v3
	s_addc_u32 s3, s3, s1
	v_cmp_gt_i32_e32 vcc, s10, v5
	v_lshlrev_b32_e32 v5, 3, v2
	v_lshl_or_b32 v3, v3, 6, v6
	v_add_u32_e32 v2, s6, v2
	s_load_dwordx2 s[18:19], s[2:3], 0x0
	v_add_u32_e32 v12, 0x800, v3
	v_mad_i64_i32 v[2:3], s[2:3], s8, v2, 0
	s_add_u32 s0, s14, s0
	v_lshl_or_b32 v11, v10, 8, v5
	v_mov_b32_e32 v5, 0x800
	v_lshlrev_b64 v[2:3], 3, v[2:3]
	s_addc_u32 s1, s15, s1
	v_lshl_add_u32 v14, v1, 6, v5
	v_lshlrev_b32_e32 v5, 3, v10
	s_load_dwordx2 s[14:15], s[0:1], 0x0
	v_add_co_u32_e64 v2, s[2:3], v2, v5
	v_cmp_gt_i32_e64 s[0:1], s10, v4
	v_addc_co_u32_e64 v3, s[2:3], 0, v3, s[2:3]
	v_mad_i64_i32 v[4:5], s[2:3], s20, v4, 0
	s_waitcnt lgkmcnt(0)
	v_mov_b32_e32 v7, s15
	v_add_co_u32_e64 v2, s[2:3], s14, v2
	v_lshlrev_b64 v[4:5], 3, v[4:5]
	v_addc_co_u32_e64 v3, s[2:3], v7, v3, s[2:3]
	v_add_co_u32_e64 v4, s[2:3], v4, v6
	v_addc_co_u32_e64 v5, s[2:3], 0, v5, s[2:3]
	v_mov_b32_e32 v6, s19
	v_add_co_u32_e64 v4, s[2:3], s18, v4
	v_addc_co_u32_e64 v5, s[2:3], v6, v5, s[2:3]
	v_lshlrev_b32_e32 v13, 3, v0
	s_xor_b64 s[2:3], s[0:1], -1
	v_mov_b32_e32 v18, 0
	v_mov_b32_e32 v17, 0
	;; [unrolled: 1-line block ×9, first 2 shown]
	s_branch .LBB682_3
.LBB682_2:                              ;   in Loop: Header=BB682_3 Depth=1
	s_or_b64 exec, exec, s[0:1]
	s_waitcnt lgkmcnt(0)
	s_barrier
	ds_read2_b64 v[23:26], v13 offset1:16
	ds_read_b128 v[27:30], v14
	ds_read_b128 v[31:34], v14 offset:16
	ds_read_b128 v[35:38], v14 offset:1024
	v_add_co_u32_e64 v2, s[0:1], 64, v2
	s_waitcnt lgkmcnt(2)
	v_mul_f32_e32 v7, v28, v24
	v_mul_f32_e32 v8, v27, v24
	v_fma_f32 v7, v27, v23, -v7
	v_fmac_f32_e32 v8, v28, v23
	v_add_f32_e32 v7, v21, v7
	v_add_f32_e32 v8, v22, v8
	v_mul_f32_e32 v21, v28, v26
	v_mul_f32_e32 v22, v27, v26
	v_fma_f32 v21, v27, v25, -v21
	v_fmac_f32_e32 v22, v28, v25
	v_add_f32_e32 v27, v19, v21
	v_add_f32_e32 v28, v20, v22
	ds_read_b128 v[19:22], v14 offset:1040
	s_waitcnt lgkmcnt(1)
	v_mul_f32_e32 v39, v36, v24
	v_mul_f32_e32 v24, v35, v24
	v_fma_f32 v39, v35, v23, -v39
	v_fmac_f32_e32 v24, v36, v23
	v_mul_f32_e32 v23, v36, v26
	v_fma_f32 v47, v35, v25, -v23
	v_mul_f32_e32 v35, v35, v26
	v_add_f32_e32 v15, v15, v39
	v_add_f32_e32 v16, v16, v24
	v_fmac_f32_e32 v35, v36, v25
	ds_read2_b64 v[23:26], v13 offset0:32 offset1:48
	ds_read_b128 v[39:42], v14 offset:32
	ds_read_b128 v[43:46], v14 offset:48
	v_add_f32_e32 v36, v17, v47
	v_add_f32_e32 v35, v18, v35
	s_waitcnt lgkmcnt(2)
	v_mul_f32_e32 v17, v30, v24
	v_fma_f32 v17, v29, v23, -v17
	v_mul_f32_e32 v18, v29, v24
	v_fmac_f32_e32 v18, v30, v23
	v_add_f32_e32 v7, v7, v17
	v_mul_f32_e32 v17, v30, v26
	v_add_f32_e32 v8, v8, v18
	v_fma_f32 v17, v29, v25, -v17
	v_mul_f32_e32 v18, v29, v26
	v_fmac_f32_e32 v18, v30, v25
	v_add_f32_e32 v27, v27, v17
	v_mul_f32_e32 v17, v38, v24
	v_add_f32_e32 v28, v28, v18
	;; [unrolled: 6-line block ×3, first 2 shown]
	v_fma_f32 v29, v37, v25, -v15
	ds_read2_b64 v[15:18], v13 offset0:64 offset1:80
	v_mul_f32_e32 v26, v37, v26
	v_fmac_f32_e32 v26, v38, v25
	v_add_f32_e32 v30, v35, v26
	v_add_f32_e32 v29, v36, v29
	s_waitcnt lgkmcnt(0)
	v_mul_f32_e32 v25, v32, v16
	v_fma_f32 v25, v31, v15, -v25
	v_add_f32_e32 v7, v7, v25
	v_mul_f32_e32 v25, v32, v18
	v_mul_f32_e32 v26, v31, v16
	v_fma_f32 v25, v31, v17, -v25
	v_fmac_f32_e32 v26, v32, v15
	v_add_f32_e32 v27, v27, v25
	v_mul_f32_e32 v25, v20, v16
	v_add_f32_e32 v8, v8, v26
	v_mul_f32_e32 v26, v31, v18
	v_fma_f32 v25, v19, v15, -v25
	v_mul_f32_e32 v16, v19, v16
	v_fmac_f32_e32 v26, v32, v17
	v_fmac_f32_e32 v16, v20, v15
	v_add_f32_e32 v15, v23, v25
	v_mul_f32_e32 v23, v20, v18
	v_add_f32_e32 v28, v28, v26
	v_add_f32_e32 v16, v24, v16
	v_fma_f32 v31, v19, v17, -v23
	ds_read2_b64 v[23:26], v13 offset0:96 offset1:112
	v_mul_f32_e32 v18, v19, v18
	v_fmac_f32_e32 v18, v20, v17
	v_add_f32_e32 v20, v30, v18
	v_add_f32_e32 v19, v29, v31
	s_waitcnt lgkmcnt(0)
	v_mul_f32_e32 v17, v34, v24
	v_fma_f32 v17, v33, v23, -v17
	v_mul_f32_e32 v18, v33, v24
	v_fmac_f32_e32 v18, v34, v23
	v_add_f32_e32 v7, v7, v17
	v_mul_f32_e32 v17, v34, v26
	v_add_f32_e32 v8, v8, v18
	v_fma_f32 v17, v33, v25, -v17
	v_mul_f32_e32 v18, v33, v26
	v_fmac_f32_e32 v18, v34, v25
	v_add_f32_e32 v27, v27, v17
	v_mul_f32_e32 v17, v22, v24
	v_add_f32_e32 v28, v28, v18
	;; [unrolled: 6-line block ×3, first 2 shown]
	v_fma_f32 v23, v21, v25, -v15
	ds_read2_b64 v[15:18], v13 offset0:128 offset1:144
	v_mul_f32_e32 v21, v21, v26
	v_fmac_f32_e32 v21, v22, v25
	v_add_f32_e32 v31, v19, v23
	v_add_f32_e32 v32, v20, v21
	s_waitcnt lgkmcnt(0)
	v_mul_f32_e32 v19, v40, v16
	v_fma_f32 v19, v39, v15, -v19
	v_mul_f32_e32 v20, v39, v16
	v_fmac_f32_e32 v20, v40, v15
	v_add_f32_e32 v7, v7, v19
	v_mul_f32_e32 v19, v40, v18
	v_add_f32_e32 v8, v8, v20
	v_fma_f32 v23, v39, v17, -v19
	ds_read_b128 v[19:22], v14 offset:1056
	v_mul_f32_e32 v24, v39, v18
	v_fmac_f32_e32 v24, v40, v17
	v_add_f32_e32 v33, v27, v23
	v_add_f32_e32 v34, v28, v24
	ds_read_b128 v[23:26], v14 offset:1072
	s_waitcnt lgkmcnt(1)
	v_mul_f32_e32 v27, v20, v16
	v_fma_f32 v27, v19, v15, -v27
	v_mul_f32_e32 v16, v19, v16
	v_fmac_f32_e32 v16, v20, v15
	v_add_f32_e32 v15, v29, v27
	v_mul_f32_e32 v27, v20, v18
	v_add_f32_e32 v16, v30, v16
	v_fma_f32 v35, v19, v17, -v27
	ds_read2_b64 v[27:30], v13 offset0:160 offset1:176
	v_mul_f32_e32 v18, v19, v18
	v_fmac_f32_e32 v18, v20, v17
	v_add_f32_e32 v20, v32, v18
	v_add_f32_e32 v19, v31, v35
	s_waitcnt lgkmcnt(0)
	v_mul_f32_e32 v17, v42, v28
	v_fma_f32 v17, v41, v27, -v17
	v_mul_f32_e32 v18, v41, v28
	v_fmac_f32_e32 v18, v42, v27
	v_add_f32_e32 v7, v7, v17
	v_mul_f32_e32 v17, v42, v30
	v_add_f32_e32 v8, v8, v18
	v_fma_f32 v17, v41, v29, -v17
	v_mul_f32_e32 v18, v41, v30
	v_fmac_f32_e32 v18, v42, v29
	v_add_f32_e32 v31, v33, v17
	v_mul_f32_e32 v17, v22, v28
	v_add_f32_e32 v32, v34, v18
	;; [unrolled: 6-line block ×3, first 2 shown]
	v_fma_f32 v33, v21, v29, -v15
	ds_read2_b64 v[15:18], v13 offset0:192 offset1:208
	v_mul_f32_e32 v21, v21, v30
	v_fmac_f32_e32 v21, v22, v29
	v_add_f32_e32 v20, v20, v21
	v_add_f32_e32 v19, v19, v33
	s_waitcnt lgkmcnt(0)
	v_mul_f32_e32 v21, v44, v16
	v_fma_f32 v21, v43, v15, -v21
	v_add_f32_e32 v7, v7, v21
	v_mul_f32_e32 v21, v44, v18
	v_fma_f32 v21, v43, v17, -v21
	v_mul_f32_e32 v22, v43, v16
	v_add_f32_e32 v31, v31, v21
	v_mul_f32_e32 v21, v24, v16
	v_mul_f32_e32 v16, v23, v16
	v_fma_f32 v21, v23, v15, -v21
	v_fmac_f32_e32 v16, v24, v15
	v_fmac_f32_e32 v22, v44, v15
	v_add_f32_e32 v15, v27, v21
	v_add_f32_e32 v16, v28, v16
	ds_read2_b64 v[27:30], v13 offset0:224 offset1:240
	v_add_f32_e32 v8, v8, v22
	v_mul_f32_e32 v22, v43, v18
	v_mul_f32_e32 v21, v24, v18
	;; [unrolled: 1-line block ×3, first 2 shown]
	v_fma_f32 v21, v23, v17, -v21
	v_fmac_f32_e32 v18, v24, v17
	v_fmac_f32_e32 v22, v44, v17
	v_add_f32_e32 v17, v19, v21
	v_add_f32_e32 v18, v20, v18
	s_waitcnt lgkmcnt(0)
	v_mul_f32_e32 v19, v46, v28
	v_mul_f32_e32 v20, v45, v28
	v_fma_f32 v19, v45, v27, -v19
	v_fmac_f32_e32 v20, v46, v27
	v_add_f32_e32 v32, v32, v22
	v_add_f32_e32 v21, v7, v19
	;; [unrolled: 1-line block ×3, first 2 shown]
	v_mul_f32_e32 v7, v46, v30
	v_mul_f32_e32 v8, v45, v30
	v_fma_f32 v7, v45, v29, -v7
	v_fmac_f32_e32 v8, v46, v29
	v_add_f32_e32 v19, v31, v7
	v_add_f32_e32 v20, v32, v8
	v_mul_f32_e32 v7, v26, v28
	v_mul_f32_e32 v8, v25, v28
	v_fma_f32 v7, v25, v27, -v7
	v_fmac_f32_e32 v8, v26, v27
	v_add_f32_e32 v15, v15, v7
	v_add_f32_e32 v16, v16, v8
	v_mul_f32_e32 v7, v26, v30
	v_mul_f32_e32 v8, v25, v30
	v_addc_co_u32_e64 v3, s[0:1], 0, v3, s[0:1]
	v_fma_f32 v7, v25, v29, -v7
	v_fmac_f32_e32 v8, v26, v29
	s_add_i32 s9, s9, 8
	v_add_co_u32_e64 v4, s[0:1], 64, v4
	v_add_f32_e32 v17, v17, v7
	v_add_f32_e32 v18, v18, v8
	s_cmp_ge_i32 s9, s11
	v_addc_co_u32_e64 v5, s[0:1], 0, v5, s[0:1]
	s_barrier
	s_cbranch_scc1 .LBB682_10
.LBB682_3:                              ; =>This Inner Loop Header: Depth=1
	v_add_u32_e32 v7, s9, v10
	v_cmp_gt_i32_e64 s[0:1], s11, v7
	s_and_b64 s[14:15], vcc, s[0:1]
	v_mov_b32_e32 v7, 0
	v_mov_b32_e32 v8, 0
	s_and_saveexec_b64 s[0:1], s[14:15]
	s_cbranch_execz .LBB682_5
; %bb.4:                                ;   in Loop: Header=BB682_3 Depth=1
	flat_load_dwordx2 v[7:8], v[2:3]
.LBB682_5:                              ;   in Loop: Header=BB682_3 Depth=1
	s_or_b64 exec, exec, s[0:1]
	s_waitcnt vmcnt(0) lgkmcnt(0)
	ds_write_b64 v11, v[7:8]
	v_add_u32_e32 v7, s9, v9
	v_cmp_le_i32_e64 s[0:1], s11, v7
	s_or_b64 s[0:1], s[0:1], s[2:3]
	s_and_saveexec_b64 s[14:15], s[0:1]
	s_xor_b64 s[0:1], exec, s[14:15]
; %bb.6:                                ;   in Loop: Header=BB682_3 Depth=1
	v_mov_b32_e32 v7, v6
	ds_write_b64 v12, v[6:7]
; %bb.7:                                ;   in Loop: Header=BB682_3 Depth=1
	s_andn2_saveexec_b64 s[0:1], s[0:1]
	s_cbranch_execz .LBB682_2
; %bb.8:                                ;   in Loop: Header=BB682_3 Depth=1
	flat_load_dwordx2 v[7:8], v[4:5]
	s_waitcnt vmcnt(0) lgkmcnt(0)
	ds_write_b64 v12, v[7:8]
	s_branch .LBB682_2
.LBB682_9:
	v_mov_b32_e32 v21, 0
	v_mov_b32_e32 v22, 0
	;; [unrolled: 1-line block ×8, first 2 shown]
.LBB682_10:
	s_load_dword s4, s[4:5], 0x50
	v_add_u32_e32 v4, s7, v1
	s_waitcnt lgkmcnt(0)
	v_mov_b32_e32 v3, s17
	v_add_u32_e32 v0, s6, v0
	v_cmp_gt_i32_e32 vcc, s10, v4
	v_mad_i64_i32 v[1:2], s[0:1], v4, s4, 0
	v_lshlrev_b64 v[1:2], 3, v[1:2]
	v_add_co_u32_e64 v5, s[0:1], s16, v1
	v_addc_co_u32_e64 v6, s[0:1], v3, v2, s[0:1]
	v_cmp_le_i32_e64 s[0:1], v0, v4
	s_and_b64 s[0:1], vcc, s[0:1]
	s_and_saveexec_b64 s[2:3], s[0:1]
	s_cbranch_execz .LBB682_12
; %bb.11:
	v_mul_f32_e32 v1, s13, v22
	v_fma_f32 v2, v21, s12, -v1
	v_ashrrev_i32_e32 v1, 31, v0
	v_lshlrev_b64 v[7:8], 3, v[0:1]
	v_mul_f32_e32 v3, s12, v22
	v_add_co_u32_e64 v7, s[0:1], v5, v7
	v_fmac_f32_e32 v3, s13, v21
	v_addc_co_u32_e64 v8, s[0:1], v6, v8, s[0:1]
	flat_store_dwordx2 v[7:8], v[2:3]
.LBB682_12:
	s_or_b64 exec, exec, s[2:3]
	v_add_u32_e32 v2, 16, v0
	v_cmp_le_i32_e64 s[0:1], v2, v4
	s_and_b64 s[2:3], vcc, s[0:1]
	s_and_saveexec_b64 s[0:1], s[2:3]
	s_cbranch_execz .LBB682_14
; %bb.13:
	v_ashrrev_i32_e32 v3, 31, v2
	v_lshlrev_b64 v[9:10], 3, v[2:3]
	v_mul_f32_e32 v1, s13, v20
	v_mul_f32_e32 v8, s12, v20
	v_add_co_u32_e32 v5, vcc, v5, v9
	v_fma_f32 v7, v19, s12, -v1
	v_fmac_f32_e32 v8, s13, v19
	v_addc_co_u32_e32 v6, vcc, v6, v10, vcc
	flat_store_dwordx2 v[5:6], v[7:8]
.LBB682_14:
	s_or_b64 exec, exec, s[0:1]
	v_add_u32_e32 v3, 16, v4
	v_mad_i64_i32 v[4:5], s[0:1], v3, s4, 0
	v_mov_b32_e32 v1, s17
	v_cmp_gt_i32_e32 vcc, s10, v3
	v_lshlrev_b64 v[4:5], 3, v[4:5]
	v_add_co_u32_e64 v4, s[0:1], s16, v4
	v_addc_co_u32_e64 v5, s[0:1], v1, v5, s[0:1]
	v_cmp_le_i32_e64 s[0:1], v0, v3
	s_and_b64 s[0:1], vcc, s[0:1]
	s_and_saveexec_b64 s[2:3], s[0:1]
	s_cbranch_execz .LBB682_16
; %bb.15:
	v_mul_f32_e32 v1, s13, v16
	v_fma_f32 v6, v15, s12, -v1
	v_ashrrev_i32_e32 v1, 31, v0
	v_lshlrev_b64 v[0:1], 3, v[0:1]
	v_mul_f32_e32 v7, s12, v16
	v_add_co_u32_e64 v0, s[0:1], v4, v0
	v_fmac_f32_e32 v7, s13, v15
	v_addc_co_u32_e64 v1, s[0:1], v5, v1, s[0:1]
	flat_store_dwordx2 v[0:1], v[6:7]
.LBB682_16:
	s_or_b64 exec, exec, s[2:3]
	v_cmp_le_i32_e64 s[0:1], v2, v3
	s_and_b64 s[0:1], vcc, s[0:1]
	s_and_saveexec_b64 s[2:3], s[0:1]
	s_cbranch_execz .LBB682_18
; %bb.17:
	v_ashrrev_i32_e32 v3, 31, v2
	v_lshlrev_b64 v[2:3], 3, v[2:3]
	v_mul_f32_e32 v0, s13, v18
	v_mul_f32_e32 v1, s12, v18
	v_add_co_u32_e32 v2, vcc, v4, v2
	v_fma_f32 v0, v17, s12, -v0
	v_fmac_f32_e32 v1, s13, v17
	v_addc_co_u32_e32 v3, vcc, v5, v3, vcc
	flat_store_dwordx2 v[2:3], v[0:1]
.LBB682_18:
	s_endpgm
	.section	.rodata,"a",@progbits
	.p2align	6, 0x0
	.amdhsa_kernel _ZL34rocblas_syrkx_herkx_general_kernelIi19rocblas_complex_numIfELi16ELi32ELi8ELb1ELb0ELc67ELc85EKPKS1_KPS1_EviT_T0_PT8_S7_lSA_S7_lS8_PT9_S7_li
		.amdhsa_group_segment_fixed_size 4096
		.amdhsa_private_segment_fixed_size 0
		.amdhsa_kernarg_size 100
		.amdhsa_user_sgpr_count 6
		.amdhsa_user_sgpr_private_segment_buffer 1
		.amdhsa_user_sgpr_dispatch_ptr 0
		.amdhsa_user_sgpr_queue_ptr 0
		.amdhsa_user_sgpr_kernarg_segment_ptr 1
		.amdhsa_user_sgpr_dispatch_id 0
		.amdhsa_user_sgpr_flat_scratch_init 0
		.amdhsa_user_sgpr_private_segment_size 0
		.amdhsa_uses_dynamic_stack 0
		.amdhsa_system_sgpr_private_segment_wavefront_offset 0
		.amdhsa_system_sgpr_workgroup_id_x 1
		.amdhsa_system_sgpr_workgroup_id_y 1
		.amdhsa_system_sgpr_workgroup_id_z 1
		.amdhsa_system_sgpr_workgroup_info 0
		.amdhsa_system_vgpr_workitem_id 1
		.amdhsa_next_free_vgpr 48
		.amdhsa_next_free_sgpr 21
		.amdhsa_reserve_vcc 1
		.amdhsa_reserve_flat_scratch 0
		.amdhsa_float_round_mode_32 0
		.amdhsa_float_round_mode_16_64 0
		.amdhsa_float_denorm_mode_32 3
		.amdhsa_float_denorm_mode_16_64 3
		.amdhsa_dx10_clamp 1
		.amdhsa_ieee_mode 1
		.amdhsa_fp16_overflow 0
		.amdhsa_exception_fp_ieee_invalid_op 0
		.amdhsa_exception_fp_denorm_src 0
		.amdhsa_exception_fp_ieee_div_zero 0
		.amdhsa_exception_fp_ieee_overflow 0
		.amdhsa_exception_fp_ieee_underflow 0
		.amdhsa_exception_fp_ieee_inexact 0
		.amdhsa_exception_int_div_zero 0
	.end_amdhsa_kernel
	.section	.text._ZL34rocblas_syrkx_herkx_general_kernelIi19rocblas_complex_numIfELi16ELi32ELi8ELb1ELb0ELc67ELc85EKPKS1_KPS1_EviT_T0_PT8_S7_lSA_S7_lS8_PT9_S7_li,"axG",@progbits,_ZL34rocblas_syrkx_herkx_general_kernelIi19rocblas_complex_numIfELi16ELi32ELi8ELb1ELb0ELc67ELc85EKPKS1_KPS1_EviT_T0_PT8_S7_lSA_S7_lS8_PT9_S7_li,comdat
.Lfunc_end682:
	.size	_ZL34rocblas_syrkx_herkx_general_kernelIi19rocblas_complex_numIfELi16ELi32ELi8ELb1ELb0ELc67ELc85EKPKS1_KPS1_EviT_T0_PT8_S7_lSA_S7_lS8_PT9_S7_li, .Lfunc_end682-_ZL34rocblas_syrkx_herkx_general_kernelIi19rocblas_complex_numIfELi16ELi32ELi8ELb1ELb0ELc67ELc85EKPKS1_KPS1_EviT_T0_PT8_S7_lSA_S7_lS8_PT9_S7_li
                                        ; -- End function
	.set _ZL34rocblas_syrkx_herkx_general_kernelIi19rocblas_complex_numIfELi16ELi32ELi8ELb1ELb0ELc67ELc85EKPKS1_KPS1_EviT_T0_PT8_S7_lSA_S7_lS8_PT9_S7_li.num_vgpr, 48
	.set _ZL34rocblas_syrkx_herkx_general_kernelIi19rocblas_complex_numIfELi16ELi32ELi8ELb1ELb0ELc67ELc85EKPKS1_KPS1_EviT_T0_PT8_S7_lSA_S7_lS8_PT9_S7_li.num_agpr, 0
	.set _ZL34rocblas_syrkx_herkx_general_kernelIi19rocblas_complex_numIfELi16ELi32ELi8ELb1ELb0ELc67ELc85EKPKS1_KPS1_EviT_T0_PT8_S7_lSA_S7_lS8_PT9_S7_li.numbered_sgpr, 21
	.set _ZL34rocblas_syrkx_herkx_general_kernelIi19rocblas_complex_numIfELi16ELi32ELi8ELb1ELb0ELc67ELc85EKPKS1_KPS1_EviT_T0_PT8_S7_lSA_S7_lS8_PT9_S7_li.num_named_barrier, 0
	.set _ZL34rocblas_syrkx_herkx_general_kernelIi19rocblas_complex_numIfELi16ELi32ELi8ELb1ELb0ELc67ELc85EKPKS1_KPS1_EviT_T0_PT8_S7_lSA_S7_lS8_PT9_S7_li.private_seg_size, 0
	.set _ZL34rocblas_syrkx_herkx_general_kernelIi19rocblas_complex_numIfELi16ELi32ELi8ELb1ELb0ELc67ELc85EKPKS1_KPS1_EviT_T0_PT8_S7_lSA_S7_lS8_PT9_S7_li.uses_vcc, 1
	.set _ZL34rocblas_syrkx_herkx_general_kernelIi19rocblas_complex_numIfELi16ELi32ELi8ELb1ELb0ELc67ELc85EKPKS1_KPS1_EviT_T0_PT8_S7_lSA_S7_lS8_PT9_S7_li.uses_flat_scratch, 0
	.set _ZL34rocblas_syrkx_herkx_general_kernelIi19rocblas_complex_numIfELi16ELi32ELi8ELb1ELb0ELc67ELc85EKPKS1_KPS1_EviT_T0_PT8_S7_lSA_S7_lS8_PT9_S7_li.has_dyn_sized_stack, 0
	.set _ZL34rocblas_syrkx_herkx_general_kernelIi19rocblas_complex_numIfELi16ELi32ELi8ELb1ELb0ELc67ELc85EKPKS1_KPS1_EviT_T0_PT8_S7_lSA_S7_lS8_PT9_S7_li.has_recursion, 0
	.set _ZL34rocblas_syrkx_herkx_general_kernelIi19rocblas_complex_numIfELi16ELi32ELi8ELb1ELb0ELc67ELc85EKPKS1_KPS1_EviT_T0_PT8_S7_lSA_S7_lS8_PT9_S7_li.has_indirect_call, 0
	.section	.AMDGPU.csdata,"",@progbits
; Kernel info:
; codeLenInByte = 2076
; TotalNumSgprs: 25
; NumVgprs: 48
; ScratchSize: 0
; MemoryBound: 1
; FloatMode: 240
; IeeeMode: 1
; LDSByteSize: 4096 bytes/workgroup (compile time only)
; SGPRBlocks: 3
; VGPRBlocks: 11
; NumSGPRsForWavesPerEU: 25
; NumVGPRsForWavesPerEU: 48
; Occupancy: 5
; WaveLimiterHint : 1
; COMPUTE_PGM_RSRC2:SCRATCH_EN: 0
; COMPUTE_PGM_RSRC2:USER_SGPR: 6
; COMPUTE_PGM_RSRC2:TRAP_HANDLER: 0
; COMPUTE_PGM_RSRC2:TGID_X_EN: 1
; COMPUTE_PGM_RSRC2:TGID_Y_EN: 1
; COMPUTE_PGM_RSRC2:TGID_Z_EN: 1
; COMPUTE_PGM_RSRC2:TIDIG_COMP_CNT: 1
	.section	.text._ZL34rocblas_syrkx_herkx_general_kernelIi19rocblas_complex_numIfELi16ELi32ELi8ELb1ELb0ELc78ELc85EKPKS1_KPS1_EviT_T0_PT8_S7_lSA_S7_lS8_PT9_S7_li,"axG",@progbits,_ZL34rocblas_syrkx_herkx_general_kernelIi19rocblas_complex_numIfELi16ELi32ELi8ELb1ELb0ELc78ELc85EKPKS1_KPS1_EviT_T0_PT8_S7_lSA_S7_lS8_PT9_S7_li,comdat
	.globl	_ZL34rocblas_syrkx_herkx_general_kernelIi19rocblas_complex_numIfELi16ELi32ELi8ELb1ELb0ELc78ELc85EKPKS1_KPS1_EviT_T0_PT8_S7_lSA_S7_lS8_PT9_S7_li ; -- Begin function _ZL34rocblas_syrkx_herkx_general_kernelIi19rocblas_complex_numIfELi16ELi32ELi8ELb1ELb0ELc78ELc85EKPKS1_KPS1_EviT_T0_PT8_S7_lSA_S7_lS8_PT9_S7_li
	.p2align	8
	.type	_ZL34rocblas_syrkx_herkx_general_kernelIi19rocblas_complex_numIfELi16ELi32ELi8ELb1ELb0ELc78ELc85EKPKS1_KPS1_EviT_T0_PT8_S7_lSA_S7_lS8_PT9_S7_li,@function
_ZL34rocblas_syrkx_herkx_general_kernelIi19rocblas_complex_numIfELi16ELi32ELi8ELb1ELb0ELc78ELc85EKPKS1_KPS1_EviT_T0_PT8_S7_lSA_S7_lS8_PT9_S7_li: ; @_ZL34rocblas_syrkx_herkx_general_kernelIi19rocblas_complex_numIfELi16ELi32ELi8ELb1ELb0ELc78ELc85EKPKS1_KPS1_EviT_T0_PT8_S7_lSA_S7_lS8_PT9_S7_li
; %bb.0:
	s_load_dwordx2 s[2:3], s[4:5], 0x48
	s_load_dwordx2 s[10:11], s[4:5], 0x0
	s_load_dwordx4 s[12:15], s[4:5], 0x8
	s_mov_b32 s9, 0
	s_lshl_b64 s[0:1], s[8:9], 3
	s_waitcnt lgkmcnt(0)
	s_add_u32 s2, s2, s0
	s_addc_u32 s3, s3, s1
	s_load_dwordx2 s[16:17], s[2:3], 0x0
	s_lshl_b32 s8, s6, 5
	s_lshl_b32 s18, s7, 5
	s_cmp_lt_i32 s11, 1
	s_cbranch_scc1 .LBB683_9
; %bb.1:
	s_load_dword s6, s[4:5], 0x18
	s_load_dword s20, s[4:5], 0x30
	s_load_dwordx2 s[2:3], s[4:5], 0x28
	v_lshl_add_u32 v2, v1, 4, v0
	v_and_b32_e32 v6, 31, v2
	s_waitcnt lgkmcnt(0)
	s_ashr_i32 s7, s6, 31
	s_ashr_i32 s21, s20, 31
	s_add_u32 s2, s2, s0
	s_addc_u32 s3, s3, s1
	s_add_u32 s0, s14, s0
	v_lshrrev_b32_e32 v10, 5, v2
	v_lshrrev_b32_e32 v3, 3, v2
	v_or_b32_e32 v2, s8, v6
	s_addc_u32 s1, s15, s1
	v_and_b32_e32 v9, 7, v0
	s_load_dwordx2 s[14:15], s[0:1], 0x0
	v_cmp_gt_i32_e64 s[0:1], s10, v2
	v_lshlrev_b32_e32 v2, 3, v6
	v_lshl_or_b32 v11, v10, 8, v2
	v_lshlrev_b32_e32 v2, 3, v9
	v_lshl_or_b32 v2, v3, 6, v2
	v_add_u32_e32 v4, s18, v3
	s_load_dwordx2 s[22:23], s[2:3], 0x0
	v_add_u32_e32 v12, 0x800, v2
	v_mad_i64_i32 v[2:3], s[2:3], v10, s6, 0
	v_mov_b32_e32 v7, 0x800
	v_add_u32_e32 v6, s8, v6
	v_lshl_add_u32 v14, v1, 6, v7
	v_ashrrev_i32_e32 v7, 31, v6
	v_lshlrev_b64 v[2:3], 3, v[2:3]
	v_lshlrev_b64 v[6:7], 3, v[6:7]
	v_ashrrev_i32_e32 v5, 31, v4
	v_add_co_u32_e64 v2, s[2:3], v2, v6
	v_addc_co_u32_e64 v3, s[2:3], v3, v7, s[2:3]
	v_mad_i64_i32 v[6:7], s[2:3], s20, v9, 0
	v_cmp_gt_i32_e32 vcc, s10, v4
	s_waitcnt lgkmcnt(0)
	v_mov_b32_e32 v8, s15
	v_add_co_u32_e64 v2, s[2:3], s14, v2
	v_lshlrev_b64 v[6:7], 3, v[6:7]
	v_lshlrev_b64 v[4:5], 3, v[4:5]
	v_addc_co_u32_e64 v3, s[2:3], v8, v3, s[2:3]
	v_add_co_u32_e64 v4, s[2:3], v6, v4
	v_addc_co_u32_e64 v5, s[2:3], v7, v5, s[2:3]
	v_mov_b32_e32 v6, s23
	v_add_co_u32_e64 v4, s[2:3], s22, v4
	v_addc_co_u32_e64 v5, s[2:3], v6, v5, s[2:3]
	s_lshl_b64 s[6:7], s[6:7], 6
	s_lshl_b64 s[2:3], s[20:21], 6
	v_lshlrev_b32_e32 v13, 3, v0
	s_xor_b64 s[14:15], s[0:1], -1
	v_mov_b32_e32 v15, s7
	v_mov_b32_e32 v16, s3
	;; [unrolled: 1-line block ×11, first 2 shown]
	s_branch .LBB683_3
.LBB683_2:                              ;   in Loop: Header=BB683_3 Depth=1
	s_or_b64 exec, exec, s[0:1]
	s_waitcnt vmcnt(0) lgkmcnt(0)
	ds_write_b64 v12, v[7:8]
	s_waitcnt lgkmcnt(0)
	s_barrier
	ds_read2_b64 v[25:28], v13 offset1:16
	ds_read_b128 v[29:32], v14
	ds_read_b128 v[33:36], v14 offset:16
	ds_read_b128 v[37:40], v14 offset:1024
	ds_read2_b64 v[41:44], v13 offset0:32 offset1:48
	v_add_co_u32_e64 v2, s[0:1], s6, v2
	s_waitcnt lgkmcnt(3)
	v_mul_f32_e32 v7, v30, v26
	v_mul_f32_e32 v8, v29, v26
	v_fma_f32 v7, v29, v25, -v7
	v_fmac_f32_e32 v8, v30, v25
	v_add_f32_e32 v7, v21, v7
	v_add_f32_e32 v8, v22, v8
	v_mul_f32_e32 v21, v30, v28
	v_mul_f32_e32 v22, v29, v28
	v_fma_f32 v21, v29, v27, -v21
	v_fmac_f32_e32 v22, v30, v27
	v_add_f32_e32 v45, v23, v21
	v_add_f32_e32 v46, v24, v22
	ds_read_b128 v[21:24], v14 offset:1040
	s_waitcnt lgkmcnt(2)
	v_mul_f32_e32 v29, v38, v26
	v_fma_f32 v29, v37, v25, -v29
	v_mul_f32_e32 v47, v37, v26
	v_add_f32_e32 v48, v18, v29
	v_mul_f32_e32 v18, v38, v28
	v_fmac_f32_e32 v47, v38, v25
	v_fma_f32 v18, v37, v27, -v18
	v_mul_f32_e32 v37, v37, v28
	s_waitcnt lgkmcnt(1)
	v_mul_f32_e32 v25, v32, v42
	v_fmac_f32_e32 v37, v38, v27
	v_fma_f32 v38, v31, v41, -v25
	v_mul_f32_e32 v25, v32, v44
	v_fma_f32 v50, v31, v43, -v25
	v_mul_f32_e32 v25, v40, v42
	v_mul_f32_e32 v49, v31, v42
	v_fma_f32 v52, v39, v41, -v25
	v_mul_f32_e32 v42, v39, v42
	v_mul_f32_e32 v25, v40, v44
	v_fmac_f32_e32 v49, v32, v41
	v_mul_f32_e32 v51, v31, v44
	v_fmac_f32_e32 v42, v40, v41
	v_fma_f32 v41, v39, v43, -v25
	v_mul_f32_e32 v39, v39, v44
	v_fmac_f32_e32 v51, v32, v43
	v_fmac_f32_e32 v39, v40, v43
	ds_read_b128 v[25:28], v14 offset:32
	ds_read_b128 v[29:32], v14 offset:48
	v_add_f32_e32 v40, v17, v47
	v_add_f32_e32 v43, v19, v18
	;; [unrolled: 1-line block ×3, first 2 shown]
	ds_read2_b64 v[17:20], v13 offset0:64 offset1:80
	v_add_f32_e32 v40, v40, v42
	v_add_f32_e32 v42, v37, v39
	;; [unrolled: 1-line block ×4, first 2 shown]
	s_waitcnt lgkmcnt(0)
	v_mul_f32_e32 v37, v34, v18
	v_fma_f32 v37, v33, v17, -v37
	v_add_f32_e32 v7, v7, v37
	v_mul_f32_e32 v37, v34, v20
	v_mul_f32_e32 v39, v33, v18
	v_fma_f32 v37, v33, v19, -v37
	v_mul_f32_e32 v33, v33, v20
	v_fmac_f32_e32 v39, v34, v17
	v_fmac_f32_e32 v33, v34, v19
	v_add_f32_e32 v34, v38, v37
	v_mul_f32_e32 v37, v22, v18
	v_add_f32_e32 v45, v48, v52
	v_fma_f32 v37, v21, v17, -v37
	v_mul_f32_e32 v18, v21, v18
	v_add_f32_e32 v8, v8, v49
	v_fmac_f32_e32 v18, v22, v17
	v_add_f32_e32 v17, v45, v37
	v_mul_f32_e32 v37, v22, v20
	v_add_f32_e32 v41, v43, v41
	v_add_f32_e32 v8, v8, v39
	v_add_f32_e32 v18, v40, v18
	v_fma_f32 v43, v21, v19, -v37
	ds_read2_b64 v[37:40], v13 offset0:96 offset1:112
	v_mul_f32_e32 v20, v21, v20
	v_fmac_f32_e32 v20, v22, v19
	v_add_f32_e32 v22, v42, v20
	v_add_f32_e32 v44, v46, v51
	s_waitcnt lgkmcnt(0)
	v_mul_f32_e32 v19, v36, v38
	v_fma_f32 v19, v35, v37, -v19
	v_mul_f32_e32 v20, v35, v38
	v_fmac_f32_e32 v20, v36, v37
	v_add_f32_e32 v7, v7, v19
	v_mul_f32_e32 v19, v36, v40
	v_add_f32_e32 v8, v8, v20
	v_fma_f32 v19, v35, v39, -v19
	v_mul_f32_e32 v20, v35, v40
	v_add_f32_e32 v33, v44, v33
	v_fmac_f32_e32 v20, v36, v39
	v_add_f32_e32 v34, v34, v19
	v_mul_f32_e32 v19, v24, v38
	v_add_f32_e32 v33, v33, v20
	v_fma_f32 v19, v23, v37, -v19
	v_mul_f32_e32 v20, v23, v38
	v_fmac_f32_e32 v20, v24, v37
	v_add_f32_e32 v37, v17, v19
	v_mul_f32_e32 v17, v24, v40
	v_add_f32_e32 v38, v18, v20
	v_fma_f32 v35, v23, v39, -v17
	ds_read2_b64 v[17:20], v13 offset0:128 offset1:144
	v_add_f32_e32 v21, v41, v43
	v_mul_f32_e32 v23, v23, v40
	v_fmac_f32_e32 v23, v24, v39
	v_add_f32_e32 v41, v21, v35
	s_waitcnt lgkmcnt(0)
	v_mul_f32_e32 v21, v26, v18
	v_add_f32_e32 v42, v22, v23
	v_fma_f32 v21, v25, v17, -v21
	v_mul_f32_e32 v22, v25, v18
	v_fmac_f32_e32 v22, v26, v17
	v_add_f32_e32 v7, v7, v21
	v_mul_f32_e32 v21, v26, v20
	v_add_f32_e32 v8, v8, v22
	v_fma_f32 v35, v25, v19, -v21
	ds_read_b128 v[21:24], v14 offset:1056
	v_mul_f32_e32 v25, v25, v20
	v_fmac_f32_e32 v25, v26, v19
	v_add_f32_e32 v26, v34, v35
	v_add_f32_e32 v25, v33, v25
	ds_read_b128 v[33:36], v14 offset:1072
	s_waitcnt lgkmcnt(1)
	v_mul_f32_e32 v39, v22, v18
	v_fma_f32 v39, v21, v17, -v39
	v_mul_f32_e32 v18, v21, v18
	v_fmac_f32_e32 v18, v22, v17
	v_add_f32_e32 v17, v37, v39
	v_mul_f32_e32 v37, v22, v20
	v_add_f32_e32 v18, v38, v18
	v_fma_f32 v43, v21, v19, -v37
	ds_read2_b64 v[37:40], v13 offset0:160 offset1:176
	v_mul_f32_e32 v20, v21, v20
	v_fmac_f32_e32 v20, v22, v19
	v_add_f32_e32 v22, v42, v20
	v_add_f32_e32 v21, v41, v43
	s_waitcnt lgkmcnt(0)
	v_mul_f32_e32 v19, v28, v38
	v_fma_f32 v19, v27, v37, -v19
	v_mul_f32_e32 v20, v27, v38
	v_fmac_f32_e32 v20, v28, v37
	v_add_f32_e32 v7, v7, v19
	v_mul_f32_e32 v19, v28, v40
	v_add_f32_e32 v8, v8, v20
	v_fma_f32 v19, v27, v39, -v19
	v_mul_f32_e32 v20, v27, v40
	v_fmac_f32_e32 v20, v28, v39
	v_add_f32_e32 v26, v26, v19
	v_mul_f32_e32 v19, v24, v38
	v_add_f32_e32 v25, v25, v20
	;; [unrolled: 6-line block ×3, first 2 shown]
	v_fma_f32 v37, v23, v39, -v17
	ds_read2_b64 v[17:20], v13 offset0:192 offset1:208
	v_mul_f32_e32 v23, v23, v40
	v_fmac_f32_e32 v23, v24, v39
	v_add_f32_e32 v22, v22, v23
	v_add_f32_e32 v21, v21, v37
	s_waitcnt lgkmcnt(0)
	v_mul_f32_e32 v24, v29, v18
	v_fmac_f32_e32 v24, v30, v17
	v_mul_f32_e32 v23, v30, v18
	v_add_f32_e32 v8, v8, v24
	v_mul_f32_e32 v24, v29, v20
	v_fma_f32 v23, v29, v17, -v23
	v_fmac_f32_e32 v24, v30, v19
	v_add_f32_e32 v7, v7, v23
	v_mul_f32_e32 v23, v30, v20
	v_add_f32_e32 v24, v25, v24
	v_mul_f32_e32 v25, v34, v18
	v_mul_f32_e32 v18, v33, v18
	v_fma_f32 v23, v29, v19, -v23
	v_fma_f32 v25, v33, v17, -v25
	v_fmac_f32_e32 v18, v34, v17
	v_add_f32_e32 v23, v26, v23
	v_add_f32_e32 v17, v27, v25
	;; [unrolled: 1-line block ×3, first 2 shown]
	ds_read2_b64 v[25:28], v13 offset0:224 offset1:240
	v_mul_f32_e32 v18, v34, v20
	v_mul_f32_e32 v20, v33, v20
	v_fma_f32 v18, v33, v19, -v18
	v_fmac_f32_e32 v20, v34, v19
	v_add_f32_e32 v19, v21, v18
	v_add_f32_e32 v20, v22, v20
	s_waitcnt lgkmcnt(0)
	v_mul_f32_e32 v18, v32, v26
	v_mul_f32_e32 v22, v31, v26
	v_fma_f32 v18, v31, v25, -v18
	v_fmac_f32_e32 v22, v32, v25
	v_add_f32_e32 v21, v7, v18
	v_add_f32_e32 v22, v8, v22
	v_mul_f32_e32 v7, v32, v28
	v_mul_f32_e32 v8, v31, v28
	v_fma_f32 v7, v31, v27, -v7
	v_fmac_f32_e32 v8, v32, v27
	v_add_f32_e32 v23, v23, v7
	v_add_f32_e32 v24, v24, v8
	;; [unrolled: 6-line block ×3, first 2 shown]
	v_mul_f32_e32 v7, v36, v28
	v_mul_f32_e32 v8, v35, v28
	v_addc_co_u32_e64 v3, s[0:1], v3, v15, s[0:1]
	v_fma_f32 v7, v35, v27, -v7
	v_fmac_f32_e32 v8, v36, v27
	s_add_i32 s9, s9, 8
	v_add_co_u32_e64 v4, s[0:1], s2, v4
	v_add_f32_e32 v19, v19, v7
	v_add_f32_e32 v20, v20, v8
	s_cmp_ge_i32 s9, s11
	v_addc_co_u32_e64 v5, s[0:1], v5, v16, s[0:1]
	s_barrier
	s_cbranch_scc1 .LBB683_10
.LBB683_3:                              ; =>This Inner Loop Header: Depth=1
	v_add_u32_e32 v7, s9, v10
	v_cmp_le_i32_e64 s[0:1], s11, v7
	s_or_b64 s[0:1], s[14:15], s[0:1]
	s_and_saveexec_b64 s[20:21], s[0:1]
	s_xor_b64 s[0:1], exec, s[20:21]
; %bb.4:                                ;   in Loop: Header=BB683_3 Depth=1
	v_mov_b32_e32 v7, v6
	ds_write_b64 v11, v[6:7]
; %bb.5:                                ;   in Loop: Header=BB683_3 Depth=1
	s_andn2_saveexec_b64 s[0:1], s[0:1]
	s_cbranch_execz .LBB683_7
; %bb.6:                                ;   in Loop: Header=BB683_3 Depth=1
	flat_load_dwordx2 v[7:8], v[2:3]
	s_waitcnt vmcnt(0) lgkmcnt(0)
	ds_write_b64 v11, v[7:8]
.LBB683_7:                              ;   in Loop: Header=BB683_3 Depth=1
	s_or_b64 exec, exec, s[0:1]
	v_add_u32_e32 v7, s9, v9
	v_cmp_gt_i32_e64 s[0:1], s11, v7
	s_and_b64 s[20:21], s[0:1], vcc
	v_mov_b32_e32 v7, 0
	v_mov_b32_e32 v8, 0
	s_and_saveexec_b64 s[0:1], s[20:21]
	s_cbranch_execz .LBB683_2
; %bb.8:                                ;   in Loop: Header=BB683_3 Depth=1
	flat_load_dwordx2 v[7:8], v[4:5]
	s_branch .LBB683_2
.LBB683_9:
	v_mov_b32_e32 v21, 0
	v_mov_b32_e32 v22, 0
	;; [unrolled: 1-line block ×8, first 2 shown]
.LBB683_10:
	s_load_dword s4, s[4:5], 0x50
	v_add_u32_e32 v4, s18, v1
	s_waitcnt lgkmcnt(0)
	v_mov_b32_e32 v3, s17
	v_add_u32_e32 v0, s8, v0
	v_cmp_gt_i32_e32 vcc, s10, v4
	v_mad_i64_i32 v[1:2], s[0:1], v4, s4, 0
	v_lshlrev_b64 v[1:2], 3, v[1:2]
	v_add_co_u32_e64 v5, s[0:1], s16, v1
	v_addc_co_u32_e64 v6, s[0:1], v3, v2, s[0:1]
	v_cmp_le_i32_e64 s[0:1], v0, v4
	s_and_b64 s[0:1], vcc, s[0:1]
	s_and_saveexec_b64 s[2:3], s[0:1]
	s_cbranch_execz .LBB683_12
; %bb.11:
	v_mul_f32_e32 v1, s13, v22
	v_fma_f32 v2, v21, s12, -v1
	v_ashrrev_i32_e32 v1, 31, v0
	v_lshlrev_b64 v[7:8], 3, v[0:1]
	v_mul_f32_e32 v3, s12, v22
	v_add_co_u32_e64 v7, s[0:1], v5, v7
	v_fmac_f32_e32 v3, s13, v21
	v_addc_co_u32_e64 v8, s[0:1], v6, v8, s[0:1]
	flat_store_dwordx2 v[7:8], v[2:3]
.LBB683_12:
	s_or_b64 exec, exec, s[2:3]
	v_add_u32_e32 v2, 16, v0
	v_cmp_le_i32_e64 s[0:1], v2, v4
	s_and_b64 s[2:3], vcc, s[0:1]
	s_and_saveexec_b64 s[0:1], s[2:3]
	s_cbranch_execz .LBB683_14
; %bb.13:
	v_ashrrev_i32_e32 v3, 31, v2
	v_lshlrev_b64 v[9:10], 3, v[2:3]
	v_mul_f32_e32 v1, s13, v24
	v_mul_f32_e32 v8, s12, v24
	v_add_co_u32_e32 v5, vcc, v5, v9
	v_fma_f32 v7, v23, s12, -v1
	v_fmac_f32_e32 v8, s13, v23
	v_addc_co_u32_e32 v6, vcc, v6, v10, vcc
	flat_store_dwordx2 v[5:6], v[7:8]
.LBB683_14:
	s_or_b64 exec, exec, s[0:1]
	v_add_u32_e32 v3, 16, v4
	v_mad_i64_i32 v[4:5], s[0:1], v3, s4, 0
	v_mov_b32_e32 v1, s17
	v_cmp_gt_i32_e32 vcc, s10, v3
	v_lshlrev_b64 v[4:5], 3, v[4:5]
	v_add_co_u32_e64 v4, s[0:1], s16, v4
	v_addc_co_u32_e64 v5, s[0:1], v1, v5, s[0:1]
	v_cmp_le_i32_e64 s[0:1], v0, v3
	s_and_b64 s[0:1], vcc, s[0:1]
	s_and_saveexec_b64 s[2:3], s[0:1]
	s_cbranch_execz .LBB683_16
; %bb.15:
	v_mul_f32_e32 v1, s13, v17
	v_fma_f32 v6, v18, s12, -v1
	v_ashrrev_i32_e32 v1, 31, v0
	v_lshlrev_b64 v[0:1], 3, v[0:1]
	v_mul_f32_e32 v7, s12, v17
	v_add_co_u32_e64 v0, s[0:1], v4, v0
	v_fmac_f32_e32 v7, s13, v18
	v_addc_co_u32_e64 v1, s[0:1], v5, v1, s[0:1]
	flat_store_dwordx2 v[0:1], v[6:7]
.LBB683_16:
	s_or_b64 exec, exec, s[2:3]
	v_cmp_le_i32_e64 s[0:1], v2, v3
	s_and_b64 s[0:1], vcc, s[0:1]
	s_and_saveexec_b64 s[2:3], s[0:1]
	s_cbranch_execz .LBB683_18
; %bb.17:
	v_ashrrev_i32_e32 v3, 31, v2
	v_lshlrev_b64 v[2:3], 3, v[2:3]
	v_mul_f32_e32 v0, s13, v20
	v_mul_f32_e32 v1, s12, v20
	v_add_co_u32_e32 v2, vcc, v4, v2
	v_fma_f32 v0, v19, s12, -v0
	v_fmac_f32_e32 v1, s13, v19
	v_addc_co_u32_e32 v3, vcc, v5, v3, vcc
	flat_store_dwordx2 v[2:3], v[0:1]
.LBB683_18:
	s_endpgm
	.section	.rodata,"a",@progbits
	.p2align	6, 0x0
	.amdhsa_kernel _ZL34rocblas_syrkx_herkx_general_kernelIi19rocblas_complex_numIfELi16ELi32ELi8ELb1ELb0ELc78ELc85EKPKS1_KPS1_EviT_T0_PT8_S7_lSA_S7_lS8_PT9_S7_li
		.amdhsa_group_segment_fixed_size 4096
		.amdhsa_private_segment_fixed_size 0
		.amdhsa_kernarg_size 100
		.amdhsa_user_sgpr_count 6
		.amdhsa_user_sgpr_private_segment_buffer 1
		.amdhsa_user_sgpr_dispatch_ptr 0
		.amdhsa_user_sgpr_queue_ptr 0
		.amdhsa_user_sgpr_kernarg_segment_ptr 1
		.amdhsa_user_sgpr_dispatch_id 0
		.amdhsa_user_sgpr_flat_scratch_init 0
		.amdhsa_user_sgpr_private_segment_size 0
		.amdhsa_uses_dynamic_stack 0
		.amdhsa_system_sgpr_private_segment_wavefront_offset 0
		.amdhsa_system_sgpr_workgroup_id_x 1
		.amdhsa_system_sgpr_workgroup_id_y 1
		.amdhsa_system_sgpr_workgroup_id_z 1
		.amdhsa_system_sgpr_workgroup_info 0
		.amdhsa_system_vgpr_workitem_id 1
		.amdhsa_next_free_vgpr 53
		.amdhsa_next_free_sgpr 24
		.amdhsa_reserve_vcc 1
		.amdhsa_reserve_flat_scratch 0
		.amdhsa_float_round_mode_32 0
		.amdhsa_float_round_mode_16_64 0
		.amdhsa_float_denorm_mode_32 3
		.amdhsa_float_denorm_mode_16_64 3
		.amdhsa_dx10_clamp 1
		.amdhsa_ieee_mode 1
		.amdhsa_fp16_overflow 0
		.amdhsa_exception_fp_ieee_invalid_op 0
		.amdhsa_exception_fp_denorm_src 0
		.amdhsa_exception_fp_ieee_div_zero 0
		.amdhsa_exception_fp_ieee_overflow 0
		.amdhsa_exception_fp_ieee_underflow 0
		.amdhsa_exception_fp_ieee_inexact 0
		.amdhsa_exception_int_div_zero 0
	.end_amdhsa_kernel
	.section	.text._ZL34rocblas_syrkx_herkx_general_kernelIi19rocblas_complex_numIfELi16ELi32ELi8ELb1ELb0ELc78ELc85EKPKS1_KPS1_EviT_T0_PT8_S7_lSA_S7_lS8_PT9_S7_li,"axG",@progbits,_ZL34rocblas_syrkx_herkx_general_kernelIi19rocblas_complex_numIfELi16ELi32ELi8ELb1ELb0ELc78ELc85EKPKS1_KPS1_EviT_T0_PT8_S7_lSA_S7_lS8_PT9_S7_li,comdat
.Lfunc_end683:
	.size	_ZL34rocblas_syrkx_herkx_general_kernelIi19rocblas_complex_numIfELi16ELi32ELi8ELb1ELb0ELc78ELc85EKPKS1_KPS1_EviT_T0_PT8_S7_lSA_S7_lS8_PT9_S7_li, .Lfunc_end683-_ZL34rocblas_syrkx_herkx_general_kernelIi19rocblas_complex_numIfELi16ELi32ELi8ELb1ELb0ELc78ELc85EKPKS1_KPS1_EviT_T0_PT8_S7_lSA_S7_lS8_PT9_S7_li
                                        ; -- End function
	.set _ZL34rocblas_syrkx_herkx_general_kernelIi19rocblas_complex_numIfELi16ELi32ELi8ELb1ELb0ELc78ELc85EKPKS1_KPS1_EviT_T0_PT8_S7_lSA_S7_lS8_PT9_S7_li.num_vgpr, 53
	.set _ZL34rocblas_syrkx_herkx_general_kernelIi19rocblas_complex_numIfELi16ELi32ELi8ELb1ELb0ELc78ELc85EKPKS1_KPS1_EviT_T0_PT8_S7_lSA_S7_lS8_PT9_S7_li.num_agpr, 0
	.set _ZL34rocblas_syrkx_herkx_general_kernelIi19rocblas_complex_numIfELi16ELi32ELi8ELb1ELb0ELc78ELc85EKPKS1_KPS1_EviT_T0_PT8_S7_lSA_S7_lS8_PT9_S7_li.numbered_sgpr, 24
	.set _ZL34rocblas_syrkx_herkx_general_kernelIi19rocblas_complex_numIfELi16ELi32ELi8ELb1ELb0ELc78ELc85EKPKS1_KPS1_EviT_T0_PT8_S7_lSA_S7_lS8_PT9_S7_li.num_named_barrier, 0
	.set _ZL34rocblas_syrkx_herkx_general_kernelIi19rocblas_complex_numIfELi16ELi32ELi8ELb1ELb0ELc78ELc85EKPKS1_KPS1_EviT_T0_PT8_S7_lSA_S7_lS8_PT9_S7_li.private_seg_size, 0
	.set _ZL34rocblas_syrkx_herkx_general_kernelIi19rocblas_complex_numIfELi16ELi32ELi8ELb1ELb0ELc78ELc85EKPKS1_KPS1_EviT_T0_PT8_S7_lSA_S7_lS8_PT9_S7_li.uses_vcc, 1
	.set _ZL34rocblas_syrkx_herkx_general_kernelIi19rocblas_complex_numIfELi16ELi32ELi8ELb1ELb0ELc78ELc85EKPKS1_KPS1_EviT_T0_PT8_S7_lSA_S7_lS8_PT9_S7_li.uses_flat_scratch, 0
	.set _ZL34rocblas_syrkx_herkx_general_kernelIi19rocblas_complex_numIfELi16ELi32ELi8ELb1ELb0ELc78ELc85EKPKS1_KPS1_EviT_T0_PT8_S7_lSA_S7_lS8_PT9_S7_li.has_dyn_sized_stack, 0
	.set _ZL34rocblas_syrkx_herkx_general_kernelIi19rocblas_complex_numIfELi16ELi32ELi8ELb1ELb0ELc78ELc85EKPKS1_KPS1_EviT_T0_PT8_S7_lSA_S7_lS8_PT9_S7_li.has_recursion, 0
	.set _ZL34rocblas_syrkx_herkx_general_kernelIi19rocblas_complex_numIfELi16ELi32ELi8ELb1ELb0ELc78ELc85EKPKS1_KPS1_EviT_T0_PT8_S7_lSA_S7_lS8_PT9_S7_li.has_indirect_call, 0
	.section	.AMDGPU.csdata,"",@progbits
; Kernel info:
; codeLenInByte = 2120
; TotalNumSgprs: 28
; NumVgprs: 53
; ScratchSize: 0
; MemoryBound: 1
; FloatMode: 240
; IeeeMode: 1
; LDSByteSize: 4096 bytes/workgroup (compile time only)
; SGPRBlocks: 3
; VGPRBlocks: 13
; NumSGPRsForWavesPerEU: 28
; NumVGPRsForWavesPerEU: 53
; Occupancy: 4
; WaveLimiterHint : 1
; COMPUTE_PGM_RSRC2:SCRATCH_EN: 0
; COMPUTE_PGM_RSRC2:USER_SGPR: 6
; COMPUTE_PGM_RSRC2:TRAP_HANDLER: 0
; COMPUTE_PGM_RSRC2:TGID_X_EN: 1
; COMPUTE_PGM_RSRC2:TGID_Y_EN: 1
; COMPUTE_PGM_RSRC2:TGID_Z_EN: 1
; COMPUTE_PGM_RSRC2:TIDIG_COMP_CNT: 1
	.section	.text._ZL34rocblas_syrkx_herkx_general_kernelIi19rocblas_complex_numIfELi16ELi32ELi8ELb0ELb0ELc84ELc76EKPKS1_KPS1_EviT_T0_PT8_S7_lSA_S7_lS8_PT9_S7_li,"axG",@progbits,_ZL34rocblas_syrkx_herkx_general_kernelIi19rocblas_complex_numIfELi16ELi32ELi8ELb0ELb0ELc84ELc76EKPKS1_KPS1_EviT_T0_PT8_S7_lSA_S7_lS8_PT9_S7_li,comdat
	.globl	_ZL34rocblas_syrkx_herkx_general_kernelIi19rocblas_complex_numIfELi16ELi32ELi8ELb0ELb0ELc84ELc76EKPKS1_KPS1_EviT_T0_PT8_S7_lSA_S7_lS8_PT9_S7_li ; -- Begin function _ZL34rocblas_syrkx_herkx_general_kernelIi19rocblas_complex_numIfELi16ELi32ELi8ELb0ELb0ELc84ELc76EKPKS1_KPS1_EviT_T0_PT8_S7_lSA_S7_lS8_PT9_S7_li
	.p2align	8
	.type	_ZL34rocblas_syrkx_herkx_general_kernelIi19rocblas_complex_numIfELi16ELi32ELi8ELb0ELb0ELc84ELc76EKPKS1_KPS1_EviT_T0_PT8_S7_lSA_S7_lS8_PT9_S7_li,@function
_ZL34rocblas_syrkx_herkx_general_kernelIi19rocblas_complex_numIfELi16ELi32ELi8ELb0ELb0ELc84ELc76EKPKS1_KPS1_EviT_T0_PT8_S7_lSA_S7_lS8_PT9_S7_li: ; @_ZL34rocblas_syrkx_herkx_general_kernelIi19rocblas_complex_numIfELi16ELi32ELi8ELb0ELb0ELc84ELc76EKPKS1_KPS1_EviT_T0_PT8_S7_lSA_S7_lS8_PT9_S7_li
; %bb.0:
	s_load_dwordx4 s[12:15], s[4:5], 0x40
	s_load_dwordx2 s[20:21], s[4:5], 0x0
	s_load_dwordx4 s[16:19], s[4:5], 0x8
	s_mov_b32 s9, 0
	s_lshl_b64 s[0:1], s[8:9], 3
	s_waitcnt lgkmcnt(0)
	s_add_u32 s2, s14, s0
	s_addc_u32 s3, s15, s1
	s_load_dwordx2 s[10:11], s[2:3], 0x0
	s_lshl_b32 s8, s6, 5
	s_lshl_b32 s14, s7, 5
	s_cmp_lt_i32 s21, 1
	s_cbranch_scc1 .LBB684_11
; %bb.1:
	s_load_dword s15, s[4:5], 0x18
	s_load_dwordx2 s[2:3], s[4:5], 0x28
	s_load_dword s22, s[4:5], 0x30
	v_lshl_add_u32 v2, v1, 4, v0
	v_and_b32_e32 v8, 7, v0
	v_lshrrev_b32_e32 v9, 5, v2
	v_lshrrev_b32_e32 v3, 3, v2
	v_and_b32_e32 v2, 31, v2
	v_or_b32_e32 v5, s8, v2
	s_waitcnt lgkmcnt(0)
	s_add_u32 s2, s2, s0
	v_lshlrev_b32_e32 v6, 3, v8
	v_add_u32_e32 v4, s14, v3
	s_addc_u32 s3, s3, s1
	v_cmp_gt_i32_e32 vcc, s20, v5
	v_lshlrev_b32_e32 v5, 3, v2
	v_lshl_or_b32 v3, v3, 6, v6
	v_add_u32_e32 v2, s8, v2
	s_load_dwordx2 s[6:7], s[2:3], 0x0
	v_add_u32_e32 v11, 0x800, v3
	v_mad_i64_i32 v[2:3], s[2:3], s15, v2, 0
	s_add_u32 s0, s18, s0
	v_lshl_or_b32 v10, v9, 8, v5
	v_mov_b32_e32 v5, 0x800
	v_lshlrev_b64 v[2:3], 3, v[2:3]
	s_addc_u32 s1, s19, s1
	v_lshl_add_u32 v13, v1, 6, v5
	v_lshlrev_b32_e32 v5, 3, v9
	s_load_dwordx2 s[18:19], s[0:1], 0x0
	v_add_co_u32_e64 v2, s[2:3], v2, v5
	v_cmp_gt_i32_e64 s[0:1], s20, v4
	v_addc_co_u32_e64 v3, s[2:3], 0, v3, s[2:3]
	v_mad_i64_i32 v[4:5], s[2:3], s22, v4, 0
	s_waitcnt lgkmcnt(0)
	v_mov_b32_e32 v7, s19
	v_add_co_u32_e64 v2, s[2:3], s18, v2
	v_lshlrev_b64 v[4:5], 3, v[4:5]
	v_addc_co_u32_e64 v3, s[2:3], v7, v3, s[2:3]
	v_add_co_u32_e64 v4, s[2:3], v4, v6
	v_addc_co_u32_e64 v5, s[2:3], 0, v5, s[2:3]
	v_mov_b32_e32 v6, s7
	v_add_co_u32_e64 v4, s[2:3], s6, v4
	v_addc_co_u32_e64 v5, s[2:3], v6, v5, s[2:3]
	v_lshlrev_b32_e32 v12, 3, v0
	s_xor_b64 s[2:3], vcc, -1
	s_xor_b64 s[0:1], s[0:1], -1
	v_mov_b32_e32 v17, 0
	v_mov_b32_e32 v16, 0
	;; [unrolled: 1-line block ×9, first 2 shown]
	s_branch .LBB684_3
.LBB684_2:                              ;   in Loop: Header=BB684_3 Depth=1
	s_or_b64 exec, exec, s[6:7]
	s_waitcnt lgkmcnt(0)
	s_barrier
	ds_read2_b64 v[22:25], v12 offset1:16
	ds_read_b128 v[26:29], v13
	ds_read_b128 v[30:33], v13 offset:16
	v_add_co_u32_e32 v2, vcc, 64, v2
	v_addc_co_u32_e32 v3, vcc, 0, v3, vcc
	s_waitcnt lgkmcnt(1)
	v_mul_f32_e32 v34, v26, v23
	v_fmac_f32_e32 v34, v27, v22
	v_add_f32_e32 v46, v21, v34
	ds_read_b128 v[34:37], v13 offset:1024
	v_mul_f32_e32 v7, v27, v23
	v_fma_f32 v7, v26, v22, -v7
	v_add_f32_e32 v7, v20, v7
	v_mul_f32_e32 v20, v27, v25
	v_mul_f32_e32 v21, v26, v25
	v_fma_f32 v20, v26, v24, -v20
	v_fmac_f32_e32 v21, v27, v24
	v_add_f32_e32 v26, v18, v20
	v_add_f32_e32 v27, v19, v21
	ds_read_b128 v[18:21], v13 offset:1040
	s_waitcnt lgkmcnt(1)
	v_mul_f32_e32 v38, v35, v23
	v_mul_f32_e32 v23, v34, v23
	v_fma_f32 v38, v34, v22, -v38
	v_fmac_f32_e32 v23, v35, v22
	v_mul_f32_e32 v22, v35, v25
	v_fma_f32 v47, v34, v24, -v22
	v_mul_f32_e32 v34, v34, v25
	v_add_f32_e32 v14, v14, v38
	v_add_f32_e32 v15, v15, v23
	v_fmac_f32_e32 v34, v35, v24
	ds_read2_b64 v[22:25], v12 offset0:32 offset1:48
	ds_read_b128 v[38:41], v13 offset:32
	ds_read_b128 v[42:45], v13 offset:48
	v_add_f32_e32 v35, v16, v47
	v_add_f32_e32 v34, v17, v34
	s_waitcnt lgkmcnt(2)
	v_mul_f32_e32 v16, v29, v23
	v_fma_f32 v16, v28, v22, -v16
	v_mul_f32_e32 v17, v28, v23
	v_fmac_f32_e32 v17, v29, v22
	v_add_f32_e32 v7, v7, v16
	v_mul_f32_e32 v16, v29, v25
	v_add_f32_e32 v46, v46, v17
	v_fma_f32 v16, v28, v24, -v16
	v_mul_f32_e32 v17, v28, v25
	v_fmac_f32_e32 v17, v29, v24
	v_add_f32_e32 v26, v26, v16
	v_mul_f32_e32 v16, v37, v23
	v_add_f32_e32 v27, v27, v17
	;; [unrolled: 6-line block ×3, first 2 shown]
	v_fma_f32 v28, v36, v24, -v14
	ds_read2_b64 v[14:17], v12 offset0:64 offset1:80
	v_mul_f32_e32 v25, v36, v25
	v_fmac_f32_e32 v25, v37, v24
	v_add_f32_e32 v29, v34, v25
	v_add_f32_e32 v28, v35, v28
	s_waitcnt lgkmcnt(0)
	v_mul_f32_e32 v24, v31, v15
	v_fma_f32 v24, v30, v14, -v24
	v_add_f32_e32 v7, v7, v24
	v_mul_f32_e32 v24, v31, v17
	v_mul_f32_e32 v25, v30, v15
	v_fma_f32 v24, v30, v16, -v24
	v_fmac_f32_e32 v25, v31, v14
	v_add_f32_e32 v26, v26, v24
	v_mul_f32_e32 v24, v19, v15
	v_add_f32_e32 v34, v46, v25
	v_mul_f32_e32 v25, v30, v17
	v_fma_f32 v24, v18, v14, -v24
	v_mul_f32_e32 v15, v18, v15
	v_fmac_f32_e32 v25, v31, v16
	v_fmac_f32_e32 v15, v19, v14
	v_add_f32_e32 v14, v22, v24
	v_mul_f32_e32 v22, v19, v17
	v_add_f32_e32 v27, v27, v25
	v_add_f32_e32 v15, v23, v15
	v_fma_f32 v30, v18, v16, -v22
	ds_read2_b64 v[22:25], v12 offset0:96 offset1:112
	v_mul_f32_e32 v17, v18, v17
	v_fmac_f32_e32 v17, v19, v16
	v_add_f32_e32 v19, v29, v17
	v_add_f32_e32 v18, v28, v30
	s_waitcnt lgkmcnt(0)
	v_mul_f32_e32 v16, v33, v23
	v_fma_f32 v16, v32, v22, -v16
	v_mul_f32_e32 v17, v32, v23
	v_fmac_f32_e32 v17, v33, v22
	v_add_f32_e32 v7, v7, v16
	v_mul_f32_e32 v16, v33, v25
	v_add_f32_e32 v28, v34, v17
	v_fma_f32 v16, v32, v24, -v16
	v_mul_f32_e32 v17, v32, v25
	v_fmac_f32_e32 v17, v33, v24
	v_add_f32_e32 v26, v26, v16
	v_mul_f32_e32 v16, v21, v23
	v_add_f32_e32 v27, v27, v17
	;; [unrolled: 6-line block ×3, first 2 shown]
	v_fma_f32 v22, v20, v24, -v14
	ds_read2_b64 v[14:17], v12 offset0:128 offset1:144
	v_mul_f32_e32 v20, v20, v25
	v_fmac_f32_e32 v20, v21, v24
	v_add_f32_e32 v31, v18, v22
	v_add_f32_e32 v32, v19, v20
	s_waitcnt lgkmcnt(0)
	v_mul_f32_e32 v18, v39, v15
	v_fma_f32 v18, v38, v14, -v18
	v_mul_f32_e32 v19, v38, v15
	v_fmac_f32_e32 v19, v39, v14
	v_add_f32_e32 v7, v7, v18
	v_mul_f32_e32 v18, v39, v17
	v_add_f32_e32 v33, v28, v19
	v_fma_f32 v22, v38, v16, -v18
	ds_read_b128 v[18:21], v13 offset:1056
	v_mul_f32_e32 v23, v38, v17
	v_fmac_f32_e32 v23, v39, v16
	v_add_f32_e32 v34, v26, v22
	v_add_f32_e32 v35, v27, v23
	ds_read_b128 v[22:25], v13 offset:1072
	s_waitcnt lgkmcnt(1)
	v_mul_f32_e32 v26, v19, v15
	v_fma_f32 v26, v18, v14, -v26
	v_mul_f32_e32 v15, v18, v15
	v_fmac_f32_e32 v15, v19, v14
	v_add_f32_e32 v14, v29, v26
	v_mul_f32_e32 v26, v19, v17
	v_add_f32_e32 v15, v30, v15
	v_fma_f32 v30, v18, v16, -v26
	ds_read2_b64 v[26:29], v12 offset0:160 offset1:176
	v_mul_f32_e32 v17, v18, v17
	v_fmac_f32_e32 v17, v19, v16
	v_add_f32_e32 v19, v32, v17
	v_add_f32_e32 v18, v31, v30
	s_waitcnt lgkmcnt(0)
	v_mul_f32_e32 v16, v41, v27
	v_fma_f32 v16, v40, v26, -v16
	v_mul_f32_e32 v17, v40, v27
	v_fmac_f32_e32 v17, v41, v26
	v_add_f32_e32 v7, v7, v16
	v_mul_f32_e32 v16, v41, v29
	v_add_f32_e32 v30, v33, v17
	v_fma_f32 v16, v40, v28, -v16
	v_mul_f32_e32 v17, v40, v29
	v_fmac_f32_e32 v17, v41, v28
	v_add_f32_e32 v31, v34, v16
	v_mul_f32_e32 v16, v21, v27
	v_add_f32_e32 v32, v35, v17
	;; [unrolled: 6-line block ×3, first 2 shown]
	v_fma_f32 v33, v20, v28, -v14
	ds_read2_b64 v[14:17], v12 offset0:192 offset1:208
	v_mul_f32_e32 v20, v20, v29
	v_fmac_f32_e32 v20, v21, v28
	v_add_f32_e32 v19, v19, v20
	v_add_f32_e32 v18, v18, v33
	s_waitcnt lgkmcnt(0)
	v_mul_f32_e32 v20, v43, v15
	v_fma_f32 v20, v42, v14, -v20
	v_mul_f32_e32 v21, v42, v15
	v_add_f32_e32 v7, v7, v20
	v_mul_f32_e32 v20, v43, v17
	v_fmac_f32_e32 v21, v43, v14
	v_fma_f32 v20, v42, v16, -v20
	v_add_f32_e32 v21, v30, v21
	v_mul_f32_e32 v28, v42, v17
	v_add_f32_e32 v30, v31, v20
	v_mul_f32_e32 v20, v23, v15
	v_mul_f32_e32 v15, v22, v15
	v_fmac_f32_e32 v28, v43, v16
	v_fma_f32 v20, v22, v14, -v20
	v_fmac_f32_e32 v15, v23, v14
	v_add_f32_e32 v31, v32, v28
	v_add_f32_e32 v14, v26, v20
	v_add_f32_e32 v15, v27, v15
	ds_read2_b64 v[26:29], v12 offset0:224 offset1:240
	v_mul_f32_e32 v20, v23, v17
	v_fma_f32 v20, v22, v16, -v20
	v_mul_f32_e32 v17, v22, v17
	v_fmac_f32_e32 v17, v23, v16
	v_add_f32_e32 v16, v18, v20
	s_waitcnt lgkmcnt(0)
	v_mul_f32_e32 v18, v45, v27
	v_fma_f32 v18, v44, v26, -v18
	v_add_f32_e32 v20, v7, v18
	v_mul_f32_e32 v7, v45, v29
	v_fma_f32 v7, v44, v28, -v7
	v_add_f32_e32 v17, v19, v17
	v_mul_f32_e32 v19, v44, v27
	v_add_f32_e32 v18, v30, v7
	v_mul_f32_e32 v7, v25, v27
	v_mul_f32_e32 v22, v24, v27
	v_fmac_f32_e32 v19, v45, v26
	v_fma_f32 v7, v24, v26, -v7
	v_fmac_f32_e32 v22, v25, v26
	v_add_f32_e32 v21, v21, v19
	v_mul_f32_e32 v19, v44, v29
	v_add_f32_e32 v14, v14, v7
	v_add_f32_e32 v15, v15, v22
	v_mul_f32_e32 v7, v25, v29
	v_mul_f32_e32 v22, v24, v29
	v_fmac_f32_e32 v19, v45, v28
	v_fma_f32 v7, v24, v28, -v7
	v_fmac_f32_e32 v22, v25, v28
	s_add_i32 s9, s9, 8
	v_add_co_u32_e32 v4, vcc, 64, v4
	v_add_f32_e32 v19, v31, v19
	v_add_f32_e32 v16, v16, v7
	;; [unrolled: 1-line block ×3, first 2 shown]
	s_cmp_ge_i32 s9, s21
	v_addc_co_u32_e32 v5, vcc, 0, v5, vcc
	s_barrier
	s_cbranch_scc1 .LBB684_12
.LBB684_3:                              ; =>This Inner Loop Header: Depth=1
	v_add_u32_e32 v7, s9, v9
	v_cmp_le_i32_e32 vcc, s21, v7
	s_or_b64 s[6:7], s[2:3], vcc
	s_and_saveexec_b64 s[18:19], s[6:7]
	s_xor_b64 s[6:7], exec, s[18:19]
; %bb.4:                                ;   in Loop: Header=BB684_3 Depth=1
	v_mov_b32_e32 v7, v6
	ds_write_b64 v10, v[6:7]
; %bb.5:                                ;   in Loop: Header=BB684_3 Depth=1
	s_andn2_saveexec_b64 s[6:7], s[6:7]
	s_cbranch_execz .LBB684_7
; %bb.6:                                ;   in Loop: Header=BB684_3 Depth=1
	flat_load_dwordx2 v[22:23], v[2:3]
	s_waitcnt vmcnt(0) lgkmcnt(0)
	ds_write_b64 v10, v[22:23]
.LBB684_7:                              ;   in Loop: Header=BB684_3 Depth=1
	s_or_b64 exec, exec, s[6:7]
	v_add_u32_e32 v7, s9, v8
	v_cmp_le_i32_e32 vcc, s21, v7
	s_or_b64 s[6:7], vcc, s[0:1]
	s_and_saveexec_b64 s[18:19], s[6:7]
	s_xor_b64 s[6:7], exec, s[18:19]
; %bb.8:                                ;   in Loop: Header=BB684_3 Depth=1
	v_mov_b32_e32 v7, v6
	ds_write_b64 v11, v[6:7]
; %bb.9:                                ;   in Loop: Header=BB684_3 Depth=1
	s_andn2_saveexec_b64 s[6:7], s[6:7]
	s_cbranch_execz .LBB684_2
; %bb.10:                               ;   in Loop: Header=BB684_3 Depth=1
	flat_load_dwordx2 v[22:23], v[4:5]
	s_waitcnt vmcnt(0) lgkmcnt(0)
	ds_write_b64 v11, v[22:23]
	s_branch .LBB684_2
.LBB684_11:
	v_mov_b32_e32 v20, 0
	v_mov_b32_e32 v21, 0
	;; [unrolled: 1-line block ×8, first 2 shown]
.LBB684_12:
	s_load_dword s6, s[4:5], 0x50
	v_add_u32_e32 v4, s14, v1
	s_waitcnt lgkmcnt(0)
	v_mov_b32_e32 v3, s11
	v_add_u32_e32 v0, s8, v0
	v_mad_i64_i32 v[1:2], s[0:1], v4, s6, 0
	v_cmp_le_i32_e64 s[0:1], v4, v0
	v_lshlrev_b64 v[1:2], 3, v[1:2]
	v_add_co_u32_e32 v5, vcc, s10, v1
	v_addc_co_u32_e32 v6, vcc, v3, v2, vcc
	v_cmp_gt_i32_e32 vcc, s20, v0
	s_and_b64 s[0:1], s[0:1], vcc
	s_and_saveexec_b64 s[2:3], s[0:1]
	s_cbranch_execz .LBB684_14
; %bb.13:
	v_ashrrev_i32_e32 v1, 31, v0
	v_lshlrev_b64 v[1:2], 3, v[0:1]
	v_mul_f32_e32 v3, s17, v21
	v_add_co_u32_e64 v1, s[0:1], v5, v1
	v_addc_co_u32_e64 v2, s[0:1], v6, v2, s[0:1]
	flat_load_dwordx2 v[7:8], v[1:2]
	v_mul_f32_e32 v9, s16, v21
	v_fma_f32 v3, v20, s16, -v3
	v_fmac_f32_e32 v9, s17, v20
	s_waitcnt vmcnt(0) lgkmcnt(0)
	v_mul_f32_e32 v10, s13, v8
	v_mul_f32_e32 v8, s12, v8
	v_fma_f32 v10, v7, s12, -v10
	v_fmac_f32_e32 v8, s13, v7
	v_add_f32_e32 v7, v3, v10
	v_add_f32_e32 v8, v9, v8
	flat_store_dwordx2 v[1:2], v[7:8]
.LBB684_14:
	s_or_b64 exec, exec, s[2:3]
	v_add_u32_e32 v2, 16, v0
	v_cmp_le_i32_e64 s[2:3], v4, v2
	v_cmp_gt_i32_e64 s[0:1], s20, v2
	s_and_b64 s[2:3], s[2:3], s[0:1]
	s_and_saveexec_b64 s[4:5], s[2:3]
	s_cbranch_execz .LBB684_16
; %bb.15:
	v_ashrrev_i32_e32 v3, 31, v2
	v_lshlrev_b64 v[7:8], 3, v[2:3]
	v_mul_f32_e32 v1, s17, v19
	v_add_co_u32_e64 v5, s[2:3], v5, v7
	v_addc_co_u32_e64 v6, s[2:3], v6, v8, s[2:3]
	flat_load_dwordx2 v[7:8], v[5:6]
	v_mul_f32_e32 v3, s16, v19
	v_fma_f32 v1, v18, s16, -v1
	v_fmac_f32_e32 v3, s17, v18
	s_waitcnt vmcnt(0) lgkmcnt(0)
	v_mul_f32_e32 v9, s13, v8
	v_mul_f32_e32 v8, s12, v8
	v_fma_f32 v9, v7, s12, -v9
	v_fmac_f32_e32 v8, s13, v7
	v_add_f32_e32 v7, v1, v9
	v_add_f32_e32 v8, v3, v8
	flat_store_dwordx2 v[5:6], v[7:8]
.LBB684_16:
	s_or_b64 exec, exec, s[4:5]
	v_add_u32_e32 v3, 16, v4
	v_mad_i64_i32 v[4:5], s[2:3], v3, s6, 0
	v_mov_b32_e32 v1, s11
	v_lshlrev_b64 v[4:5], 3, v[4:5]
	v_add_co_u32_e64 v4, s[2:3], s10, v4
	v_addc_co_u32_e64 v5, s[2:3], v1, v5, s[2:3]
	v_cmp_le_i32_e64 s[2:3], v3, v0
	s_and_b64 s[4:5], s[2:3], vcc
	s_and_saveexec_b64 s[2:3], s[4:5]
	s_cbranch_execz .LBB684_18
; %bb.17:
	v_ashrrev_i32_e32 v1, 31, v0
	v_lshlrev_b64 v[0:1], 3, v[0:1]
	v_mul_f32_e32 v8, s17, v15
	v_add_co_u32_e32 v0, vcc, v4, v0
	v_addc_co_u32_e32 v1, vcc, v5, v1, vcc
	flat_load_dwordx2 v[6:7], v[0:1]
	v_mul_f32_e32 v9, s16, v15
	v_fma_f32 v8, v14, s16, -v8
	v_fmac_f32_e32 v9, s17, v14
	s_waitcnt vmcnt(0) lgkmcnt(0)
	v_mul_f32_e32 v10, s13, v7
	v_mul_f32_e32 v7, s12, v7
	v_fma_f32 v10, v6, s12, -v10
	v_fmac_f32_e32 v7, s13, v6
	v_add_f32_e32 v6, v8, v10
	v_add_f32_e32 v7, v9, v7
	flat_store_dwordx2 v[0:1], v[6:7]
.LBB684_18:
	s_or_b64 exec, exec, s[2:3]
	v_cmp_le_i32_e32 vcc, v3, v2
	s_and_b64 s[0:1], vcc, s[0:1]
	s_and_saveexec_b64 s[2:3], s[0:1]
	s_cbranch_execz .LBB684_20
; %bb.19:
	v_ashrrev_i32_e32 v3, 31, v2
	v_lshlrev_b64 v[0:1], 3, v[2:3]
	v_add_co_u32_e32 v0, vcc, v4, v0
	v_addc_co_u32_e32 v1, vcc, v5, v1, vcc
	flat_load_dwordx2 v[2:3], v[0:1]
	v_mul_f32_e32 v4, s17, v17
	v_mul_f32_e32 v5, s16, v17
	v_fma_f32 v4, v16, s16, -v4
	v_fmac_f32_e32 v5, s17, v16
	s_waitcnt vmcnt(0) lgkmcnt(0)
	v_mul_f32_e32 v6, s13, v3
	v_mul_f32_e32 v3, s12, v3
	v_fma_f32 v6, v2, s12, -v6
	v_fmac_f32_e32 v3, s13, v2
	v_add_f32_e32 v2, v4, v6
	v_add_f32_e32 v3, v5, v3
	flat_store_dwordx2 v[0:1], v[2:3]
.LBB684_20:
	s_endpgm
	.section	.rodata,"a",@progbits
	.p2align	6, 0x0
	.amdhsa_kernel _ZL34rocblas_syrkx_herkx_general_kernelIi19rocblas_complex_numIfELi16ELi32ELi8ELb0ELb0ELc84ELc76EKPKS1_KPS1_EviT_T0_PT8_S7_lSA_S7_lS8_PT9_S7_li
		.amdhsa_group_segment_fixed_size 4096
		.amdhsa_private_segment_fixed_size 0
		.amdhsa_kernarg_size 100
		.amdhsa_user_sgpr_count 6
		.amdhsa_user_sgpr_private_segment_buffer 1
		.amdhsa_user_sgpr_dispatch_ptr 0
		.amdhsa_user_sgpr_queue_ptr 0
		.amdhsa_user_sgpr_kernarg_segment_ptr 1
		.amdhsa_user_sgpr_dispatch_id 0
		.amdhsa_user_sgpr_flat_scratch_init 0
		.amdhsa_user_sgpr_private_segment_size 0
		.amdhsa_uses_dynamic_stack 0
		.amdhsa_system_sgpr_private_segment_wavefront_offset 0
		.amdhsa_system_sgpr_workgroup_id_x 1
		.amdhsa_system_sgpr_workgroup_id_y 1
		.amdhsa_system_sgpr_workgroup_id_z 1
		.amdhsa_system_sgpr_workgroup_info 0
		.amdhsa_system_vgpr_workitem_id 1
		.amdhsa_next_free_vgpr 48
		.amdhsa_next_free_sgpr 23
		.amdhsa_reserve_vcc 1
		.amdhsa_reserve_flat_scratch 0
		.amdhsa_float_round_mode_32 0
		.amdhsa_float_round_mode_16_64 0
		.amdhsa_float_denorm_mode_32 3
		.amdhsa_float_denorm_mode_16_64 3
		.amdhsa_dx10_clamp 1
		.amdhsa_ieee_mode 1
		.amdhsa_fp16_overflow 0
		.amdhsa_exception_fp_ieee_invalid_op 0
		.amdhsa_exception_fp_denorm_src 0
		.amdhsa_exception_fp_ieee_div_zero 0
		.amdhsa_exception_fp_ieee_overflow 0
		.amdhsa_exception_fp_ieee_underflow 0
		.amdhsa_exception_fp_ieee_inexact 0
		.amdhsa_exception_int_div_zero 0
	.end_amdhsa_kernel
	.section	.text._ZL34rocblas_syrkx_herkx_general_kernelIi19rocblas_complex_numIfELi16ELi32ELi8ELb0ELb0ELc84ELc76EKPKS1_KPS1_EviT_T0_PT8_S7_lSA_S7_lS8_PT9_S7_li,"axG",@progbits,_ZL34rocblas_syrkx_herkx_general_kernelIi19rocblas_complex_numIfELi16ELi32ELi8ELb0ELb0ELc84ELc76EKPKS1_KPS1_EviT_T0_PT8_S7_lSA_S7_lS8_PT9_S7_li,comdat
.Lfunc_end684:
	.size	_ZL34rocblas_syrkx_herkx_general_kernelIi19rocblas_complex_numIfELi16ELi32ELi8ELb0ELb0ELc84ELc76EKPKS1_KPS1_EviT_T0_PT8_S7_lSA_S7_lS8_PT9_S7_li, .Lfunc_end684-_ZL34rocblas_syrkx_herkx_general_kernelIi19rocblas_complex_numIfELi16ELi32ELi8ELb0ELb0ELc84ELc76EKPKS1_KPS1_EviT_T0_PT8_S7_lSA_S7_lS8_PT9_S7_li
                                        ; -- End function
	.set _ZL34rocblas_syrkx_herkx_general_kernelIi19rocblas_complex_numIfELi16ELi32ELi8ELb0ELb0ELc84ELc76EKPKS1_KPS1_EviT_T0_PT8_S7_lSA_S7_lS8_PT9_S7_li.num_vgpr, 48
	.set _ZL34rocblas_syrkx_herkx_general_kernelIi19rocblas_complex_numIfELi16ELi32ELi8ELb0ELb0ELc84ELc76EKPKS1_KPS1_EviT_T0_PT8_S7_lSA_S7_lS8_PT9_S7_li.num_agpr, 0
	.set _ZL34rocblas_syrkx_herkx_general_kernelIi19rocblas_complex_numIfELi16ELi32ELi8ELb0ELb0ELc84ELc76EKPKS1_KPS1_EviT_T0_PT8_S7_lSA_S7_lS8_PT9_S7_li.numbered_sgpr, 23
	.set _ZL34rocblas_syrkx_herkx_general_kernelIi19rocblas_complex_numIfELi16ELi32ELi8ELb0ELb0ELc84ELc76EKPKS1_KPS1_EviT_T0_PT8_S7_lSA_S7_lS8_PT9_S7_li.num_named_barrier, 0
	.set _ZL34rocblas_syrkx_herkx_general_kernelIi19rocblas_complex_numIfELi16ELi32ELi8ELb0ELb0ELc84ELc76EKPKS1_KPS1_EviT_T0_PT8_S7_lSA_S7_lS8_PT9_S7_li.private_seg_size, 0
	.set _ZL34rocblas_syrkx_herkx_general_kernelIi19rocblas_complex_numIfELi16ELi32ELi8ELb0ELb0ELc84ELc76EKPKS1_KPS1_EviT_T0_PT8_S7_lSA_S7_lS8_PT9_S7_li.uses_vcc, 1
	.set _ZL34rocblas_syrkx_herkx_general_kernelIi19rocblas_complex_numIfELi16ELi32ELi8ELb0ELb0ELc84ELc76EKPKS1_KPS1_EviT_T0_PT8_S7_lSA_S7_lS8_PT9_S7_li.uses_flat_scratch, 0
	.set _ZL34rocblas_syrkx_herkx_general_kernelIi19rocblas_complex_numIfELi16ELi32ELi8ELb0ELb0ELc84ELc76EKPKS1_KPS1_EviT_T0_PT8_S7_lSA_S7_lS8_PT9_S7_li.has_dyn_sized_stack, 0
	.set _ZL34rocblas_syrkx_herkx_general_kernelIi19rocblas_complex_numIfELi16ELi32ELi8ELb0ELb0ELc84ELc76EKPKS1_KPS1_EviT_T0_PT8_S7_lSA_S7_lS8_PT9_S7_li.has_recursion, 0
	.set _ZL34rocblas_syrkx_herkx_general_kernelIi19rocblas_complex_numIfELi16ELi32ELi8ELb0ELb0ELc84ELc76EKPKS1_KPS1_EviT_T0_PT8_S7_lSA_S7_lS8_PT9_S7_li.has_indirect_call, 0
	.section	.AMDGPU.csdata,"",@progbits
; Kernel info:
; codeLenInByte = 2220
; TotalNumSgprs: 27
; NumVgprs: 48
; ScratchSize: 0
; MemoryBound: 1
; FloatMode: 240
; IeeeMode: 1
; LDSByteSize: 4096 bytes/workgroup (compile time only)
; SGPRBlocks: 3
; VGPRBlocks: 11
; NumSGPRsForWavesPerEU: 27
; NumVGPRsForWavesPerEU: 48
; Occupancy: 5
; WaveLimiterHint : 1
; COMPUTE_PGM_RSRC2:SCRATCH_EN: 0
; COMPUTE_PGM_RSRC2:USER_SGPR: 6
; COMPUTE_PGM_RSRC2:TRAP_HANDLER: 0
; COMPUTE_PGM_RSRC2:TGID_X_EN: 1
; COMPUTE_PGM_RSRC2:TGID_Y_EN: 1
; COMPUTE_PGM_RSRC2:TGID_Z_EN: 1
; COMPUTE_PGM_RSRC2:TIDIG_COMP_CNT: 1
	.section	.text._ZL34rocblas_syrkx_herkx_general_kernelIi19rocblas_complex_numIfELi16ELi32ELi8ELb0ELb0ELc67ELc76EKPKS1_KPS1_EviT_T0_PT8_S7_lSA_S7_lS8_PT9_S7_li,"axG",@progbits,_ZL34rocblas_syrkx_herkx_general_kernelIi19rocblas_complex_numIfELi16ELi32ELi8ELb0ELb0ELc67ELc76EKPKS1_KPS1_EviT_T0_PT8_S7_lSA_S7_lS8_PT9_S7_li,comdat
	.globl	_ZL34rocblas_syrkx_herkx_general_kernelIi19rocblas_complex_numIfELi16ELi32ELi8ELb0ELb0ELc67ELc76EKPKS1_KPS1_EviT_T0_PT8_S7_lSA_S7_lS8_PT9_S7_li ; -- Begin function _ZL34rocblas_syrkx_herkx_general_kernelIi19rocblas_complex_numIfELi16ELi32ELi8ELb0ELb0ELc67ELc76EKPKS1_KPS1_EviT_T0_PT8_S7_lSA_S7_lS8_PT9_S7_li
	.p2align	8
	.type	_ZL34rocblas_syrkx_herkx_general_kernelIi19rocblas_complex_numIfELi16ELi32ELi8ELb0ELb0ELc67ELc76EKPKS1_KPS1_EviT_T0_PT8_S7_lSA_S7_lS8_PT9_S7_li,@function
_ZL34rocblas_syrkx_herkx_general_kernelIi19rocblas_complex_numIfELi16ELi32ELi8ELb0ELb0ELc67ELc76EKPKS1_KPS1_EviT_T0_PT8_S7_lSA_S7_lS8_PT9_S7_li: ; @_ZL34rocblas_syrkx_herkx_general_kernelIi19rocblas_complex_numIfELi16ELi32ELi8ELb0ELb0ELc67ELc76EKPKS1_KPS1_EviT_T0_PT8_S7_lSA_S7_lS8_PT9_S7_li
; %bb.0:
	s_load_dwordx4 s[12:15], s[4:5], 0x40
	s_load_dwordx2 s[20:21], s[4:5], 0x0
	s_load_dwordx4 s[16:19], s[4:5], 0x8
	s_mov_b32 s9, 0
	s_lshl_b64 s[0:1], s[8:9], 3
	s_waitcnt lgkmcnt(0)
	s_add_u32 s2, s14, s0
	s_addc_u32 s3, s15, s1
	s_load_dwordx2 s[10:11], s[2:3], 0x0
	s_lshl_b32 s6, s6, 5
	s_lshl_b32 s7, s7, 5
	s_cmp_lt_i32 s21, 1
	s_cbranch_scc1 .LBB685_9
; %bb.1:
	s_load_dword s8, s[4:5], 0x18
	s_load_dwordx2 s[2:3], s[4:5], 0x28
	s_load_dword s22, s[4:5], 0x30
	v_lshl_add_u32 v2, v1, 4, v0
	v_and_b32_e32 v9, 7, v0
	v_lshrrev_b32_e32 v10, 5, v2
	v_lshrrev_b32_e32 v3, 3, v2
	v_and_b32_e32 v2, 31, v2
	v_or_b32_e32 v5, s6, v2
	s_waitcnt lgkmcnt(0)
	s_add_u32 s2, s2, s0
	v_lshlrev_b32_e32 v6, 3, v9
	v_add_u32_e32 v4, s7, v3
	s_addc_u32 s3, s3, s1
	v_cmp_gt_i32_e32 vcc, s20, v5
	v_lshlrev_b32_e32 v5, 3, v2
	v_lshl_or_b32 v3, v3, 6, v6
	v_add_u32_e32 v2, s6, v2
	s_load_dwordx2 s[14:15], s[2:3], 0x0
	v_add_u32_e32 v12, 0x800, v3
	v_mad_i64_i32 v[2:3], s[2:3], s8, v2, 0
	s_add_u32 s0, s18, s0
	v_lshl_or_b32 v11, v10, 8, v5
	v_mov_b32_e32 v5, 0x800
	v_lshlrev_b64 v[2:3], 3, v[2:3]
	s_addc_u32 s1, s19, s1
	v_lshl_add_u32 v14, v1, 6, v5
	v_lshlrev_b32_e32 v5, 3, v10
	s_load_dwordx2 s[18:19], s[0:1], 0x0
	v_add_co_u32_e64 v2, s[2:3], v2, v5
	v_cmp_gt_i32_e64 s[0:1], s20, v4
	v_addc_co_u32_e64 v3, s[2:3], 0, v3, s[2:3]
	v_mad_i64_i32 v[4:5], s[2:3], s22, v4, 0
	s_waitcnt lgkmcnt(0)
	v_mov_b32_e32 v7, s19
	v_add_co_u32_e64 v2, s[2:3], s18, v2
	v_lshlrev_b64 v[4:5], 3, v[4:5]
	v_addc_co_u32_e64 v3, s[2:3], v7, v3, s[2:3]
	v_add_co_u32_e64 v4, s[2:3], v4, v6
	v_addc_co_u32_e64 v5, s[2:3], 0, v5, s[2:3]
	v_mov_b32_e32 v6, s15
	v_add_co_u32_e64 v4, s[2:3], s14, v4
	v_addc_co_u32_e64 v5, s[2:3], v6, v5, s[2:3]
	v_lshlrev_b32_e32 v13, 3, v0
	s_xor_b64 s[2:3], s[0:1], -1
	v_mov_b32_e32 v18, 0
	v_mov_b32_e32 v17, 0
	;; [unrolled: 1-line block ×9, first 2 shown]
	s_branch .LBB685_3
.LBB685_2:                              ;   in Loop: Header=BB685_3 Depth=1
	s_or_b64 exec, exec, s[0:1]
	s_waitcnt lgkmcnt(0)
	s_barrier
	ds_read2_b64 v[23:26], v13 offset1:16
	ds_read_b128 v[27:30], v14
	ds_read_b128 v[31:34], v14 offset:16
	ds_read_b128 v[35:38], v14 offset:1024
	v_add_co_u32_e64 v2, s[0:1], 64, v2
	s_waitcnt lgkmcnt(2)
	v_mul_f32_e32 v7, v28, v24
	v_mul_f32_e32 v8, v27, v24
	v_fma_f32 v7, v27, v23, -v7
	v_fmac_f32_e32 v8, v28, v23
	v_add_f32_e32 v7, v21, v7
	v_add_f32_e32 v8, v22, v8
	v_mul_f32_e32 v21, v28, v26
	v_mul_f32_e32 v22, v27, v26
	v_fma_f32 v21, v27, v25, -v21
	v_fmac_f32_e32 v22, v28, v25
	v_add_f32_e32 v27, v19, v21
	v_add_f32_e32 v28, v20, v22
	ds_read_b128 v[19:22], v14 offset:1040
	s_waitcnt lgkmcnt(1)
	v_mul_f32_e32 v39, v36, v24
	v_mul_f32_e32 v24, v35, v24
	v_fma_f32 v39, v35, v23, -v39
	v_fmac_f32_e32 v24, v36, v23
	v_mul_f32_e32 v23, v36, v26
	v_fma_f32 v47, v35, v25, -v23
	v_mul_f32_e32 v35, v35, v26
	v_add_f32_e32 v15, v15, v39
	v_add_f32_e32 v16, v16, v24
	v_fmac_f32_e32 v35, v36, v25
	ds_read2_b64 v[23:26], v13 offset0:32 offset1:48
	ds_read_b128 v[39:42], v14 offset:32
	ds_read_b128 v[43:46], v14 offset:48
	v_add_f32_e32 v36, v17, v47
	v_add_f32_e32 v35, v18, v35
	s_waitcnt lgkmcnt(2)
	v_mul_f32_e32 v17, v30, v24
	v_fma_f32 v17, v29, v23, -v17
	v_mul_f32_e32 v18, v29, v24
	v_fmac_f32_e32 v18, v30, v23
	v_add_f32_e32 v7, v7, v17
	v_mul_f32_e32 v17, v30, v26
	v_add_f32_e32 v8, v8, v18
	v_fma_f32 v17, v29, v25, -v17
	v_mul_f32_e32 v18, v29, v26
	v_fmac_f32_e32 v18, v30, v25
	v_add_f32_e32 v27, v27, v17
	v_mul_f32_e32 v17, v38, v24
	v_add_f32_e32 v28, v28, v18
	;; [unrolled: 6-line block ×3, first 2 shown]
	v_fma_f32 v29, v37, v25, -v15
	ds_read2_b64 v[15:18], v13 offset0:64 offset1:80
	v_mul_f32_e32 v26, v37, v26
	v_fmac_f32_e32 v26, v38, v25
	v_add_f32_e32 v30, v35, v26
	v_add_f32_e32 v29, v36, v29
	s_waitcnt lgkmcnt(0)
	v_mul_f32_e32 v25, v32, v16
	v_fma_f32 v25, v31, v15, -v25
	v_add_f32_e32 v7, v7, v25
	v_mul_f32_e32 v25, v32, v18
	v_mul_f32_e32 v26, v31, v16
	v_fma_f32 v25, v31, v17, -v25
	v_fmac_f32_e32 v26, v32, v15
	v_add_f32_e32 v27, v27, v25
	v_mul_f32_e32 v25, v20, v16
	v_add_f32_e32 v8, v8, v26
	v_mul_f32_e32 v26, v31, v18
	v_fma_f32 v25, v19, v15, -v25
	v_mul_f32_e32 v16, v19, v16
	v_fmac_f32_e32 v26, v32, v17
	v_fmac_f32_e32 v16, v20, v15
	v_add_f32_e32 v15, v23, v25
	v_mul_f32_e32 v23, v20, v18
	v_add_f32_e32 v28, v28, v26
	v_add_f32_e32 v16, v24, v16
	v_fma_f32 v31, v19, v17, -v23
	ds_read2_b64 v[23:26], v13 offset0:96 offset1:112
	v_mul_f32_e32 v18, v19, v18
	v_fmac_f32_e32 v18, v20, v17
	v_add_f32_e32 v20, v30, v18
	v_add_f32_e32 v19, v29, v31
	s_waitcnt lgkmcnt(0)
	v_mul_f32_e32 v17, v34, v24
	v_fma_f32 v17, v33, v23, -v17
	v_mul_f32_e32 v18, v33, v24
	v_fmac_f32_e32 v18, v34, v23
	v_add_f32_e32 v7, v7, v17
	v_mul_f32_e32 v17, v34, v26
	v_add_f32_e32 v8, v8, v18
	v_fma_f32 v17, v33, v25, -v17
	v_mul_f32_e32 v18, v33, v26
	v_fmac_f32_e32 v18, v34, v25
	v_add_f32_e32 v27, v27, v17
	v_mul_f32_e32 v17, v22, v24
	v_add_f32_e32 v28, v28, v18
	;; [unrolled: 6-line block ×3, first 2 shown]
	v_fma_f32 v23, v21, v25, -v15
	ds_read2_b64 v[15:18], v13 offset0:128 offset1:144
	v_mul_f32_e32 v21, v21, v26
	v_fmac_f32_e32 v21, v22, v25
	v_add_f32_e32 v31, v19, v23
	v_add_f32_e32 v32, v20, v21
	s_waitcnt lgkmcnt(0)
	v_mul_f32_e32 v19, v40, v16
	v_fma_f32 v19, v39, v15, -v19
	v_mul_f32_e32 v20, v39, v16
	v_fmac_f32_e32 v20, v40, v15
	v_add_f32_e32 v7, v7, v19
	v_mul_f32_e32 v19, v40, v18
	v_add_f32_e32 v8, v8, v20
	v_fma_f32 v23, v39, v17, -v19
	ds_read_b128 v[19:22], v14 offset:1056
	v_mul_f32_e32 v24, v39, v18
	v_fmac_f32_e32 v24, v40, v17
	v_add_f32_e32 v33, v27, v23
	v_add_f32_e32 v34, v28, v24
	ds_read_b128 v[23:26], v14 offset:1072
	s_waitcnt lgkmcnt(1)
	v_mul_f32_e32 v27, v20, v16
	v_fma_f32 v27, v19, v15, -v27
	v_mul_f32_e32 v16, v19, v16
	v_fmac_f32_e32 v16, v20, v15
	v_add_f32_e32 v15, v29, v27
	v_mul_f32_e32 v27, v20, v18
	v_add_f32_e32 v16, v30, v16
	v_fma_f32 v35, v19, v17, -v27
	ds_read2_b64 v[27:30], v13 offset0:160 offset1:176
	v_mul_f32_e32 v18, v19, v18
	v_fmac_f32_e32 v18, v20, v17
	v_add_f32_e32 v20, v32, v18
	v_add_f32_e32 v19, v31, v35
	s_waitcnt lgkmcnt(0)
	v_mul_f32_e32 v17, v42, v28
	v_fma_f32 v17, v41, v27, -v17
	v_mul_f32_e32 v18, v41, v28
	v_fmac_f32_e32 v18, v42, v27
	v_add_f32_e32 v7, v7, v17
	v_mul_f32_e32 v17, v42, v30
	v_add_f32_e32 v8, v8, v18
	v_fma_f32 v17, v41, v29, -v17
	v_mul_f32_e32 v18, v41, v30
	v_fmac_f32_e32 v18, v42, v29
	v_add_f32_e32 v31, v33, v17
	v_mul_f32_e32 v17, v22, v28
	v_add_f32_e32 v32, v34, v18
	;; [unrolled: 6-line block ×3, first 2 shown]
	v_fma_f32 v33, v21, v29, -v15
	ds_read2_b64 v[15:18], v13 offset0:192 offset1:208
	v_mul_f32_e32 v21, v21, v30
	v_fmac_f32_e32 v21, v22, v29
	v_add_f32_e32 v20, v20, v21
	v_add_f32_e32 v19, v19, v33
	s_waitcnt lgkmcnt(0)
	v_mul_f32_e32 v21, v44, v16
	v_fma_f32 v21, v43, v15, -v21
	v_add_f32_e32 v7, v7, v21
	v_mul_f32_e32 v21, v44, v18
	v_fma_f32 v21, v43, v17, -v21
	v_mul_f32_e32 v22, v43, v16
	v_add_f32_e32 v31, v31, v21
	v_mul_f32_e32 v21, v24, v16
	v_mul_f32_e32 v16, v23, v16
	v_fma_f32 v21, v23, v15, -v21
	v_fmac_f32_e32 v16, v24, v15
	v_fmac_f32_e32 v22, v44, v15
	v_add_f32_e32 v15, v27, v21
	v_add_f32_e32 v16, v28, v16
	ds_read2_b64 v[27:30], v13 offset0:224 offset1:240
	v_add_f32_e32 v8, v8, v22
	v_mul_f32_e32 v22, v43, v18
	v_mul_f32_e32 v21, v24, v18
	;; [unrolled: 1-line block ×3, first 2 shown]
	v_fma_f32 v21, v23, v17, -v21
	v_fmac_f32_e32 v18, v24, v17
	v_fmac_f32_e32 v22, v44, v17
	v_add_f32_e32 v17, v19, v21
	v_add_f32_e32 v18, v20, v18
	s_waitcnt lgkmcnt(0)
	v_mul_f32_e32 v19, v46, v28
	v_mul_f32_e32 v20, v45, v28
	v_fma_f32 v19, v45, v27, -v19
	v_fmac_f32_e32 v20, v46, v27
	v_add_f32_e32 v32, v32, v22
	v_add_f32_e32 v21, v7, v19
	;; [unrolled: 1-line block ×3, first 2 shown]
	v_mul_f32_e32 v7, v46, v30
	v_mul_f32_e32 v8, v45, v30
	v_fma_f32 v7, v45, v29, -v7
	v_fmac_f32_e32 v8, v46, v29
	v_add_f32_e32 v19, v31, v7
	v_add_f32_e32 v20, v32, v8
	v_mul_f32_e32 v7, v26, v28
	v_mul_f32_e32 v8, v25, v28
	v_fma_f32 v7, v25, v27, -v7
	v_fmac_f32_e32 v8, v26, v27
	v_add_f32_e32 v15, v15, v7
	v_add_f32_e32 v16, v16, v8
	v_mul_f32_e32 v7, v26, v30
	v_mul_f32_e32 v8, v25, v30
	v_addc_co_u32_e64 v3, s[0:1], 0, v3, s[0:1]
	v_fma_f32 v7, v25, v29, -v7
	v_fmac_f32_e32 v8, v26, v29
	s_add_i32 s9, s9, 8
	v_add_co_u32_e64 v4, s[0:1], 64, v4
	v_add_f32_e32 v17, v17, v7
	v_add_f32_e32 v18, v18, v8
	s_cmp_ge_i32 s9, s21
	v_addc_co_u32_e64 v5, s[0:1], 0, v5, s[0:1]
	s_barrier
	s_cbranch_scc1 .LBB685_10
.LBB685_3:                              ; =>This Inner Loop Header: Depth=1
	v_add_u32_e32 v7, s9, v10
	v_cmp_gt_i32_e64 s[0:1], s21, v7
	s_and_b64 s[14:15], vcc, s[0:1]
	v_mov_b32_e32 v7, 0
	v_mov_b32_e32 v8, 0
	s_and_saveexec_b64 s[0:1], s[14:15]
	s_cbranch_execz .LBB685_5
; %bb.4:                                ;   in Loop: Header=BB685_3 Depth=1
	flat_load_dwordx2 v[7:8], v[2:3]
.LBB685_5:                              ;   in Loop: Header=BB685_3 Depth=1
	s_or_b64 exec, exec, s[0:1]
	s_waitcnt vmcnt(0) lgkmcnt(0)
	ds_write_b64 v11, v[7:8]
	v_add_u32_e32 v7, s9, v9
	v_cmp_le_i32_e64 s[0:1], s21, v7
	s_or_b64 s[0:1], s[0:1], s[2:3]
	s_and_saveexec_b64 s[14:15], s[0:1]
	s_xor_b64 s[0:1], exec, s[14:15]
; %bb.6:                                ;   in Loop: Header=BB685_3 Depth=1
	v_mov_b32_e32 v7, v6
	ds_write_b64 v12, v[6:7]
; %bb.7:                                ;   in Loop: Header=BB685_3 Depth=1
	s_andn2_saveexec_b64 s[0:1], s[0:1]
	s_cbranch_execz .LBB685_2
; %bb.8:                                ;   in Loop: Header=BB685_3 Depth=1
	flat_load_dwordx2 v[7:8], v[4:5]
	s_waitcnt vmcnt(0) lgkmcnt(0)
	ds_write_b64 v12, v[7:8]
	s_branch .LBB685_2
.LBB685_9:
	v_mov_b32_e32 v21, 0
	v_mov_b32_e32 v22, 0
	;; [unrolled: 1-line block ×8, first 2 shown]
.LBB685_10:
	s_load_dword s8, s[4:5], 0x50
	v_add_u32_e32 v4, s7, v1
	s_waitcnt lgkmcnt(0)
	v_mov_b32_e32 v3, s11
	v_add_u32_e32 v0, s6, v0
	v_mad_i64_i32 v[1:2], s[0:1], v4, s8, 0
	v_cmp_le_i32_e64 s[0:1], v4, v0
	v_lshlrev_b64 v[1:2], 3, v[1:2]
	v_add_co_u32_e32 v5, vcc, s10, v1
	v_addc_co_u32_e32 v6, vcc, v3, v2, vcc
	v_cmp_gt_i32_e32 vcc, s20, v0
	s_and_b64 s[0:1], s[0:1], vcc
	s_and_saveexec_b64 s[2:3], s[0:1]
	s_cbranch_execz .LBB685_12
; %bb.11:
	v_ashrrev_i32_e32 v1, 31, v0
	v_lshlrev_b64 v[1:2], 3, v[0:1]
	v_mul_f32_e32 v3, s17, v22
	v_add_co_u32_e64 v1, s[0:1], v5, v1
	v_addc_co_u32_e64 v2, s[0:1], v6, v2, s[0:1]
	flat_load_dwordx2 v[7:8], v[1:2]
	v_mul_f32_e32 v9, s16, v22
	v_fma_f32 v3, v21, s16, -v3
	v_fmac_f32_e32 v9, s17, v21
	s_waitcnt vmcnt(0) lgkmcnt(0)
	v_mul_f32_e32 v10, s13, v8
	v_mul_f32_e32 v8, s12, v8
	v_fma_f32 v10, v7, s12, -v10
	v_fmac_f32_e32 v8, s13, v7
	v_add_f32_e32 v7, v3, v10
	v_add_f32_e32 v8, v9, v8
	flat_store_dwordx2 v[1:2], v[7:8]
.LBB685_12:
	s_or_b64 exec, exec, s[2:3]
	v_add_u32_e32 v2, 16, v0
	v_cmp_le_i32_e64 s[2:3], v4, v2
	v_cmp_gt_i32_e64 s[0:1], s20, v2
	s_and_b64 s[2:3], s[2:3], s[0:1]
	s_and_saveexec_b64 s[4:5], s[2:3]
	s_cbranch_execz .LBB685_14
; %bb.13:
	v_ashrrev_i32_e32 v3, 31, v2
	v_lshlrev_b64 v[7:8], 3, v[2:3]
	v_mul_f32_e32 v1, s17, v20
	v_add_co_u32_e64 v5, s[2:3], v5, v7
	v_addc_co_u32_e64 v6, s[2:3], v6, v8, s[2:3]
	flat_load_dwordx2 v[7:8], v[5:6]
	v_mul_f32_e32 v3, s16, v20
	v_fma_f32 v1, v19, s16, -v1
	v_fmac_f32_e32 v3, s17, v19
	s_waitcnt vmcnt(0) lgkmcnt(0)
	v_mul_f32_e32 v9, s13, v8
	v_mul_f32_e32 v8, s12, v8
	v_fma_f32 v9, v7, s12, -v9
	v_fmac_f32_e32 v8, s13, v7
	v_add_f32_e32 v7, v1, v9
	v_add_f32_e32 v8, v3, v8
	flat_store_dwordx2 v[5:6], v[7:8]
.LBB685_14:
	s_or_b64 exec, exec, s[4:5]
	v_add_u32_e32 v3, 16, v4
	v_mad_i64_i32 v[4:5], s[2:3], v3, s8, 0
	v_mov_b32_e32 v1, s11
	v_lshlrev_b64 v[4:5], 3, v[4:5]
	v_add_co_u32_e64 v4, s[2:3], s10, v4
	v_addc_co_u32_e64 v5, s[2:3], v1, v5, s[2:3]
	v_cmp_le_i32_e64 s[2:3], v3, v0
	s_and_b64 s[4:5], s[2:3], vcc
	s_and_saveexec_b64 s[2:3], s[4:5]
	s_cbranch_execz .LBB685_16
; %bb.15:
	v_ashrrev_i32_e32 v1, 31, v0
	v_lshlrev_b64 v[0:1], 3, v[0:1]
	v_mul_f32_e32 v8, s17, v16
	v_add_co_u32_e32 v0, vcc, v4, v0
	v_addc_co_u32_e32 v1, vcc, v5, v1, vcc
	flat_load_dwordx2 v[6:7], v[0:1]
	v_mul_f32_e32 v9, s16, v16
	v_fma_f32 v8, v15, s16, -v8
	v_fmac_f32_e32 v9, s17, v15
	s_waitcnt vmcnt(0) lgkmcnt(0)
	v_mul_f32_e32 v10, s13, v7
	v_mul_f32_e32 v7, s12, v7
	v_fma_f32 v10, v6, s12, -v10
	v_fmac_f32_e32 v7, s13, v6
	v_add_f32_e32 v6, v8, v10
	v_add_f32_e32 v7, v9, v7
	flat_store_dwordx2 v[0:1], v[6:7]
.LBB685_16:
	s_or_b64 exec, exec, s[2:3]
	v_cmp_le_i32_e32 vcc, v3, v2
	s_and_b64 s[0:1], vcc, s[0:1]
	s_and_saveexec_b64 s[2:3], s[0:1]
	s_cbranch_execz .LBB685_18
; %bb.17:
	v_ashrrev_i32_e32 v3, 31, v2
	v_lshlrev_b64 v[0:1], 3, v[2:3]
	v_add_co_u32_e32 v0, vcc, v4, v0
	v_addc_co_u32_e32 v1, vcc, v5, v1, vcc
	flat_load_dwordx2 v[2:3], v[0:1]
	v_mul_f32_e32 v4, s17, v18
	v_mul_f32_e32 v5, s16, v18
	v_fma_f32 v4, v17, s16, -v4
	v_fmac_f32_e32 v5, s17, v17
	s_waitcnt vmcnt(0) lgkmcnt(0)
	v_mul_f32_e32 v6, s13, v3
	v_mul_f32_e32 v3, s12, v3
	v_fma_f32 v6, v2, s12, -v6
	v_fmac_f32_e32 v3, s13, v2
	v_add_f32_e32 v2, v4, v6
	v_add_f32_e32 v3, v5, v3
	flat_store_dwordx2 v[0:1], v[2:3]
.LBB685_18:
	s_endpgm
	.section	.rodata,"a",@progbits
	.p2align	6, 0x0
	.amdhsa_kernel _ZL34rocblas_syrkx_herkx_general_kernelIi19rocblas_complex_numIfELi16ELi32ELi8ELb0ELb0ELc67ELc76EKPKS1_KPS1_EviT_T0_PT8_S7_lSA_S7_lS8_PT9_S7_li
		.amdhsa_group_segment_fixed_size 4096
		.amdhsa_private_segment_fixed_size 0
		.amdhsa_kernarg_size 100
		.amdhsa_user_sgpr_count 6
		.amdhsa_user_sgpr_private_segment_buffer 1
		.amdhsa_user_sgpr_dispatch_ptr 0
		.amdhsa_user_sgpr_queue_ptr 0
		.amdhsa_user_sgpr_kernarg_segment_ptr 1
		.amdhsa_user_sgpr_dispatch_id 0
		.amdhsa_user_sgpr_flat_scratch_init 0
		.amdhsa_user_sgpr_private_segment_size 0
		.amdhsa_uses_dynamic_stack 0
		.amdhsa_system_sgpr_private_segment_wavefront_offset 0
		.amdhsa_system_sgpr_workgroup_id_x 1
		.amdhsa_system_sgpr_workgroup_id_y 1
		.amdhsa_system_sgpr_workgroup_id_z 1
		.amdhsa_system_sgpr_workgroup_info 0
		.amdhsa_system_vgpr_workitem_id 1
		.amdhsa_next_free_vgpr 48
		.amdhsa_next_free_sgpr 23
		.amdhsa_reserve_vcc 1
		.amdhsa_reserve_flat_scratch 0
		.amdhsa_float_round_mode_32 0
		.amdhsa_float_round_mode_16_64 0
		.amdhsa_float_denorm_mode_32 3
		.amdhsa_float_denorm_mode_16_64 3
		.amdhsa_dx10_clamp 1
		.amdhsa_ieee_mode 1
		.amdhsa_fp16_overflow 0
		.amdhsa_exception_fp_ieee_invalid_op 0
		.amdhsa_exception_fp_denorm_src 0
		.amdhsa_exception_fp_ieee_div_zero 0
		.amdhsa_exception_fp_ieee_overflow 0
		.amdhsa_exception_fp_ieee_underflow 0
		.amdhsa_exception_fp_ieee_inexact 0
		.amdhsa_exception_int_div_zero 0
	.end_amdhsa_kernel
	.section	.text._ZL34rocblas_syrkx_herkx_general_kernelIi19rocblas_complex_numIfELi16ELi32ELi8ELb0ELb0ELc67ELc76EKPKS1_KPS1_EviT_T0_PT8_S7_lSA_S7_lS8_PT9_S7_li,"axG",@progbits,_ZL34rocblas_syrkx_herkx_general_kernelIi19rocblas_complex_numIfELi16ELi32ELi8ELb0ELb0ELc67ELc76EKPKS1_KPS1_EviT_T0_PT8_S7_lSA_S7_lS8_PT9_S7_li,comdat
.Lfunc_end685:
	.size	_ZL34rocblas_syrkx_herkx_general_kernelIi19rocblas_complex_numIfELi16ELi32ELi8ELb0ELb0ELc67ELc76EKPKS1_KPS1_EviT_T0_PT8_S7_lSA_S7_lS8_PT9_S7_li, .Lfunc_end685-_ZL34rocblas_syrkx_herkx_general_kernelIi19rocblas_complex_numIfELi16ELi32ELi8ELb0ELb0ELc67ELc76EKPKS1_KPS1_EviT_T0_PT8_S7_lSA_S7_lS8_PT9_S7_li
                                        ; -- End function
	.set _ZL34rocblas_syrkx_herkx_general_kernelIi19rocblas_complex_numIfELi16ELi32ELi8ELb0ELb0ELc67ELc76EKPKS1_KPS1_EviT_T0_PT8_S7_lSA_S7_lS8_PT9_S7_li.num_vgpr, 48
	.set _ZL34rocblas_syrkx_herkx_general_kernelIi19rocblas_complex_numIfELi16ELi32ELi8ELb0ELb0ELc67ELc76EKPKS1_KPS1_EviT_T0_PT8_S7_lSA_S7_lS8_PT9_S7_li.num_agpr, 0
	.set _ZL34rocblas_syrkx_herkx_general_kernelIi19rocblas_complex_numIfELi16ELi32ELi8ELb0ELb0ELc67ELc76EKPKS1_KPS1_EviT_T0_PT8_S7_lSA_S7_lS8_PT9_S7_li.numbered_sgpr, 23
	.set _ZL34rocblas_syrkx_herkx_general_kernelIi19rocblas_complex_numIfELi16ELi32ELi8ELb0ELb0ELc67ELc76EKPKS1_KPS1_EviT_T0_PT8_S7_lSA_S7_lS8_PT9_S7_li.num_named_barrier, 0
	.set _ZL34rocblas_syrkx_herkx_general_kernelIi19rocblas_complex_numIfELi16ELi32ELi8ELb0ELb0ELc67ELc76EKPKS1_KPS1_EviT_T0_PT8_S7_lSA_S7_lS8_PT9_S7_li.private_seg_size, 0
	.set _ZL34rocblas_syrkx_herkx_general_kernelIi19rocblas_complex_numIfELi16ELi32ELi8ELb0ELb0ELc67ELc76EKPKS1_KPS1_EviT_T0_PT8_S7_lSA_S7_lS8_PT9_S7_li.uses_vcc, 1
	.set _ZL34rocblas_syrkx_herkx_general_kernelIi19rocblas_complex_numIfELi16ELi32ELi8ELb0ELb0ELc67ELc76EKPKS1_KPS1_EviT_T0_PT8_S7_lSA_S7_lS8_PT9_S7_li.uses_flat_scratch, 0
	.set _ZL34rocblas_syrkx_herkx_general_kernelIi19rocblas_complex_numIfELi16ELi32ELi8ELb0ELb0ELc67ELc76EKPKS1_KPS1_EviT_T0_PT8_S7_lSA_S7_lS8_PT9_S7_li.has_dyn_sized_stack, 0
	.set _ZL34rocblas_syrkx_herkx_general_kernelIi19rocblas_complex_numIfELi16ELi32ELi8ELb0ELb0ELc67ELc76EKPKS1_KPS1_EviT_T0_PT8_S7_lSA_S7_lS8_PT9_S7_li.has_recursion, 0
	.set _ZL34rocblas_syrkx_herkx_general_kernelIi19rocblas_complex_numIfELi16ELi32ELi8ELb0ELb0ELc67ELc76EKPKS1_KPS1_EviT_T0_PT8_S7_lSA_S7_lS8_PT9_S7_li.has_indirect_call, 0
	.section	.AMDGPU.csdata,"",@progbits
; Kernel info:
; codeLenInByte = 2228
; TotalNumSgprs: 27
; NumVgprs: 48
; ScratchSize: 0
; MemoryBound: 1
; FloatMode: 240
; IeeeMode: 1
; LDSByteSize: 4096 bytes/workgroup (compile time only)
; SGPRBlocks: 3
; VGPRBlocks: 11
; NumSGPRsForWavesPerEU: 27
; NumVGPRsForWavesPerEU: 48
; Occupancy: 5
; WaveLimiterHint : 1
; COMPUTE_PGM_RSRC2:SCRATCH_EN: 0
; COMPUTE_PGM_RSRC2:USER_SGPR: 6
; COMPUTE_PGM_RSRC2:TRAP_HANDLER: 0
; COMPUTE_PGM_RSRC2:TGID_X_EN: 1
; COMPUTE_PGM_RSRC2:TGID_Y_EN: 1
; COMPUTE_PGM_RSRC2:TGID_Z_EN: 1
; COMPUTE_PGM_RSRC2:TIDIG_COMP_CNT: 1
	.section	.text._ZL34rocblas_syrkx_herkx_general_kernelIi19rocblas_complex_numIfELi16ELi32ELi8ELb0ELb0ELc78ELc76EKPKS1_KPS1_EviT_T0_PT8_S7_lSA_S7_lS8_PT9_S7_li,"axG",@progbits,_ZL34rocblas_syrkx_herkx_general_kernelIi19rocblas_complex_numIfELi16ELi32ELi8ELb0ELb0ELc78ELc76EKPKS1_KPS1_EviT_T0_PT8_S7_lSA_S7_lS8_PT9_S7_li,comdat
	.globl	_ZL34rocblas_syrkx_herkx_general_kernelIi19rocblas_complex_numIfELi16ELi32ELi8ELb0ELb0ELc78ELc76EKPKS1_KPS1_EviT_T0_PT8_S7_lSA_S7_lS8_PT9_S7_li ; -- Begin function _ZL34rocblas_syrkx_herkx_general_kernelIi19rocblas_complex_numIfELi16ELi32ELi8ELb0ELb0ELc78ELc76EKPKS1_KPS1_EviT_T0_PT8_S7_lSA_S7_lS8_PT9_S7_li
	.p2align	8
	.type	_ZL34rocblas_syrkx_herkx_general_kernelIi19rocblas_complex_numIfELi16ELi32ELi8ELb0ELb0ELc78ELc76EKPKS1_KPS1_EviT_T0_PT8_S7_lSA_S7_lS8_PT9_S7_li,@function
_ZL34rocblas_syrkx_herkx_general_kernelIi19rocblas_complex_numIfELi16ELi32ELi8ELb0ELb0ELc78ELc76EKPKS1_KPS1_EviT_T0_PT8_S7_lSA_S7_lS8_PT9_S7_li: ; @_ZL34rocblas_syrkx_herkx_general_kernelIi19rocblas_complex_numIfELi16ELi32ELi8ELb0ELb0ELc78ELc76EKPKS1_KPS1_EviT_T0_PT8_S7_lSA_S7_lS8_PT9_S7_li
; %bb.0:
	s_load_dwordx4 s[12:15], s[4:5], 0x40
	s_load_dwordx2 s[20:21], s[4:5], 0x0
	s_load_dwordx4 s[16:19], s[4:5], 0x8
	s_mov_b32 s9, 0
	s_lshl_b64 s[0:1], s[8:9], 3
	s_waitcnt lgkmcnt(0)
	s_add_u32 s2, s14, s0
	s_addc_u32 s3, s15, s1
	s_load_dwordx2 s[10:11], s[2:3], 0x0
	s_lshl_b32 s8, s6, 5
	s_lshl_b32 s22, s7, 5
	s_cmp_lt_i32 s21, 1
	s_cbranch_scc1 .LBB686_9
; %bb.1:
	s_load_dword s6, s[4:5], 0x18
	s_load_dword s14, s[4:5], 0x30
	s_load_dwordx2 s[2:3], s[4:5], 0x28
	v_lshl_add_u32 v2, v1, 4, v0
	v_and_b32_e32 v6, 31, v2
	s_waitcnt lgkmcnt(0)
	s_ashr_i32 s7, s6, 31
	s_ashr_i32 s15, s14, 31
	s_add_u32 s2, s2, s0
	s_addc_u32 s3, s3, s1
	s_add_u32 s0, s18, s0
	v_lshrrev_b32_e32 v10, 5, v2
	v_lshrrev_b32_e32 v3, 3, v2
	v_or_b32_e32 v2, s8, v6
	s_addc_u32 s1, s19, s1
	v_and_b32_e32 v9, 7, v0
	s_load_dwordx2 s[18:19], s[0:1], 0x0
	v_cmp_gt_i32_e64 s[0:1], s20, v2
	v_lshlrev_b32_e32 v2, 3, v6
	v_lshl_or_b32 v11, v10, 8, v2
	v_lshlrev_b32_e32 v2, 3, v9
	v_lshl_or_b32 v2, v3, 6, v2
	v_add_u32_e32 v4, s22, v3
	s_load_dwordx2 s[24:25], s[2:3], 0x0
	v_add_u32_e32 v12, 0x800, v2
	v_mad_i64_i32 v[2:3], s[2:3], v10, s6, 0
	v_mov_b32_e32 v7, 0x800
	v_add_u32_e32 v6, s8, v6
	v_lshl_add_u32 v14, v1, 6, v7
	v_ashrrev_i32_e32 v7, 31, v6
	v_lshlrev_b64 v[2:3], 3, v[2:3]
	v_lshlrev_b64 v[6:7], 3, v[6:7]
	v_ashrrev_i32_e32 v5, 31, v4
	v_add_co_u32_e64 v2, s[2:3], v2, v6
	v_addc_co_u32_e64 v3, s[2:3], v3, v7, s[2:3]
	v_mad_i64_i32 v[6:7], s[2:3], s14, v9, 0
	v_cmp_gt_i32_e32 vcc, s20, v4
	s_waitcnt lgkmcnt(0)
	v_mov_b32_e32 v8, s19
	v_add_co_u32_e64 v2, s[2:3], s18, v2
	v_lshlrev_b64 v[6:7], 3, v[6:7]
	v_lshlrev_b64 v[4:5], 3, v[4:5]
	v_addc_co_u32_e64 v3, s[2:3], v8, v3, s[2:3]
	v_add_co_u32_e64 v4, s[2:3], v6, v4
	v_addc_co_u32_e64 v5, s[2:3], v7, v5, s[2:3]
	v_mov_b32_e32 v6, s25
	v_add_co_u32_e64 v4, s[2:3], s24, v4
	v_addc_co_u32_e64 v5, s[2:3], v6, v5, s[2:3]
	s_lshl_b64 s[6:7], s[6:7], 6
	s_lshl_b64 s[2:3], s[14:15], 6
	v_lshlrev_b32_e32 v13, 3, v0
	s_xor_b64 s[14:15], s[0:1], -1
	v_mov_b32_e32 v15, s7
	v_mov_b32_e32 v16, s3
	;; [unrolled: 1-line block ×11, first 2 shown]
	s_branch .LBB686_3
.LBB686_2:                              ;   in Loop: Header=BB686_3 Depth=1
	s_or_b64 exec, exec, s[0:1]
	s_waitcnt vmcnt(0) lgkmcnt(0)
	ds_write_b64 v12, v[7:8]
	s_waitcnt lgkmcnt(0)
	s_barrier
	ds_read2_b64 v[25:28], v13 offset1:16
	ds_read_b128 v[29:32], v14
	ds_read_b128 v[33:36], v14 offset:16
	ds_read_b128 v[37:40], v14 offset:1024
	ds_read2_b64 v[41:44], v13 offset0:32 offset1:48
	v_add_co_u32_e64 v2, s[0:1], s6, v2
	s_waitcnt lgkmcnt(3)
	v_mul_f32_e32 v7, v30, v26
	v_mul_f32_e32 v8, v29, v26
	v_fma_f32 v7, v29, v25, -v7
	v_fmac_f32_e32 v8, v30, v25
	v_add_f32_e32 v7, v21, v7
	v_add_f32_e32 v8, v22, v8
	v_mul_f32_e32 v21, v30, v28
	v_mul_f32_e32 v22, v29, v28
	v_fma_f32 v21, v29, v27, -v21
	v_fmac_f32_e32 v22, v30, v27
	v_add_f32_e32 v45, v23, v21
	v_add_f32_e32 v46, v24, v22
	ds_read_b128 v[21:24], v14 offset:1040
	s_waitcnt lgkmcnt(2)
	v_mul_f32_e32 v29, v38, v26
	v_fma_f32 v29, v37, v25, -v29
	v_mul_f32_e32 v47, v37, v26
	v_add_f32_e32 v48, v18, v29
	v_mul_f32_e32 v18, v38, v28
	v_fmac_f32_e32 v47, v38, v25
	v_fma_f32 v18, v37, v27, -v18
	v_mul_f32_e32 v37, v37, v28
	s_waitcnt lgkmcnt(1)
	v_mul_f32_e32 v25, v32, v42
	v_fmac_f32_e32 v37, v38, v27
	v_fma_f32 v38, v31, v41, -v25
	v_mul_f32_e32 v25, v32, v44
	v_fma_f32 v50, v31, v43, -v25
	v_mul_f32_e32 v25, v40, v42
	v_mul_f32_e32 v49, v31, v42
	v_fma_f32 v52, v39, v41, -v25
	v_mul_f32_e32 v42, v39, v42
	v_mul_f32_e32 v25, v40, v44
	v_fmac_f32_e32 v49, v32, v41
	v_mul_f32_e32 v51, v31, v44
	v_fmac_f32_e32 v42, v40, v41
	v_fma_f32 v41, v39, v43, -v25
	v_mul_f32_e32 v39, v39, v44
	v_fmac_f32_e32 v51, v32, v43
	v_fmac_f32_e32 v39, v40, v43
	ds_read_b128 v[25:28], v14 offset:32
	ds_read_b128 v[29:32], v14 offset:48
	v_add_f32_e32 v40, v17, v47
	v_add_f32_e32 v43, v19, v18
	;; [unrolled: 1-line block ×3, first 2 shown]
	ds_read2_b64 v[17:20], v13 offset0:64 offset1:80
	v_add_f32_e32 v40, v40, v42
	v_add_f32_e32 v42, v37, v39
	;; [unrolled: 1-line block ×4, first 2 shown]
	s_waitcnt lgkmcnt(0)
	v_mul_f32_e32 v37, v34, v18
	v_fma_f32 v37, v33, v17, -v37
	v_add_f32_e32 v7, v7, v37
	v_mul_f32_e32 v37, v34, v20
	v_mul_f32_e32 v39, v33, v18
	v_fma_f32 v37, v33, v19, -v37
	v_mul_f32_e32 v33, v33, v20
	v_fmac_f32_e32 v39, v34, v17
	v_fmac_f32_e32 v33, v34, v19
	v_add_f32_e32 v34, v38, v37
	v_mul_f32_e32 v37, v22, v18
	v_add_f32_e32 v45, v48, v52
	v_fma_f32 v37, v21, v17, -v37
	v_mul_f32_e32 v18, v21, v18
	v_add_f32_e32 v8, v8, v49
	v_fmac_f32_e32 v18, v22, v17
	v_add_f32_e32 v17, v45, v37
	v_mul_f32_e32 v37, v22, v20
	v_add_f32_e32 v41, v43, v41
	v_add_f32_e32 v8, v8, v39
	v_add_f32_e32 v18, v40, v18
	v_fma_f32 v43, v21, v19, -v37
	ds_read2_b64 v[37:40], v13 offset0:96 offset1:112
	v_mul_f32_e32 v20, v21, v20
	v_fmac_f32_e32 v20, v22, v19
	v_add_f32_e32 v22, v42, v20
	v_add_f32_e32 v44, v46, v51
	s_waitcnt lgkmcnt(0)
	v_mul_f32_e32 v19, v36, v38
	v_fma_f32 v19, v35, v37, -v19
	v_mul_f32_e32 v20, v35, v38
	v_fmac_f32_e32 v20, v36, v37
	v_add_f32_e32 v7, v7, v19
	v_mul_f32_e32 v19, v36, v40
	v_add_f32_e32 v8, v8, v20
	v_fma_f32 v19, v35, v39, -v19
	v_mul_f32_e32 v20, v35, v40
	v_add_f32_e32 v33, v44, v33
	v_fmac_f32_e32 v20, v36, v39
	v_add_f32_e32 v34, v34, v19
	v_mul_f32_e32 v19, v24, v38
	v_add_f32_e32 v33, v33, v20
	v_fma_f32 v19, v23, v37, -v19
	v_mul_f32_e32 v20, v23, v38
	v_fmac_f32_e32 v20, v24, v37
	v_add_f32_e32 v37, v17, v19
	v_mul_f32_e32 v17, v24, v40
	v_add_f32_e32 v38, v18, v20
	v_fma_f32 v35, v23, v39, -v17
	ds_read2_b64 v[17:20], v13 offset0:128 offset1:144
	v_add_f32_e32 v21, v41, v43
	v_mul_f32_e32 v23, v23, v40
	v_fmac_f32_e32 v23, v24, v39
	v_add_f32_e32 v41, v21, v35
	s_waitcnt lgkmcnt(0)
	v_mul_f32_e32 v21, v26, v18
	v_add_f32_e32 v42, v22, v23
	v_fma_f32 v21, v25, v17, -v21
	v_mul_f32_e32 v22, v25, v18
	v_fmac_f32_e32 v22, v26, v17
	v_add_f32_e32 v7, v7, v21
	v_mul_f32_e32 v21, v26, v20
	v_add_f32_e32 v8, v8, v22
	v_fma_f32 v35, v25, v19, -v21
	ds_read_b128 v[21:24], v14 offset:1056
	v_mul_f32_e32 v25, v25, v20
	v_fmac_f32_e32 v25, v26, v19
	v_add_f32_e32 v26, v34, v35
	v_add_f32_e32 v25, v33, v25
	ds_read_b128 v[33:36], v14 offset:1072
	s_waitcnt lgkmcnt(1)
	v_mul_f32_e32 v39, v22, v18
	v_fma_f32 v39, v21, v17, -v39
	v_mul_f32_e32 v18, v21, v18
	v_fmac_f32_e32 v18, v22, v17
	v_add_f32_e32 v17, v37, v39
	v_mul_f32_e32 v37, v22, v20
	v_add_f32_e32 v18, v38, v18
	v_fma_f32 v43, v21, v19, -v37
	ds_read2_b64 v[37:40], v13 offset0:160 offset1:176
	v_mul_f32_e32 v20, v21, v20
	v_fmac_f32_e32 v20, v22, v19
	v_add_f32_e32 v22, v42, v20
	v_add_f32_e32 v21, v41, v43
	s_waitcnt lgkmcnt(0)
	v_mul_f32_e32 v19, v28, v38
	v_fma_f32 v19, v27, v37, -v19
	v_mul_f32_e32 v20, v27, v38
	v_fmac_f32_e32 v20, v28, v37
	v_add_f32_e32 v7, v7, v19
	v_mul_f32_e32 v19, v28, v40
	v_add_f32_e32 v8, v8, v20
	v_fma_f32 v19, v27, v39, -v19
	v_mul_f32_e32 v20, v27, v40
	v_fmac_f32_e32 v20, v28, v39
	v_add_f32_e32 v26, v26, v19
	v_mul_f32_e32 v19, v24, v38
	v_add_f32_e32 v25, v25, v20
	;; [unrolled: 6-line block ×3, first 2 shown]
	v_fma_f32 v37, v23, v39, -v17
	ds_read2_b64 v[17:20], v13 offset0:192 offset1:208
	v_mul_f32_e32 v23, v23, v40
	v_fmac_f32_e32 v23, v24, v39
	v_add_f32_e32 v22, v22, v23
	v_add_f32_e32 v21, v21, v37
	s_waitcnt lgkmcnt(0)
	v_mul_f32_e32 v24, v29, v18
	v_fmac_f32_e32 v24, v30, v17
	v_mul_f32_e32 v23, v30, v18
	v_add_f32_e32 v8, v8, v24
	v_mul_f32_e32 v24, v29, v20
	v_fma_f32 v23, v29, v17, -v23
	v_fmac_f32_e32 v24, v30, v19
	v_add_f32_e32 v7, v7, v23
	v_mul_f32_e32 v23, v30, v20
	v_add_f32_e32 v24, v25, v24
	v_mul_f32_e32 v25, v34, v18
	v_mul_f32_e32 v18, v33, v18
	v_fma_f32 v23, v29, v19, -v23
	v_fma_f32 v25, v33, v17, -v25
	v_fmac_f32_e32 v18, v34, v17
	v_add_f32_e32 v23, v26, v23
	v_add_f32_e32 v17, v27, v25
	;; [unrolled: 1-line block ×3, first 2 shown]
	ds_read2_b64 v[25:28], v13 offset0:224 offset1:240
	v_mul_f32_e32 v18, v34, v20
	v_mul_f32_e32 v20, v33, v20
	v_fma_f32 v18, v33, v19, -v18
	v_fmac_f32_e32 v20, v34, v19
	v_add_f32_e32 v19, v21, v18
	v_add_f32_e32 v20, v22, v20
	s_waitcnt lgkmcnt(0)
	v_mul_f32_e32 v18, v32, v26
	v_mul_f32_e32 v22, v31, v26
	v_fma_f32 v18, v31, v25, -v18
	v_fmac_f32_e32 v22, v32, v25
	v_add_f32_e32 v21, v7, v18
	v_add_f32_e32 v22, v8, v22
	v_mul_f32_e32 v7, v32, v28
	v_mul_f32_e32 v8, v31, v28
	v_fma_f32 v7, v31, v27, -v7
	v_fmac_f32_e32 v8, v32, v27
	v_add_f32_e32 v23, v23, v7
	v_add_f32_e32 v24, v24, v8
	;; [unrolled: 6-line block ×3, first 2 shown]
	v_mul_f32_e32 v7, v36, v28
	v_mul_f32_e32 v8, v35, v28
	v_addc_co_u32_e64 v3, s[0:1], v3, v15, s[0:1]
	v_fma_f32 v7, v35, v27, -v7
	v_fmac_f32_e32 v8, v36, v27
	s_add_i32 s9, s9, 8
	v_add_co_u32_e64 v4, s[0:1], s2, v4
	v_add_f32_e32 v19, v19, v7
	v_add_f32_e32 v20, v20, v8
	s_cmp_ge_i32 s9, s21
	v_addc_co_u32_e64 v5, s[0:1], v5, v16, s[0:1]
	s_barrier
	s_cbranch_scc1 .LBB686_10
.LBB686_3:                              ; =>This Inner Loop Header: Depth=1
	v_add_u32_e32 v7, s9, v10
	v_cmp_le_i32_e64 s[0:1], s21, v7
	s_or_b64 s[0:1], s[14:15], s[0:1]
	s_and_saveexec_b64 s[18:19], s[0:1]
	s_xor_b64 s[0:1], exec, s[18:19]
; %bb.4:                                ;   in Loop: Header=BB686_3 Depth=1
	v_mov_b32_e32 v7, v6
	ds_write_b64 v11, v[6:7]
; %bb.5:                                ;   in Loop: Header=BB686_3 Depth=1
	s_andn2_saveexec_b64 s[0:1], s[0:1]
	s_cbranch_execz .LBB686_7
; %bb.6:                                ;   in Loop: Header=BB686_3 Depth=1
	flat_load_dwordx2 v[7:8], v[2:3]
	s_waitcnt vmcnt(0) lgkmcnt(0)
	ds_write_b64 v11, v[7:8]
.LBB686_7:                              ;   in Loop: Header=BB686_3 Depth=1
	s_or_b64 exec, exec, s[0:1]
	v_add_u32_e32 v7, s9, v9
	v_cmp_gt_i32_e64 s[0:1], s21, v7
	s_and_b64 s[18:19], s[0:1], vcc
	v_mov_b32_e32 v7, 0
	v_mov_b32_e32 v8, 0
	s_and_saveexec_b64 s[0:1], s[18:19]
	s_cbranch_execz .LBB686_2
; %bb.8:                                ;   in Loop: Header=BB686_3 Depth=1
	flat_load_dwordx2 v[7:8], v[4:5]
	s_branch .LBB686_2
.LBB686_9:
	v_mov_b32_e32 v21, 0
	v_mov_b32_e32 v22, 0
	;; [unrolled: 1-line block ×8, first 2 shown]
.LBB686_10:
	s_load_dword s6, s[4:5], 0x50
	v_add_u32_e32 v4, s22, v1
	s_waitcnt lgkmcnt(0)
	v_mov_b32_e32 v3, s11
	v_add_u32_e32 v0, s8, v0
	v_mad_i64_i32 v[1:2], s[0:1], v4, s6, 0
	v_cmp_le_i32_e64 s[0:1], v4, v0
	v_lshlrev_b64 v[1:2], 3, v[1:2]
	v_add_co_u32_e32 v5, vcc, s10, v1
	v_addc_co_u32_e32 v6, vcc, v3, v2, vcc
	v_cmp_gt_i32_e32 vcc, s20, v0
	s_and_b64 s[0:1], s[0:1], vcc
	s_and_saveexec_b64 s[2:3], s[0:1]
	s_cbranch_execz .LBB686_12
; %bb.11:
	v_ashrrev_i32_e32 v1, 31, v0
	v_lshlrev_b64 v[1:2], 3, v[0:1]
	v_mul_f32_e32 v3, s17, v22
	v_add_co_u32_e64 v1, s[0:1], v5, v1
	v_addc_co_u32_e64 v2, s[0:1], v6, v2, s[0:1]
	flat_load_dwordx2 v[7:8], v[1:2]
	v_mul_f32_e32 v9, s16, v22
	v_fma_f32 v3, v21, s16, -v3
	v_fmac_f32_e32 v9, s17, v21
	s_waitcnt vmcnt(0) lgkmcnt(0)
	v_mul_f32_e32 v10, s13, v8
	v_mul_f32_e32 v8, s12, v8
	v_fma_f32 v10, v7, s12, -v10
	v_fmac_f32_e32 v8, s13, v7
	v_add_f32_e32 v7, v3, v10
	v_add_f32_e32 v8, v9, v8
	flat_store_dwordx2 v[1:2], v[7:8]
.LBB686_12:
	s_or_b64 exec, exec, s[2:3]
	v_add_u32_e32 v2, 16, v0
	v_cmp_le_i32_e64 s[2:3], v4, v2
	v_cmp_gt_i32_e64 s[0:1], s20, v2
	s_and_b64 s[2:3], s[2:3], s[0:1]
	s_and_saveexec_b64 s[4:5], s[2:3]
	s_cbranch_execz .LBB686_14
; %bb.13:
	v_ashrrev_i32_e32 v3, 31, v2
	v_lshlrev_b64 v[7:8], 3, v[2:3]
	v_mul_f32_e32 v1, s17, v24
	v_add_co_u32_e64 v5, s[2:3], v5, v7
	v_addc_co_u32_e64 v6, s[2:3], v6, v8, s[2:3]
	flat_load_dwordx2 v[7:8], v[5:6]
	v_mul_f32_e32 v3, s16, v24
	v_fma_f32 v1, v23, s16, -v1
	v_fmac_f32_e32 v3, s17, v23
	s_waitcnt vmcnt(0) lgkmcnt(0)
	v_mul_f32_e32 v9, s13, v8
	v_mul_f32_e32 v8, s12, v8
	v_fma_f32 v9, v7, s12, -v9
	v_fmac_f32_e32 v8, s13, v7
	v_add_f32_e32 v7, v1, v9
	v_add_f32_e32 v8, v3, v8
	flat_store_dwordx2 v[5:6], v[7:8]
.LBB686_14:
	s_or_b64 exec, exec, s[4:5]
	v_add_u32_e32 v3, 16, v4
	v_mad_i64_i32 v[4:5], s[2:3], v3, s6, 0
	v_mov_b32_e32 v1, s11
	v_lshlrev_b64 v[4:5], 3, v[4:5]
	v_add_co_u32_e64 v4, s[2:3], s10, v4
	v_addc_co_u32_e64 v5, s[2:3], v1, v5, s[2:3]
	v_cmp_le_i32_e64 s[2:3], v3, v0
	s_and_b64 s[4:5], s[2:3], vcc
	s_and_saveexec_b64 s[2:3], s[4:5]
	s_cbranch_execz .LBB686_16
; %bb.15:
	v_ashrrev_i32_e32 v1, 31, v0
	v_lshlrev_b64 v[0:1], 3, v[0:1]
	v_mul_f32_e32 v8, s17, v17
	v_add_co_u32_e32 v0, vcc, v4, v0
	v_addc_co_u32_e32 v1, vcc, v5, v1, vcc
	flat_load_dwordx2 v[6:7], v[0:1]
	v_mul_f32_e32 v9, s16, v17
	v_fma_f32 v8, v18, s16, -v8
	v_fmac_f32_e32 v9, s17, v18
	s_waitcnt vmcnt(0) lgkmcnt(0)
	v_mul_f32_e32 v10, s13, v7
	v_mul_f32_e32 v7, s12, v7
	v_fma_f32 v10, v6, s12, -v10
	v_fmac_f32_e32 v7, s13, v6
	v_add_f32_e32 v6, v8, v10
	v_add_f32_e32 v7, v9, v7
	flat_store_dwordx2 v[0:1], v[6:7]
.LBB686_16:
	s_or_b64 exec, exec, s[2:3]
	v_cmp_le_i32_e32 vcc, v3, v2
	s_and_b64 s[0:1], vcc, s[0:1]
	s_and_saveexec_b64 s[2:3], s[0:1]
	s_cbranch_execz .LBB686_18
; %bb.17:
	v_ashrrev_i32_e32 v3, 31, v2
	v_lshlrev_b64 v[0:1], 3, v[2:3]
	v_add_co_u32_e32 v0, vcc, v4, v0
	v_addc_co_u32_e32 v1, vcc, v5, v1, vcc
	flat_load_dwordx2 v[2:3], v[0:1]
	v_mul_f32_e32 v4, s17, v20
	v_mul_f32_e32 v5, s16, v20
	v_fma_f32 v4, v19, s16, -v4
	v_fmac_f32_e32 v5, s17, v19
	s_waitcnt vmcnt(0) lgkmcnt(0)
	v_mul_f32_e32 v6, s13, v3
	v_mul_f32_e32 v3, s12, v3
	v_fma_f32 v6, v2, s12, -v6
	v_fmac_f32_e32 v3, s13, v2
	v_add_f32_e32 v2, v4, v6
	v_add_f32_e32 v3, v5, v3
	flat_store_dwordx2 v[0:1], v[2:3]
.LBB686_18:
	s_endpgm
	.section	.rodata,"a",@progbits
	.p2align	6, 0x0
	.amdhsa_kernel _ZL34rocblas_syrkx_herkx_general_kernelIi19rocblas_complex_numIfELi16ELi32ELi8ELb0ELb0ELc78ELc76EKPKS1_KPS1_EviT_T0_PT8_S7_lSA_S7_lS8_PT9_S7_li
		.amdhsa_group_segment_fixed_size 4096
		.amdhsa_private_segment_fixed_size 0
		.amdhsa_kernarg_size 100
		.amdhsa_user_sgpr_count 6
		.amdhsa_user_sgpr_private_segment_buffer 1
		.amdhsa_user_sgpr_dispatch_ptr 0
		.amdhsa_user_sgpr_queue_ptr 0
		.amdhsa_user_sgpr_kernarg_segment_ptr 1
		.amdhsa_user_sgpr_dispatch_id 0
		.amdhsa_user_sgpr_flat_scratch_init 0
		.amdhsa_user_sgpr_private_segment_size 0
		.amdhsa_uses_dynamic_stack 0
		.amdhsa_system_sgpr_private_segment_wavefront_offset 0
		.amdhsa_system_sgpr_workgroup_id_x 1
		.amdhsa_system_sgpr_workgroup_id_y 1
		.amdhsa_system_sgpr_workgroup_id_z 1
		.amdhsa_system_sgpr_workgroup_info 0
		.amdhsa_system_vgpr_workitem_id 1
		.amdhsa_next_free_vgpr 53
		.amdhsa_next_free_sgpr 26
		.amdhsa_reserve_vcc 1
		.amdhsa_reserve_flat_scratch 0
		.amdhsa_float_round_mode_32 0
		.amdhsa_float_round_mode_16_64 0
		.amdhsa_float_denorm_mode_32 3
		.amdhsa_float_denorm_mode_16_64 3
		.amdhsa_dx10_clamp 1
		.amdhsa_ieee_mode 1
		.amdhsa_fp16_overflow 0
		.amdhsa_exception_fp_ieee_invalid_op 0
		.amdhsa_exception_fp_denorm_src 0
		.amdhsa_exception_fp_ieee_div_zero 0
		.amdhsa_exception_fp_ieee_overflow 0
		.amdhsa_exception_fp_ieee_underflow 0
		.amdhsa_exception_fp_ieee_inexact 0
		.amdhsa_exception_int_div_zero 0
	.end_amdhsa_kernel
	.section	.text._ZL34rocblas_syrkx_herkx_general_kernelIi19rocblas_complex_numIfELi16ELi32ELi8ELb0ELb0ELc78ELc76EKPKS1_KPS1_EviT_T0_PT8_S7_lSA_S7_lS8_PT9_S7_li,"axG",@progbits,_ZL34rocblas_syrkx_herkx_general_kernelIi19rocblas_complex_numIfELi16ELi32ELi8ELb0ELb0ELc78ELc76EKPKS1_KPS1_EviT_T0_PT8_S7_lSA_S7_lS8_PT9_S7_li,comdat
.Lfunc_end686:
	.size	_ZL34rocblas_syrkx_herkx_general_kernelIi19rocblas_complex_numIfELi16ELi32ELi8ELb0ELb0ELc78ELc76EKPKS1_KPS1_EviT_T0_PT8_S7_lSA_S7_lS8_PT9_S7_li, .Lfunc_end686-_ZL34rocblas_syrkx_herkx_general_kernelIi19rocblas_complex_numIfELi16ELi32ELi8ELb0ELb0ELc78ELc76EKPKS1_KPS1_EviT_T0_PT8_S7_lSA_S7_lS8_PT9_S7_li
                                        ; -- End function
	.set _ZL34rocblas_syrkx_herkx_general_kernelIi19rocblas_complex_numIfELi16ELi32ELi8ELb0ELb0ELc78ELc76EKPKS1_KPS1_EviT_T0_PT8_S7_lSA_S7_lS8_PT9_S7_li.num_vgpr, 53
	.set _ZL34rocblas_syrkx_herkx_general_kernelIi19rocblas_complex_numIfELi16ELi32ELi8ELb0ELb0ELc78ELc76EKPKS1_KPS1_EviT_T0_PT8_S7_lSA_S7_lS8_PT9_S7_li.num_agpr, 0
	.set _ZL34rocblas_syrkx_herkx_general_kernelIi19rocblas_complex_numIfELi16ELi32ELi8ELb0ELb0ELc78ELc76EKPKS1_KPS1_EviT_T0_PT8_S7_lSA_S7_lS8_PT9_S7_li.numbered_sgpr, 26
	.set _ZL34rocblas_syrkx_herkx_general_kernelIi19rocblas_complex_numIfELi16ELi32ELi8ELb0ELb0ELc78ELc76EKPKS1_KPS1_EviT_T0_PT8_S7_lSA_S7_lS8_PT9_S7_li.num_named_barrier, 0
	.set _ZL34rocblas_syrkx_herkx_general_kernelIi19rocblas_complex_numIfELi16ELi32ELi8ELb0ELb0ELc78ELc76EKPKS1_KPS1_EviT_T0_PT8_S7_lSA_S7_lS8_PT9_S7_li.private_seg_size, 0
	.set _ZL34rocblas_syrkx_herkx_general_kernelIi19rocblas_complex_numIfELi16ELi32ELi8ELb0ELb0ELc78ELc76EKPKS1_KPS1_EviT_T0_PT8_S7_lSA_S7_lS8_PT9_S7_li.uses_vcc, 1
	.set _ZL34rocblas_syrkx_herkx_general_kernelIi19rocblas_complex_numIfELi16ELi32ELi8ELb0ELb0ELc78ELc76EKPKS1_KPS1_EviT_T0_PT8_S7_lSA_S7_lS8_PT9_S7_li.uses_flat_scratch, 0
	.set _ZL34rocblas_syrkx_herkx_general_kernelIi19rocblas_complex_numIfELi16ELi32ELi8ELb0ELb0ELc78ELc76EKPKS1_KPS1_EviT_T0_PT8_S7_lSA_S7_lS8_PT9_S7_li.has_dyn_sized_stack, 0
	.set _ZL34rocblas_syrkx_herkx_general_kernelIi19rocblas_complex_numIfELi16ELi32ELi8ELb0ELb0ELc78ELc76EKPKS1_KPS1_EviT_T0_PT8_S7_lSA_S7_lS8_PT9_S7_li.has_recursion, 0
	.set _ZL34rocblas_syrkx_herkx_general_kernelIi19rocblas_complex_numIfELi16ELi32ELi8ELb0ELb0ELc78ELc76EKPKS1_KPS1_EviT_T0_PT8_S7_lSA_S7_lS8_PT9_S7_li.has_indirect_call, 0
	.section	.AMDGPU.csdata,"",@progbits
; Kernel info:
; codeLenInByte = 2272
; TotalNumSgprs: 30
; NumVgprs: 53
; ScratchSize: 0
; MemoryBound: 1
; FloatMode: 240
; IeeeMode: 1
; LDSByteSize: 4096 bytes/workgroup (compile time only)
; SGPRBlocks: 3
; VGPRBlocks: 13
; NumSGPRsForWavesPerEU: 30
; NumVGPRsForWavesPerEU: 53
; Occupancy: 4
; WaveLimiterHint : 1
; COMPUTE_PGM_RSRC2:SCRATCH_EN: 0
; COMPUTE_PGM_RSRC2:USER_SGPR: 6
; COMPUTE_PGM_RSRC2:TRAP_HANDLER: 0
; COMPUTE_PGM_RSRC2:TGID_X_EN: 1
; COMPUTE_PGM_RSRC2:TGID_Y_EN: 1
; COMPUTE_PGM_RSRC2:TGID_Z_EN: 1
; COMPUTE_PGM_RSRC2:TIDIG_COMP_CNT: 1
	.section	.text._ZL34rocblas_syrkx_herkx_general_kernelIi19rocblas_complex_numIfELi16ELi32ELi8ELb0ELb0ELc84ELc85EKPKS1_KPS1_EviT_T0_PT8_S7_lSA_S7_lS8_PT9_S7_li,"axG",@progbits,_ZL34rocblas_syrkx_herkx_general_kernelIi19rocblas_complex_numIfELi16ELi32ELi8ELb0ELb0ELc84ELc85EKPKS1_KPS1_EviT_T0_PT8_S7_lSA_S7_lS8_PT9_S7_li,comdat
	.globl	_ZL34rocblas_syrkx_herkx_general_kernelIi19rocblas_complex_numIfELi16ELi32ELi8ELb0ELb0ELc84ELc85EKPKS1_KPS1_EviT_T0_PT8_S7_lSA_S7_lS8_PT9_S7_li ; -- Begin function _ZL34rocblas_syrkx_herkx_general_kernelIi19rocblas_complex_numIfELi16ELi32ELi8ELb0ELb0ELc84ELc85EKPKS1_KPS1_EviT_T0_PT8_S7_lSA_S7_lS8_PT9_S7_li
	.p2align	8
	.type	_ZL34rocblas_syrkx_herkx_general_kernelIi19rocblas_complex_numIfELi16ELi32ELi8ELb0ELb0ELc84ELc85EKPKS1_KPS1_EviT_T0_PT8_S7_lSA_S7_lS8_PT9_S7_li,@function
_ZL34rocblas_syrkx_herkx_general_kernelIi19rocblas_complex_numIfELi16ELi32ELi8ELb0ELb0ELc84ELc85EKPKS1_KPS1_EviT_T0_PT8_S7_lSA_S7_lS8_PT9_S7_li: ; @_ZL34rocblas_syrkx_herkx_general_kernelIi19rocblas_complex_numIfELi16ELi32ELi8ELb0ELb0ELc84ELc85EKPKS1_KPS1_EviT_T0_PT8_S7_lSA_S7_lS8_PT9_S7_li
; %bb.0:
	s_load_dwordx4 s[12:15], s[4:5], 0x40
	s_load_dwordx2 s[10:11], s[4:5], 0x0
	s_load_dwordx4 s[16:19], s[4:5], 0x8
	s_mov_b32 s9, 0
	s_lshl_b64 s[0:1], s[8:9], 3
	s_waitcnt lgkmcnt(0)
	s_add_u32 s2, s14, s0
	s_addc_u32 s3, s15, s1
	s_load_dwordx2 s[14:15], s[2:3], 0x0
	s_lshl_b32 s8, s6, 5
	s_lshl_b32 s20, s7, 5
	s_cmp_lt_i32 s11, 1
	s_cbranch_scc1 .LBB687_11
; %bb.1:
	s_load_dword s21, s[4:5], 0x18
	s_load_dwordx2 s[2:3], s[4:5], 0x28
	s_load_dword s22, s[4:5], 0x30
	v_lshl_add_u32 v2, v1, 4, v0
	v_and_b32_e32 v8, 7, v0
	v_lshrrev_b32_e32 v9, 5, v2
	v_lshrrev_b32_e32 v3, 3, v2
	v_and_b32_e32 v2, 31, v2
	v_or_b32_e32 v5, s8, v2
	s_waitcnt lgkmcnt(0)
	s_add_u32 s2, s2, s0
	v_lshlrev_b32_e32 v6, 3, v8
	v_add_u32_e32 v4, s20, v3
	s_addc_u32 s3, s3, s1
	v_cmp_gt_i32_e32 vcc, s10, v5
	v_lshlrev_b32_e32 v5, 3, v2
	v_lshl_or_b32 v3, v3, 6, v6
	v_add_u32_e32 v2, s8, v2
	s_load_dwordx2 s[6:7], s[2:3], 0x0
	v_add_u32_e32 v11, 0x800, v3
	v_mad_i64_i32 v[2:3], s[2:3], s21, v2, 0
	s_add_u32 s0, s18, s0
	v_lshl_or_b32 v10, v9, 8, v5
	v_mov_b32_e32 v5, 0x800
	v_lshlrev_b64 v[2:3], 3, v[2:3]
	s_addc_u32 s1, s19, s1
	v_lshl_add_u32 v13, v1, 6, v5
	v_lshlrev_b32_e32 v5, 3, v9
	s_load_dwordx2 s[18:19], s[0:1], 0x0
	v_add_co_u32_e64 v2, s[2:3], v2, v5
	v_cmp_gt_i32_e64 s[0:1], s10, v4
	v_addc_co_u32_e64 v3, s[2:3], 0, v3, s[2:3]
	v_mad_i64_i32 v[4:5], s[2:3], s22, v4, 0
	s_waitcnt lgkmcnt(0)
	v_mov_b32_e32 v7, s19
	v_add_co_u32_e64 v2, s[2:3], s18, v2
	v_lshlrev_b64 v[4:5], 3, v[4:5]
	v_addc_co_u32_e64 v3, s[2:3], v7, v3, s[2:3]
	v_add_co_u32_e64 v4, s[2:3], v4, v6
	v_addc_co_u32_e64 v5, s[2:3], 0, v5, s[2:3]
	v_mov_b32_e32 v6, s7
	v_add_co_u32_e64 v4, s[2:3], s6, v4
	v_addc_co_u32_e64 v5, s[2:3], v6, v5, s[2:3]
	v_lshlrev_b32_e32 v12, 3, v0
	s_xor_b64 s[2:3], vcc, -1
	s_xor_b64 s[0:1], s[0:1], -1
	v_mov_b32_e32 v17, 0
	v_mov_b32_e32 v16, 0
	;; [unrolled: 1-line block ×9, first 2 shown]
	s_branch .LBB687_3
.LBB687_2:                              ;   in Loop: Header=BB687_3 Depth=1
	s_or_b64 exec, exec, s[6:7]
	s_waitcnt lgkmcnt(0)
	s_barrier
	ds_read2_b64 v[22:25], v12 offset1:16
	ds_read_b128 v[26:29], v13
	ds_read_b128 v[30:33], v13 offset:16
	v_add_co_u32_e32 v2, vcc, 64, v2
	v_addc_co_u32_e32 v3, vcc, 0, v3, vcc
	s_waitcnt lgkmcnt(1)
	v_mul_f32_e32 v34, v26, v23
	v_fmac_f32_e32 v34, v27, v22
	v_add_f32_e32 v46, v21, v34
	ds_read_b128 v[34:37], v13 offset:1024
	v_mul_f32_e32 v7, v27, v23
	v_fma_f32 v7, v26, v22, -v7
	v_add_f32_e32 v7, v20, v7
	v_mul_f32_e32 v20, v27, v25
	v_mul_f32_e32 v21, v26, v25
	v_fma_f32 v20, v26, v24, -v20
	v_fmac_f32_e32 v21, v27, v24
	v_add_f32_e32 v26, v18, v20
	v_add_f32_e32 v27, v19, v21
	ds_read_b128 v[18:21], v13 offset:1040
	s_waitcnt lgkmcnt(1)
	v_mul_f32_e32 v38, v35, v23
	v_mul_f32_e32 v23, v34, v23
	v_fma_f32 v38, v34, v22, -v38
	v_fmac_f32_e32 v23, v35, v22
	v_mul_f32_e32 v22, v35, v25
	v_fma_f32 v47, v34, v24, -v22
	v_mul_f32_e32 v34, v34, v25
	v_add_f32_e32 v14, v14, v38
	v_add_f32_e32 v15, v15, v23
	v_fmac_f32_e32 v34, v35, v24
	ds_read2_b64 v[22:25], v12 offset0:32 offset1:48
	ds_read_b128 v[38:41], v13 offset:32
	ds_read_b128 v[42:45], v13 offset:48
	v_add_f32_e32 v35, v16, v47
	v_add_f32_e32 v34, v17, v34
	s_waitcnt lgkmcnt(2)
	v_mul_f32_e32 v16, v29, v23
	v_fma_f32 v16, v28, v22, -v16
	v_mul_f32_e32 v17, v28, v23
	v_fmac_f32_e32 v17, v29, v22
	v_add_f32_e32 v7, v7, v16
	v_mul_f32_e32 v16, v29, v25
	v_add_f32_e32 v46, v46, v17
	v_fma_f32 v16, v28, v24, -v16
	v_mul_f32_e32 v17, v28, v25
	v_fmac_f32_e32 v17, v29, v24
	v_add_f32_e32 v26, v26, v16
	v_mul_f32_e32 v16, v37, v23
	v_add_f32_e32 v27, v27, v17
	;; [unrolled: 6-line block ×3, first 2 shown]
	v_fma_f32 v28, v36, v24, -v14
	ds_read2_b64 v[14:17], v12 offset0:64 offset1:80
	v_mul_f32_e32 v25, v36, v25
	v_fmac_f32_e32 v25, v37, v24
	v_add_f32_e32 v29, v34, v25
	v_add_f32_e32 v28, v35, v28
	s_waitcnt lgkmcnt(0)
	v_mul_f32_e32 v24, v31, v15
	v_fma_f32 v24, v30, v14, -v24
	v_add_f32_e32 v7, v7, v24
	v_mul_f32_e32 v24, v31, v17
	v_mul_f32_e32 v25, v30, v15
	v_fma_f32 v24, v30, v16, -v24
	v_fmac_f32_e32 v25, v31, v14
	v_add_f32_e32 v26, v26, v24
	v_mul_f32_e32 v24, v19, v15
	v_add_f32_e32 v34, v46, v25
	v_mul_f32_e32 v25, v30, v17
	v_fma_f32 v24, v18, v14, -v24
	v_mul_f32_e32 v15, v18, v15
	v_fmac_f32_e32 v25, v31, v16
	v_fmac_f32_e32 v15, v19, v14
	v_add_f32_e32 v14, v22, v24
	v_mul_f32_e32 v22, v19, v17
	v_add_f32_e32 v27, v27, v25
	v_add_f32_e32 v15, v23, v15
	v_fma_f32 v30, v18, v16, -v22
	ds_read2_b64 v[22:25], v12 offset0:96 offset1:112
	v_mul_f32_e32 v17, v18, v17
	v_fmac_f32_e32 v17, v19, v16
	v_add_f32_e32 v19, v29, v17
	v_add_f32_e32 v18, v28, v30
	s_waitcnt lgkmcnt(0)
	v_mul_f32_e32 v16, v33, v23
	v_fma_f32 v16, v32, v22, -v16
	v_mul_f32_e32 v17, v32, v23
	v_fmac_f32_e32 v17, v33, v22
	v_add_f32_e32 v7, v7, v16
	v_mul_f32_e32 v16, v33, v25
	v_add_f32_e32 v28, v34, v17
	v_fma_f32 v16, v32, v24, -v16
	v_mul_f32_e32 v17, v32, v25
	v_fmac_f32_e32 v17, v33, v24
	v_add_f32_e32 v26, v26, v16
	v_mul_f32_e32 v16, v21, v23
	v_add_f32_e32 v27, v27, v17
	;; [unrolled: 6-line block ×3, first 2 shown]
	v_fma_f32 v22, v20, v24, -v14
	ds_read2_b64 v[14:17], v12 offset0:128 offset1:144
	v_mul_f32_e32 v20, v20, v25
	v_fmac_f32_e32 v20, v21, v24
	v_add_f32_e32 v31, v18, v22
	v_add_f32_e32 v32, v19, v20
	s_waitcnt lgkmcnt(0)
	v_mul_f32_e32 v18, v39, v15
	v_fma_f32 v18, v38, v14, -v18
	v_mul_f32_e32 v19, v38, v15
	v_fmac_f32_e32 v19, v39, v14
	v_add_f32_e32 v7, v7, v18
	v_mul_f32_e32 v18, v39, v17
	v_add_f32_e32 v33, v28, v19
	v_fma_f32 v22, v38, v16, -v18
	ds_read_b128 v[18:21], v13 offset:1056
	v_mul_f32_e32 v23, v38, v17
	v_fmac_f32_e32 v23, v39, v16
	v_add_f32_e32 v34, v26, v22
	v_add_f32_e32 v35, v27, v23
	ds_read_b128 v[22:25], v13 offset:1072
	s_waitcnt lgkmcnt(1)
	v_mul_f32_e32 v26, v19, v15
	v_fma_f32 v26, v18, v14, -v26
	v_mul_f32_e32 v15, v18, v15
	v_fmac_f32_e32 v15, v19, v14
	v_add_f32_e32 v14, v29, v26
	v_mul_f32_e32 v26, v19, v17
	v_add_f32_e32 v15, v30, v15
	v_fma_f32 v30, v18, v16, -v26
	ds_read2_b64 v[26:29], v12 offset0:160 offset1:176
	v_mul_f32_e32 v17, v18, v17
	v_fmac_f32_e32 v17, v19, v16
	v_add_f32_e32 v19, v32, v17
	v_add_f32_e32 v18, v31, v30
	s_waitcnt lgkmcnt(0)
	v_mul_f32_e32 v16, v41, v27
	v_fma_f32 v16, v40, v26, -v16
	v_mul_f32_e32 v17, v40, v27
	v_fmac_f32_e32 v17, v41, v26
	v_add_f32_e32 v7, v7, v16
	v_mul_f32_e32 v16, v41, v29
	v_add_f32_e32 v30, v33, v17
	v_fma_f32 v16, v40, v28, -v16
	v_mul_f32_e32 v17, v40, v29
	v_fmac_f32_e32 v17, v41, v28
	v_add_f32_e32 v31, v34, v16
	v_mul_f32_e32 v16, v21, v27
	v_add_f32_e32 v32, v35, v17
	;; [unrolled: 6-line block ×3, first 2 shown]
	v_fma_f32 v33, v20, v28, -v14
	ds_read2_b64 v[14:17], v12 offset0:192 offset1:208
	v_mul_f32_e32 v20, v20, v29
	v_fmac_f32_e32 v20, v21, v28
	v_add_f32_e32 v19, v19, v20
	v_add_f32_e32 v18, v18, v33
	s_waitcnt lgkmcnt(0)
	v_mul_f32_e32 v20, v43, v15
	v_fma_f32 v20, v42, v14, -v20
	v_mul_f32_e32 v21, v42, v15
	v_add_f32_e32 v7, v7, v20
	v_mul_f32_e32 v20, v43, v17
	v_fmac_f32_e32 v21, v43, v14
	v_fma_f32 v20, v42, v16, -v20
	v_add_f32_e32 v21, v30, v21
	v_mul_f32_e32 v28, v42, v17
	v_add_f32_e32 v30, v31, v20
	v_mul_f32_e32 v20, v23, v15
	v_mul_f32_e32 v15, v22, v15
	v_fmac_f32_e32 v28, v43, v16
	v_fma_f32 v20, v22, v14, -v20
	v_fmac_f32_e32 v15, v23, v14
	v_add_f32_e32 v31, v32, v28
	v_add_f32_e32 v14, v26, v20
	;; [unrolled: 1-line block ×3, first 2 shown]
	ds_read2_b64 v[26:29], v12 offset0:224 offset1:240
	v_mul_f32_e32 v20, v23, v17
	v_fma_f32 v20, v22, v16, -v20
	v_mul_f32_e32 v17, v22, v17
	v_fmac_f32_e32 v17, v23, v16
	v_add_f32_e32 v16, v18, v20
	s_waitcnt lgkmcnt(0)
	v_mul_f32_e32 v18, v45, v27
	v_fma_f32 v18, v44, v26, -v18
	v_add_f32_e32 v20, v7, v18
	v_mul_f32_e32 v7, v45, v29
	v_fma_f32 v7, v44, v28, -v7
	v_add_f32_e32 v17, v19, v17
	v_mul_f32_e32 v19, v44, v27
	v_add_f32_e32 v18, v30, v7
	v_mul_f32_e32 v7, v25, v27
	v_mul_f32_e32 v22, v24, v27
	v_fmac_f32_e32 v19, v45, v26
	v_fma_f32 v7, v24, v26, -v7
	v_fmac_f32_e32 v22, v25, v26
	v_add_f32_e32 v21, v21, v19
	v_mul_f32_e32 v19, v44, v29
	v_add_f32_e32 v14, v14, v7
	v_add_f32_e32 v15, v15, v22
	v_mul_f32_e32 v7, v25, v29
	v_mul_f32_e32 v22, v24, v29
	v_fmac_f32_e32 v19, v45, v28
	v_fma_f32 v7, v24, v28, -v7
	v_fmac_f32_e32 v22, v25, v28
	s_add_i32 s9, s9, 8
	v_add_co_u32_e32 v4, vcc, 64, v4
	v_add_f32_e32 v19, v31, v19
	v_add_f32_e32 v16, v16, v7
	;; [unrolled: 1-line block ×3, first 2 shown]
	s_cmp_ge_i32 s9, s11
	v_addc_co_u32_e32 v5, vcc, 0, v5, vcc
	s_barrier
	s_cbranch_scc1 .LBB687_12
.LBB687_3:                              ; =>This Inner Loop Header: Depth=1
	v_add_u32_e32 v7, s9, v9
	v_cmp_le_i32_e32 vcc, s11, v7
	s_or_b64 s[6:7], s[2:3], vcc
	s_and_saveexec_b64 s[18:19], s[6:7]
	s_xor_b64 s[6:7], exec, s[18:19]
; %bb.4:                                ;   in Loop: Header=BB687_3 Depth=1
	v_mov_b32_e32 v7, v6
	ds_write_b64 v10, v[6:7]
; %bb.5:                                ;   in Loop: Header=BB687_3 Depth=1
	s_andn2_saveexec_b64 s[6:7], s[6:7]
	s_cbranch_execz .LBB687_7
; %bb.6:                                ;   in Loop: Header=BB687_3 Depth=1
	flat_load_dwordx2 v[22:23], v[2:3]
	s_waitcnt vmcnt(0) lgkmcnt(0)
	ds_write_b64 v10, v[22:23]
.LBB687_7:                              ;   in Loop: Header=BB687_3 Depth=1
	s_or_b64 exec, exec, s[6:7]
	v_add_u32_e32 v7, s9, v8
	v_cmp_le_i32_e32 vcc, s11, v7
	s_or_b64 s[6:7], vcc, s[0:1]
	s_and_saveexec_b64 s[18:19], s[6:7]
	s_xor_b64 s[6:7], exec, s[18:19]
; %bb.8:                                ;   in Loop: Header=BB687_3 Depth=1
	v_mov_b32_e32 v7, v6
	ds_write_b64 v11, v[6:7]
; %bb.9:                                ;   in Loop: Header=BB687_3 Depth=1
	s_andn2_saveexec_b64 s[6:7], s[6:7]
	s_cbranch_execz .LBB687_2
; %bb.10:                               ;   in Loop: Header=BB687_3 Depth=1
	flat_load_dwordx2 v[22:23], v[4:5]
	s_waitcnt vmcnt(0) lgkmcnt(0)
	ds_write_b64 v11, v[22:23]
	s_branch .LBB687_2
.LBB687_11:
	v_mov_b32_e32 v20, 0
	v_mov_b32_e32 v21, 0
	;; [unrolled: 1-line block ×8, first 2 shown]
.LBB687_12:
	s_load_dword s4, s[4:5], 0x50
	v_add_u32_e32 v4, s20, v1
	s_waitcnt lgkmcnt(0)
	v_mov_b32_e32 v3, s15
	v_add_u32_e32 v0, s8, v0
	v_cmp_gt_i32_e32 vcc, s10, v4
	v_mad_i64_i32 v[1:2], s[0:1], v4, s4, 0
	v_lshlrev_b64 v[1:2], 3, v[1:2]
	v_add_co_u32_e64 v5, s[0:1], s14, v1
	v_addc_co_u32_e64 v6, s[0:1], v3, v2, s[0:1]
	v_cmp_le_i32_e64 s[0:1], v0, v4
	s_and_b64 s[0:1], vcc, s[0:1]
	s_and_saveexec_b64 s[2:3], s[0:1]
	s_cbranch_execz .LBB687_14
; %bb.13:
	v_ashrrev_i32_e32 v1, 31, v0
	v_lshlrev_b64 v[1:2], 3, v[0:1]
	v_mul_f32_e32 v3, s17, v21
	v_add_co_u32_e64 v1, s[0:1], v5, v1
	v_addc_co_u32_e64 v2, s[0:1], v6, v2, s[0:1]
	flat_load_dwordx2 v[7:8], v[1:2]
	v_mul_f32_e32 v9, s16, v21
	v_fma_f32 v3, v20, s16, -v3
	v_fmac_f32_e32 v9, s17, v20
	s_waitcnt vmcnt(0) lgkmcnt(0)
	v_mul_f32_e32 v10, s13, v8
	v_mul_f32_e32 v8, s12, v8
	v_fma_f32 v10, v7, s12, -v10
	v_fmac_f32_e32 v8, s13, v7
	v_add_f32_e32 v7, v3, v10
	v_add_f32_e32 v8, v9, v8
	flat_store_dwordx2 v[1:2], v[7:8]
.LBB687_14:
	s_or_b64 exec, exec, s[2:3]
	v_add_u32_e32 v2, 16, v0
	v_cmp_le_i32_e64 s[0:1], v2, v4
	s_and_b64 s[2:3], vcc, s[0:1]
	s_and_saveexec_b64 s[0:1], s[2:3]
	s_cbranch_execz .LBB687_16
; %bb.15:
	v_ashrrev_i32_e32 v3, 31, v2
	v_lshlrev_b64 v[7:8], 3, v[2:3]
	v_mul_f32_e32 v1, s17, v19
	v_add_co_u32_e32 v5, vcc, v5, v7
	v_addc_co_u32_e32 v6, vcc, v6, v8, vcc
	flat_load_dwordx2 v[7:8], v[5:6]
	v_mul_f32_e32 v3, s16, v19
	v_fma_f32 v1, v18, s16, -v1
	v_fmac_f32_e32 v3, s17, v18
	s_waitcnt vmcnt(0) lgkmcnt(0)
	v_mul_f32_e32 v9, s13, v8
	v_mul_f32_e32 v8, s12, v8
	v_fma_f32 v9, v7, s12, -v9
	v_fmac_f32_e32 v8, s13, v7
	v_add_f32_e32 v7, v1, v9
	v_add_f32_e32 v8, v3, v8
	flat_store_dwordx2 v[5:6], v[7:8]
.LBB687_16:
	s_or_b64 exec, exec, s[0:1]
	v_add_u32_e32 v3, 16, v4
	v_mad_i64_i32 v[4:5], s[0:1], v3, s4, 0
	v_mov_b32_e32 v1, s15
	v_cmp_gt_i32_e32 vcc, s10, v3
	v_lshlrev_b64 v[4:5], 3, v[4:5]
	v_add_co_u32_e64 v4, s[0:1], s14, v4
	v_addc_co_u32_e64 v5, s[0:1], v1, v5, s[0:1]
	v_cmp_le_i32_e64 s[0:1], v0, v3
	s_and_b64 s[0:1], vcc, s[0:1]
	s_and_saveexec_b64 s[2:3], s[0:1]
	s_cbranch_execz .LBB687_18
; %bb.17:
	v_ashrrev_i32_e32 v1, 31, v0
	v_lshlrev_b64 v[0:1], 3, v[0:1]
	v_mul_f32_e32 v8, s17, v15
	v_add_co_u32_e64 v0, s[0:1], v4, v0
	v_addc_co_u32_e64 v1, s[0:1], v5, v1, s[0:1]
	flat_load_dwordx2 v[6:7], v[0:1]
	v_mul_f32_e32 v9, s16, v15
	v_fma_f32 v8, v14, s16, -v8
	v_fmac_f32_e32 v9, s17, v14
	s_waitcnt vmcnt(0) lgkmcnt(0)
	v_mul_f32_e32 v10, s13, v7
	v_mul_f32_e32 v7, s12, v7
	v_fma_f32 v10, v6, s12, -v10
	v_fmac_f32_e32 v7, s13, v6
	v_add_f32_e32 v6, v8, v10
	v_add_f32_e32 v7, v9, v7
	flat_store_dwordx2 v[0:1], v[6:7]
.LBB687_18:
	s_or_b64 exec, exec, s[2:3]
	v_cmp_le_i32_e64 s[0:1], v2, v3
	s_and_b64 s[0:1], vcc, s[0:1]
	s_and_saveexec_b64 s[2:3], s[0:1]
	s_cbranch_execz .LBB687_20
; %bb.19:
	v_ashrrev_i32_e32 v3, 31, v2
	v_lshlrev_b64 v[0:1], 3, v[2:3]
	v_add_co_u32_e32 v0, vcc, v4, v0
	v_addc_co_u32_e32 v1, vcc, v5, v1, vcc
	flat_load_dwordx2 v[2:3], v[0:1]
	v_mul_f32_e32 v4, s17, v17
	v_mul_f32_e32 v5, s16, v17
	v_fma_f32 v4, v16, s16, -v4
	v_fmac_f32_e32 v5, s17, v16
	s_waitcnt vmcnt(0) lgkmcnt(0)
	v_mul_f32_e32 v6, s13, v3
	v_mul_f32_e32 v3, s12, v3
	v_fma_f32 v6, v2, s12, -v6
	v_fmac_f32_e32 v3, s13, v2
	v_add_f32_e32 v2, v4, v6
	v_add_f32_e32 v3, v5, v3
	flat_store_dwordx2 v[0:1], v[2:3]
.LBB687_20:
	s_endpgm
	.section	.rodata,"a",@progbits
	.p2align	6, 0x0
	.amdhsa_kernel _ZL34rocblas_syrkx_herkx_general_kernelIi19rocblas_complex_numIfELi16ELi32ELi8ELb0ELb0ELc84ELc85EKPKS1_KPS1_EviT_T0_PT8_S7_lSA_S7_lS8_PT9_S7_li
		.amdhsa_group_segment_fixed_size 4096
		.amdhsa_private_segment_fixed_size 0
		.amdhsa_kernarg_size 100
		.amdhsa_user_sgpr_count 6
		.amdhsa_user_sgpr_private_segment_buffer 1
		.amdhsa_user_sgpr_dispatch_ptr 0
		.amdhsa_user_sgpr_queue_ptr 0
		.amdhsa_user_sgpr_kernarg_segment_ptr 1
		.amdhsa_user_sgpr_dispatch_id 0
		.amdhsa_user_sgpr_flat_scratch_init 0
		.amdhsa_user_sgpr_private_segment_size 0
		.amdhsa_uses_dynamic_stack 0
		.amdhsa_system_sgpr_private_segment_wavefront_offset 0
		.amdhsa_system_sgpr_workgroup_id_x 1
		.amdhsa_system_sgpr_workgroup_id_y 1
		.amdhsa_system_sgpr_workgroup_id_z 1
		.amdhsa_system_sgpr_workgroup_info 0
		.amdhsa_system_vgpr_workitem_id 1
		.amdhsa_next_free_vgpr 48
		.amdhsa_next_free_sgpr 23
		.amdhsa_reserve_vcc 1
		.amdhsa_reserve_flat_scratch 0
		.amdhsa_float_round_mode_32 0
		.amdhsa_float_round_mode_16_64 0
		.amdhsa_float_denorm_mode_32 3
		.amdhsa_float_denorm_mode_16_64 3
		.amdhsa_dx10_clamp 1
		.amdhsa_ieee_mode 1
		.amdhsa_fp16_overflow 0
		.amdhsa_exception_fp_ieee_invalid_op 0
		.amdhsa_exception_fp_denorm_src 0
		.amdhsa_exception_fp_ieee_div_zero 0
		.amdhsa_exception_fp_ieee_overflow 0
		.amdhsa_exception_fp_ieee_underflow 0
		.amdhsa_exception_fp_ieee_inexact 0
		.amdhsa_exception_int_div_zero 0
	.end_amdhsa_kernel
	.section	.text._ZL34rocblas_syrkx_herkx_general_kernelIi19rocblas_complex_numIfELi16ELi32ELi8ELb0ELb0ELc84ELc85EKPKS1_KPS1_EviT_T0_PT8_S7_lSA_S7_lS8_PT9_S7_li,"axG",@progbits,_ZL34rocblas_syrkx_herkx_general_kernelIi19rocblas_complex_numIfELi16ELi32ELi8ELb0ELb0ELc84ELc85EKPKS1_KPS1_EviT_T0_PT8_S7_lSA_S7_lS8_PT9_S7_li,comdat
.Lfunc_end687:
	.size	_ZL34rocblas_syrkx_herkx_general_kernelIi19rocblas_complex_numIfELi16ELi32ELi8ELb0ELb0ELc84ELc85EKPKS1_KPS1_EviT_T0_PT8_S7_lSA_S7_lS8_PT9_S7_li, .Lfunc_end687-_ZL34rocblas_syrkx_herkx_general_kernelIi19rocblas_complex_numIfELi16ELi32ELi8ELb0ELb0ELc84ELc85EKPKS1_KPS1_EviT_T0_PT8_S7_lSA_S7_lS8_PT9_S7_li
                                        ; -- End function
	.set _ZL34rocblas_syrkx_herkx_general_kernelIi19rocblas_complex_numIfELi16ELi32ELi8ELb0ELb0ELc84ELc85EKPKS1_KPS1_EviT_T0_PT8_S7_lSA_S7_lS8_PT9_S7_li.num_vgpr, 48
	.set _ZL34rocblas_syrkx_herkx_general_kernelIi19rocblas_complex_numIfELi16ELi32ELi8ELb0ELb0ELc84ELc85EKPKS1_KPS1_EviT_T0_PT8_S7_lSA_S7_lS8_PT9_S7_li.num_agpr, 0
	.set _ZL34rocblas_syrkx_herkx_general_kernelIi19rocblas_complex_numIfELi16ELi32ELi8ELb0ELb0ELc84ELc85EKPKS1_KPS1_EviT_T0_PT8_S7_lSA_S7_lS8_PT9_S7_li.numbered_sgpr, 23
	.set _ZL34rocblas_syrkx_herkx_general_kernelIi19rocblas_complex_numIfELi16ELi32ELi8ELb0ELb0ELc84ELc85EKPKS1_KPS1_EviT_T0_PT8_S7_lSA_S7_lS8_PT9_S7_li.num_named_barrier, 0
	.set _ZL34rocblas_syrkx_herkx_general_kernelIi19rocblas_complex_numIfELi16ELi32ELi8ELb0ELb0ELc84ELc85EKPKS1_KPS1_EviT_T0_PT8_S7_lSA_S7_lS8_PT9_S7_li.private_seg_size, 0
	.set _ZL34rocblas_syrkx_herkx_general_kernelIi19rocblas_complex_numIfELi16ELi32ELi8ELb0ELb0ELc84ELc85EKPKS1_KPS1_EviT_T0_PT8_S7_lSA_S7_lS8_PT9_S7_li.uses_vcc, 1
	.set _ZL34rocblas_syrkx_herkx_general_kernelIi19rocblas_complex_numIfELi16ELi32ELi8ELb0ELb0ELc84ELc85EKPKS1_KPS1_EviT_T0_PT8_S7_lSA_S7_lS8_PT9_S7_li.uses_flat_scratch, 0
	.set _ZL34rocblas_syrkx_herkx_general_kernelIi19rocblas_complex_numIfELi16ELi32ELi8ELb0ELb0ELc84ELc85EKPKS1_KPS1_EviT_T0_PT8_S7_lSA_S7_lS8_PT9_S7_li.has_dyn_sized_stack, 0
	.set _ZL34rocblas_syrkx_herkx_general_kernelIi19rocblas_complex_numIfELi16ELi32ELi8ELb0ELb0ELc84ELc85EKPKS1_KPS1_EviT_T0_PT8_S7_lSA_S7_lS8_PT9_S7_li.has_recursion, 0
	.set _ZL34rocblas_syrkx_herkx_general_kernelIi19rocblas_complex_numIfELi16ELi32ELi8ELb0ELb0ELc84ELc85EKPKS1_KPS1_EviT_T0_PT8_S7_lSA_S7_lS8_PT9_S7_li.has_indirect_call, 0
	.section	.AMDGPU.csdata,"",@progbits
; Kernel info:
; codeLenInByte = 2228
; TotalNumSgprs: 27
; NumVgprs: 48
; ScratchSize: 0
; MemoryBound: 1
; FloatMode: 240
; IeeeMode: 1
; LDSByteSize: 4096 bytes/workgroup (compile time only)
; SGPRBlocks: 3
; VGPRBlocks: 11
; NumSGPRsForWavesPerEU: 27
; NumVGPRsForWavesPerEU: 48
; Occupancy: 5
; WaveLimiterHint : 1
; COMPUTE_PGM_RSRC2:SCRATCH_EN: 0
; COMPUTE_PGM_RSRC2:USER_SGPR: 6
; COMPUTE_PGM_RSRC2:TRAP_HANDLER: 0
; COMPUTE_PGM_RSRC2:TGID_X_EN: 1
; COMPUTE_PGM_RSRC2:TGID_Y_EN: 1
; COMPUTE_PGM_RSRC2:TGID_Z_EN: 1
; COMPUTE_PGM_RSRC2:TIDIG_COMP_CNT: 1
	.section	.text._ZL34rocblas_syrkx_herkx_general_kernelIi19rocblas_complex_numIfELi16ELi32ELi8ELb0ELb0ELc67ELc85EKPKS1_KPS1_EviT_T0_PT8_S7_lSA_S7_lS8_PT9_S7_li,"axG",@progbits,_ZL34rocblas_syrkx_herkx_general_kernelIi19rocblas_complex_numIfELi16ELi32ELi8ELb0ELb0ELc67ELc85EKPKS1_KPS1_EviT_T0_PT8_S7_lSA_S7_lS8_PT9_S7_li,comdat
	.globl	_ZL34rocblas_syrkx_herkx_general_kernelIi19rocblas_complex_numIfELi16ELi32ELi8ELb0ELb0ELc67ELc85EKPKS1_KPS1_EviT_T0_PT8_S7_lSA_S7_lS8_PT9_S7_li ; -- Begin function _ZL34rocblas_syrkx_herkx_general_kernelIi19rocblas_complex_numIfELi16ELi32ELi8ELb0ELb0ELc67ELc85EKPKS1_KPS1_EviT_T0_PT8_S7_lSA_S7_lS8_PT9_S7_li
	.p2align	8
	.type	_ZL34rocblas_syrkx_herkx_general_kernelIi19rocblas_complex_numIfELi16ELi32ELi8ELb0ELb0ELc67ELc85EKPKS1_KPS1_EviT_T0_PT8_S7_lSA_S7_lS8_PT9_S7_li,@function
_ZL34rocblas_syrkx_herkx_general_kernelIi19rocblas_complex_numIfELi16ELi32ELi8ELb0ELb0ELc67ELc85EKPKS1_KPS1_EviT_T0_PT8_S7_lSA_S7_lS8_PT9_S7_li: ; @_ZL34rocblas_syrkx_herkx_general_kernelIi19rocblas_complex_numIfELi16ELi32ELi8ELb0ELb0ELc67ELc85EKPKS1_KPS1_EviT_T0_PT8_S7_lSA_S7_lS8_PT9_S7_li
; %bb.0:
	s_load_dwordx4 s[12:15], s[4:5], 0x40
	s_load_dwordx2 s[10:11], s[4:5], 0x0
	s_load_dwordx4 s[16:19], s[4:5], 0x8
	s_mov_b32 s9, 0
	s_lshl_b64 s[0:1], s[8:9], 3
	s_waitcnt lgkmcnt(0)
	s_add_u32 s2, s14, s0
	s_addc_u32 s3, s15, s1
	s_load_dwordx2 s[14:15], s[2:3], 0x0
	s_lshl_b32 s6, s6, 5
	s_lshl_b32 s7, s7, 5
	s_cmp_lt_i32 s11, 1
	s_cbranch_scc1 .LBB688_9
; %bb.1:
	s_load_dword s8, s[4:5], 0x18
	s_load_dwordx2 s[2:3], s[4:5], 0x28
	s_load_dword s22, s[4:5], 0x30
	v_lshl_add_u32 v2, v1, 4, v0
	v_and_b32_e32 v9, 7, v0
	v_lshrrev_b32_e32 v10, 5, v2
	v_lshrrev_b32_e32 v3, 3, v2
	v_and_b32_e32 v2, 31, v2
	v_or_b32_e32 v5, s6, v2
	s_waitcnt lgkmcnt(0)
	s_add_u32 s2, s2, s0
	v_lshlrev_b32_e32 v6, 3, v9
	v_add_u32_e32 v4, s7, v3
	s_addc_u32 s3, s3, s1
	v_cmp_gt_i32_e32 vcc, s10, v5
	v_lshlrev_b32_e32 v5, 3, v2
	v_lshl_or_b32 v3, v3, 6, v6
	v_add_u32_e32 v2, s6, v2
	s_load_dwordx2 s[20:21], s[2:3], 0x0
	v_add_u32_e32 v12, 0x800, v3
	v_mad_i64_i32 v[2:3], s[2:3], s8, v2, 0
	s_add_u32 s0, s18, s0
	v_lshl_or_b32 v11, v10, 8, v5
	v_mov_b32_e32 v5, 0x800
	v_lshlrev_b64 v[2:3], 3, v[2:3]
	s_addc_u32 s1, s19, s1
	v_lshl_add_u32 v14, v1, 6, v5
	v_lshlrev_b32_e32 v5, 3, v10
	s_load_dwordx2 s[18:19], s[0:1], 0x0
	v_add_co_u32_e64 v2, s[2:3], v2, v5
	v_cmp_gt_i32_e64 s[0:1], s10, v4
	v_addc_co_u32_e64 v3, s[2:3], 0, v3, s[2:3]
	v_mad_i64_i32 v[4:5], s[2:3], s22, v4, 0
	s_waitcnt lgkmcnt(0)
	v_mov_b32_e32 v7, s19
	v_add_co_u32_e64 v2, s[2:3], s18, v2
	v_lshlrev_b64 v[4:5], 3, v[4:5]
	v_addc_co_u32_e64 v3, s[2:3], v7, v3, s[2:3]
	v_add_co_u32_e64 v4, s[2:3], v4, v6
	v_addc_co_u32_e64 v5, s[2:3], 0, v5, s[2:3]
	v_mov_b32_e32 v6, s21
	v_add_co_u32_e64 v4, s[2:3], s20, v4
	v_addc_co_u32_e64 v5, s[2:3], v6, v5, s[2:3]
	v_lshlrev_b32_e32 v13, 3, v0
	s_xor_b64 s[2:3], s[0:1], -1
	v_mov_b32_e32 v18, 0
	v_mov_b32_e32 v17, 0
	;; [unrolled: 1-line block ×9, first 2 shown]
	s_branch .LBB688_3
.LBB688_2:                              ;   in Loop: Header=BB688_3 Depth=1
	s_or_b64 exec, exec, s[0:1]
	s_waitcnt lgkmcnt(0)
	s_barrier
	ds_read2_b64 v[23:26], v13 offset1:16
	ds_read_b128 v[27:30], v14
	ds_read_b128 v[31:34], v14 offset:16
	ds_read_b128 v[35:38], v14 offset:1024
	v_add_co_u32_e64 v2, s[0:1], 64, v2
	s_waitcnt lgkmcnt(2)
	v_mul_f32_e32 v7, v28, v24
	v_mul_f32_e32 v8, v27, v24
	v_fma_f32 v7, v27, v23, -v7
	v_fmac_f32_e32 v8, v28, v23
	v_add_f32_e32 v7, v21, v7
	v_add_f32_e32 v8, v22, v8
	v_mul_f32_e32 v21, v28, v26
	v_mul_f32_e32 v22, v27, v26
	v_fma_f32 v21, v27, v25, -v21
	v_fmac_f32_e32 v22, v28, v25
	v_add_f32_e32 v27, v19, v21
	v_add_f32_e32 v28, v20, v22
	ds_read_b128 v[19:22], v14 offset:1040
	s_waitcnt lgkmcnt(1)
	v_mul_f32_e32 v39, v36, v24
	v_mul_f32_e32 v24, v35, v24
	v_fma_f32 v39, v35, v23, -v39
	v_fmac_f32_e32 v24, v36, v23
	v_mul_f32_e32 v23, v36, v26
	v_fma_f32 v47, v35, v25, -v23
	v_mul_f32_e32 v35, v35, v26
	v_add_f32_e32 v15, v15, v39
	v_add_f32_e32 v16, v16, v24
	v_fmac_f32_e32 v35, v36, v25
	ds_read2_b64 v[23:26], v13 offset0:32 offset1:48
	ds_read_b128 v[39:42], v14 offset:32
	ds_read_b128 v[43:46], v14 offset:48
	v_add_f32_e32 v36, v17, v47
	v_add_f32_e32 v35, v18, v35
	s_waitcnt lgkmcnt(2)
	v_mul_f32_e32 v17, v30, v24
	v_fma_f32 v17, v29, v23, -v17
	v_mul_f32_e32 v18, v29, v24
	v_fmac_f32_e32 v18, v30, v23
	v_add_f32_e32 v7, v7, v17
	v_mul_f32_e32 v17, v30, v26
	v_add_f32_e32 v8, v8, v18
	v_fma_f32 v17, v29, v25, -v17
	v_mul_f32_e32 v18, v29, v26
	v_fmac_f32_e32 v18, v30, v25
	v_add_f32_e32 v27, v27, v17
	v_mul_f32_e32 v17, v38, v24
	v_add_f32_e32 v28, v28, v18
	;; [unrolled: 6-line block ×3, first 2 shown]
	v_fma_f32 v29, v37, v25, -v15
	ds_read2_b64 v[15:18], v13 offset0:64 offset1:80
	v_mul_f32_e32 v26, v37, v26
	v_fmac_f32_e32 v26, v38, v25
	v_add_f32_e32 v30, v35, v26
	v_add_f32_e32 v29, v36, v29
	s_waitcnt lgkmcnt(0)
	v_mul_f32_e32 v25, v32, v16
	v_fma_f32 v25, v31, v15, -v25
	v_add_f32_e32 v7, v7, v25
	v_mul_f32_e32 v25, v32, v18
	v_mul_f32_e32 v26, v31, v16
	v_fma_f32 v25, v31, v17, -v25
	v_fmac_f32_e32 v26, v32, v15
	v_add_f32_e32 v27, v27, v25
	v_mul_f32_e32 v25, v20, v16
	v_add_f32_e32 v8, v8, v26
	v_mul_f32_e32 v26, v31, v18
	v_fma_f32 v25, v19, v15, -v25
	v_mul_f32_e32 v16, v19, v16
	v_fmac_f32_e32 v26, v32, v17
	v_fmac_f32_e32 v16, v20, v15
	v_add_f32_e32 v15, v23, v25
	v_mul_f32_e32 v23, v20, v18
	v_add_f32_e32 v28, v28, v26
	v_add_f32_e32 v16, v24, v16
	v_fma_f32 v31, v19, v17, -v23
	ds_read2_b64 v[23:26], v13 offset0:96 offset1:112
	v_mul_f32_e32 v18, v19, v18
	v_fmac_f32_e32 v18, v20, v17
	v_add_f32_e32 v20, v30, v18
	v_add_f32_e32 v19, v29, v31
	s_waitcnt lgkmcnt(0)
	v_mul_f32_e32 v17, v34, v24
	v_fma_f32 v17, v33, v23, -v17
	v_mul_f32_e32 v18, v33, v24
	v_fmac_f32_e32 v18, v34, v23
	v_add_f32_e32 v7, v7, v17
	v_mul_f32_e32 v17, v34, v26
	v_add_f32_e32 v8, v8, v18
	v_fma_f32 v17, v33, v25, -v17
	v_mul_f32_e32 v18, v33, v26
	v_fmac_f32_e32 v18, v34, v25
	v_add_f32_e32 v27, v27, v17
	v_mul_f32_e32 v17, v22, v24
	v_add_f32_e32 v28, v28, v18
	;; [unrolled: 6-line block ×3, first 2 shown]
	v_fma_f32 v23, v21, v25, -v15
	ds_read2_b64 v[15:18], v13 offset0:128 offset1:144
	v_mul_f32_e32 v21, v21, v26
	v_fmac_f32_e32 v21, v22, v25
	v_add_f32_e32 v31, v19, v23
	v_add_f32_e32 v32, v20, v21
	s_waitcnt lgkmcnt(0)
	v_mul_f32_e32 v19, v40, v16
	v_fma_f32 v19, v39, v15, -v19
	v_mul_f32_e32 v20, v39, v16
	v_fmac_f32_e32 v20, v40, v15
	v_add_f32_e32 v7, v7, v19
	v_mul_f32_e32 v19, v40, v18
	v_add_f32_e32 v8, v8, v20
	v_fma_f32 v23, v39, v17, -v19
	ds_read_b128 v[19:22], v14 offset:1056
	v_mul_f32_e32 v24, v39, v18
	v_fmac_f32_e32 v24, v40, v17
	v_add_f32_e32 v33, v27, v23
	v_add_f32_e32 v34, v28, v24
	ds_read_b128 v[23:26], v14 offset:1072
	s_waitcnt lgkmcnt(1)
	v_mul_f32_e32 v27, v20, v16
	v_fma_f32 v27, v19, v15, -v27
	v_mul_f32_e32 v16, v19, v16
	v_fmac_f32_e32 v16, v20, v15
	v_add_f32_e32 v15, v29, v27
	v_mul_f32_e32 v27, v20, v18
	v_add_f32_e32 v16, v30, v16
	v_fma_f32 v35, v19, v17, -v27
	ds_read2_b64 v[27:30], v13 offset0:160 offset1:176
	v_mul_f32_e32 v18, v19, v18
	v_fmac_f32_e32 v18, v20, v17
	v_add_f32_e32 v20, v32, v18
	v_add_f32_e32 v19, v31, v35
	s_waitcnt lgkmcnt(0)
	v_mul_f32_e32 v17, v42, v28
	v_fma_f32 v17, v41, v27, -v17
	v_mul_f32_e32 v18, v41, v28
	v_fmac_f32_e32 v18, v42, v27
	v_add_f32_e32 v7, v7, v17
	v_mul_f32_e32 v17, v42, v30
	v_add_f32_e32 v8, v8, v18
	v_fma_f32 v17, v41, v29, -v17
	v_mul_f32_e32 v18, v41, v30
	v_fmac_f32_e32 v18, v42, v29
	v_add_f32_e32 v31, v33, v17
	v_mul_f32_e32 v17, v22, v28
	v_add_f32_e32 v32, v34, v18
	;; [unrolled: 6-line block ×3, first 2 shown]
	v_fma_f32 v33, v21, v29, -v15
	ds_read2_b64 v[15:18], v13 offset0:192 offset1:208
	v_mul_f32_e32 v21, v21, v30
	v_fmac_f32_e32 v21, v22, v29
	v_add_f32_e32 v20, v20, v21
	v_add_f32_e32 v19, v19, v33
	s_waitcnt lgkmcnt(0)
	v_mul_f32_e32 v21, v44, v16
	v_fma_f32 v21, v43, v15, -v21
	v_add_f32_e32 v7, v7, v21
	v_mul_f32_e32 v21, v44, v18
	v_fma_f32 v21, v43, v17, -v21
	v_mul_f32_e32 v22, v43, v16
	v_add_f32_e32 v31, v31, v21
	v_mul_f32_e32 v21, v24, v16
	v_mul_f32_e32 v16, v23, v16
	v_fma_f32 v21, v23, v15, -v21
	v_fmac_f32_e32 v16, v24, v15
	v_fmac_f32_e32 v22, v44, v15
	v_add_f32_e32 v15, v27, v21
	v_add_f32_e32 v16, v28, v16
	ds_read2_b64 v[27:30], v13 offset0:224 offset1:240
	v_add_f32_e32 v8, v8, v22
	v_mul_f32_e32 v22, v43, v18
	v_mul_f32_e32 v21, v24, v18
	;; [unrolled: 1-line block ×3, first 2 shown]
	v_fma_f32 v21, v23, v17, -v21
	v_fmac_f32_e32 v18, v24, v17
	v_fmac_f32_e32 v22, v44, v17
	v_add_f32_e32 v17, v19, v21
	v_add_f32_e32 v18, v20, v18
	s_waitcnt lgkmcnt(0)
	v_mul_f32_e32 v19, v46, v28
	v_mul_f32_e32 v20, v45, v28
	v_fma_f32 v19, v45, v27, -v19
	v_fmac_f32_e32 v20, v46, v27
	v_add_f32_e32 v32, v32, v22
	v_add_f32_e32 v21, v7, v19
	;; [unrolled: 1-line block ×3, first 2 shown]
	v_mul_f32_e32 v7, v46, v30
	v_mul_f32_e32 v8, v45, v30
	v_fma_f32 v7, v45, v29, -v7
	v_fmac_f32_e32 v8, v46, v29
	v_add_f32_e32 v19, v31, v7
	v_add_f32_e32 v20, v32, v8
	v_mul_f32_e32 v7, v26, v28
	v_mul_f32_e32 v8, v25, v28
	v_fma_f32 v7, v25, v27, -v7
	v_fmac_f32_e32 v8, v26, v27
	v_add_f32_e32 v15, v15, v7
	v_add_f32_e32 v16, v16, v8
	v_mul_f32_e32 v7, v26, v30
	v_mul_f32_e32 v8, v25, v30
	v_addc_co_u32_e64 v3, s[0:1], 0, v3, s[0:1]
	v_fma_f32 v7, v25, v29, -v7
	v_fmac_f32_e32 v8, v26, v29
	s_add_i32 s9, s9, 8
	v_add_co_u32_e64 v4, s[0:1], 64, v4
	v_add_f32_e32 v17, v17, v7
	v_add_f32_e32 v18, v18, v8
	s_cmp_ge_i32 s9, s11
	v_addc_co_u32_e64 v5, s[0:1], 0, v5, s[0:1]
	s_barrier
	s_cbranch_scc1 .LBB688_10
.LBB688_3:                              ; =>This Inner Loop Header: Depth=1
	v_add_u32_e32 v7, s9, v10
	v_cmp_gt_i32_e64 s[0:1], s11, v7
	s_and_b64 s[18:19], vcc, s[0:1]
	v_mov_b32_e32 v7, 0
	v_mov_b32_e32 v8, 0
	s_and_saveexec_b64 s[0:1], s[18:19]
	s_cbranch_execz .LBB688_5
; %bb.4:                                ;   in Loop: Header=BB688_3 Depth=1
	flat_load_dwordx2 v[7:8], v[2:3]
.LBB688_5:                              ;   in Loop: Header=BB688_3 Depth=1
	s_or_b64 exec, exec, s[0:1]
	s_waitcnt vmcnt(0) lgkmcnt(0)
	ds_write_b64 v11, v[7:8]
	v_add_u32_e32 v7, s9, v9
	v_cmp_le_i32_e64 s[0:1], s11, v7
	s_or_b64 s[0:1], s[0:1], s[2:3]
	s_and_saveexec_b64 s[18:19], s[0:1]
	s_xor_b64 s[0:1], exec, s[18:19]
; %bb.6:                                ;   in Loop: Header=BB688_3 Depth=1
	v_mov_b32_e32 v7, v6
	ds_write_b64 v12, v[6:7]
; %bb.7:                                ;   in Loop: Header=BB688_3 Depth=1
	s_andn2_saveexec_b64 s[0:1], s[0:1]
	s_cbranch_execz .LBB688_2
; %bb.8:                                ;   in Loop: Header=BB688_3 Depth=1
	flat_load_dwordx2 v[7:8], v[4:5]
	s_waitcnt vmcnt(0) lgkmcnt(0)
	ds_write_b64 v12, v[7:8]
	s_branch .LBB688_2
.LBB688_9:
	v_mov_b32_e32 v21, 0
	v_mov_b32_e32 v22, 0
	;; [unrolled: 1-line block ×8, first 2 shown]
.LBB688_10:
	s_load_dword s4, s[4:5], 0x50
	v_add_u32_e32 v4, s7, v1
	s_waitcnt lgkmcnt(0)
	v_mov_b32_e32 v3, s15
	v_add_u32_e32 v0, s6, v0
	v_cmp_gt_i32_e32 vcc, s10, v4
	v_mad_i64_i32 v[1:2], s[0:1], v4, s4, 0
	v_lshlrev_b64 v[1:2], 3, v[1:2]
	v_add_co_u32_e64 v5, s[0:1], s14, v1
	v_addc_co_u32_e64 v6, s[0:1], v3, v2, s[0:1]
	v_cmp_le_i32_e64 s[0:1], v0, v4
	s_and_b64 s[0:1], vcc, s[0:1]
	s_and_saveexec_b64 s[2:3], s[0:1]
	s_cbranch_execz .LBB688_12
; %bb.11:
	v_ashrrev_i32_e32 v1, 31, v0
	v_lshlrev_b64 v[1:2], 3, v[0:1]
	v_mul_f32_e32 v3, s17, v22
	v_add_co_u32_e64 v1, s[0:1], v5, v1
	v_addc_co_u32_e64 v2, s[0:1], v6, v2, s[0:1]
	flat_load_dwordx2 v[7:8], v[1:2]
	v_mul_f32_e32 v9, s16, v22
	v_fma_f32 v3, v21, s16, -v3
	v_fmac_f32_e32 v9, s17, v21
	s_waitcnt vmcnt(0) lgkmcnt(0)
	v_mul_f32_e32 v10, s13, v8
	v_mul_f32_e32 v8, s12, v8
	v_fma_f32 v10, v7, s12, -v10
	v_fmac_f32_e32 v8, s13, v7
	v_add_f32_e32 v7, v3, v10
	v_add_f32_e32 v8, v9, v8
	flat_store_dwordx2 v[1:2], v[7:8]
.LBB688_12:
	s_or_b64 exec, exec, s[2:3]
	v_add_u32_e32 v2, 16, v0
	v_cmp_le_i32_e64 s[0:1], v2, v4
	s_and_b64 s[2:3], vcc, s[0:1]
	s_and_saveexec_b64 s[0:1], s[2:3]
	s_cbranch_execz .LBB688_14
; %bb.13:
	v_ashrrev_i32_e32 v3, 31, v2
	v_lshlrev_b64 v[7:8], 3, v[2:3]
	v_mul_f32_e32 v1, s17, v20
	v_add_co_u32_e32 v5, vcc, v5, v7
	v_addc_co_u32_e32 v6, vcc, v6, v8, vcc
	flat_load_dwordx2 v[7:8], v[5:6]
	v_mul_f32_e32 v3, s16, v20
	v_fma_f32 v1, v19, s16, -v1
	v_fmac_f32_e32 v3, s17, v19
	s_waitcnt vmcnt(0) lgkmcnt(0)
	v_mul_f32_e32 v9, s13, v8
	v_mul_f32_e32 v8, s12, v8
	v_fma_f32 v9, v7, s12, -v9
	v_fmac_f32_e32 v8, s13, v7
	v_add_f32_e32 v7, v1, v9
	v_add_f32_e32 v8, v3, v8
	flat_store_dwordx2 v[5:6], v[7:8]
.LBB688_14:
	s_or_b64 exec, exec, s[0:1]
	v_add_u32_e32 v3, 16, v4
	v_mad_i64_i32 v[4:5], s[0:1], v3, s4, 0
	v_mov_b32_e32 v1, s15
	v_cmp_gt_i32_e32 vcc, s10, v3
	v_lshlrev_b64 v[4:5], 3, v[4:5]
	v_add_co_u32_e64 v4, s[0:1], s14, v4
	v_addc_co_u32_e64 v5, s[0:1], v1, v5, s[0:1]
	v_cmp_le_i32_e64 s[0:1], v0, v3
	s_and_b64 s[0:1], vcc, s[0:1]
	s_and_saveexec_b64 s[2:3], s[0:1]
	s_cbranch_execz .LBB688_16
; %bb.15:
	v_ashrrev_i32_e32 v1, 31, v0
	v_lshlrev_b64 v[0:1], 3, v[0:1]
	v_mul_f32_e32 v8, s17, v16
	v_add_co_u32_e64 v0, s[0:1], v4, v0
	v_addc_co_u32_e64 v1, s[0:1], v5, v1, s[0:1]
	flat_load_dwordx2 v[6:7], v[0:1]
	v_mul_f32_e32 v9, s16, v16
	v_fma_f32 v8, v15, s16, -v8
	v_fmac_f32_e32 v9, s17, v15
	s_waitcnt vmcnt(0) lgkmcnt(0)
	v_mul_f32_e32 v10, s13, v7
	v_mul_f32_e32 v7, s12, v7
	v_fma_f32 v10, v6, s12, -v10
	v_fmac_f32_e32 v7, s13, v6
	v_add_f32_e32 v6, v8, v10
	v_add_f32_e32 v7, v9, v7
	flat_store_dwordx2 v[0:1], v[6:7]
.LBB688_16:
	s_or_b64 exec, exec, s[2:3]
	v_cmp_le_i32_e64 s[0:1], v2, v3
	s_and_b64 s[0:1], vcc, s[0:1]
	s_and_saveexec_b64 s[2:3], s[0:1]
	s_cbranch_execz .LBB688_18
; %bb.17:
	v_ashrrev_i32_e32 v3, 31, v2
	v_lshlrev_b64 v[0:1], 3, v[2:3]
	v_add_co_u32_e32 v0, vcc, v4, v0
	v_addc_co_u32_e32 v1, vcc, v5, v1, vcc
	flat_load_dwordx2 v[2:3], v[0:1]
	v_mul_f32_e32 v4, s17, v18
	v_mul_f32_e32 v5, s16, v18
	v_fma_f32 v4, v17, s16, -v4
	v_fmac_f32_e32 v5, s17, v17
	s_waitcnt vmcnt(0) lgkmcnt(0)
	v_mul_f32_e32 v6, s13, v3
	v_mul_f32_e32 v3, s12, v3
	v_fma_f32 v6, v2, s12, -v6
	v_fmac_f32_e32 v3, s13, v2
	v_add_f32_e32 v2, v4, v6
	v_add_f32_e32 v3, v5, v3
	flat_store_dwordx2 v[0:1], v[2:3]
.LBB688_18:
	s_endpgm
	.section	.rodata,"a",@progbits
	.p2align	6, 0x0
	.amdhsa_kernel _ZL34rocblas_syrkx_herkx_general_kernelIi19rocblas_complex_numIfELi16ELi32ELi8ELb0ELb0ELc67ELc85EKPKS1_KPS1_EviT_T0_PT8_S7_lSA_S7_lS8_PT9_S7_li
		.amdhsa_group_segment_fixed_size 4096
		.amdhsa_private_segment_fixed_size 0
		.amdhsa_kernarg_size 100
		.amdhsa_user_sgpr_count 6
		.amdhsa_user_sgpr_private_segment_buffer 1
		.amdhsa_user_sgpr_dispatch_ptr 0
		.amdhsa_user_sgpr_queue_ptr 0
		.amdhsa_user_sgpr_kernarg_segment_ptr 1
		.amdhsa_user_sgpr_dispatch_id 0
		.amdhsa_user_sgpr_flat_scratch_init 0
		.amdhsa_user_sgpr_private_segment_size 0
		.amdhsa_uses_dynamic_stack 0
		.amdhsa_system_sgpr_private_segment_wavefront_offset 0
		.amdhsa_system_sgpr_workgroup_id_x 1
		.amdhsa_system_sgpr_workgroup_id_y 1
		.amdhsa_system_sgpr_workgroup_id_z 1
		.amdhsa_system_sgpr_workgroup_info 0
		.amdhsa_system_vgpr_workitem_id 1
		.amdhsa_next_free_vgpr 48
		.amdhsa_next_free_sgpr 23
		.amdhsa_reserve_vcc 1
		.amdhsa_reserve_flat_scratch 0
		.amdhsa_float_round_mode_32 0
		.amdhsa_float_round_mode_16_64 0
		.amdhsa_float_denorm_mode_32 3
		.amdhsa_float_denorm_mode_16_64 3
		.amdhsa_dx10_clamp 1
		.amdhsa_ieee_mode 1
		.amdhsa_fp16_overflow 0
		.amdhsa_exception_fp_ieee_invalid_op 0
		.amdhsa_exception_fp_denorm_src 0
		.amdhsa_exception_fp_ieee_div_zero 0
		.amdhsa_exception_fp_ieee_overflow 0
		.amdhsa_exception_fp_ieee_underflow 0
		.amdhsa_exception_fp_ieee_inexact 0
		.amdhsa_exception_int_div_zero 0
	.end_amdhsa_kernel
	.section	.text._ZL34rocblas_syrkx_herkx_general_kernelIi19rocblas_complex_numIfELi16ELi32ELi8ELb0ELb0ELc67ELc85EKPKS1_KPS1_EviT_T0_PT8_S7_lSA_S7_lS8_PT9_S7_li,"axG",@progbits,_ZL34rocblas_syrkx_herkx_general_kernelIi19rocblas_complex_numIfELi16ELi32ELi8ELb0ELb0ELc67ELc85EKPKS1_KPS1_EviT_T0_PT8_S7_lSA_S7_lS8_PT9_S7_li,comdat
.Lfunc_end688:
	.size	_ZL34rocblas_syrkx_herkx_general_kernelIi19rocblas_complex_numIfELi16ELi32ELi8ELb0ELb0ELc67ELc85EKPKS1_KPS1_EviT_T0_PT8_S7_lSA_S7_lS8_PT9_S7_li, .Lfunc_end688-_ZL34rocblas_syrkx_herkx_general_kernelIi19rocblas_complex_numIfELi16ELi32ELi8ELb0ELb0ELc67ELc85EKPKS1_KPS1_EviT_T0_PT8_S7_lSA_S7_lS8_PT9_S7_li
                                        ; -- End function
	.set _ZL34rocblas_syrkx_herkx_general_kernelIi19rocblas_complex_numIfELi16ELi32ELi8ELb0ELb0ELc67ELc85EKPKS1_KPS1_EviT_T0_PT8_S7_lSA_S7_lS8_PT9_S7_li.num_vgpr, 48
	.set _ZL34rocblas_syrkx_herkx_general_kernelIi19rocblas_complex_numIfELi16ELi32ELi8ELb0ELb0ELc67ELc85EKPKS1_KPS1_EviT_T0_PT8_S7_lSA_S7_lS8_PT9_S7_li.num_agpr, 0
	.set _ZL34rocblas_syrkx_herkx_general_kernelIi19rocblas_complex_numIfELi16ELi32ELi8ELb0ELb0ELc67ELc85EKPKS1_KPS1_EviT_T0_PT8_S7_lSA_S7_lS8_PT9_S7_li.numbered_sgpr, 23
	.set _ZL34rocblas_syrkx_herkx_general_kernelIi19rocblas_complex_numIfELi16ELi32ELi8ELb0ELb0ELc67ELc85EKPKS1_KPS1_EviT_T0_PT8_S7_lSA_S7_lS8_PT9_S7_li.num_named_barrier, 0
	.set _ZL34rocblas_syrkx_herkx_general_kernelIi19rocblas_complex_numIfELi16ELi32ELi8ELb0ELb0ELc67ELc85EKPKS1_KPS1_EviT_T0_PT8_S7_lSA_S7_lS8_PT9_S7_li.private_seg_size, 0
	.set _ZL34rocblas_syrkx_herkx_general_kernelIi19rocblas_complex_numIfELi16ELi32ELi8ELb0ELb0ELc67ELc85EKPKS1_KPS1_EviT_T0_PT8_S7_lSA_S7_lS8_PT9_S7_li.uses_vcc, 1
	.set _ZL34rocblas_syrkx_herkx_general_kernelIi19rocblas_complex_numIfELi16ELi32ELi8ELb0ELb0ELc67ELc85EKPKS1_KPS1_EviT_T0_PT8_S7_lSA_S7_lS8_PT9_S7_li.uses_flat_scratch, 0
	.set _ZL34rocblas_syrkx_herkx_general_kernelIi19rocblas_complex_numIfELi16ELi32ELi8ELb0ELb0ELc67ELc85EKPKS1_KPS1_EviT_T0_PT8_S7_lSA_S7_lS8_PT9_S7_li.has_dyn_sized_stack, 0
	.set _ZL34rocblas_syrkx_herkx_general_kernelIi19rocblas_complex_numIfELi16ELi32ELi8ELb0ELb0ELc67ELc85EKPKS1_KPS1_EviT_T0_PT8_S7_lSA_S7_lS8_PT9_S7_li.has_recursion, 0
	.set _ZL34rocblas_syrkx_herkx_general_kernelIi19rocblas_complex_numIfELi16ELi32ELi8ELb0ELb0ELc67ELc85EKPKS1_KPS1_EviT_T0_PT8_S7_lSA_S7_lS8_PT9_S7_li.has_indirect_call, 0
	.section	.AMDGPU.csdata,"",@progbits
; Kernel info:
; codeLenInByte = 2236
; TotalNumSgprs: 27
; NumVgprs: 48
; ScratchSize: 0
; MemoryBound: 1
; FloatMode: 240
; IeeeMode: 1
; LDSByteSize: 4096 bytes/workgroup (compile time only)
; SGPRBlocks: 3
; VGPRBlocks: 11
; NumSGPRsForWavesPerEU: 27
; NumVGPRsForWavesPerEU: 48
; Occupancy: 5
; WaveLimiterHint : 1
; COMPUTE_PGM_RSRC2:SCRATCH_EN: 0
; COMPUTE_PGM_RSRC2:USER_SGPR: 6
; COMPUTE_PGM_RSRC2:TRAP_HANDLER: 0
; COMPUTE_PGM_RSRC2:TGID_X_EN: 1
; COMPUTE_PGM_RSRC2:TGID_Y_EN: 1
; COMPUTE_PGM_RSRC2:TGID_Z_EN: 1
; COMPUTE_PGM_RSRC2:TIDIG_COMP_CNT: 1
	.section	.text._ZL34rocblas_syrkx_herkx_general_kernelIi19rocblas_complex_numIfELi16ELi32ELi8ELb0ELb0ELc78ELc85EKPKS1_KPS1_EviT_T0_PT8_S7_lSA_S7_lS8_PT9_S7_li,"axG",@progbits,_ZL34rocblas_syrkx_herkx_general_kernelIi19rocblas_complex_numIfELi16ELi32ELi8ELb0ELb0ELc78ELc85EKPKS1_KPS1_EviT_T0_PT8_S7_lSA_S7_lS8_PT9_S7_li,comdat
	.globl	_ZL34rocblas_syrkx_herkx_general_kernelIi19rocblas_complex_numIfELi16ELi32ELi8ELb0ELb0ELc78ELc85EKPKS1_KPS1_EviT_T0_PT8_S7_lSA_S7_lS8_PT9_S7_li ; -- Begin function _ZL34rocblas_syrkx_herkx_general_kernelIi19rocblas_complex_numIfELi16ELi32ELi8ELb0ELb0ELc78ELc85EKPKS1_KPS1_EviT_T0_PT8_S7_lSA_S7_lS8_PT9_S7_li
	.p2align	8
	.type	_ZL34rocblas_syrkx_herkx_general_kernelIi19rocblas_complex_numIfELi16ELi32ELi8ELb0ELb0ELc78ELc85EKPKS1_KPS1_EviT_T0_PT8_S7_lSA_S7_lS8_PT9_S7_li,@function
_ZL34rocblas_syrkx_herkx_general_kernelIi19rocblas_complex_numIfELi16ELi32ELi8ELb0ELb0ELc78ELc85EKPKS1_KPS1_EviT_T0_PT8_S7_lSA_S7_lS8_PT9_S7_li: ; @_ZL34rocblas_syrkx_herkx_general_kernelIi19rocblas_complex_numIfELi16ELi32ELi8ELb0ELb0ELc78ELc85EKPKS1_KPS1_EviT_T0_PT8_S7_lSA_S7_lS8_PT9_S7_li
; %bb.0:
	s_load_dwordx4 s[12:15], s[4:5], 0x40
	s_load_dwordx2 s[10:11], s[4:5], 0x0
	s_load_dwordx4 s[16:19], s[4:5], 0x8
	s_mov_b32 s9, 0
	s_lshl_b64 s[0:1], s[8:9], 3
	s_waitcnt lgkmcnt(0)
	s_add_u32 s2, s14, s0
	s_addc_u32 s3, s15, s1
	s_load_dwordx2 s[14:15], s[2:3], 0x0
	s_lshl_b32 s8, s6, 5
	s_lshl_b32 s20, s7, 5
	s_cmp_lt_i32 s11, 1
	s_cbranch_scc1 .LBB689_9
; %bb.1:
	s_load_dword s6, s[4:5], 0x18
	s_load_dword s22, s[4:5], 0x30
	s_load_dwordx2 s[2:3], s[4:5], 0x28
	v_lshl_add_u32 v2, v1, 4, v0
	v_and_b32_e32 v6, 31, v2
	s_waitcnt lgkmcnt(0)
	s_ashr_i32 s7, s6, 31
	s_ashr_i32 s23, s22, 31
	s_add_u32 s2, s2, s0
	s_addc_u32 s3, s3, s1
	s_add_u32 s0, s18, s0
	v_lshrrev_b32_e32 v10, 5, v2
	v_lshrrev_b32_e32 v3, 3, v2
	v_or_b32_e32 v2, s8, v6
	s_addc_u32 s1, s19, s1
	v_and_b32_e32 v9, 7, v0
	s_load_dwordx2 s[18:19], s[0:1], 0x0
	v_cmp_gt_i32_e64 s[0:1], s10, v2
	v_lshlrev_b32_e32 v2, 3, v6
	v_lshl_or_b32 v11, v10, 8, v2
	v_lshlrev_b32_e32 v2, 3, v9
	v_lshl_or_b32 v2, v3, 6, v2
	v_add_u32_e32 v4, s20, v3
	s_load_dwordx2 s[24:25], s[2:3], 0x0
	v_add_u32_e32 v12, 0x800, v2
	v_mad_i64_i32 v[2:3], s[2:3], v10, s6, 0
	v_mov_b32_e32 v7, 0x800
	v_add_u32_e32 v6, s8, v6
	v_lshl_add_u32 v14, v1, 6, v7
	v_ashrrev_i32_e32 v7, 31, v6
	v_lshlrev_b64 v[2:3], 3, v[2:3]
	v_lshlrev_b64 v[6:7], 3, v[6:7]
	v_ashrrev_i32_e32 v5, 31, v4
	v_add_co_u32_e64 v2, s[2:3], v2, v6
	v_addc_co_u32_e64 v3, s[2:3], v3, v7, s[2:3]
	v_mad_i64_i32 v[6:7], s[2:3], s22, v9, 0
	v_cmp_gt_i32_e32 vcc, s10, v4
	s_waitcnt lgkmcnt(0)
	v_mov_b32_e32 v8, s19
	v_add_co_u32_e64 v2, s[2:3], s18, v2
	v_lshlrev_b64 v[6:7], 3, v[6:7]
	v_lshlrev_b64 v[4:5], 3, v[4:5]
	v_addc_co_u32_e64 v3, s[2:3], v8, v3, s[2:3]
	v_add_co_u32_e64 v4, s[2:3], v6, v4
	v_addc_co_u32_e64 v5, s[2:3], v7, v5, s[2:3]
	v_mov_b32_e32 v6, s25
	v_add_co_u32_e64 v4, s[2:3], s24, v4
	v_addc_co_u32_e64 v5, s[2:3], v6, v5, s[2:3]
	s_lshl_b64 s[6:7], s[6:7], 6
	s_lshl_b64 s[2:3], s[22:23], 6
	v_lshlrev_b32_e32 v13, 3, v0
	s_xor_b64 s[18:19], s[0:1], -1
	v_mov_b32_e32 v15, s7
	v_mov_b32_e32 v16, s3
	v_mov_b32_e32 v20, 0
	v_mov_b32_e32 v19, 0
	v_mov_b32_e32 v17, 0
	v_mov_b32_e32 v18, 0
	v_mov_b32_e32 v24, 0
	v_mov_b32_e32 v23, 0
	v_mov_b32_e32 v22, 0
	v_mov_b32_e32 v21, 0
	v_mov_b32_e32 v6, 0
	s_branch .LBB689_3
.LBB689_2:                              ;   in Loop: Header=BB689_3 Depth=1
	s_or_b64 exec, exec, s[0:1]
	s_waitcnt vmcnt(0) lgkmcnt(0)
	ds_write_b64 v12, v[7:8]
	s_waitcnt lgkmcnt(0)
	s_barrier
	ds_read2_b64 v[25:28], v13 offset1:16
	ds_read_b128 v[29:32], v14
	ds_read_b128 v[33:36], v14 offset:16
	ds_read_b128 v[37:40], v14 offset:1024
	ds_read2_b64 v[41:44], v13 offset0:32 offset1:48
	v_add_co_u32_e64 v2, s[0:1], s6, v2
	s_waitcnt lgkmcnt(3)
	v_mul_f32_e32 v7, v30, v26
	v_mul_f32_e32 v8, v29, v26
	v_fma_f32 v7, v29, v25, -v7
	v_fmac_f32_e32 v8, v30, v25
	v_add_f32_e32 v7, v21, v7
	v_add_f32_e32 v8, v22, v8
	v_mul_f32_e32 v21, v30, v28
	v_mul_f32_e32 v22, v29, v28
	v_fma_f32 v21, v29, v27, -v21
	v_fmac_f32_e32 v22, v30, v27
	v_add_f32_e32 v45, v23, v21
	v_add_f32_e32 v46, v24, v22
	ds_read_b128 v[21:24], v14 offset:1040
	s_waitcnt lgkmcnt(2)
	v_mul_f32_e32 v29, v38, v26
	v_fma_f32 v29, v37, v25, -v29
	v_mul_f32_e32 v47, v37, v26
	v_add_f32_e32 v48, v18, v29
	v_mul_f32_e32 v18, v38, v28
	v_fmac_f32_e32 v47, v38, v25
	v_fma_f32 v18, v37, v27, -v18
	v_mul_f32_e32 v37, v37, v28
	s_waitcnt lgkmcnt(1)
	v_mul_f32_e32 v25, v32, v42
	v_fmac_f32_e32 v37, v38, v27
	v_fma_f32 v38, v31, v41, -v25
	v_mul_f32_e32 v25, v32, v44
	v_fma_f32 v50, v31, v43, -v25
	v_mul_f32_e32 v25, v40, v42
	v_mul_f32_e32 v49, v31, v42
	v_fma_f32 v52, v39, v41, -v25
	v_mul_f32_e32 v42, v39, v42
	v_mul_f32_e32 v25, v40, v44
	v_fmac_f32_e32 v49, v32, v41
	v_mul_f32_e32 v51, v31, v44
	v_fmac_f32_e32 v42, v40, v41
	v_fma_f32 v41, v39, v43, -v25
	v_mul_f32_e32 v39, v39, v44
	v_fmac_f32_e32 v51, v32, v43
	v_fmac_f32_e32 v39, v40, v43
	ds_read_b128 v[25:28], v14 offset:32
	ds_read_b128 v[29:32], v14 offset:48
	v_add_f32_e32 v40, v17, v47
	v_add_f32_e32 v43, v19, v18
	;; [unrolled: 1-line block ×3, first 2 shown]
	ds_read2_b64 v[17:20], v13 offset0:64 offset1:80
	v_add_f32_e32 v40, v40, v42
	v_add_f32_e32 v42, v37, v39
	;; [unrolled: 1-line block ×4, first 2 shown]
	s_waitcnt lgkmcnt(0)
	v_mul_f32_e32 v37, v34, v18
	v_fma_f32 v37, v33, v17, -v37
	v_add_f32_e32 v7, v7, v37
	v_mul_f32_e32 v37, v34, v20
	v_mul_f32_e32 v39, v33, v18
	v_fma_f32 v37, v33, v19, -v37
	v_mul_f32_e32 v33, v33, v20
	v_fmac_f32_e32 v39, v34, v17
	v_fmac_f32_e32 v33, v34, v19
	v_add_f32_e32 v34, v38, v37
	v_mul_f32_e32 v37, v22, v18
	v_add_f32_e32 v45, v48, v52
	v_fma_f32 v37, v21, v17, -v37
	v_mul_f32_e32 v18, v21, v18
	v_add_f32_e32 v8, v8, v49
	v_fmac_f32_e32 v18, v22, v17
	v_add_f32_e32 v17, v45, v37
	v_mul_f32_e32 v37, v22, v20
	v_add_f32_e32 v41, v43, v41
	v_add_f32_e32 v8, v8, v39
	;; [unrolled: 1-line block ×3, first 2 shown]
	v_fma_f32 v43, v21, v19, -v37
	ds_read2_b64 v[37:40], v13 offset0:96 offset1:112
	v_mul_f32_e32 v20, v21, v20
	v_fmac_f32_e32 v20, v22, v19
	v_add_f32_e32 v22, v42, v20
	v_add_f32_e32 v44, v46, v51
	s_waitcnt lgkmcnt(0)
	v_mul_f32_e32 v19, v36, v38
	v_fma_f32 v19, v35, v37, -v19
	v_mul_f32_e32 v20, v35, v38
	v_fmac_f32_e32 v20, v36, v37
	v_add_f32_e32 v7, v7, v19
	v_mul_f32_e32 v19, v36, v40
	v_add_f32_e32 v8, v8, v20
	v_fma_f32 v19, v35, v39, -v19
	v_mul_f32_e32 v20, v35, v40
	v_add_f32_e32 v33, v44, v33
	v_fmac_f32_e32 v20, v36, v39
	v_add_f32_e32 v34, v34, v19
	v_mul_f32_e32 v19, v24, v38
	v_add_f32_e32 v33, v33, v20
	v_fma_f32 v19, v23, v37, -v19
	v_mul_f32_e32 v20, v23, v38
	v_fmac_f32_e32 v20, v24, v37
	v_add_f32_e32 v37, v17, v19
	v_mul_f32_e32 v17, v24, v40
	v_add_f32_e32 v38, v18, v20
	v_fma_f32 v35, v23, v39, -v17
	ds_read2_b64 v[17:20], v13 offset0:128 offset1:144
	v_add_f32_e32 v21, v41, v43
	v_mul_f32_e32 v23, v23, v40
	v_fmac_f32_e32 v23, v24, v39
	v_add_f32_e32 v41, v21, v35
	s_waitcnt lgkmcnt(0)
	v_mul_f32_e32 v21, v26, v18
	v_add_f32_e32 v42, v22, v23
	v_fma_f32 v21, v25, v17, -v21
	v_mul_f32_e32 v22, v25, v18
	v_fmac_f32_e32 v22, v26, v17
	v_add_f32_e32 v7, v7, v21
	v_mul_f32_e32 v21, v26, v20
	v_add_f32_e32 v8, v8, v22
	v_fma_f32 v35, v25, v19, -v21
	ds_read_b128 v[21:24], v14 offset:1056
	v_mul_f32_e32 v25, v25, v20
	v_fmac_f32_e32 v25, v26, v19
	v_add_f32_e32 v26, v34, v35
	v_add_f32_e32 v25, v33, v25
	ds_read_b128 v[33:36], v14 offset:1072
	s_waitcnt lgkmcnt(1)
	v_mul_f32_e32 v39, v22, v18
	v_fma_f32 v39, v21, v17, -v39
	v_mul_f32_e32 v18, v21, v18
	v_fmac_f32_e32 v18, v22, v17
	v_add_f32_e32 v17, v37, v39
	v_mul_f32_e32 v37, v22, v20
	v_add_f32_e32 v18, v38, v18
	v_fma_f32 v43, v21, v19, -v37
	ds_read2_b64 v[37:40], v13 offset0:160 offset1:176
	v_mul_f32_e32 v20, v21, v20
	v_fmac_f32_e32 v20, v22, v19
	v_add_f32_e32 v22, v42, v20
	v_add_f32_e32 v21, v41, v43
	s_waitcnt lgkmcnt(0)
	v_mul_f32_e32 v19, v28, v38
	v_fma_f32 v19, v27, v37, -v19
	v_mul_f32_e32 v20, v27, v38
	v_fmac_f32_e32 v20, v28, v37
	v_add_f32_e32 v7, v7, v19
	v_mul_f32_e32 v19, v28, v40
	v_add_f32_e32 v8, v8, v20
	v_fma_f32 v19, v27, v39, -v19
	v_mul_f32_e32 v20, v27, v40
	v_fmac_f32_e32 v20, v28, v39
	v_add_f32_e32 v26, v26, v19
	v_mul_f32_e32 v19, v24, v38
	v_add_f32_e32 v25, v25, v20
	v_fma_f32 v19, v23, v37, -v19
	v_mul_f32_e32 v20, v23, v38
	v_fmac_f32_e32 v20, v24, v37
	v_add_f32_e32 v27, v17, v19
	v_mul_f32_e32 v17, v24, v40
	v_add_f32_e32 v28, v18, v20
	v_fma_f32 v37, v23, v39, -v17
	ds_read2_b64 v[17:20], v13 offset0:192 offset1:208
	v_mul_f32_e32 v23, v23, v40
	v_fmac_f32_e32 v23, v24, v39
	v_add_f32_e32 v22, v22, v23
	v_add_f32_e32 v21, v21, v37
	s_waitcnt lgkmcnt(0)
	v_mul_f32_e32 v24, v29, v18
	v_fmac_f32_e32 v24, v30, v17
	v_mul_f32_e32 v23, v30, v18
	v_add_f32_e32 v8, v8, v24
	v_mul_f32_e32 v24, v29, v20
	v_fma_f32 v23, v29, v17, -v23
	v_fmac_f32_e32 v24, v30, v19
	v_add_f32_e32 v7, v7, v23
	v_mul_f32_e32 v23, v30, v20
	v_add_f32_e32 v24, v25, v24
	v_mul_f32_e32 v25, v34, v18
	v_mul_f32_e32 v18, v33, v18
	v_fma_f32 v23, v29, v19, -v23
	v_fma_f32 v25, v33, v17, -v25
	v_fmac_f32_e32 v18, v34, v17
	v_add_f32_e32 v23, v26, v23
	v_add_f32_e32 v17, v27, v25
	;; [unrolled: 1-line block ×3, first 2 shown]
	ds_read2_b64 v[25:28], v13 offset0:224 offset1:240
	v_mul_f32_e32 v18, v34, v20
	v_mul_f32_e32 v20, v33, v20
	v_fma_f32 v18, v33, v19, -v18
	v_fmac_f32_e32 v20, v34, v19
	v_add_f32_e32 v19, v21, v18
	v_add_f32_e32 v20, v22, v20
	s_waitcnt lgkmcnt(0)
	v_mul_f32_e32 v18, v32, v26
	v_mul_f32_e32 v22, v31, v26
	v_fma_f32 v18, v31, v25, -v18
	v_fmac_f32_e32 v22, v32, v25
	v_add_f32_e32 v21, v7, v18
	v_add_f32_e32 v22, v8, v22
	v_mul_f32_e32 v7, v32, v28
	v_mul_f32_e32 v8, v31, v28
	v_fma_f32 v7, v31, v27, -v7
	v_fmac_f32_e32 v8, v32, v27
	v_add_f32_e32 v23, v23, v7
	v_add_f32_e32 v24, v24, v8
	;; [unrolled: 6-line block ×3, first 2 shown]
	v_mul_f32_e32 v7, v36, v28
	v_mul_f32_e32 v8, v35, v28
	v_addc_co_u32_e64 v3, s[0:1], v3, v15, s[0:1]
	v_fma_f32 v7, v35, v27, -v7
	v_fmac_f32_e32 v8, v36, v27
	s_add_i32 s9, s9, 8
	v_add_co_u32_e64 v4, s[0:1], s2, v4
	v_add_f32_e32 v19, v19, v7
	v_add_f32_e32 v20, v20, v8
	s_cmp_ge_i32 s9, s11
	v_addc_co_u32_e64 v5, s[0:1], v5, v16, s[0:1]
	s_barrier
	s_cbranch_scc1 .LBB689_10
.LBB689_3:                              ; =>This Inner Loop Header: Depth=1
	v_add_u32_e32 v7, s9, v10
	v_cmp_le_i32_e64 s[0:1], s11, v7
	s_or_b64 s[0:1], s[18:19], s[0:1]
	s_and_saveexec_b64 s[22:23], s[0:1]
	s_xor_b64 s[0:1], exec, s[22:23]
; %bb.4:                                ;   in Loop: Header=BB689_3 Depth=1
	v_mov_b32_e32 v7, v6
	ds_write_b64 v11, v[6:7]
; %bb.5:                                ;   in Loop: Header=BB689_3 Depth=1
	s_andn2_saveexec_b64 s[0:1], s[0:1]
	s_cbranch_execz .LBB689_7
; %bb.6:                                ;   in Loop: Header=BB689_3 Depth=1
	flat_load_dwordx2 v[7:8], v[2:3]
	s_waitcnt vmcnt(0) lgkmcnt(0)
	ds_write_b64 v11, v[7:8]
.LBB689_7:                              ;   in Loop: Header=BB689_3 Depth=1
	s_or_b64 exec, exec, s[0:1]
	v_add_u32_e32 v7, s9, v9
	v_cmp_gt_i32_e64 s[0:1], s11, v7
	s_and_b64 s[22:23], s[0:1], vcc
	v_mov_b32_e32 v7, 0
	v_mov_b32_e32 v8, 0
	s_and_saveexec_b64 s[0:1], s[22:23]
	s_cbranch_execz .LBB689_2
; %bb.8:                                ;   in Loop: Header=BB689_3 Depth=1
	flat_load_dwordx2 v[7:8], v[4:5]
	s_branch .LBB689_2
.LBB689_9:
	v_mov_b32_e32 v21, 0
	v_mov_b32_e32 v22, 0
	;; [unrolled: 1-line block ×8, first 2 shown]
.LBB689_10:
	s_load_dword s4, s[4:5], 0x50
	v_add_u32_e32 v4, s20, v1
	s_waitcnt lgkmcnt(0)
	v_mov_b32_e32 v3, s15
	v_add_u32_e32 v0, s8, v0
	v_cmp_gt_i32_e32 vcc, s10, v4
	v_mad_i64_i32 v[1:2], s[0:1], v4, s4, 0
	v_lshlrev_b64 v[1:2], 3, v[1:2]
	v_add_co_u32_e64 v5, s[0:1], s14, v1
	v_addc_co_u32_e64 v6, s[0:1], v3, v2, s[0:1]
	v_cmp_le_i32_e64 s[0:1], v0, v4
	s_and_b64 s[0:1], vcc, s[0:1]
	s_and_saveexec_b64 s[2:3], s[0:1]
	s_cbranch_execz .LBB689_12
; %bb.11:
	v_ashrrev_i32_e32 v1, 31, v0
	v_lshlrev_b64 v[1:2], 3, v[0:1]
	v_mul_f32_e32 v3, s17, v22
	v_add_co_u32_e64 v1, s[0:1], v5, v1
	v_addc_co_u32_e64 v2, s[0:1], v6, v2, s[0:1]
	flat_load_dwordx2 v[7:8], v[1:2]
	v_mul_f32_e32 v9, s16, v22
	v_fma_f32 v3, v21, s16, -v3
	v_fmac_f32_e32 v9, s17, v21
	s_waitcnt vmcnt(0) lgkmcnt(0)
	v_mul_f32_e32 v10, s13, v8
	v_mul_f32_e32 v8, s12, v8
	v_fma_f32 v10, v7, s12, -v10
	v_fmac_f32_e32 v8, s13, v7
	v_add_f32_e32 v7, v3, v10
	v_add_f32_e32 v8, v9, v8
	flat_store_dwordx2 v[1:2], v[7:8]
.LBB689_12:
	s_or_b64 exec, exec, s[2:3]
	v_add_u32_e32 v2, 16, v0
	v_cmp_le_i32_e64 s[0:1], v2, v4
	s_and_b64 s[2:3], vcc, s[0:1]
	s_and_saveexec_b64 s[0:1], s[2:3]
	s_cbranch_execz .LBB689_14
; %bb.13:
	v_ashrrev_i32_e32 v3, 31, v2
	v_lshlrev_b64 v[7:8], 3, v[2:3]
	v_mul_f32_e32 v1, s17, v24
	v_add_co_u32_e32 v5, vcc, v5, v7
	v_addc_co_u32_e32 v6, vcc, v6, v8, vcc
	flat_load_dwordx2 v[7:8], v[5:6]
	v_mul_f32_e32 v3, s16, v24
	v_fma_f32 v1, v23, s16, -v1
	v_fmac_f32_e32 v3, s17, v23
	s_waitcnt vmcnt(0) lgkmcnt(0)
	v_mul_f32_e32 v9, s13, v8
	v_mul_f32_e32 v8, s12, v8
	v_fma_f32 v9, v7, s12, -v9
	v_fmac_f32_e32 v8, s13, v7
	v_add_f32_e32 v7, v1, v9
	v_add_f32_e32 v8, v3, v8
	flat_store_dwordx2 v[5:6], v[7:8]
.LBB689_14:
	s_or_b64 exec, exec, s[0:1]
	v_add_u32_e32 v3, 16, v4
	v_mad_i64_i32 v[4:5], s[0:1], v3, s4, 0
	v_mov_b32_e32 v1, s15
	v_cmp_gt_i32_e32 vcc, s10, v3
	v_lshlrev_b64 v[4:5], 3, v[4:5]
	v_add_co_u32_e64 v4, s[0:1], s14, v4
	v_addc_co_u32_e64 v5, s[0:1], v1, v5, s[0:1]
	v_cmp_le_i32_e64 s[0:1], v0, v3
	s_and_b64 s[0:1], vcc, s[0:1]
	s_and_saveexec_b64 s[2:3], s[0:1]
	s_cbranch_execz .LBB689_16
; %bb.15:
	v_ashrrev_i32_e32 v1, 31, v0
	v_lshlrev_b64 v[0:1], 3, v[0:1]
	v_mul_f32_e32 v8, s17, v17
	v_add_co_u32_e64 v0, s[0:1], v4, v0
	v_addc_co_u32_e64 v1, s[0:1], v5, v1, s[0:1]
	flat_load_dwordx2 v[6:7], v[0:1]
	v_mul_f32_e32 v9, s16, v17
	v_fma_f32 v8, v18, s16, -v8
	v_fmac_f32_e32 v9, s17, v18
	s_waitcnt vmcnt(0) lgkmcnt(0)
	v_mul_f32_e32 v10, s13, v7
	v_mul_f32_e32 v7, s12, v7
	v_fma_f32 v10, v6, s12, -v10
	v_fmac_f32_e32 v7, s13, v6
	v_add_f32_e32 v6, v8, v10
	v_add_f32_e32 v7, v9, v7
	flat_store_dwordx2 v[0:1], v[6:7]
.LBB689_16:
	s_or_b64 exec, exec, s[2:3]
	v_cmp_le_i32_e64 s[0:1], v2, v3
	s_and_b64 s[0:1], vcc, s[0:1]
	s_and_saveexec_b64 s[2:3], s[0:1]
	s_cbranch_execz .LBB689_18
; %bb.17:
	v_ashrrev_i32_e32 v3, 31, v2
	v_lshlrev_b64 v[0:1], 3, v[2:3]
	v_add_co_u32_e32 v0, vcc, v4, v0
	v_addc_co_u32_e32 v1, vcc, v5, v1, vcc
	flat_load_dwordx2 v[2:3], v[0:1]
	v_mul_f32_e32 v4, s17, v20
	v_mul_f32_e32 v5, s16, v20
	v_fma_f32 v4, v19, s16, -v4
	v_fmac_f32_e32 v5, s17, v19
	s_waitcnt vmcnt(0) lgkmcnt(0)
	v_mul_f32_e32 v6, s13, v3
	v_mul_f32_e32 v3, s12, v3
	v_fma_f32 v6, v2, s12, -v6
	v_fmac_f32_e32 v3, s13, v2
	v_add_f32_e32 v2, v4, v6
	v_add_f32_e32 v3, v5, v3
	flat_store_dwordx2 v[0:1], v[2:3]
.LBB689_18:
	s_endpgm
	.section	.rodata,"a",@progbits
	.p2align	6, 0x0
	.amdhsa_kernel _ZL34rocblas_syrkx_herkx_general_kernelIi19rocblas_complex_numIfELi16ELi32ELi8ELb0ELb0ELc78ELc85EKPKS1_KPS1_EviT_T0_PT8_S7_lSA_S7_lS8_PT9_S7_li
		.amdhsa_group_segment_fixed_size 4096
		.amdhsa_private_segment_fixed_size 0
		.amdhsa_kernarg_size 100
		.amdhsa_user_sgpr_count 6
		.amdhsa_user_sgpr_private_segment_buffer 1
		.amdhsa_user_sgpr_dispatch_ptr 0
		.amdhsa_user_sgpr_queue_ptr 0
		.amdhsa_user_sgpr_kernarg_segment_ptr 1
		.amdhsa_user_sgpr_dispatch_id 0
		.amdhsa_user_sgpr_flat_scratch_init 0
		.amdhsa_user_sgpr_private_segment_size 0
		.amdhsa_uses_dynamic_stack 0
		.amdhsa_system_sgpr_private_segment_wavefront_offset 0
		.amdhsa_system_sgpr_workgroup_id_x 1
		.amdhsa_system_sgpr_workgroup_id_y 1
		.amdhsa_system_sgpr_workgroup_id_z 1
		.amdhsa_system_sgpr_workgroup_info 0
		.amdhsa_system_vgpr_workitem_id 1
		.amdhsa_next_free_vgpr 53
		.amdhsa_next_free_sgpr 26
		.amdhsa_reserve_vcc 1
		.amdhsa_reserve_flat_scratch 0
		.amdhsa_float_round_mode_32 0
		.amdhsa_float_round_mode_16_64 0
		.amdhsa_float_denorm_mode_32 3
		.amdhsa_float_denorm_mode_16_64 3
		.amdhsa_dx10_clamp 1
		.amdhsa_ieee_mode 1
		.amdhsa_fp16_overflow 0
		.amdhsa_exception_fp_ieee_invalid_op 0
		.amdhsa_exception_fp_denorm_src 0
		.amdhsa_exception_fp_ieee_div_zero 0
		.amdhsa_exception_fp_ieee_overflow 0
		.amdhsa_exception_fp_ieee_underflow 0
		.amdhsa_exception_fp_ieee_inexact 0
		.amdhsa_exception_int_div_zero 0
	.end_amdhsa_kernel
	.section	.text._ZL34rocblas_syrkx_herkx_general_kernelIi19rocblas_complex_numIfELi16ELi32ELi8ELb0ELb0ELc78ELc85EKPKS1_KPS1_EviT_T0_PT8_S7_lSA_S7_lS8_PT9_S7_li,"axG",@progbits,_ZL34rocblas_syrkx_herkx_general_kernelIi19rocblas_complex_numIfELi16ELi32ELi8ELb0ELb0ELc78ELc85EKPKS1_KPS1_EviT_T0_PT8_S7_lSA_S7_lS8_PT9_S7_li,comdat
.Lfunc_end689:
	.size	_ZL34rocblas_syrkx_herkx_general_kernelIi19rocblas_complex_numIfELi16ELi32ELi8ELb0ELb0ELc78ELc85EKPKS1_KPS1_EviT_T0_PT8_S7_lSA_S7_lS8_PT9_S7_li, .Lfunc_end689-_ZL34rocblas_syrkx_herkx_general_kernelIi19rocblas_complex_numIfELi16ELi32ELi8ELb0ELb0ELc78ELc85EKPKS1_KPS1_EviT_T0_PT8_S7_lSA_S7_lS8_PT9_S7_li
                                        ; -- End function
	.set _ZL34rocblas_syrkx_herkx_general_kernelIi19rocblas_complex_numIfELi16ELi32ELi8ELb0ELb0ELc78ELc85EKPKS1_KPS1_EviT_T0_PT8_S7_lSA_S7_lS8_PT9_S7_li.num_vgpr, 53
	.set _ZL34rocblas_syrkx_herkx_general_kernelIi19rocblas_complex_numIfELi16ELi32ELi8ELb0ELb0ELc78ELc85EKPKS1_KPS1_EviT_T0_PT8_S7_lSA_S7_lS8_PT9_S7_li.num_agpr, 0
	.set _ZL34rocblas_syrkx_herkx_general_kernelIi19rocblas_complex_numIfELi16ELi32ELi8ELb0ELb0ELc78ELc85EKPKS1_KPS1_EviT_T0_PT8_S7_lSA_S7_lS8_PT9_S7_li.numbered_sgpr, 26
	.set _ZL34rocblas_syrkx_herkx_general_kernelIi19rocblas_complex_numIfELi16ELi32ELi8ELb0ELb0ELc78ELc85EKPKS1_KPS1_EviT_T0_PT8_S7_lSA_S7_lS8_PT9_S7_li.num_named_barrier, 0
	.set _ZL34rocblas_syrkx_herkx_general_kernelIi19rocblas_complex_numIfELi16ELi32ELi8ELb0ELb0ELc78ELc85EKPKS1_KPS1_EviT_T0_PT8_S7_lSA_S7_lS8_PT9_S7_li.private_seg_size, 0
	.set _ZL34rocblas_syrkx_herkx_general_kernelIi19rocblas_complex_numIfELi16ELi32ELi8ELb0ELb0ELc78ELc85EKPKS1_KPS1_EviT_T0_PT8_S7_lSA_S7_lS8_PT9_S7_li.uses_vcc, 1
	.set _ZL34rocblas_syrkx_herkx_general_kernelIi19rocblas_complex_numIfELi16ELi32ELi8ELb0ELb0ELc78ELc85EKPKS1_KPS1_EviT_T0_PT8_S7_lSA_S7_lS8_PT9_S7_li.uses_flat_scratch, 0
	.set _ZL34rocblas_syrkx_herkx_general_kernelIi19rocblas_complex_numIfELi16ELi32ELi8ELb0ELb0ELc78ELc85EKPKS1_KPS1_EviT_T0_PT8_S7_lSA_S7_lS8_PT9_S7_li.has_dyn_sized_stack, 0
	.set _ZL34rocblas_syrkx_herkx_general_kernelIi19rocblas_complex_numIfELi16ELi32ELi8ELb0ELb0ELc78ELc85EKPKS1_KPS1_EviT_T0_PT8_S7_lSA_S7_lS8_PT9_S7_li.has_recursion, 0
	.set _ZL34rocblas_syrkx_herkx_general_kernelIi19rocblas_complex_numIfELi16ELi32ELi8ELb0ELb0ELc78ELc85EKPKS1_KPS1_EviT_T0_PT8_S7_lSA_S7_lS8_PT9_S7_li.has_indirect_call, 0
	.section	.AMDGPU.csdata,"",@progbits
; Kernel info:
; codeLenInByte = 2280
; TotalNumSgprs: 30
; NumVgprs: 53
; ScratchSize: 0
; MemoryBound: 1
; FloatMode: 240
; IeeeMode: 1
; LDSByteSize: 4096 bytes/workgroup (compile time only)
; SGPRBlocks: 3
; VGPRBlocks: 13
; NumSGPRsForWavesPerEU: 30
; NumVGPRsForWavesPerEU: 53
; Occupancy: 4
; WaveLimiterHint : 1
; COMPUTE_PGM_RSRC2:SCRATCH_EN: 0
; COMPUTE_PGM_RSRC2:USER_SGPR: 6
; COMPUTE_PGM_RSRC2:TRAP_HANDLER: 0
; COMPUTE_PGM_RSRC2:TGID_X_EN: 1
; COMPUTE_PGM_RSRC2:TGID_Y_EN: 1
; COMPUTE_PGM_RSRC2:TGID_Z_EN: 1
; COMPUTE_PGM_RSRC2:TIDIG_COMP_CNT: 1
	.section	.text._ZL26rocblas_syr2k_scale_kernelIiLi128ELi8ELb0E19rocblas_complex_numIfES1_PKPS1_EvbiT_T3_T4_T5_S5_li,"axG",@progbits,_ZL26rocblas_syr2k_scale_kernelIiLi128ELi8ELb0E19rocblas_complex_numIfES1_PKPS1_EvbiT_T3_T4_T5_S5_li,comdat
	.globl	_ZL26rocblas_syr2k_scale_kernelIiLi128ELi8ELb0E19rocblas_complex_numIfES1_PKPS1_EvbiT_T3_T4_T5_S5_li ; -- Begin function _ZL26rocblas_syr2k_scale_kernelIiLi128ELi8ELb0E19rocblas_complex_numIfES1_PKPS1_EvbiT_T3_T4_T5_S5_li
	.p2align	8
	.type	_ZL26rocblas_syr2k_scale_kernelIiLi128ELi8ELb0E19rocblas_complex_numIfES1_PKPS1_EvbiT_T3_T4_T5_S5_li,@function
_ZL26rocblas_syr2k_scale_kernelIiLi128ELi8ELb0E19rocblas_complex_numIfES1_PKPS1_EvbiT_T3_T4_T5_S5_li: ; @_ZL26rocblas_syr2k_scale_kernelIiLi128ELi8ELb0E19rocblas_complex_numIfES1_PKPS1_EvbiT_T3_T4_T5_S5_li
; %bb.0:
	s_load_dwordx2 s[2:3], s[4:5], 0x14
	s_waitcnt lgkmcnt(0)
	v_cmp_eq_f32_e64 s[0:1], s2, 1.0
	v_cmp_eq_f32_e64 s[10:11], s3, 0
	s_and_b64 s[0:1], s[0:1], s[10:11]
	s_and_b64 vcc, exec, s[0:1]
	s_cbranch_vccnz .LBB690_5
; %bb.1:
	s_load_dwordx2 s[0:1], s[4:5], 0x0
	s_load_dword s9, s[4:5], 0x4c
	s_waitcnt lgkmcnt(0)
	s_bitcmp1_b32 s0, 0
	s_cselect_b64 vcc, -1, 0
	s_lshr_b32 s0, s9, 16
	s_and_b32 s9, s9, 0xffff
	s_mul_i32 s6, s6, s9
	s_mul_i32 s7, s7, s0
	v_add_u32_e32 v0, s6, v0
	v_add_u32_e32 v1, s7, v1
	v_cndmask_b32_e32 v2, v1, v0, vcc
	v_cndmask_b32_e32 v3, v0, v1, vcc
	v_max_u32_e32 v4, v0, v1
	v_cmp_gt_u32_e32 vcc, s1, v4
	v_cmp_le_i32_e64 s[0:1], v2, v3
	s_and_b64 s[0:1], vcc, s[0:1]
	s_and_saveexec_b64 s[6:7], s[0:1]
	s_cbranch_execz .LBB690_5
; %bb.2:
	s_load_dword s10, s[4:5], 0x28
	s_load_dwordx2 s[0:1], s[4:5], 0x20
	s_load_dwordx2 s[6:7], s[4:5], 0x30
	s_mov_b32 s9, 0
	s_lshl_b64 s[4:5], s[8:9], 3
	s_waitcnt lgkmcnt(0)
	s_ashr_i32 s11, s10, 31
	v_mad_u64_u32 v[2:3], s[8:9], v1, s10, 0
	s_add_u32 s0, s0, s4
	s_addc_u32 s1, s1, s5
	s_load_dwordx2 s[0:1], s[0:1], 0x0
	v_mad_u64_u32 v[3:4], s[4:5], v1, s11, v[3:4]
	s_lshl_b64 s[4:5], s[6:7], 3
	v_mov_b32_e32 v1, 0
	s_waitcnt lgkmcnt(0)
	s_add_u32 s0, s0, s4
	v_lshlrev_b64 v[2:3], 3, v[2:3]
	s_addc_u32 s1, s1, s5
	v_mov_b32_e32 v4, s1
	v_add_co_u32_e32 v5, vcc, s0, v2
	v_addc_co_u32_e32 v4, vcc, v4, v3, vcc
	v_lshlrev_b64 v[2:3], 3, v[0:1]
	s_or_b32 s0, s2, s3
	v_add_co_u32_e32 v2, vcc, v5, v2
	s_bitset0_b32 s0, 31
	v_addc_co_u32_e32 v3, vcc, v4, v3, vcc
	s_cmp_eq_u32 s0, 0
	v_mov_b32_e32 v0, v1
	s_cbranch_scc1 .LBB690_4
; %bb.3:
	flat_load_dwordx2 v[4:5], v[2:3]
	s_waitcnt vmcnt(0) lgkmcnt(0)
	v_mul_f32_e32 v0, s3, v5
	v_mul_f32_e32 v1, s2, v5
	v_fma_f32 v0, v4, s2, -v0
	v_fmac_f32_e32 v1, s3, v4
.LBB690_4:
	flat_store_dwordx2 v[2:3], v[0:1]
.LBB690_5:
	s_endpgm
	.section	.rodata,"a",@progbits
	.p2align	6, 0x0
	.amdhsa_kernel _ZL26rocblas_syr2k_scale_kernelIiLi128ELi8ELb0E19rocblas_complex_numIfES1_PKPS1_EvbiT_T3_T4_T5_S5_li
		.amdhsa_group_segment_fixed_size 0
		.amdhsa_private_segment_fixed_size 0
		.amdhsa_kernarg_size 320
		.amdhsa_user_sgpr_count 6
		.amdhsa_user_sgpr_private_segment_buffer 1
		.amdhsa_user_sgpr_dispatch_ptr 0
		.amdhsa_user_sgpr_queue_ptr 0
		.amdhsa_user_sgpr_kernarg_segment_ptr 1
		.amdhsa_user_sgpr_dispatch_id 0
		.amdhsa_user_sgpr_flat_scratch_init 0
		.amdhsa_user_sgpr_private_segment_size 0
		.amdhsa_uses_dynamic_stack 0
		.amdhsa_system_sgpr_private_segment_wavefront_offset 0
		.amdhsa_system_sgpr_workgroup_id_x 1
		.amdhsa_system_sgpr_workgroup_id_y 1
		.amdhsa_system_sgpr_workgroup_id_z 1
		.amdhsa_system_sgpr_workgroup_info 0
		.amdhsa_system_vgpr_workitem_id 1
		.amdhsa_next_free_vgpr 6
		.amdhsa_next_free_sgpr 12
		.amdhsa_reserve_vcc 1
		.amdhsa_reserve_flat_scratch 0
		.amdhsa_float_round_mode_32 0
		.amdhsa_float_round_mode_16_64 0
		.amdhsa_float_denorm_mode_32 3
		.amdhsa_float_denorm_mode_16_64 3
		.amdhsa_dx10_clamp 1
		.amdhsa_ieee_mode 1
		.amdhsa_fp16_overflow 0
		.amdhsa_exception_fp_ieee_invalid_op 0
		.amdhsa_exception_fp_denorm_src 0
		.amdhsa_exception_fp_ieee_div_zero 0
		.amdhsa_exception_fp_ieee_overflow 0
		.amdhsa_exception_fp_ieee_underflow 0
		.amdhsa_exception_fp_ieee_inexact 0
		.amdhsa_exception_int_div_zero 0
	.end_amdhsa_kernel
	.section	.text._ZL26rocblas_syr2k_scale_kernelIiLi128ELi8ELb0E19rocblas_complex_numIfES1_PKPS1_EvbiT_T3_T4_T5_S5_li,"axG",@progbits,_ZL26rocblas_syr2k_scale_kernelIiLi128ELi8ELb0E19rocblas_complex_numIfES1_PKPS1_EvbiT_T3_T4_T5_S5_li,comdat
.Lfunc_end690:
	.size	_ZL26rocblas_syr2k_scale_kernelIiLi128ELi8ELb0E19rocblas_complex_numIfES1_PKPS1_EvbiT_T3_T4_T5_S5_li, .Lfunc_end690-_ZL26rocblas_syr2k_scale_kernelIiLi128ELi8ELb0E19rocblas_complex_numIfES1_PKPS1_EvbiT_T3_T4_T5_S5_li
                                        ; -- End function
	.set _ZL26rocblas_syr2k_scale_kernelIiLi128ELi8ELb0E19rocblas_complex_numIfES1_PKPS1_EvbiT_T3_T4_T5_S5_li.num_vgpr, 6
	.set _ZL26rocblas_syr2k_scale_kernelIiLi128ELi8ELb0E19rocblas_complex_numIfES1_PKPS1_EvbiT_T3_T4_T5_S5_li.num_agpr, 0
	.set _ZL26rocblas_syr2k_scale_kernelIiLi128ELi8ELb0E19rocblas_complex_numIfES1_PKPS1_EvbiT_T3_T4_T5_S5_li.numbered_sgpr, 12
	.set _ZL26rocblas_syr2k_scale_kernelIiLi128ELi8ELb0E19rocblas_complex_numIfES1_PKPS1_EvbiT_T3_T4_T5_S5_li.num_named_barrier, 0
	.set _ZL26rocblas_syr2k_scale_kernelIiLi128ELi8ELb0E19rocblas_complex_numIfES1_PKPS1_EvbiT_T3_T4_T5_S5_li.private_seg_size, 0
	.set _ZL26rocblas_syr2k_scale_kernelIiLi128ELi8ELb0E19rocblas_complex_numIfES1_PKPS1_EvbiT_T3_T4_T5_S5_li.uses_vcc, 1
	.set _ZL26rocblas_syr2k_scale_kernelIiLi128ELi8ELb0E19rocblas_complex_numIfES1_PKPS1_EvbiT_T3_T4_T5_S5_li.uses_flat_scratch, 0
	.set _ZL26rocblas_syr2k_scale_kernelIiLi128ELi8ELb0E19rocblas_complex_numIfES1_PKPS1_EvbiT_T3_T4_T5_S5_li.has_dyn_sized_stack, 0
	.set _ZL26rocblas_syr2k_scale_kernelIiLi128ELi8ELb0E19rocblas_complex_numIfES1_PKPS1_EvbiT_T3_T4_T5_S5_li.has_recursion, 0
	.set _ZL26rocblas_syr2k_scale_kernelIiLi128ELi8ELb0E19rocblas_complex_numIfES1_PKPS1_EvbiT_T3_T4_T5_S5_li.has_indirect_call, 0
	.section	.AMDGPU.csdata,"",@progbits
; Kernel info:
; codeLenInByte = 324
; TotalNumSgprs: 16
; NumVgprs: 6
; ScratchSize: 0
; MemoryBound: 0
; FloatMode: 240
; IeeeMode: 1
; LDSByteSize: 0 bytes/workgroup (compile time only)
; SGPRBlocks: 1
; VGPRBlocks: 1
; NumSGPRsForWavesPerEU: 16
; NumVGPRsForWavesPerEU: 6
; Occupancy: 10
; WaveLimiterHint : 1
; COMPUTE_PGM_RSRC2:SCRATCH_EN: 0
; COMPUTE_PGM_RSRC2:USER_SGPR: 6
; COMPUTE_PGM_RSRC2:TRAP_HANDLER: 0
; COMPUTE_PGM_RSRC2:TGID_X_EN: 1
; COMPUTE_PGM_RSRC2:TGID_Y_EN: 1
; COMPUTE_PGM_RSRC2:TGID_Z_EN: 1
; COMPUTE_PGM_RSRC2:TIDIG_COMP_CNT: 1
	.section	.text._ZL26rocblas_syr2k_her2k_kernelIiLb0ELb0ELb0ELi32EPK19rocblas_complex_numIfEPKS3_PKPS1_EvbiT_T4_T5_S9_lSB_S9_lT6_S9_li,"axG",@progbits,_ZL26rocblas_syr2k_her2k_kernelIiLb0ELb0ELb0ELi32EPK19rocblas_complex_numIfEPKS3_PKPS1_EvbiT_T4_T5_S9_lSB_S9_lT6_S9_li,comdat
	.globl	_ZL26rocblas_syr2k_her2k_kernelIiLb0ELb0ELb0ELi32EPK19rocblas_complex_numIfEPKS3_PKPS1_EvbiT_T4_T5_S9_lSB_S9_lT6_S9_li ; -- Begin function _ZL26rocblas_syr2k_her2k_kernelIiLb0ELb0ELb0ELi32EPK19rocblas_complex_numIfEPKS3_PKPS1_EvbiT_T4_T5_S9_lSB_S9_lT6_S9_li
	.p2align	8
	.type	_ZL26rocblas_syr2k_her2k_kernelIiLb0ELb0ELb0ELi32EPK19rocblas_complex_numIfEPKS3_PKPS1_EvbiT_T4_T5_S9_lSB_S9_lT6_S9_li,@function
_ZL26rocblas_syr2k_her2k_kernelIiLb0ELb0ELb0ELi32EPK19rocblas_complex_numIfEPKS3_PKPS1_EvbiT_T4_T5_S9_lSB_S9_lT6_S9_li: ; @_ZL26rocblas_syr2k_her2k_kernelIiLb0ELb0ELb0ELi32EPK19rocblas_complex_numIfEPKS3_PKPS1_EvbiT_T4_T5_S9_lSB_S9_lT6_S9_li
; %bb.0:
	s_load_dwordx4 s[0:3], s[4:5], 0x10
	s_waitcnt lgkmcnt(0)
	s_load_dwordx2 s[10:11], s[0:1], 0x0
	s_waitcnt lgkmcnt(0)
	v_cmp_eq_f32_e64 s[0:1], s10, 0
	v_cmp_eq_f32_e64 s[12:13], s11, 0
	s_and_b64 s[0:1], s[0:1], s[12:13]
	s_and_b64 vcc, exec, s[0:1]
	s_cbranch_vccnz .LBB691_11
; %bb.1:
	s_load_dwordx4 s[12:15], s[4:5], 0x0
	s_lshl_b32 s0, s7, 5
	s_lshl_b32 s1, s6, 5
	s_waitcnt lgkmcnt(0)
	s_and_b32 s6, 1, s12
	s_cmp_eq_u32 s6, 1
	s_cselect_b64 vcc, -1, 0
	s_and_b64 s[6:7], vcc, exec
	s_cselect_b32 s6, s1, s0
	s_cselect_b32 s7, s0, s1
	s_cmp_gt_i32 s6, s7
	s_cbranch_scc1 .LBB691_11
; %bb.2:
	s_cmp_lt_i32 s14, 1
	s_cbranch_scc1 .LBB691_11
; %bb.3:
	s_mov_b32 s9, 0
	s_load_dword s12, s[4:5], 0x20
	s_load_dwordx4 s[16:19], s[4:5], 0x28
	s_load_dword s15, s[4:5], 0x38
	s_load_dwordx4 s[20:23], s[4:5], 0x40
	s_load_dword s24, s[4:5], 0x50
	s_load_dwordx2 s[6:7], s[4:5], 0x58
	s_lshl_b64 s[4:5], s[8:9], 3
	s_add_u32 s2, s2, s4
	s_addc_u32 s3, s3, s5
	s_load_dwordx2 s[2:3], s[2:3], 0x0
	s_waitcnt lgkmcnt(0)
	s_add_u32 s18, s18, s4
	s_addc_u32 s19, s19, s5
	s_load_dwordx2 s[18:19], s[18:19], 0x0
	s_add_u32 s4, s22, s4
	v_add_u32_e32 v3, s1, v0
	s_addc_u32 s5, s23, s5
	s_lshl_b64 s[16:17], s[16:17], 3
	v_ashrrev_i32_e32 v4, 31, v3
	s_load_dwordx2 s[4:5], s[4:5], 0x0
	s_add_u32 s8, s2, s16
	v_lshlrev_b64 v[4:5], 3, v[3:4]
	s_addc_u32 s16, s3, s17
	v_add_u32_e32 v2, s0, v1
	s_lshl_b64 s[2:3], s[20:21], 3
	v_cndmask_b32_e32 v8, v3, v2, vcc
	v_cndmask_b32_e32 v9, v2, v3, vcc
	v_cmp_gt_i32_e32 vcc, s13, v3
	v_mov_b32_e32 v3, s16
	v_add_co_u32_e64 v16, s[0:1], s8, v4
	s_waitcnt lgkmcnt(0)
	s_add_u32 s17, s18, s2
	v_addc_co_u32_e64 v17, s[0:1], v3, v5, s[0:1]
	v_ashrrev_i32_e32 v3, 31, v2
	s_addc_u32 s18, s19, s3
	s_lshl_b64 s[2:3], s[6:7], 3
	v_lshlrev_b64 v[6:7], 3, v[2:3]
	s_add_u32 s6, s4, s2
	s_addc_u32 s7, s5, s3
	v_mov_b32_e32 v3, s18
	v_add_co_u32_e64 v20, s[2:3], s17, v6
	v_cmp_gt_i32_e64 s[0:1], s13, v2
	v_addc_co_u32_e64 v21, s[2:3], v3, v7, s[2:3]
	v_mad_i64_i32 v[2:3], s[2:3], s24, v2, 0
	v_cmp_le_i32_e64 s[2:3], v9, v8
	s_and_b64 s[4:5], s[0:1], vcc
	v_lshlrev_b64 v[2:3], 3, v[2:3]
	s_and_b64 s[4:5], s[4:5], s[2:3]
	v_mov_b32_e32 v6, s7
	v_add_co_u32_e64 v2, s[2:3], s6, v2
	v_lshlrev_b32_e32 v10, 3, v1
	v_addc_co_u32_e64 v3, s[2:3], v6, v3, s[2:3]
	v_lshlrev_b32_e32 v18, 8, v0
	v_or_b32_e32 v22, 0x2000, v10
	v_add_co_u32_e64 v14, s[2:3], v2, v4
	v_add_u32_e32 v19, v18, v10
	v_add_u32_e32 v23, v22, v18
	v_addc_co_u32_e64 v15, s[2:3], v3, v5, s[2:3]
	v_add_u32_e32 v24, 0x800, v22
	v_add_u32_e32 v25, 0x1000, v22
	;; [unrolled: 1-line block ×3, first 2 shown]
	s_branch .LBB691_5
.LBB691_4:                              ;   in Loop: Header=BB691_5 Depth=1
	s_or_b64 exec, exec, s[2:3]
	s_add_i32 s9, s9, 32
	s_cmp_lt_i32 s9, s14
	s_waitcnt vmcnt(0) lgkmcnt(0)
	s_barrier
	s_cbranch_scc0 .LBB691_11
.LBB691_5:                              ; =>This Inner Loop Header: Depth=1
	v_add_u32_e32 v5, s9, v1
	v_cmp_gt_i32_e64 s[2:3], s14, v5
	s_and_b64 s[2:3], vcc, s[2:3]
	v_mov_b32_e32 v2, 0
	v_mov_b32_e32 v3, 0
	v_mov_b32_e32 v4, 0
	s_and_saveexec_b64 s[6:7], s[2:3]
	s_cbranch_execz .LBB691_7
; %bb.6:                                ;   in Loop: Header=BB691_5 Depth=1
	v_mad_i64_i32 v[3:4], s[2:3], v5, s12, 0
	v_lshlrev_b64 v[3:4], 3, v[3:4]
	v_add_co_u32_e64 v3, s[2:3], v16, v3
	v_addc_co_u32_e64 v4, s[2:3], v17, v4, s[2:3]
	flat_load_dwordx2 v[3:4], v[3:4]
.LBB691_7:                              ;   in Loop: Header=BB691_5 Depth=1
	s_or_b64 exec, exec, s[6:7]
	s_waitcnt vmcnt(0) lgkmcnt(0)
	ds_write_b64 v19, v[3:4]
	v_add_u32_e32 v4, s9, v0
	v_cmp_gt_i32_e64 s[2:3], s14, v4
	s_and_b64 s[2:3], s[0:1], s[2:3]
	v_mov_b32_e32 v3, 0
	s_and_saveexec_b64 s[6:7], s[2:3]
	s_cbranch_execz .LBB691_9
; %bb.8:                                ;   in Loop: Header=BB691_5 Depth=1
	v_mad_i64_i32 v[2:3], s[2:3], v4, s15, 0
	v_lshlrev_b64 v[2:3], 3, v[2:3]
	v_add_co_u32_e64 v2, s[2:3], v20, v2
	v_addc_co_u32_e64 v3, s[2:3], v21, v3, s[2:3]
	flat_load_dwordx2 v[2:3], v[2:3]
.LBB691_9:                              ;   in Loop: Header=BB691_5 Depth=1
	s_or_b64 exec, exec, s[6:7]
	s_waitcnt vmcnt(0) lgkmcnt(0)
	ds_write_b64 v23, v[2:3]
	s_waitcnt lgkmcnt(0)
	s_barrier
	s_and_saveexec_b64 s[2:3], s[4:5]
	s_cbranch_execz .LBB691_4
; %bb.10:                               ;   in Loop: Header=BB691_5 Depth=1
	ds_read2_b64 v[2:5], v22 offset1:32
	ds_read_b128 v[6:9], v18
	ds_read_b128 v[10:13], v18 offset:16
	s_waitcnt lgkmcnt(1)
	v_mul_f32_e32 v27, v3, v7
	v_fma_f32 v32, v2, v6, -v27
	ds_read2_b64 v[27:30], v22 offset0:64 offset1:96
	v_mul_f32_e32 v31, v2, v7
	v_mul_f32_e32 v2, v5, v9
	v_fma_f32 v33, v4, v8, -v2
	v_fmac_f32_e32 v31, v3, v6
	s_waitcnt lgkmcnt(0)
	v_mul_f32_e32 v2, v28, v11
	v_mul_f32_e32 v34, v4, v9
	v_fma_f32 v35, v27, v10, -v2
	v_mul_f32_e32 v27, v27, v11
	v_mul_f32_e32 v2, v30, v13
	v_fmac_f32_e32 v34, v5, v8
	v_fmac_f32_e32 v27, v28, v10
	v_fma_f32 v28, v29, v12, -v2
	v_mul_f32_e32 v29, v29, v13
	v_add_f32_e32 v10, 0, v32
	v_add_f32_e32 v11, 0, v31
	v_fmac_f32_e32 v29, v30, v12
	ds_read_b128 v[2:5], v18 offset:32
	ds_read_b128 v[6:9], v18 offset:48
	v_add_f32_e32 v30, v10, v33
	v_add_f32_e32 v31, v11, v34
	ds_read2_b64 v[10:13], v22 offset0:128 offset1:160
	v_add_f32_e32 v27, v31, v27
	v_add_f32_e32 v30, v30, v35
	;; [unrolled: 1-line block ×4, first 2 shown]
	s_waitcnt lgkmcnt(0)
	v_mul_f32_e32 v29, v11, v3
	v_mul_f32_e32 v3, v10, v3
	v_fma_f32 v29, v10, v2, -v29
	v_fmac_f32_e32 v3, v11, v2
	v_add_f32_e32 v2, v28, v29
	v_add_f32_e32 v3, v27, v3
	ds_read2_b64 v[27:30], v22 offset0:192 offset1:224
	v_mul_f32_e32 v10, v13, v5
	v_mul_f32_e32 v5, v12, v5
	v_fma_f32 v10, v12, v4, -v10
	v_fmac_f32_e32 v5, v13, v4
	s_waitcnt lgkmcnt(0)
	v_mul_f32_e32 v4, v28, v7
	v_add_f32_e32 v2, v2, v10
	v_add_f32_e32 v3, v3, v5
	v_fma_f32 v4, v27, v6, -v4
	v_mul_f32_e32 v5, v27, v7
	v_fmac_f32_e32 v5, v28, v6
	v_add_f32_e32 v6, v2, v4
	v_mul_f32_e32 v2, v30, v9
	v_add_f32_e32 v7, v3, v5
	v_fma_f32 v13, v29, v8, -v2
	v_mul_f32_e32 v27, v29, v9
	ds_read_b128 v[2:5], v18 offset:64
	ds_read2_b64 v[9:12], v24 offset1:32
	v_fmac_f32_e32 v27, v30, v8
	v_add_f32_e32 v6, v6, v13
	v_add_f32_e32 v7, v7, v27
	ds_read_b128 v[27:30], v18 offset:80
	s_waitcnt lgkmcnt(1)
	v_mul_f32_e32 v8, v10, v3
	v_fma_f32 v8, v9, v2, -v8
	v_mul_f32_e32 v3, v9, v3
	v_fmac_f32_e32 v3, v10, v2
	v_add_f32_e32 v2, v6, v8
	v_mul_f32_e32 v6, v12, v5
	v_add_f32_e32 v3, v7, v3
	v_fma_f32 v10, v11, v4, -v6
	ds_read2_b64 v[6:9], v24 offset0:64 offset1:96
	v_mul_f32_e32 v5, v11, v5
	v_fmac_f32_e32 v5, v12, v4
	v_add_f32_e32 v2, v2, v10
	v_add_f32_e32 v3, v3, v5
	s_waitcnt lgkmcnt(0)
	v_mul_f32_e32 v4, v7, v28
	v_fma_f32 v4, v6, v27, -v4
	v_mul_f32_e32 v5, v6, v28
	v_fmac_f32_e32 v5, v7, v27
	v_add_f32_e32 v6, v2, v4
	v_mul_f32_e32 v2, v9, v30
	v_add_f32_e32 v7, v3, v5
	v_fma_f32 v27, v8, v29, -v2
	ds_read_b128 v[2:5], v18 offset:96
	ds_read2_b64 v[10:13], v24 offset0:128 offset1:160
	v_mul_f32_e32 v8, v8, v30
	v_fmac_f32_e32 v8, v9, v29
	v_add_f32_e32 v27, v6, v27
	v_add_f32_e32 v28, v7, v8
	s_waitcnt lgkmcnt(0)
	v_mul_f32_e32 v29, v11, v3
	v_mul_f32_e32 v3, v10, v3
	v_fma_f32 v29, v10, v2, -v29
	v_fmac_f32_e32 v3, v11, v2
	ds_read_b128 v[6:9], v18 offset:112
	v_add_f32_e32 v2, v27, v29
	v_add_f32_e32 v3, v28, v3
	ds_read2_b64 v[27:30], v24 offset0:192 offset1:224
	v_mul_f32_e32 v10, v13, v5
	v_mul_f32_e32 v5, v12, v5
	v_fma_f32 v10, v12, v4, -v10
	v_fmac_f32_e32 v5, v13, v4
	s_waitcnt lgkmcnt(0)
	v_mul_f32_e32 v4, v28, v7
	v_add_f32_e32 v2, v2, v10
	v_add_f32_e32 v3, v3, v5
	v_fma_f32 v4, v27, v6, -v4
	v_mul_f32_e32 v5, v27, v7
	v_fmac_f32_e32 v5, v28, v6
	v_add_f32_e32 v6, v2, v4
	v_mul_f32_e32 v2, v30, v9
	v_add_f32_e32 v7, v3, v5
	v_fma_f32 v13, v29, v8, -v2
	v_mul_f32_e32 v27, v29, v9
	ds_read_b128 v[2:5], v18 offset:128
	ds_read2_b64 v[9:12], v25 offset1:32
	v_fmac_f32_e32 v27, v30, v8
	v_add_f32_e32 v6, v6, v13
	v_add_f32_e32 v7, v7, v27
	ds_read_b128 v[27:30], v18 offset:144
	s_waitcnt lgkmcnt(1)
	v_mul_f32_e32 v8, v10, v3
	v_fma_f32 v8, v9, v2, -v8
	v_mul_f32_e32 v3, v9, v3
	ds_read2_b64 v[31:34], v25 offset0:64 offset1:96
	v_fmac_f32_e32 v3, v10, v2
	v_add_f32_e32 v2, v6, v8
	v_mul_f32_e32 v6, v12, v5
	v_fma_f32 v6, v11, v4, -v6
	v_mul_f32_e32 v5, v11, v5
	v_add_f32_e32 v3, v7, v3
	v_fmac_f32_e32 v5, v12, v4
	v_add_f32_e32 v2, v2, v6
	ds_read_b128 v[6:9], v18 offset:160
	ds_read2_b64 v[10:13], v25 offset0:128 offset1:160
	v_add_f32_e32 v3, v3, v5
	s_waitcnt lgkmcnt(2)
	v_mul_f32_e32 v4, v32, v28
	v_mul_f32_e32 v5, v31, v28
	v_fma_f32 v4, v31, v27, -v4
	v_fmac_f32_e32 v5, v32, v27
	v_add_f32_e32 v2, v2, v4
	v_add_f32_e32 v3, v3, v5
	v_mul_f32_e32 v4, v34, v30
	v_mul_f32_e32 v5, v33, v30
	v_fma_f32 v4, v33, v29, -v4
	v_fmac_f32_e32 v5, v34, v29
	s_waitcnt lgkmcnt(0)
	v_mul_f32_e32 v29, v11, v7
	v_mul_f32_e32 v30, v10, v7
	v_fma_f32 v29, v10, v6, -v29
	v_fmac_f32_e32 v30, v11, v6
	v_mul_f32_e32 v6, v13, v9
	v_fma_f32 v31, v12, v8, -v6
	flat_load_dwordx2 v[6:7], v[14:15]
	v_mul_f32_e32 v12, v12, v9
	v_add_f32_e32 v27, v2, v4
	v_add_f32_e32 v28, v3, v5
	ds_read_b128 v[2:5], v18 offset:176
	v_fmac_f32_e32 v12, v13, v8
	ds_read2_b64 v[8:11], v25 offset0:192 offset1:224
	v_add_f32_e32 v13, v27, v29
	v_add_f32_e32 v27, v28, v30
	;; [unrolled: 1-line block ×4, first 2 shown]
	s_waitcnt lgkmcnt(0)
	v_mul_f32_e32 v27, v9, v3
	v_mul_f32_e32 v28, v8, v3
	v_fma_f32 v27, v8, v2, -v27
	v_fmac_f32_e32 v28, v9, v2
	v_mul_f32_e32 v2, v11, v5
	v_mul_f32_e32 v29, v10, v5
	v_add_f32_e32 v13, v13, v27
	v_fma_f32 v27, v10, v4, -v2
	v_fmac_f32_e32 v29, v11, v4
	ds_read_b128 v[2:5], v18 offset:192
	ds_read2_b64 v[8:11], v26 offset1:32
	v_add_f32_e32 v12, v12, v28
	v_add_f32_e32 v13, v13, v27
	;; [unrolled: 1-line block ×3, first 2 shown]
	ds_read_b128 v[27:30], v18 offset:208
	s_waitcnt lgkmcnt(0)
	v_mul_f32_e32 v31, v9, v3
	v_fma_f32 v31, v8, v2, -v31
	v_mul_f32_e32 v8, v8, v3
	v_fmac_f32_e32 v8, v9, v2
	v_mul_f32_e32 v2, v11, v5
	v_fma_f32 v9, v10, v4, -v2
	v_mul_f32_e32 v10, v10, v5
	v_fmac_f32_e32 v10, v11, v4
	ds_read2_b64 v[2:5], v26 offset0:64 offset1:96
	v_add_f32_e32 v8, v12, v8
	v_add_f32_e32 v11, v13, v31
	;; [unrolled: 1-line block ×4, first 2 shown]
	s_waitcnt lgkmcnt(0)
	v_mul_f32_e32 v8, v3, v28
	v_fma_f32 v8, v2, v27, -v8
	v_mul_f32_e32 v13, v2, v28
	v_mul_f32_e32 v2, v5, v30
	;; [unrolled: 1-line block ×3, first 2 shown]
	v_fmac_f32_e32 v13, v3, v27
	v_add_f32_e32 v27, v9, v8
	v_fma_f32 v28, v4, v29, -v2
	v_fmac_f32_e32 v30, v5, v29
	ds_read_b128 v[2:5], v18 offset:224
	ds_read2_b64 v[8:11], v26 offset0:128 offset1:160
	v_add_f32_e32 v12, v12, v13
	v_add_f32_e32 v13, v27, v28
	;; [unrolled: 1-line block ×3, first 2 shown]
	ds_read_b128 v[27:30], v18 offset:240
	s_waitcnt lgkmcnt(0)
	v_mul_f32_e32 v31, v9, v3
	v_fma_f32 v31, v8, v2, -v31
	v_mul_f32_e32 v8, v8, v3
	v_fmac_f32_e32 v8, v9, v2
	v_mul_f32_e32 v2, v11, v5
	v_fma_f32 v9, v10, v4, -v2
	v_mul_f32_e32 v10, v10, v5
	v_fmac_f32_e32 v10, v11, v4
	ds_read2_b64 v[2:5], v26 offset0:192 offset1:224
	v_add_f32_e32 v8, v12, v8
	v_add_f32_e32 v8, v8, v10
	;; [unrolled: 1-line block ×4, first 2 shown]
	s_waitcnt lgkmcnt(0)
	v_mul_f32_e32 v10, v3, v28
	v_fma_f32 v10, v2, v27, -v10
	v_mul_f32_e32 v2, v2, v28
	v_fmac_f32_e32 v2, v3, v27
	v_add_f32_e32 v2, v8, v2
	v_mul_f32_e32 v8, v5, v30
	v_fma_f32 v8, v4, v29, -v8
	v_mul_f32_e32 v4, v4, v30
	v_fmac_f32_e32 v4, v5, v29
	v_add_f32_e32 v3, v9, v10
	v_add_f32_e32 v2, v2, v4
	;; [unrolled: 1-line block ×3, first 2 shown]
	v_mul_f32_e32 v4, s11, v2
	v_fma_f32 v4, s10, v3, -v4
	v_mul_f32_e32 v3, s11, v3
	v_fmac_f32_e32 v3, s10, v2
	s_waitcnt vmcnt(0)
	v_add_f32_e32 v2, v6, v4
	v_add_f32_e32 v3, v7, v3
	flat_store_dwordx2 v[14:15], v[2:3]
	s_branch .LBB691_4
.LBB691_11:
	s_endpgm
	.section	.rodata,"a",@progbits
	.p2align	6, 0x0
	.amdhsa_kernel _ZL26rocblas_syr2k_her2k_kernelIiLb0ELb0ELb0ELi32EPK19rocblas_complex_numIfEPKS3_PKPS1_EvbiT_T4_T5_S9_lSB_S9_lT6_S9_li
		.amdhsa_group_segment_fixed_size 16384
		.amdhsa_private_segment_fixed_size 0
		.amdhsa_kernarg_size 100
		.amdhsa_user_sgpr_count 6
		.amdhsa_user_sgpr_private_segment_buffer 1
		.amdhsa_user_sgpr_dispatch_ptr 0
		.amdhsa_user_sgpr_queue_ptr 0
		.amdhsa_user_sgpr_kernarg_segment_ptr 1
		.amdhsa_user_sgpr_dispatch_id 0
		.amdhsa_user_sgpr_flat_scratch_init 0
		.amdhsa_user_sgpr_private_segment_size 0
		.amdhsa_uses_dynamic_stack 0
		.amdhsa_system_sgpr_private_segment_wavefront_offset 0
		.amdhsa_system_sgpr_workgroup_id_x 1
		.amdhsa_system_sgpr_workgroup_id_y 1
		.amdhsa_system_sgpr_workgroup_id_z 1
		.amdhsa_system_sgpr_workgroup_info 0
		.amdhsa_system_vgpr_workitem_id 1
		.amdhsa_next_free_vgpr 36
		.amdhsa_next_free_sgpr 61
		.amdhsa_reserve_vcc 1
		.amdhsa_reserve_flat_scratch 0
		.amdhsa_float_round_mode_32 0
		.amdhsa_float_round_mode_16_64 0
		.amdhsa_float_denorm_mode_32 3
		.amdhsa_float_denorm_mode_16_64 3
		.amdhsa_dx10_clamp 1
		.amdhsa_ieee_mode 1
		.amdhsa_fp16_overflow 0
		.amdhsa_exception_fp_ieee_invalid_op 0
		.amdhsa_exception_fp_denorm_src 0
		.amdhsa_exception_fp_ieee_div_zero 0
		.amdhsa_exception_fp_ieee_overflow 0
		.amdhsa_exception_fp_ieee_underflow 0
		.amdhsa_exception_fp_ieee_inexact 0
		.amdhsa_exception_int_div_zero 0
	.end_amdhsa_kernel
	.section	.text._ZL26rocblas_syr2k_her2k_kernelIiLb0ELb0ELb0ELi32EPK19rocblas_complex_numIfEPKS3_PKPS1_EvbiT_T4_T5_S9_lSB_S9_lT6_S9_li,"axG",@progbits,_ZL26rocblas_syr2k_her2k_kernelIiLb0ELb0ELb0ELi32EPK19rocblas_complex_numIfEPKS3_PKPS1_EvbiT_T4_T5_S9_lSB_S9_lT6_S9_li,comdat
.Lfunc_end691:
	.size	_ZL26rocblas_syr2k_her2k_kernelIiLb0ELb0ELb0ELi32EPK19rocblas_complex_numIfEPKS3_PKPS1_EvbiT_T4_T5_S9_lSB_S9_lT6_S9_li, .Lfunc_end691-_ZL26rocblas_syr2k_her2k_kernelIiLb0ELb0ELb0ELi32EPK19rocblas_complex_numIfEPKS3_PKPS1_EvbiT_T4_T5_S9_lSB_S9_lT6_S9_li
                                        ; -- End function
	.set _ZL26rocblas_syr2k_her2k_kernelIiLb0ELb0ELb0ELi32EPK19rocblas_complex_numIfEPKS3_PKPS1_EvbiT_T4_T5_S9_lSB_S9_lT6_S9_li.num_vgpr, 36
	.set _ZL26rocblas_syr2k_her2k_kernelIiLb0ELb0ELb0ELi32EPK19rocblas_complex_numIfEPKS3_PKPS1_EvbiT_T4_T5_S9_lSB_S9_lT6_S9_li.num_agpr, 0
	.set _ZL26rocblas_syr2k_her2k_kernelIiLb0ELb0ELb0ELi32EPK19rocblas_complex_numIfEPKS3_PKPS1_EvbiT_T4_T5_S9_lSB_S9_lT6_S9_li.numbered_sgpr, 25
	.set _ZL26rocblas_syr2k_her2k_kernelIiLb0ELb0ELb0ELi32EPK19rocblas_complex_numIfEPKS3_PKPS1_EvbiT_T4_T5_S9_lSB_S9_lT6_S9_li.num_named_barrier, 0
	.set _ZL26rocblas_syr2k_her2k_kernelIiLb0ELb0ELb0ELi32EPK19rocblas_complex_numIfEPKS3_PKPS1_EvbiT_T4_T5_S9_lSB_S9_lT6_S9_li.private_seg_size, 0
	.set _ZL26rocblas_syr2k_her2k_kernelIiLb0ELb0ELb0ELi32EPK19rocblas_complex_numIfEPKS3_PKPS1_EvbiT_T4_T5_S9_lSB_S9_lT6_S9_li.uses_vcc, 1
	.set _ZL26rocblas_syr2k_her2k_kernelIiLb0ELb0ELb0ELi32EPK19rocblas_complex_numIfEPKS3_PKPS1_EvbiT_T4_T5_S9_lSB_S9_lT6_S9_li.uses_flat_scratch, 0
	.set _ZL26rocblas_syr2k_her2k_kernelIiLb0ELb0ELb0ELi32EPK19rocblas_complex_numIfEPKS3_PKPS1_EvbiT_T4_T5_S9_lSB_S9_lT6_S9_li.has_dyn_sized_stack, 0
	.set _ZL26rocblas_syr2k_her2k_kernelIiLb0ELb0ELb0ELi32EPK19rocblas_complex_numIfEPKS3_PKPS1_EvbiT_T4_T5_S9_lSB_S9_lT6_S9_li.has_recursion, 0
	.set _ZL26rocblas_syr2k_her2k_kernelIiLb0ELb0ELb0ELi32EPK19rocblas_complex_numIfEPKS3_PKPS1_EvbiT_T4_T5_S9_lSB_S9_lT6_S9_li.has_indirect_call, 0
	.section	.AMDGPU.csdata,"",@progbits
; Kernel info:
; codeLenInByte = 1960
; TotalNumSgprs: 29
; NumVgprs: 36
; ScratchSize: 0
; MemoryBound: 0
; FloatMode: 240
; IeeeMode: 1
; LDSByteSize: 16384 bytes/workgroup (compile time only)
; SGPRBlocks: 8
; VGPRBlocks: 8
; NumSGPRsForWavesPerEU: 65
; NumVGPRsForWavesPerEU: 36
; Occupancy: 7
; WaveLimiterHint : 1
; COMPUTE_PGM_RSRC2:SCRATCH_EN: 0
; COMPUTE_PGM_RSRC2:USER_SGPR: 6
; COMPUTE_PGM_RSRC2:TRAP_HANDLER: 0
; COMPUTE_PGM_RSRC2:TGID_X_EN: 1
; COMPUTE_PGM_RSRC2:TGID_Y_EN: 1
; COMPUTE_PGM_RSRC2:TGID_Z_EN: 1
; COMPUTE_PGM_RSRC2:TIDIG_COMP_CNT: 1
	.section	.text._ZL26rocblas_syr2k_her2k_kernelIiLb0ELb0ELb1ELi32EPK19rocblas_complex_numIfEPKS3_PKPS1_EvbiT_T4_T5_S9_lSB_S9_lT6_S9_li,"axG",@progbits,_ZL26rocblas_syr2k_her2k_kernelIiLb0ELb0ELb1ELi32EPK19rocblas_complex_numIfEPKS3_PKPS1_EvbiT_T4_T5_S9_lSB_S9_lT6_S9_li,comdat
	.globl	_ZL26rocblas_syr2k_her2k_kernelIiLb0ELb0ELb1ELi32EPK19rocblas_complex_numIfEPKS3_PKPS1_EvbiT_T4_T5_S9_lSB_S9_lT6_S9_li ; -- Begin function _ZL26rocblas_syr2k_her2k_kernelIiLb0ELb0ELb1ELi32EPK19rocblas_complex_numIfEPKS3_PKPS1_EvbiT_T4_T5_S9_lSB_S9_lT6_S9_li
	.p2align	8
	.type	_ZL26rocblas_syr2k_her2k_kernelIiLb0ELb0ELb1ELi32EPK19rocblas_complex_numIfEPKS3_PKPS1_EvbiT_T4_T5_S9_lSB_S9_lT6_S9_li,@function
_ZL26rocblas_syr2k_her2k_kernelIiLb0ELb0ELb1ELi32EPK19rocblas_complex_numIfEPKS3_PKPS1_EvbiT_T4_T5_S9_lSB_S9_lT6_S9_li: ; @_ZL26rocblas_syr2k_her2k_kernelIiLb0ELb0ELb1ELi32EPK19rocblas_complex_numIfEPKS3_PKPS1_EvbiT_T4_T5_S9_lSB_S9_lT6_S9_li
; %bb.0:
	s_load_dwordx4 s[0:3], s[4:5], 0x10
	s_waitcnt lgkmcnt(0)
	s_load_dwordx2 s[10:11], s[0:1], 0x0
	s_waitcnt lgkmcnt(0)
	v_cmp_eq_f32_e64 s[0:1], s10, 0
	v_cmp_eq_f32_e64 s[12:13], s11, 0
	s_and_b64 s[0:1], s[0:1], s[12:13]
	s_and_b64 vcc, exec, s[0:1]
	s_cbranch_vccnz .LBB692_11
; %bb.1:
	s_load_dwordx4 s[12:15], s[4:5], 0x0
	s_lshl_b32 s0, s7, 5
	s_lshl_b32 s1, s6, 5
	s_waitcnt lgkmcnt(0)
	s_and_b32 s6, 1, s12
	s_cmp_eq_u32 s6, 1
	s_cselect_b64 vcc, -1, 0
	s_and_b64 s[6:7], vcc, exec
	s_cselect_b32 s6, s1, s0
	s_cselect_b32 s7, s0, s1
	s_cmp_gt_i32 s6, s7
	s_cbranch_scc1 .LBB692_11
; %bb.2:
	s_cmp_lt_i32 s14, 1
	s_cbranch_scc1 .LBB692_11
; %bb.3:
	s_mov_b32 s9, 0
	s_load_dword s12, s[4:5], 0x20
	s_load_dwordx4 s[16:19], s[4:5], 0x28
	s_load_dword s15, s[4:5], 0x38
	s_load_dwordx4 s[20:23], s[4:5], 0x40
	s_load_dword s24, s[4:5], 0x50
	s_load_dwordx2 s[6:7], s[4:5], 0x58
	s_lshl_b64 s[4:5], s[8:9], 3
	s_add_u32 s2, s2, s4
	s_addc_u32 s3, s3, s5
	s_load_dwordx2 s[2:3], s[2:3], 0x0
	v_add_u32_e32 v2, s1, v0
	s_waitcnt lgkmcnt(0)
	s_add_u32 s18, s18, s4
	v_add_u32_e32 v6, s0, v1
	v_mad_i64_i32 v[4:5], s[0:1], s12, v2, 0
	s_addc_u32 s19, s19, s5
	s_add_u32 s4, s22, s4
	s_addc_u32 s5, s23, s5
	s_lshl_b64 s[16:17], s[16:17], 3
	s_add_u32 s8, s2, s16
	v_lshlrev_b64 v[4:5], 3, v[4:5]
	s_load_dwordx2 s[18:19], s[18:19], 0x0
	s_addc_u32 s16, s3, s17
	v_mov_b32_e32 v9, s16
	v_add_co_u32_e64 v16, s[0:1], s8, v4
	s_load_dwordx2 s[4:5], s[4:5], 0x0
	v_addc_co_u32_e64 v17, s[0:1], v9, v5, s[0:1]
	v_mad_i64_i32 v[4:5], s[0:1], s15, v6, 0
	s_lshl_b64 s[2:3], s[20:21], 3
	s_waitcnt lgkmcnt(0)
	s_add_u32 s17, s18, s2
	s_addc_u32 s18, s19, s3
	s_lshl_b64 s[2:3], s[6:7], 3
	v_lshlrev_b64 v[4:5], 3, v[4:5]
	s_add_u32 s6, s4, s2
	s_addc_u32 s7, s5, s3
	v_mov_b32_e32 v10, s18
	v_add_co_u32_e64 v20, s[2:3], s17, v4
	v_addc_co_u32_e64 v21, s[2:3], v10, v5, s[2:3]
	v_mad_i64_i32 v[4:5], s[2:3], s24, v6, 0
	v_cndmask_b32_e32 v7, v2, v6, vcc
	v_cndmask_b32_e32 v8, v6, v2, vcc
	v_cmp_gt_i32_e32 vcc, s13, v2
	v_cmp_gt_i32_e64 s[0:1], s13, v6
	v_lshlrev_b64 v[4:5], 3, v[4:5]
	v_ashrrev_i32_e32 v3, 31, v2
	v_cmp_le_i32_e64 s[2:3], v8, v7
	s_and_b64 s[4:5], s[0:1], vcc
	s_and_b64 s[4:5], s[4:5], s[2:3]
	v_mov_b32_e32 v6, s7
	v_add_co_u32_e64 v4, s[2:3], s6, v4
	v_lshlrev_b64 v[2:3], 3, v[2:3]
	v_lshlrev_b32_e32 v9, 3, v1
	v_addc_co_u32_e64 v5, s[2:3], v6, v5, s[2:3]
	v_lshlrev_b32_e32 v18, 8, v0
	v_or_b32_e32 v22, 0x2000, v9
	v_add_co_u32_e64 v14, s[2:3], v4, v2
	v_add_u32_e32 v19, v18, v9
	v_add_u32_e32 v23, v22, v18
	v_addc_co_u32_e64 v15, s[2:3], v5, v3, s[2:3]
	v_add_u32_e32 v24, 0x800, v22
	v_add_u32_e32 v25, 0x1000, v22
	;; [unrolled: 1-line block ×3, first 2 shown]
	s_branch .LBB692_5
.LBB692_4:                              ;   in Loop: Header=BB692_5 Depth=1
	s_or_b64 exec, exec, s[2:3]
	s_add_i32 s9, s9, 32
	s_cmp_lt_i32 s9, s14
	s_waitcnt vmcnt(0) lgkmcnt(0)
	s_barrier
	s_cbranch_scc0 .LBB692_11
.LBB692_5:                              ; =>This Inner Loop Header: Depth=1
	v_add_u32_e32 v5, s9, v1
	v_cmp_gt_i32_e64 s[2:3], s14, v5
	s_and_b64 s[2:3], vcc, s[2:3]
	v_mov_b32_e32 v2, 0
	v_mov_b32_e32 v3, 0
	;; [unrolled: 1-line block ×3, first 2 shown]
	s_and_saveexec_b64 s[6:7], s[2:3]
	s_cbranch_execz .LBB692_7
; %bb.6:                                ;   in Loop: Header=BB692_5 Depth=1
	v_ashrrev_i32_e32 v6, 31, v5
	v_lshlrev_b64 v[3:4], 3, v[5:6]
	v_add_co_u32_e64 v3, s[2:3], v16, v3
	v_addc_co_u32_e64 v4, s[2:3], v17, v4, s[2:3]
	flat_load_dwordx2 v[3:4], v[3:4]
.LBB692_7:                              ;   in Loop: Header=BB692_5 Depth=1
	s_or_b64 exec, exec, s[6:7]
	s_waitcnt vmcnt(0) lgkmcnt(0)
	ds_write_b64 v19, v[3:4]
	v_add_u32_e32 v4, s9, v0
	v_cmp_gt_i32_e64 s[2:3], s14, v4
	s_and_b64 s[2:3], s[0:1], s[2:3]
	v_mov_b32_e32 v3, 0
	s_and_saveexec_b64 s[6:7], s[2:3]
	s_cbranch_execz .LBB692_9
; %bb.8:                                ;   in Loop: Header=BB692_5 Depth=1
	v_ashrrev_i32_e32 v5, 31, v4
	v_lshlrev_b64 v[2:3], 3, v[4:5]
	v_add_co_u32_e64 v2, s[2:3], v20, v2
	v_addc_co_u32_e64 v3, s[2:3], v21, v3, s[2:3]
	flat_load_dwordx2 v[2:3], v[2:3]
.LBB692_9:                              ;   in Loop: Header=BB692_5 Depth=1
	s_or_b64 exec, exec, s[6:7]
	s_waitcnt vmcnt(0) lgkmcnt(0)
	ds_write_b64 v23, v[2:3]
	s_waitcnt lgkmcnt(0)
	s_barrier
	s_and_saveexec_b64 s[2:3], s[4:5]
	s_cbranch_execz .LBB692_4
; %bb.10:                               ;   in Loop: Header=BB692_5 Depth=1
	ds_read2_b64 v[2:5], v22 offset1:32
	ds_read_b128 v[6:9], v18
	ds_read_b128 v[10:13], v18 offset:16
	s_waitcnt lgkmcnt(1)
	v_mul_f32_e32 v27, v3, v7
	v_fma_f32 v32, v2, v6, -v27
	ds_read2_b64 v[27:30], v22 offset0:64 offset1:96
	v_mul_f32_e32 v31, v2, v7
	v_mul_f32_e32 v2, v5, v9
	v_fma_f32 v33, v4, v8, -v2
	v_fmac_f32_e32 v31, v3, v6
	s_waitcnt lgkmcnt(0)
	v_mul_f32_e32 v2, v28, v11
	v_mul_f32_e32 v34, v4, v9
	v_fma_f32 v35, v27, v10, -v2
	v_mul_f32_e32 v27, v27, v11
	v_mul_f32_e32 v2, v30, v13
	v_fmac_f32_e32 v34, v5, v8
	v_fmac_f32_e32 v27, v28, v10
	v_fma_f32 v28, v29, v12, -v2
	v_mul_f32_e32 v29, v29, v13
	v_add_f32_e32 v10, 0, v32
	v_add_f32_e32 v11, 0, v31
	v_fmac_f32_e32 v29, v30, v12
	ds_read_b128 v[2:5], v18 offset:32
	ds_read_b128 v[6:9], v18 offset:48
	v_add_f32_e32 v30, v10, v33
	v_add_f32_e32 v31, v11, v34
	ds_read2_b64 v[10:13], v22 offset0:128 offset1:160
	v_add_f32_e32 v27, v31, v27
	v_add_f32_e32 v30, v30, v35
	;; [unrolled: 1-line block ×4, first 2 shown]
	s_waitcnt lgkmcnt(0)
	v_mul_f32_e32 v29, v11, v3
	v_mul_f32_e32 v3, v10, v3
	v_fma_f32 v29, v10, v2, -v29
	v_fmac_f32_e32 v3, v11, v2
	v_add_f32_e32 v2, v28, v29
	v_add_f32_e32 v3, v27, v3
	ds_read2_b64 v[27:30], v22 offset0:192 offset1:224
	v_mul_f32_e32 v10, v13, v5
	v_mul_f32_e32 v5, v12, v5
	v_fma_f32 v10, v12, v4, -v10
	v_fmac_f32_e32 v5, v13, v4
	s_waitcnt lgkmcnt(0)
	v_mul_f32_e32 v4, v28, v7
	v_add_f32_e32 v2, v2, v10
	v_add_f32_e32 v3, v3, v5
	v_fma_f32 v4, v27, v6, -v4
	v_mul_f32_e32 v5, v27, v7
	v_fmac_f32_e32 v5, v28, v6
	v_add_f32_e32 v6, v2, v4
	v_mul_f32_e32 v2, v30, v9
	v_add_f32_e32 v7, v3, v5
	v_fma_f32 v13, v29, v8, -v2
	v_mul_f32_e32 v27, v29, v9
	ds_read_b128 v[2:5], v18 offset:64
	ds_read2_b64 v[9:12], v24 offset1:32
	v_fmac_f32_e32 v27, v30, v8
	v_add_f32_e32 v6, v6, v13
	v_add_f32_e32 v7, v7, v27
	ds_read_b128 v[27:30], v18 offset:80
	s_waitcnt lgkmcnt(1)
	v_mul_f32_e32 v8, v10, v3
	v_fma_f32 v8, v9, v2, -v8
	v_mul_f32_e32 v3, v9, v3
	v_fmac_f32_e32 v3, v10, v2
	v_add_f32_e32 v2, v6, v8
	v_mul_f32_e32 v6, v12, v5
	v_add_f32_e32 v3, v7, v3
	v_fma_f32 v10, v11, v4, -v6
	ds_read2_b64 v[6:9], v24 offset0:64 offset1:96
	v_mul_f32_e32 v5, v11, v5
	v_fmac_f32_e32 v5, v12, v4
	v_add_f32_e32 v2, v2, v10
	v_add_f32_e32 v3, v3, v5
	s_waitcnt lgkmcnt(0)
	v_mul_f32_e32 v4, v7, v28
	v_fma_f32 v4, v6, v27, -v4
	v_mul_f32_e32 v5, v6, v28
	v_fmac_f32_e32 v5, v7, v27
	v_add_f32_e32 v6, v2, v4
	v_mul_f32_e32 v2, v9, v30
	v_add_f32_e32 v7, v3, v5
	v_fma_f32 v27, v8, v29, -v2
	ds_read_b128 v[2:5], v18 offset:96
	ds_read2_b64 v[10:13], v24 offset0:128 offset1:160
	v_mul_f32_e32 v8, v8, v30
	v_fmac_f32_e32 v8, v9, v29
	v_add_f32_e32 v27, v6, v27
	v_add_f32_e32 v28, v7, v8
	s_waitcnt lgkmcnt(0)
	v_mul_f32_e32 v29, v11, v3
	v_mul_f32_e32 v3, v10, v3
	v_fma_f32 v29, v10, v2, -v29
	v_fmac_f32_e32 v3, v11, v2
	ds_read_b128 v[6:9], v18 offset:112
	v_add_f32_e32 v2, v27, v29
	v_add_f32_e32 v3, v28, v3
	ds_read2_b64 v[27:30], v24 offset0:192 offset1:224
	v_mul_f32_e32 v10, v13, v5
	v_mul_f32_e32 v5, v12, v5
	v_fma_f32 v10, v12, v4, -v10
	v_fmac_f32_e32 v5, v13, v4
	s_waitcnt lgkmcnt(0)
	v_mul_f32_e32 v4, v28, v7
	v_add_f32_e32 v2, v2, v10
	v_add_f32_e32 v3, v3, v5
	v_fma_f32 v4, v27, v6, -v4
	v_mul_f32_e32 v5, v27, v7
	v_fmac_f32_e32 v5, v28, v6
	v_add_f32_e32 v6, v2, v4
	v_mul_f32_e32 v2, v30, v9
	v_add_f32_e32 v7, v3, v5
	v_fma_f32 v13, v29, v8, -v2
	v_mul_f32_e32 v27, v29, v9
	ds_read_b128 v[2:5], v18 offset:128
	ds_read2_b64 v[9:12], v25 offset1:32
	v_fmac_f32_e32 v27, v30, v8
	v_add_f32_e32 v6, v6, v13
	v_add_f32_e32 v7, v7, v27
	ds_read_b128 v[27:30], v18 offset:144
	s_waitcnt lgkmcnt(1)
	v_mul_f32_e32 v8, v10, v3
	v_fma_f32 v8, v9, v2, -v8
	v_mul_f32_e32 v3, v9, v3
	ds_read2_b64 v[31:34], v25 offset0:64 offset1:96
	v_fmac_f32_e32 v3, v10, v2
	v_add_f32_e32 v2, v6, v8
	v_mul_f32_e32 v6, v12, v5
	v_fma_f32 v6, v11, v4, -v6
	v_mul_f32_e32 v5, v11, v5
	v_add_f32_e32 v3, v7, v3
	v_fmac_f32_e32 v5, v12, v4
	v_add_f32_e32 v2, v2, v6
	ds_read_b128 v[6:9], v18 offset:160
	ds_read2_b64 v[10:13], v25 offset0:128 offset1:160
	v_add_f32_e32 v3, v3, v5
	s_waitcnt lgkmcnt(2)
	v_mul_f32_e32 v4, v32, v28
	v_mul_f32_e32 v5, v31, v28
	v_fma_f32 v4, v31, v27, -v4
	v_fmac_f32_e32 v5, v32, v27
	v_add_f32_e32 v2, v2, v4
	v_add_f32_e32 v3, v3, v5
	v_mul_f32_e32 v4, v34, v30
	v_mul_f32_e32 v5, v33, v30
	v_fma_f32 v4, v33, v29, -v4
	v_fmac_f32_e32 v5, v34, v29
	s_waitcnt lgkmcnt(0)
	v_mul_f32_e32 v29, v11, v7
	v_mul_f32_e32 v30, v10, v7
	v_fma_f32 v29, v10, v6, -v29
	v_fmac_f32_e32 v30, v11, v6
	v_mul_f32_e32 v6, v13, v9
	v_fma_f32 v31, v12, v8, -v6
	flat_load_dwordx2 v[6:7], v[14:15]
	v_mul_f32_e32 v12, v12, v9
	v_add_f32_e32 v27, v2, v4
	v_add_f32_e32 v28, v3, v5
	ds_read_b128 v[2:5], v18 offset:176
	v_fmac_f32_e32 v12, v13, v8
	ds_read2_b64 v[8:11], v25 offset0:192 offset1:224
	v_add_f32_e32 v13, v27, v29
	v_add_f32_e32 v27, v28, v30
	;; [unrolled: 1-line block ×4, first 2 shown]
	s_waitcnt lgkmcnt(0)
	v_mul_f32_e32 v27, v9, v3
	v_mul_f32_e32 v28, v8, v3
	v_fma_f32 v27, v8, v2, -v27
	v_fmac_f32_e32 v28, v9, v2
	v_mul_f32_e32 v2, v11, v5
	v_mul_f32_e32 v29, v10, v5
	v_add_f32_e32 v13, v13, v27
	v_fma_f32 v27, v10, v4, -v2
	v_fmac_f32_e32 v29, v11, v4
	ds_read_b128 v[2:5], v18 offset:192
	ds_read2_b64 v[8:11], v26 offset1:32
	v_add_f32_e32 v12, v12, v28
	v_add_f32_e32 v13, v13, v27
	;; [unrolled: 1-line block ×3, first 2 shown]
	ds_read_b128 v[27:30], v18 offset:208
	s_waitcnt lgkmcnt(0)
	v_mul_f32_e32 v31, v9, v3
	v_fma_f32 v31, v8, v2, -v31
	v_mul_f32_e32 v8, v8, v3
	v_fmac_f32_e32 v8, v9, v2
	v_mul_f32_e32 v2, v11, v5
	v_fma_f32 v9, v10, v4, -v2
	v_mul_f32_e32 v10, v10, v5
	v_fmac_f32_e32 v10, v11, v4
	ds_read2_b64 v[2:5], v26 offset0:64 offset1:96
	v_add_f32_e32 v8, v12, v8
	v_add_f32_e32 v11, v13, v31
	;; [unrolled: 1-line block ×4, first 2 shown]
	s_waitcnt lgkmcnt(0)
	v_mul_f32_e32 v8, v3, v28
	v_fma_f32 v8, v2, v27, -v8
	v_mul_f32_e32 v13, v2, v28
	v_mul_f32_e32 v2, v5, v30
	v_mul_f32_e32 v30, v4, v30
	v_fmac_f32_e32 v13, v3, v27
	v_add_f32_e32 v27, v9, v8
	v_fma_f32 v28, v4, v29, -v2
	v_fmac_f32_e32 v30, v5, v29
	ds_read_b128 v[2:5], v18 offset:224
	ds_read2_b64 v[8:11], v26 offset0:128 offset1:160
	v_add_f32_e32 v12, v12, v13
	v_add_f32_e32 v13, v27, v28
	;; [unrolled: 1-line block ×3, first 2 shown]
	ds_read_b128 v[27:30], v18 offset:240
	s_waitcnt lgkmcnt(0)
	v_mul_f32_e32 v31, v9, v3
	v_fma_f32 v31, v8, v2, -v31
	v_mul_f32_e32 v8, v8, v3
	v_fmac_f32_e32 v8, v9, v2
	v_mul_f32_e32 v2, v11, v5
	v_fma_f32 v9, v10, v4, -v2
	v_mul_f32_e32 v10, v10, v5
	v_fmac_f32_e32 v10, v11, v4
	ds_read2_b64 v[2:5], v26 offset0:192 offset1:224
	v_add_f32_e32 v8, v12, v8
	v_add_f32_e32 v8, v8, v10
	v_add_f32_e32 v11, v13, v31
	v_add_f32_e32 v9, v11, v9
	s_waitcnt lgkmcnt(0)
	v_mul_f32_e32 v10, v3, v28
	v_fma_f32 v10, v2, v27, -v10
	v_mul_f32_e32 v2, v2, v28
	v_fmac_f32_e32 v2, v3, v27
	v_add_f32_e32 v2, v8, v2
	v_mul_f32_e32 v8, v5, v30
	v_fma_f32 v8, v4, v29, -v8
	v_mul_f32_e32 v4, v4, v30
	v_fmac_f32_e32 v4, v5, v29
	v_add_f32_e32 v3, v9, v10
	v_add_f32_e32 v2, v2, v4
	;; [unrolled: 1-line block ×3, first 2 shown]
	v_mul_f32_e32 v4, s11, v2
	v_fma_f32 v4, s10, v3, -v4
	v_mul_f32_e32 v3, s11, v3
	v_fmac_f32_e32 v3, s10, v2
	s_waitcnt vmcnt(0)
	v_add_f32_e32 v2, v6, v4
	v_add_f32_e32 v3, v7, v3
	flat_store_dwordx2 v[14:15], v[2:3]
	s_branch .LBB692_4
.LBB692_11:
	s_endpgm
	.section	.rodata,"a",@progbits
	.p2align	6, 0x0
	.amdhsa_kernel _ZL26rocblas_syr2k_her2k_kernelIiLb0ELb0ELb1ELi32EPK19rocblas_complex_numIfEPKS3_PKPS1_EvbiT_T4_T5_S9_lSB_S9_lT6_S9_li
		.amdhsa_group_segment_fixed_size 16384
		.amdhsa_private_segment_fixed_size 0
		.amdhsa_kernarg_size 100
		.amdhsa_user_sgpr_count 6
		.amdhsa_user_sgpr_private_segment_buffer 1
		.amdhsa_user_sgpr_dispatch_ptr 0
		.amdhsa_user_sgpr_queue_ptr 0
		.amdhsa_user_sgpr_kernarg_segment_ptr 1
		.amdhsa_user_sgpr_dispatch_id 0
		.amdhsa_user_sgpr_flat_scratch_init 0
		.amdhsa_user_sgpr_private_segment_size 0
		.amdhsa_uses_dynamic_stack 0
		.amdhsa_system_sgpr_private_segment_wavefront_offset 0
		.amdhsa_system_sgpr_workgroup_id_x 1
		.amdhsa_system_sgpr_workgroup_id_y 1
		.amdhsa_system_sgpr_workgroup_id_z 1
		.amdhsa_system_sgpr_workgroup_info 0
		.amdhsa_system_vgpr_workitem_id 1
		.amdhsa_next_free_vgpr 36
		.amdhsa_next_free_sgpr 61
		.amdhsa_reserve_vcc 1
		.amdhsa_reserve_flat_scratch 0
		.amdhsa_float_round_mode_32 0
		.amdhsa_float_round_mode_16_64 0
		.amdhsa_float_denorm_mode_32 3
		.amdhsa_float_denorm_mode_16_64 3
		.amdhsa_dx10_clamp 1
		.amdhsa_ieee_mode 1
		.amdhsa_fp16_overflow 0
		.amdhsa_exception_fp_ieee_invalid_op 0
		.amdhsa_exception_fp_denorm_src 0
		.amdhsa_exception_fp_ieee_div_zero 0
		.amdhsa_exception_fp_ieee_overflow 0
		.amdhsa_exception_fp_ieee_underflow 0
		.amdhsa_exception_fp_ieee_inexact 0
		.amdhsa_exception_int_div_zero 0
	.end_amdhsa_kernel
	.section	.text._ZL26rocblas_syr2k_her2k_kernelIiLb0ELb0ELb1ELi32EPK19rocblas_complex_numIfEPKS3_PKPS1_EvbiT_T4_T5_S9_lSB_S9_lT6_S9_li,"axG",@progbits,_ZL26rocblas_syr2k_her2k_kernelIiLb0ELb0ELb1ELi32EPK19rocblas_complex_numIfEPKS3_PKPS1_EvbiT_T4_T5_S9_lSB_S9_lT6_S9_li,comdat
.Lfunc_end692:
	.size	_ZL26rocblas_syr2k_her2k_kernelIiLb0ELb0ELb1ELi32EPK19rocblas_complex_numIfEPKS3_PKPS1_EvbiT_T4_T5_S9_lSB_S9_lT6_S9_li, .Lfunc_end692-_ZL26rocblas_syr2k_her2k_kernelIiLb0ELb0ELb1ELi32EPK19rocblas_complex_numIfEPKS3_PKPS1_EvbiT_T4_T5_S9_lSB_S9_lT6_S9_li
                                        ; -- End function
	.set _ZL26rocblas_syr2k_her2k_kernelIiLb0ELb0ELb1ELi32EPK19rocblas_complex_numIfEPKS3_PKPS1_EvbiT_T4_T5_S9_lSB_S9_lT6_S9_li.num_vgpr, 36
	.set _ZL26rocblas_syr2k_her2k_kernelIiLb0ELb0ELb1ELi32EPK19rocblas_complex_numIfEPKS3_PKPS1_EvbiT_T4_T5_S9_lSB_S9_lT6_S9_li.num_agpr, 0
	.set _ZL26rocblas_syr2k_her2k_kernelIiLb0ELb0ELb1ELi32EPK19rocblas_complex_numIfEPKS3_PKPS1_EvbiT_T4_T5_S9_lSB_S9_lT6_S9_li.numbered_sgpr, 25
	.set _ZL26rocblas_syr2k_her2k_kernelIiLb0ELb0ELb1ELi32EPK19rocblas_complex_numIfEPKS3_PKPS1_EvbiT_T4_T5_S9_lSB_S9_lT6_S9_li.num_named_barrier, 0
	.set _ZL26rocblas_syr2k_her2k_kernelIiLb0ELb0ELb1ELi32EPK19rocblas_complex_numIfEPKS3_PKPS1_EvbiT_T4_T5_S9_lSB_S9_lT6_S9_li.private_seg_size, 0
	.set _ZL26rocblas_syr2k_her2k_kernelIiLb0ELb0ELb1ELi32EPK19rocblas_complex_numIfEPKS3_PKPS1_EvbiT_T4_T5_S9_lSB_S9_lT6_S9_li.uses_vcc, 1
	.set _ZL26rocblas_syr2k_her2k_kernelIiLb0ELb0ELb1ELi32EPK19rocblas_complex_numIfEPKS3_PKPS1_EvbiT_T4_T5_S9_lSB_S9_lT6_S9_li.uses_flat_scratch, 0
	.set _ZL26rocblas_syr2k_her2k_kernelIiLb0ELb0ELb1ELi32EPK19rocblas_complex_numIfEPKS3_PKPS1_EvbiT_T4_T5_S9_lSB_S9_lT6_S9_li.has_dyn_sized_stack, 0
	.set _ZL26rocblas_syr2k_her2k_kernelIiLb0ELb0ELb1ELi32EPK19rocblas_complex_numIfEPKS3_PKPS1_EvbiT_T4_T5_S9_lSB_S9_lT6_S9_li.has_recursion, 0
	.set _ZL26rocblas_syr2k_her2k_kernelIiLb0ELb0ELb1ELi32EPK19rocblas_complex_numIfEPKS3_PKPS1_EvbiT_T4_T5_S9_lSB_S9_lT6_S9_li.has_indirect_call, 0
	.section	.AMDGPU.csdata,"",@progbits
; Kernel info:
; codeLenInByte = 1972
; TotalNumSgprs: 29
; NumVgprs: 36
; ScratchSize: 0
; MemoryBound: 0
; FloatMode: 240
; IeeeMode: 1
; LDSByteSize: 16384 bytes/workgroup (compile time only)
; SGPRBlocks: 8
; VGPRBlocks: 8
; NumSGPRsForWavesPerEU: 65
; NumVGPRsForWavesPerEU: 36
; Occupancy: 7
; WaveLimiterHint : 1
; COMPUTE_PGM_RSRC2:SCRATCH_EN: 0
; COMPUTE_PGM_RSRC2:USER_SGPR: 6
; COMPUTE_PGM_RSRC2:TRAP_HANDLER: 0
; COMPUTE_PGM_RSRC2:TGID_X_EN: 1
; COMPUTE_PGM_RSRC2:TGID_Y_EN: 1
; COMPUTE_PGM_RSRC2:TGID_Z_EN: 1
; COMPUTE_PGM_RSRC2:TIDIG_COMP_CNT: 1
	.section	.text._ZL26rocblas_syr2k_her2k_kernelIiLb0ELb0ELb0ELi32E19rocblas_complex_numIdEPKPKS1_PKPS1_EvbiT_T4_T5_S9_lSB_S9_lT6_S9_li,"axG",@progbits,_ZL26rocblas_syr2k_her2k_kernelIiLb0ELb0ELb0ELi32E19rocblas_complex_numIdEPKPKS1_PKPS1_EvbiT_T4_T5_S9_lSB_S9_lT6_S9_li,comdat
	.globl	_ZL26rocblas_syr2k_her2k_kernelIiLb0ELb0ELb0ELi32E19rocblas_complex_numIdEPKPKS1_PKPS1_EvbiT_T4_T5_S9_lSB_S9_lT6_S9_li ; -- Begin function _ZL26rocblas_syr2k_her2k_kernelIiLb0ELb0ELb0ELi32E19rocblas_complex_numIdEPKPKS1_PKPS1_EvbiT_T4_T5_S9_lSB_S9_lT6_S9_li
	.p2align	8
	.type	_ZL26rocblas_syr2k_her2k_kernelIiLb0ELb0ELb0ELi32E19rocblas_complex_numIdEPKPKS1_PKPS1_EvbiT_T4_T5_S9_lSB_S9_lT6_S9_li,@function
_ZL26rocblas_syr2k_her2k_kernelIiLb0ELb0ELb0ELi32E19rocblas_complex_numIdEPKPKS1_PKPS1_EvbiT_T4_T5_S9_lSB_S9_lT6_S9_li: ; @_ZL26rocblas_syr2k_her2k_kernelIiLb0ELb0ELb0ELi32E19rocblas_complex_numIdEPKPKS1_PKPS1_EvbiT_T4_T5_S9_lSB_S9_lT6_S9_li
; %bb.0:
	s_load_dwordx4 s[12:15], s[4:5], 0x10
	s_waitcnt lgkmcnt(0)
	v_cmp_eq_f64_e64 s[0:1], s[12:13], 0
	v_cmp_eq_f64_e64 s[2:3], s[14:15], 0
	s_and_b64 s[0:1], s[0:1], s[2:3]
	s_and_b64 vcc, exec, s[0:1]
	s_cbranch_vccnz .LBB693_11
; %bb.1:
	s_load_dwordx4 s[16:19], s[4:5], 0x0
	s_lshl_b32 s0, s7, 5
	s_lshl_b32 s1, s6, 5
	s_waitcnt lgkmcnt(0)
	s_and_b32 s2, 1, s16
	s_cmp_eq_u32 s2, 1
	s_cselect_b64 vcc, -1, 0
	s_and_b64 s[2:3], vcc, exec
	s_cselect_b32 s2, s1, s0
	s_cselect_b32 s3, s0, s1
	s_cmp_gt_i32 s2, s3
	s_cbranch_scc1 .LBB693_11
; %bb.2:
	s_cmp_lt_i32 s18, 1
	s_cbranch_scc1 .LBB693_11
; %bb.3:
	s_mov_b32 s9, 0
	s_load_dwordx2 s[2:3], s[4:5], 0x20
	s_load_dword s10, s[4:5], 0x28
	s_load_dwordx4 s[20:23], s[4:5], 0x30
	s_load_dword s11, s[4:5], 0x40
	s_load_dwordx4 s[24:27], s[4:5], 0x48
	s_load_dword s16, s[4:5], 0x58
	s_load_dwordx2 s[6:7], s[4:5], 0x60
	s_lshl_b64 s[4:5], s[8:9], 3
	s_waitcnt lgkmcnt(0)
	s_add_u32 s2, s2, s4
	s_addc_u32 s3, s3, s5
	s_load_dwordx2 s[2:3], s[2:3], 0x0
	s_add_u32 s22, s22, s4
	s_addc_u32 s23, s23, s5
	s_load_dwordx2 s[22:23], s[22:23], 0x0
	s_add_u32 s4, s26, s4
	v_add_u32_e32 v3, s1, v0
	s_addc_u32 s5, s27, s5
	s_lshl_b64 s[20:21], s[20:21], 4
	v_ashrrev_i32_e32 v4, 31, v3
	s_load_dwordx2 s[4:5], s[4:5], 0x0
	s_waitcnt lgkmcnt(0)
	s_add_u32 s8, s2, s20
	v_lshlrev_b64 v[4:5], 4, v[3:4]
	s_addc_u32 s19, s3, s21
	v_add_u32_e32 v2, s0, v1
	s_lshl_b64 s[2:3], s[24:25], 4
	v_cndmask_b32_e32 v8, v3, v2, vcc
	v_cndmask_b32_e32 v9, v2, v3, vcc
	v_cmp_gt_i32_e32 vcc, s17, v3
	v_mov_b32_e32 v3, s19
	v_add_co_u32_e64 v10, s[0:1], s8, v4
	s_add_u32 s20, s22, s2
	v_addc_co_u32_e64 v11, s[0:1], v3, v5, s[0:1]
	v_ashrrev_i32_e32 v3, 31, v2
	s_addc_u32 s21, s23, s3
	s_lshl_b64 s[2:3], s[6:7], 4
	v_lshlrev_b64 v[6:7], 4, v[2:3]
	s_add_u32 s6, s4, s2
	s_addc_u32 s7, s5, s3
	v_mov_b32_e32 v3, s21
	v_add_co_u32_e64 v14, s[2:3], s20, v6
	v_cmp_gt_i32_e64 s[0:1], s17, v2
	v_addc_co_u32_e64 v15, s[2:3], v3, v7, s[2:3]
	v_mad_i64_i32 v[2:3], s[2:3], s16, v2, 0
	v_cmp_le_i32_e64 s[2:3], v9, v8
	s_and_b64 s[4:5], s[0:1], vcc
	v_lshlrev_b64 v[2:3], 4, v[2:3]
	s_and_b64 s[4:5], s[4:5], s[2:3]
	v_mov_b32_e32 v6, s7
	v_add_co_u32_e64 v2, s[2:3], s6, v2
	v_lshlrev_b32_e32 v12, 9, v0
	v_lshlrev_b32_e32 v16, 4, v1
	v_addc_co_u32_e64 v3, s[2:3], v6, v3, s[2:3]
	v_add_u32_e32 v13, v12, v16
	v_or_b32_e32 v16, 0x4000, v16
	v_add_co_u32_e64 v8, s[2:3], v2, v4
	v_add_u32_e32 v17, v16, v12
	v_addc_co_u32_e64 v9, s[2:3], v3, v5, s[2:3]
	s_branch .LBB693_5
.LBB693_4:                              ;   in Loop: Header=BB693_5 Depth=1
	s_or_b64 exec, exec, s[2:3]
	s_add_i32 s9, s9, 32
	s_cmp_lt_i32 s9, s18
	s_waitcnt vmcnt(0) lgkmcnt(0)
	s_barrier
	s_cbranch_scc0 .LBB693_11
.LBB693_5:                              ; =>This Inner Loop Header: Depth=1
	v_add_u32_e32 v18, s9, v1
	v_cmp_gt_i32_e64 s[2:3], s18, v18
	v_mov_b32_e32 v2, 0
	v_mov_b32_e32 v4, 0
	;; [unrolled: 1-line block ×6, first 2 shown]
	s_and_b64 s[2:3], vcc, s[2:3]
	s_and_saveexec_b64 s[6:7], s[2:3]
	s_cbranch_execz .LBB693_7
; %bb.6:                                ;   in Loop: Header=BB693_5 Depth=1
	v_mad_i64_i32 v[4:5], s[2:3], v18, s10, 0
	v_lshlrev_b64 v[4:5], 4, v[4:5]
	v_add_co_u32_e64 v4, s[2:3], v10, v4
	v_addc_co_u32_e64 v5, s[2:3], v11, v5, s[2:3]
	flat_load_dwordx4 v[4:7], v[4:5]
.LBB693_7:                              ;   in Loop: Header=BB693_5 Depth=1
	s_or_b64 exec, exec, s[6:7]
	s_waitcnt vmcnt(0) lgkmcnt(0)
	ds_write_b128 v13, v[4:7]
	v_add_u32_e32 v6, s9, v0
	v_cmp_gt_i32_e64 s[2:3], s18, v6
	v_mov_b32_e32 v4, 0
	v_mov_b32_e32 v5, 0
	s_and_b64 s[2:3], s[0:1], s[2:3]
	s_and_saveexec_b64 s[6:7], s[2:3]
	s_cbranch_execz .LBB693_9
; %bb.8:                                ;   in Loop: Header=BB693_5 Depth=1
	v_mad_i64_i32 v[2:3], s[2:3], v6, s11, 0
	v_lshlrev_b64 v[2:3], 4, v[2:3]
	v_add_co_u32_e64 v2, s[2:3], v14, v2
	v_addc_co_u32_e64 v3, s[2:3], v15, v3, s[2:3]
	flat_load_dwordx4 v[2:5], v[2:3]
.LBB693_9:                              ;   in Loop: Header=BB693_5 Depth=1
	s_or_b64 exec, exec, s[6:7]
	s_waitcnt vmcnt(0) lgkmcnt(0)
	ds_write_b128 v17, v[2:5]
	s_waitcnt lgkmcnt(0)
	s_barrier
	s_and_saveexec_b64 s[2:3], s[4:5]
	s_cbranch_execz .LBB693_4
; %bb.10:                               ;   in Loop: Header=BB693_5 Depth=1
	ds_read_b128 v[18:21], v16
	ds_read_b128 v[22:25], v12
	ds_read_b128 v[26:29], v12 offset:16
	ds_read_b128 v[30:33], v12 offset:32
	;; [unrolled: 1-line block ×3, first 2 shown]
	s_waitcnt lgkmcnt(3)
	v_mul_f64 v[6:7], v[20:21], v[24:25]
	v_fma_f64 v[6:7], v[18:19], v[22:23], -v[6:7]
	v_mul_f64 v[18:19], v[18:19], v[24:25]
	v_add_f64 v[6:7], v[6:7], 0
	v_fma_f64 v[18:19], v[20:21], v[22:23], v[18:19]
	v_add_f64 v[22:23], v[18:19], 0
	ds_read_b128 v[18:21], v16 offset:512
	s_waitcnt lgkmcnt(0)
	v_mul_f64 v[24:25], v[20:21], v[28:29]
	v_fma_f64 v[24:25], v[18:19], v[26:27], -v[24:25]
	v_mul_f64 v[18:19], v[18:19], v[28:29]
	v_add_f64 v[6:7], v[6:7], v[24:25]
	v_fma_f64 v[18:19], v[20:21], v[26:27], v[18:19]
	v_add_f64 v[22:23], v[22:23], v[18:19]
	ds_read_b128 v[18:21], v16 offset:1024
	;; [unrolled: 8-line block ×3, first 2 shown]
	s_waitcnt lgkmcnt(0)
	v_mul_f64 v[24:25], v[20:21], v[4:5]
	v_mul_f64 v[4:5], v[18:19], v[4:5]
	v_fma_f64 v[24:25], v[18:19], v[2:3], -v[24:25]
	v_fma_f64 v[2:3], v[20:21], v[2:3], v[4:5]
	v_add_f64 v[6:7], v[6:7], v[24:25]
	v_add_f64 v[22:23], v[22:23], v[2:3]
	ds_read_b128 v[2:5], v16 offset:2048
	ds_read_b128 v[18:21], v12 offset:64
	s_waitcnt lgkmcnt(0)
	v_mul_f64 v[24:25], v[4:5], v[20:21]
	v_fma_f64 v[24:25], v[2:3], v[18:19], -v[24:25]
	v_mul_f64 v[2:3], v[2:3], v[20:21]
	v_add_f64 v[6:7], v[6:7], v[24:25]
	v_fma_f64 v[2:3], v[4:5], v[18:19], v[2:3]
	v_add_f64 v[22:23], v[22:23], v[2:3]
	ds_read_b128 v[2:5], v16 offset:2560
	ds_read_b128 v[18:21], v12 offset:80
	s_waitcnt lgkmcnt(0)
	v_mul_f64 v[24:25], v[4:5], v[20:21]
	v_fma_f64 v[24:25], v[2:3], v[18:19], -v[24:25]
	v_mul_f64 v[2:3], v[2:3], v[20:21]
	v_add_f64 v[6:7], v[6:7], v[24:25]
	v_fma_f64 v[2:3], v[4:5], v[18:19], v[2:3]
	;; [unrolled: 9-line block ×27, first 2 shown]
	v_add_f64 v[22:23], v[22:23], v[2:3]
	ds_read_b128 v[2:5], v16 offset:15872
	ds_read_b128 v[18:21], v12 offset:496
	s_waitcnt lgkmcnt(0)
	v_mul_f64 v[24:25], v[4:5], v[20:21]
	v_fma_f64 v[24:25], v[2:3], v[18:19], -v[24:25]
	v_mul_f64 v[2:3], v[2:3], v[20:21]
	v_fma_f64 v[2:3], v[4:5], v[18:19], v[2:3]
	flat_load_dwordx4 v[18:21], v[8:9]
	v_add_f64 v[4:5], v[6:7], v[24:25]
	v_add_f64 v[6:7], v[22:23], v[2:3]
	v_mul_f64 v[2:3], s[14:15], v[6:7]
	v_fma_f64 v[2:3], s[12:13], v[4:5], -v[2:3]
	v_mul_f64 v[4:5], s[14:15], v[4:5]
	v_fma_f64 v[4:5], s[12:13], v[6:7], v[4:5]
	s_waitcnt vmcnt(0) lgkmcnt(0)
	v_add_f64 v[2:3], v[18:19], v[2:3]
	v_add_f64 v[4:5], v[20:21], v[4:5]
	flat_store_dwordx4 v[8:9], v[2:5]
	s_branch .LBB693_4
.LBB693_11:
	s_endpgm
	.section	.rodata,"a",@progbits
	.p2align	6, 0x0
	.amdhsa_kernel _ZL26rocblas_syr2k_her2k_kernelIiLb0ELb0ELb0ELi32E19rocblas_complex_numIdEPKPKS1_PKPS1_EvbiT_T4_T5_S9_lSB_S9_lT6_S9_li
		.amdhsa_group_segment_fixed_size 32768
		.amdhsa_private_segment_fixed_size 0
		.amdhsa_kernarg_size 108
		.amdhsa_user_sgpr_count 6
		.amdhsa_user_sgpr_private_segment_buffer 1
		.amdhsa_user_sgpr_dispatch_ptr 0
		.amdhsa_user_sgpr_queue_ptr 0
		.amdhsa_user_sgpr_kernarg_segment_ptr 1
		.amdhsa_user_sgpr_dispatch_id 0
		.amdhsa_user_sgpr_flat_scratch_init 0
		.amdhsa_user_sgpr_private_segment_size 0
		.amdhsa_uses_dynamic_stack 0
		.amdhsa_system_sgpr_private_segment_wavefront_offset 0
		.amdhsa_system_sgpr_workgroup_id_x 1
		.amdhsa_system_sgpr_workgroup_id_y 1
		.amdhsa_system_sgpr_workgroup_id_z 1
		.amdhsa_system_sgpr_workgroup_info 0
		.amdhsa_system_vgpr_workitem_id 1
		.amdhsa_next_free_vgpr 34
		.amdhsa_next_free_sgpr 61
		.amdhsa_reserve_vcc 1
		.amdhsa_reserve_flat_scratch 0
		.amdhsa_float_round_mode_32 0
		.amdhsa_float_round_mode_16_64 0
		.amdhsa_float_denorm_mode_32 3
		.amdhsa_float_denorm_mode_16_64 3
		.amdhsa_dx10_clamp 1
		.amdhsa_ieee_mode 1
		.amdhsa_fp16_overflow 0
		.amdhsa_exception_fp_ieee_invalid_op 0
		.amdhsa_exception_fp_denorm_src 0
		.amdhsa_exception_fp_ieee_div_zero 0
		.amdhsa_exception_fp_ieee_overflow 0
		.amdhsa_exception_fp_ieee_underflow 0
		.amdhsa_exception_fp_ieee_inexact 0
		.amdhsa_exception_int_div_zero 0
	.end_amdhsa_kernel
	.section	.text._ZL26rocblas_syr2k_her2k_kernelIiLb0ELb0ELb0ELi32E19rocblas_complex_numIdEPKPKS1_PKPS1_EvbiT_T4_T5_S9_lSB_S9_lT6_S9_li,"axG",@progbits,_ZL26rocblas_syr2k_her2k_kernelIiLb0ELb0ELb0ELi32E19rocblas_complex_numIdEPKPKS1_PKPS1_EvbiT_T4_T5_S9_lSB_S9_lT6_S9_li,comdat
.Lfunc_end693:
	.size	_ZL26rocblas_syr2k_her2k_kernelIiLb0ELb0ELb0ELi32E19rocblas_complex_numIdEPKPKS1_PKPS1_EvbiT_T4_T5_S9_lSB_S9_lT6_S9_li, .Lfunc_end693-_ZL26rocblas_syr2k_her2k_kernelIiLb0ELb0ELb0ELi32E19rocblas_complex_numIdEPKPKS1_PKPS1_EvbiT_T4_T5_S9_lSB_S9_lT6_S9_li
                                        ; -- End function
	.set _ZL26rocblas_syr2k_her2k_kernelIiLb0ELb0ELb0ELi32E19rocblas_complex_numIdEPKPKS1_PKPS1_EvbiT_T4_T5_S9_lSB_S9_lT6_S9_li.num_vgpr, 34
	.set _ZL26rocblas_syr2k_her2k_kernelIiLb0ELb0ELb0ELi32E19rocblas_complex_numIdEPKPKS1_PKPS1_EvbiT_T4_T5_S9_lSB_S9_lT6_S9_li.num_agpr, 0
	.set _ZL26rocblas_syr2k_her2k_kernelIiLb0ELb0ELb0ELi32E19rocblas_complex_numIdEPKPKS1_PKPS1_EvbiT_T4_T5_S9_lSB_S9_lT6_S9_li.numbered_sgpr, 28
	.set _ZL26rocblas_syr2k_her2k_kernelIiLb0ELb0ELb0ELi32E19rocblas_complex_numIdEPKPKS1_PKPS1_EvbiT_T4_T5_S9_lSB_S9_lT6_S9_li.num_named_barrier, 0
	.set _ZL26rocblas_syr2k_her2k_kernelIiLb0ELb0ELb0ELi32E19rocblas_complex_numIdEPKPKS1_PKPS1_EvbiT_T4_T5_S9_lSB_S9_lT6_S9_li.private_seg_size, 0
	.set _ZL26rocblas_syr2k_her2k_kernelIiLb0ELb0ELb0ELi32E19rocblas_complex_numIdEPKPKS1_PKPS1_EvbiT_T4_T5_S9_lSB_S9_lT6_S9_li.uses_vcc, 1
	.set _ZL26rocblas_syr2k_her2k_kernelIiLb0ELb0ELb0ELi32E19rocblas_complex_numIdEPKPKS1_PKPS1_EvbiT_T4_T5_S9_lSB_S9_lT6_S9_li.uses_flat_scratch, 0
	.set _ZL26rocblas_syr2k_her2k_kernelIiLb0ELb0ELb0ELi32E19rocblas_complex_numIdEPKPKS1_PKPS1_EvbiT_T4_T5_S9_lSB_S9_lT6_S9_li.has_dyn_sized_stack, 0
	.set _ZL26rocblas_syr2k_her2k_kernelIiLb0ELb0ELb0ELi32E19rocblas_complex_numIdEPKPKS1_PKPS1_EvbiT_T4_T5_S9_lSB_S9_lT6_S9_li.has_recursion, 0
	.set _ZL26rocblas_syr2k_her2k_kernelIiLb0ELb0ELb0ELi32E19rocblas_complex_numIdEPKPKS1_PKPS1_EvbiT_T4_T5_S9_lSB_S9_lT6_S9_li.has_indirect_call, 0
	.section	.AMDGPU.csdata,"",@progbits
; Kernel info:
; codeLenInByte = 2928
; TotalNumSgprs: 32
; NumVgprs: 34
; ScratchSize: 0
; MemoryBound: 1
; FloatMode: 240
; IeeeMode: 1
; LDSByteSize: 32768 bytes/workgroup (compile time only)
; SGPRBlocks: 8
; VGPRBlocks: 8
; NumSGPRsForWavesPerEU: 65
; NumVGPRsForWavesPerEU: 34
; Occupancy: 7
; WaveLimiterHint : 1
; COMPUTE_PGM_RSRC2:SCRATCH_EN: 0
; COMPUTE_PGM_RSRC2:USER_SGPR: 6
; COMPUTE_PGM_RSRC2:TRAP_HANDLER: 0
; COMPUTE_PGM_RSRC2:TGID_X_EN: 1
; COMPUTE_PGM_RSRC2:TGID_Y_EN: 1
; COMPUTE_PGM_RSRC2:TGID_Z_EN: 1
; COMPUTE_PGM_RSRC2:TIDIG_COMP_CNT: 1
	.section	.text._ZL26rocblas_syr2k_her2k_kernelIiLb0ELb0ELb1ELi32E19rocblas_complex_numIdEPKPKS1_PKPS1_EvbiT_T4_T5_S9_lSB_S9_lT6_S9_li,"axG",@progbits,_ZL26rocblas_syr2k_her2k_kernelIiLb0ELb0ELb1ELi32E19rocblas_complex_numIdEPKPKS1_PKPS1_EvbiT_T4_T5_S9_lSB_S9_lT6_S9_li,comdat
	.globl	_ZL26rocblas_syr2k_her2k_kernelIiLb0ELb0ELb1ELi32E19rocblas_complex_numIdEPKPKS1_PKPS1_EvbiT_T4_T5_S9_lSB_S9_lT6_S9_li ; -- Begin function _ZL26rocblas_syr2k_her2k_kernelIiLb0ELb0ELb1ELi32E19rocblas_complex_numIdEPKPKS1_PKPS1_EvbiT_T4_T5_S9_lSB_S9_lT6_S9_li
	.p2align	8
	.type	_ZL26rocblas_syr2k_her2k_kernelIiLb0ELb0ELb1ELi32E19rocblas_complex_numIdEPKPKS1_PKPS1_EvbiT_T4_T5_S9_lSB_S9_lT6_S9_li,@function
_ZL26rocblas_syr2k_her2k_kernelIiLb0ELb0ELb1ELi32E19rocblas_complex_numIdEPKPKS1_PKPS1_EvbiT_T4_T5_S9_lSB_S9_lT6_S9_li: ; @_ZL26rocblas_syr2k_her2k_kernelIiLb0ELb0ELb1ELi32E19rocblas_complex_numIdEPKPKS1_PKPS1_EvbiT_T4_T5_S9_lSB_S9_lT6_S9_li
; %bb.0:
	s_load_dwordx4 s[12:15], s[4:5], 0x10
	s_waitcnt lgkmcnt(0)
	v_cmp_eq_f64_e64 s[0:1], s[12:13], 0
	v_cmp_eq_f64_e64 s[2:3], s[14:15], 0
	s_and_b64 s[0:1], s[0:1], s[2:3]
	s_and_b64 vcc, exec, s[0:1]
	s_cbranch_vccnz .LBB694_11
; %bb.1:
	s_load_dwordx4 s[16:19], s[4:5], 0x0
	s_lshl_b32 s0, s7, 5
	s_lshl_b32 s1, s6, 5
	s_waitcnt lgkmcnt(0)
	s_and_b32 s2, 1, s16
	s_cmp_eq_u32 s2, 1
	s_cselect_b64 vcc, -1, 0
	s_and_b64 s[2:3], vcc, exec
	s_cselect_b32 s2, s1, s0
	s_cselect_b32 s3, s0, s1
	s_cmp_gt_i32 s2, s3
	s_cbranch_scc1 .LBB694_11
; %bb.2:
	s_cmp_lt_i32 s18, 1
	s_cbranch_scc1 .LBB694_11
; %bb.3:
	s_mov_b32 s9, 0
	s_load_dwordx2 s[2:3], s[4:5], 0x20
	s_load_dword s16, s[4:5], 0x28
	s_load_dwordx4 s[20:23], s[4:5], 0x30
	s_load_dword s19, s[4:5], 0x40
	s_load_dwordx4 s[24:27], s[4:5], 0x48
	s_load_dword s28, s[4:5], 0x58
	s_load_dwordx2 s[6:7], s[4:5], 0x60
	s_lshl_b64 s[4:5], s[8:9], 3
	s_waitcnt lgkmcnt(0)
	s_add_u32 s2, s2, s4
	s_addc_u32 s3, s3, s5
	s_load_dwordx2 s[2:3], s[2:3], 0x0
	v_add_u32_e32 v2, s1, v0
	s_add_u32 s10, s22, s4
	v_add_u32_e32 v6, s0, v1
	v_mad_i64_i32 v[4:5], s[0:1], s16, v2, 0
	s_addc_u32 s11, s23, s5
	s_add_u32 s4, s26, s4
	s_addc_u32 s5, s27, s5
	s_lshl_b64 s[20:21], s[20:21], 4
	s_waitcnt lgkmcnt(0)
	s_add_u32 s8, s2, s20
	v_lshlrev_b64 v[4:5], 4, v[4:5]
	s_load_dwordx2 s[10:11], s[10:11], 0x0
	s_addc_u32 s20, s3, s21
	v_mov_b32_e32 v9, s20
	v_add_co_u32_e64 v12, s[0:1], s8, v4
	s_load_dwordx2 s[4:5], s[4:5], 0x0
	v_addc_co_u32_e64 v13, s[0:1], v9, v5, s[0:1]
	v_mad_i64_i32 v[4:5], s[0:1], s19, v6, 0
	s_lshl_b64 s[2:3], s[24:25], 4
	s_waitcnt lgkmcnt(0)
	s_add_u32 s10, s10, s2
	s_addc_u32 s11, s11, s3
	s_lshl_b64 s[2:3], s[6:7], 4
	v_lshlrev_b64 v[4:5], 4, v[4:5]
	s_add_u32 s6, s4, s2
	s_addc_u32 s7, s5, s3
	v_mov_b32_e32 v10, s11
	v_add_co_u32_e64 v16, s[2:3], s10, v4
	v_addc_co_u32_e64 v17, s[2:3], v10, v5, s[2:3]
	v_mad_i64_i32 v[4:5], s[2:3], s28, v6, 0
	v_cndmask_b32_e32 v7, v2, v6, vcc
	v_cndmask_b32_e32 v8, v6, v2, vcc
	v_cmp_gt_i32_e32 vcc, s17, v2
	v_cmp_gt_i32_e64 s[0:1], s17, v6
	v_lshlrev_b64 v[4:5], 4, v[4:5]
	v_ashrrev_i32_e32 v3, 31, v2
	v_cmp_le_i32_e64 s[2:3], v8, v7
	s_and_b64 s[4:5], s[0:1], vcc
	s_and_b64 s[4:5], s[4:5], s[2:3]
	v_mov_b32_e32 v6, s7
	v_add_co_u32_e64 v4, s[2:3], s6, v4
	v_lshlrev_b64 v[2:3], 4, v[2:3]
	v_lshlrev_b32_e32 v9, 4, v1
	v_addc_co_u32_e64 v5, s[2:3], v6, v5, s[2:3]
	v_lshlrev_b32_e32 v14, 9, v0
	v_or_b32_e32 v18, 0x4000, v9
	v_add_co_u32_e64 v8, s[2:3], v4, v2
	v_add_u32_e32 v15, v14, v9
	v_add_u32_e32 v19, v18, v14
	v_addc_co_u32_e64 v9, s[2:3], v5, v3, s[2:3]
	s_branch .LBB694_5
.LBB694_4:                              ;   in Loop: Header=BB694_5 Depth=1
	s_or_b64 exec, exec, s[2:3]
	s_add_i32 s9, s9, 32
	s_cmp_lt_i32 s9, s18
	s_waitcnt vmcnt(0) lgkmcnt(0)
	s_barrier
	s_cbranch_scc0 .LBB694_11
.LBB694_5:                              ; =>This Inner Loop Header: Depth=1
	v_add_u32_e32 v10, s9, v1
	v_cmp_gt_i32_e64 s[2:3], s18, v10
	v_mov_b32_e32 v2, 0
	v_mov_b32_e32 v4, 0
	;; [unrolled: 1-line block ×6, first 2 shown]
	s_and_b64 s[2:3], vcc, s[2:3]
	s_and_saveexec_b64 s[6:7], s[2:3]
	s_cbranch_execz .LBB694_7
; %bb.6:                                ;   in Loop: Header=BB694_5 Depth=1
	v_ashrrev_i32_e32 v11, 31, v10
	v_lshlrev_b64 v[4:5], 4, v[10:11]
	v_add_co_u32_e64 v4, s[2:3], v12, v4
	v_addc_co_u32_e64 v5, s[2:3], v13, v5, s[2:3]
	flat_load_dwordx4 v[4:7], v[4:5]
.LBB694_7:                              ;   in Loop: Header=BB694_5 Depth=1
	s_or_b64 exec, exec, s[6:7]
	s_waitcnt vmcnt(0) lgkmcnt(0)
	ds_write_b128 v15, v[4:7]
	v_add_u32_e32 v6, s9, v0
	v_cmp_gt_i32_e64 s[2:3], s18, v6
	v_mov_b32_e32 v4, 0
	v_mov_b32_e32 v5, 0
	s_and_b64 s[2:3], s[0:1], s[2:3]
	s_and_saveexec_b64 s[6:7], s[2:3]
	s_cbranch_execz .LBB694_9
; %bb.8:                                ;   in Loop: Header=BB694_5 Depth=1
	v_ashrrev_i32_e32 v7, 31, v6
	v_lshlrev_b64 v[2:3], 4, v[6:7]
	v_add_co_u32_e64 v2, s[2:3], v16, v2
	v_addc_co_u32_e64 v3, s[2:3], v17, v3, s[2:3]
	flat_load_dwordx4 v[2:5], v[2:3]
.LBB694_9:                              ;   in Loop: Header=BB694_5 Depth=1
	s_or_b64 exec, exec, s[6:7]
	s_waitcnt vmcnt(0) lgkmcnt(0)
	ds_write_b128 v19, v[2:5]
	s_waitcnt lgkmcnt(0)
	s_barrier
	s_and_saveexec_b64 s[2:3], s[4:5]
	s_cbranch_execz .LBB694_4
; %bb.10:                               ;   in Loop: Header=BB694_5 Depth=1
	ds_read_b128 v[20:23], v18
	ds_read_b128 v[24:27], v14
	ds_read_b128 v[28:31], v14 offset:16
	ds_read_b128 v[32:35], v14 offset:32
	;; [unrolled: 1-line block ×3, first 2 shown]
	s_waitcnt lgkmcnt(3)
	v_mul_f64 v[6:7], v[22:23], v[26:27]
	v_mul_f64 v[10:11], v[20:21], v[26:27]
	v_fma_f64 v[6:7], v[20:21], v[24:25], -v[6:7]
	v_fma_f64 v[10:11], v[22:23], v[24:25], v[10:11]
	ds_read_b128 v[20:23], v18 offset:512
	s_waitcnt lgkmcnt(0)
	v_mul_f64 v[24:25], v[22:23], v[30:31]
	v_add_f64 v[6:7], v[6:7], 0
	v_add_f64 v[10:11], v[10:11], 0
	v_fma_f64 v[24:25], v[20:21], v[28:29], -v[24:25]
	v_mul_f64 v[20:21], v[20:21], v[30:31]
	v_add_f64 v[6:7], v[6:7], v[24:25]
	v_fma_f64 v[20:21], v[22:23], v[28:29], v[20:21]
	v_add_f64 v[10:11], v[10:11], v[20:21]
	ds_read_b128 v[20:23], v18 offset:1024
	s_waitcnt lgkmcnt(0)
	v_mul_f64 v[24:25], v[22:23], v[34:35]
	v_fma_f64 v[24:25], v[20:21], v[32:33], -v[24:25]
	v_mul_f64 v[20:21], v[20:21], v[34:35]
	v_add_f64 v[6:7], v[6:7], v[24:25]
	v_fma_f64 v[20:21], v[22:23], v[32:33], v[20:21]
	v_add_f64 v[10:11], v[10:11], v[20:21]
	ds_read_b128 v[20:23], v18 offset:1536
	s_waitcnt lgkmcnt(0)
	v_mul_f64 v[24:25], v[22:23], v[4:5]
	v_mul_f64 v[4:5], v[20:21], v[4:5]
	v_fma_f64 v[24:25], v[20:21], v[2:3], -v[24:25]
	v_fma_f64 v[2:3], v[22:23], v[2:3], v[4:5]
	v_add_f64 v[6:7], v[6:7], v[24:25]
	v_add_f64 v[10:11], v[10:11], v[2:3]
	ds_read_b128 v[2:5], v18 offset:2048
	ds_read_b128 v[20:23], v14 offset:64
	s_waitcnt lgkmcnt(0)
	v_mul_f64 v[24:25], v[4:5], v[22:23]
	v_fma_f64 v[24:25], v[2:3], v[20:21], -v[24:25]
	v_mul_f64 v[2:3], v[2:3], v[22:23]
	v_add_f64 v[6:7], v[6:7], v[24:25]
	v_fma_f64 v[2:3], v[4:5], v[20:21], v[2:3]
	v_add_f64 v[10:11], v[10:11], v[2:3]
	ds_read_b128 v[2:5], v18 offset:2560
	ds_read_b128 v[20:23], v14 offset:80
	s_waitcnt lgkmcnt(0)
	v_mul_f64 v[24:25], v[4:5], v[22:23]
	v_fma_f64 v[24:25], v[2:3], v[20:21], -v[24:25]
	v_mul_f64 v[2:3], v[2:3], v[22:23]
	v_add_f64 v[6:7], v[6:7], v[24:25]
	v_fma_f64 v[2:3], v[4:5], v[20:21], v[2:3]
	v_add_f64 v[10:11], v[10:11], v[2:3]
	ds_read_b128 v[2:5], v18 offset:3072
	ds_read_b128 v[20:23], v14 offset:96
	s_waitcnt lgkmcnt(0)
	v_mul_f64 v[24:25], v[4:5], v[22:23]
	v_fma_f64 v[24:25], v[2:3], v[20:21], -v[24:25]
	v_mul_f64 v[2:3], v[2:3], v[22:23]
	v_add_f64 v[6:7], v[6:7], v[24:25]
	v_fma_f64 v[2:3], v[4:5], v[20:21], v[2:3]
	v_add_f64 v[10:11], v[10:11], v[2:3]
	ds_read_b128 v[2:5], v18 offset:3584
	ds_read_b128 v[20:23], v14 offset:112
	s_waitcnt lgkmcnt(0)
	v_mul_f64 v[24:25], v[4:5], v[22:23]
	v_fma_f64 v[24:25], v[2:3], v[20:21], -v[24:25]
	v_mul_f64 v[2:3], v[2:3], v[22:23]
	v_add_f64 v[6:7], v[6:7], v[24:25]
	v_fma_f64 v[2:3], v[4:5], v[20:21], v[2:3]
	v_add_f64 v[10:11], v[10:11], v[2:3]
	ds_read_b128 v[2:5], v18 offset:4096
	ds_read_b128 v[20:23], v14 offset:128
	s_waitcnt lgkmcnt(0)
	v_mul_f64 v[24:25], v[4:5], v[22:23]
	v_fma_f64 v[24:25], v[2:3], v[20:21], -v[24:25]
	v_mul_f64 v[2:3], v[2:3], v[22:23]
	v_add_f64 v[6:7], v[6:7], v[24:25]
	v_fma_f64 v[2:3], v[4:5], v[20:21], v[2:3]
	v_add_f64 v[10:11], v[10:11], v[2:3]
	ds_read_b128 v[2:5], v18 offset:4608
	ds_read_b128 v[20:23], v14 offset:144
	s_waitcnt lgkmcnt(0)
	v_mul_f64 v[24:25], v[4:5], v[22:23]
	v_fma_f64 v[24:25], v[2:3], v[20:21], -v[24:25]
	v_mul_f64 v[2:3], v[2:3], v[22:23]
	v_add_f64 v[6:7], v[6:7], v[24:25]
	v_fma_f64 v[2:3], v[4:5], v[20:21], v[2:3]
	v_add_f64 v[10:11], v[10:11], v[2:3]
	ds_read_b128 v[2:5], v18 offset:5120
	ds_read_b128 v[20:23], v14 offset:160
	s_waitcnt lgkmcnt(0)
	v_mul_f64 v[24:25], v[4:5], v[22:23]
	v_fma_f64 v[24:25], v[2:3], v[20:21], -v[24:25]
	v_mul_f64 v[2:3], v[2:3], v[22:23]
	v_add_f64 v[6:7], v[6:7], v[24:25]
	v_fma_f64 v[2:3], v[4:5], v[20:21], v[2:3]
	v_add_f64 v[10:11], v[10:11], v[2:3]
	ds_read_b128 v[2:5], v18 offset:5632
	ds_read_b128 v[20:23], v14 offset:176
	s_waitcnt lgkmcnt(0)
	v_mul_f64 v[24:25], v[4:5], v[22:23]
	v_fma_f64 v[24:25], v[2:3], v[20:21], -v[24:25]
	v_mul_f64 v[2:3], v[2:3], v[22:23]
	v_add_f64 v[6:7], v[6:7], v[24:25]
	v_fma_f64 v[2:3], v[4:5], v[20:21], v[2:3]
	v_add_f64 v[10:11], v[10:11], v[2:3]
	ds_read_b128 v[2:5], v18 offset:6144
	ds_read_b128 v[20:23], v14 offset:192
	s_waitcnt lgkmcnt(0)
	v_mul_f64 v[24:25], v[4:5], v[22:23]
	v_fma_f64 v[24:25], v[2:3], v[20:21], -v[24:25]
	v_mul_f64 v[2:3], v[2:3], v[22:23]
	v_add_f64 v[6:7], v[6:7], v[24:25]
	v_fma_f64 v[2:3], v[4:5], v[20:21], v[2:3]
	v_add_f64 v[10:11], v[10:11], v[2:3]
	ds_read_b128 v[2:5], v18 offset:6656
	ds_read_b128 v[20:23], v14 offset:208
	s_waitcnt lgkmcnt(0)
	v_mul_f64 v[24:25], v[4:5], v[22:23]
	v_fma_f64 v[24:25], v[2:3], v[20:21], -v[24:25]
	v_mul_f64 v[2:3], v[2:3], v[22:23]
	v_add_f64 v[6:7], v[6:7], v[24:25]
	v_fma_f64 v[2:3], v[4:5], v[20:21], v[2:3]
	v_add_f64 v[10:11], v[10:11], v[2:3]
	ds_read_b128 v[2:5], v18 offset:7168
	ds_read_b128 v[20:23], v14 offset:224
	s_waitcnt lgkmcnt(0)
	v_mul_f64 v[24:25], v[4:5], v[22:23]
	v_fma_f64 v[24:25], v[2:3], v[20:21], -v[24:25]
	v_mul_f64 v[2:3], v[2:3], v[22:23]
	v_add_f64 v[6:7], v[6:7], v[24:25]
	v_fma_f64 v[2:3], v[4:5], v[20:21], v[2:3]
	v_add_f64 v[10:11], v[10:11], v[2:3]
	ds_read_b128 v[2:5], v18 offset:7680
	ds_read_b128 v[20:23], v14 offset:240
	s_waitcnt lgkmcnt(0)
	v_mul_f64 v[24:25], v[4:5], v[22:23]
	v_fma_f64 v[24:25], v[2:3], v[20:21], -v[24:25]
	v_mul_f64 v[2:3], v[2:3], v[22:23]
	v_add_f64 v[6:7], v[6:7], v[24:25]
	v_fma_f64 v[2:3], v[4:5], v[20:21], v[2:3]
	v_add_f64 v[10:11], v[10:11], v[2:3]
	ds_read_b128 v[2:5], v18 offset:8192
	ds_read_b128 v[20:23], v14 offset:256
	s_waitcnt lgkmcnt(0)
	v_mul_f64 v[24:25], v[4:5], v[22:23]
	v_fma_f64 v[24:25], v[2:3], v[20:21], -v[24:25]
	v_mul_f64 v[2:3], v[2:3], v[22:23]
	v_add_f64 v[6:7], v[6:7], v[24:25]
	v_fma_f64 v[2:3], v[4:5], v[20:21], v[2:3]
	v_add_f64 v[10:11], v[10:11], v[2:3]
	ds_read_b128 v[2:5], v18 offset:8704
	ds_read_b128 v[20:23], v14 offset:272
	s_waitcnt lgkmcnt(0)
	v_mul_f64 v[24:25], v[4:5], v[22:23]
	v_fma_f64 v[24:25], v[2:3], v[20:21], -v[24:25]
	v_mul_f64 v[2:3], v[2:3], v[22:23]
	v_add_f64 v[6:7], v[6:7], v[24:25]
	v_fma_f64 v[2:3], v[4:5], v[20:21], v[2:3]
	v_add_f64 v[10:11], v[10:11], v[2:3]
	ds_read_b128 v[2:5], v18 offset:9216
	ds_read_b128 v[20:23], v14 offset:288
	s_waitcnt lgkmcnt(0)
	v_mul_f64 v[24:25], v[4:5], v[22:23]
	v_fma_f64 v[24:25], v[2:3], v[20:21], -v[24:25]
	v_mul_f64 v[2:3], v[2:3], v[22:23]
	v_add_f64 v[6:7], v[6:7], v[24:25]
	v_fma_f64 v[2:3], v[4:5], v[20:21], v[2:3]
	v_add_f64 v[10:11], v[10:11], v[2:3]
	ds_read_b128 v[2:5], v18 offset:9728
	ds_read_b128 v[20:23], v14 offset:304
	s_waitcnt lgkmcnt(0)
	v_mul_f64 v[24:25], v[4:5], v[22:23]
	v_fma_f64 v[24:25], v[2:3], v[20:21], -v[24:25]
	v_mul_f64 v[2:3], v[2:3], v[22:23]
	v_add_f64 v[6:7], v[6:7], v[24:25]
	v_fma_f64 v[2:3], v[4:5], v[20:21], v[2:3]
	v_add_f64 v[10:11], v[10:11], v[2:3]
	ds_read_b128 v[2:5], v18 offset:10240
	ds_read_b128 v[20:23], v14 offset:320
	s_waitcnt lgkmcnt(0)
	v_mul_f64 v[24:25], v[4:5], v[22:23]
	v_fma_f64 v[24:25], v[2:3], v[20:21], -v[24:25]
	v_mul_f64 v[2:3], v[2:3], v[22:23]
	v_add_f64 v[6:7], v[6:7], v[24:25]
	v_fma_f64 v[2:3], v[4:5], v[20:21], v[2:3]
	v_add_f64 v[10:11], v[10:11], v[2:3]
	ds_read_b128 v[2:5], v18 offset:10752
	ds_read_b128 v[20:23], v14 offset:336
	s_waitcnt lgkmcnt(0)
	v_mul_f64 v[24:25], v[4:5], v[22:23]
	v_fma_f64 v[24:25], v[2:3], v[20:21], -v[24:25]
	v_mul_f64 v[2:3], v[2:3], v[22:23]
	v_add_f64 v[6:7], v[6:7], v[24:25]
	v_fma_f64 v[2:3], v[4:5], v[20:21], v[2:3]
	v_add_f64 v[10:11], v[10:11], v[2:3]
	ds_read_b128 v[2:5], v18 offset:11264
	ds_read_b128 v[20:23], v14 offset:352
	s_waitcnt lgkmcnt(0)
	v_mul_f64 v[24:25], v[4:5], v[22:23]
	v_fma_f64 v[24:25], v[2:3], v[20:21], -v[24:25]
	v_mul_f64 v[2:3], v[2:3], v[22:23]
	v_add_f64 v[6:7], v[6:7], v[24:25]
	v_fma_f64 v[2:3], v[4:5], v[20:21], v[2:3]
	v_add_f64 v[10:11], v[10:11], v[2:3]
	ds_read_b128 v[2:5], v18 offset:11776
	ds_read_b128 v[20:23], v14 offset:368
	s_waitcnt lgkmcnt(0)
	v_mul_f64 v[24:25], v[4:5], v[22:23]
	v_fma_f64 v[24:25], v[2:3], v[20:21], -v[24:25]
	v_mul_f64 v[2:3], v[2:3], v[22:23]
	v_add_f64 v[6:7], v[6:7], v[24:25]
	v_fma_f64 v[2:3], v[4:5], v[20:21], v[2:3]
	v_add_f64 v[10:11], v[10:11], v[2:3]
	ds_read_b128 v[2:5], v18 offset:12288
	ds_read_b128 v[20:23], v14 offset:384
	s_waitcnt lgkmcnt(0)
	v_mul_f64 v[24:25], v[4:5], v[22:23]
	v_fma_f64 v[24:25], v[2:3], v[20:21], -v[24:25]
	v_mul_f64 v[2:3], v[2:3], v[22:23]
	v_add_f64 v[6:7], v[6:7], v[24:25]
	v_fma_f64 v[2:3], v[4:5], v[20:21], v[2:3]
	v_add_f64 v[10:11], v[10:11], v[2:3]
	ds_read_b128 v[2:5], v18 offset:12800
	ds_read_b128 v[20:23], v14 offset:400
	s_waitcnt lgkmcnt(0)
	v_mul_f64 v[24:25], v[4:5], v[22:23]
	v_fma_f64 v[24:25], v[2:3], v[20:21], -v[24:25]
	v_mul_f64 v[2:3], v[2:3], v[22:23]
	v_add_f64 v[6:7], v[6:7], v[24:25]
	v_fma_f64 v[2:3], v[4:5], v[20:21], v[2:3]
	v_add_f64 v[10:11], v[10:11], v[2:3]
	ds_read_b128 v[2:5], v18 offset:13312
	ds_read_b128 v[20:23], v14 offset:416
	s_waitcnt lgkmcnt(0)
	v_mul_f64 v[24:25], v[4:5], v[22:23]
	v_fma_f64 v[24:25], v[2:3], v[20:21], -v[24:25]
	v_mul_f64 v[2:3], v[2:3], v[22:23]
	v_add_f64 v[6:7], v[6:7], v[24:25]
	v_fma_f64 v[2:3], v[4:5], v[20:21], v[2:3]
	v_add_f64 v[10:11], v[10:11], v[2:3]
	ds_read_b128 v[2:5], v18 offset:13824
	ds_read_b128 v[20:23], v14 offset:432
	s_waitcnt lgkmcnt(0)
	v_mul_f64 v[24:25], v[4:5], v[22:23]
	v_fma_f64 v[24:25], v[2:3], v[20:21], -v[24:25]
	v_mul_f64 v[2:3], v[2:3], v[22:23]
	v_add_f64 v[6:7], v[6:7], v[24:25]
	v_fma_f64 v[2:3], v[4:5], v[20:21], v[2:3]
	v_add_f64 v[10:11], v[10:11], v[2:3]
	ds_read_b128 v[2:5], v18 offset:14336
	ds_read_b128 v[20:23], v14 offset:448
	s_waitcnt lgkmcnt(0)
	v_mul_f64 v[24:25], v[4:5], v[22:23]
	v_fma_f64 v[24:25], v[2:3], v[20:21], -v[24:25]
	v_mul_f64 v[2:3], v[2:3], v[22:23]
	v_add_f64 v[6:7], v[6:7], v[24:25]
	v_fma_f64 v[2:3], v[4:5], v[20:21], v[2:3]
	v_add_f64 v[10:11], v[10:11], v[2:3]
	ds_read_b128 v[2:5], v18 offset:14848
	ds_read_b128 v[20:23], v14 offset:464
	s_waitcnt lgkmcnt(0)
	v_mul_f64 v[24:25], v[4:5], v[22:23]
	v_fma_f64 v[24:25], v[2:3], v[20:21], -v[24:25]
	v_mul_f64 v[2:3], v[2:3], v[22:23]
	v_add_f64 v[6:7], v[6:7], v[24:25]
	v_fma_f64 v[2:3], v[4:5], v[20:21], v[2:3]
	v_add_f64 v[10:11], v[10:11], v[2:3]
	ds_read_b128 v[2:5], v18 offset:15360
	ds_read_b128 v[20:23], v14 offset:480
	s_waitcnt lgkmcnt(0)
	v_mul_f64 v[24:25], v[4:5], v[22:23]
	v_fma_f64 v[24:25], v[2:3], v[20:21], -v[24:25]
	v_mul_f64 v[2:3], v[2:3], v[22:23]
	v_add_f64 v[6:7], v[6:7], v[24:25]
	v_fma_f64 v[2:3], v[4:5], v[20:21], v[2:3]
	v_add_f64 v[10:11], v[10:11], v[2:3]
	ds_read_b128 v[2:5], v18 offset:15872
	ds_read_b128 v[20:23], v14 offset:496
	s_waitcnt lgkmcnt(0)
	v_mul_f64 v[24:25], v[4:5], v[22:23]
	v_fma_f64 v[24:25], v[2:3], v[20:21], -v[24:25]
	v_mul_f64 v[2:3], v[2:3], v[22:23]
	v_fma_f64 v[2:3], v[4:5], v[20:21], v[2:3]
	flat_load_dwordx4 v[20:23], v[8:9]
	v_add_f64 v[4:5], v[6:7], v[24:25]
	v_add_f64 v[6:7], v[10:11], v[2:3]
	v_mul_f64 v[2:3], s[14:15], v[6:7]
	v_fma_f64 v[2:3], s[12:13], v[4:5], -v[2:3]
	v_mul_f64 v[4:5], s[14:15], v[4:5]
	v_fma_f64 v[4:5], s[12:13], v[6:7], v[4:5]
	s_waitcnt vmcnt(0) lgkmcnt(0)
	v_add_f64 v[2:3], v[20:21], v[2:3]
	v_add_f64 v[4:5], v[22:23], v[4:5]
	flat_store_dwordx4 v[8:9], v[2:5]
	s_branch .LBB694_4
.LBB694_11:
	s_endpgm
	.section	.rodata,"a",@progbits
	.p2align	6, 0x0
	.amdhsa_kernel _ZL26rocblas_syr2k_her2k_kernelIiLb0ELb0ELb1ELi32E19rocblas_complex_numIdEPKPKS1_PKPS1_EvbiT_T4_T5_S9_lSB_S9_lT6_S9_li
		.amdhsa_group_segment_fixed_size 32768
		.amdhsa_private_segment_fixed_size 0
		.amdhsa_kernarg_size 108
		.amdhsa_user_sgpr_count 6
		.amdhsa_user_sgpr_private_segment_buffer 1
		.amdhsa_user_sgpr_dispatch_ptr 0
		.amdhsa_user_sgpr_queue_ptr 0
		.amdhsa_user_sgpr_kernarg_segment_ptr 1
		.amdhsa_user_sgpr_dispatch_id 0
		.amdhsa_user_sgpr_flat_scratch_init 0
		.amdhsa_user_sgpr_private_segment_size 0
		.amdhsa_uses_dynamic_stack 0
		.amdhsa_system_sgpr_private_segment_wavefront_offset 0
		.amdhsa_system_sgpr_workgroup_id_x 1
		.amdhsa_system_sgpr_workgroup_id_y 1
		.amdhsa_system_sgpr_workgroup_id_z 1
		.amdhsa_system_sgpr_workgroup_info 0
		.amdhsa_system_vgpr_workitem_id 1
		.amdhsa_next_free_vgpr 36
		.amdhsa_next_free_sgpr 61
		.amdhsa_reserve_vcc 1
		.amdhsa_reserve_flat_scratch 0
		.amdhsa_float_round_mode_32 0
		.amdhsa_float_round_mode_16_64 0
		.amdhsa_float_denorm_mode_32 3
		.amdhsa_float_denorm_mode_16_64 3
		.amdhsa_dx10_clamp 1
		.amdhsa_ieee_mode 1
		.amdhsa_fp16_overflow 0
		.amdhsa_exception_fp_ieee_invalid_op 0
		.amdhsa_exception_fp_denorm_src 0
		.amdhsa_exception_fp_ieee_div_zero 0
		.amdhsa_exception_fp_ieee_overflow 0
		.amdhsa_exception_fp_ieee_underflow 0
		.amdhsa_exception_fp_ieee_inexact 0
		.amdhsa_exception_int_div_zero 0
	.end_amdhsa_kernel
	.section	.text._ZL26rocblas_syr2k_her2k_kernelIiLb0ELb0ELb1ELi32E19rocblas_complex_numIdEPKPKS1_PKPS1_EvbiT_T4_T5_S9_lSB_S9_lT6_S9_li,"axG",@progbits,_ZL26rocblas_syr2k_her2k_kernelIiLb0ELb0ELb1ELi32E19rocblas_complex_numIdEPKPKS1_PKPS1_EvbiT_T4_T5_S9_lSB_S9_lT6_S9_li,comdat
.Lfunc_end694:
	.size	_ZL26rocblas_syr2k_her2k_kernelIiLb0ELb0ELb1ELi32E19rocblas_complex_numIdEPKPKS1_PKPS1_EvbiT_T4_T5_S9_lSB_S9_lT6_S9_li, .Lfunc_end694-_ZL26rocblas_syr2k_her2k_kernelIiLb0ELb0ELb1ELi32E19rocblas_complex_numIdEPKPKS1_PKPS1_EvbiT_T4_T5_S9_lSB_S9_lT6_S9_li
                                        ; -- End function
	.set _ZL26rocblas_syr2k_her2k_kernelIiLb0ELb0ELb1ELi32E19rocblas_complex_numIdEPKPKS1_PKPS1_EvbiT_T4_T5_S9_lSB_S9_lT6_S9_li.num_vgpr, 36
	.set _ZL26rocblas_syr2k_her2k_kernelIiLb0ELb0ELb1ELi32E19rocblas_complex_numIdEPKPKS1_PKPS1_EvbiT_T4_T5_S9_lSB_S9_lT6_S9_li.num_agpr, 0
	.set _ZL26rocblas_syr2k_her2k_kernelIiLb0ELb0ELb1ELi32E19rocblas_complex_numIdEPKPKS1_PKPS1_EvbiT_T4_T5_S9_lSB_S9_lT6_S9_li.numbered_sgpr, 29
	.set _ZL26rocblas_syr2k_her2k_kernelIiLb0ELb0ELb1ELi32E19rocblas_complex_numIdEPKPKS1_PKPS1_EvbiT_T4_T5_S9_lSB_S9_lT6_S9_li.num_named_barrier, 0
	.set _ZL26rocblas_syr2k_her2k_kernelIiLb0ELb0ELb1ELi32E19rocblas_complex_numIdEPKPKS1_PKPS1_EvbiT_T4_T5_S9_lSB_S9_lT6_S9_li.private_seg_size, 0
	.set _ZL26rocblas_syr2k_her2k_kernelIiLb0ELb0ELb1ELi32E19rocblas_complex_numIdEPKPKS1_PKPS1_EvbiT_T4_T5_S9_lSB_S9_lT6_S9_li.uses_vcc, 1
	.set _ZL26rocblas_syr2k_her2k_kernelIiLb0ELb0ELb1ELi32E19rocblas_complex_numIdEPKPKS1_PKPS1_EvbiT_T4_T5_S9_lSB_S9_lT6_S9_li.uses_flat_scratch, 0
	.set _ZL26rocblas_syr2k_her2k_kernelIiLb0ELb0ELb1ELi32E19rocblas_complex_numIdEPKPKS1_PKPS1_EvbiT_T4_T5_S9_lSB_S9_lT6_S9_li.has_dyn_sized_stack, 0
	.set _ZL26rocblas_syr2k_her2k_kernelIiLb0ELb0ELb1ELi32E19rocblas_complex_numIdEPKPKS1_PKPS1_EvbiT_T4_T5_S9_lSB_S9_lT6_S9_li.has_recursion, 0
	.set _ZL26rocblas_syr2k_her2k_kernelIiLb0ELb0ELb1ELi32E19rocblas_complex_numIdEPKPKS1_PKPS1_EvbiT_T4_T5_S9_lSB_S9_lT6_S9_li.has_indirect_call, 0
	.section	.AMDGPU.csdata,"",@progbits
; Kernel info:
; codeLenInByte = 2944
; TotalNumSgprs: 33
; NumVgprs: 36
; ScratchSize: 0
; MemoryBound: 1
; FloatMode: 240
; IeeeMode: 1
; LDSByteSize: 32768 bytes/workgroup (compile time only)
; SGPRBlocks: 8
; VGPRBlocks: 8
; NumSGPRsForWavesPerEU: 65
; NumVGPRsForWavesPerEU: 36
; Occupancy: 7
; WaveLimiterHint : 1
; COMPUTE_PGM_RSRC2:SCRATCH_EN: 0
; COMPUTE_PGM_RSRC2:USER_SGPR: 6
; COMPUTE_PGM_RSRC2:TRAP_HANDLER: 0
; COMPUTE_PGM_RSRC2:TGID_X_EN: 1
; COMPUTE_PGM_RSRC2:TGID_Y_EN: 1
; COMPUTE_PGM_RSRC2:TGID_Z_EN: 1
; COMPUTE_PGM_RSRC2:TIDIG_COMP_CNT: 1
	.section	.text._ZL37rocblas_syrkx_herkx_restricted_kernelIi19rocblas_complex_numIdELi16ELi32ELi8ELi1ELi1ELb0ELc84ELc76EKPKS1_KPS1_EviT_PT9_S7_lS9_S7_lPT10_S7_li,"axG",@progbits,_ZL37rocblas_syrkx_herkx_restricted_kernelIi19rocblas_complex_numIdELi16ELi32ELi8ELi1ELi1ELb0ELc84ELc76EKPKS1_KPS1_EviT_PT9_S7_lS9_S7_lPT10_S7_li,comdat
	.globl	_ZL37rocblas_syrkx_herkx_restricted_kernelIi19rocblas_complex_numIdELi16ELi32ELi8ELi1ELi1ELb0ELc84ELc76EKPKS1_KPS1_EviT_PT9_S7_lS9_S7_lPT10_S7_li ; -- Begin function _ZL37rocblas_syrkx_herkx_restricted_kernelIi19rocblas_complex_numIdELi16ELi32ELi8ELi1ELi1ELb0ELc84ELc76EKPKS1_KPS1_EviT_PT9_S7_lS9_S7_lPT10_S7_li
	.p2align	8
	.type	_ZL37rocblas_syrkx_herkx_restricted_kernelIi19rocblas_complex_numIdELi16ELi32ELi8ELi1ELi1ELb0ELc84ELc76EKPKS1_KPS1_EviT_PT9_S7_lS9_S7_lPT10_S7_li,@function
_ZL37rocblas_syrkx_herkx_restricted_kernelIi19rocblas_complex_numIdELi16ELi32ELi8ELi1ELi1ELb0ELc84ELc76EKPKS1_KPS1_EviT_PT9_S7_lS9_S7_lPT10_S7_li: ; @_ZL37rocblas_syrkx_herkx_restricted_kernelIi19rocblas_complex_numIdELi16ELi32ELi8ELi1ELi1ELb0ELc84ELc76EKPKS1_KPS1_EviT_PT9_S7_lS9_S7_lPT10_S7_li
; %bb.0:
	s_load_dwordx2 s[2:3], s[4:5], 0x38
	s_load_dwordx2 s[12:13], s[4:5], 0x0
	s_mov_b32 s9, 0
	s_lshl_b64 s[0:1], s[8:9], 3
	s_waitcnt lgkmcnt(0)
	s_add_u32 s2, s2, s0
	s_addc_u32 s3, s3, s1
	s_load_dwordx2 s[10:11], s[2:3], 0x0
	s_lshl_b32 s2, s6, 5
	s_lshl_b32 s3, s7, 5
	s_cmp_lt_i32 s13, 1
	s_cbranch_scc1 .LBB695_3
; %bb.1:
	s_load_dwordx2 s[6:7], s[4:5], 0x8
	s_load_dword s8, s[4:5], 0x10
	s_load_dwordx2 s[14:15], s[4:5], 0x20
	s_load_dword s16, s[4:5], 0x28
	v_lshl_add_u32 v6, v1, 4, v0
	s_waitcnt lgkmcnt(0)
	s_add_u32 s6, s6, s0
	s_addc_u32 s7, s7, s1
	v_lshrrev_b32_e32 v8, 3, v6
	s_add_u32 s0, s14, s0
	v_add_u32_e32 v4, s3, v8
	v_and_b32_e32 v2, 7, v0
	v_mov_b32_e32 v3, 0
	s_addc_u32 s1, s15, s1
	v_mad_i64_i32 v[4:5], s[14:15], s16, v4, v[2:3]
	v_and_b32_e32 v9, 31, v6
	v_lshlrev_b32_e32 v2, 4, v2
	v_lshrrev_b32_e32 v6, 5, v6
	v_mov_b32_e32 v7, v3
	v_lshlrev_b32_e32 v3, 4, v9
	v_lshl_or_b32 v8, v8, 7, v2
	v_add_u32_e32 v2, s2, v9
	v_lshl_or_b32 v22, v6, 9, v3
	v_mad_i64_i32 v[2:3], s[14:15], s8, v2, v[6:7]
	s_load_dwordx2 s[6:7], s[6:7], 0x0
	v_lshlrev_b64 v[4:5], 4, v[4:5]
	s_load_dwordx2 s[0:1], s[0:1], 0x0
	v_lshlrev_b64 v[2:3], 4, v[2:3]
	v_add_u32_e32 v23, 0x1000, v8
	s_waitcnt lgkmcnt(0)
	v_mov_b32_e32 v6, s7
	v_add_co_u32_e32 v2, vcc, s6, v2
	v_addc_co_u32_e32 v3, vcc, v6, v3, vcc
	v_mov_b32_e32 v6, s1
	v_add_co_u32_e32 v4, vcc, s0, v4
	v_mov_b32_e32 v25, 0x1000
	v_addc_co_u32_e32 v5, vcc, v6, v5, vcc
	v_mov_b32_e32 v10, 0
	v_mov_b32_e32 v12, 0
	;; [unrolled: 1-line block ×8, first 2 shown]
	v_lshlrev_b32_e32 v24, 4, v0
	v_mov_b32_e32 v11, 0
	v_mov_b32_e32 v13, 0
	;; [unrolled: 1-line block ×8, first 2 shown]
	v_lshl_add_u32 v25, v1, 7, v25
.LBB695_2:                              ; =>This Inner Loop Header: Depth=1
	flat_load_dwordx4 v[26:29], v[2:3]
	v_add_co_u32_e32 v2, vcc, 0x80, v2
	v_addc_co_u32_e32 v3, vcc, 0, v3, vcc
	s_add_i32 s9, s9, 8
	s_cmp_ge_i32 s9, s13
	s_waitcnt vmcnt(0) lgkmcnt(0)
	ds_write_b128 v22, v[26:29]
	flat_load_dwordx4 v[26:29], v[4:5]
	v_add_co_u32_e32 v4, vcc, 0x80, v4
	v_addc_co_u32_e32 v5, vcc, 0, v5, vcc
	s_waitcnt vmcnt(0) lgkmcnt(0)
	ds_write_b128 v23, v[26:29]
	s_waitcnt lgkmcnt(0)
	s_barrier
	ds_read_b128 v[26:29], v25
	ds_read_b128 v[30:33], v25 offset:16
	ds_read_b128 v[34:37], v25 offset:32
	;; [unrolled: 1-line block ×3, first 2 shown]
	ds_read_b128 v[42:45], v24
	s_waitcnt lgkmcnt(0)
	v_mul_f64 v[46:47], v[28:29], v[44:45]
	v_mul_f64 v[48:49], v[26:27], v[44:45]
	v_fma_f64 v[46:47], v[26:27], v[42:43], -v[46:47]
	v_fma_f64 v[48:49], v[28:29], v[42:43], v[48:49]
	v_add_f64 v[46:47], v[14:15], v[46:47]
	v_add_f64 v[48:49], v[48:49], v[16:17]
	ds_read_b128 v[14:17], v24 offset:256
	s_waitcnt lgkmcnt(0)
	v_mul_f64 v[50:51], v[28:29], v[16:17]
	v_fma_f64 v[50:51], v[26:27], v[14:15], -v[50:51]
	v_mul_f64 v[26:27], v[26:27], v[16:17]
	v_fma_f64 v[26:27], v[28:29], v[14:15], v[26:27]
	v_add_f64 v[28:29], v[8:9], v[50:51]
	v_add_f64 v[26:27], v[26:27], v[6:7]
	ds_read_b128 v[6:9], v25 offset:2048
	s_waitcnt lgkmcnt(0)
	v_mul_f64 v[50:51], v[8:9], v[44:45]
	v_mul_f64 v[44:45], v[6:7], v[44:45]
	v_fma_f64 v[50:51], v[6:7], v[42:43], -v[50:51]
	v_fma_f64 v[42:43], v[8:9], v[42:43], v[44:45]
	v_add_f64 v[20:21], v[20:21], v[50:51]
	v_add_f64 v[18:19], v[42:43], v[18:19]
	v_mul_f64 v[42:43], v[8:9], v[16:17]
	v_fma_f64 v[42:43], v[6:7], v[14:15], -v[42:43]
	v_mul_f64 v[6:7], v[6:7], v[16:17]
	v_add_f64 v[42:43], v[12:13], v[42:43]
	v_fma_f64 v[6:7], v[8:9], v[14:15], v[6:7]
	v_add_f64 v[44:45], v[6:7], v[10:11]
	ds_read_b128 v[6:9], v24 offset:512
	s_waitcnt lgkmcnt(0)
	v_mul_f64 v[10:11], v[32:33], v[8:9]
	v_mul_f64 v[12:13], v[30:31], v[8:9]
	v_fma_f64 v[10:11], v[30:31], v[6:7], -v[10:11]
	v_fma_f64 v[12:13], v[32:33], v[6:7], v[12:13]
	v_add_f64 v[46:47], v[46:47], v[10:11]
	v_add_f64 v[48:49], v[12:13], v[48:49]
	ds_read_b128 v[10:13], v24 offset:768
	s_waitcnt lgkmcnt(0)
	v_mul_f64 v[14:15], v[32:33], v[12:13]
	v_mul_f64 v[16:17], v[30:31], v[12:13]
	v_fma_f64 v[14:15], v[30:31], v[10:11], -v[14:15]
	v_fma_f64 v[16:17], v[32:33], v[10:11], v[16:17]
	v_add_f64 v[28:29], v[28:29], v[14:15]
	v_add_f64 v[26:27], v[16:17], v[26:27]
	ds_read_b128 v[14:17], v25 offset:2064
	s_waitcnt lgkmcnt(0)
	v_mul_f64 v[30:31], v[16:17], v[8:9]
	v_mul_f64 v[8:9], v[14:15], v[8:9]
	v_fma_f64 v[30:31], v[14:15], v[6:7], -v[30:31]
	v_fma_f64 v[6:7], v[16:17], v[6:7], v[8:9]
	v_mul_f64 v[8:9], v[14:15], v[12:13]
	v_add_f64 v[20:21], v[20:21], v[30:31]
	v_add_f64 v[18:19], v[6:7], v[18:19]
	v_mul_f64 v[6:7], v[16:17], v[12:13]
	v_fma_f64 v[8:9], v[16:17], v[10:11], v[8:9]
	v_fma_f64 v[6:7], v[14:15], v[10:11], -v[6:7]
	v_add_f64 v[32:33], v[8:9], v[44:45]
	v_add_f64 v[30:31], v[42:43], v[6:7]
	ds_read_b128 v[6:9], v24 offset:1024
	s_waitcnt lgkmcnt(0)
	v_mul_f64 v[10:11], v[36:37], v[8:9]
	v_mul_f64 v[12:13], v[34:35], v[8:9]
	v_fma_f64 v[10:11], v[34:35], v[6:7], -v[10:11]
	v_fma_f64 v[12:13], v[36:37], v[6:7], v[12:13]
	v_add_f64 v[42:43], v[46:47], v[10:11]
	v_add_f64 v[44:45], v[12:13], v[48:49]
	ds_read_b128 v[10:13], v24 offset:1280
	s_waitcnt lgkmcnt(0)
	v_mul_f64 v[14:15], v[36:37], v[12:13]
	v_mul_f64 v[16:17], v[34:35], v[12:13]
	v_fma_f64 v[14:15], v[34:35], v[10:11], -v[14:15]
	v_fma_f64 v[16:17], v[36:37], v[10:11], v[16:17]
	v_add_f64 v[28:29], v[28:29], v[14:15]
	v_add_f64 v[26:27], v[16:17], v[26:27]
	ds_read_b128 v[14:17], v25 offset:2080
	s_waitcnt lgkmcnt(0)
	v_mul_f64 v[34:35], v[16:17], v[8:9]
	v_mul_f64 v[8:9], v[14:15], v[8:9]
	v_fma_f64 v[34:35], v[14:15], v[6:7], -v[34:35]
	v_fma_f64 v[6:7], v[16:17], v[6:7], v[8:9]
	v_mul_f64 v[8:9], v[14:15], v[12:13]
	v_add_f64 v[20:21], v[20:21], v[34:35]
	v_add_f64 v[18:19], v[6:7], v[18:19]
	v_mul_f64 v[6:7], v[16:17], v[12:13]
	v_fma_f64 v[8:9], v[16:17], v[10:11], v[8:9]
	v_fma_f64 v[6:7], v[14:15], v[10:11], -v[6:7]
	v_add_f64 v[32:33], v[8:9], v[32:33]
	;; [unrolled: 30-line block ×3, first 2 shown]
	v_add_f64 v[30:31], v[30:31], v[6:7]
	ds_read_b128 v[6:9], v25 offset:64
	ds_read_b128 v[10:13], v24 offset:2048
	s_waitcnt lgkmcnt(0)
	v_mul_f64 v[14:15], v[8:9], v[12:13]
	v_mul_f64 v[16:17], v[6:7], v[12:13]
	v_fma_f64 v[14:15], v[6:7], v[10:11], -v[14:15]
	v_fma_f64 v[16:17], v[8:9], v[10:11], v[16:17]
	v_add_f64 v[34:35], v[34:35], v[14:15]
	v_add_f64 v[36:37], v[16:17], v[36:37]
	ds_read_b128 v[14:17], v24 offset:2304
	s_waitcnt lgkmcnt(0)
	v_mul_f64 v[38:39], v[8:9], v[16:17]
	v_fma_f64 v[38:39], v[6:7], v[14:15], -v[38:39]
	v_mul_f64 v[6:7], v[6:7], v[16:17]
	v_add_f64 v[28:29], v[28:29], v[38:39]
	v_fma_f64 v[6:7], v[8:9], v[14:15], v[6:7]
	v_add_f64 v[26:27], v[6:7], v[26:27]
	ds_read_b128 v[6:9], v25 offset:2112
	s_waitcnt lgkmcnt(0)
	v_mul_f64 v[38:39], v[8:9], v[12:13]
	v_mul_f64 v[12:13], v[6:7], v[12:13]
	v_fma_f64 v[38:39], v[6:7], v[10:11], -v[38:39]
	v_fma_f64 v[10:11], v[8:9], v[10:11], v[12:13]
	v_add_f64 v[20:21], v[20:21], v[38:39]
	v_add_f64 v[18:19], v[10:11], v[18:19]
	v_mul_f64 v[10:11], v[8:9], v[16:17]
	v_fma_f64 v[10:11], v[6:7], v[14:15], -v[10:11]
	v_mul_f64 v[6:7], v[6:7], v[16:17]
	v_add_f64 v[30:31], v[30:31], v[10:11]
	v_fma_f64 v[6:7], v[8:9], v[14:15], v[6:7]
	v_add_f64 v[32:33], v[6:7], v[32:33]
	ds_read_b128 v[6:9], v25 offset:80
	ds_read_b128 v[10:13], v24 offset:2560
	s_waitcnt lgkmcnt(0)
	v_mul_f64 v[14:15], v[8:9], v[12:13]
	v_mul_f64 v[16:17], v[6:7], v[12:13]
	v_fma_f64 v[14:15], v[6:7], v[10:11], -v[14:15]
	v_fma_f64 v[16:17], v[8:9], v[10:11], v[16:17]
	v_add_f64 v[34:35], v[34:35], v[14:15]
	v_add_f64 v[36:37], v[16:17], v[36:37]
	ds_read_b128 v[14:17], v24 offset:2816
	s_waitcnt lgkmcnt(0)
	v_mul_f64 v[38:39], v[8:9], v[16:17]
	v_fma_f64 v[38:39], v[6:7], v[14:15], -v[38:39]
	v_mul_f64 v[6:7], v[6:7], v[16:17]
	v_add_f64 v[28:29], v[28:29], v[38:39]
	v_fma_f64 v[6:7], v[8:9], v[14:15], v[6:7]
	v_add_f64 v[26:27], v[6:7], v[26:27]
	ds_read_b128 v[6:9], v25 offset:2128
	s_waitcnt lgkmcnt(0)
	v_mul_f64 v[38:39], v[8:9], v[12:13]
	v_mul_f64 v[12:13], v[6:7], v[12:13]
	v_fma_f64 v[38:39], v[6:7], v[10:11], -v[38:39]
	v_fma_f64 v[10:11], v[8:9], v[10:11], v[12:13]
	v_add_f64 v[20:21], v[20:21], v[38:39]
	v_add_f64 v[18:19], v[10:11], v[18:19]
	v_mul_f64 v[10:11], v[8:9], v[16:17]
	v_fma_f64 v[10:11], v[6:7], v[14:15], -v[10:11]
	v_mul_f64 v[6:7], v[6:7], v[16:17]
	v_add_f64 v[30:31], v[30:31], v[10:11]
	v_fma_f64 v[6:7], v[8:9], v[14:15], v[6:7]
	;; [unrolled: 31-line block ×3, first 2 shown]
	v_add_f64 v[44:45], v[6:7], v[32:33]
	ds_read_b128 v[6:9], v25 offset:112
	ds_read_b128 v[10:13], v24 offset:3584
	;; [unrolled: 1-line block ×3, first 2 shown]
	s_waitcnt lgkmcnt(1)
	v_mul_f64 v[14:15], v[8:9], v[12:13]
	s_waitcnt lgkmcnt(0)
	v_mul_f64 v[30:31], v[8:9], v[28:29]
	v_mul_f64 v[16:17], v[6:7], v[12:13]
	v_fma_f64 v[14:15], v[6:7], v[10:11], -v[14:15]
	v_fma_f64 v[30:31], v[6:7], v[26:27], -v[30:31]
	v_mul_f64 v[6:7], v[6:7], v[28:29]
	v_fma_f64 v[16:17], v[8:9], v[10:11], v[16:17]
	v_add_f64 v[14:15], v[34:35], v[14:15]
	v_fma_f64 v[6:7], v[8:9], v[26:27], v[6:7]
	v_add_f64 v[8:9], v[38:39], v[30:31]
	ds_read_b128 v[30:33], v25 offset:2160
	v_add_f64 v[16:17], v[16:17], v[36:37]
	s_waitcnt lgkmcnt(0)
	s_barrier
	v_mul_f64 v[34:35], v[32:33], v[12:13]
	v_mul_f64 v[12:13], v[30:31], v[12:13]
	v_add_f64 v[6:7], v[6:7], v[40:41]
	v_fma_f64 v[34:35], v[30:31], v[10:11], -v[34:35]
	v_fma_f64 v[10:11], v[32:33], v[10:11], v[12:13]
	v_mul_f64 v[12:13], v[30:31], v[28:29]
	v_add_f64 v[20:21], v[20:21], v[34:35]
	v_add_f64 v[18:19], v[10:11], v[18:19]
	v_mul_f64 v[10:11], v[32:33], v[28:29]
	v_fma_f64 v[10:11], v[30:31], v[26:27], -v[10:11]
	v_fma_f64 v[26:27], v[32:33], v[26:27], v[12:13]
	v_add_f64 v[12:13], v[42:43], v[10:11]
	v_add_f64 v[10:11], v[26:27], v[44:45]
	s_cbranch_scc0 .LBB695_2
	s_branch .LBB695_4
.LBB695_3:
	v_mov_b32_e32 v14, 0
	v_mov_b32_e32 v16, 0
	;; [unrolled: 1-line block ×16, first 2 shown]
.LBB695_4:
	s_load_dword s6, s[4:5], 0x40
	v_add_u32_e32 v4, s3, v1
	s_waitcnt lgkmcnt(0)
	v_mov_b32_e32 v3, s11
	v_add_u32_e32 v0, s2, v0
	v_mad_i64_i32 v[1:2], s[0:1], v4, s6, 0
	v_cmp_le_i32_e64 s[0:1], v4, v0
	v_lshlrev_b64 v[1:2], 4, v[1:2]
	v_add_co_u32_e32 v5, vcc, s10, v1
	v_addc_co_u32_e32 v22, vcc, v3, v2, vcc
	v_cmp_gt_i32_e32 vcc, s12, v0
	s_and_b64 s[0:1], s[0:1], vcc
	s_and_saveexec_b64 s[2:3], s[0:1]
	s_cbranch_execz .LBB695_6
; %bb.5:
	v_ashrrev_i32_e32 v1, 31, v0
	v_lshlrev_b64 v[1:2], 4, v[0:1]
	v_add_co_u32_e64 v1, s[0:1], v5, v1
	v_addc_co_u32_e64 v2, s[0:1], v22, v2, s[0:1]
	flat_load_dwordx4 v[23:26], v[1:2]
	s_waitcnt vmcnt(0) lgkmcnt(0)
	v_add_f64 v[14:15], v[14:15], v[23:24]
	v_add_f64 v[16:17], v[16:17], v[25:26]
	flat_store_dwordx4 v[1:2], v[14:17]
.LBB695_6:
	s_or_b64 exec, exec, s[2:3]
	v_add_u32_e32 v2, 16, v0
	v_cmp_le_i32_e64 s[2:3], v4, v2
	v_cmp_gt_i32_e64 s[0:1], s12, v2
	s_and_b64 s[2:3], s[2:3], s[0:1]
	s_and_saveexec_b64 s[4:5], s[2:3]
	s_cbranch_execz .LBB695_8
; %bb.7:
	v_ashrrev_i32_e32 v3, 31, v2
	v_lshlrev_b64 v[14:15], 4, v[2:3]
	v_add_co_u32_e64 v23, s[2:3], v5, v14
	v_addc_co_u32_e64 v24, s[2:3], v22, v15, s[2:3]
	flat_load_dwordx4 v[14:17], v[23:24]
	s_waitcnt vmcnt(0) lgkmcnt(0)
	v_add_f64 v[14:15], v[8:9], v[14:15]
	v_add_f64 v[16:17], v[6:7], v[16:17]
	flat_store_dwordx4 v[23:24], v[14:17]
.LBB695_8:
	s_or_b64 exec, exec, s[4:5]
	v_add_u32_e32 v3, 16, v4
	v_mad_i64_i32 v[4:5], s[2:3], v3, s6, 0
	v_mov_b32_e32 v1, s11
	v_lshlrev_b64 v[4:5], 4, v[4:5]
	v_add_co_u32_e64 v4, s[2:3], s10, v4
	v_addc_co_u32_e64 v5, s[2:3], v1, v5, s[2:3]
	v_cmp_le_i32_e64 s[2:3], v3, v0
	s_and_b64 s[4:5], s[2:3], vcc
	s_and_saveexec_b64 s[2:3], s[4:5]
	s_cbranch_execz .LBB695_10
; %bb.9:
	v_ashrrev_i32_e32 v1, 31, v0
	v_lshlrev_b64 v[0:1], 4, v[0:1]
	v_add_co_u32_e32 v0, vcc, v4, v0
	v_addc_co_u32_e32 v1, vcc, v5, v1, vcc
	flat_load_dwordx4 v[6:9], v[0:1]
	s_waitcnt vmcnt(0) lgkmcnt(0)
	v_add_f64 v[6:7], v[20:21], v[6:7]
	v_add_f64 v[8:9], v[18:19], v[8:9]
	flat_store_dwordx4 v[0:1], v[6:9]
.LBB695_10:
	s_or_b64 exec, exec, s[2:3]
	v_cmp_le_i32_e32 vcc, v3, v2
	s_and_b64 s[0:1], vcc, s[0:1]
	s_and_saveexec_b64 s[2:3], s[0:1]
	s_cbranch_execz .LBB695_12
; %bb.11:
	v_ashrrev_i32_e32 v3, 31, v2
	v_lshlrev_b64 v[0:1], 4, v[2:3]
	v_add_co_u32_e32 v4, vcc, v4, v0
	v_addc_co_u32_e32 v5, vcc, v5, v1, vcc
	flat_load_dwordx4 v[0:3], v[4:5]
	s_waitcnt vmcnt(0) lgkmcnt(0)
	v_add_f64 v[0:1], v[12:13], v[0:1]
	v_add_f64 v[2:3], v[10:11], v[2:3]
	flat_store_dwordx4 v[4:5], v[0:3]
.LBB695_12:
	s_endpgm
	.section	.rodata,"a",@progbits
	.p2align	6, 0x0
	.amdhsa_kernel _ZL37rocblas_syrkx_herkx_restricted_kernelIi19rocblas_complex_numIdELi16ELi32ELi8ELi1ELi1ELb0ELc84ELc76EKPKS1_KPS1_EviT_PT9_S7_lS9_S7_lPT10_S7_li
		.amdhsa_group_segment_fixed_size 8192
		.amdhsa_private_segment_fixed_size 0
		.amdhsa_kernarg_size 84
		.amdhsa_user_sgpr_count 6
		.amdhsa_user_sgpr_private_segment_buffer 1
		.amdhsa_user_sgpr_dispatch_ptr 0
		.amdhsa_user_sgpr_queue_ptr 0
		.amdhsa_user_sgpr_kernarg_segment_ptr 1
		.amdhsa_user_sgpr_dispatch_id 0
		.amdhsa_user_sgpr_flat_scratch_init 0
		.amdhsa_user_sgpr_private_segment_size 0
		.amdhsa_uses_dynamic_stack 0
		.amdhsa_system_sgpr_private_segment_wavefront_offset 0
		.amdhsa_system_sgpr_workgroup_id_x 1
		.amdhsa_system_sgpr_workgroup_id_y 1
		.amdhsa_system_sgpr_workgroup_id_z 1
		.amdhsa_system_sgpr_workgroup_info 0
		.amdhsa_system_vgpr_workitem_id 1
		.amdhsa_next_free_vgpr 52
		.amdhsa_next_free_sgpr 61
		.amdhsa_reserve_vcc 1
		.amdhsa_reserve_flat_scratch 0
		.amdhsa_float_round_mode_32 0
		.amdhsa_float_round_mode_16_64 0
		.amdhsa_float_denorm_mode_32 3
		.amdhsa_float_denorm_mode_16_64 3
		.amdhsa_dx10_clamp 1
		.amdhsa_ieee_mode 1
		.amdhsa_fp16_overflow 0
		.amdhsa_exception_fp_ieee_invalid_op 0
		.amdhsa_exception_fp_denorm_src 0
		.amdhsa_exception_fp_ieee_div_zero 0
		.amdhsa_exception_fp_ieee_overflow 0
		.amdhsa_exception_fp_ieee_underflow 0
		.amdhsa_exception_fp_ieee_inexact 0
		.amdhsa_exception_int_div_zero 0
	.end_amdhsa_kernel
	.section	.text._ZL37rocblas_syrkx_herkx_restricted_kernelIi19rocblas_complex_numIdELi16ELi32ELi8ELi1ELi1ELb0ELc84ELc76EKPKS1_KPS1_EviT_PT9_S7_lS9_S7_lPT10_S7_li,"axG",@progbits,_ZL37rocblas_syrkx_herkx_restricted_kernelIi19rocblas_complex_numIdELi16ELi32ELi8ELi1ELi1ELb0ELc84ELc76EKPKS1_KPS1_EviT_PT9_S7_lS9_S7_lPT10_S7_li,comdat
.Lfunc_end695:
	.size	_ZL37rocblas_syrkx_herkx_restricted_kernelIi19rocblas_complex_numIdELi16ELi32ELi8ELi1ELi1ELb0ELc84ELc76EKPKS1_KPS1_EviT_PT9_S7_lS9_S7_lPT10_S7_li, .Lfunc_end695-_ZL37rocblas_syrkx_herkx_restricted_kernelIi19rocblas_complex_numIdELi16ELi32ELi8ELi1ELi1ELb0ELc84ELc76EKPKS1_KPS1_EviT_PT9_S7_lS9_S7_lPT10_S7_li
                                        ; -- End function
	.set _ZL37rocblas_syrkx_herkx_restricted_kernelIi19rocblas_complex_numIdELi16ELi32ELi8ELi1ELi1ELb0ELc84ELc76EKPKS1_KPS1_EviT_PT9_S7_lS9_S7_lPT10_S7_li.num_vgpr, 52
	.set _ZL37rocblas_syrkx_herkx_restricted_kernelIi19rocblas_complex_numIdELi16ELi32ELi8ELi1ELi1ELb0ELc84ELc76EKPKS1_KPS1_EviT_PT9_S7_lS9_S7_lPT10_S7_li.num_agpr, 0
	.set _ZL37rocblas_syrkx_herkx_restricted_kernelIi19rocblas_complex_numIdELi16ELi32ELi8ELi1ELi1ELb0ELc84ELc76EKPKS1_KPS1_EviT_PT9_S7_lS9_S7_lPT10_S7_li.numbered_sgpr, 17
	.set _ZL37rocblas_syrkx_herkx_restricted_kernelIi19rocblas_complex_numIdELi16ELi32ELi8ELi1ELi1ELb0ELc84ELc76EKPKS1_KPS1_EviT_PT9_S7_lS9_S7_lPT10_S7_li.num_named_barrier, 0
	.set _ZL37rocblas_syrkx_herkx_restricted_kernelIi19rocblas_complex_numIdELi16ELi32ELi8ELi1ELi1ELb0ELc84ELc76EKPKS1_KPS1_EviT_PT9_S7_lS9_S7_lPT10_S7_li.private_seg_size, 0
	.set _ZL37rocblas_syrkx_herkx_restricted_kernelIi19rocblas_complex_numIdELi16ELi32ELi8ELi1ELi1ELb0ELc84ELc76EKPKS1_KPS1_EviT_PT9_S7_lS9_S7_lPT10_S7_li.uses_vcc, 1
	.set _ZL37rocblas_syrkx_herkx_restricted_kernelIi19rocblas_complex_numIdELi16ELi32ELi8ELi1ELi1ELb0ELc84ELc76EKPKS1_KPS1_EviT_PT9_S7_lS9_S7_lPT10_S7_li.uses_flat_scratch, 0
	.set _ZL37rocblas_syrkx_herkx_restricted_kernelIi19rocblas_complex_numIdELi16ELi32ELi8ELi1ELi1ELb0ELc84ELc76EKPKS1_KPS1_EviT_PT9_S7_lS9_S7_lPT10_S7_li.has_dyn_sized_stack, 0
	.set _ZL37rocblas_syrkx_herkx_restricted_kernelIi19rocblas_complex_numIdELi16ELi32ELi8ELi1ELi1ELb0ELc84ELc76EKPKS1_KPS1_EviT_PT9_S7_lS9_S7_lPT10_S7_li.has_recursion, 0
	.set _ZL37rocblas_syrkx_herkx_restricted_kernelIi19rocblas_complex_numIdELi16ELi32ELi8ELi1ELi1ELb0ELc84ELc76EKPKS1_KPS1_EviT_PT9_S7_lS9_S7_lPT10_S7_li.has_indirect_call, 0
	.section	.AMDGPU.csdata,"",@progbits
; Kernel info:
; codeLenInByte = 2824
; TotalNumSgprs: 21
; NumVgprs: 52
; ScratchSize: 0
; MemoryBound: 0
; FloatMode: 240
; IeeeMode: 1
; LDSByteSize: 8192 bytes/workgroup (compile time only)
; SGPRBlocks: 8
; VGPRBlocks: 12
; NumSGPRsForWavesPerEU: 65
; NumVGPRsForWavesPerEU: 52
; Occupancy: 4
; WaveLimiterHint : 1
; COMPUTE_PGM_RSRC2:SCRATCH_EN: 0
; COMPUTE_PGM_RSRC2:USER_SGPR: 6
; COMPUTE_PGM_RSRC2:TRAP_HANDLER: 0
; COMPUTE_PGM_RSRC2:TGID_X_EN: 1
; COMPUTE_PGM_RSRC2:TGID_Y_EN: 1
; COMPUTE_PGM_RSRC2:TGID_Z_EN: 1
; COMPUTE_PGM_RSRC2:TIDIG_COMP_CNT: 1
	.section	.text._ZL37rocblas_syrkx_herkx_restricted_kernelIi19rocblas_complex_numIdELi16ELi32ELi8ELi1ELi1ELb0ELc67ELc76EKPKS1_KPS1_EviT_PT9_S7_lS9_S7_lPT10_S7_li,"axG",@progbits,_ZL37rocblas_syrkx_herkx_restricted_kernelIi19rocblas_complex_numIdELi16ELi32ELi8ELi1ELi1ELb0ELc67ELc76EKPKS1_KPS1_EviT_PT9_S7_lS9_S7_lPT10_S7_li,comdat
	.globl	_ZL37rocblas_syrkx_herkx_restricted_kernelIi19rocblas_complex_numIdELi16ELi32ELi8ELi1ELi1ELb0ELc67ELc76EKPKS1_KPS1_EviT_PT9_S7_lS9_S7_lPT10_S7_li ; -- Begin function _ZL37rocblas_syrkx_herkx_restricted_kernelIi19rocblas_complex_numIdELi16ELi32ELi8ELi1ELi1ELb0ELc67ELc76EKPKS1_KPS1_EviT_PT9_S7_lS9_S7_lPT10_S7_li
	.p2align	8
	.type	_ZL37rocblas_syrkx_herkx_restricted_kernelIi19rocblas_complex_numIdELi16ELi32ELi8ELi1ELi1ELb0ELc67ELc76EKPKS1_KPS1_EviT_PT9_S7_lS9_S7_lPT10_S7_li,@function
_ZL37rocblas_syrkx_herkx_restricted_kernelIi19rocblas_complex_numIdELi16ELi32ELi8ELi1ELi1ELb0ELc67ELc76EKPKS1_KPS1_EviT_PT9_S7_lS9_S7_lPT10_S7_li: ; @_ZL37rocblas_syrkx_herkx_restricted_kernelIi19rocblas_complex_numIdELi16ELi32ELi8ELi1ELi1ELb0ELc67ELc76EKPKS1_KPS1_EviT_PT9_S7_lS9_S7_lPT10_S7_li
; %bb.0:
	s_load_dwordx2 s[2:3], s[4:5], 0x38
	s_load_dwordx2 s[12:13], s[4:5], 0x0
	s_mov_b32 s9, 0
	s_lshl_b64 s[0:1], s[8:9], 3
	s_waitcnt lgkmcnt(0)
	s_add_u32 s2, s2, s0
	s_addc_u32 s3, s3, s1
	s_load_dwordx2 s[10:11], s[2:3], 0x0
	s_lshl_b32 s2, s6, 5
	s_lshl_b32 s3, s7, 5
	s_cmp_lt_i32 s13, 1
	s_cbranch_scc1 .LBB696_3
; %bb.1:
	s_load_dwordx2 s[6:7], s[4:5], 0x8
	s_load_dword s8, s[4:5], 0x10
	s_load_dwordx2 s[14:15], s[4:5], 0x20
	s_load_dword s16, s[4:5], 0x28
	v_lshl_add_u32 v6, v1, 4, v0
	s_waitcnt lgkmcnt(0)
	s_add_u32 s6, s6, s0
	s_addc_u32 s7, s7, s1
	v_lshrrev_b32_e32 v8, 3, v6
	s_add_u32 s0, s14, s0
	v_add_u32_e32 v4, s3, v8
	v_and_b32_e32 v2, 7, v0
	v_mov_b32_e32 v3, 0
	s_addc_u32 s1, s15, s1
	v_mad_i64_i32 v[4:5], s[14:15], s16, v4, v[2:3]
	v_and_b32_e32 v9, 31, v6
	v_lshlrev_b32_e32 v2, 4, v2
	v_lshrrev_b32_e32 v6, 5, v6
	v_mov_b32_e32 v7, v3
	v_lshlrev_b32_e32 v3, 4, v9
	v_lshl_or_b32 v8, v8, 7, v2
	v_add_u32_e32 v2, s2, v9
	v_lshl_or_b32 v22, v6, 9, v3
	v_mad_i64_i32 v[2:3], s[14:15], s8, v2, v[6:7]
	s_load_dwordx2 s[6:7], s[6:7], 0x0
	v_lshlrev_b64 v[4:5], 4, v[4:5]
	s_load_dwordx2 s[0:1], s[0:1], 0x0
	v_lshlrev_b64 v[2:3], 4, v[2:3]
	v_add_u32_e32 v23, 0x1000, v8
	s_waitcnt lgkmcnt(0)
	v_mov_b32_e32 v6, s7
	v_add_co_u32_e32 v2, vcc, s6, v2
	v_addc_co_u32_e32 v3, vcc, v6, v3, vcc
	v_mov_b32_e32 v6, s1
	v_add_co_u32_e32 v4, vcc, s0, v4
	v_mov_b32_e32 v25, 0x1000
	v_addc_co_u32_e32 v5, vcc, v6, v5, vcc
	v_mov_b32_e32 v10, 0
	v_mov_b32_e32 v12, 0
	;; [unrolled: 1-line block ×8, first 2 shown]
	v_lshlrev_b32_e32 v24, 4, v0
	v_mov_b32_e32 v11, 0
	v_mov_b32_e32 v13, 0
	;; [unrolled: 1-line block ×8, first 2 shown]
	v_lshl_add_u32 v25, v1, 7, v25
.LBB696_2:                              ; =>This Inner Loop Header: Depth=1
	flat_load_dwordx4 v[26:29], v[2:3]
	v_add_co_u32_e32 v2, vcc, 0x80, v2
	v_addc_co_u32_e32 v3, vcc, 0, v3, vcc
	s_add_i32 s9, s9, 8
	s_cmp_ge_i32 s9, s13
	s_waitcnt vmcnt(0) lgkmcnt(0)
	ds_write_b128 v22, v[26:29]
	flat_load_dwordx4 v[26:29], v[4:5]
	v_add_co_u32_e32 v4, vcc, 0x80, v4
	v_addc_co_u32_e32 v5, vcc, 0, v5, vcc
	s_waitcnt vmcnt(0) lgkmcnt(0)
	ds_write_b128 v23, v[26:29]
	s_waitcnt lgkmcnt(0)
	s_barrier
	ds_read_b128 v[26:29], v25
	ds_read_b128 v[30:33], v25 offset:16
	ds_read_b128 v[34:37], v25 offset:32
	;; [unrolled: 1-line block ×3, first 2 shown]
	ds_read_b128 v[42:45], v24
	s_waitcnt lgkmcnt(0)
	v_mul_f64 v[46:47], v[28:29], v[44:45]
	v_mul_f64 v[48:49], v[26:27], v[44:45]
	v_fma_f64 v[46:47], v[26:27], v[42:43], -v[46:47]
	v_fma_f64 v[48:49], v[28:29], v[42:43], v[48:49]
	v_add_f64 v[46:47], v[14:15], v[46:47]
	v_add_f64 v[48:49], v[48:49], v[16:17]
	ds_read_b128 v[14:17], v24 offset:256
	s_waitcnt lgkmcnt(0)
	v_mul_f64 v[50:51], v[28:29], v[16:17]
	v_fma_f64 v[50:51], v[26:27], v[14:15], -v[50:51]
	v_mul_f64 v[26:27], v[26:27], v[16:17]
	v_fma_f64 v[26:27], v[28:29], v[14:15], v[26:27]
	v_add_f64 v[28:29], v[8:9], v[50:51]
	v_add_f64 v[26:27], v[26:27], v[6:7]
	ds_read_b128 v[6:9], v25 offset:2048
	s_waitcnt lgkmcnt(0)
	v_mul_f64 v[50:51], v[8:9], v[44:45]
	v_mul_f64 v[44:45], v[6:7], v[44:45]
	v_fma_f64 v[50:51], v[6:7], v[42:43], -v[50:51]
	v_fma_f64 v[42:43], v[8:9], v[42:43], v[44:45]
	v_add_f64 v[20:21], v[20:21], v[50:51]
	v_add_f64 v[18:19], v[42:43], v[18:19]
	v_mul_f64 v[42:43], v[8:9], v[16:17]
	v_fma_f64 v[42:43], v[6:7], v[14:15], -v[42:43]
	v_mul_f64 v[6:7], v[6:7], v[16:17]
	v_add_f64 v[42:43], v[12:13], v[42:43]
	v_fma_f64 v[6:7], v[8:9], v[14:15], v[6:7]
	v_add_f64 v[44:45], v[6:7], v[10:11]
	ds_read_b128 v[6:9], v24 offset:512
	s_waitcnt lgkmcnt(0)
	v_mul_f64 v[10:11], v[32:33], v[8:9]
	v_mul_f64 v[12:13], v[30:31], v[8:9]
	v_fma_f64 v[10:11], v[30:31], v[6:7], -v[10:11]
	v_fma_f64 v[12:13], v[32:33], v[6:7], v[12:13]
	v_add_f64 v[46:47], v[46:47], v[10:11]
	v_add_f64 v[48:49], v[12:13], v[48:49]
	ds_read_b128 v[10:13], v24 offset:768
	s_waitcnt lgkmcnt(0)
	v_mul_f64 v[14:15], v[32:33], v[12:13]
	v_mul_f64 v[16:17], v[30:31], v[12:13]
	v_fma_f64 v[14:15], v[30:31], v[10:11], -v[14:15]
	v_fma_f64 v[16:17], v[32:33], v[10:11], v[16:17]
	v_add_f64 v[28:29], v[28:29], v[14:15]
	v_add_f64 v[26:27], v[16:17], v[26:27]
	ds_read_b128 v[14:17], v25 offset:2064
	s_waitcnt lgkmcnt(0)
	v_mul_f64 v[30:31], v[16:17], v[8:9]
	v_mul_f64 v[8:9], v[14:15], v[8:9]
	v_fma_f64 v[30:31], v[14:15], v[6:7], -v[30:31]
	v_fma_f64 v[6:7], v[16:17], v[6:7], v[8:9]
	v_mul_f64 v[8:9], v[14:15], v[12:13]
	v_add_f64 v[20:21], v[20:21], v[30:31]
	v_add_f64 v[18:19], v[6:7], v[18:19]
	v_mul_f64 v[6:7], v[16:17], v[12:13]
	v_fma_f64 v[8:9], v[16:17], v[10:11], v[8:9]
	v_fma_f64 v[6:7], v[14:15], v[10:11], -v[6:7]
	v_add_f64 v[32:33], v[8:9], v[44:45]
	v_add_f64 v[30:31], v[42:43], v[6:7]
	ds_read_b128 v[6:9], v24 offset:1024
	s_waitcnt lgkmcnt(0)
	v_mul_f64 v[10:11], v[36:37], v[8:9]
	v_mul_f64 v[12:13], v[34:35], v[8:9]
	v_fma_f64 v[10:11], v[34:35], v[6:7], -v[10:11]
	v_fma_f64 v[12:13], v[36:37], v[6:7], v[12:13]
	v_add_f64 v[42:43], v[46:47], v[10:11]
	v_add_f64 v[44:45], v[12:13], v[48:49]
	ds_read_b128 v[10:13], v24 offset:1280
	s_waitcnt lgkmcnt(0)
	v_mul_f64 v[14:15], v[36:37], v[12:13]
	v_mul_f64 v[16:17], v[34:35], v[12:13]
	v_fma_f64 v[14:15], v[34:35], v[10:11], -v[14:15]
	v_fma_f64 v[16:17], v[36:37], v[10:11], v[16:17]
	v_add_f64 v[28:29], v[28:29], v[14:15]
	v_add_f64 v[26:27], v[16:17], v[26:27]
	ds_read_b128 v[14:17], v25 offset:2080
	s_waitcnt lgkmcnt(0)
	v_mul_f64 v[34:35], v[16:17], v[8:9]
	v_mul_f64 v[8:9], v[14:15], v[8:9]
	v_fma_f64 v[34:35], v[14:15], v[6:7], -v[34:35]
	v_fma_f64 v[6:7], v[16:17], v[6:7], v[8:9]
	v_mul_f64 v[8:9], v[14:15], v[12:13]
	v_add_f64 v[20:21], v[20:21], v[34:35]
	v_add_f64 v[18:19], v[6:7], v[18:19]
	v_mul_f64 v[6:7], v[16:17], v[12:13]
	v_fma_f64 v[8:9], v[16:17], v[10:11], v[8:9]
	v_fma_f64 v[6:7], v[14:15], v[10:11], -v[6:7]
	v_add_f64 v[32:33], v[8:9], v[32:33]
	;; [unrolled: 30-line block ×3, first 2 shown]
	v_add_f64 v[30:31], v[30:31], v[6:7]
	ds_read_b128 v[6:9], v25 offset:64
	ds_read_b128 v[10:13], v24 offset:2048
	s_waitcnt lgkmcnt(0)
	v_mul_f64 v[14:15], v[8:9], v[12:13]
	v_mul_f64 v[16:17], v[6:7], v[12:13]
	v_fma_f64 v[14:15], v[6:7], v[10:11], -v[14:15]
	v_fma_f64 v[16:17], v[8:9], v[10:11], v[16:17]
	v_add_f64 v[34:35], v[34:35], v[14:15]
	v_add_f64 v[36:37], v[16:17], v[36:37]
	ds_read_b128 v[14:17], v24 offset:2304
	s_waitcnt lgkmcnt(0)
	v_mul_f64 v[38:39], v[8:9], v[16:17]
	v_fma_f64 v[38:39], v[6:7], v[14:15], -v[38:39]
	v_mul_f64 v[6:7], v[6:7], v[16:17]
	v_add_f64 v[28:29], v[28:29], v[38:39]
	v_fma_f64 v[6:7], v[8:9], v[14:15], v[6:7]
	v_add_f64 v[26:27], v[6:7], v[26:27]
	ds_read_b128 v[6:9], v25 offset:2112
	s_waitcnt lgkmcnt(0)
	v_mul_f64 v[38:39], v[8:9], v[12:13]
	v_mul_f64 v[12:13], v[6:7], v[12:13]
	v_fma_f64 v[38:39], v[6:7], v[10:11], -v[38:39]
	v_fma_f64 v[10:11], v[8:9], v[10:11], v[12:13]
	v_add_f64 v[20:21], v[20:21], v[38:39]
	v_add_f64 v[18:19], v[10:11], v[18:19]
	v_mul_f64 v[10:11], v[8:9], v[16:17]
	v_fma_f64 v[10:11], v[6:7], v[14:15], -v[10:11]
	v_mul_f64 v[6:7], v[6:7], v[16:17]
	v_add_f64 v[30:31], v[30:31], v[10:11]
	v_fma_f64 v[6:7], v[8:9], v[14:15], v[6:7]
	v_add_f64 v[32:33], v[6:7], v[32:33]
	ds_read_b128 v[6:9], v25 offset:80
	ds_read_b128 v[10:13], v24 offset:2560
	s_waitcnt lgkmcnt(0)
	v_mul_f64 v[14:15], v[8:9], v[12:13]
	v_mul_f64 v[16:17], v[6:7], v[12:13]
	v_fma_f64 v[14:15], v[6:7], v[10:11], -v[14:15]
	v_fma_f64 v[16:17], v[8:9], v[10:11], v[16:17]
	v_add_f64 v[34:35], v[34:35], v[14:15]
	v_add_f64 v[36:37], v[16:17], v[36:37]
	ds_read_b128 v[14:17], v24 offset:2816
	s_waitcnt lgkmcnt(0)
	v_mul_f64 v[38:39], v[8:9], v[16:17]
	v_fma_f64 v[38:39], v[6:7], v[14:15], -v[38:39]
	v_mul_f64 v[6:7], v[6:7], v[16:17]
	v_add_f64 v[28:29], v[28:29], v[38:39]
	v_fma_f64 v[6:7], v[8:9], v[14:15], v[6:7]
	v_add_f64 v[26:27], v[6:7], v[26:27]
	ds_read_b128 v[6:9], v25 offset:2128
	s_waitcnt lgkmcnt(0)
	v_mul_f64 v[38:39], v[8:9], v[12:13]
	v_mul_f64 v[12:13], v[6:7], v[12:13]
	v_fma_f64 v[38:39], v[6:7], v[10:11], -v[38:39]
	v_fma_f64 v[10:11], v[8:9], v[10:11], v[12:13]
	v_add_f64 v[20:21], v[20:21], v[38:39]
	v_add_f64 v[18:19], v[10:11], v[18:19]
	v_mul_f64 v[10:11], v[8:9], v[16:17]
	v_fma_f64 v[10:11], v[6:7], v[14:15], -v[10:11]
	v_mul_f64 v[6:7], v[6:7], v[16:17]
	v_add_f64 v[30:31], v[30:31], v[10:11]
	v_fma_f64 v[6:7], v[8:9], v[14:15], v[6:7]
	;; [unrolled: 31-line block ×3, first 2 shown]
	v_add_f64 v[44:45], v[6:7], v[32:33]
	ds_read_b128 v[6:9], v25 offset:112
	ds_read_b128 v[10:13], v24 offset:3584
	;; [unrolled: 1-line block ×3, first 2 shown]
	s_waitcnt lgkmcnt(1)
	v_mul_f64 v[14:15], v[8:9], v[12:13]
	s_waitcnt lgkmcnt(0)
	v_mul_f64 v[30:31], v[8:9], v[28:29]
	v_mul_f64 v[16:17], v[6:7], v[12:13]
	v_fma_f64 v[14:15], v[6:7], v[10:11], -v[14:15]
	v_fma_f64 v[30:31], v[6:7], v[26:27], -v[30:31]
	v_mul_f64 v[6:7], v[6:7], v[28:29]
	v_fma_f64 v[16:17], v[8:9], v[10:11], v[16:17]
	v_add_f64 v[14:15], v[34:35], v[14:15]
	v_fma_f64 v[6:7], v[8:9], v[26:27], v[6:7]
	v_add_f64 v[8:9], v[38:39], v[30:31]
	ds_read_b128 v[30:33], v25 offset:2160
	v_add_f64 v[16:17], v[16:17], v[36:37]
	s_waitcnt lgkmcnt(0)
	s_barrier
	v_mul_f64 v[34:35], v[32:33], v[12:13]
	v_mul_f64 v[12:13], v[30:31], v[12:13]
	v_add_f64 v[6:7], v[6:7], v[40:41]
	v_fma_f64 v[34:35], v[30:31], v[10:11], -v[34:35]
	v_fma_f64 v[10:11], v[32:33], v[10:11], v[12:13]
	v_mul_f64 v[12:13], v[30:31], v[28:29]
	v_add_f64 v[20:21], v[20:21], v[34:35]
	v_add_f64 v[18:19], v[10:11], v[18:19]
	v_mul_f64 v[10:11], v[32:33], v[28:29]
	v_fma_f64 v[10:11], v[30:31], v[26:27], -v[10:11]
	v_fma_f64 v[26:27], v[32:33], v[26:27], v[12:13]
	v_add_f64 v[12:13], v[42:43], v[10:11]
	v_add_f64 v[10:11], v[26:27], v[44:45]
	s_cbranch_scc0 .LBB696_2
	s_branch .LBB696_4
.LBB696_3:
	v_mov_b32_e32 v14, 0
	v_mov_b32_e32 v16, 0
	;; [unrolled: 1-line block ×16, first 2 shown]
.LBB696_4:
	s_load_dword s6, s[4:5], 0x40
	v_add_u32_e32 v4, s3, v1
	s_waitcnt lgkmcnt(0)
	v_mov_b32_e32 v3, s11
	v_add_u32_e32 v0, s2, v0
	v_mad_i64_i32 v[1:2], s[0:1], v4, s6, 0
	v_cmp_le_i32_e64 s[0:1], v4, v0
	v_lshlrev_b64 v[1:2], 4, v[1:2]
	v_add_co_u32_e32 v5, vcc, s10, v1
	v_addc_co_u32_e32 v22, vcc, v3, v2, vcc
	v_cmp_gt_i32_e32 vcc, s12, v0
	s_and_b64 s[0:1], s[0:1], vcc
	s_and_saveexec_b64 s[2:3], s[0:1]
	s_cbranch_execz .LBB696_6
; %bb.5:
	v_ashrrev_i32_e32 v1, 31, v0
	v_lshlrev_b64 v[1:2], 4, v[0:1]
	v_add_co_u32_e64 v1, s[0:1], v5, v1
	v_addc_co_u32_e64 v2, s[0:1], v22, v2, s[0:1]
	flat_load_dwordx4 v[23:26], v[1:2]
	s_waitcnt vmcnt(0) lgkmcnt(0)
	v_add_f64 v[14:15], v[14:15], v[23:24]
	v_add_f64 v[16:17], v[16:17], v[25:26]
	flat_store_dwordx4 v[1:2], v[14:17]
.LBB696_6:
	s_or_b64 exec, exec, s[2:3]
	v_add_u32_e32 v2, 16, v0
	v_cmp_le_i32_e64 s[2:3], v4, v2
	v_cmp_gt_i32_e64 s[0:1], s12, v2
	s_and_b64 s[2:3], s[2:3], s[0:1]
	s_and_saveexec_b64 s[4:5], s[2:3]
	s_cbranch_execz .LBB696_8
; %bb.7:
	v_ashrrev_i32_e32 v3, 31, v2
	v_lshlrev_b64 v[14:15], 4, v[2:3]
	v_add_co_u32_e64 v23, s[2:3], v5, v14
	v_addc_co_u32_e64 v24, s[2:3], v22, v15, s[2:3]
	flat_load_dwordx4 v[14:17], v[23:24]
	s_waitcnt vmcnt(0) lgkmcnt(0)
	v_add_f64 v[14:15], v[8:9], v[14:15]
	v_add_f64 v[16:17], v[6:7], v[16:17]
	flat_store_dwordx4 v[23:24], v[14:17]
.LBB696_8:
	s_or_b64 exec, exec, s[4:5]
	v_add_u32_e32 v3, 16, v4
	v_mad_i64_i32 v[4:5], s[2:3], v3, s6, 0
	v_mov_b32_e32 v1, s11
	v_lshlrev_b64 v[4:5], 4, v[4:5]
	v_add_co_u32_e64 v4, s[2:3], s10, v4
	v_addc_co_u32_e64 v5, s[2:3], v1, v5, s[2:3]
	v_cmp_le_i32_e64 s[2:3], v3, v0
	s_and_b64 s[4:5], s[2:3], vcc
	s_and_saveexec_b64 s[2:3], s[4:5]
	s_cbranch_execz .LBB696_10
; %bb.9:
	v_ashrrev_i32_e32 v1, 31, v0
	v_lshlrev_b64 v[0:1], 4, v[0:1]
	v_add_co_u32_e32 v0, vcc, v4, v0
	v_addc_co_u32_e32 v1, vcc, v5, v1, vcc
	flat_load_dwordx4 v[6:9], v[0:1]
	s_waitcnt vmcnt(0) lgkmcnt(0)
	v_add_f64 v[6:7], v[20:21], v[6:7]
	v_add_f64 v[8:9], v[18:19], v[8:9]
	flat_store_dwordx4 v[0:1], v[6:9]
.LBB696_10:
	s_or_b64 exec, exec, s[2:3]
	v_cmp_le_i32_e32 vcc, v3, v2
	s_and_b64 s[0:1], vcc, s[0:1]
	s_and_saveexec_b64 s[2:3], s[0:1]
	s_cbranch_execz .LBB696_12
; %bb.11:
	v_ashrrev_i32_e32 v3, 31, v2
	v_lshlrev_b64 v[0:1], 4, v[2:3]
	v_add_co_u32_e32 v4, vcc, v4, v0
	v_addc_co_u32_e32 v5, vcc, v5, v1, vcc
	flat_load_dwordx4 v[0:3], v[4:5]
	s_waitcnt vmcnt(0) lgkmcnt(0)
	v_add_f64 v[0:1], v[12:13], v[0:1]
	v_add_f64 v[2:3], v[10:11], v[2:3]
	flat_store_dwordx4 v[4:5], v[0:3]
.LBB696_12:
	s_endpgm
	.section	.rodata,"a",@progbits
	.p2align	6, 0x0
	.amdhsa_kernel _ZL37rocblas_syrkx_herkx_restricted_kernelIi19rocblas_complex_numIdELi16ELi32ELi8ELi1ELi1ELb0ELc67ELc76EKPKS1_KPS1_EviT_PT9_S7_lS9_S7_lPT10_S7_li
		.amdhsa_group_segment_fixed_size 8192
		.amdhsa_private_segment_fixed_size 0
		.amdhsa_kernarg_size 84
		.amdhsa_user_sgpr_count 6
		.amdhsa_user_sgpr_private_segment_buffer 1
		.amdhsa_user_sgpr_dispatch_ptr 0
		.amdhsa_user_sgpr_queue_ptr 0
		.amdhsa_user_sgpr_kernarg_segment_ptr 1
		.amdhsa_user_sgpr_dispatch_id 0
		.amdhsa_user_sgpr_flat_scratch_init 0
		.amdhsa_user_sgpr_private_segment_size 0
		.amdhsa_uses_dynamic_stack 0
		.amdhsa_system_sgpr_private_segment_wavefront_offset 0
		.amdhsa_system_sgpr_workgroup_id_x 1
		.amdhsa_system_sgpr_workgroup_id_y 1
		.amdhsa_system_sgpr_workgroup_id_z 1
		.amdhsa_system_sgpr_workgroup_info 0
		.amdhsa_system_vgpr_workitem_id 1
		.amdhsa_next_free_vgpr 52
		.amdhsa_next_free_sgpr 61
		.amdhsa_reserve_vcc 1
		.amdhsa_reserve_flat_scratch 0
		.amdhsa_float_round_mode_32 0
		.amdhsa_float_round_mode_16_64 0
		.amdhsa_float_denorm_mode_32 3
		.amdhsa_float_denorm_mode_16_64 3
		.amdhsa_dx10_clamp 1
		.amdhsa_ieee_mode 1
		.amdhsa_fp16_overflow 0
		.amdhsa_exception_fp_ieee_invalid_op 0
		.amdhsa_exception_fp_denorm_src 0
		.amdhsa_exception_fp_ieee_div_zero 0
		.amdhsa_exception_fp_ieee_overflow 0
		.amdhsa_exception_fp_ieee_underflow 0
		.amdhsa_exception_fp_ieee_inexact 0
		.amdhsa_exception_int_div_zero 0
	.end_amdhsa_kernel
	.section	.text._ZL37rocblas_syrkx_herkx_restricted_kernelIi19rocblas_complex_numIdELi16ELi32ELi8ELi1ELi1ELb0ELc67ELc76EKPKS1_KPS1_EviT_PT9_S7_lS9_S7_lPT10_S7_li,"axG",@progbits,_ZL37rocblas_syrkx_herkx_restricted_kernelIi19rocblas_complex_numIdELi16ELi32ELi8ELi1ELi1ELb0ELc67ELc76EKPKS1_KPS1_EviT_PT9_S7_lS9_S7_lPT10_S7_li,comdat
.Lfunc_end696:
	.size	_ZL37rocblas_syrkx_herkx_restricted_kernelIi19rocblas_complex_numIdELi16ELi32ELi8ELi1ELi1ELb0ELc67ELc76EKPKS1_KPS1_EviT_PT9_S7_lS9_S7_lPT10_S7_li, .Lfunc_end696-_ZL37rocblas_syrkx_herkx_restricted_kernelIi19rocblas_complex_numIdELi16ELi32ELi8ELi1ELi1ELb0ELc67ELc76EKPKS1_KPS1_EviT_PT9_S7_lS9_S7_lPT10_S7_li
                                        ; -- End function
	.set _ZL37rocblas_syrkx_herkx_restricted_kernelIi19rocblas_complex_numIdELi16ELi32ELi8ELi1ELi1ELb0ELc67ELc76EKPKS1_KPS1_EviT_PT9_S7_lS9_S7_lPT10_S7_li.num_vgpr, 52
	.set _ZL37rocblas_syrkx_herkx_restricted_kernelIi19rocblas_complex_numIdELi16ELi32ELi8ELi1ELi1ELb0ELc67ELc76EKPKS1_KPS1_EviT_PT9_S7_lS9_S7_lPT10_S7_li.num_agpr, 0
	.set _ZL37rocblas_syrkx_herkx_restricted_kernelIi19rocblas_complex_numIdELi16ELi32ELi8ELi1ELi1ELb0ELc67ELc76EKPKS1_KPS1_EviT_PT9_S7_lS9_S7_lPT10_S7_li.numbered_sgpr, 17
	.set _ZL37rocblas_syrkx_herkx_restricted_kernelIi19rocblas_complex_numIdELi16ELi32ELi8ELi1ELi1ELb0ELc67ELc76EKPKS1_KPS1_EviT_PT9_S7_lS9_S7_lPT10_S7_li.num_named_barrier, 0
	.set _ZL37rocblas_syrkx_herkx_restricted_kernelIi19rocblas_complex_numIdELi16ELi32ELi8ELi1ELi1ELb0ELc67ELc76EKPKS1_KPS1_EviT_PT9_S7_lS9_S7_lPT10_S7_li.private_seg_size, 0
	.set _ZL37rocblas_syrkx_herkx_restricted_kernelIi19rocblas_complex_numIdELi16ELi32ELi8ELi1ELi1ELb0ELc67ELc76EKPKS1_KPS1_EviT_PT9_S7_lS9_S7_lPT10_S7_li.uses_vcc, 1
	.set _ZL37rocblas_syrkx_herkx_restricted_kernelIi19rocblas_complex_numIdELi16ELi32ELi8ELi1ELi1ELb0ELc67ELc76EKPKS1_KPS1_EviT_PT9_S7_lS9_S7_lPT10_S7_li.uses_flat_scratch, 0
	.set _ZL37rocblas_syrkx_herkx_restricted_kernelIi19rocblas_complex_numIdELi16ELi32ELi8ELi1ELi1ELb0ELc67ELc76EKPKS1_KPS1_EviT_PT9_S7_lS9_S7_lPT10_S7_li.has_dyn_sized_stack, 0
	.set _ZL37rocblas_syrkx_herkx_restricted_kernelIi19rocblas_complex_numIdELi16ELi32ELi8ELi1ELi1ELb0ELc67ELc76EKPKS1_KPS1_EviT_PT9_S7_lS9_S7_lPT10_S7_li.has_recursion, 0
	.set _ZL37rocblas_syrkx_herkx_restricted_kernelIi19rocblas_complex_numIdELi16ELi32ELi8ELi1ELi1ELb0ELc67ELc76EKPKS1_KPS1_EviT_PT9_S7_lS9_S7_lPT10_S7_li.has_indirect_call, 0
	.section	.AMDGPU.csdata,"",@progbits
; Kernel info:
; codeLenInByte = 2824
; TotalNumSgprs: 21
; NumVgprs: 52
; ScratchSize: 0
; MemoryBound: 0
; FloatMode: 240
; IeeeMode: 1
; LDSByteSize: 8192 bytes/workgroup (compile time only)
; SGPRBlocks: 8
; VGPRBlocks: 12
; NumSGPRsForWavesPerEU: 65
; NumVGPRsForWavesPerEU: 52
; Occupancy: 4
; WaveLimiterHint : 1
; COMPUTE_PGM_RSRC2:SCRATCH_EN: 0
; COMPUTE_PGM_RSRC2:USER_SGPR: 6
; COMPUTE_PGM_RSRC2:TRAP_HANDLER: 0
; COMPUTE_PGM_RSRC2:TGID_X_EN: 1
; COMPUTE_PGM_RSRC2:TGID_Y_EN: 1
; COMPUTE_PGM_RSRC2:TGID_Z_EN: 1
; COMPUTE_PGM_RSRC2:TIDIG_COMP_CNT: 1
	.section	.text._ZL37rocblas_syrkx_herkx_restricted_kernelIi19rocblas_complex_numIdELi16ELi32ELi8ELi1ELi1ELb0ELc78ELc76EKPKS1_KPS1_EviT_PT9_S7_lS9_S7_lPT10_S7_li,"axG",@progbits,_ZL37rocblas_syrkx_herkx_restricted_kernelIi19rocblas_complex_numIdELi16ELi32ELi8ELi1ELi1ELb0ELc78ELc76EKPKS1_KPS1_EviT_PT9_S7_lS9_S7_lPT10_S7_li,comdat
	.globl	_ZL37rocblas_syrkx_herkx_restricted_kernelIi19rocblas_complex_numIdELi16ELi32ELi8ELi1ELi1ELb0ELc78ELc76EKPKS1_KPS1_EviT_PT9_S7_lS9_S7_lPT10_S7_li ; -- Begin function _ZL37rocblas_syrkx_herkx_restricted_kernelIi19rocblas_complex_numIdELi16ELi32ELi8ELi1ELi1ELb0ELc78ELc76EKPKS1_KPS1_EviT_PT9_S7_lS9_S7_lPT10_S7_li
	.p2align	8
	.type	_ZL37rocblas_syrkx_herkx_restricted_kernelIi19rocblas_complex_numIdELi16ELi32ELi8ELi1ELi1ELb0ELc78ELc76EKPKS1_KPS1_EviT_PT9_S7_lS9_S7_lPT10_S7_li,@function
_ZL37rocblas_syrkx_herkx_restricted_kernelIi19rocblas_complex_numIdELi16ELi32ELi8ELi1ELi1ELb0ELc78ELc76EKPKS1_KPS1_EviT_PT9_S7_lS9_S7_lPT10_S7_li: ; @_ZL37rocblas_syrkx_herkx_restricted_kernelIi19rocblas_complex_numIdELi16ELi32ELi8ELi1ELi1ELb0ELc78ELc76EKPKS1_KPS1_EviT_PT9_S7_lS9_S7_lPT10_S7_li
; %bb.0:
	s_load_dwordx2 s[2:3], s[4:5], 0x38
	s_load_dwordx2 s[12:13], s[4:5], 0x0
	s_mov_b32 s9, 0
	s_lshl_b64 s[0:1], s[8:9], 3
	s_waitcnt lgkmcnt(0)
	s_add_u32 s2, s2, s0
	s_addc_u32 s3, s3, s1
	s_load_dwordx2 s[10:11], s[2:3], 0x0
	s_lshl_b32 s6, s6, 5
	s_lshl_b32 s7, s7, 5
	s_cmp_lt_i32 s13, 1
	s_cbranch_scc1 .LBB697_3
; %bb.1:
	s_load_dword s2, s[4:5], 0x10
	s_load_dword s14, s[4:5], 0x28
	s_load_dwordx2 s[16:17], s[4:5], 0x20
	s_load_dwordx2 s[18:19], s[4:5], 0x8
	v_lshl_add_u32 v7, v1, 4, v0
	s_waitcnt lgkmcnt(0)
	s_ashr_i32 s3, s2, 31
	s_ashr_i32 s15, s14, 31
	v_lshrrev_b32_e32 v8, 3, v7
	s_add_u32 s18, s18, s0
	s_addc_u32 s19, s19, s1
	s_add_u32 s0, s16, s0
	v_add_u32_e32 v2, s7, v8
	s_addc_u32 s1, s17, s1
	v_and_b32_e32 v6, 7, v0
	v_ashrrev_i32_e32 v3, 31, v2
	s_load_dwordx2 s[16:17], s[0:1], 0x0
	v_mad_i64_i32 v[4:5], s[0:1], s14, v6, v[2:3]
	v_and_b32_e32 v2, 31, v7
	v_lshrrev_b32_e32 v9, 5, v7
	v_lshlrev_b32_e32 v3, 4, v2
	v_lshl_or_b32 v22, v9, 9, v3
	v_lshlrev_b32_e32 v3, 4, v6
	v_lshl_or_b32 v3, v8, 7, v3
	v_add_u32_e32 v2, s6, v2
	v_add_u32_e32 v23, 0x1000, v3
	v_ashrrev_i32_e32 v3, 31, v2
	v_mad_i64_i32 v[2:3], s[0:1], s2, v9, v[2:3]
	s_load_dwordx2 s[18:19], s[18:19], 0x0
	v_mov_b32_e32 v6, 0x1000
	v_lshlrev_b64 v[2:3], 4, v[2:3]
	v_lshl_add_u32 v25, v1, 7, v6
	v_lshlrev_b64 v[4:5], 4, v[4:5]
	s_waitcnt lgkmcnt(0)
	v_mov_b32_e32 v6, s19
	v_add_co_u32_e32 v2, vcc, s18, v2
	v_addc_co_u32_e32 v3, vcc, v6, v3, vcc
	v_mov_b32_e32 v6, s17
	v_add_co_u32_e32 v4, vcc, s16, v4
	s_lshl_b64 s[0:1], s[2:3], 7
	v_addc_co_u32_e32 v5, vcc, v6, v5, vcc
	s_lshl_b64 s[2:3], s[14:15], 7
	v_mov_b32_e32 v10, 0
	v_mov_b32_e32 v12, 0
	;; [unrolled: 1-line block ×8, first 2 shown]
	v_lshlrev_b32_e32 v24, 4, v0
	v_mov_b32_e32 v11, 0
	v_mov_b32_e32 v26, s1
	v_mov_b32_e32 v13, 0
	v_mov_b32_e32 v15, 0
	v_mov_b32_e32 v17, 0
	v_mov_b32_e32 v7, 0
	v_mov_b32_e32 v9, 0
	v_mov_b32_e32 v21, 0
	v_mov_b32_e32 v19, 0
	v_mov_b32_e32 v27, s3
.LBB697_2:                              ; =>This Inner Loop Header: Depth=1
	flat_load_dwordx4 v[28:31], v[2:3]
	v_add_co_u32_e32 v2, vcc, s0, v2
	v_addc_co_u32_e32 v3, vcc, v3, v26, vcc
	s_add_i32 s9, s9, 8
	s_cmp_ge_i32 s9, s13
	s_waitcnt vmcnt(0) lgkmcnt(0)
	ds_write_b128 v22, v[28:31]
	flat_load_dwordx4 v[28:31], v[4:5]
	v_add_co_u32_e32 v4, vcc, s2, v4
	v_addc_co_u32_e32 v5, vcc, v5, v27, vcc
	s_waitcnt vmcnt(0) lgkmcnt(0)
	ds_write_b128 v23, v[28:31]
	s_waitcnt lgkmcnt(0)
	s_barrier
	ds_read_b128 v[28:31], v25
	ds_read_b128 v[32:35], v25 offset:16
	ds_read_b128 v[36:39], v25 offset:32
	;; [unrolled: 1-line block ×3, first 2 shown]
	ds_read_b128 v[44:47], v24
	s_waitcnt lgkmcnt(0)
	v_mul_f64 v[48:49], v[30:31], v[46:47]
	v_mul_f64 v[50:51], v[28:29], v[46:47]
	v_fma_f64 v[48:49], v[28:29], v[44:45], -v[48:49]
	v_fma_f64 v[50:51], v[30:31], v[44:45], v[50:51]
	v_add_f64 v[48:49], v[18:19], v[48:49]
	v_add_f64 v[50:51], v[50:51], v[20:21]
	ds_read_b128 v[18:21], v24 offset:256
	s_waitcnt lgkmcnt(0)
	v_mul_f64 v[52:53], v[30:31], v[20:21]
	v_fma_f64 v[52:53], v[28:29], v[18:19], -v[52:53]
	v_mul_f64 v[28:29], v[28:29], v[20:21]
	v_fma_f64 v[28:29], v[30:31], v[18:19], v[28:29]
	v_add_f64 v[30:31], v[8:9], v[52:53]
	v_add_f64 v[28:29], v[28:29], v[6:7]
	ds_read_b128 v[6:9], v25 offset:2048
	s_waitcnt lgkmcnt(0)
	v_mul_f64 v[52:53], v[8:9], v[46:47]
	v_mul_f64 v[46:47], v[6:7], v[46:47]
	v_fma_f64 v[52:53], v[6:7], v[44:45], -v[52:53]
	v_fma_f64 v[44:45], v[8:9], v[44:45], v[46:47]
	v_add_f64 v[46:47], v[16:17], v[52:53]
	v_add_f64 v[44:45], v[44:45], v[14:15]
	v_mul_f64 v[14:15], v[8:9], v[20:21]
	v_fma_f64 v[14:15], v[6:7], v[18:19], -v[14:15]
	v_mul_f64 v[6:7], v[6:7], v[20:21]
	v_fma_f64 v[6:7], v[8:9], v[18:19], v[6:7]
	v_add_f64 v[18:19], v[12:13], v[14:15]
	v_add_f64 v[20:21], v[6:7], v[10:11]
	ds_read_b128 v[6:9], v24 offset:512
	s_waitcnt lgkmcnt(0)
	v_mul_f64 v[10:11], v[34:35], v[8:9]
	v_mul_f64 v[12:13], v[32:33], v[8:9]
	v_fma_f64 v[10:11], v[32:33], v[6:7], -v[10:11]
	v_fma_f64 v[12:13], v[34:35], v[6:7], v[12:13]
	v_add_f64 v[48:49], v[48:49], v[10:11]
	v_add_f64 v[50:51], v[12:13], v[50:51]
	ds_read_b128 v[10:13], v24 offset:768
	s_waitcnt lgkmcnt(0)
	v_mul_f64 v[14:15], v[34:35], v[12:13]
	v_mul_f64 v[16:17], v[32:33], v[12:13]
	v_fma_f64 v[14:15], v[32:33], v[10:11], -v[14:15]
	;; [unrolled: 8-line block ×3, first 2 shown]
	v_fma_f64 v[6:7], v[16:17], v[6:7], v[8:9]
	v_mul_f64 v[8:9], v[14:15], v[12:13]
	v_add_f64 v[32:33], v[46:47], v[32:33]
	v_add_f64 v[34:35], v[6:7], v[44:45]
	v_mul_f64 v[6:7], v[16:17], v[12:13]
	v_fma_f64 v[8:9], v[16:17], v[10:11], v[8:9]
	v_fma_f64 v[6:7], v[14:15], v[10:11], -v[6:7]
	v_add_f64 v[20:21], v[8:9], v[20:21]
	v_add_f64 v[18:19], v[18:19], v[6:7]
	ds_read_b128 v[6:9], v24 offset:1024
	s_waitcnt lgkmcnt(0)
	v_mul_f64 v[10:11], v[38:39], v[8:9]
	v_mul_f64 v[12:13], v[36:37], v[8:9]
	v_fma_f64 v[10:11], v[36:37], v[6:7], -v[10:11]
	v_fma_f64 v[12:13], v[38:39], v[6:7], v[12:13]
	v_add_f64 v[44:45], v[48:49], v[10:11]
	v_add_f64 v[46:47], v[12:13], v[50:51]
	ds_read_b128 v[10:13], v24 offset:1280
	s_waitcnt lgkmcnt(0)
	v_mul_f64 v[14:15], v[38:39], v[12:13]
	v_mul_f64 v[16:17], v[36:37], v[12:13]
	v_fma_f64 v[14:15], v[36:37], v[10:11], -v[14:15]
	v_fma_f64 v[16:17], v[38:39], v[10:11], v[16:17]
	;; [unrolled: 8-line block ×3, first 2 shown]
	v_mul_f64 v[8:9], v[14:15], v[12:13]
	v_add_f64 v[32:33], v[32:33], v[36:37]
	v_add_f64 v[34:35], v[6:7], v[34:35]
	v_mul_f64 v[6:7], v[16:17], v[12:13]
	v_fma_f64 v[8:9], v[16:17], v[10:11], v[8:9]
	v_fma_f64 v[6:7], v[14:15], v[10:11], -v[6:7]
	v_add_f64 v[20:21], v[8:9], v[20:21]
	v_add_f64 v[18:19], v[18:19], v[6:7]
	ds_read_b128 v[6:9], v24 offset:1536
	s_waitcnt lgkmcnt(0)
	v_mul_f64 v[10:11], v[42:43], v[8:9]
	v_mul_f64 v[12:13], v[40:41], v[8:9]
	v_fma_f64 v[10:11], v[40:41], v[6:7], -v[10:11]
	v_fma_f64 v[12:13], v[42:43], v[6:7], v[12:13]
	v_add_f64 v[36:37], v[44:45], v[10:11]
	v_add_f64 v[38:39], v[12:13], v[46:47]
	ds_read_b128 v[10:13], v24 offset:1792
	s_waitcnt lgkmcnt(0)
	v_mul_f64 v[14:15], v[42:43], v[12:13]
	v_mul_f64 v[16:17], v[40:41], v[12:13]
	v_fma_f64 v[14:15], v[40:41], v[10:11], -v[14:15]
	v_fma_f64 v[16:17], v[42:43], v[10:11], v[16:17]
	;; [unrolled: 8-line block ×3, first 2 shown]
	v_mul_f64 v[8:9], v[14:15], v[12:13]
	v_add_f64 v[32:33], v[32:33], v[40:41]
	v_add_f64 v[34:35], v[6:7], v[34:35]
	v_mul_f64 v[6:7], v[16:17], v[12:13]
	v_fma_f64 v[8:9], v[16:17], v[10:11], v[8:9]
	v_fma_f64 v[6:7], v[14:15], v[10:11], -v[6:7]
	v_add_f64 v[20:21], v[8:9], v[20:21]
	v_add_f64 v[18:19], v[18:19], v[6:7]
	ds_read_b128 v[6:9], v25 offset:64
	ds_read_b128 v[10:13], v24 offset:2048
	s_waitcnt lgkmcnt(0)
	v_mul_f64 v[14:15], v[8:9], v[12:13]
	v_mul_f64 v[16:17], v[6:7], v[12:13]
	v_fma_f64 v[14:15], v[6:7], v[10:11], -v[14:15]
	v_fma_f64 v[16:17], v[8:9], v[10:11], v[16:17]
	v_add_f64 v[36:37], v[36:37], v[14:15]
	v_add_f64 v[38:39], v[16:17], v[38:39]
	ds_read_b128 v[14:17], v24 offset:2304
	s_waitcnt lgkmcnt(0)
	v_mul_f64 v[40:41], v[8:9], v[16:17]
	v_fma_f64 v[40:41], v[6:7], v[14:15], -v[40:41]
	v_mul_f64 v[6:7], v[6:7], v[16:17]
	v_add_f64 v[30:31], v[30:31], v[40:41]
	v_fma_f64 v[6:7], v[8:9], v[14:15], v[6:7]
	v_add_f64 v[28:29], v[6:7], v[28:29]
	ds_read_b128 v[6:9], v25 offset:2112
	s_waitcnt lgkmcnt(0)
	v_mul_f64 v[40:41], v[8:9], v[12:13]
	v_mul_f64 v[12:13], v[6:7], v[12:13]
	v_fma_f64 v[40:41], v[6:7], v[10:11], -v[40:41]
	v_fma_f64 v[10:11], v[8:9], v[10:11], v[12:13]
	v_add_f64 v[32:33], v[32:33], v[40:41]
	v_add_f64 v[34:35], v[10:11], v[34:35]
	v_mul_f64 v[10:11], v[8:9], v[16:17]
	v_fma_f64 v[10:11], v[6:7], v[14:15], -v[10:11]
	v_mul_f64 v[6:7], v[6:7], v[16:17]
	v_add_f64 v[18:19], v[18:19], v[10:11]
	v_fma_f64 v[6:7], v[8:9], v[14:15], v[6:7]
	v_add_f64 v[20:21], v[6:7], v[20:21]
	ds_read_b128 v[6:9], v25 offset:80
	ds_read_b128 v[10:13], v24 offset:2560
	s_waitcnt lgkmcnt(0)
	v_mul_f64 v[14:15], v[8:9], v[12:13]
	v_mul_f64 v[16:17], v[6:7], v[12:13]
	v_fma_f64 v[14:15], v[6:7], v[10:11], -v[14:15]
	v_fma_f64 v[16:17], v[8:9], v[10:11], v[16:17]
	v_add_f64 v[36:37], v[36:37], v[14:15]
	v_add_f64 v[38:39], v[16:17], v[38:39]
	ds_read_b128 v[14:17], v24 offset:2816
	s_waitcnt lgkmcnt(0)
	v_mul_f64 v[40:41], v[8:9], v[16:17]
	v_fma_f64 v[40:41], v[6:7], v[14:15], -v[40:41]
	v_mul_f64 v[6:7], v[6:7], v[16:17]
	v_add_f64 v[30:31], v[30:31], v[40:41]
	v_fma_f64 v[6:7], v[8:9], v[14:15], v[6:7]
	v_add_f64 v[28:29], v[6:7], v[28:29]
	ds_read_b128 v[6:9], v25 offset:2128
	s_waitcnt lgkmcnt(0)
	v_mul_f64 v[40:41], v[8:9], v[12:13]
	v_mul_f64 v[12:13], v[6:7], v[12:13]
	v_fma_f64 v[40:41], v[6:7], v[10:11], -v[40:41]
	v_fma_f64 v[10:11], v[8:9], v[10:11], v[12:13]
	v_add_f64 v[32:33], v[32:33], v[40:41]
	v_add_f64 v[34:35], v[10:11], v[34:35]
	v_mul_f64 v[10:11], v[8:9], v[16:17]
	v_fma_f64 v[10:11], v[6:7], v[14:15], -v[10:11]
	v_mul_f64 v[6:7], v[6:7], v[16:17]
	v_add_f64 v[18:19], v[18:19], v[10:11]
	v_fma_f64 v[6:7], v[8:9], v[14:15], v[6:7]
	;; [unrolled: 31-line block ×3, first 2 shown]
	v_add_f64 v[50:51], v[6:7], v[20:21]
	ds_read_b128 v[6:9], v25 offset:112
	ds_read_b128 v[10:13], v24 offset:3584
	;; [unrolled: 1-line block ×4, first 2 shown]
	s_waitcnt lgkmcnt(0)
	s_barrier
	v_mul_f64 v[14:15], v[8:9], v[12:13]
	v_mul_f64 v[16:17], v[6:7], v[12:13]
	v_fma_f64 v[14:15], v[6:7], v[10:11], -v[14:15]
	v_fma_f64 v[16:17], v[8:9], v[10:11], v[16:17]
	v_add_f64 v[18:19], v[36:37], v[14:15]
	v_mul_f64 v[14:15], v[8:9], v[30:31]
	v_add_f64 v[20:21], v[16:17], v[38:39]
	v_fma_f64 v[14:15], v[6:7], v[28:29], -v[14:15]
	v_mul_f64 v[6:7], v[6:7], v[30:31]
	v_fma_f64 v[6:7], v[8:9], v[28:29], v[6:7]
	v_add_f64 v[8:9], v[40:41], v[14:15]
	v_mul_f64 v[14:15], v[34:35], v[12:13]
	v_mul_f64 v[12:13], v[32:33], v[12:13]
	v_add_f64 v[6:7], v[6:7], v[42:43]
	v_fma_f64 v[14:15], v[32:33], v[10:11], -v[14:15]
	v_fma_f64 v[10:11], v[34:35], v[10:11], v[12:13]
	v_mul_f64 v[12:13], v[32:33], v[30:31]
	v_add_f64 v[16:17], v[44:45], v[14:15]
	v_add_f64 v[14:15], v[10:11], v[46:47]
	v_mul_f64 v[10:11], v[34:35], v[30:31]
	v_fma_f64 v[10:11], v[32:33], v[28:29], -v[10:11]
	v_fma_f64 v[28:29], v[34:35], v[28:29], v[12:13]
	v_add_f64 v[12:13], v[48:49], v[10:11]
	v_add_f64 v[10:11], v[28:29], v[50:51]
	s_cbranch_scc0 .LBB697_2
	s_branch .LBB697_4
.LBB697_3:
	v_mov_b32_e32 v18, 0
	v_mov_b32_e32 v20, 0
	;; [unrolled: 1-line block ×16, first 2 shown]
.LBB697_4:
	s_load_dword s8, s[4:5], 0x40
	v_add_u32_e32 v4, s7, v1
	s_waitcnt lgkmcnt(0)
	v_mov_b32_e32 v3, s11
	v_add_u32_e32 v0, s6, v0
	v_mad_i64_i32 v[1:2], s[0:1], v4, s8, 0
	v_cmp_le_i32_e64 s[0:1], v4, v0
	v_lshlrev_b64 v[1:2], 4, v[1:2]
	v_add_co_u32_e32 v5, vcc, s10, v1
	v_addc_co_u32_e32 v22, vcc, v3, v2, vcc
	v_cmp_gt_i32_e32 vcc, s12, v0
	s_and_b64 s[0:1], s[0:1], vcc
	s_and_saveexec_b64 s[2:3], s[0:1]
	s_cbranch_execz .LBB697_6
; %bb.5:
	v_ashrrev_i32_e32 v1, 31, v0
	v_lshlrev_b64 v[1:2], 4, v[0:1]
	v_add_co_u32_e64 v1, s[0:1], v5, v1
	v_addc_co_u32_e64 v2, s[0:1], v22, v2, s[0:1]
	flat_load_dwordx4 v[23:26], v[1:2]
	s_waitcnt vmcnt(0) lgkmcnt(0)
	v_add_f64 v[18:19], v[18:19], v[23:24]
	v_add_f64 v[20:21], v[20:21], v[25:26]
	flat_store_dwordx4 v[1:2], v[18:21]
.LBB697_6:
	s_or_b64 exec, exec, s[2:3]
	v_add_u32_e32 v2, 16, v0
	v_cmp_le_i32_e64 s[2:3], v4, v2
	v_cmp_gt_i32_e64 s[0:1], s12, v2
	s_and_b64 s[2:3], s[2:3], s[0:1]
	s_and_saveexec_b64 s[4:5], s[2:3]
	s_cbranch_execz .LBB697_8
; %bb.7:
	v_ashrrev_i32_e32 v3, 31, v2
	v_lshlrev_b64 v[18:19], 4, v[2:3]
	v_add_co_u32_e64 v23, s[2:3], v5, v18
	v_addc_co_u32_e64 v24, s[2:3], v22, v19, s[2:3]
	flat_load_dwordx4 v[18:21], v[23:24]
	s_waitcnt vmcnt(0) lgkmcnt(0)
	v_add_f64 v[18:19], v[8:9], v[18:19]
	v_add_f64 v[20:21], v[6:7], v[20:21]
	flat_store_dwordx4 v[23:24], v[18:21]
.LBB697_8:
	s_or_b64 exec, exec, s[4:5]
	v_add_u32_e32 v3, 16, v4
	v_mad_i64_i32 v[4:5], s[2:3], v3, s8, 0
	v_mov_b32_e32 v1, s11
	v_lshlrev_b64 v[4:5], 4, v[4:5]
	v_add_co_u32_e64 v4, s[2:3], s10, v4
	v_addc_co_u32_e64 v5, s[2:3], v1, v5, s[2:3]
	v_cmp_le_i32_e64 s[2:3], v3, v0
	s_and_b64 s[4:5], s[2:3], vcc
	s_and_saveexec_b64 s[2:3], s[4:5]
	s_cbranch_execz .LBB697_10
; %bb.9:
	v_ashrrev_i32_e32 v1, 31, v0
	v_lshlrev_b64 v[0:1], 4, v[0:1]
	v_add_co_u32_e32 v0, vcc, v4, v0
	v_addc_co_u32_e32 v1, vcc, v5, v1, vcc
	flat_load_dwordx4 v[6:9], v[0:1]
	s_waitcnt vmcnt(0) lgkmcnt(0)
	v_add_f64 v[6:7], v[16:17], v[6:7]
	v_add_f64 v[8:9], v[14:15], v[8:9]
	flat_store_dwordx4 v[0:1], v[6:9]
.LBB697_10:
	s_or_b64 exec, exec, s[2:3]
	v_cmp_le_i32_e32 vcc, v3, v2
	s_and_b64 s[0:1], vcc, s[0:1]
	s_and_saveexec_b64 s[2:3], s[0:1]
	s_cbranch_execz .LBB697_12
; %bb.11:
	v_ashrrev_i32_e32 v3, 31, v2
	v_lshlrev_b64 v[0:1], 4, v[2:3]
	v_add_co_u32_e32 v4, vcc, v4, v0
	v_addc_co_u32_e32 v5, vcc, v5, v1, vcc
	flat_load_dwordx4 v[0:3], v[4:5]
	s_waitcnt vmcnt(0) lgkmcnt(0)
	v_add_f64 v[0:1], v[12:13], v[0:1]
	v_add_f64 v[2:3], v[10:11], v[2:3]
	flat_store_dwordx4 v[4:5], v[0:3]
.LBB697_12:
	s_endpgm
	.section	.rodata,"a",@progbits
	.p2align	6, 0x0
	.amdhsa_kernel _ZL37rocblas_syrkx_herkx_restricted_kernelIi19rocblas_complex_numIdELi16ELi32ELi8ELi1ELi1ELb0ELc78ELc76EKPKS1_KPS1_EviT_PT9_S7_lS9_S7_lPT10_S7_li
		.amdhsa_group_segment_fixed_size 8192
		.amdhsa_private_segment_fixed_size 0
		.amdhsa_kernarg_size 84
		.amdhsa_user_sgpr_count 6
		.amdhsa_user_sgpr_private_segment_buffer 1
		.amdhsa_user_sgpr_dispatch_ptr 0
		.amdhsa_user_sgpr_queue_ptr 0
		.amdhsa_user_sgpr_kernarg_segment_ptr 1
		.amdhsa_user_sgpr_dispatch_id 0
		.amdhsa_user_sgpr_flat_scratch_init 0
		.amdhsa_user_sgpr_private_segment_size 0
		.amdhsa_uses_dynamic_stack 0
		.amdhsa_system_sgpr_private_segment_wavefront_offset 0
		.amdhsa_system_sgpr_workgroup_id_x 1
		.amdhsa_system_sgpr_workgroup_id_y 1
		.amdhsa_system_sgpr_workgroup_id_z 1
		.amdhsa_system_sgpr_workgroup_info 0
		.amdhsa_system_vgpr_workitem_id 1
		.amdhsa_next_free_vgpr 54
		.amdhsa_next_free_sgpr 61
		.amdhsa_reserve_vcc 1
		.amdhsa_reserve_flat_scratch 0
		.amdhsa_float_round_mode_32 0
		.amdhsa_float_round_mode_16_64 0
		.amdhsa_float_denorm_mode_32 3
		.amdhsa_float_denorm_mode_16_64 3
		.amdhsa_dx10_clamp 1
		.amdhsa_ieee_mode 1
		.amdhsa_fp16_overflow 0
		.amdhsa_exception_fp_ieee_invalid_op 0
		.amdhsa_exception_fp_denorm_src 0
		.amdhsa_exception_fp_ieee_div_zero 0
		.amdhsa_exception_fp_ieee_overflow 0
		.amdhsa_exception_fp_ieee_underflow 0
		.amdhsa_exception_fp_ieee_inexact 0
		.amdhsa_exception_int_div_zero 0
	.end_amdhsa_kernel
	.section	.text._ZL37rocblas_syrkx_herkx_restricted_kernelIi19rocblas_complex_numIdELi16ELi32ELi8ELi1ELi1ELb0ELc78ELc76EKPKS1_KPS1_EviT_PT9_S7_lS9_S7_lPT10_S7_li,"axG",@progbits,_ZL37rocblas_syrkx_herkx_restricted_kernelIi19rocblas_complex_numIdELi16ELi32ELi8ELi1ELi1ELb0ELc78ELc76EKPKS1_KPS1_EviT_PT9_S7_lS9_S7_lPT10_S7_li,comdat
.Lfunc_end697:
	.size	_ZL37rocblas_syrkx_herkx_restricted_kernelIi19rocblas_complex_numIdELi16ELi32ELi8ELi1ELi1ELb0ELc78ELc76EKPKS1_KPS1_EviT_PT9_S7_lS9_S7_lPT10_S7_li, .Lfunc_end697-_ZL37rocblas_syrkx_herkx_restricted_kernelIi19rocblas_complex_numIdELi16ELi32ELi8ELi1ELi1ELb0ELc78ELc76EKPKS1_KPS1_EviT_PT9_S7_lS9_S7_lPT10_S7_li
                                        ; -- End function
	.set _ZL37rocblas_syrkx_herkx_restricted_kernelIi19rocblas_complex_numIdELi16ELi32ELi8ELi1ELi1ELb0ELc78ELc76EKPKS1_KPS1_EviT_PT9_S7_lS9_S7_lPT10_S7_li.num_vgpr, 54
	.set _ZL37rocblas_syrkx_herkx_restricted_kernelIi19rocblas_complex_numIdELi16ELi32ELi8ELi1ELi1ELb0ELc78ELc76EKPKS1_KPS1_EviT_PT9_S7_lS9_S7_lPT10_S7_li.num_agpr, 0
	.set _ZL37rocblas_syrkx_herkx_restricted_kernelIi19rocblas_complex_numIdELi16ELi32ELi8ELi1ELi1ELb0ELc78ELc76EKPKS1_KPS1_EviT_PT9_S7_lS9_S7_lPT10_S7_li.numbered_sgpr, 20
	.set _ZL37rocblas_syrkx_herkx_restricted_kernelIi19rocblas_complex_numIdELi16ELi32ELi8ELi1ELi1ELb0ELc78ELc76EKPKS1_KPS1_EviT_PT9_S7_lS9_S7_lPT10_S7_li.num_named_barrier, 0
	.set _ZL37rocblas_syrkx_herkx_restricted_kernelIi19rocblas_complex_numIdELi16ELi32ELi8ELi1ELi1ELb0ELc78ELc76EKPKS1_KPS1_EviT_PT9_S7_lS9_S7_lPT10_S7_li.private_seg_size, 0
	.set _ZL37rocblas_syrkx_herkx_restricted_kernelIi19rocblas_complex_numIdELi16ELi32ELi8ELi1ELi1ELb0ELc78ELc76EKPKS1_KPS1_EviT_PT9_S7_lS9_S7_lPT10_S7_li.uses_vcc, 1
	.set _ZL37rocblas_syrkx_herkx_restricted_kernelIi19rocblas_complex_numIdELi16ELi32ELi8ELi1ELi1ELb0ELc78ELc76EKPKS1_KPS1_EviT_PT9_S7_lS9_S7_lPT10_S7_li.uses_flat_scratch, 0
	.set _ZL37rocblas_syrkx_herkx_restricted_kernelIi19rocblas_complex_numIdELi16ELi32ELi8ELi1ELi1ELb0ELc78ELc76EKPKS1_KPS1_EviT_PT9_S7_lS9_S7_lPT10_S7_li.has_dyn_sized_stack, 0
	.set _ZL37rocblas_syrkx_herkx_restricted_kernelIi19rocblas_complex_numIdELi16ELi32ELi8ELi1ELi1ELb0ELc78ELc76EKPKS1_KPS1_EviT_PT9_S7_lS9_S7_lPT10_S7_li.has_recursion, 0
	.set _ZL37rocblas_syrkx_herkx_restricted_kernelIi19rocblas_complex_numIdELi16ELi32ELi8ELi1ELi1ELb0ELc78ELc76EKPKS1_KPS1_EviT_PT9_S7_lS9_S7_lPT10_S7_li.has_indirect_call, 0
	.section	.AMDGPU.csdata,"",@progbits
; Kernel info:
; codeLenInByte = 2832
; TotalNumSgprs: 24
; NumVgprs: 54
; ScratchSize: 0
; MemoryBound: 0
; FloatMode: 240
; IeeeMode: 1
; LDSByteSize: 8192 bytes/workgroup (compile time only)
; SGPRBlocks: 8
; VGPRBlocks: 13
; NumSGPRsForWavesPerEU: 65
; NumVGPRsForWavesPerEU: 54
; Occupancy: 4
; WaveLimiterHint : 1
; COMPUTE_PGM_RSRC2:SCRATCH_EN: 0
; COMPUTE_PGM_RSRC2:USER_SGPR: 6
; COMPUTE_PGM_RSRC2:TRAP_HANDLER: 0
; COMPUTE_PGM_RSRC2:TGID_X_EN: 1
; COMPUTE_PGM_RSRC2:TGID_Y_EN: 1
; COMPUTE_PGM_RSRC2:TGID_Z_EN: 1
; COMPUTE_PGM_RSRC2:TIDIG_COMP_CNT: 1
	.section	.text._ZL37rocblas_syrkx_herkx_restricted_kernelIi19rocblas_complex_numIdELi16ELi32ELi8ELi1ELi1ELb0ELc84ELc85EKPKS1_KPS1_EviT_PT9_S7_lS9_S7_lPT10_S7_li,"axG",@progbits,_ZL37rocblas_syrkx_herkx_restricted_kernelIi19rocblas_complex_numIdELi16ELi32ELi8ELi1ELi1ELb0ELc84ELc85EKPKS1_KPS1_EviT_PT9_S7_lS9_S7_lPT10_S7_li,comdat
	.globl	_ZL37rocblas_syrkx_herkx_restricted_kernelIi19rocblas_complex_numIdELi16ELi32ELi8ELi1ELi1ELb0ELc84ELc85EKPKS1_KPS1_EviT_PT9_S7_lS9_S7_lPT10_S7_li ; -- Begin function _ZL37rocblas_syrkx_herkx_restricted_kernelIi19rocblas_complex_numIdELi16ELi32ELi8ELi1ELi1ELb0ELc84ELc85EKPKS1_KPS1_EviT_PT9_S7_lS9_S7_lPT10_S7_li
	.p2align	8
	.type	_ZL37rocblas_syrkx_herkx_restricted_kernelIi19rocblas_complex_numIdELi16ELi32ELi8ELi1ELi1ELb0ELc84ELc85EKPKS1_KPS1_EviT_PT9_S7_lS9_S7_lPT10_S7_li,@function
_ZL37rocblas_syrkx_herkx_restricted_kernelIi19rocblas_complex_numIdELi16ELi32ELi8ELi1ELi1ELb0ELc84ELc85EKPKS1_KPS1_EviT_PT9_S7_lS9_S7_lPT10_S7_li: ; @_ZL37rocblas_syrkx_herkx_restricted_kernelIi19rocblas_complex_numIdELi16ELi32ELi8ELi1ELi1ELb0ELc84ELc85EKPKS1_KPS1_EviT_PT9_S7_lS9_S7_lPT10_S7_li
; %bb.0:
	s_load_dwordx2 s[10:11], s[4:5], 0x38
	s_load_dwordx2 s[2:3], s[4:5], 0x0
	s_mov_b32 s9, 0
	s_lshl_b64 s[0:1], s[8:9], 3
	s_waitcnt lgkmcnt(0)
	s_add_u32 s10, s10, s0
	s_addc_u32 s11, s11, s1
	s_load_dwordx2 s[10:11], s[10:11], 0x0
	s_lshl_b32 s6, s6, 5
	s_lshl_b32 s7, s7, 5
	s_cmp_lt_i32 s3, 1
	s_cbranch_scc1 .LBB698_3
; %bb.1:
	s_load_dwordx2 s[12:13], s[4:5], 0x8
	s_load_dword s8, s[4:5], 0x10
	s_load_dwordx2 s[14:15], s[4:5], 0x20
	s_load_dword s16, s[4:5], 0x28
	v_lshl_add_u32 v6, v1, 4, v0
	s_waitcnt lgkmcnt(0)
	s_add_u32 s12, s12, s0
	s_addc_u32 s13, s13, s1
	v_lshrrev_b32_e32 v8, 3, v6
	s_add_u32 s0, s14, s0
	v_add_u32_e32 v4, s7, v8
	v_and_b32_e32 v2, 7, v0
	v_mov_b32_e32 v3, 0
	s_addc_u32 s1, s15, s1
	v_mad_i64_i32 v[4:5], s[14:15], s16, v4, v[2:3]
	v_and_b32_e32 v9, 31, v6
	v_lshlrev_b32_e32 v2, 4, v2
	v_lshrrev_b32_e32 v6, 5, v6
	v_mov_b32_e32 v7, v3
	v_lshlrev_b32_e32 v3, 4, v9
	v_lshl_or_b32 v8, v8, 7, v2
	v_add_u32_e32 v2, s6, v9
	v_lshl_or_b32 v22, v6, 9, v3
	v_mad_i64_i32 v[2:3], s[14:15], s8, v2, v[6:7]
	s_load_dwordx2 s[12:13], s[12:13], 0x0
	v_lshlrev_b64 v[4:5], 4, v[4:5]
	s_load_dwordx2 s[0:1], s[0:1], 0x0
	v_lshlrev_b64 v[2:3], 4, v[2:3]
	v_add_u32_e32 v23, 0x1000, v8
	s_waitcnt lgkmcnt(0)
	v_mov_b32_e32 v6, s13
	v_add_co_u32_e32 v2, vcc, s12, v2
	v_addc_co_u32_e32 v3, vcc, v6, v3, vcc
	v_mov_b32_e32 v6, s1
	v_add_co_u32_e32 v4, vcc, s0, v4
	v_mov_b32_e32 v25, 0x1000
	v_addc_co_u32_e32 v5, vcc, v6, v5, vcc
	v_mov_b32_e32 v10, 0
	v_mov_b32_e32 v12, 0
	;; [unrolled: 1-line block ×8, first 2 shown]
	v_lshlrev_b32_e32 v24, 4, v0
	v_mov_b32_e32 v11, 0
	v_mov_b32_e32 v13, 0
	;; [unrolled: 1-line block ×8, first 2 shown]
	v_lshl_add_u32 v25, v1, 7, v25
.LBB698_2:                              ; =>This Inner Loop Header: Depth=1
	flat_load_dwordx4 v[26:29], v[2:3]
	v_add_co_u32_e32 v2, vcc, 0x80, v2
	v_addc_co_u32_e32 v3, vcc, 0, v3, vcc
	s_add_i32 s9, s9, 8
	s_cmp_ge_i32 s9, s3
	s_waitcnt vmcnt(0) lgkmcnt(0)
	ds_write_b128 v22, v[26:29]
	flat_load_dwordx4 v[26:29], v[4:5]
	v_add_co_u32_e32 v4, vcc, 0x80, v4
	v_addc_co_u32_e32 v5, vcc, 0, v5, vcc
	s_waitcnt vmcnt(0) lgkmcnt(0)
	ds_write_b128 v23, v[26:29]
	s_waitcnt lgkmcnt(0)
	s_barrier
	ds_read_b128 v[26:29], v25
	ds_read_b128 v[30:33], v25 offset:16
	ds_read_b128 v[34:37], v25 offset:32
	ds_read_b128 v[38:41], v25 offset:48
	ds_read_b128 v[42:45], v24
	s_waitcnt lgkmcnt(0)
	v_mul_f64 v[46:47], v[28:29], v[44:45]
	v_mul_f64 v[48:49], v[26:27], v[44:45]
	v_fma_f64 v[46:47], v[26:27], v[42:43], -v[46:47]
	v_fma_f64 v[48:49], v[28:29], v[42:43], v[48:49]
	v_add_f64 v[46:47], v[14:15], v[46:47]
	v_add_f64 v[48:49], v[48:49], v[16:17]
	ds_read_b128 v[14:17], v24 offset:256
	s_waitcnt lgkmcnt(0)
	v_mul_f64 v[50:51], v[28:29], v[16:17]
	v_fma_f64 v[50:51], v[26:27], v[14:15], -v[50:51]
	v_mul_f64 v[26:27], v[26:27], v[16:17]
	v_fma_f64 v[26:27], v[28:29], v[14:15], v[26:27]
	v_add_f64 v[28:29], v[8:9], v[50:51]
	v_add_f64 v[26:27], v[26:27], v[6:7]
	ds_read_b128 v[6:9], v25 offset:2048
	s_waitcnt lgkmcnt(0)
	v_mul_f64 v[50:51], v[8:9], v[44:45]
	v_mul_f64 v[44:45], v[6:7], v[44:45]
	v_fma_f64 v[50:51], v[6:7], v[42:43], -v[50:51]
	v_fma_f64 v[42:43], v[8:9], v[42:43], v[44:45]
	v_add_f64 v[20:21], v[20:21], v[50:51]
	v_add_f64 v[18:19], v[42:43], v[18:19]
	v_mul_f64 v[42:43], v[8:9], v[16:17]
	v_fma_f64 v[42:43], v[6:7], v[14:15], -v[42:43]
	v_mul_f64 v[6:7], v[6:7], v[16:17]
	v_add_f64 v[42:43], v[12:13], v[42:43]
	v_fma_f64 v[6:7], v[8:9], v[14:15], v[6:7]
	v_add_f64 v[44:45], v[6:7], v[10:11]
	ds_read_b128 v[6:9], v24 offset:512
	s_waitcnt lgkmcnt(0)
	v_mul_f64 v[10:11], v[32:33], v[8:9]
	v_mul_f64 v[12:13], v[30:31], v[8:9]
	v_fma_f64 v[10:11], v[30:31], v[6:7], -v[10:11]
	v_fma_f64 v[12:13], v[32:33], v[6:7], v[12:13]
	v_add_f64 v[46:47], v[46:47], v[10:11]
	v_add_f64 v[48:49], v[12:13], v[48:49]
	ds_read_b128 v[10:13], v24 offset:768
	s_waitcnt lgkmcnt(0)
	v_mul_f64 v[14:15], v[32:33], v[12:13]
	v_mul_f64 v[16:17], v[30:31], v[12:13]
	v_fma_f64 v[14:15], v[30:31], v[10:11], -v[14:15]
	v_fma_f64 v[16:17], v[32:33], v[10:11], v[16:17]
	v_add_f64 v[28:29], v[28:29], v[14:15]
	v_add_f64 v[26:27], v[16:17], v[26:27]
	ds_read_b128 v[14:17], v25 offset:2064
	s_waitcnt lgkmcnt(0)
	v_mul_f64 v[30:31], v[16:17], v[8:9]
	v_mul_f64 v[8:9], v[14:15], v[8:9]
	v_fma_f64 v[30:31], v[14:15], v[6:7], -v[30:31]
	v_fma_f64 v[6:7], v[16:17], v[6:7], v[8:9]
	v_mul_f64 v[8:9], v[14:15], v[12:13]
	v_add_f64 v[20:21], v[20:21], v[30:31]
	v_add_f64 v[18:19], v[6:7], v[18:19]
	v_mul_f64 v[6:7], v[16:17], v[12:13]
	v_fma_f64 v[8:9], v[16:17], v[10:11], v[8:9]
	v_fma_f64 v[6:7], v[14:15], v[10:11], -v[6:7]
	v_add_f64 v[32:33], v[8:9], v[44:45]
	v_add_f64 v[30:31], v[42:43], v[6:7]
	ds_read_b128 v[6:9], v24 offset:1024
	s_waitcnt lgkmcnt(0)
	v_mul_f64 v[10:11], v[36:37], v[8:9]
	v_mul_f64 v[12:13], v[34:35], v[8:9]
	v_fma_f64 v[10:11], v[34:35], v[6:7], -v[10:11]
	v_fma_f64 v[12:13], v[36:37], v[6:7], v[12:13]
	v_add_f64 v[42:43], v[46:47], v[10:11]
	v_add_f64 v[44:45], v[12:13], v[48:49]
	ds_read_b128 v[10:13], v24 offset:1280
	s_waitcnt lgkmcnt(0)
	v_mul_f64 v[14:15], v[36:37], v[12:13]
	v_mul_f64 v[16:17], v[34:35], v[12:13]
	v_fma_f64 v[14:15], v[34:35], v[10:11], -v[14:15]
	v_fma_f64 v[16:17], v[36:37], v[10:11], v[16:17]
	v_add_f64 v[28:29], v[28:29], v[14:15]
	v_add_f64 v[26:27], v[16:17], v[26:27]
	ds_read_b128 v[14:17], v25 offset:2080
	s_waitcnt lgkmcnt(0)
	v_mul_f64 v[34:35], v[16:17], v[8:9]
	v_mul_f64 v[8:9], v[14:15], v[8:9]
	v_fma_f64 v[34:35], v[14:15], v[6:7], -v[34:35]
	v_fma_f64 v[6:7], v[16:17], v[6:7], v[8:9]
	v_mul_f64 v[8:9], v[14:15], v[12:13]
	v_add_f64 v[20:21], v[20:21], v[34:35]
	v_add_f64 v[18:19], v[6:7], v[18:19]
	v_mul_f64 v[6:7], v[16:17], v[12:13]
	v_fma_f64 v[8:9], v[16:17], v[10:11], v[8:9]
	v_fma_f64 v[6:7], v[14:15], v[10:11], -v[6:7]
	v_add_f64 v[32:33], v[8:9], v[32:33]
	;; [unrolled: 30-line block ×3, first 2 shown]
	v_add_f64 v[30:31], v[30:31], v[6:7]
	ds_read_b128 v[6:9], v25 offset:64
	ds_read_b128 v[10:13], v24 offset:2048
	s_waitcnt lgkmcnt(0)
	v_mul_f64 v[14:15], v[8:9], v[12:13]
	v_mul_f64 v[16:17], v[6:7], v[12:13]
	v_fma_f64 v[14:15], v[6:7], v[10:11], -v[14:15]
	v_fma_f64 v[16:17], v[8:9], v[10:11], v[16:17]
	v_add_f64 v[34:35], v[34:35], v[14:15]
	v_add_f64 v[36:37], v[16:17], v[36:37]
	ds_read_b128 v[14:17], v24 offset:2304
	s_waitcnt lgkmcnt(0)
	v_mul_f64 v[38:39], v[8:9], v[16:17]
	v_fma_f64 v[38:39], v[6:7], v[14:15], -v[38:39]
	v_mul_f64 v[6:7], v[6:7], v[16:17]
	v_add_f64 v[28:29], v[28:29], v[38:39]
	v_fma_f64 v[6:7], v[8:9], v[14:15], v[6:7]
	v_add_f64 v[26:27], v[6:7], v[26:27]
	ds_read_b128 v[6:9], v25 offset:2112
	s_waitcnt lgkmcnt(0)
	v_mul_f64 v[38:39], v[8:9], v[12:13]
	v_mul_f64 v[12:13], v[6:7], v[12:13]
	v_fma_f64 v[38:39], v[6:7], v[10:11], -v[38:39]
	v_fma_f64 v[10:11], v[8:9], v[10:11], v[12:13]
	v_add_f64 v[20:21], v[20:21], v[38:39]
	v_add_f64 v[18:19], v[10:11], v[18:19]
	v_mul_f64 v[10:11], v[8:9], v[16:17]
	v_fma_f64 v[10:11], v[6:7], v[14:15], -v[10:11]
	v_mul_f64 v[6:7], v[6:7], v[16:17]
	v_add_f64 v[30:31], v[30:31], v[10:11]
	v_fma_f64 v[6:7], v[8:9], v[14:15], v[6:7]
	v_add_f64 v[32:33], v[6:7], v[32:33]
	ds_read_b128 v[6:9], v25 offset:80
	ds_read_b128 v[10:13], v24 offset:2560
	s_waitcnt lgkmcnt(0)
	v_mul_f64 v[14:15], v[8:9], v[12:13]
	v_mul_f64 v[16:17], v[6:7], v[12:13]
	v_fma_f64 v[14:15], v[6:7], v[10:11], -v[14:15]
	v_fma_f64 v[16:17], v[8:9], v[10:11], v[16:17]
	v_add_f64 v[34:35], v[34:35], v[14:15]
	v_add_f64 v[36:37], v[16:17], v[36:37]
	ds_read_b128 v[14:17], v24 offset:2816
	s_waitcnt lgkmcnt(0)
	v_mul_f64 v[38:39], v[8:9], v[16:17]
	v_fma_f64 v[38:39], v[6:7], v[14:15], -v[38:39]
	v_mul_f64 v[6:7], v[6:7], v[16:17]
	v_add_f64 v[28:29], v[28:29], v[38:39]
	v_fma_f64 v[6:7], v[8:9], v[14:15], v[6:7]
	v_add_f64 v[26:27], v[6:7], v[26:27]
	ds_read_b128 v[6:9], v25 offset:2128
	s_waitcnt lgkmcnt(0)
	v_mul_f64 v[38:39], v[8:9], v[12:13]
	v_mul_f64 v[12:13], v[6:7], v[12:13]
	v_fma_f64 v[38:39], v[6:7], v[10:11], -v[38:39]
	v_fma_f64 v[10:11], v[8:9], v[10:11], v[12:13]
	v_add_f64 v[20:21], v[20:21], v[38:39]
	v_add_f64 v[18:19], v[10:11], v[18:19]
	v_mul_f64 v[10:11], v[8:9], v[16:17]
	v_fma_f64 v[10:11], v[6:7], v[14:15], -v[10:11]
	v_mul_f64 v[6:7], v[6:7], v[16:17]
	v_add_f64 v[30:31], v[30:31], v[10:11]
	v_fma_f64 v[6:7], v[8:9], v[14:15], v[6:7]
	;; [unrolled: 31-line block ×3, first 2 shown]
	v_add_f64 v[44:45], v[6:7], v[32:33]
	ds_read_b128 v[6:9], v25 offset:112
	ds_read_b128 v[10:13], v24 offset:3584
	;; [unrolled: 1-line block ×3, first 2 shown]
	s_waitcnt lgkmcnt(1)
	v_mul_f64 v[14:15], v[8:9], v[12:13]
	s_waitcnt lgkmcnt(0)
	v_mul_f64 v[30:31], v[8:9], v[28:29]
	v_mul_f64 v[16:17], v[6:7], v[12:13]
	v_fma_f64 v[14:15], v[6:7], v[10:11], -v[14:15]
	v_fma_f64 v[30:31], v[6:7], v[26:27], -v[30:31]
	v_mul_f64 v[6:7], v[6:7], v[28:29]
	v_fma_f64 v[16:17], v[8:9], v[10:11], v[16:17]
	v_add_f64 v[14:15], v[34:35], v[14:15]
	v_fma_f64 v[6:7], v[8:9], v[26:27], v[6:7]
	v_add_f64 v[8:9], v[38:39], v[30:31]
	ds_read_b128 v[30:33], v25 offset:2160
	v_add_f64 v[16:17], v[16:17], v[36:37]
	s_waitcnt lgkmcnt(0)
	s_barrier
	v_mul_f64 v[34:35], v[32:33], v[12:13]
	v_mul_f64 v[12:13], v[30:31], v[12:13]
	v_add_f64 v[6:7], v[6:7], v[40:41]
	v_fma_f64 v[34:35], v[30:31], v[10:11], -v[34:35]
	v_fma_f64 v[10:11], v[32:33], v[10:11], v[12:13]
	v_mul_f64 v[12:13], v[30:31], v[28:29]
	v_add_f64 v[20:21], v[20:21], v[34:35]
	v_add_f64 v[18:19], v[10:11], v[18:19]
	v_mul_f64 v[10:11], v[32:33], v[28:29]
	v_fma_f64 v[10:11], v[30:31], v[26:27], -v[10:11]
	v_fma_f64 v[26:27], v[32:33], v[26:27], v[12:13]
	v_add_f64 v[12:13], v[42:43], v[10:11]
	v_add_f64 v[10:11], v[26:27], v[44:45]
	s_cbranch_scc0 .LBB698_2
	s_branch .LBB698_4
.LBB698_3:
	v_mov_b32_e32 v14, 0
	v_mov_b32_e32 v16, 0
	;; [unrolled: 1-line block ×16, first 2 shown]
.LBB698_4:
	s_load_dword s3, s[4:5], 0x40
	v_add_u32_e32 v4, s7, v1
	s_waitcnt lgkmcnt(0)
	v_mov_b32_e32 v3, s11
	v_add_u32_e32 v0, s6, v0
	v_cmp_gt_i32_e32 vcc, s2, v4
	v_mad_i64_i32 v[1:2], s[0:1], v4, s3, 0
	v_lshlrev_b64 v[1:2], 4, v[1:2]
	v_add_co_u32_e64 v5, s[0:1], s10, v1
	v_addc_co_u32_e64 v22, s[0:1], v3, v2, s[0:1]
	v_cmp_le_i32_e64 s[0:1], v0, v4
	s_and_b64 s[0:1], vcc, s[0:1]
	s_and_saveexec_b64 s[4:5], s[0:1]
	s_cbranch_execz .LBB698_6
; %bb.5:
	v_ashrrev_i32_e32 v1, 31, v0
	v_lshlrev_b64 v[1:2], 4, v[0:1]
	v_add_co_u32_e64 v1, s[0:1], v5, v1
	v_addc_co_u32_e64 v2, s[0:1], v22, v2, s[0:1]
	flat_load_dwordx4 v[23:26], v[1:2]
	s_waitcnt vmcnt(0) lgkmcnt(0)
	v_add_f64 v[14:15], v[14:15], v[23:24]
	v_add_f64 v[16:17], v[16:17], v[25:26]
	flat_store_dwordx4 v[1:2], v[14:17]
.LBB698_6:
	s_or_b64 exec, exec, s[4:5]
	v_add_u32_e32 v2, 16, v0
	v_cmp_le_i32_e64 s[0:1], v2, v4
	s_and_b64 s[4:5], vcc, s[0:1]
	s_and_saveexec_b64 s[0:1], s[4:5]
	s_cbranch_execz .LBB698_8
; %bb.7:
	v_ashrrev_i32_e32 v3, 31, v2
	v_lshlrev_b64 v[14:15], 4, v[2:3]
	v_add_co_u32_e32 v23, vcc, v5, v14
	v_addc_co_u32_e32 v24, vcc, v22, v15, vcc
	flat_load_dwordx4 v[14:17], v[23:24]
	s_waitcnt vmcnt(0) lgkmcnt(0)
	v_add_f64 v[14:15], v[8:9], v[14:15]
	v_add_f64 v[16:17], v[6:7], v[16:17]
	flat_store_dwordx4 v[23:24], v[14:17]
.LBB698_8:
	s_or_b64 exec, exec, s[0:1]
	v_add_u32_e32 v3, 16, v4
	v_mad_i64_i32 v[4:5], s[0:1], v3, s3, 0
	v_mov_b32_e32 v1, s11
	v_cmp_gt_i32_e32 vcc, s2, v3
	v_lshlrev_b64 v[4:5], 4, v[4:5]
	v_add_co_u32_e64 v4, s[0:1], s10, v4
	v_addc_co_u32_e64 v5, s[0:1], v1, v5, s[0:1]
	v_cmp_le_i32_e64 s[0:1], v0, v3
	s_and_b64 s[0:1], vcc, s[0:1]
	s_and_saveexec_b64 s[2:3], s[0:1]
	s_cbranch_execz .LBB698_10
; %bb.9:
	v_ashrrev_i32_e32 v1, 31, v0
	v_lshlrev_b64 v[0:1], 4, v[0:1]
	v_add_co_u32_e64 v0, s[0:1], v4, v0
	v_addc_co_u32_e64 v1, s[0:1], v5, v1, s[0:1]
	flat_load_dwordx4 v[6:9], v[0:1]
	s_waitcnt vmcnt(0) lgkmcnt(0)
	v_add_f64 v[6:7], v[20:21], v[6:7]
	v_add_f64 v[8:9], v[18:19], v[8:9]
	flat_store_dwordx4 v[0:1], v[6:9]
.LBB698_10:
	s_or_b64 exec, exec, s[2:3]
	v_cmp_le_i32_e64 s[0:1], v2, v3
	s_and_b64 s[0:1], vcc, s[0:1]
	s_and_saveexec_b64 s[2:3], s[0:1]
	s_cbranch_execz .LBB698_12
; %bb.11:
	v_ashrrev_i32_e32 v3, 31, v2
	v_lshlrev_b64 v[0:1], 4, v[2:3]
	v_add_co_u32_e32 v4, vcc, v4, v0
	v_addc_co_u32_e32 v5, vcc, v5, v1, vcc
	flat_load_dwordx4 v[0:3], v[4:5]
	s_waitcnt vmcnt(0) lgkmcnt(0)
	v_add_f64 v[0:1], v[12:13], v[0:1]
	v_add_f64 v[2:3], v[10:11], v[2:3]
	flat_store_dwordx4 v[4:5], v[0:3]
.LBB698_12:
	s_endpgm
	.section	.rodata,"a",@progbits
	.p2align	6, 0x0
	.amdhsa_kernel _ZL37rocblas_syrkx_herkx_restricted_kernelIi19rocblas_complex_numIdELi16ELi32ELi8ELi1ELi1ELb0ELc84ELc85EKPKS1_KPS1_EviT_PT9_S7_lS9_S7_lPT10_S7_li
		.amdhsa_group_segment_fixed_size 8192
		.amdhsa_private_segment_fixed_size 0
		.amdhsa_kernarg_size 84
		.amdhsa_user_sgpr_count 6
		.amdhsa_user_sgpr_private_segment_buffer 1
		.amdhsa_user_sgpr_dispatch_ptr 0
		.amdhsa_user_sgpr_queue_ptr 0
		.amdhsa_user_sgpr_kernarg_segment_ptr 1
		.amdhsa_user_sgpr_dispatch_id 0
		.amdhsa_user_sgpr_flat_scratch_init 0
		.amdhsa_user_sgpr_private_segment_size 0
		.amdhsa_uses_dynamic_stack 0
		.amdhsa_system_sgpr_private_segment_wavefront_offset 0
		.amdhsa_system_sgpr_workgroup_id_x 1
		.amdhsa_system_sgpr_workgroup_id_y 1
		.amdhsa_system_sgpr_workgroup_id_z 1
		.amdhsa_system_sgpr_workgroup_info 0
		.amdhsa_system_vgpr_workitem_id 1
		.amdhsa_next_free_vgpr 52
		.amdhsa_next_free_sgpr 61
		.amdhsa_reserve_vcc 1
		.amdhsa_reserve_flat_scratch 0
		.amdhsa_float_round_mode_32 0
		.amdhsa_float_round_mode_16_64 0
		.amdhsa_float_denorm_mode_32 3
		.amdhsa_float_denorm_mode_16_64 3
		.amdhsa_dx10_clamp 1
		.amdhsa_ieee_mode 1
		.amdhsa_fp16_overflow 0
		.amdhsa_exception_fp_ieee_invalid_op 0
		.amdhsa_exception_fp_denorm_src 0
		.amdhsa_exception_fp_ieee_div_zero 0
		.amdhsa_exception_fp_ieee_overflow 0
		.amdhsa_exception_fp_ieee_underflow 0
		.amdhsa_exception_fp_ieee_inexact 0
		.amdhsa_exception_int_div_zero 0
	.end_amdhsa_kernel
	.section	.text._ZL37rocblas_syrkx_herkx_restricted_kernelIi19rocblas_complex_numIdELi16ELi32ELi8ELi1ELi1ELb0ELc84ELc85EKPKS1_KPS1_EviT_PT9_S7_lS9_S7_lPT10_S7_li,"axG",@progbits,_ZL37rocblas_syrkx_herkx_restricted_kernelIi19rocblas_complex_numIdELi16ELi32ELi8ELi1ELi1ELb0ELc84ELc85EKPKS1_KPS1_EviT_PT9_S7_lS9_S7_lPT10_S7_li,comdat
.Lfunc_end698:
	.size	_ZL37rocblas_syrkx_herkx_restricted_kernelIi19rocblas_complex_numIdELi16ELi32ELi8ELi1ELi1ELb0ELc84ELc85EKPKS1_KPS1_EviT_PT9_S7_lS9_S7_lPT10_S7_li, .Lfunc_end698-_ZL37rocblas_syrkx_herkx_restricted_kernelIi19rocblas_complex_numIdELi16ELi32ELi8ELi1ELi1ELb0ELc84ELc85EKPKS1_KPS1_EviT_PT9_S7_lS9_S7_lPT10_S7_li
                                        ; -- End function
	.set _ZL37rocblas_syrkx_herkx_restricted_kernelIi19rocblas_complex_numIdELi16ELi32ELi8ELi1ELi1ELb0ELc84ELc85EKPKS1_KPS1_EviT_PT9_S7_lS9_S7_lPT10_S7_li.num_vgpr, 52
	.set _ZL37rocblas_syrkx_herkx_restricted_kernelIi19rocblas_complex_numIdELi16ELi32ELi8ELi1ELi1ELb0ELc84ELc85EKPKS1_KPS1_EviT_PT9_S7_lS9_S7_lPT10_S7_li.num_agpr, 0
	.set _ZL37rocblas_syrkx_herkx_restricted_kernelIi19rocblas_complex_numIdELi16ELi32ELi8ELi1ELi1ELb0ELc84ELc85EKPKS1_KPS1_EviT_PT9_S7_lS9_S7_lPT10_S7_li.numbered_sgpr, 17
	.set _ZL37rocblas_syrkx_herkx_restricted_kernelIi19rocblas_complex_numIdELi16ELi32ELi8ELi1ELi1ELb0ELc84ELc85EKPKS1_KPS1_EviT_PT9_S7_lS9_S7_lPT10_S7_li.num_named_barrier, 0
	.set _ZL37rocblas_syrkx_herkx_restricted_kernelIi19rocblas_complex_numIdELi16ELi32ELi8ELi1ELi1ELb0ELc84ELc85EKPKS1_KPS1_EviT_PT9_S7_lS9_S7_lPT10_S7_li.private_seg_size, 0
	.set _ZL37rocblas_syrkx_herkx_restricted_kernelIi19rocblas_complex_numIdELi16ELi32ELi8ELi1ELi1ELb0ELc84ELc85EKPKS1_KPS1_EviT_PT9_S7_lS9_S7_lPT10_S7_li.uses_vcc, 1
	.set _ZL37rocblas_syrkx_herkx_restricted_kernelIi19rocblas_complex_numIdELi16ELi32ELi8ELi1ELi1ELb0ELc84ELc85EKPKS1_KPS1_EviT_PT9_S7_lS9_S7_lPT10_S7_li.uses_flat_scratch, 0
	.set _ZL37rocblas_syrkx_herkx_restricted_kernelIi19rocblas_complex_numIdELi16ELi32ELi8ELi1ELi1ELb0ELc84ELc85EKPKS1_KPS1_EviT_PT9_S7_lS9_S7_lPT10_S7_li.has_dyn_sized_stack, 0
	.set _ZL37rocblas_syrkx_herkx_restricted_kernelIi19rocblas_complex_numIdELi16ELi32ELi8ELi1ELi1ELb0ELc84ELc85EKPKS1_KPS1_EviT_PT9_S7_lS9_S7_lPT10_S7_li.has_recursion, 0
	.set _ZL37rocblas_syrkx_herkx_restricted_kernelIi19rocblas_complex_numIdELi16ELi32ELi8ELi1ELi1ELb0ELc84ELc85EKPKS1_KPS1_EviT_PT9_S7_lS9_S7_lPT10_S7_li.has_indirect_call, 0
	.section	.AMDGPU.csdata,"",@progbits
; Kernel info:
; codeLenInByte = 2832
; TotalNumSgprs: 21
; NumVgprs: 52
; ScratchSize: 0
; MemoryBound: 0
; FloatMode: 240
; IeeeMode: 1
; LDSByteSize: 8192 bytes/workgroup (compile time only)
; SGPRBlocks: 8
; VGPRBlocks: 12
; NumSGPRsForWavesPerEU: 65
; NumVGPRsForWavesPerEU: 52
; Occupancy: 4
; WaveLimiterHint : 1
; COMPUTE_PGM_RSRC2:SCRATCH_EN: 0
; COMPUTE_PGM_RSRC2:USER_SGPR: 6
; COMPUTE_PGM_RSRC2:TRAP_HANDLER: 0
; COMPUTE_PGM_RSRC2:TGID_X_EN: 1
; COMPUTE_PGM_RSRC2:TGID_Y_EN: 1
; COMPUTE_PGM_RSRC2:TGID_Z_EN: 1
; COMPUTE_PGM_RSRC2:TIDIG_COMP_CNT: 1
	.section	.text._ZL37rocblas_syrkx_herkx_restricted_kernelIi19rocblas_complex_numIdELi16ELi32ELi8ELi1ELi1ELb0ELc67ELc85EKPKS1_KPS1_EviT_PT9_S7_lS9_S7_lPT10_S7_li,"axG",@progbits,_ZL37rocblas_syrkx_herkx_restricted_kernelIi19rocblas_complex_numIdELi16ELi32ELi8ELi1ELi1ELb0ELc67ELc85EKPKS1_KPS1_EviT_PT9_S7_lS9_S7_lPT10_S7_li,comdat
	.globl	_ZL37rocblas_syrkx_herkx_restricted_kernelIi19rocblas_complex_numIdELi16ELi32ELi8ELi1ELi1ELb0ELc67ELc85EKPKS1_KPS1_EviT_PT9_S7_lS9_S7_lPT10_S7_li ; -- Begin function _ZL37rocblas_syrkx_herkx_restricted_kernelIi19rocblas_complex_numIdELi16ELi32ELi8ELi1ELi1ELb0ELc67ELc85EKPKS1_KPS1_EviT_PT9_S7_lS9_S7_lPT10_S7_li
	.p2align	8
	.type	_ZL37rocblas_syrkx_herkx_restricted_kernelIi19rocblas_complex_numIdELi16ELi32ELi8ELi1ELi1ELb0ELc67ELc85EKPKS1_KPS1_EviT_PT9_S7_lS9_S7_lPT10_S7_li,@function
_ZL37rocblas_syrkx_herkx_restricted_kernelIi19rocblas_complex_numIdELi16ELi32ELi8ELi1ELi1ELb0ELc67ELc85EKPKS1_KPS1_EviT_PT9_S7_lS9_S7_lPT10_S7_li: ; @_ZL37rocblas_syrkx_herkx_restricted_kernelIi19rocblas_complex_numIdELi16ELi32ELi8ELi1ELi1ELb0ELc67ELc85EKPKS1_KPS1_EviT_PT9_S7_lS9_S7_lPT10_S7_li
; %bb.0:
	s_load_dwordx2 s[10:11], s[4:5], 0x38
	s_load_dwordx2 s[2:3], s[4:5], 0x0
	s_mov_b32 s9, 0
	s_lshl_b64 s[0:1], s[8:9], 3
	s_waitcnt lgkmcnt(0)
	s_add_u32 s10, s10, s0
	s_addc_u32 s11, s11, s1
	s_load_dwordx2 s[10:11], s[10:11], 0x0
	s_lshl_b32 s6, s6, 5
	s_lshl_b32 s7, s7, 5
	s_cmp_lt_i32 s3, 1
	s_cbranch_scc1 .LBB699_3
; %bb.1:
	s_load_dwordx2 s[12:13], s[4:5], 0x8
	s_load_dword s8, s[4:5], 0x10
	s_load_dwordx2 s[14:15], s[4:5], 0x20
	s_load_dword s16, s[4:5], 0x28
	v_lshl_add_u32 v6, v1, 4, v0
	s_waitcnt lgkmcnt(0)
	s_add_u32 s12, s12, s0
	s_addc_u32 s13, s13, s1
	v_lshrrev_b32_e32 v8, 3, v6
	s_add_u32 s0, s14, s0
	v_add_u32_e32 v4, s7, v8
	v_and_b32_e32 v2, 7, v0
	v_mov_b32_e32 v3, 0
	s_addc_u32 s1, s15, s1
	v_mad_i64_i32 v[4:5], s[14:15], s16, v4, v[2:3]
	v_and_b32_e32 v9, 31, v6
	v_lshlrev_b32_e32 v2, 4, v2
	v_lshrrev_b32_e32 v6, 5, v6
	v_mov_b32_e32 v7, v3
	v_lshlrev_b32_e32 v3, 4, v9
	v_lshl_or_b32 v8, v8, 7, v2
	v_add_u32_e32 v2, s6, v9
	v_lshl_or_b32 v22, v6, 9, v3
	v_mad_i64_i32 v[2:3], s[14:15], s8, v2, v[6:7]
	s_load_dwordx2 s[12:13], s[12:13], 0x0
	v_lshlrev_b64 v[4:5], 4, v[4:5]
	s_load_dwordx2 s[0:1], s[0:1], 0x0
	v_lshlrev_b64 v[2:3], 4, v[2:3]
	v_add_u32_e32 v23, 0x1000, v8
	s_waitcnt lgkmcnt(0)
	v_mov_b32_e32 v6, s13
	v_add_co_u32_e32 v2, vcc, s12, v2
	v_addc_co_u32_e32 v3, vcc, v6, v3, vcc
	v_mov_b32_e32 v6, s1
	v_add_co_u32_e32 v4, vcc, s0, v4
	v_mov_b32_e32 v25, 0x1000
	v_addc_co_u32_e32 v5, vcc, v6, v5, vcc
	v_mov_b32_e32 v10, 0
	v_mov_b32_e32 v12, 0
	;; [unrolled: 1-line block ×8, first 2 shown]
	v_lshlrev_b32_e32 v24, 4, v0
	v_mov_b32_e32 v11, 0
	v_mov_b32_e32 v13, 0
	;; [unrolled: 1-line block ×8, first 2 shown]
	v_lshl_add_u32 v25, v1, 7, v25
.LBB699_2:                              ; =>This Inner Loop Header: Depth=1
	flat_load_dwordx4 v[26:29], v[2:3]
	v_add_co_u32_e32 v2, vcc, 0x80, v2
	v_addc_co_u32_e32 v3, vcc, 0, v3, vcc
	s_add_i32 s9, s9, 8
	s_cmp_ge_i32 s9, s3
	s_waitcnt vmcnt(0) lgkmcnt(0)
	ds_write_b128 v22, v[26:29]
	flat_load_dwordx4 v[26:29], v[4:5]
	v_add_co_u32_e32 v4, vcc, 0x80, v4
	v_addc_co_u32_e32 v5, vcc, 0, v5, vcc
	s_waitcnt vmcnt(0) lgkmcnt(0)
	ds_write_b128 v23, v[26:29]
	s_waitcnt lgkmcnt(0)
	s_barrier
	ds_read_b128 v[26:29], v25
	ds_read_b128 v[30:33], v25 offset:16
	ds_read_b128 v[34:37], v25 offset:32
	;; [unrolled: 1-line block ×3, first 2 shown]
	ds_read_b128 v[42:45], v24
	s_waitcnt lgkmcnt(0)
	v_mul_f64 v[46:47], v[28:29], v[44:45]
	v_mul_f64 v[48:49], v[26:27], v[44:45]
	v_fma_f64 v[46:47], v[26:27], v[42:43], -v[46:47]
	v_fma_f64 v[48:49], v[28:29], v[42:43], v[48:49]
	v_add_f64 v[46:47], v[14:15], v[46:47]
	v_add_f64 v[48:49], v[48:49], v[16:17]
	ds_read_b128 v[14:17], v24 offset:256
	s_waitcnt lgkmcnt(0)
	v_mul_f64 v[50:51], v[28:29], v[16:17]
	v_fma_f64 v[50:51], v[26:27], v[14:15], -v[50:51]
	v_mul_f64 v[26:27], v[26:27], v[16:17]
	v_fma_f64 v[26:27], v[28:29], v[14:15], v[26:27]
	v_add_f64 v[28:29], v[8:9], v[50:51]
	v_add_f64 v[26:27], v[26:27], v[6:7]
	ds_read_b128 v[6:9], v25 offset:2048
	s_waitcnt lgkmcnt(0)
	v_mul_f64 v[50:51], v[8:9], v[44:45]
	v_mul_f64 v[44:45], v[6:7], v[44:45]
	v_fma_f64 v[50:51], v[6:7], v[42:43], -v[50:51]
	v_fma_f64 v[42:43], v[8:9], v[42:43], v[44:45]
	v_add_f64 v[20:21], v[20:21], v[50:51]
	v_add_f64 v[18:19], v[42:43], v[18:19]
	v_mul_f64 v[42:43], v[8:9], v[16:17]
	v_fma_f64 v[42:43], v[6:7], v[14:15], -v[42:43]
	v_mul_f64 v[6:7], v[6:7], v[16:17]
	v_add_f64 v[42:43], v[12:13], v[42:43]
	v_fma_f64 v[6:7], v[8:9], v[14:15], v[6:7]
	v_add_f64 v[44:45], v[6:7], v[10:11]
	ds_read_b128 v[6:9], v24 offset:512
	s_waitcnt lgkmcnt(0)
	v_mul_f64 v[10:11], v[32:33], v[8:9]
	v_mul_f64 v[12:13], v[30:31], v[8:9]
	v_fma_f64 v[10:11], v[30:31], v[6:7], -v[10:11]
	v_fma_f64 v[12:13], v[32:33], v[6:7], v[12:13]
	v_add_f64 v[46:47], v[46:47], v[10:11]
	v_add_f64 v[48:49], v[12:13], v[48:49]
	ds_read_b128 v[10:13], v24 offset:768
	s_waitcnt lgkmcnt(0)
	v_mul_f64 v[14:15], v[32:33], v[12:13]
	v_mul_f64 v[16:17], v[30:31], v[12:13]
	v_fma_f64 v[14:15], v[30:31], v[10:11], -v[14:15]
	v_fma_f64 v[16:17], v[32:33], v[10:11], v[16:17]
	v_add_f64 v[28:29], v[28:29], v[14:15]
	v_add_f64 v[26:27], v[16:17], v[26:27]
	ds_read_b128 v[14:17], v25 offset:2064
	s_waitcnt lgkmcnt(0)
	v_mul_f64 v[30:31], v[16:17], v[8:9]
	v_mul_f64 v[8:9], v[14:15], v[8:9]
	v_fma_f64 v[30:31], v[14:15], v[6:7], -v[30:31]
	v_fma_f64 v[6:7], v[16:17], v[6:7], v[8:9]
	v_mul_f64 v[8:9], v[14:15], v[12:13]
	v_add_f64 v[20:21], v[20:21], v[30:31]
	v_add_f64 v[18:19], v[6:7], v[18:19]
	v_mul_f64 v[6:7], v[16:17], v[12:13]
	v_fma_f64 v[8:9], v[16:17], v[10:11], v[8:9]
	v_fma_f64 v[6:7], v[14:15], v[10:11], -v[6:7]
	v_add_f64 v[32:33], v[8:9], v[44:45]
	v_add_f64 v[30:31], v[42:43], v[6:7]
	ds_read_b128 v[6:9], v24 offset:1024
	s_waitcnt lgkmcnt(0)
	v_mul_f64 v[10:11], v[36:37], v[8:9]
	v_mul_f64 v[12:13], v[34:35], v[8:9]
	v_fma_f64 v[10:11], v[34:35], v[6:7], -v[10:11]
	v_fma_f64 v[12:13], v[36:37], v[6:7], v[12:13]
	v_add_f64 v[42:43], v[46:47], v[10:11]
	v_add_f64 v[44:45], v[12:13], v[48:49]
	ds_read_b128 v[10:13], v24 offset:1280
	s_waitcnt lgkmcnt(0)
	v_mul_f64 v[14:15], v[36:37], v[12:13]
	v_mul_f64 v[16:17], v[34:35], v[12:13]
	v_fma_f64 v[14:15], v[34:35], v[10:11], -v[14:15]
	v_fma_f64 v[16:17], v[36:37], v[10:11], v[16:17]
	v_add_f64 v[28:29], v[28:29], v[14:15]
	v_add_f64 v[26:27], v[16:17], v[26:27]
	ds_read_b128 v[14:17], v25 offset:2080
	s_waitcnt lgkmcnt(0)
	v_mul_f64 v[34:35], v[16:17], v[8:9]
	v_mul_f64 v[8:9], v[14:15], v[8:9]
	v_fma_f64 v[34:35], v[14:15], v[6:7], -v[34:35]
	v_fma_f64 v[6:7], v[16:17], v[6:7], v[8:9]
	v_mul_f64 v[8:9], v[14:15], v[12:13]
	v_add_f64 v[20:21], v[20:21], v[34:35]
	v_add_f64 v[18:19], v[6:7], v[18:19]
	v_mul_f64 v[6:7], v[16:17], v[12:13]
	v_fma_f64 v[8:9], v[16:17], v[10:11], v[8:9]
	v_fma_f64 v[6:7], v[14:15], v[10:11], -v[6:7]
	v_add_f64 v[32:33], v[8:9], v[32:33]
	;; [unrolled: 30-line block ×3, first 2 shown]
	v_add_f64 v[30:31], v[30:31], v[6:7]
	ds_read_b128 v[6:9], v25 offset:64
	ds_read_b128 v[10:13], v24 offset:2048
	s_waitcnt lgkmcnt(0)
	v_mul_f64 v[14:15], v[8:9], v[12:13]
	v_mul_f64 v[16:17], v[6:7], v[12:13]
	v_fma_f64 v[14:15], v[6:7], v[10:11], -v[14:15]
	v_fma_f64 v[16:17], v[8:9], v[10:11], v[16:17]
	v_add_f64 v[34:35], v[34:35], v[14:15]
	v_add_f64 v[36:37], v[16:17], v[36:37]
	ds_read_b128 v[14:17], v24 offset:2304
	s_waitcnt lgkmcnt(0)
	v_mul_f64 v[38:39], v[8:9], v[16:17]
	v_fma_f64 v[38:39], v[6:7], v[14:15], -v[38:39]
	v_mul_f64 v[6:7], v[6:7], v[16:17]
	v_add_f64 v[28:29], v[28:29], v[38:39]
	v_fma_f64 v[6:7], v[8:9], v[14:15], v[6:7]
	v_add_f64 v[26:27], v[6:7], v[26:27]
	ds_read_b128 v[6:9], v25 offset:2112
	s_waitcnt lgkmcnt(0)
	v_mul_f64 v[38:39], v[8:9], v[12:13]
	v_mul_f64 v[12:13], v[6:7], v[12:13]
	v_fma_f64 v[38:39], v[6:7], v[10:11], -v[38:39]
	v_fma_f64 v[10:11], v[8:9], v[10:11], v[12:13]
	v_add_f64 v[20:21], v[20:21], v[38:39]
	v_add_f64 v[18:19], v[10:11], v[18:19]
	v_mul_f64 v[10:11], v[8:9], v[16:17]
	v_fma_f64 v[10:11], v[6:7], v[14:15], -v[10:11]
	v_mul_f64 v[6:7], v[6:7], v[16:17]
	v_add_f64 v[30:31], v[30:31], v[10:11]
	v_fma_f64 v[6:7], v[8:9], v[14:15], v[6:7]
	v_add_f64 v[32:33], v[6:7], v[32:33]
	ds_read_b128 v[6:9], v25 offset:80
	ds_read_b128 v[10:13], v24 offset:2560
	s_waitcnt lgkmcnt(0)
	v_mul_f64 v[14:15], v[8:9], v[12:13]
	v_mul_f64 v[16:17], v[6:7], v[12:13]
	v_fma_f64 v[14:15], v[6:7], v[10:11], -v[14:15]
	v_fma_f64 v[16:17], v[8:9], v[10:11], v[16:17]
	v_add_f64 v[34:35], v[34:35], v[14:15]
	v_add_f64 v[36:37], v[16:17], v[36:37]
	ds_read_b128 v[14:17], v24 offset:2816
	s_waitcnt lgkmcnt(0)
	v_mul_f64 v[38:39], v[8:9], v[16:17]
	v_fma_f64 v[38:39], v[6:7], v[14:15], -v[38:39]
	v_mul_f64 v[6:7], v[6:7], v[16:17]
	v_add_f64 v[28:29], v[28:29], v[38:39]
	v_fma_f64 v[6:7], v[8:9], v[14:15], v[6:7]
	v_add_f64 v[26:27], v[6:7], v[26:27]
	ds_read_b128 v[6:9], v25 offset:2128
	s_waitcnt lgkmcnt(0)
	v_mul_f64 v[38:39], v[8:9], v[12:13]
	v_mul_f64 v[12:13], v[6:7], v[12:13]
	v_fma_f64 v[38:39], v[6:7], v[10:11], -v[38:39]
	v_fma_f64 v[10:11], v[8:9], v[10:11], v[12:13]
	v_add_f64 v[20:21], v[20:21], v[38:39]
	v_add_f64 v[18:19], v[10:11], v[18:19]
	v_mul_f64 v[10:11], v[8:9], v[16:17]
	v_fma_f64 v[10:11], v[6:7], v[14:15], -v[10:11]
	v_mul_f64 v[6:7], v[6:7], v[16:17]
	v_add_f64 v[30:31], v[30:31], v[10:11]
	v_fma_f64 v[6:7], v[8:9], v[14:15], v[6:7]
	;; [unrolled: 31-line block ×3, first 2 shown]
	v_add_f64 v[44:45], v[6:7], v[32:33]
	ds_read_b128 v[6:9], v25 offset:112
	ds_read_b128 v[10:13], v24 offset:3584
	;; [unrolled: 1-line block ×3, first 2 shown]
	s_waitcnt lgkmcnt(1)
	v_mul_f64 v[14:15], v[8:9], v[12:13]
	s_waitcnt lgkmcnt(0)
	v_mul_f64 v[30:31], v[8:9], v[28:29]
	v_mul_f64 v[16:17], v[6:7], v[12:13]
	v_fma_f64 v[14:15], v[6:7], v[10:11], -v[14:15]
	v_fma_f64 v[30:31], v[6:7], v[26:27], -v[30:31]
	v_mul_f64 v[6:7], v[6:7], v[28:29]
	v_fma_f64 v[16:17], v[8:9], v[10:11], v[16:17]
	v_add_f64 v[14:15], v[34:35], v[14:15]
	v_fma_f64 v[6:7], v[8:9], v[26:27], v[6:7]
	v_add_f64 v[8:9], v[38:39], v[30:31]
	ds_read_b128 v[30:33], v25 offset:2160
	v_add_f64 v[16:17], v[16:17], v[36:37]
	s_waitcnt lgkmcnt(0)
	s_barrier
	v_mul_f64 v[34:35], v[32:33], v[12:13]
	v_mul_f64 v[12:13], v[30:31], v[12:13]
	v_add_f64 v[6:7], v[6:7], v[40:41]
	v_fma_f64 v[34:35], v[30:31], v[10:11], -v[34:35]
	v_fma_f64 v[10:11], v[32:33], v[10:11], v[12:13]
	v_mul_f64 v[12:13], v[30:31], v[28:29]
	v_add_f64 v[20:21], v[20:21], v[34:35]
	v_add_f64 v[18:19], v[10:11], v[18:19]
	v_mul_f64 v[10:11], v[32:33], v[28:29]
	v_fma_f64 v[10:11], v[30:31], v[26:27], -v[10:11]
	v_fma_f64 v[26:27], v[32:33], v[26:27], v[12:13]
	v_add_f64 v[12:13], v[42:43], v[10:11]
	v_add_f64 v[10:11], v[26:27], v[44:45]
	s_cbranch_scc0 .LBB699_2
	s_branch .LBB699_4
.LBB699_3:
	v_mov_b32_e32 v14, 0
	v_mov_b32_e32 v16, 0
	;; [unrolled: 1-line block ×16, first 2 shown]
.LBB699_4:
	s_load_dword s3, s[4:5], 0x40
	v_add_u32_e32 v4, s7, v1
	s_waitcnt lgkmcnt(0)
	v_mov_b32_e32 v3, s11
	v_add_u32_e32 v0, s6, v0
	v_cmp_gt_i32_e32 vcc, s2, v4
	v_mad_i64_i32 v[1:2], s[0:1], v4, s3, 0
	v_lshlrev_b64 v[1:2], 4, v[1:2]
	v_add_co_u32_e64 v5, s[0:1], s10, v1
	v_addc_co_u32_e64 v22, s[0:1], v3, v2, s[0:1]
	v_cmp_le_i32_e64 s[0:1], v0, v4
	s_and_b64 s[0:1], vcc, s[0:1]
	s_and_saveexec_b64 s[4:5], s[0:1]
	s_cbranch_execz .LBB699_6
; %bb.5:
	v_ashrrev_i32_e32 v1, 31, v0
	v_lshlrev_b64 v[1:2], 4, v[0:1]
	v_add_co_u32_e64 v1, s[0:1], v5, v1
	v_addc_co_u32_e64 v2, s[0:1], v22, v2, s[0:1]
	flat_load_dwordx4 v[23:26], v[1:2]
	s_waitcnt vmcnt(0) lgkmcnt(0)
	v_add_f64 v[14:15], v[14:15], v[23:24]
	v_add_f64 v[16:17], v[16:17], v[25:26]
	flat_store_dwordx4 v[1:2], v[14:17]
.LBB699_6:
	s_or_b64 exec, exec, s[4:5]
	v_add_u32_e32 v2, 16, v0
	v_cmp_le_i32_e64 s[0:1], v2, v4
	s_and_b64 s[4:5], vcc, s[0:1]
	s_and_saveexec_b64 s[0:1], s[4:5]
	s_cbranch_execz .LBB699_8
; %bb.7:
	v_ashrrev_i32_e32 v3, 31, v2
	v_lshlrev_b64 v[14:15], 4, v[2:3]
	v_add_co_u32_e32 v23, vcc, v5, v14
	v_addc_co_u32_e32 v24, vcc, v22, v15, vcc
	flat_load_dwordx4 v[14:17], v[23:24]
	s_waitcnt vmcnt(0) lgkmcnt(0)
	v_add_f64 v[14:15], v[8:9], v[14:15]
	v_add_f64 v[16:17], v[6:7], v[16:17]
	flat_store_dwordx4 v[23:24], v[14:17]
.LBB699_8:
	s_or_b64 exec, exec, s[0:1]
	v_add_u32_e32 v3, 16, v4
	v_mad_i64_i32 v[4:5], s[0:1], v3, s3, 0
	v_mov_b32_e32 v1, s11
	v_cmp_gt_i32_e32 vcc, s2, v3
	v_lshlrev_b64 v[4:5], 4, v[4:5]
	v_add_co_u32_e64 v4, s[0:1], s10, v4
	v_addc_co_u32_e64 v5, s[0:1], v1, v5, s[0:1]
	v_cmp_le_i32_e64 s[0:1], v0, v3
	s_and_b64 s[0:1], vcc, s[0:1]
	s_and_saveexec_b64 s[2:3], s[0:1]
	s_cbranch_execz .LBB699_10
; %bb.9:
	v_ashrrev_i32_e32 v1, 31, v0
	v_lshlrev_b64 v[0:1], 4, v[0:1]
	v_add_co_u32_e64 v0, s[0:1], v4, v0
	v_addc_co_u32_e64 v1, s[0:1], v5, v1, s[0:1]
	flat_load_dwordx4 v[6:9], v[0:1]
	s_waitcnt vmcnt(0) lgkmcnt(0)
	v_add_f64 v[6:7], v[20:21], v[6:7]
	v_add_f64 v[8:9], v[18:19], v[8:9]
	flat_store_dwordx4 v[0:1], v[6:9]
.LBB699_10:
	s_or_b64 exec, exec, s[2:3]
	v_cmp_le_i32_e64 s[0:1], v2, v3
	s_and_b64 s[0:1], vcc, s[0:1]
	s_and_saveexec_b64 s[2:3], s[0:1]
	s_cbranch_execz .LBB699_12
; %bb.11:
	v_ashrrev_i32_e32 v3, 31, v2
	v_lshlrev_b64 v[0:1], 4, v[2:3]
	v_add_co_u32_e32 v4, vcc, v4, v0
	v_addc_co_u32_e32 v5, vcc, v5, v1, vcc
	flat_load_dwordx4 v[0:3], v[4:5]
	s_waitcnt vmcnt(0) lgkmcnt(0)
	v_add_f64 v[0:1], v[12:13], v[0:1]
	v_add_f64 v[2:3], v[10:11], v[2:3]
	flat_store_dwordx4 v[4:5], v[0:3]
.LBB699_12:
	s_endpgm
	.section	.rodata,"a",@progbits
	.p2align	6, 0x0
	.amdhsa_kernel _ZL37rocblas_syrkx_herkx_restricted_kernelIi19rocblas_complex_numIdELi16ELi32ELi8ELi1ELi1ELb0ELc67ELc85EKPKS1_KPS1_EviT_PT9_S7_lS9_S7_lPT10_S7_li
		.amdhsa_group_segment_fixed_size 8192
		.amdhsa_private_segment_fixed_size 0
		.amdhsa_kernarg_size 84
		.amdhsa_user_sgpr_count 6
		.amdhsa_user_sgpr_private_segment_buffer 1
		.amdhsa_user_sgpr_dispatch_ptr 0
		.amdhsa_user_sgpr_queue_ptr 0
		.amdhsa_user_sgpr_kernarg_segment_ptr 1
		.amdhsa_user_sgpr_dispatch_id 0
		.amdhsa_user_sgpr_flat_scratch_init 0
		.amdhsa_user_sgpr_private_segment_size 0
		.amdhsa_uses_dynamic_stack 0
		.amdhsa_system_sgpr_private_segment_wavefront_offset 0
		.amdhsa_system_sgpr_workgroup_id_x 1
		.amdhsa_system_sgpr_workgroup_id_y 1
		.amdhsa_system_sgpr_workgroup_id_z 1
		.amdhsa_system_sgpr_workgroup_info 0
		.amdhsa_system_vgpr_workitem_id 1
		.amdhsa_next_free_vgpr 52
		.amdhsa_next_free_sgpr 61
		.amdhsa_reserve_vcc 1
		.amdhsa_reserve_flat_scratch 0
		.amdhsa_float_round_mode_32 0
		.amdhsa_float_round_mode_16_64 0
		.amdhsa_float_denorm_mode_32 3
		.amdhsa_float_denorm_mode_16_64 3
		.amdhsa_dx10_clamp 1
		.amdhsa_ieee_mode 1
		.amdhsa_fp16_overflow 0
		.amdhsa_exception_fp_ieee_invalid_op 0
		.amdhsa_exception_fp_denorm_src 0
		.amdhsa_exception_fp_ieee_div_zero 0
		.amdhsa_exception_fp_ieee_overflow 0
		.amdhsa_exception_fp_ieee_underflow 0
		.amdhsa_exception_fp_ieee_inexact 0
		.amdhsa_exception_int_div_zero 0
	.end_amdhsa_kernel
	.section	.text._ZL37rocblas_syrkx_herkx_restricted_kernelIi19rocblas_complex_numIdELi16ELi32ELi8ELi1ELi1ELb0ELc67ELc85EKPKS1_KPS1_EviT_PT9_S7_lS9_S7_lPT10_S7_li,"axG",@progbits,_ZL37rocblas_syrkx_herkx_restricted_kernelIi19rocblas_complex_numIdELi16ELi32ELi8ELi1ELi1ELb0ELc67ELc85EKPKS1_KPS1_EviT_PT9_S7_lS9_S7_lPT10_S7_li,comdat
.Lfunc_end699:
	.size	_ZL37rocblas_syrkx_herkx_restricted_kernelIi19rocblas_complex_numIdELi16ELi32ELi8ELi1ELi1ELb0ELc67ELc85EKPKS1_KPS1_EviT_PT9_S7_lS9_S7_lPT10_S7_li, .Lfunc_end699-_ZL37rocblas_syrkx_herkx_restricted_kernelIi19rocblas_complex_numIdELi16ELi32ELi8ELi1ELi1ELb0ELc67ELc85EKPKS1_KPS1_EviT_PT9_S7_lS9_S7_lPT10_S7_li
                                        ; -- End function
	.set _ZL37rocblas_syrkx_herkx_restricted_kernelIi19rocblas_complex_numIdELi16ELi32ELi8ELi1ELi1ELb0ELc67ELc85EKPKS1_KPS1_EviT_PT9_S7_lS9_S7_lPT10_S7_li.num_vgpr, 52
	.set _ZL37rocblas_syrkx_herkx_restricted_kernelIi19rocblas_complex_numIdELi16ELi32ELi8ELi1ELi1ELb0ELc67ELc85EKPKS1_KPS1_EviT_PT9_S7_lS9_S7_lPT10_S7_li.num_agpr, 0
	.set _ZL37rocblas_syrkx_herkx_restricted_kernelIi19rocblas_complex_numIdELi16ELi32ELi8ELi1ELi1ELb0ELc67ELc85EKPKS1_KPS1_EviT_PT9_S7_lS9_S7_lPT10_S7_li.numbered_sgpr, 17
	.set _ZL37rocblas_syrkx_herkx_restricted_kernelIi19rocblas_complex_numIdELi16ELi32ELi8ELi1ELi1ELb0ELc67ELc85EKPKS1_KPS1_EviT_PT9_S7_lS9_S7_lPT10_S7_li.num_named_barrier, 0
	.set _ZL37rocblas_syrkx_herkx_restricted_kernelIi19rocblas_complex_numIdELi16ELi32ELi8ELi1ELi1ELb0ELc67ELc85EKPKS1_KPS1_EviT_PT9_S7_lS9_S7_lPT10_S7_li.private_seg_size, 0
	.set _ZL37rocblas_syrkx_herkx_restricted_kernelIi19rocblas_complex_numIdELi16ELi32ELi8ELi1ELi1ELb0ELc67ELc85EKPKS1_KPS1_EviT_PT9_S7_lS9_S7_lPT10_S7_li.uses_vcc, 1
	.set _ZL37rocblas_syrkx_herkx_restricted_kernelIi19rocblas_complex_numIdELi16ELi32ELi8ELi1ELi1ELb0ELc67ELc85EKPKS1_KPS1_EviT_PT9_S7_lS9_S7_lPT10_S7_li.uses_flat_scratch, 0
	.set _ZL37rocblas_syrkx_herkx_restricted_kernelIi19rocblas_complex_numIdELi16ELi32ELi8ELi1ELi1ELb0ELc67ELc85EKPKS1_KPS1_EviT_PT9_S7_lS9_S7_lPT10_S7_li.has_dyn_sized_stack, 0
	.set _ZL37rocblas_syrkx_herkx_restricted_kernelIi19rocblas_complex_numIdELi16ELi32ELi8ELi1ELi1ELb0ELc67ELc85EKPKS1_KPS1_EviT_PT9_S7_lS9_S7_lPT10_S7_li.has_recursion, 0
	.set _ZL37rocblas_syrkx_herkx_restricted_kernelIi19rocblas_complex_numIdELi16ELi32ELi8ELi1ELi1ELb0ELc67ELc85EKPKS1_KPS1_EviT_PT9_S7_lS9_S7_lPT10_S7_li.has_indirect_call, 0
	.section	.AMDGPU.csdata,"",@progbits
; Kernel info:
; codeLenInByte = 2832
; TotalNumSgprs: 21
; NumVgprs: 52
; ScratchSize: 0
; MemoryBound: 0
; FloatMode: 240
; IeeeMode: 1
; LDSByteSize: 8192 bytes/workgroup (compile time only)
; SGPRBlocks: 8
; VGPRBlocks: 12
; NumSGPRsForWavesPerEU: 65
; NumVGPRsForWavesPerEU: 52
; Occupancy: 4
; WaveLimiterHint : 1
; COMPUTE_PGM_RSRC2:SCRATCH_EN: 0
; COMPUTE_PGM_RSRC2:USER_SGPR: 6
; COMPUTE_PGM_RSRC2:TRAP_HANDLER: 0
; COMPUTE_PGM_RSRC2:TGID_X_EN: 1
; COMPUTE_PGM_RSRC2:TGID_Y_EN: 1
; COMPUTE_PGM_RSRC2:TGID_Z_EN: 1
; COMPUTE_PGM_RSRC2:TIDIG_COMP_CNT: 1
	.section	.text._ZL37rocblas_syrkx_herkx_restricted_kernelIi19rocblas_complex_numIdELi16ELi32ELi8ELi1ELi1ELb0ELc78ELc85EKPKS1_KPS1_EviT_PT9_S7_lS9_S7_lPT10_S7_li,"axG",@progbits,_ZL37rocblas_syrkx_herkx_restricted_kernelIi19rocblas_complex_numIdELi16ELi32ELi8ELi1ELi1ELb0ELc78ELc85EKPKS1_KPS1_EviT_PT9_S7_lS9_S7_lPT10_S7_li,comdat
	.globl	_ZL37rocblas_syrkx_herkx_restricted_kernelIi19rocblas_complex_numIdELi16ELi32ELi8ELi1ELi1ELb0ELc78ELc85EKPKS1_KPS1_EviT_PT9_S7_lS9_S7_lPT10_S7_li ; -- Begin function _ZL37rocblas_syrkx_herkx_restricted_kernelIi19rocblas_complex_numIdELi16ELi32ELi8ELi1ELi1ELb0ELc78ELc85EKPKS1_KPS1_EviT_PT9_S7_lS9_S7_lPT10_S7_li
	.p2align	8
	.type	_ZL37rocblas_syrkx_herkx_restricted_kernelIi19rocblas_complex_numIdELi16ELi32ELi8ELi1ELi1ELb0ELc78ELc85EKPKS1_KPS1_EviT_PT9_S7_lS9_S7_lPT10_S7_li,@function
_ZL37rocblas_syrkx_herkx_restricted_kernelIi19rocblas_complex_numIdELi16ELi32ELi8ELi1ELi1ELb0ELc78ELc85EKPKS1_KPS1_EviT_PT9_S7_lS9_S7_lPT10_S7_li: ; @_ZL37rocblas_syrkx_herkx_restricted_kernelIi19rocblas_complex_numIdELi16ELi32ELi8ELi1ELi1ELb0ELc78ELc85EKPKS1_KPS1_EviT_PT9_S7_lS9_S7_lPT10_S7_li
; %bb.0:
	s_load_dwordx2 s[10:11], s[4:5], 0x38
	s_load_dwordx2 s[2:3], s[4:5], 0x0
	s_mov_b32 s9, 0
	s_lshl_b64 s[0:1], s[8:9], 3
	s_waitcnt lgkmcnt(0)
	s_add_u32 s10, s10, s0
	s_addc_u32 s11, s11, s1
	s_load_dwordx2 s[10:11], s[10:11], 0x0
	s_lshl_b32 s8, s6, 5
	s_lshl_b32 s12, s7, 5
	s_cmp_lt_i32 s3, 1
	s_cbranch_scc1 .LBB700_3
; %bb.1:
	s_load_dword s6, s[4:5], 0x10
	s_load_dword s14, s[4:5], 0x28
	s_load_dwordx2 s[16:17], s[4:5], 0x20
	s_load_dwordx2 s[18:19], s[4:5], 0x8
	v_lshl_add_u32 v7, v1, 4, v0
	s_waitcnt lgkmcnt(0)
	s_ashr_i32 s7, s6, 31
	s_ashr_i32 s15, s14, 31
	v_lshrrev_b32_e32 v8, 3, v7
	s_add_u32 s18, s18, s0
	s_addc_u32 s19, s19, s1
	s_add_u32 s0, s16, s0
	v_add_u32_e32 v2, s12, v8
	s_addc_u32 s1, s17, s1
	v_and_b32_e32 v6, 7, v0
	v_ashrrev_i32_e32 v3, 31, v2
	s_load_dwordx2 s[16:17], s[0:1], 0x0
	v_mad_i64_i32 v[4:5], s[0:1], s14, v6, v[2:3]
	v_and_b32_e32 v2, 31, v7
	v_lshrrev_b32_e32 v9, 5, v7
	v_lshlrev_b32_e32 v3, 4, v2
	v_lshl_or_b32 v22, v9, 9, v3
	v_lshlrev_b32_e32 v3, 4, v6
	v_lshl_or_b32 v3, v8, 7, v3
	v_add_u32_e32 v2, s8, v2
	v_add_u32_e32 v23, 0x1000, v3
	v_ashrrev_i32_e32 v3, 31, v2
	v_mad_i64_i32 v[2:3], s[0:1], s6, v9, v[2:3]
	s_load_dwordx2 s[18:19], s[18:19], 0x0
	v_mov_b32_e32 v6, 0x1000
	v_lshlrev_b64 v[2:3], 4, v[2:3]
	v_lshl_add_u32 v25, v1, 7, v6
	v_lshlrev_b64 v[4:5], 4, v[4:5]
	s_waitcnt lgkmcnt(0)
	v_mov_b32_e32 v6, s19
	v_add_co_u32_e32 v2, vcc, s18, v2
	v_addc_co_u32_e32 v3, vcc, v6, v3, vcc
	v_mov_b32_e32 v6, s17
	v_add_co_u32_e32 v4, vcc, s16, v4
	s_lshl_b64 s[0:1], s[6:7], 7
	v_addc_co_u32_e32 v5, vcc, v6, v5, vcc
	s_lshl_b64 s[6:7], s[14:15], 7
	v_mov_b32_e32 v10, 0
	v_mov_b32_e32 v12, 0
	;; [unrolled: 1-line block ×8, first 2 shown]
	v_lshlrev_b32_e32 v24, 4, v0
	v_mov_b32_e32 v11, 0
	v_mov_b32_e32 v26, s1
	;; [unrolled: 1-line block ×10, first 2 shown]
.LBB700_2:                              ; =>This Inner Loop Header: Depth=1
	flat_load_dwordx4 v[28:31], v[2:3]
	v_add_co_u32_e32 v2, vcc, s0, v2
	v_addc_co_u32_e32 v3, vcc, v3, v26, vcc
	s_add_i32 s9, s9, 8
	s_cmp_ge_i32 s9, s3
	s_waitcnt vmcnt(0) lgkmcnt(0)
	ds_write_b128 v22, v[28:31]
	flat_load_dwordx4 v[28:31], v[4:5]
	v_add_co_u32_e32 v4, vcc, s6, v4
	v_addc_co_u32_e32 v5, vcc, v5, v27, vcc
	s_waitcnt vmcnt(0) lgkmcnt(0)
	ds_write_b128 v23, v[28:31]
	s_waitcnt lgkmcnt(0)
	s_barrier
	ds_read_b128 v[28:31], v25
	ds_read_b128 v[32:35], v25 offset:16
	ds_read_b128 v[36:39], v25 offset:32
	;; [unrolled: 1-line block ×3, first 2 shown]
	ds_read_b128 v[44:47], v24
	s_waitcnt lgkmcnt(0)
	v_mul_f64 v[48:49], v[30:31], v[46:47]
	v_mul_f64 v[50:51], v[28:29], v[46:47]
	v_fma_f64 v[48:49], v[28:29], v[44:45], -v[48:49]
	v_fma_f64 v[50:51], v[30:31], v[44:45], v[50:51]
	v_add_f64 v[48:49], v[18:19], v[48:49]
	v_add_f64 v[50:51], v[50:51], v[20:21]
	ds_read_b128 v[18:21], v24 offset:256
	s_waitcnt lgkmcnt(0)
	v_mul_f64 v[52:53], v[30:31], v[20:21]
	v_fma_f64 v[52:53], v[28:29], v[18:19], -v[52:53]
	v_mul_f64 v[28:29], v[28:29], v[20:21]
	v_fma_f64 v[28:29], v[30:31], v[18:19], v[28:29]
	v_add_f64 v[30:31], v[8:9], v[52:53]
	v_add_f64 v[28:29], v[28:29], v[6:7]
	ds_read_b128 v[6:9], v25 offset:2048
	s_waitcnt lgkmcnt(0)
	v_mul_f64 v[52:53], v[8:9], v[46:47]
	v_mul_f64 v[46:47], v[6:7], v[46:47]
	v_fma_f64 v[52:53], v[6:7], v[44:45], -v[52:53]
	v_fma_f64 v[44:45], v[8:9], v[44:45], v[46:47]
	v_add_f64 v[46:47], v[16:17], v[52:53]
	v_add_f64 v[44:45], v[44:45], v[14:15]
	v_mul_f64 v[14:15], v[8:9], v[20:21]
	v_fma_f64 v[14:15], v[6:7], v[18:19], -v[14:15]
	v_mul_f64 v[6:7], v[6:7], v[20:21]
	v_fma_f64 v[6:7], v[8:9], v[18:19], v[6:7]
	v_add_f64 v[18:19], v[12:13], v[14:15]
	v_add_f64 v[20:21], v[6:7], v[10:11]
	ds_read_b128 v[6:9], v24 offset:512
	s_waitcnt lgkmcnt(0)
	v_mul_f64 v[10:11], v[34:35], v[8:9]
	v_mul_f64 v[12:13], v[32:33], v[8:9]
	v_fma_f64 v[10:11], v[32:33], v[6:7], -v[10:11]
	v_fma_f64 v[12:13], v[34:35], v[6:7], v[12:13]
	v_add_f64 v[48:49], v[48:49], v[10:11]
	v_add_f64 v[50:51], v[12:13], v[50:51]
	ds_read_b128 v[10:13], v24 offset:768
	s_waitcnt lgkmcnt(0)
	v_mul_f64 v[14:15], v[34:35], v[12:13]
	v_mul_f64 v[16:17], v[32:33], v[12:13]
	v_fma_f64 v[14:15], v[32:33], v[10:11], -v[14:15]
	;; [unrolled: 8-line block ×3, first 2 shown]
	v_fma_f64 v[6:7], v[16:17], v[6:7], v[8:9]
	v_mul_f64 v[8:9], v[14:15], v[12:13]
	v_add_f64 v[32:33], v[46:47], v[32:33]
	v_add_f64 v[34:35], v[6:7], v[44:45]
	v_mul_f64 v[6:7], v[16:17], v[12:13]
	v_fma_f64 v[8:9], v[16:17], v[10:11], v[8:9]
	v_fma_f64 v[6:7], v[14:15], v[10:11], -v[6:7]
	v_add_f64 v[20:21], v[8:9], v[20:21]
	v_add_f64 v[18:19], v[18:19], v[6:7]
	ds_read_b128 v[6:9], v24 offset:1024
	s_waitcnt lgkmcnt(0)
	v_mul_f64 v[10:11], v[38:39], v[8:9]
	v_mul_f64 v[12:13], v[36:37], v[8:9]
	v_fma_f64 v[10:11], v[36:37], v[6:7], -v[10:11]
	v_fma_f64 v[12:13], v[38:39], v[6:7], v[12:13]
	v_add_f64 v[44:45], v[48:49], v[10:11]
	v_add_f64 v[46:47], v[12:13], v[50:51]
	ds_read_b128 v[10:13], v24 offset:1280
	s_waitcnt lgkmcnt(0)
	v_mul_f64 v[14:15], v[38:39], v[12:13]
	v_mul_f64 v[16:17], v[36:37], v[12:13]
	v_fma_f64 v[14:15], v[36:37], v[10:11], -v[14:15]
	v_fma_f64 v[16:17], v[38:39], v[10:11], v[16:17]
	;; [unrolled: 8-line block ×3, first 2 shown]
	v_mul_f64 v[8:9], v[14:15], v[12:13]
	v_add_f64 v[32:33], v[32:33], v[36:37]
	v_add_f64 v[34:35], v[6:7], v[34:35]
	v_mul_f64 v[6:7], v[16:17], v[12:13]
	v_fma_f64 v[8:9], v[16:17], v[10:11], v[8:9]
	v_fma_f64 v[6:7], v[14:15], v[10:11], -v[6:7]
	v_add_f64 v[20:21], v[8:9], v[20:21]
	v_add_f64 v[18:19], v[18:19], v[6:7]
	ds_read_b128 v[6:9], v24 offset:1536
	s_waitcnt lgkmcnt(0)
	v_mul_f64 v[10:11], v[42:43], v[8:9]
	v_mul_f64 v[12:13], v[40:41], v[8:9]
	v_fma_f64 v[10:11], v[40:41], v[6:7], -v[10:11]
	v_fma_f64 v[12:13], v[42:43], v[6:7], v[12:13]
	v_add_f64 v[36:37], v[44:45], v[10:11]
	v_add_f64 v[38:39], v[12:13], v[46:47]
	ds_read_b128 v[10:13], v24 offset:1792
	s_waitcnt lgkmcnt(0)
	v_mul_f64 v[14:15], v[42:43], v[12:13]
	v_mul_f64 v[16:17], v[40:41], v[12:13]
	v_fma_f64 v[14:15], v[40:41], v[10:11], -v[14:15]
	v_fma_f64 v[16:17], v[42:43], v[10:11], v[16:17]
	;; [unrolled: 8-line block ×3, first 2 shown]
	v_mul_f64 v[8:9], v[14:15], v[12:13]
	v_add_f64 v[32:33], v[32:33], v[40:41]
	v_add_f64 v[34:35], v[6:7], v[34:35]
	v_mul_f64 v[6:7], v[16:17], v[12:13]
	v_fma_f64 v[8:9], v[16:17], v[10:11], v[8:9]
	v_fma_f64 v[6:7], v[14:15], v[10:11], -v[6:7]
	v_add_f64 v[20:21], v[8:9], v[20:21]
	v_add_f64 v[18:19], v[18:19], v[6:7]
	ds_read_b128 v[6:9], v25 offset:64
	ds_read_b128 v[10:13], v24 offset:2048
	s_waitcnt lgkmcnt(0)
	v_mul_f64 v[14:15], v[8:9], v[12:13]
	v_mul_f64 v[16:17], v[6:7], v[12:13]
	v_fma_f64 v[14:15], v[6:7], v[10:11], -v[14:15]
	v_fma_f64 v[16:17], v[8:9], v[10:11], v[16:17]
	v_add_f64 v[36:37], v[36:37], v[14:15]
	v_add_f64 v[38:39], v[16:17], v[38:39]
	ds_read_b128 v[14:17], v24 offset:2304
	s_waitcnt lgkmcnt(0)
	v_mul_f64 v[40:41], v[8:9], v[16:17]
	v_fma_f64 v[40:41], v[6:7], v[14:15], -v[40:41]
	v_mul_f64 v[6:7], v[6:7], v[16:17]
	v_add_f64 v[30:31], v[30:31], v[40:41]
	v_fma_f64 v[6:7], v[8:9], v[14:15], v[6:7]
	v_add_f64 v[28:29], v[6:7], v[28:29]
	ds_read_b128 v[6:9], v25 offset:2112
	s_waitcnt lgkmcnt(0)
	v_mul_f64 v[40:41], v[8:9], v[12:13]
	v_mul_f64 v[12:13], v[6:7], v[12:13]
	v_fma_f64 v[40:41], v[6:7], v[10:11], -v[40:41]
	v_fma_f64 v[10:11], v[8:9], v[10:11], v[12:13]
	v_add_f64 v[32:33], v[32:33], v[40:41]
	v_add_f64 v[34:35], v[10:11], v[34:35]
	v_mul_f64 v[10:11], v[8:9], v[16:17]
	v_fma_f64 v[10:11], v[6:7], v[14:15], -v[10:11]
	v_mul_f64 v[6:7], v[6:7], v[16:17]
	v_add_f64 v[18:19], v[18:19], v[10:11]
	v_fma_f64 v[6:7], v[8:9], v[14:15], v[6:7]
	v_add_f64 v[20:21], v[6:7], v[20:21]
	ds_read_b128 v[6:9], v25 offset:80
	ds_read_b128 v[10:13], v24 offset:2560
	s_waitcnt lgkmcnt(0)
	v_mul_f64 v[14:15], v[8:9], v[12:13]
	v_mul_f64 v[16:17], v[6:7], v[12:13]
	v_fma_f64 v[14:15], v[6:7], v[10:11], -v[14:15]
	v_fma_f64 v[16:17], v[8:9], v[10:11], v[16:17]
	v_add_f64 v[36:37], v[36:37], v[14:15]
	v_add_f64 v[38:39], v[16:17], v[38:39]
	ds_read_b128 v[14:17], v24 offset:2816
	s_waitcnt lgkmcnt(0)
	v_mul_f64 v[40:41], v[8:9], v[16:17]
	v_fma_f64 v[40:41], v[6:7], v[14:15], -v[40:41]
	v_mul_f64 v[6:7], v[6:7], v[16:17]
	v_add_f64 v[30:31], v[30:31], v[40:41]
	v_fma_f64 v[6:7], v[8:9], v[14:15], v[6:7]
	v_add_f64 v[28:29], v[6:7], v[28:29]
	ds_read_b128 v[6:9], v25 offset:2128
	s_waitcnt lgkmcnt(0)
	v_mul_f64 v[40:41], v[8:9], v[12:13]
	v_mul_f64 v[12:13], v[6:7], v[12:13]
	v_fma_f64 v[40:41], v[6:7], v[10:11], -v[40:41]
	v_fma_f64 v[10:11], v[8:9], v[10:11], v[12:13]
	v_add_f64 v[32:33], v[32:33], v[40:41]
	v_add_f64 v[34:35], v[10:11], v[34:35]
	v_mul_f64 v[10:11], v[8:9], v[16:17]
	v_fma_f64 v[10:11], v[6:7], v[14:15], -v[10:11]
	v_mul_f64 v[6:7], v[6:7], v[16:17]
	v_add_f64 v[18:19], v[18:19], v[10:11]
	v_fma_f64 v[6:7], v[8:9], v[14:15], v[6:7]
	v_add_f64 v[20:21], v[6:7], v[20:21]
	ds_read_b128 v[6:9], v25 offset:96
	ds_read_b128 v[10:13], v24 offset:3072
	s_waitcnt lgkmcnt(0)
	v_mul_f64 v[14:15], v[8:9], v[12:13]
	v_mul_f64 v[16:17], v[6:7], v[12:13]
	v_fma_f64 v[14:15], v[6:7], v[10:11], -v[14:15]
	v_fma_f64 v[16:17], v[8:9], v[10:11], v[16:17]
	v_add_f64 v[36:37], v[36:37], v[14:15]
	v_add_f64 v[38:39], v[16:17], v[38:39]
	ds_read_b128 v[14:17], v24 offset:3328
	s_waitcnt lgkmcnt(0)
	v_mul_f64 v[40:41], v[8:9], v[16:17]
	v_fma_f64 v[40:41], v[6:7], v[14:15], -v[40:41]
	v_mul_f64 v[6:7], v[6:7], v[16:17]
	v_add_f64 v[40:41], v[30:31], v[40:41]
	v_fma_f64 v[6:7], v[8:9], v[14:15], v[6:7]
	v_add_f64 v[42:43], v[6:7], v[28:29]
	ds_read_b128 v[6:9], v25 offset:2144
	s_waitcnt lgkmcnt(0)
	v_mul_f64 v[28:29], v[8:9], v[12:13]
	v_mul_f64 v[12:13], v[6:7], v[12:13]
	v_fma_f64 v[28:29], v[6:7], v[10:11], -v[28:29]
	v_fma_f64 v[10:11], v[8:9], v[10:11], v[12:13]
	v_add_f64 v[44:45], v[32:33], v[28:29]
	v_add_f64 v[46:47], v[10:11], v[34:35]
	v_mul_f64 v[10:11], v[8:9], v[16:17]
	v_fma_f64 v[10:11], v[6:7], v[14:15], -v[10:11]
	v_mul_f64 v[6:7], v[6:7], v[16:17]
	v_add_f64 v[48:49], v[18:19], v[10:11]
	v_fma_f64 v[6:7], v[8:9], v[14:15], v[6:7]
	v_add_f64 v[50:51], v[6:7], v[20:21]
	ds_read_b128 v[6:9], v25 offset:112
	ds_read_b128 v[10:13], v24 offset:3584
	;; [unrolled: 1-line block ×4, first 2 shown]
	s_waitcnt lgkmcnt(0)
	s_barrier
	v_mul_f64 v[14:15], v[8:9], v[12:13]
	v_mul_f64 v[16:17], v[6:7], v[12:13]
	v_fma_f64 v[14:15], v[6:7], v[10:11], -v[14:15]
	v_fma_f64 v[16:17], v[8:9], v[10:11], v[16:17]
	v_add_f64 v[18:19], v[36:37], v[14:15]
	v_mul_f64 v[14:15], v[8:9], v[30:31]
	v_add_f64 v[20:21], v[16:17], v[38:39]
	v_fma_f64 v[14:15], v[6:7], v[28:29], -v[14:15]
	v_mul_f64 v[6:7], v[6:7], v[30:31]
	v_fma_f64 v[6:7], v[8:9], v[28:29], v[6:7]
	v_add_f64 v[8:9], v[40:41], v[14:15]
	v_mul_f64 v[14:15], v[34:35], v[12:13]
	v_mul_f64 v[12:13], v[32:33], v[12:13]
	v_add_f64 v[6:7], v[6:7], v[42:43]
	v_fma_f64 v[14:15], v[32:33], v[10:11], -v[14:15]
	v_fma_f64 v[10:11], v[34:35], v[10:11], v[12:13]
	v_mul_f64 v[12:13], v[32:33], v[30:31]
	v_add_f64 v[16:17], v[44:45], v[14:15]
	v_add_f64 v[14:15], v[10:11], v[46:47]
	v_mul_f64 v[10:11], v[34:35], v[30:31]
	v_fma_f64 v[10:11], v[32:33], v[28:29], -v[10:11]
	v_fma_f64 v[28:29], v[34:35], v[28:29], v[12:13]
	v_add_f64 v[12:13], v[48:49], v[10:11]
	v_add_f64 v[10:11], v[28:29], v[50:51]
	s_cbranch_scc0 .LBB700_2
	s_branch .LBB700_4
.LBB700_3:
	v_mov_b32_e32 v18, 0
	v_mov_b32_e32 v20, 0
	;; [unrolled: 1-line block ×16, first 2 shown]
.LBB700_4:
	s_load_dword s3, s[4:5], 0x40
	v_add_u32_e32 v4, s12, v1
	s_waitcnt lgkmcnt(0)
	v_mov_b32_e32 v3, s11
	v_add_u32_e32 v0, s8, v0
	v_cmp_gt_i32_e32 vcc, s2, v4
	v_mad_i64_i32 v[1:2], s[0:1], v4, s3, 0
	v_lshlrev_b64 v[1:2], 4, v[1:2]
	v_add_co_u32_e64 v5, s[0:1], s10, v1
	v_addc_co_u32_e64 v22, s[0:1], v3, v2, s[0:1]
	v_cmp_le_i32_e64 s[0:1], v0, v4
	s_and_b64 s[0:1], vcc, s[0:1]
	s_and_saveexec_b64 s[4:5], s[0:1]
	s_cbranch_execz .LBB700_6
; %bb.5:
	v_ashrrev_i32_e32 v1, 31, v0
	v_lshlrev_b64 v[1:2], 4, v[0:1]
	v_add_co_u32_e64 v1, s[0:1], v5, v1
	v_addc_co_u32_e64 v2, s[0:1], v22, v2, s[0:1]
	flat_load_dwordx4 v[23:26], v[1:2]
	s_waitcnt vmcnt(0) lgkmcnt(0)
	v_add_f64 v[18:19], v[18:19], v[23:24]
	v_add_f64 v[20:21], v[20:21], v[25:26]
	flat_store_dwordx4 v[1:2], v[18:21]
.LBB700_6:
	s_or_b64 exec, exec, s[4:5]
	v_add_u32_e32 v2, 16, v0
	v_cmp_le_i32_e64 s[0:1], v2, v4
	s_and_b64 s[4:5], vcc, s[0:1]
	s_and_saveexec_b64 s[0:1], s[4:5]
	s_cbranch_execz .LBB700_8
; %bb.7:
	v_ashrrev_i32_e32 v3, 31, v2
	v_lshlrev_b64 v[18:19], 4, v[2:3]
	v_add_co_u32_e32 v23, vcc, v5, v18
	v_addc_co_u32_e32 v24, vcc, v22, v19, vcc
	flat_load_dwordx4 v[18:21], v[23:24]
	s_waitcnt vmcnt(0) lgkmcnt(0)
	v_add_f64 v[18:19], v[8:9], v[18:19]
	v_add_f64 v[20:21], v[6:7], v[20:21]
	flat_store_dwordx4 v[23:24], v[18:21]
.LBB700_8:
	s_or_b64 exec, exec, s[0:1]
	v_add_u32_e32 v3, 16, v4
	v_mad_i64_i32 v[4:5], s[0:1], v3, s3, 0
	v_mov_b32_e32 v1, s11
	v_cmp_gt_i32_e32 vcc, s2, v3
	v_lshlrev_b64 v[4:5], 4, v[4:5]
	v_add_co_u32_e64 v4, s[0:1], s10, v4
	v_addc_co_u32_e64 v5, s[0:1], v1, v5, s[0:1]
	v_cmp_le_i32_e64 s[0:1], v0, v3
	s_and_b64 s[0:1], vcc, s[0:1]
	s_and_saveexec_b64 s[2:3], s[0:1]
	s_cbranch_execz .LBB700_10
; %bb.9:
	v_ashrrev_i32_e32 v1, 31, v0
	v_lshlrev_b64 v[0:1], 4, v[0:1]
	v_add_co_u32_e64 v0, s[0:1], v4, v0
	v_addc_co_u32_e64 v1, s[0:1], v5, v1, s[0:1]
	flat_load_dwordx4 v[6:9], v[0:1]
	s_waitcnt vmcnt(0) lgkmcnt(0)
	v_add_f64 v[6:7], v[16:17], v[6:7]
	v_add_f64 v[8:9], v[14:15], v[8:9]
	flat_store_dwordx4 v[0:1], v[6:9]
.LBB700_10:
	s_or_b64 exec, exec, s[2:3]
	v_cmp_le_i32_e64 s[0:1], v2, v3
	s_and_b64 s[0:1], vcc, s[0:1]
	s_and_saveexec_b64 s[2:3], s[0:1]
	s_cbranch_execz .LBB700_12
; %bb.11:
	v_ashrrev_i32_e32 v3, 31, v2
	v_lshlrev_b64 v[0:1], 4, v[2:3]
	v_add_co_u32_e32 v4, vcc, v4, v0
	v_addc_co_u32_e32 v5, vcc, v5, v1, vcc
	flat_load_dwordx4 v[0:3], v[4:5]
	s_waitcnt vmcnt(0) lgkmcnt(0)
	v_add_f64 v[0:1], v[12:13], v[0:1]
	v_add_f64 v[2:3], v[10:11], v[2:3]
	flat_store_dwordx4 v[4:5], v[0:3]
.LBB700_12:
	s_endpgm
	.section	.rodata,"a",@progbits
	.p2align	6, 0x0
	.amdhsa_kernel _ZL37rocblas_syrkx_herkx_restricted_kernelIi19rocblas_complex_numIdELi16ELi32ELi8ELi1ELi1ELb0ELc78ELc85EKPKS1_KPS1_EviT_PT9_S7_lS9_S7_lPT10_S7_li
		.amdhsa_group_segment_fixed_size 8192
		.amdhsa_private_segment_fixed_size 0
		.amdhsa_kernarg_size 84
		.amdhsa_user_sgpr_count 6
		.amdhsa_user_sgpr_private_segment_buffer 1
		.amdhsa_user_sgpr_dispatch_ptr 0
		.amdhsa_user_sgpr_queue_ptr 0
		.amdhsa_user_sgpr_kernarg_segment_ptr 1
		.amdhsa_user_sgpr_dispatch_id 0
		.amdhsa_user_sgpr_flat_scratch_init 0
		.amdhsa_user_sgpr_private_segment_size 0
		.amdhsa_uses_dynamic_stack 0
		.amdhsa_system_sgpr_private_segment_wavefront_offset 0
		.amdhsa_system_sgpr_workgroup_id_x 1
		.amdhsa_system_sgpr_workgroup_id_y 1
		.amdhsa_system_sgpr_workgroup_id_z 1
		.amdhsa_system_sgpr_workgroup_info 0
		.amdhsa_system_vgpr_workitem_id 1
		.amdhsa_next_free_vgpr 54
		.amdhsa_next_free_sgpr 61
		.amdhsa_reserve_vcc 1
		.amdhsa_reserve_flat_scratch 0
		.amdhsa_float_round_mode_32 0
		.amdhsa_float_round_mode_16_64 0
		.amdhsa_float_denorm_mode_32 3
		.amdhsa_float_denorm_mode_16_64 3
		.amdhsa_dx10_clamp 1
		.amdhsa_ieee_mode 1
		.amdhsa_fp16_overflow 0
		.amdhsa_exception_fp_ieee_invalid_op 0
		.amdhsa_exception_fp_denorm_src 0
		.amdhsa_exception_fp_ieee_div_zero 0
		.amdhsa_exception_fp_ieee_overflow 0
		.amdhsa_exception_fp_ieee_underflow 0
		.amdhsa_exception_fp_ieee_inexact 0
		.amdhsa_exception_int_div_zero 0
	.end_amdhsa_kernel
	.section	.text._ZL37rocblas_syrkx_herkx_restricted_kernelIi19rocblas_complex_numIdELi16ELi32ELi8ELi1ELi1ELb0ELc78ELc85EKPKS1_KPS1_EviT_PT9_S7_lS9_S7_lPT10_S7_li,"axG",@progbits,_ZL37rocblas_syrkx_herkx_restricted_kernelIi19rocblas_complex_numIdELi16ELi32ELi8ELi1ELi1ELb0ELc78ELc85EKPKS1_KPS1_EviT_PT9_S7_lS9_S7_lPT10_S7_li,comdat
.Lfunc_end700:
	.size	_ZL37rocblas_syrkx_herkx_restricted_kernelIi19rocblas_complex_numIdELi16ELi32ELi8ELi1ELi1ELb0ELc78ELc85EKPKS1_KPS1_EviT_PT9_S7_lS9_S7_lPT10_S7_li, .Lfunc_end700-_ZL37rocblas_syrkx_herkx_restricted_kernelIi19rocblas_complex_numIdELi16ELi32ELi8ELi1ELi1ELb0ELc78ELc85EKPKS1_KPS1_EviT_PT9_S7_lS9_S7_lPT10_S7_li
                                        ; -- End function
	.set _ZL37rocblas_syrkx_herkx_restricted_kernelIi19rocblas_complex_numIdELi16ELi32ELi8ELi1ELi1ELb0ELc78ELc85EKPKS1_KPS1_EviT_PT9_S7_lS9_S7_lPT10_S7_li.num_vgpr, 54
	.set _ZL37rocblas_syrkx_herkx_restricted_kernelIi19rocblas_complex_numIdELi16ELi32ELi8ELi1ELi1ELb0ELc78ELc85EKPKS1_KPS1_EviT_PT9_S7_lS9_S7_lPT10_S7_li.num_agpr, 0
	.set _ZL37rocblas_syrkx_herkx_restricted_kernelIi19rocblas_complex_numIdELi16ELi32ELi8ELi1ELi1ELb0ELc78ELc85EKPKS1_KPS1_EviT_PT9_S7_lS9_S7_lPT10_S7_li.numbered_sgpr, 20
	.set _ZL37rocblas_syrkx_herkx_restricted_kernelIi19rocblas_complex_numIdELi16ELi32ELi8ELi1ELi1ELb0ELc78ELc85EKPKS1_KPS1_EviT_PT9_S7_lS9_S7_lPT10_S7_li.num_named_barrier, 0
	.set _ZL37rocblas_syrkx_herkx_restricted_kernelIi19rocblas_complex_numIdELi16ELi32ELi8ELi1ELi1ELb0ELc78ELc85EKPKS1_KPS1_EviT_PT9_S7_lS9_S7_lPT10_S7_li.private_seg_size, 0
	.set _ZL37rocblas_syrkx_herkx_restricted_kernelIi19rocblas_complex_numIdELi16ELi32ELi8ELi1ELi1ELb0ELc78ELc85EKPKS1_KPS1_EviT_PT9_S7_lS9_S7_lPT10_S7_li.uses_vcc, 1
	.set _ZL37rocblas_syrkx_herkx_restricted_kernelIi19rocblas_complex_numIdELi16ELi32ELi8ELi1ELi1ELb0ELc78ELc85EKPKS1_KPS1_EviT_PT9_S7_lS9_S7_lPT10_S7_li.uses_flat_scratch, 0
	.set _ZL37rocblas_syrkx_herkx_restricted_kernelIi19rocblas_complex_numIdELi16ELi32ELi8ELi1ELi1ELb0ELc78ELc85EKPKS1_KPS1_EviT_PT9_S7_lS9_S7_lPT10_S7_li.has_dyn_sized_stack, 0
	.set _ZL37rocblas_syrkx_herkx_restricted_kernelIi19rocblas_complex_numIdELi16ELi32ELi8ELi1ELi1ELb0ELc78ELc85EKPKS1_KPS1_EviT_PT9_S7_lS9_S7_lPT10_S7_li.has_recursion, 0
	.set _ZL37rocblas_syrkx_herkx_restricted_kernelIi19rocblas_complex_numIdELi16ELi32ELi8ELi1ELi1ELb0ELc78ELc85EKPKS1_KPS1_EviT_PT9_S7_lS9_S7_lPT10_S7_li.has_indirect_call, 0
	.section	.AMDGPU.csdata,"",@progbits
; Kernel info:
; codeLenInByte = 2840
; TotalNumSgprs: 24
; NumVgprs: 54
; ScratchSize: 0
; MemoryBound: 0
; FloatMode: 240
; IeeeMode: 1
; LDSByteSize: 8192 bytes/workgroup (compile time only)
; SGPRBlocks: 8
; VGPRBlocks: 13
; NumSGPRsForWavesPerEU: 65
; NumVGPRsForWavesPerEU: 54
; Occupancy: 4
; WaveLimiterHint : 1
; COMPUTE_PGM_RSRC2:SCRATCH_EN: 0
; COMPUTE_PGM_RSRC2:USER_SGPR: 6
; COMPUTE_PGM_RSRC2:TRAP_HANDLER: 0
; COMPUTE_PGM_RSRC2:TGID_X_EN: 1
; COMPUTE_PGM_RSRC2:TGID_Y_EN: 1
; COMPUTE_PGM_RSRC2:TGID_Z_EN: 1
; COMPUTE_PGM_RSRC2:TIDIG_COMP_CNT: 1
	.section	.text._ZL37rocblas_syrkx_herkx_restricted_kernelIi19rocblas_complex_numIdELi16ELi32ELi8ELi1ELin1ELb0ELc84ELc76EKPKS1_KPS1_EviT_PT9_S7_lS9_S7_lPT10_S7_li,"axG",@progbits,_ZL37rocblas_syrkx_herkx_restricted_kernelIi19rocblas_complex_numIdELi16ELi32ELi8ELi1ELin1ELb0ELc84ELc76EKPKS1_KPS1_EviT_PT9_S7_lS9_S7_lPT10_S7_li,comdat
	.globl	_ZL37rocblas_syrkx_herkx_restricted_kernelIi19rocblas_complex_numIdELi16ELi32ELi8ELi1ELin1ELb0ELc84ELc76EKPKS1_KPS1_EviT_PT9_S7_lS9_S7_lPT10_S7_li ; -- Begin function _ZL37rocblas_syrkx_herkx_restricted_kernelIi19rocblas_complex_numIdELi16ELi32ELi8ELi1ELin1ELb0ELc84ELc76EKPKS1_KPS1_EviT_PT9_S7_lS9_S7_lPT10_S7_li
	.p2align	8
	.type	_ZL37rocblas_syrkx_herkx_restricted_kernelIi19rocblas_complex_numIdELi16ELi32ELi8ELi1ELin1ELb0ELc84ELc76EKPKS1_KPS1_EviT_PT9_S7_lS9_S7_lPT10_S7_li,@function
_ZL37rocblas_syrkx_herkx_restricted_kernelIi19rocblas_complex_numIdELi16ELi32ELi8ELi1ELin1ELb0ELc84ELc76EKPKS1_KPS1_EviT_PT9_S7_lS9_S7_lPT10_S7_li: ; @_ZL37rocblas_syrkx_herkx_restricted_kernelIi19rocblas_complex_numIdELi16ELi32ELi8ELi1ELin1ELb0ELc84ELc76EKPKS1_KPS1_EviT_PT9_S7_lS9_S7_lPT10_S7_li
; %bb.0:
	s_load_dwordx2 s[2:3], s[4:5], 0x38
	s_load_dwordx2 s[12:13], s[4:5], 0x0
	s_mov_b32 s9, 0
	s_lshl_b64 s[0:1], s[8:9], 3
	s_waitcnt lgkmcnt(0)
	s_add_u32 s2, s2, s0
	s_addc_u32 s3, s3, s1
	s_load_dwordx2 s[10:11], s[2:3], 0x0
	s_lshl_b32 s2, s6, 5
	s_lshl_b32 s3, s7, 5
	s_cmp_lt_i32 s13, 1
	s_cbranch_scc1 .LBB701_3
; %bb.1:
	s_load_dwordx2 s[6:7], s[4:5], 0x8
	s_load_dword s8, s[4:5], 0x10
	s_load_dwordx2 s[14:15], s[4:5], 0x20
	s_load_dword s16, s[4:5], 0x28
	v_lshl_add_u32 v6, v1, 4, v0
	s_waitcnt lgkmcnt(0)
	s_add_u32 s6, s6, s0
	s_addc_u32 s7, s7, s1
	v_lshrrev_b32_e32 v8, 3, v6
	s_add_u32 s0, s14, s0
	v_add_u32_e32 v4, s3, v8
	v_and_b32_e32 v2, 7, v0
	v_mov_b32_e32 v3, 0
	s_addc_u32 s1, s15, s1
	v_mad_i64_i32 v[4:5], s[14:15], s16, v4, v[2:3]
	v_and_b32_e32 v9, 31, v6
	v_lshlrev_b32_e32 v2, 4, v2
	v_lshrrev_b32_e32 v6, 5, v6
	v_mov_b32_e32 v7, v3
	v_lshlrev_b32_e32 v3, 4, v9
	v_lshl_or_b32 v8, v8, 7, v2
	v_add_u32_e32 v2, s2, v9
	v_lshl_or_b32 v22, v6, 9, v3
	v_mad_i64_i32 v[2:3], s[14:15], s8, v2, v[6:7]
	s_load_dwordx2 s[6:7], s[6:7], 0x0
	v_lshlrev_b64 v[4:5], 4, v[4:5]
	s_load_dwordx2 s[0:1], s[0:1], 0x0
	v_lshlrev_b64 v[2:3], 4, v[2:3]
	v_add_u32_e32 v23, 0x1000, v8
	s_waitcnt lgkmcnt(0)
	v_mov_b32_e32 v6, s7
	v_add_co_u32_e32 v2, vcc, s6, v2
	v_addc_co_u32_e32 v3, vcc, v6, v3, vcc
	v_mov_b32_e32 v6, s1
	v_add_co_u32_e32 v4, vcc, s0, v4
	v_mov_b32_e32 v25, 0x1000
	v_addc_co_u32_e32 v5, vcc, v6, v5, vcc
	v_mov_b32_e32 v10, 0
	v_mov_b32_e32 v12, 0
	;; [unrolled: 1-line block ×8, first 2 shown]
	v_lshlrev_b32_e32 v24, 4, v0
	v_mov_b32_e32 v11, 0
	v_mov_b32_e32 v13, 0
	;; [unrolled: 1-line block ×8, first 2 shown]
	v_lshl_add_u32 v25, v1, 7, v25
.LBB701_2:                              ; =>This Inner Loop Header: Depth=1
	flat_load_dwordx4 v[26:29], v[2:3]
	v_add_co_u32_e32 v2, vcc, 0x80, v2
	v_addc_co_u32_e32 v3, vcc, 0, v3, vcc
	s_add_i32 s9, s9, 8
	s_cmp_ge_i32 s9, s13
	s_waitcnt vmcnt(0) lgkmcnt(0)
	ds_write_b128 v22, v[26:29]
	flat_load_dwordx4 v[26:29], v[4:5]
	v_add_co_u32_e32 v4, vcc, 0x80, v4
	v_addc_co_u32_e32 v5, vcc, 0, v5, vcc
	s_waitcnt vmcnt(0) lgkmcnt(0)
	ds_write_b128 v23, v[26:29]
	s_waitcnt lgkmcnt(0)
	s_barrier
	ds_read_b128 v[26:29], v25
	ds_read_b128 v[30:33], v25 offset:16
	ds_read_b128 v[34:37], v25 offset:32
	;; [unrolled: 1-line block ×3, first 2 shown]
	ds_read_b128 v[42:45], v24
	s_waitcnt lgkmcnt(0)
	v_mul_f64 v[46:47], v[28:29], v[44:45]
	v_mul_f64 v[48:49], v[26:27], v[44:45]
	v_fma_f64 v[46:47], v[26:27], v[42:43], -v[46:47]
	v_fma_f64 v[48:49], v[28:29], v[42:43], v[48:49]
	v_add_f64 v[46:47], v[14:15], v[46:47]
	v_add_f64 v[48:49], v[48:49], v[16:17]
	ds_read_b128 v[14:17], v24 offset:256
	s_waitcnt lgkmcnt(0)
	v_mul_f64 v[50:51], v[28:29], v[16:17]
	v_fma_f64 v[50:51], v[26:27], v[14:15], -v[50:51]
	v_mul_f64 v[26:27], v[26:27], v[16:17]
	v_fma_f64 v[26:27], v[28:29], v[14:15], v[26:27]
	v_add_f64 v[28:29], v[8:9], v[50:51]
	v_add_f64 v[26:27], v[26:27], v[6:7]
	ds_read_b128 v[6:9], v25 offset:2048
	s_waitcnt lgkmcnt(0)
	v_mul_f64 v[50:51], v[8:9], v[44:45]
	v_mul_f64 v[44:45], v[6:7], v[44:45]
	v_fma_f64 v[50:51], v[6:7], v[42:43], -v[50:51]
	v_fma_f64 v[42:43], v[8:9], v[42:43], v[44:45]
	v_add_f64 v[20:21], v[20:21], v[50:51]
	v_add_f64 v[18:19], v[42:43], v[18:19]
	v_mul_f64 v[42:43], v[8:9], v[16:17]
	v_fma_f64 v[42:43], v[6:7], v[14:15], -v[42:43]
	v_mul_f64 v[6:7], v[6:7], v[16:17]
	v_add_f64 v[42:43], v[12:13], v[42:43]
	v_fma_f64 v[6:7], v[8:9], v[14:15], v[6:7]
	v_add_f64 v[44:45], v[6:7], v[10:11]
	ds_read_b128 v[6:9], v24 offset:512
	s_waitcnt lgkmcnt(0)
	v_mul_f64 v[10:11], v[32:33], v[8:9]
	v_mul_f64 v[12:13], v[30:31], v[8:9]
	v_fma_f64 v[10:11], v[30:31], v[6:7], -v[10:11]
	v_fma_f64 v[12:13], v[32:33], v[6:7], v[12:13]
	v_add_f64 v[46:47], v[46:47], v[10:11]
	v_add_f64 v[48:49], v[12:13], v[48:49]
	ds_read_b128 v[10:13], v24 offset:768
	s_waitcnt lgkmcnt(0)
	v_mul_f64 v[14:15], v[32:33], v[12:13]
	v_mul_f64 v[16:17], v[30:31], v[12:13]
	v_fma_f64 v[14:15], v[30:31], v[10:11], -v[14:15]
	v_fma_f64 v[16:17], v[32:33], v[10:11], v[16:17]
	v_add_f64 v[28:29], v[28:29], v[14:15]
	v_add_f64 v[26:27], v[16:17], v[26:27]
	ds_read_b128 v[14:17], v25 offset:2064
	s_waitcnt lgkmcnt(0)
	v_mul_f64 v[30:31], v[16:17], v[8:9]
	v_mul_f64 v[8:9], v[14:15], v[8:9]
	v_fma_f64 v[30:31], v[14:15], v[6:7], -v[30:31]
	v_fma_f64 v[6:7], v[16:17], v[6:7], v[8:9]
	v_mul_f64 v[8:9], v[14:15], v[12:13]
	v_add_f64 v[20:21], v[20:21], v[30:31]
	v_add_f64 v[18:19], v[6:7], v[18:19]
	v_mul_f64 v[6:7], v[16:17], v[12:13]
	v_fma_f64 v[8:9], v[16:17], v[10:11], v[8:9]
	v_fma_f64 v[6:7], v[14:15], v[10:11], -v[6:7]
	v_add_f64 v[32:33], v[8:9], v[44:45]
	v_add_f64 v[30:31], v[42:43], v[6:7]
	ds_read_b128 v[6:9], v24 offset:1024
	s_waitcnt lgkmcnt(0)
	v_mul_f64 v[10:11], v[36:37], v[8:9]
	v_mul_f64 v[12:13], v[34:35], v[8:9]
	v_fma_f64 v[10:11], v[34:35], v[6:7], -v[10:11]
	v_fma_f64 v[12:13], v[36:37], v[6:7], v[12:13]
	v_add_f64 v[42:43], v[46:47], v[10:11]
	v_add_f64 v[44:45], v[12:13], v[48:49]
	ds_read_b128 v[10:13], v24 offset:1280
	s_waitcnt lgkmcnt(0)
	v_mul_f64 v[14:15], v[36:37], v[12:13]
	v_mul_f64 v[16:17], v[34:35], v[12:13]
	v_fma_f64 v[14:15], v[34:35], v[10:11], -v[14:15]
	v_fma_f64 v[16:17], v[36:37], v[10:11], v[16:17]
	v_add_f64 v[28:29], v[28:29], v[14:15]
	v_add_f64 v[26:27], v[16:17], v[26:27]
	ds_read_b128 v[14:17], v25 offset:2080
	s_waitcnt lgkmcnt(0)
	v_mul_f64 v[34:35], v[16:17], v[8:9]
	v_mul_f64 v[8:9], v[14:15], v[8:9]
	v_fma_f64 v[34:35], v[14:15], v[6:7], -v[34:35]
	v_fma_f64 v[6:7], v[16:17], v[6:7], v[8:9]
	v_mul_f64 v[8:9], v[14:15], v[12:13]
	v_add_f64 v[20:21], v[20:21], v[34:35]
	v_add_f64 v[18:19], v[6:7], v[18:19]
	v_mul_f64 v[6:7], v[16:17], v[12:13]
	v_fma_f64 v[8:9], v[16:17], v[10:11], v[8:9]
	v_fma_f64 v[6:7], v[14:15], v[10:11], -v[6:7]
	v_add_f64 v[32:33], v[8:9], v[32:33]
	v_add_f64 v[30:31], v[30:31], v[6:7]
	ds_read_b128 v[6:9], v24 offset:1536
	s_waitcnt lgkmcnt(0)
	v_mul_f64 v[10:11], v[40:41], v[8:9]
	v_mul_f64 v[12:13], v[38:39], v[8:9]
	v_fma_f64 v[10:11], v[38:39], v[6:7], -v[10:11]
	v_fma_f64 v[12:13], v[40:41], v[6:7], v[12:13]
	v_add_f64 v[34:35], v[42:43], v[10:11]
	v_add_f64 v[36:37], v[12:13], v[44:45]
	ds_read_b128 v[10:13], v24 offset:1792
	s_waitcnt lgkmcnt(0)
	v_mul_f64 v[14:15], v[40:41], v[12:13]
	v_mul_f64 v[16:17], v[38:39], v[12:13]
	v_fma_f64 v[14:15], v[38:39], v[10:11], -v[14:15]
	v_fma_f64 v[16:17], v[40:41], v[10:11], v[16:17]
	v_add_f64 v[28:29], v[28:29], v[14:15]
	v_add_f64 v[26:27], v[16:17], v[26:27]
	ds_read_b128 v[14:17], v25 offset:2096
	s_waitcnt lgkmcnt(0)
	v_mul_f64 v[38:39], v[16:17], v[8:9]
	v_mul_f64 v[8:9], v[14:15], v[8:9]
	v_fma_f64 v[38:39], v[14:15], v[6:7], -v[38:39]
	v_fma_f64 v[6:7], v[16:17], v[6:7], v[8:9]
	v_mul_f64 v[8:9], v[14:15], v[12:13]
	v_add_f64 v[20:21], v[20:21], v[38:39]
	v_add_f64 v[18:19], v[6:7], v[18:19]
	v_mul_f64 v[6:7], v[16:17], v[12:13]
	v_fma_f64 v[8:9], v[16:17], v[10:11], v[8:9]
	v_fma_f64 v[6:7], v[14:15], v[10:11], -v[6:7]
	v_add_f64 v[32:33], v[8:9], v[32:33]
	v_add_f64 v[30:31], v[30:31], v[6:7]
	ds_read_b128 v[6:9], v25 offset:64
	ds_read_b128 v[10:13], v24 offset:2048
	s_waitcnt lgkmcnt(0)
	v_mul_f64 v[14:15], v[8:9], v[12:13]
	v_mul_f64 v[16:17], v[6:7], v[12:13]
	v_fma_f64 v[14:15], v[6:7], v[10:11], -v[14:15]
	v_fma_f64 v[16:17], v[8:9], v[10:11], v[16:17]
	v_add_f64 v[34:35], v[34:35], v[14:15]
	v_add_f64 v[36:37], v[16:17], v[36:37]
	ds_read_b128 v[14:17], v24 offset:2304
	s_waitcnt lgkmcnt(0)
	v_mul_f64 v[38:39], v[8:9], v[16:17]
	v_fma_f64 v[38:39], v[6:7], v[14:15], -v[38:39]
	v_mul_f64 v[6:7], v[6:7], v[16:17]
	v_add_f64 v[28:29], v[28:29], v[38:39]
	v_fma_f64 v[6:7], v[8:9], v[14:15], v[6:7]
	v_add_f64 v[26:27], v[6:7], v[26:27]
	ds_read_b128 v[6:9], v25 offset:2112
	s_waitcnt lgkmcnt(0)
	v_mul_f64 v[38:39], v[8:9], v[12:13]
	v_mul_f64 v[12:13], v[6:7], v[12:13]
	v_fma_f64 v[38:39], v[6:7], v[10:11], -v[38:39]
	v_fma_f64 v[10:11], v[8:9], v[10:11], v[12:13]
	v_add_f64 v[20:21], v[20:21], v[38:39]
	v_add_f64 v[18:19], v[10:11], v[18:19]
	v_mul_f64 v[10:11], v[8:9], v[16:17]
	v_fma_f64 v[10:11], v[6:7], v[14:15], -v[10:11]
	v_mul_f64 v[6:7], v[6:7], v[16:17]
	v_add_f64 v[30:31], v[30:31], v[10:11]
	v_fma_f64 v[6:7], v[8:9], v[14:15], v[6:7]
	v_add_f64 v[32:33], v[6:7], v[32:33]
	ds_read_b128 v[6:9], v25 offset:80
	ds_read_b128 v[10:13], v24 offset:2560
	s_waitcnt lgkmcnt(0)
	v_mul_f64 v[14:15], v[8:9], v[12:13]
	v_mul_f64 v[16:17], v[6:7], v[12:13]
	v_fma_f64 v[14:15], v[6:7], v[10:11], -v[14:15]
	v_fma_f64 v[16:17], v[8:9], v[10:11], v[16:17]
	v_add_f64 v[34:35], v[34:35], v[14:15]
	v_add_f64 v[36:37], v[16:17], v[36:37]
	ds_read_b128 v[14:17], v24 offset:2816
	s_waitcnt lgkmcnt(0)
	v_mul_f64 v[38:39], v[8:9], v[16:17]
	v_fma_f64 v[38:39], v[6:7], v[14:15], -v[38:39]
	v_mul_f64 v[6:7], v[6:7], v[16:17]
	v_add_f64 v[28:29], v[28:29], v[38:39]
	v_fma_f64 v[6:7], v[8:9], v[14:15], v[6:7]
	v_add_f64 v[26:27], v[6:7], v[26:27]
	ds_read_b128 v[6:9], v25 offset:2128
	s_waitcnt lgkmcnt(0)
	v_mul_f64 v[38:39], v[8:9], v[12:13]
	v_mul_f64 v[12:13], v[6:7], v[12:13]
	v_fma_f64 v[38:39], v[6:7], v[10:11], -v[38:39]
	v_fma_f64 v[10:11], v[8:9], v[10:11], v[12:13]
	v_add_f64 v[20:21], v[20:21], v[38:39]
	v_add_f64 v[18:19], v[10:11], v[18:19]
	v_mul_f64 v[10:11], v[8:9], v[16:17]
	v_fma_f64 v[10:11], v[6:7], v[14:15], -v[10:11]
	v_mul_f64 v[6:7], v[6:7], v[16:17]
	v_add_f64 v[30:31], v[30:31], v[10:11]
	v_fma_f64 v[6:7], v[8:9], v[14:15], v[6:7]
	;; [unrolled: 31-line block ×3, first 2 shown]
	v_add_f64 v[44:45], v[6:7], v[32:33]
	ds_read_b128 v[6:9], v25 offset:112
	ds_read_b128 v[10:13], v24 offset:3584
	ds_read_b128 v[26:29], v24 offset:3840
	s_waitcnt lgkmcnt(1)
	v_mul_f64 v[14:15], v[8:9], v[12:13]
	s_waitcnt lgkmcnt(0)
	v_mul_f64 v[30:31], v[8:9], v[28:29]
	v_mul_f64 v[16:17], v[6:7], v[12:13]
	v_fma_f64 v[14:15], v[6:7], v[10:11], -v[14:15]
	v_fma_f64 v[30:31], v[6:7], v[26:27], -v[30:31]
	v_mul_f64 v[6:7], v[6:7], v[28:29]
	v_fma_f64 v[16:17], v[8:9], v[10:11], v[16:17]
	v_add_f64 v[14:15], v[34:35], v[14:15]
	v_fma_f64 v[6:7], v[8:9], v[26:27], v[6:7]
	v_add_f64 v[8:9], v[38:39], v[30:31]
	ds_read_b128 v[30:33], v25 offset:2160
	v_add_f64 v[16:17], v[16:17], v[36:37]
	s_waitcnt lgkmcnt(0)
	s_barrier
	v_mul_f64 v[34:35], v[32:33], v[12:13]
	v_mul_f64 v[12:13], v[30:31], v[12:13]
	v_add_f64 v[6:7], v[6:7], v[40:41]
	v_fma_f64 v[34:35], v[30:31], v[10:11], -v[34:35]
	v_fma_f64 v[10:11], v[32:33], v[10:11], v[12:13]
	v_mul_f64 v[12:13], v[30:31], v[28:29]
	v_add_f64 v[20:21], v[20:21], v[34:35]
	v_add_f64 v[18:19], v[10:11], v[18:19]
	v_mul_f64 v[10:11], v[32:33], v[28:29]
	v_fma_f64 v[10:11], v[30:31], v[26:27], -v[10:11]
	v_fma_f64 v[26:27], v[32:33], v[26:27], v[12:13]
	v_add_f64 v[12:13], v[42:43], v[10:11]
	v_add_f64 v[10:11], v[26:27], v[44:45]
	s_cbranch_scc0 .LBB701_2
	s_branch .LBB701_4
.LBB701_3:
	v_mov_b32_e32 v14, 0
	v_mov_b32_e32 v16, 0
	;; [unrolled: 1-line block ×16, first 2 shown]
.LBB701_4:
	s_load_dword s6, s[4:5], 0x40
	v_add_u32_e32 v4, s3, v1
	s_waitcnt lgkmcnt(0)
	v_mov_b32_e32 v3, s11
	v_add_u32_e32 v0, s2, v0
	v_mad_i64_i32 v[1:2], s[0:1], v4, s6, 0
	v_cmp_le_i32_e64 s[0:1], v4, v0
	v_lshlrev_b64 v[1:2], 4, v[1:2]
	v_add_co_u32_e32 v5, vcc, s10, v1
	v_addc_co_u32_e32 v22, vcc, v3, v2, vcc
	v_cmp_gt_i32_e32 vcc, s12, v0
	s_and_b64 s[0:1], s[0:1], vcc
	s_and_saveexec_b64 s[2:3], s[0:1]
	s_cbranch_execz .LBB701_6
; %bb.5:
	v_ashrrev_i32_e32 v1, 31, v0
	v_lshlrev_b64 v[1:2], 4, v[0:1]
	v_add_co_u32_e64 v1, s[0:1], v5, v1
	v_addc_co_u32_e64 v2, s[0:1], v22, v2, s[0:1]
	flat_load_dwordx4 v[23:26], v[1:2]
	s_waitcnt vmcnt(0) lgkmcnt(0)
	v_add_f64 v[14:15], v[14:15], -v[23:24]
	v_add_f64 v[16:17], v[16:17], -v[25:26]
	flat_store_dwordx4 v[1:2], v[14:17]
.LBB701_6:
	s_or_b64 exec, exec, s[2:3]
	v_add_u32_e32 v2, 16, v0
	v_cmp_le_i32_e64 s[2:3], v4, v2
	v_cmp_gt_i32_e64 s[0:1], s12, v2
	s_and_b64 s[2:3], s[2:3], s[0:1]
	s_and_saveexec_b64 s[4:5], s[2:3]
	s_cbranch_execz .LBB701_8
; %bb.7:
	v_ashrrev_i32_e32 v3, 31, v2
	v_lshlrev_b64 v[14:15], 4, v[2:3]
	v_add_co_u32_e64 v23, s[2:3], v5, v14
	v_addc_co_u32_e64 v24, s[2:3], v22, v15, s[2:3]
	flat_load_dwordx4 v[14:17], v[23:24]
	s_waitcnt vmcnt(0) lgkmcnt(0)
	v_add_f64 v[14:15], v[8:9], -v[14:15]
	v_add_f64 v[16:17], v[6:7], -v[16:17]
	flat_store_dwordx4 v[23:24], v[14:17]
.LBB701_8:
	s_or_b64 exec, exec, s[4:5]
	v_add_u32_e32 v3, 16, v4
	v_mad_i64_i32 v[4:5], s[2:3], v3, s6, 0
	v_mov_b32_e32 v1, s11
	v_lshlrev_b64 v[4:5], 4, v[4:5]
	v_add_co_u32_e64 v4, s[2:3], s10, v4
	v_addc_co_u32_e64 v5, s[2:3], v1, v5, s[2:3]
	v_cmp_le_i32_e64 s[2:3], v3, v0
	s_and_b64 s[4:5], s[2:3], vcc
	s_and_saveexec_b64 s[2:3], s[4:5]
	s_cbranch_execz .LBB701_10
; %bb.9:
	v_ashrrev_i32_e32 v1, 31, v0
	v_lshlrev_b64 v[0:1], 4, v[0:1]
	v_add_co_u32_e32 v0, vcc, v4, v0
	v_addc_co_u32_e32 v1, vcc, v5, v1, vcc
	flat_load_dwordx4 v[6:9], v[0:1]
	s_waitcnt vmcnt(0) lgkmcnt(0)
	v_add_f64 v[6:7], v[20:21], -v[6:7]
	v_add_f64 v[8:9], v[18:19], -v[8:9]
	flat_store_dwordx4 v[0:1], v[6:9]
.LBB701_10:
	s_or_b64 exec, exec, s[2:3]
	v_cmp_le_i32_e32 vcc, v3, v2
	s_and_b64 s[0:1], vcc, s[0:1]
	s_and_saveexec_b64 s[2:3], s[0:1]
	s_cbranch_execz .LBB701_12
; %bb.11:
	v_ashrrev_i32_e32 v3, 31, v2
	v_lshlrev_b64 v[0:1], 4, v[2:3]
	v_add_co_u32_e32 v4, vcc, v4, v0
	v_addc_co_u32_e32 v5, vcc, v5, v1, vcc
	flat_load_dwordx4 v[0:3], v[4:5]
	s_waitcnt vmcnt(0) lgkmcnt(0)
	v_add_f64 v[0:1], v[12:13], -v[0:1]
	v_add_f64 v[2:3], v[10:11], -v[2:3]
	flat_store_dwordx4 v[4:5], v[0:3]
.LBB701_12:
	s_endpgm
	.section	.rodata,"a",@progbits
	.p2align	6, 0x0
	.amdhsa_kernel _ZL37rocblas_syrkx_herkx_restricted_kernelIi19rocblas_complex_numIdELi16ELi32ELi8ELi1ELin1ELb0ELc84ELc76EKPKS1_KPS1_EviT_PT9_S7_lS9_S7_lPT10_S7_li
		.amdhsa_group_segment_fixed_size 8192
		.amdhsa_private_segment_fixed_size 0
		.amdhsa_kernarg_size 84
		.amdhsa_user_sgpr_count 6
		.amdhsa_user_sgpr_private_segment_buffer 1
		.amdhsa_user_sgpr_dispatch_ptr 0
		.amdhsa_user_sgpr_queue_ptr 0
		.amdhsa_user_sgpr_kernarg_segment_ptr 1
		.amdhsa_user_sgpr_dispatch_id 0
		.amdhsa_user_sgpr_flat_scratch_init 0
		.amdhsa_user_sgpr_private_segment_size 0
		.amdhsa_uses_dynamic_stack 0
		.amdhsa_system_sgpr_private_segment_wavefront_offset 0
		.amdhsa_system_sgpr_workgroup_id_x 1
		.amdhsa_system_sgpr_workgroup_id_y 1
		.amdhsa_system_sgpr_workgroup_id_z 1
		.amdhsa_system_sgpr_workgroup_info 0
		.amdhsa_system_vgpr_workitem_id 1
		.amdhsa_next_free_vgpr 52
		.amdhsa_next_free_sgpr 61
		.amdhsa_reserve_vcc 1
		.amdhsa_reserve_flat_scratch 0
		.amdhsa_float_round_mode_32 0
		.amdhsa_float_round_mode_16_64 0
		.amdhsa_float_denorm_mode_32 3
		.amdhsa_float_denorm_mode_16_64 3
		.amdhsa_dx10_clamp 1
		.amdhsa_ieee_mode 1
		.amdhsa_fp16_overflow 0
		.amdhsa_exception_fp_ieee_invalid_op 0
		.amdhsa_exception_fp_denorm_src 0
		.amdhsa_exception_fp_ieee_div_zero 0
		.amdhsa_exception_fp_ieee_overflow 0
		.amdhsa_exception_fp_ieee_underflow 0
		.amdhsa_exception_fp_ieee_inexact 0
		.amdhsa_exception_int_div_zero 0
	.end_amdhsa_kernel
	.section	.text._ZL37rocblas_syrkx_herkx_restricted_kernelIi19rocblas_complex_numIdELi16ELi32ELi8ELi1ELin1ELb0ELc84ELc76EKPKS1_KPS1_EviT_PT9_S7_lS9_S7_lPT10_S7_li,"axG",@progbits,_ZL37rocblas_syrkx_herkx_restricted_kernelIi19rocblas_complex_numIdELi16ELi32ELi8ELi1ELin1ELb0ELc84ELc76EKPKS1_KPS1_EviT_PT9_S7_lS9_S7_lPT10_S7_li,comdat
.Lfunc_end701:
	.size	_ZL37rocblas_syrkx_herkx_restricted_kernelIi19rocblas_complex_numIdELi16ELi32ELi8ELi1ELin1ELb0ELc84ELc76EKPKS1_KPS1_EviT_PT9_S7_lS9_S7_lPT10_S7_li, .Lfunc_end701-_ZL37rocblas_syrkx_herkx_restricted_kernelIi19rocblas_complex_numIdELi16ELi32ELi8ELi1ELin1ELb0ELc84ELc76EKPKS1_KPS1_EviT_PT9_S7_lS9_S7_lPT10_S7_li
                                        ; -- End function
	.set _ZL37rocblas_syrkx_herkx_restricted_kernelIi19rocblas_complex_numIdELi16ELi32ELi8ELi1ELin1ELb0ELc84ELc76EKPKS1_KPS1_EviT_PT9_S7_lS9_S7_lPT10_S7_li.num_vgpr, 52
	.set _ZL37rocblas_syrkx_herkx_restricted_kernelIi19rocblas_complex_numIdELi16ELi32ELi8ELi1ELin1ELb0ELc84ELc76EKPKS1_KPS1_EviT_PT9_S7_lS9_S7_lPT10_S7_li.num_agpr, 0
	.set _ZL37rocblas_syrkx_herkx_restricted_kernelIi19rocblas_complex_numIdELi16ELi32ELi8ELi1ELin1ELb0ELc84ELc76EKPKS1_KPS1_EviT_PT9_S7_lS9_S7_lPT10_S7_li.numbered_sgpr, 17
	.set _ZL37rocblas_syrkx_herkx_restricted_kernelIi19rocblas_complex_numIdELi16ELi32ELi8ELi1ELin1ELb0ELc84ELc76EKPKS1_KPS1_EviT_PT9_S7_lS9_S7_lPT10_S7_li.num_named_barrier, 0
	.set _ZL37rocblas_syrkx_herkx_restricted_kernelIi19rocblas_complex_numIdELi16ELi32ELi8ELi1ELin1ELb0ELc84ELc76EKPKS1_KPS1_EviT_PT9_S7_lS9_S7_lPT10_S7_li.private_seg_size, 0
	.set _ZL37rocblas_syrkx_herkx_restricted_kernelIi19rocblas_complex_numIdELi16ELi32ELi8ELi1ELin1ELb0ELc84ELc76EKPKS1_KPS1_EviT_PT9_S7_lS9_S7_lPT10_S7_li.uses_vcc, 1
	.set _ZL37rocblas_syrkx_herkx_restricted_kernelIi19rocblas_complex_numIdELi16ELi32ELi8ELi1ELin1ELb0ELc84ELc76EKPKS1_KPS1_EviT_PT9_S7_lS9_S7_lPT10_S7_li.uses_flat_scratch, 0
	.set _ZL37rocblas_syrkx_herkx_restricted_kernelIi19rocblas_complex_numIdELi16ELi32ELi8ELi1ELin1ELb0ELc84ELc76EKPKS1_KPS1_EviT_PT9_S7_lS9_S7_lPT10_S7_li.has_dyn_sized_stack, 0
	.set _ZL37rocblas_syrkx_herkx_restricted_kernelIi19rocblas_complex_numIdELi16ELi32ELi8ELi1ELin1ELb0ELc84ELc76EKPKS1_KPS1_EviT_PT9_S7_lS9_S7_lPT10_S7_li.has_recursion, 0
	.set _ZL37rocblas_syrkx_herkx_restricted_kernelIi19rocblas_complex_numIdELi16ELi32ELi8ELi1ELin1ELb0ELc84ELc76EKPKS1_KPS1_EviT_PT9_S7_lS9_S7_lPT10_S7_li.has_indirect_call, 0
	.section	.AMDGPU.csdata,"",@progbits
; Kernel info:
; codeLenInByte = 2824
; TotalNumSgprs: 21
; NumVgprs: 52
; ScratchSize: 0
; MemoryBound: 0
; FloatMode: 240
; IeeeMode: 1
; LDSByteSize: 8192 bytes/workgroup (compile time only)
; SGPRBlocks: 8
; VGPRBlocks: 12
; NumSGPRsForWavesPerEU: 65
; NumVGPRsForWavesPerEU: 52
; Occupancy: 4
; WaveLimiterHint : 1
; COMPUTE_PGM_RSRC2:SCRATCH_EN: 0
; COMPUTE_PGM_RSRC2:USER_SGPR: 6
; COMPUTE_PGM_RSRC2:TRAP_HANDLER: 0
; COMPUTE_PGM_RSRC2:TGID_X_EN: 1
; COMPUTE_PGM_RSRC2:TGID_Y_EN: 1
; COMPUTE_PGM_RSRC2:TGID_Z_EN: 1
; COMPUTE_PGM_RSRC2:TIDIG_COMP_CNT: 1
	.section	.text._ZL37rocblas_syrkx_herkx_restricted_kernelIi19rocblas_complex_numIdELi16ELi32ELi8ELi1ELin1ELb0ELc67ELc76EKPKS1_KPS1_EviT_PT9_S7_lS9_S7_lPT10_S7_li,"axG",@progbits,_ZL37rocblas_syrkx_herkx_restricted_kernelIi19rocblas_complex_numIdELi16ELi32ELi8ELi1ELin1ELb0ELc67ELc76EKPKS1_KPS1_EviT_PT9_S7_lS9_S7_lPT10_S7_li,comdat
	.globl	_ZL37rocblas_syrkx_herkx_restricted_kernelIi19rocblas_complex_numIdELi16ELi32ELi8ELi1ELin1ELb0ELc67ELc76EKPKS1_KPS1_EviT_PT9_S7_lS9_S7_lPT10_S7_li ; -- Begin function _ZL37rocblas_syrkx_herkx_restricted_kernelIi19rocblas_complex_numIdELi16ELi32ELi8ELi1ELin1ELb0ELc67ELc76EKPKS1_KPS1_EviT_PT9_S7_lS9_S7_lPT10_S7_li
	.p2align	8
	.type	_ZL37rocblas_syrkx_herkx_restricted_kernelIi19rocblas_complex_numIdELi16ELi32ELi8ELi1ELin1ELb0ELc67ELc76EKPKS1_KPS1_EviT_PT9_S7_lS9_S7_lPT10_S7_li,@function
_ZL37rocblas_syrkx_herkx_restricted_kernelIi19rocblas_complex_numIdELi16ELi32ELi8ELi1ELin1ELb0ELc67ELc76EKPKS1_KPS1_EviT_PT9_S7_lS9_S7_lPT10_S7_li: ; @_ZL37rocblas_syrkx_herkx_restricted_kernelIi19rocblas_complex_numIdELi16ELi32ELi8ELi1ELin1ELb0ELc67ELc76EKPKS1_KPS1_EviT_PT9_S7_lS9_S7_lPT10_S7_li
; %bb.0:
	s_load_dwordx2 s[2:3], s[4:5], 0x38
	s_load_dwordx2 s[12:13], s[4:5], 0x0
	s_mov_b32 s9, 0
	s_lshl_b64 s[0:1], s[8:9], 3
	s_waitcnt lgkmcnt(0)
	s_add_u32 s2, s2, s0
	s_addc_u32 s3, s3, s1
	s_load_dwordx2 s[10:11], s[2:3], 0x0
	s_lshl_b32 s2, s6, 5
	s_lshl_b32 s3, s7, 5
	s_cmp_lt_i32 s13, 1
	s_cbranch_scc1 .LBB702_3
; %bb.1:
	s_load_dwordx2 s[6:7], s[4:5], 0x8
	s_load_dword s8, s[4:5], 0x10
	s_load_dwordx2 s[14:15], s[4:5], 0x20
	s_load_dword s16, s[4:5], 0x28
	v_lshl_add_u32 v6, v1, 4, v0
	s_waitcnt lgkmcnt(0)
	s_add_u32 s6, s6, s0
	s_addc_u32 s7, s7, s1
	v_lshrrev_b32_e32 v8, 3, v6
	s_add_u32 s0, s14, s0
	v_add_u32_e32 v4, s3, v8
	v_and_b32_e32 v2, 7, v0
	v_mov_b32_e32 v3, 0
	s_addc_u32 s1, s15, s1
	v_mad_i64_i32 v[4:5], s[14:15], s16, v4, v[2:3]
	v_and_b32_e32 v9, 31, v6
	v_lshlrev_b32_e32 v2, 4, v2
	v_lshrrev_b32_e32 v6, 5, v6
	v_mov_b32_e32 v7, v3
	v_lshlrev_b32_e32 v3, 4, v9
	v_lshl_or_b32 v8, v8, 7, v2
	v_add_u32_e32 v2, s2, v9
	v_lshl_or_b32 v22, v6, 9, v3
	v_mad_i64_i32 v[2:3], s[14:15], s8, v2, v[6:7]
	s_load_dwordx2 s[6:7], s[6:7], 0x0
	v_lshlrev_b64 v[4:5], 4, v[4:5]
	s_load_dwordx2 s[0:1], s[0:1], 0x0
	v_lshlrev_b64 v[2:3], 4, v[2:3]
	v_add_u32_e32 v23, 0x1000, v8
	s_waitcnt lgkmcnt(0)
	v_mov_b32_e32 v6, s7
	v_add_co_u32_e32 v2, vcc, s6, v2
	v_addc_co_u32_e32 v3, vcc, v6, v3, vcc
	v_mov_b32_e32 v6, s1
	v_add_co_u32_e32 v4, vcc, s0, v4
	v_mov_b32_e32 v25, 0x1000
	v_addc_co_u32_e32 v5, vcc, v6, v5, vcc
	v_mov_b32_e32 v10, 0
	v_mov_b32_e32 v12, 0
	;; [unrolled: 1-line block ×8, first 2 shown]
	v_lshlrev_b32_e32 v24, 4, v0
	v_mov_b32_e32 v11, 0
	v_mov_b32_e32 v13, 0
	;; [unrolled: 1-line block ×8, first 2 shown]
	v_lshl_add_u32 v25, v1, 7, v25
.LBB702_2:                              ; =>This Inner Loop Header: Depth=1
	flat_load_dwordx4 v[26:29], v[2:3]
	v_add_co_u32_e32 v2, vcc, 0x80, v2
	v_addc_co_u32_e32 v3, vcc, 0, v3, vcc
	s_add_i32 s9, s9, 8
	s_cmp_ge_i32 s9, s13
	s_waitcnt vmcnt(0) lgkmcnt(0)
	ds_write_b128 v22, v[26:29]
	flat_load_dwordx4 v[26:29], v[4:5]
	v_add_co_u32_e32 v4, vcc, 0x80, v4
	v_addc_co_u32_e32 v5, vcc, 0, v5, vcc
	s_waitcnt vmcnt(0) lgkmcnt(0)
	ds_write_b128 v23, v[26:29]
	s_waitcnt lgkmcnt(0)
	s_barrier
	ds_read_b128 v[26:29], v25
	ds_read_b128 v[30:33], v25 offset:16
	ds_read_b128 v[34:37], v25 offset:32
	;; [unrolled: 1-line block ×3, first 2 shown]
	ds_read_b128 v[42:45], v24
	s_waitcnt lgkmcnt(0)
	v_mul_f64 v[46:47], v[28:29], v[44:45]
	v_mul_f64 v[48:49], v[26:27], v[44:45]
	v_fma_f64 v[46:47], v[26:27], v[42:43], -v[46:47]
	v_fma_f64 v[48:49], v[28:29], v[42:43], v[48:49]
	v_add_f64 v[46:47], v[14:15], v[46:47]
	v_add_f64 v[48:49], v[48:49], v[16:17]
	ds_read_b128 v[14:17], v24 offset:256
	s_waitcnt lgkmcnt(0)
	v_mul_f64 v[50:51], v[28:29], v[16:17]
	v_fma_f64 v[50:51], v[26:27], v[14:15], -v[50:51]
	v_mul_f64 v[26:27], v[26:27], v[16:17]
	v_fma_f64 v[26:27], v[28:29], v[14:15], v[26:27]
	v_add_f64 v[28:29], v[8:9], v[50:51]
	v_add_f64 v[26:27], v[26:27], v[6:7]
	ds_read_b128 v[6:9], v25 offset:2048
	s_waitcnt lgkmcnt(0)
	v_mul_f64 v[50:51], v[8:9], v[44:45]
	v_mul_f64 v[44:45], v[6:7], v[44:45]
	v_fma_f64 v[50:51], v[6:7], v[42:43], -v[50:51]
	v_fma_f64 v[42:43], v[8:9], v[42:43], v[44:45]
	v_add_f64 v[20:21], v[20:21], v[50:51]
	v_add_f64 v[18:19], v[42:43], v[18:19]
	v_mul_f64 v[42:43], v[8:9], v[16:17]
	v_fma_f64 v[42:43], v[6:7], v[14:15], -v[42:43]
	v_mul_f64 v[6:7], v[6:7], v[16:17]
	v_add_f64 v[42:43], v[12:13], v[42:43]
	v_fma_f64 v[6:7], v[8:9], v[14:15], v[6:7]
	v_add_f64 v[44:45], v[6:7], v[10:11]
	ds_read_b128 v[6:9], v24 offset:512
	s_waitcnt lgkmcnt(0)
	v_mul_f64 v[10:11], v[32:33], v[8:9]
	v_mul_f64 v[12:13], v[30:31], v[8:9]
	v_fma_f64 v[10:11], v[30:31], v[6:7], -v[10:11]
	v_fma_f64 v[12:13], v[32:33], v[6:7], v[12:13]
	v_add_f64 v[46:47], v[46:47], v[10:11]
	v_add_f64 v[48:49], v[12:13], v[48:49]
	ds_read_b128 v[10:13], v24 offset:768
	s_waitcnt lgkmcnt(0)
	v_mul_f64 v[14:15], v[32:33], v[12:13]
	v_mul_f64 v[16:17], v[30:31], v[12:13]
	v_fma_f64 v[14:15], v[30:31], v[10:11], -v[14:15]
	v_fma_f64 v[16:17], v[32:33], v[10:11], v[16:17]
	v_add_f64 v[28:29], v[28:29], v[14:15]
	v_add_f64 v[26:27], v[16:17], v[26:27]
	ds_read_b128 v[14:17], v25 offset:2064
	s_waitcnt lgkmcnt(0)
	v_mul_f64 v[30:31], v[16:17], v[8:9]
	v_mul_f64 v[8:9], v[14:15], v[8:9]
	v_fma_f64 v[30:31], v[14:15], v[6:7], -v[30:31]
	v_fma_f64 v[6:7], v[16:17], v[6:7], v[8:9]
	v_mul_f64 v[8:9], v[14:15], v[12:13]
	v_add_f64 v[20:21], v[20:21], v[30:31]
	v_add_f64 v[18:19], v[6:7], v[18:19]
	v_mul_f64 v[6:7], v[16:17], v[12:13]
	v_fma_f64 v[8:9], v[16:17], v[10:11], v[8:9]
	v_fma_f64 v[6:7], v[14:15], v[10:11], -v[6:7]
	v_add_f64 v[32:33], v[8:9], v[44:45]
	v_add_f64 v[30:31], v[42:43], v[6:7]
	ds_read_b128 v[6:9], v24 offset:1024
	s_waitcnt lgkmcnt(0)
	v_mul_f64 v[10:11], v[36:37], v[8:9]
	v_mul_f64 v[12:13], v[34:35], v[8:9]
	v_fma_f64 v[10:11], v[34:35], v[6:7], -v[10:11]
	v_fma_f64 v[12:13], v[36:37], v[6:7], v[12:13]
	v_add_f64 v[42:43], v[46:47], v[10:11]
	v_add_f64 v[44:45], v[12:13], v[48:49]
	ds_read_b128 v[10:13], v24 offset:1280
	s_waitcnt lgkmcnt(0)
	v_mul_f64 v[14:15], v[36:37], v[12:13]
	v_mul_f64 v[16:17], v[34:35], v[12:13]
	v_fma_f64 v[14:15], v[34:35], v[10:11], -v[14:15]
	v_fma_f64 v[16:17], v[36:37], v[10:11], v[16:17]
	v_add_f64 v[28:29], v[28:29], v[14:15]
	v_add_f64 v[26:27], v[16:17], v[26:27]
	ds_read_b128 v[14:17], v25 offset:2080
	s_waitcnt lgkmcnt(0)
	v_mul_f64 v[34:35], v[16:17], v[8:9]
	v_mul_f64 v[8:9], v[14:15], v[8:9]
	v_fma_f64 v[34:35], v[14:15], v[6:7], -v[34:35]
	v_fma_f64 v[6:7], v[16:17], v[6:7], v[8:9]
	v_mul_f64 v[8:9], v[14:15], v[12:13]
	v_add_f64 v[20:21], v[20:21], v[34:35]
	v_add_f64 v[18:19], v[6:7], v[18:19]
	v_mul_f64 v[6:7], v[16:17], v[12:13]
	v_fma_f64 v[8:9], v[16:17], v[10:11], v[8:9]
	v_fma_f64 v[6:7], v[14:15], v[10:11], -v[6:7]
	v_add_f64 v[32:33], v[8:9], v[32:33]
	;; [unrolled: 30-line block ×3, first 2 shown]
	v_add_f64 v[30:31], v[30:31], v[6:7]
	ds_read_b128 v[6:9], v25 offset:64
	ds_read_b128 v[10:13], v24 offset:2048
	s_waitcnt lgkmcnt(0)
	v_mul_f64 v[14:15], v[8:9], v[12:13]
	v_mul_f64 v[16:17], v[6:7], v[12:13]
	v_fma_f64 v[14:15], v[6:7], v[10:11], -v[14:15]
	v_fma_f64 v[16:17], v[8:9], v[10:11], v[16:17]
	v_add_f64 v[34:35], v[34:35], v[14:15]
	v_add_f64 v[36:37], v[16:17], v[36:37]
	ds_read_b128 v[14:17], v24 offset:2304
	s_waitcnt lgkmcnt(0)
	v_mul_f64 v[38:39], v[8:9], v[16:17]
	v_fma_f64 v[38:39], v[6:7], v[14:15], -v[38:39]
	v_mul_f64 v[6:7], v[6:7], v[16:17]
	v_add_f64 v[28:29], v[28:29], v[38:39]
	v_fma_f64 v[6:7], v[8:9], v[14:15], v[6:7]
	v_add_f64 v[26:27], v[6:7], v[26:27]
	ds_read_b128 v[6:9], v25 offset:2112
	s_waitcnt lgkmcnt(0)
	v_mul_f64 v[38:39], v[8:9], v[12:13]
	v_mul_f64 v[12:13], v[6:7], v[12:13]
	v_fma_f64 v[38:39], v[6:7], v[10:11], -v[38:39]
	v_fma_f64 v[10:11], v[8:9], v[10:11], v[12:13]
	v_add_f64 v[20:21], v[20:21], v[38:39]
	v_add_f64 v[18:19], v[10:11], v[18:19]
	v_mul_f64 v[10:11], v[8:9], v[16:17]
	v_fma_f64 v[10:11], v[6:7], v[14:15], -v[10:11]
	v_mul_f64 v[6:7], v[6:7], v[16:17]
	v_add_f64 v[30:31], v[30:31], v[10:11]
	v_fma_f64 v[6:7], v[8:9], v[14:15], v[6:7]
	v_add_f64 v[32:33], v[6:7], v[32:33]
	ds_read_b128 v[6:9], v25 offset:80
	ds_read_b128 v[10:13], v24 offset:2560
	s_waitcnt lgkmcnt(0)
	v_mul_f64 v[14:15], v[8:9], v[12:13]
	v_mul_f64 v[16:17], v[6:7], v[12:13]
	v_fma_f64 v[14:15], v[6:7], v[10:11], -v[14:15]
	v_fma_f64 v[16:17], v[8:9], v[10:11], v[16:17]
	v_add_f64 v[34:35], v[34:35], v[14:15]
	v_add_f64 v[36:37], v[16:17], v[36:37]
	ds_read_b128 v[14:17], v24 offset:2816
	s_waitcnt lgkmcnt(0)
	v_mul_f64 v[38:39], v[8:9], v[16:17]
	v_fma_f64 v[38:39], v[6:7], v[14:15], -v[38:39]
	v_mul_f64 v[6:7], v[6:7], v[16:17]
	v_add_f64 v[28:29], v[28:29], v[38:39]
	v_fma_f64 v[6:7], v[8:9], v[14:15], v[6:7]
	v_add_f64 v[26:27], v[6:7], v[26:27]
	ds_read_b128 v[6:9], v25 offset:2128
	s_waitcnt lgkmcnt(0)
	v_mul_f64 v[38:39], v[8:9], v[12:13]
	v_mul_f64 v[12:13], v[6:7], v[12:13]
	v_fma_f64 v[38:39], v[6:7], v[10:11], -v[38:39]
	v_fma_f64 v[10:11], v[8:9], v[10:11], v[12:13]
	v_add_f64 v[20:21], v[20:21], v[38:39]
	v_add_f64 v[18:19], v[10:11], v[18:19]
	v_mul_f64 v[10:11], v[8:9], v[16:17]
	v_fma_f64 v[10:11], v[6:7], v[14:15], -v[10:11]
	v_mul_f64 v[6:7], v[6:7], v[16:17]
	v_add_f64 v[30:31], v[30:31], v[10:11]
	v_fma_f64 v[6:7], v[8:9], v[14:15], v[6:7]
	;; [unrolled: 31-line block ×3, first 2 shown]
	v_add_f64 v[44:45], v[6:7], v[32:33]
	ds_read_b128 v[6:9], v25 offset:112
	ds_read_b128 v[10:13], v24 offset:3584
	;; [unrolled: 1-line block ×3, first 2 shown]
	s_waitcnt lgkmcnt(1)
	v_mul_f64 v[14:15], v[8:9], v[12:13]
	s_waitcnt lgkmcnt(0)
	v_mul_f64 v[30:31], v[8:9], v[28:29]
	v_mul_f64 v[16:17], v[6:7], v[12:13]
	v_fma_f64 v[14:15], v[6:7], v[10:11], -v[14:15]
	v_fma_f64 v[30:31], v[6:7], v[26:27], -v[30:31]
	v_mul_f64 v[6:7], v[6:7], v[28:29]
	v_fma_f64 v[16:17], v[8:9], v[10:11], v[16:17]
	v_add_f64 v[14:15], v[34:35], v[14:15]
	v_fma_f64 v[6:7], v[8:9], v[26:27], v[6:7]
	v_add_f64 v[8:9], v[38:39], v[30:31]
	ds_read_b128 v[30:33], v25 offset:2160
	v_add_f64 v[16:17], v[16:17], v[36:37]
	s_waitcnt lgkmcnt(0)
	s_barrier
	v_mul_f64 v[34:35], v[32:33], v[12:13]
	v_mul_f64 v[12:13], v[30:31], v[12:13]
	v_add_f64 v[6:7], v[6:7], v[40:41]
	v_fma_f64 v[34:35], v[30:31], v[10:11], -v[34:35]
	v_fma_f64 v[10:11], v[32:33], v[10:11], v[12:13]
	v_mul_f64 v[12:13], v[30:31], v[28:29]
	v_add_f64 v[20:21], v[20:21], v[34:35]
	v_add_f64 v[18:19], v[10:11], v[18:19]
	v_mul_f64 v[10:11], v[32:33], v[28:29]
	v_fma_f64 v[10:11], v[30:31], v[26:27], -v[10:11]
	v_fma_f64 v[26:27], v[32:33], v[26:27], v[12:13]
	v_add_f64 v[12:13], v[42:43], v[10:11]
	v_add_f64 v[10:11], v[26:27], v[44:45]
	s_cbranch_scc0 .LBB702_2
	s_branch .LBB702_4
.LBB702_3:
	v_mov_b32_e32 v14, 0
	v_mov_b32_e32 v16, 0
	;; [unrolled: 1-line block ×16, first 2 shown]
.LBB702_4:
	s_load_dword s6, s[4:5], 0x40
	v_add_u32_e32 v4, s3, v1
	s_waitcnt lgkmcnt(0)
	v_mov_b32_e32 v3, s11
	v_add_u32_e32 v0, s2, v0
	v_mad_i64_i32 v[1:2], s[0:1], v4, s6, 0
	v_cmp_le_i32_e64 s[0:1], v4, v0
	v_lshlrev_b64 v[1:2], 4, v[1:2]
	v_add_co_u32_e32 v5, vcc, s10, v1
	v_addc_co_u32_e32 v22, vcc, v3, v2, vcc
	v_cmp_gt_i32_e32 vcc, s12, v0
	s_and_b64 s[0:1], s[0:1], vcc
	s_and_saveexec_b64 s[2:3], s[0:1]
	s_cbranch_execz .LBB702_6
; %bb.5:
	v_ashrrev_i32_e32 v1, 31, v0
	v_lshlrev_b64 v[1:2], 4, v[0:1]
	v_add_co_u32_e64 v1, s[0:1], v5, v1
	v_addc_co_u32_e64 v2, s[0:1], v22, v2, s[0:1]
	flat_load_dwordx4 v[23:26], v[1:2]
	s_waitcnt vmcnt(0) lgkmcnt(0)
	v_add_f64 v[14:15], v[14:15], -v[23:24]
	v_add_f64 v[16:17], v[16:17], -v[25:26]
	flat_store_dwordx4 v[1:2], v[14:17]
.LBB702_6:
	s_or_b64 exec, exec, s[2:3]
	v_add_u32_e32 v2, 16, v0
	v_cmp_le_i32_e64 s[2:3], v4, v2
	v_cmp_gt_i32_e64 s[0:1], s12, v2
	s_and_b64 s[2:3], s[2:3], s[0:1]
	s_and_saveexec_b64 s[4:5], s[2:3]
	s_cbranch_execz .LBB702_8
; %bb.7:
	v_ashrrev_i32_e32 v3, 31, v2
	v_lshlrev_b64 v[14:15], 4, v[2:3]
	v_add_co_u32_e64 v23, s[2:3], v5, v14
	v_addc_co_u32_e64 v24, s[2:3], v22, v15, s[2:3]
	flat_load_dwordx4 v[14:17], v[23:24]
	s_waitcnt vmcnt(0) lgkmcnt(0)
	v_add_f64 v[14:15], v[8:9], -v[14:15]
	v_add_f64 v[16:17], v[6:7], -v[16:17]
	flat_store_dwordx4 v[23:24], v[14:17]
.LBB702_8:
	s_or_b64 exec, exec, s[4:5]
	v_add_u32_e32 v3, 16, v4
	v_mad_i64_i32 v[4:5], s[2:3], v3, s6, 0
	v_mov_b32_e32 v1, s11
	v_lshlrev_b64 v[4:5], 4, v[4:5]
	v_add_co_u32_e64 v4, s[2:3], s10, v4
	v_addc_co_u32_e64 v5, s[2:3], v1, v5, s[2:3]
	v_cmp_le_i32_e64 s[2:3], v3, v0
	s_and_b64 s[4:5], s[2:3], vcc
	s_and_saveexec_b64 s[2:3], s[4:5]
	s_cbranch_execz .LBB702_10
; %bb.9:
	v_ashrrev_i32_e32 v1, 31, v0
	v_lshlrev_b64 v[0:1], 4, v[0:1]
	v_add_co_u32_e32 v0, vcc, v4, v0
	v_addc_co_u32_e32 v1, vcc, v5, v1, vcc
	flat_load_dwordx4 v[6:9], v[0:1]
	s_waitcnt vmcnt(0) lgkmcnt(0)
	v_add_f64 v[6:7], v[20:21], -v[6:7]
	v_add_f64 v[8:9], v[18:19], -v[8:9]
	flat_store_dwordx4 v[0:1], v[6:9]
.LBB702_10:
	s_or_b64 exec, exec, s[2:3]
	v_cmp_le_i32_e32 vcc, v3, v2
	s_and_b64 s[0:1], vcc, s[0:1]
	s_and_saveexec_b64 s[2:3], s[0:1]
	s_cbranch_execz .LBB702_12
; %bb.11:
	v_ashrrev_i32_e32 v3, 31, v2
	v_lshlrev_b64 v[0:1], 4, v[2:3]
	v_add_co_u32_e32 v4, vcc, v4, v0
	v_addc_co_u32_e32 v5, vcc, v5, v1, vcc
	flat_load_dwordx4 v[0:3], v[4:5]
	s_waitcnt vmcnt(0) lgkmcnt(0)
	v_add_f64 v[0:1], v[12:13], -v[0:1]
	v_add_f64 v[2:3], v[10:11], -v[2:3]
	flat_store_dwordx4 v[4:5], v[0:3]
.LBB702_12:
	s_endpgm
	.section	.rodata,"a",@progbits
	.p2align	6, 0x0
	.amdhsa_kernel _ZL37rocblas_syrkx_herkx_restricted_kernelIi19rocblas_complex_numIdELi16ELi32ELi8ELi1ELin1ELb0ELc67ELc76EKPKS1_KPS1_EviT_PT9_S7_lS9_S7_lPT10_S7_li
		.amdhsa_group_segment_fixed_size 8192
		.amdhsa_private_segment_fixed_size 0
		.amdhsa_kernarg_size 84
		.amdhsa_user_sgpr_count 6
		.amdhsa_user_sgpr_private_segment_buffer 1
		.amdhsa_user_sgpr_dispatch_ptr 0
		.amdhsa_user_sgpr_queue_ptr 0
		.amdhsa_user_sgpr_kernarg_segment_ptr 1
		.amdhsa_user_sgpr_dispatch_id 0
		.amdhsa_user_sgpr_flat_scratch_init 0
		.amdhsa_user_sgpr_private_segment_size 0
		.amdhsa_uses_dynamic_stack 0
		.amdhsa_system_sgpr_private_segment_wavefront_offset 0
		.amdhsa_system_sgpr_workgroup_id_x 1
		.amdhsa_system_sgpr_workgroup_id_y 1
		.amdhsa_system_sgpr_workgroup_id_z 1
		.amdhsa_system_sgpr_workgroup_info 0
		.amdhsa_system_vgpr_workitem_id 1
		.amdhsa_next_free_vgpr 52
		.amdhsa_next_free_sgpr 61
		.amdhsa_reserve_vcc 1
		.amdhsa_reserve_flat_scratch 0
		.amdhsa_float_round_mode_32 0
		.amdhsa_float_round_mode_16_64 0
		.amdhsa_float_denorm_mode_32 3
		.amdhsa_float_denorm_mode_16_64 3
		.amdhsa_dx10_clamp 1
		.amdhsa_ieee_mode 1
		.amdhsa_fp16_overflow 0
		.amdhsa_exception_fp_ieee_invalid_op 0
		.amdhsa_exception_fp_denorm_src 0
		.amdhsa_exception_fp_ieee_div_zero 0
		.amdhsa_exception_fp_ieee_overflow 0
		.amdhsa_exception_fp_ieee_underflow 0
		.amdhsa_exception_fp_ieee_inexact 0
		.amdhsa_exception_int_div_zero 0
	.end_amdhsa_kernel
	.section	.text._ZL37rocblas_syrkx_herkx_restricted_kernelIi19rocblas_complex_numIdELi16ELi32ELi8ELi1ELin1ELb0ELc67ELc76EKPKS1_KPS1_EviT_PT9_S7_lS9_S7_lPT10_S7_li,"axG",@progbits,_ZL37rocblas_syrkx_herkx_restricted_kernelIi19rocblas_complex_numIdELi16ELi32ELi8ELi1ELin1ELb0ELc67ELc76EKPKS1_KPS1_EviT_PT9_S7_lS9_S7_lPT10_S7_li,comdat
.Lfunc_end702:
	.size	_ZL37rocblas_syrkx_herkx_restricted_kernelIi19rocblas_complex_numIdELi16ELi32ELi8ELi1ELin1ELb0ELc67ELc76EKPKS1_KPS1_EviT_PT9_S7_lS9_S7_lPT10_S7_li, .Lfunc_end702-_ZL37rocblas_syrkx_herkx_restricted_kernelIi19rocblas_complex_numIdELi16ELi32ELi8ELi1ELin1ELb0ELc67ELc76EKPKS1_KPS1_EviT_PT9_S7_lS9_S7_lPT10_S7_li
                                        ; -- End function
	.set _ZL37rocblas_syrkx_herkx_restricted_kernelIi19rocblas_complex_numIdELi16ELi32ELi8ELi1ELin1ELb0ELc67ELc76EKPKS1_KPS1_EviT_PT9_S7_lS9_S7_lPT10_S7_li.num_vgpr, 52
	.set _ZL37rocblas_syrkx_herkx_restricted_kernelIi19rocblas_complex_numIdELi16ELi32ELi8ELi1ELin1ELb0ELc67ELc76EKPKS1_KPS1_EviT_PT9_S7_lS9_S7_lPT10_S7_li.num_agpr, 0
	.set _ZL37rocblas_syrkx_herkx_restricted_kernelIi19rocblas_complex_numIdELi16ELi32ELi8ELi1ELin1ELb0ELc67ELc76EKPKS1_KPS1_EviT_PT9_S7_lS9_S7_lPT10_S7_li.numbered_sgpr, 17
	.set _ZL37rocblas_syrkx_herkx_restricted_kernelIi19rocblas_complex_numIdELi16ELi32ELi8ELi1ELin1ELb0ELc67ELc76EKPKS1_KPS1_EviT_PT9_S7_lS9_S7_lPT10_S7_li.num_named_barrier, 0
	.set _ZL37rocblas_syrkx_herkx_restricted_kernelIi19rocblas_complex_numIdELi16ELi32ELi8ELi1ELin1ELb0ELc67ELc76EKPKS1_KPS1_EviT_PT9_S7_lS9_S7_lPT10_S7_li.private_seg_size, 0
	.set _ZL37rocblas_syrkx_herkx_restricted_kernelIi19rocblas_complex_numIdELi16ELi32ELi8ELi1ELin1ELb0ELc67ELc76EKPKS1_KPS1_EviT_PT9_S7_lS9_S7_lPT10_S7_li.uses_vcc, 1
	.set _ZL37rocblas_syrkx_herkx_restricted_kernelIi19rocblas_complex_numIdELi16ELi32ELi8ELi1ELin1ELb0ELc67ELc76EKPKS1_KPS1_EviT_PT9_S7_lS9_S7_lPT10_S7_li.uses_flat_scratch, 0
	.set _ZL37rocblas_syrkx_herkx_restricted_kernelIi19rocblas_complex_numIdELi16ELi32ELi8ELi1ELin1ELb0ELc67ELc76EKPKS1_KPS1_EviT_PT9_S7_lS9_S7_lPT10_S7_li.has_dyn_sized_stack, 0
	.set _ZL37rocblas_syrkx_herkx_restricted_kernelIi19rocblas_complex_numIdELi16ELi32ELi8ELi1ELin1ELb0ELc67ELc76EKPKS1_KPS1_EviT_PT9_S7_lS9_S7_lPT10_S7_li.has_recursion, 0
	.set _ZL37rocblas_syrkx_herkx_restricted_kernelIi19rocblas_complex_numIdELi16ELi32ELi8ELi1ELin1ELb0ELc67ELc76EKPKS1_KPS1_EviT_PT9_S7_lS9_S7_lPT10_S7_li.has_indirect_call, 0
	.section	.AMDGPU.csdata,"",@progbits
; Kernel info:
; codeLenInByte = 2824
; TotalNumSgprs: 21
; NumVgprs: 52
; ScratchSize: 0
; MemoryBound: 0
; FloatMode: 240
; IeeeMode: 1
; LDSByteSize: 8192 bytes/workgroup (compile time only)
; SGPRBlocks: 8
; VGPRBlocks: 12
; NumSGPRsForWavesPerEU: 65
; NumVGPRsForWavesPerEU: 52
; Occupancy: 4
; WaveLimiterHint : 1
; COMPUTE_PGM_RSRC2:SCRATCH_EN: 0
; COMPUTE_PGM_RSRC2:USER_SGPR: 6
; COMPUTE_PGM_RSRC2:TRAP_HANDLER: 0
; COMPUTE_PGM_RSRC2:TGID_X_EN: 1
; COMPUTE_PGM_RSRC2:TGID_Y_EN: 1
; COMPUTE_PGM_RSRC2:TGID_Z_EN: 1
; COMPUTE_PGM_RSRC2:TIDIG_COMP_CNT: 1
	.section	.text._ZL37rocblas_syrkx_herkx_restricted_kernelIi19rocblas_complex_numIdELi16ELi32ELi8ELi1ELin1ELb0ELc78ELc76EKPKS1_KPS1_EviT_PT9_S7_lS9_S7_lPT10_S7_li,"axG",@progbits,_ZL37rocblas_syrkx_herkx_restricted_kernelIi19rocblas_complex_numIdELi16ELi32ELi8ELi1ELin1ELb0ELc78ELc76EKPKS1_KPS1_EviT_PT9_S7_lS9_S7_lPT10_S7_li,comdat
	.globl	_ZL37rocblas_syrkx_herkx_restricted_kernelIi19rocblas_complex_numIdELi16ELi32ELi8ELi1ELin1ELb0ELc78ELc76EKPKS1_KPS1_EviT_PT9_S7_lS9_S7_lPT10_S7_li ; -- Begin function _ZL37rocblas_syrkx_herkx_restricted_kernelIi19rocblas_complex_numIdELi16ELi32ELi8ELi1ELin1ELb0ELc78ELc76EKPKS1_KPS1_EviT_PT9_S7_lS9_S7_lPT10_S7_li
	.p2align	8
	.type	_ZL37rocblas_syrkx_herkx_restricted_kernelIi19rocblas_complex_numIdELi16ELi32ELi8ELi1ELin1ELb0ELc78ELc76EKPKS1_KPS1_EviT_PT9_S7_lS9_S7_lPT10_S7_li,@function
_ZL37rocblas_syrkx_herkx_restricted_kernelIi19rocblas_complex_numIdELi16ELi32ELi8ELi1ELin1ELb0ELc78ELc76EKPKS1_KPS1_EviT_PT9_S7_lS9_S7_lPT10_S7_li: ; @_ZL37rocblas_syrkx_herkx_restricted_kernelIi19rocblas_complex_numIdELi16ELi32ELi8ELi1ELin1ELb0ELc78ELc76EKPKS1_KPS1_EviT_PT9_S7_lS9_S7_lPT10_S7_li
; %bb.0:
	s_load_dwordx2 s[2:3], s[4:5], 0x38
	s_load_dwordx2 s[12:13], s[4:5], 0x0
	s_mov_b32 s9, 0
	s_lshl_b64 s[0:1], s[8:9], 3
	s_waitcnt lgkmcnt(0)
	s_add_u32 s2, s2, s0
	s_addc_u32 s3, s3, s1
	s_load_dwordx2 s[10:11], s[2:3], 0x0
	s_lshl_b32 s6, s6, 5
	s_lshl_b32 s7, s7, 5
	s_cmp_lt_i32 s13, 1
	s_cbranch_scc1 .LBB703_3
; %bb.1:
	s_load_dword s2, s[4:5], 0x10
	s_load_dword s14, s[4:5], 0x28
	s_load_dwordx2 s[16:17], s[4:5], 0x20
	s_load_dwordx2 s[18:19], s[4:5], 0x8
	v_lshl_add_u32 v7, v1, 4, v0
	s_waitcnt lgkmcnt(0)
	s_ashr_i32 s3, s2, 31
	s_ashr_i32 s15, s14, 31
	v_lshrrev_b32_e32 v8, 3, v7
	s_add_u32 s18, s18, s0
	s_addc_u32 s19, s19, s1
	s_add_u32 s0, s16, s0
	v_add_u32_e32 v2, s7, v8
	s_addc_u32 s1, s17, s1
	v_and_b32_e32 v6, 7, v0
	v_ashrrev_i32_e32 v3, 31, v2
	s_load_dwordx2 s[16:17], s[0:1], 0x0
	v_mad_i64_i32 v[4:5], s[0:1], s14, v6, v[2:3]
	v_and_b32_e32 v2, 31, v7
	v_lshrrev_b32_e32 v9, 5, v7
	v_lshlrev_b32_e32 v3, 4, v2
	v_lshl_or_b32 v22, v9, 9, v3
	v_lshlrev_b32_e32 v3, 4, v6
	v_lshl_or_b32 v3, v8, 7, v3
	v_add_u32_e32 v2, s6, v2
	v_add_u32_e32 v23, 0x1000, v3
	v_ashrrev_i32_e32 v3, 31, v2
	v_mad_i64_i32 v[2:3], s[0:1], s2, v9, v[2:3]
	s_load_dwordx2 s[18:19], s[18:19], 0x0
	v_mov_b32_e32 v6, 0x1000
	v_lshlrev_b64 v[2:3], 4, v[2:3]
	v_lshl_add_u32 v25, v1, 7, v6
	v_lshlrev_b64 v[4:5], 4, v[4:5]
	s_waitcnt lgkmcnt(0)
	v_mov_b32_e32 v6, s19
	v_add_co_u32_e32 v2, vcc, s18, v2
	v_addc_co_u32_e32 v3, vcc, v6, v3, vcc
	v_mov_b32_e32 v6, s17
	v_add_co_u32_e32 v4, vcc, s16, v4
	s_lshl_b64 s[0:1], s[2:3], 7
	v_addc_co_u32_e32 v5, vcc, v6, v5, vcc
	s_lshl_b64 s[2:3], s[14:15], 7
	v_mov_b32_e32 v10, 0
	v_mov_b32_e32 v12, 0
	v_mov_b32_e32 v14, 0
	v_mov_b32_e32 v16, 0
	v_mov_b32_e32 v6, 0
	v_mov_b32_e32 v8, 0
	v_mov_b32_e32 v20, 0
	v_mov_b32_e32 v18, 0
	v_lshlrev_b32_e32 v24, 4, v0
	v_mov_b32_e32 v11, 0
	v_mov_b32_e32 v26, s1
	;; [unrolled: 1-line block ×10, first 2 shown]
.LBB703_2:                              ; =>This Inner Loop Header: Depth=1
	flat_load_dwordx4 v[28:31], v[2:3]
	v_add_co_u32_e32 v2, vcc, s0, v2
	v_addc_co_u32_e32 v3, vcc, v3, v26, vcc
	s_add_i32 s9, s9, 8
	s_cmp_ge_i32 s9, s13
	s_waitcnt vmcnt(0) lgkmcnt(0)
	ds_write_b128 v22, v[28:31]
	flat_load_dwordx4 v[28:31], v[4:5]
	v_add_co_u32_e32 v4, vcc, s2, v4
	v_addc_co_u32_e32 v5, vcc, v5, v27, vcc
	s_waitcnt vmcnt(0) lgkmcnt(0)
	ds_write_b128 v23, v[28:31]
	s_waitcnt lgkmcnt(0)
	s_barrier
	ds_read_b128 v[28:31], v25
	ds_read_b128 v[32:35], v25 offset:16
	ds_read_b128 v[36:39], v25 offset:32
	;; [unrolled: 1-line block ×3, first 2 shown]
	ds_read_b128 v[44:47], v24
	s_waitcnt lgkmcnt(0)
	v_mul_f64 v[48:49], v[30:31], v[46:47]
	v_mul_f64 v[50:51], v[28:29], v[46:47]
	v_fma_f64 v[48:49], v[28:29], v[44:45], -v[48:49]
	v_fma_f64 v[50:51], v[30:31], v[44:45], v[50:51]
	v_add_f64 v[48:49], v[18:19], v[48:49]
	v_add_f64 v[50:51], v[50:51], v[20:21]
	ds_read_b128 v[18:21], v24 offset:256
	s_waitcnt lgkmcnt(0)
	v_mul_f64 v[52:53], v[30:31], v[20:21]
	v_fma_f64 v[52:53], v[28:29], v[18:19], -v[52:53]
	v_mul_f64 v[28:29], v[28:29], v[20:21]
	v_fma_f64 v[28:29], v[30:31], v[18:19], v[28:29]
	v_add_f64 v[30:31], v[8:9], v[52:53]
	v_add_f64 v[28:29], v[28:29], v[6:7]
	ds_read_b128 v[6:9], v25 offset:2048
	s_waitcnt lgkmcnt(0)
	v_mul_f64 v[52:53], v[8:9], v[46:47]
	v_mul_f64 v[46:47], v[6:7], v[46:47]
	v_fma_f64 v[52:53], v[6:7], v[44:45], -v[52:53]
	v_fma_f64 v[44:45], v[8:9], v[44:45], v[46:47]
	v_add_f64 v[46:47], v[16:17], v[52:53]
	v_add_f64 v[44:45], v[44:45], v[14:15]
	v_mul_f64 v[14:15], v[8:9], v[20:21]
	v_fma_f64 v[14:15], v[6:7], v[18:19], -v[14:15]
	v_mul_f64 v[6:7], v[6:7], v[20:21]
	v_fma_f64 v[6:7], v[8:9], v[18:19], v[6:7]
	v_add_f64 v[18:19], v[12:13], v[14:15]
	v_add_f64 v[20:21], v[6:7], v[10:11]
	ds_read_b128 v[6:9], v24 offset:512
	s_waitcnt lgkmcnt(0)
	v_mul_f64 v[10:11], v[34:35], v[8:9]
	v_mul_f64 v[12:13], v[32:33], v[8:9]
	v_fma_f64 v[10:11], v[32:33], v[6:7], -v[10:11]
	v_fma_f64 v[12:13], v[34:35], v[6:7], v[12:13]
	v_add_f64 v[48:49], v[48:49], v[10:11]
	v_add_f64 v[50:51], v[12:13], v[50:51]
	ds_read_b128 v[10:13], v24 offset:768
	s_waitcnt lgkmcnt(0)
	v_mul_f64 v[14:15], v[34:35], v[12:13]
	v_mul_f64 v[16:17], v[32:33], v[12:13]
	v_fma_f64 v[14:15], v[32:33], v[10:11], -v[14:15]
	;; [unrolled: 8-line block ×3, first 2 shown]
	v_fma_f64 v[6:7], v[16:17], v[6:7], v[8:9]
	v_mul_f64 v[8:9], v[14:15], v[12:13]
	v_add_f64 v[32:33], v[46:47], v[32:33]
	v_add_f64 v[34:35], v[6:7], v[44:45]
	v_mul_f64 v[6:7], v[16:17], v[12:13]
	v_fma_f64 v[8:9], v[16:17], v[10:11], v[8:9]
	v_fma_f64 v[6:7], v[14:15], v[10:11], -v[6:7]
	v_add_f64 v[20:21], v[8:9], v[20:21]
	v_add_f64 v[18:19], v[18:19], v[6:7]
	ds_read_b128 v[6:9], v24 offset:1024
	s_waitcnt lgkmcnt(0)
	v_mul_f64 v[10:11], v[38:39], v[8:9]
	v_mul_f64 v[12:13], v[36:37], v[8:9]
	v_fma_f64 v[10:11], v[36:37], v[6:7], -v[10:11]
	v_fma_f64 v[12:13], v[38:39], v[6:7], v[12:13]
	v_add_f64 v[44:45], v[48:49], v[10:11]
	v_add_f64 v[46:47], v[12:13], v[50:51]
	ds_read_b128 v[10:13], v24 offset:1280
	s_waitcnt lgkmcnt(0)
	v_mul_f64 v[14:15], v[38:39], v[12:13]
	v_mul_f64 v[16:17], v[36:37], v[12:13]
	v_fma_f64 v[14:15], v[36:37], v[10:11], -v[14:15]
	v_fma_f64 v[16:17], v[38:39], v[10:11], v[16:17]
	v_add_f64 v[30:31], v[30:31], v[14:15]
	v_add_f64 v[28:29], v[16:17], v[28:29]
	ds_read_b128 v[14:17], v25 offset:2080
	s_waitcnt lgkmcnt(0)
	v_mul_f64 v[36:37], v[16:17], v[8:9]
	v_mul_f64 v[8:9], v[14:15], v[8:9]
	v_fma_f64 v[36:37], v[14:15], v[6:7], -v[36:37]
	v_fma_f64 v[6:7], v[16:17], v[6:7], v[8:9]
	v_mul_f64 v[8:9], v[14:15], v[12:13]
	v_add_f64 v[32:33], v[32:33], v[36:37]
	v_add_f64 v[34:35], v[6:7], v[34:35]
	v_mul_f64 v[6:7], v[16:17], v[12:13]
	v_fma_f64 v[8:9], v[16:17], v[10:11], v[8:9]
	v_fma_f64 v[6:7], v[14:15], v[10:11], -v[6:7]
	v_add_f64 v[20:21], v[8:9], v[20:21]
	v_add_f64 v[18:19], v[18:19], v[6:7]
	ds_read_b128 v[6:9], v24 offset:1536
	s_waitcnt lgkmcnt(0)
	v_mul_f64 v[10:11], v[42:43], v[8:9]
	v_mul_f64 v[12:13], v[40:41], v[8:9]
	v_fma_f64 v[10:11], v[40:41], v[6:7], -v[10:11]
	v_fma_f64 v[12:13], v[42:43], v[6:7], v[12:13]
	v_add_f64 v[36:37], v[44:45], v[10:11]
	v_add_f64 v[38:39], v[12:13], v[46:47]
	ds_read_b128 v[10:13], v24 offset:1792
	s_waitcnt lgkmcnt(0)
	v_mul_f64 v[14:15], v[42:43], v[12:13]
	v_mul_f64 v[16:17], v[40:41], v[12:13]
	v_fma_f64 v[14:15], v[40:41], v[10:11], -v[14:15]
	v_fma_f64 v[16:17], v[42:43], v[10:11], v[16:17]
	;; [unrolled: 8-line block ×3, first 2 shown]
	v_mul_f64 v[8:9], v[14:15], v[12:13]
	v_add_f64 v[32:33], v[32:33], v[40:41]
	v_add_f64 v[34:35], v[6:7], v[34:35]
	v_mul_f64 v[6:7], v[16:17], v[12:13]
	v_fma_f64 v[8:9], v[16:17], v[10:11], v[8:9]
	v_fma_f64 v[6:7], v[14:15], v[10:11], -v[6:7]
	v_add_f64 v[20:21], v[8:9], v[20:21]
	v_add_f64 v[18:19], v[18:19], v[6:7]
	ds_read_b128 v[6:9], v25 offset:64
	ds_read_b128 v[10:13], v24 offset:2048
	s_waitcnt lgkmcnt(0)
	v_mul_f64 v[14:15], v[8:9], v[12:13]
	v_mul_f64 v[16:17], v[6:7], v[12:13]
	v_fma_f64 v[14:15], v[6:7], v[10:11], -v[14:15]
	v_fma_f64 v[16:17], v[8:9], v[10:11], v[16:17]
	v_add_f64 v[36:37], v[36:37], v[14:15]
	v_add_f64 v[38:39], v[16:17], v[38:39]
	ds_read_b128 v[14:17], v24 offset:2304
	s_waitcnt lgkmcnt(0)
	v_mul_f64 v[40:41], v[8:9], v[16:17]
	v_fma_f64 v[40:41], v[6:7], v[14:15], -v[40:41]
	v_mul_f64 v[6:7], v[6:7], v[16:17]
	v_add_f64 v[30:31], v[30:31], v[40:41]
	v_fma_f64 v[6:7], v[8:9], v[14:15], v[6:7]
	v_add_f64 v[28:29], v[6:7], v[28:29]
	ds_read_b128 v[6:9], v25 offset:2112
	s_waitcnt lgkmcnt(0)
	v_mul_f64 v[40:41], v[8:9], v[12:13]
	v_mul_f64 v[12:13], v[6:7], v[12:13]
	v_fma_f64 v[40:41], v[6:7], v[10:11], -v[40:41]
	v_fma_f64 v[10:11], v[8:9], v[10:11], v[12:13]
	v_add_f64 v[32:33], v[32:33], v[40:41]
	v_add_f64 v[34:35], v[10:11], v[34:35]
	v_mul_f64 v[10:11], v[8:9], v[16:17]
	v_fma_f64 v[10:11], v[6:7], v[14:15], -v[10:11]
	v_mul_f64 v[6:7], v[6:7], v[16:17]
	v_add_f64 v[18:19], v[18:19], v[10:11]
	v_fma_f64 v[6:7], v[8:9], v[14:15], v[6:7]
	v_add_f64 v[20:21], v[6:7], v[20:21]
	ds_read_b128 v[6:9], v25 offset:80
	ds_read_b128 v[10:13], v24 offset:2560
	s_waitcnt lgkmcnt(0)
	v_mul_f64 v[14:15], v[8:9], v[12:13]
	v_mul_f64 v[16:17], v[6:7], v[12:13]
	v_fma_f64 v[14:15], v[6:7], v[10:11], -v[14:15]
	v_fma_f64 v[16:17], v[8:9], v[10:11], v[16:17]
	v_add_f64 v[36:37], v[36:37], v[14:15]
	v_add_f64 v[38:39], v[16:17], v[38:39]
	ds_read_b128 v[14:17], v24 offset:2816
	s_waitcnt lgkmcnt(0)
	v_mul_f64 v[40:41], v[8:9], v[16:17]
	v_fma_f64 v[40:41], v[6:7], v[14:15], -v[40:41]
	v_mul_f64 v[6:7], v[6:7], v[16:17]
	v_add_f64 v[30:31], v[30:31], v[40:41]
	v_fma_f64 v[6:7], v[8:9], v[14:15], v[6:7]
	v_add_f64 v[28:29], v[6:7], v[28:29]
	ds_read_b128 v[6:9], v25 offset:2128
	s_waitcnt lgkmcnt(0)
	v_mul_f64 v[40:41], v[8:9], v[12:13]
	v_mul_f64 v[12:13], v[6:7], v[12:13]
	v_fma_f64 v[40:41], v[6:7], v[10:11], -v[40:41]
	v_fma_f64 v[10:11], v[8:9], v[10:11], v[12:13]
	v_add_f64 v[32:33], v[32:33], v[40:41]
	v_add_f64 v[34:35], v[10:11], v[34:35]
	v_mul_f64 v[10:11], v[8:9], v[16:17]
	v_fma_f64 v[10:11], v[6:7], v[14:15], -v[10:11]
	v_mul_f64 v[6:7], v[6:7], v[16:17]
	v_add_f64 v[18:19], v[18:19], v[10:11]
	v_fma_f64 v[6:7], v[8:9], v[14:15], v[6:7]
	;; [unrolled: 31-line block ×3, first 2 shown]
	v_add_f64 v[50:51], v[6:7], v[20:21]
	ds_read_b128 v[6:9], v25 offset:112
	ds_read_b128 v[10:13], v24 offset:3584
	;; [unrolled: 1-line block ×4, first 2 shown]
	s_waitcnt lgkmcnt(0)
	s_barrier
	v_mul_f64 v[14:15], v[8:9], v[12:13]
	v_mul_f64 v[16:17], v[6:7], v[12:13]
	v_fma_f64 v[14:15], v[6:7], v[10:11], -v[14:15]
	v_fma_f64 v[16:17], v[8:9], v[10:11], v[16:17]
	v_add_f64 v[18:19], v[36:37], v[14:15]
	v_mul_f64 v[14:15], v[8:9], v[30:31]
	v_add_f64 v[20:21], v[16:17], v[38:39]
	v_fma_f64 v[14:15], v[6:7], v[28:29], -v[14:15]
	v_mul_f64 v[6:7], v[6:7], v[30:31]
	v_fma_f64 v[6:7], v[8:9], v[28:29], v[6:7]
	v_add_f64 v[8:9], v[40:41], v[14:15]
	v_mul_f64 v[14:15], v[34:35], v[12:13]
	v_mul_f64 v[12:13], v[32:33], v[12:13]
	v_add_f64 v[6:7], v[6:7], v[42:43]
	v_fma_f64 v[14:15], v[32:33], v[10:11], -v[14:15]
	v_fma_f64 v[10:11], v[34:35], v[10:11], v[12:13]
	v_mul_f64 v[12:13], v[32:33], v[30:31]
	v_add_f64 v[16:17], v[44:45], v[14:15]
	v_add_f64 v[14:15], v[10:11], v[46:47]
	v_mul_f64 v[10:11], v[34:35], v[30:31]
	v_fma_f64 v[10:11], v[32:33], v[28:29], -v[10:11]
	v_fma_f64 v[28:29], v[34:35], v[28:29], v[12:13]
	v_add_f64 v[12:13], v[48:49], v[10:11]
	v_add_f64 v[10:11], v[28:29], v[50:51]
	s_cbranch_scc0 .LBB703_2
	s_branch .LBB703_4
.LBB703_3:
	v_mov_b32_e32 v18, 0
	v_mov_b32_e32 v20, 0
	;; [unrolled: 1-line block ×16, first 2 shown]
.LBB703_4:
	s_load_dword s8, s[4:5], 0x40
	v_add_u32_e32 v4, s7, v1
	s_waitcnt lgkmcnt(0)
	v_mov_b32_e32 v3, s11
	v_add_u32_e32 v0, s6, v0
	v_mad_i64_i32 v[1:2], s[0:1], v4, s8, 0
	v_cmp_le_i32_e64 s[0:1], v4, v0
	v_lshlrev_b64 v[1:2], 4, v[1:2]
	v_add_co_u32_e32 v5, vcc, s10, v1
	v_addc_co_u32_e32 v22, vcc, v3, v2, vcc
	v_cmp_gt_i32_e32 vcc, s12, v0
	s_and_b64 s[0:1], s[0:1], vcc
	s_and_saveexec_b64 s[2:3], s[0:1]
	s_cbranch_execz .LBB703_6
; %bb.5:
	v_ashrrev_i32_e32 v1, 31, v0
	v_lshlrev_b64 v[1:2], 4, v[0:1]
	v_add_co_u32_e64 v1, s[0:1], v5, v1
	v_addc_co_u32_e64 v2, s[0:1], v22, v2, s[0:1]
	flat_load_dwordx4 v[23:26], v[1:2]
	s_waitcnt vmcnt(0) lgkmcnt(0)
	v_add_f64 v[18:19], v[18:19], -v[23:24]
	v_add_f64 v[20:21], v[20:21], -v[25:26]
	flat_store_dwordx4 v[1:2], v[18:21]
.LBB703_6:
	s_or_b64 exec, exec, s[2:3]
	v_add_u32_e32 v2, 16, v0
	v_cmp_le_i32_e64 s[2:3], v4, v2
	v_cmp_gt_i32_e64 s[0:1], s12, v2
	s_and_b64 s[2:3], s[2:3], s[0:1]
	s_and_saveexec_b64 s[4:5], s[2:3]
	s_cbranch_execz .LBB703_8
; %bb.7:
	v_ashrrev_i32_e32 v3, 31, v2
	v_lshlrev_b64 v[18:19], 4, v[2:3]
	v_add_co_u32_e64 v23, s[2:3], v5, v18
	v_addc_co_u32_e64 v24, s[2:3], v22, v19, s[2:3]
	flat_load_dwordx4 v[18:21], v[23:24]
	s_waitcnt vmcnt(0) lgkmcnt(0)
	v_add_f64 v[18:19], v[8:9], -v[18:19]
	v_add_f64 v[20:21], v[6:7], -v[20:21]
	flat_store_dwordx4 v[23:24], v[18:21]
.LBB703_8:
	s_or_b64 exec, exec, s[4:5]
	v_add_u32_e32 v3, 16, v4
	v_mad_i64_i32 v[4:5], s[2:3], v3, s8, 0
	v_mov_b32_e32 v1, s11
	v_lshlrev_b64 v[4:5], 4, v[4:5]
	v_add_co_u32_e64 v4, s[2:3], s10, v4
	v_addc_co_u32_e64 v5, s[2:3], v1, v5, s[2:3]
	v_cmp_le_i32_e64 s[2:3], v3, v0
	s_and_b64 s[4:5], s[2:3], vcc
	s_and_saveexec_b64 s[2:3], s[4:5]
	s_cbranch_execz .LBB703_10
; %bb.9:
	v_ashrrev_i32_e32 v1, 31, v0
	v_lshlrev_b64 v[0:1], 4, v[0:1]
	v_add_co_u32_e32 v0, vcc, v4, v0
	v_addc_co_u32_e32 v1, vcc, v5, v1, vcc
	flat_load_dwordx4 v[6:9], v[0:1]
	s_waitcnt vmcnt(0) lgkmcnt(0)
	v_add_f64 v[6:7], v[16:17], -v[6:7]
	v_add_f64 v[8:9], v[14:15], -v[8:9]
	flat_store_dwordx4 v[0:1], v[6:9]
.LBB703_10:
	s_or_b64 exec, exec, s[2:3]
	v_cmp_le_i32_e32 vcc, v3, v2
	s_and_b64 s[0:1], vcc, s[0:1]
	s_and_saveexec_b64 s[2:3], s[0:1]
	s_cbranch_execz .LBB703_12
; %bb.11:
	v_ashrrev_i32_e32 v3, 31, v2
	v_lshlrev_b64 v[0:1], 4, v[2:3]
	v_add_co_u32_e32 v4, vcc, v4, v0
	v_addc_co_u32_e32 v5, vcc, v5, v1, vcc
	flat_load_dwordx4 v[0:3], v[4:5]
	s_waitcnt vmcnt(0) lgkmcnt(0)
	v_add_f64 v[0:1], v[12:13], -v[0:1]
	v_add_f64 v[2:3], v[10:11], -v[2:3]
	flat_store_dwordx4 v[4:5], v[0:3]
.LBB703_12:
	s_endpgm
	.section	.rodata,"a",@progbits
	.p2align	6, 0x0
	.amdhsa_kernel _ZL37rocblas_syrkx_herkx_restricted_kernelIi19rocblas_complex_numIdELi16ELi32ELi8ELi1ELin1ELb0ELc78ELc76EKPKS1_KPS1_EviT_PT9_S7_lS9_S7_lPT10_S7_li
		.amdhsa_group_segment_fixed_size 8192
		.amdhsa_private_segment_fixed_size 0
		.amdhsa_kernarg_size 84
		.amdhsa_user_sgpr_count 6
		.amdhsa_user_sgpr_private_segment_buffer 1
		.amdhsa_user_sgpr_dispatch_ptr 0
		.amdhsa_user_sgpr_queue_ptr 0
		.amdhsa_user_sgpr_kernarg_segment_ptr 1
		.amdhsa_user_sgpr_dispatch_id 0
		.amdhsa_user_sgpr_flat_scratch_init 0
		.amdhsa_user_sgpr_private_segment_size 0
		.amdhsa_uses_dynamic_stack 0
		.amdhsa_system_sgpr_private_segment_wavefront_offset 0
		.amdhsa_system_sgpr_workgroup_id_x 1
		.amdhsa_system_sgpr_workgroup_id_y 1
		.amdhsa_system_sgpr_workgroup_id_z 1
		.amdhsa_system_sgpr_workgroup_info 0
		.amdhsa_system_vgpr_workitem_id 1
		.amdhsa_next_free_vgpr 54
		.amdhsa_next_free_sgpr 61
		.amdhsa_reserve_vcc 1
		.amdhsa_reserve_flat_scratch 0
		.amdhsa_float_round_mode_32 0
		.amdhsa_float_round_mode_16_64 0
		.amdhsa_float_denorm_mode_32 3
		.amdhsa_float_denorm_mode_16_64 3
		.amdhsa_dx10_clamp 1
		.amdhsa_ieee_mode 1
		.amdhsa_fp16_overflow 0
		.amdhsa_exception_fp_ieee_invalid_op 0
		.amdhsa_exception_fp_denorm_src 0
		.amdhsa_exception_fp_ieee_div_zero 0
		.amdhsa_exception_fp_ieee_overflow 0
		.amdhsa_exception_fp_ieee_underflow 0
		.amdhsa_exception_fp_ieee_inexact 0
		.amdhsa_exception_int_div_zero 0
	.end_amdhsa_kernel
	.section	.text._ZL37rocblas_syrkx_herkx_restricted_kernelIi19rocblas_complex_numIdELi16ELi32ELi8ELi1ELin1ELb0ELc78ELc76EKPKS1_KPS1_EviT_PT9_S7_lS9_S7_lPT10_S7_li,"axG",@progbits,_ZL37rocblas_syrkx_herkx_restricted_kernelIi19rocblas_complex_numIdELi16ELi32ELi8ELi1ELin1ELb0ELc78ELc76EKPKS1_KPS1_EviT_PT9_S7_lS9_S7_lPT10_S7_li,comdat
.Lfunc_end703:
	.size	_ZL37rocblas_syrkx_herkx_restricted_kernelIi19rocblas_complex_numIdELi16ELi32ELi8ELi1ELin1ELb0ELc78ELc76EKPKS1_KPS1_EviT_PT9_S7_lS9_S7_lPT10_S7_li, .Lfunc_end703-_ZL37rocblas_syrkx_herkx_restricted_kernelIi19rocblas_complex_numIdELi16ELi32ELi8ELi1ELin1ELb0ELc78ELc76EKPKS1_KPS1_EviT_PT9_S7_lS9_S7_lPT10_S7_li
                                        ; -- End function
	.set _ZL37rocblas_syrkx_herkx_restricted_kernelIi19rocblas_complex_numIdELi16ELi32ELi8ELi1ELin1ELb0ELc78ELc76EKPKS1_KPS1_EviT_PT9_S7_lS9_S7_lPT10_S7_li.num_vgpr, 54
	.set _ZL37rocblas_syrkx_herkx_restricted_kernelIi19rocblas_complex_numIdELi16ELi32ELi8ELi1ELin1ELb0ELc78ELc76EKPKS1_KPS1_EviT_PT9_S7_lS9_S7_lPT10_S7_li.num_agpr, 0
	.set _ZL37rocblas_syrkx_herkx_restricted_kernelIi19rocblas_complex_numIdELi16ELi32ELi8ELi1ELin1ELb0ELc78ELc76EKPKS1_KPS1_EviT_PT9_S7_lS9_S7_lPT10_S7_li.numbered_sgpr, 20
	.set _ZL37rocblas_syrkx_herkx_restricted_kernelIi19rocblas_complex_numIdELi16ELi32ELi8ELi1ELin1ELb0ELc78ELc76EKPKS1_KPS1_EviT_PT9_S7_lS9_S7_lPT10_S7_li.num_named_barrier, 0
	.set _ZL37rocblas_syrkx_herkx_restricted_kernelIi19rocblas_complex_numIdELi16ELi32ELi8ELi1ELin1ELb0ELc78ELc76EKPKS1_KPS1_EviT_PT9_S7_lS9_S7_lPT10_S7_li.private_seg_size, 0
	.set _ZL37rocblas_syrkx_herkx_restricted_kernelIi19rocblas_complex_numIdELi16ELi32ELi8ELi1ELin1ELb0ELc78ELc76EKPKS1_KPS1_EviT_PT9_S7_lS9_S7_lPT10_S7_li.uses_vcc, 1
	.set _ZL37rocblas_syrkx_herkx_restricted_kernelIi19rocblas_complex_numIdELi16ELi32ELi8ELi1ELin1ELb0ELc78ELc76EKPKS1_KPS1_EviT_PT9_S7_lS9_S7_lPT10_S7_li.uses_flat_scratch, 0
	.set _ZL37rocblas_syrkx_herkx_restricted_kernelIi19rocblas_complex_numIdELi16ELi32ELi8ELi1ELin1ELb0ELc78ELc76EKPKS1_KPS1_EviT_PT9_S7_lS9_S7_lPT10_S7_li.has_dyn_sized_stack, 0
	.set _ZL37rocblas_syrkx_herkx_restricted_kernelIi19rocblas_complex_numIdELi16ELi32ELi8ELi1ELin1ELb0ELc78ELc76EKPKS1_KPS1_EviT_PT9_S7_lS9_S7_lPT10_S7_li.has_recursion, 0
	.set _ZL37rocblas_syrkx_herkx_restricted_kernelIi19rocblas_complex_numIdELi16ELi32ELi8ELi1ELin1ELb0ELc78ELc76EKPKS1_KPS1_EviT_PT9_S7_lS9_S7_lPT10_S7_li.has_indirect_call, 0
	.section	.AMDGPU.csdata,"",@progbits
; Kernel info:
; codeLenInByte = 2832
; TotalNumSgprs: 24
; NumVgprs: 54
; ScratchSize: 0
; MemoryBound: 0
; FloatMode: 240
; IeeeMode: 1
; LDSByteSize: 8192 bytes/workgroup (compile time only)
; SGPRBlocks: 8
; VGPRBlocks: 13
; NumSGPRsForWavesPerEU: 65
; NumVGPRsForWavesPerEU: 54
; Occupancy: 4
; WaveLimiterHint : 1
; COMPUTE_PGM_RSRC2:SCRATCH_EN: 0
; COMPUTE_PGM_RSRC2:USER_SGPR: 6
; COMPUTE_PGM_RSRC2:TRAP_HANDLER: 0
; COMPUTE_PGM_RSRC2:TGID_X_EN: 1
; COMPUTE_PGM_RSRC2:TGID_Y_EN: 1
; COMPUTE_PGM_RSRC2:TGID_Z_EN: 1
; COMPUTE_PGM_RSRC2:TIDIG_COMP_CNT: 1
	.section	.text._ZL37rocblas_syrkx_herkx_restricted_kernelIi19rocblas_complex_numIdELi16ELi32ELi8ELi1ELin1ELb0ELc84ELc85EKPKS1_KPS1_EviT_PT9_S7_lS9_S7_lPT10_S7_li,"axG",@progbits,_ZL37rocblas_syrkx_herkx_restricted_kernelIi19rocblas_complex_numIdELi16ELi32ELi8ELi1ELin1ELb0ELc84ELc85EKPKS1_KPS1_EviT_PT9_S7_lS9_S7_lPT10_S7_li,comdat
	.globl	_ZL37rocblas_syrkx_herkx_restricted_kernelIi19rocblas_complex_numIdELi16ELi32ELi8ELi1ELin1ELb0ELc84ELc85EKPKS1_KPS1_EviT_PT9_S7_lS9_S7_lPT10_S7_li ; -- Begin function _ZL37rocblas_syrkx_herkx_restricted_kernelIi19rocblas_complex_numIdELi16ELi32ELi8ELi1ELin1ELb0ELc84ELc85EKPKS1_KPS1_EviT_PT9_S7_lS9_S7_lPT10_S7_li
	.p2align	8
	.type	_ZL37rocblas_syrkx_herkx_restricted_kernelIi19rocblas_complex_numIdELi16ELi32ELi8ELi1ELin1ELb0ELc84ELc85EKPKS1_KPS1_EviT_PT9_S7_lS9_S7_lPT10_S7_li,@function
_ZL37rocblas_syrkx_herkx_restricted_kernelIi19rocblas_complex_numIdELi16ELi32ELi8ELi1ELin1ELb0ELc84ELc85EKPKS1_KPS1_EviT_PT9_S7_lS9_S7_lPT10_S7_li: ; @_ZL37rocblas_syrkx_herkx_restricted_kernelIi19rocblas_complex_numIdELi16ELi32ELi8ELi1ELin1ELb0ELc84ELc85EKPKS1_KPS1_EviT_PT9_S7_lS9_S7_lPT10_S7_li
; %bb.0:
	s_load_dwordx2 s[10:11], s[4:5], 0x38
	s_load_dwordx2 s[2:3], s[4:5], 0x0
	s_mov_b32 s9, 0
	s_lshl_b64 s[0:1], s[8:9], 3
	s_waitcnt lgkmcnt(0)
	s_add_u32 s10, s10, s0
	s_addc_u32 s11, s11, s1
	s_load_dwordx2 s[10:11], s[10:11], 0x0
	s_lshl_b32 s6, s6, 5
	s_lshl_b32 s7, s7, 5
	s_cmp_lt_i32 s3, 1
	s_cbranch_scc1 .LBB704_3
; %bb.1:
	s_load_dwordx2 s[12:13], s[4:5], 0x8
	s_load_dword s8, s[4:5], 0x10
	s_load_dwordx2 s[14:15], s[4:5], 0x20
	s_load_dword s16, s[4:5], 0x28
	v_lshl_add_u32 v6, v1, 4, v0
	s_waitcnt lgkmcnt(0)
	s_add_u32 s12, s12, s0
	s_addc_u32 s13, s13, s1
	v_lshrrev_b32_e32 v8, 3, v6
	s_add_u32 s0, s14, s0
	v_add_u32_e32 v4, s7, v8
	v_and_b32_e32 v2, 7, v0
	v_mov_b32_e32 v3, 0
	s_addc_u32 s1, s15, s1
	v_mad_i64_i32 v[4:5], s[14:15], s16, v4, v[2:3]
	v_and_b32_e32 v9, 31, v6
	v_lshlrev_b32_e32 v2, 4, v2
	v_lshrrev_b32_e32 v6, 5, v6
	v_mov_b32_e32 v7, v3
	v_lshlrev_b32_e32 v3, 4, v9
	v_lshl_or_b32 v8, v8, 7, v2
	v_add_u32_e32 v2, s6, v9
	v_lshl_or_b32 v22, v6, 9, v3
	v_mad_i64_i32 v[2:3], s[14:15], s8, v2, v[6:7]
	s_load_dwordx2 s[12:13], s[12:13], 0x0
	v_lshlrev_b64 v[4:5], 4, v[4:5]
	s_load_dwordx2 s[0:1], s[0:1], 0x0
	v_lshlrev_b64 v[2:3], 4, v[2:3]
	v_add_u32_e32 v23, 0x1000, v8
	s_waitcnt lgkmcnt(0)
	v_mov_b32_e32 v6, s13
	v_add_co_u32_e32 v2, vcc, s12, v2
	v_addc_co_u32_e32 v3, vcc, v6, v3, vcc
	v_mov_b32_e32 v6, s1
	v_add_co_u32_e32 v4, vcc, s0, v4
	v_mov_b32_e32 v25, 0x1000
	v_addc_co_u32_e32 v5, vcc, v6, v5, vcc
	v_mov_b32_e32 v10, 0
	v_mov_b32_e32 v12, 0
	;; [unrolled: 1-line block ×8, first 2 shown]
	v_lshlrev_b32_e32 v24, 4, v0
	v_mov_b32_e32 v11, 0
	v_mov_b32_e32 v13, 0
	v_mov_b32_e32 v19, 0
	v_mov_b32_e32 v21, 0
	v_mov_b32_e32 v7, 0
	v_mov_b32_e32 v9, 0
	v_mov_b32_e32 v17, 0
	v_mov_b32_e32 v15, 0
	v_lshl_add_u32 v25, v1, 7, v25
.LBB704_2:                              ; =>This Inner Loop Header: Depth=1
	flat_load_dwordx4 v[26:29], v[2:3]
	v_add_co_u32_e32 v2, vcc, 0x80, v2
	v_addc_co_u32_e32 v3, vcc, 0, v3, vcc
	s_add_i32 s9, s9, 8
	s_cmp_ge_i32 s9, s3
	s_waitcnt vmcnt(0) lgkmcnt(0)
	ds_write_b128 v22, v[26:29]
	flat_load_dwordx4 v[26:29], v[4:5]
	v_add_co_u32_e32 v4, vcc, 0x80, v4
	v_addc_co_u32_e32 v5, vcc, 0, v5, vcc
	s_waitcnt vmcnt(0) lgkmcnt(0)
	ds_write_b128 v23, v[26:29]
	s_waitcnt lgkmcnt(0)
	s_barrier
	ds_read_b128 v[26:29], v25
	ds_read_b128 v[30:33], v25 offset:16
	ds_read_b128 v[34:37], v25 offset:32
	;; [unrolled: 1-line block ×3, first 2 shown]
	ds_read_b128 v[42:45], v24
	s_waitcnt lgkmcnt(0)
	v_mul_f64 v[46:47], v[28:29], v[44:45]
	v_mul_f64 v[48:49], v[26:27], v[44:45]
	v_fma_f64 v[46:47], v[26:27], v[42:43], -v[46:47]
	v_fma_f64 v[48:49], v[28:29], v[42:43], v[48:49]
	v_add_f64 v[46:47], v[14:15], v[46:47]
	v_add_f64 v[48:49], v[48:49], v[16:17]
	ds_read_b128 v[14:17], v24 offset:256
	s_waitcnt lgkmcnt(0)
	v_mul_f64 v[50:51], v[28:29], v[16:17]
	v_fma_f64 v[50:51], v[26:27], v[14:15], -v[50:51]
	v_mul_f64 v[26:27], v[26:27], v[16:17]
	v_fma_f64 v[26:27], v[28:29], v[14:15], v[26:27]
	v_add_f64 v[28:29], v[8:9], v[50:51]
	v_add_f64 v[26:27], v[26:27], v[6:7]
	ds_read_b128 v[6:9], v25 offset:2048
	s_waitcnt lgkmcnt(0)
	v_mul_f64 v[50:51], v[8:9], v[44:45]
	v_mul_f64 v[44:45], v[6:7], v[44:45]
	v_fma_f64 v[50:51], v[6:7], v[42:43], -v[50:51]
	v_fma_f64 v[42:43], v[8:9], v[42:43], v[44:45]
	v_add_f64 v[20:21], v[20:21], v[50:51]
	v_add_f64 v[18:19], v[42:43], v[18:19]
	v_mul_f64 v[42:43], v[8:9], v[16:17]
	v_fma_f64 v[42:43], v[6:7], v[14:15], -v[42:43]
	v_mul_f64 v[6:7], v[6:7], v[16:17]
	v_add_f64 v[42:43], v[12:13], v[42:43]
	v_fma_f64 v[6:7], v[8:9], v[14:15], v[6:7]
	v_add_f64 v[44:45], v[6:7], v[10:11]
	ds_read_b128 v[6:9], v24 offset:512
	s_waitcnt lgkmcnt(0)
	v_mul_f64 v[10:11], v[32:33], v[8:9]
	v_mul_f64 v[12:13], v[30:31], v[8:9]
	v_fma_f64 v[10:11], v[30:31], v[6:7], -v[10:11]
	v_fma_f64 v[12:13], v[32:33], v[6:7], v[12:13]
	v_add_f64 v[46:47], v[46:47], v[10:11]
	v_add_f64 v[48:49], v[12:13], v[48:49]
	ds_read_b128 v[10:13], v24 offset:768
	s_waitcnt lgkmcnt(0)
	v_mul_f64 v[14:15], v[32:33], v[12:13]
	v_mul_f64 v[16:17], v[30:31], v[12:13]
	v_fma_f64 v[14:15], v[30:31], v[10:11], -v[14:15]
	v_fma_f64 v[16:17], v[32:33], v[10:11], v[16:17]
	v_add_f64 v[28:29], v[28:29], v[14:15]
	v_add_f64 v[26:27], v[16:17], v[26:27]
	ds_read_b128 v[14:17], v25 offset:2064
	s_waitcnt lgkmcnt(0)
	v_mul_f64 v[30:31], v[16:17], v[8:9]
	v_mul_f64 v[8:9], v[14:15], v[8:9]
	v_fma_f64 v[30:31], v[14:15], v[6:7], -v[30:31]
	v_fma_f64 v[6:7], v[16:17], v[6:7], v[8:9]
	v_mul_f64 v[8:9], v[14:15], v[12:13]
	v_add_f64 v[20:21], v[20:21], v[30:31]
	v_add_f64 v[18:19], v[6:7], v[18:19]
	v_mul_f64 v[6:7], v[16:17], v[12:13]
	v_fma_f64 v[8:9], v[16:17], v[10:11], v[8:9]
	v_fma_f64 v[6:7], v[14:15], v[10:11], -v[6:7]
	v_add_f64 v[32:33], v[8:9], v[44:45]
	v_add_f64 v[30:31], v[42:43], v[6:7]
	ds_read_b128 v[6:9], v24 offset:1024
	s_waitcnt lgkmcnt(0)
	v_mul_f64 v[10:11], v[36:37], v[8:9]
	v_mul_f64 v[12:13], v[34:35], v[8:9]
	v_fma_f64 v[10:11], v[34:35], v[6:7], -v[10:11]
	v_fma_f64 v[12:13], v[36:37], v[6:7], v[12:13]
	v_add_f64 v[42:43], v[46:47], v[10:11]
	v_add_f64 v[44:45], v[12:13], v[48:49]
	ds_read_b128 v[10:13], v24 offset:1280
	s_waitcnt lgkmcnt(0)
	v_mul_f64 v[14:15], v[36:37], v[12:13]
	v_mul_f64 v[16:17], v[34:35], v[12:13]
	v_fma_f64 v[14:15], v[34:35], v[10:11], -v[14:15]
	v_fma_f64 v[16:17], v[36:37], v[10:11], v[16:17]
	v_add_f64 v[28:29], v[28:29], v[14:15]
	v_add_f64 v[26:27], v[16:17], v[26:27]
	ds_read_b128 v[14:17], v25 offset:2080
	s_waitcnt lgkmcnt(0)
	v_mul_f64 v[34:35], v[16:17], v[8:9]
	v_mul_f64 v[8:9], v[14:15], v[8:9]
	v_fma_f64 v[34:35], v[14:15], v[6:7], -v[34:35]
	v_fma_f64 v[6:7], v[16:17], v[6:7], v[8:9]
	v_mul_f64 v[8:9], v[14:15], v[12:13]
	v_add_f64 v[20:21], v[20:21], v[34:35]
	v_add_f64 v[18:19], v[6:7], v[18:19]
	v_mul_f64 v[6:7], v[16:17], v[12:13]
	v_fma_f64 v[8:9], v[16:17], v[10:11], v[8:9]
	v_fma_f64 v[6:7], v[14:15], v[10:11], -v[6:7]
	v_add_f64 v[32:33], v[8:9], v[32:33]
	;; [unrolled: 30-line block ×3, first 2 shown]
	v_add_f64 v[30:31], v[30:31], v[6:7]
	ds_read_b128 v[6:9], v25 offset:64
	ds_read_b128 v[10:13], v24 offset:2048
	s_waitcnt lgkmcnt(0)
	v_mul_f64 v[14:15], v[8:9], v[12:13]
	v_mul_f64 v[16:17], v[6:7], v[12:13]
	v_fma_f64 v[14:15], v[6:7], v[10:11], -v[14:15]
	v_fma_f64 v[16:17], v[8:9], v[10:11], v[16:17]
	v_add_f64 v[34:35], v[34:35], v[14:15]
	v_add_f64 v[36:37], v[16:17], v[36:37]
	ds_read_b128 v[14:17], v24 offset:2304
	s_waitcnt lgkmcnt(0)
	v_mul_f64 v[38:39], v[8:9], v[16:17]
	v_fma_f64 v[38:39], v[6:7], v[14:15], -v[38:39]
	v_mul_f64 v[6:7], v[6:7], v[16:17]
	v_add_f64 v[28:29], v[28:29], v[38:39]
	v_fma_f64 v[6:7], v[8:9], v[14:15], v[6:7]
	v_add_f64 v[26:27], v[6:7], v[26:27]
	ds_read_b128 v[6:9], v25 offset:2112
	s_waitcnt lgkmcnt(0)
	v_mul_f64 v[38:39], v[8:9], v[12:13]
	v_mul_f64 v[12:13], v[6:7], v[12:13]
	v_fma_f64 v[38:39], v[6:7], v[10:11], -v[38:39]
	v_fma_f64 v[10:11], v[8:9], v[10:11], v[12:13]
	v_add_f64 v[20:21], v[20:21], v[38:39]
	v_add_f64 v[18:19], v[10:11], v[18:19]
	v_mul_f64 v[10:11], v[8:9], v[16:17]
	v_fma_f64 v[10:11], v[6:7], v[14:15], -v[10:11]
	v_mul_f64 v[6:7], v[6:7], v[16:17]
	v_add_f64 v[30:31], v[30:31], v[10:11]
	v_fma_f64 v[6:7], v[8:9], v[14:15], v[6:7]
	v_add_f64 v[32:33], v[6:7], v[32:33]
	ds_read_b128 v[6:9], v25 offset:80
	ds_read_b128 v[10:13], v24 offset:2560
	s_waitcnt lgkmcnt(0)
	v_mul_f64 v[14:15], v[8:9], v[12:13]
	v_mul_f64 v[16:17], v[6:7], v[12:13]
	v_fma_f64 v[14:15], v[6:7], v[10:11], -v[14:15]
	v_fma_f64 v[16:17], v[8:9], v[10:11], v[16:17]
	v_add_f64 v[34:35], v[34:35], v[14:15]
	v_add_f64 v[36:37], v[16:17], v[36:37]
	ds_read_b128 v[14:17], v24 offset:2816
	s_waitcnt lgkmcnt(0)
	v_mul_f64 v[38:39], v[8:9], v[16:17]
	v_fma_f64 v[38:39], v[6:7], v[14:15], -v[38:39]
	v_mul_f64 v[6:7], v[6:7], v[16:17]
	v_add_f64 v[28:29], v[28:29], v[38:39]
	v_fma_f64 v[6:7], v[8:9], v[14:15], v[6:7]
	v_add_f64 v[26:27], v[6:7], v[26:27]
	ds_read_b128 v[6:9], v25 offset:2128
	s_waitcnt lgkmcnt(0)
	v_mul_f64 v[38:39], v[8:9], v[12:13]
	v_mul_f64 v[12:13], v[6:7], v[12:13]
	v_fma_f64 v[38:39], v[6:7], v[10:11], -v[38:39]
	v_fma_f64 v[10:11], v[8:9], v[10:11], v[12:13]
	v_add_f64 v[20:21], v[20:21], v[38:39]
	v_add_f64 v[18:19], v[10:11], v[18:19]
	v_mul_f64 v[10:11], v[8:9], v[16:17]
	v_fma_f64 v[10:11], v[6:7], v[14:15], -v[10:11]
	v_mul_f64 v[6:7], v[6:7], v[16:17]
	v_add_f64 v[30:31], v[30:31], v[10:11]
	v_fma_f64 v[6:7], v[8:9], v[14:15], v[6:7]
	;; [unrolled: 31-line block ×3, first 2 shown]
	v_add_f64 v[44:45], v[6:7], v[32:33]
	ds_read_b128 v[6:9], v25 offset:112
	ds_read_b128 v[10:13], v24 offset:3584
	;; [unrolled: 1-line block ×3, first 2 shown]
	s_waitcnt lgkmcnt(1)
	v_mul_f64 v[14:15], v[8:9], v[12:13]
	s_waitcnt lgkmcnt(0)
	v_mul_f64 v[30:31], v[8:9], v[28:29]
	v_mul_f64 v[16:17], v[6:7], v[12:13]
	v_fma_f64 v[14:15], v[6:7], v[10:11], -v[14:15]
	v_fma_f64 v[30:31], v[6:7], v[26:27], -v[30:31]
	v_mul_f64 v[6:7], v[6:7], v[28:29]
	v_fma_f64 v[16:17], v[8:9], v[10:11], v[16:17]
	v_add_f64 v[14:15], v[34:35], v[14:15]
	v_fma_f64 v[6:7], v[8:9], v[26:27], v[6:7]
	v_add_f64 v[8:9], v[38:39], v[30:31]
	ds_read_b128 v[30:33], v25 offset:2160
	v_add_f64 v[16:17], v[16:17], v[36:37]
	s_waitcnt lgkmcnt(0)
	s_barrier
	v_mul_f64 v[34:35], v[32:33], v[12:13]
	v_mul_f64 v[12:13], v[30:31], v[12:13]
	v_add_f64 v[6:7], v[6:7], v[40:41]
	v_fma_f64 v[34:35], v[30:31], v[10:11], -v[34:35]
	v_fma_f64 v[10:11], v[32:33], v[10:11], v[12:13]
	v_mul_f64 v[12:13], v[30:31], v[28:29]
	v_add_f64 v[20:21], v[20:21], v[34:35]
	v_add_f64 v[18:19], v[10:11], v[18:19]
	v_mul_f64 v[10:11], v[32:33], v[28:29]
	v_fma_f64 v[10:11], v[30:31], v[26:27], -v[10:11]
	v_fma_f64 v[26:27], v[32:33], v[26:27], v[12:13]
	v_add_f64 v[12:13], v[42:43], v[10:11]
	v_add_f64 v[10:11], v[26:27], v[44:45]
	s_cbranch_scc0 .LBB704_2
	s_branch .LBB704_4
.LBB704_3:
	v_mov_b32_e32 v14, 0
	v_mov_b32_e32 v16, 0
	;; [unrolled: 1-line block ×16, first 2 shown]
.LBB704_4:
	s_load_dword s3, s[4:5], 0x40
	v_add_u32_e32 v4, s7, v1
	s_waitcnt lgkmcnt(0)
	v_mov_b32_e32 v3, s11
	v_add_u32_e32 v0, s6, v0
	v_cmp_gt_i32_e32 vcc, s2, v4
	v_mad_i64_i32 v[1:2], s[0:1], v4, s3, 0
	v_lshlrev_b64 v[1:2], 4, v[1:2]
	v_add_co_u32_e64 v5, s[0:1], s10, v1
	v_addc_co_u32_e64 v22, s[0:1], v3, v2, s[0:1]
	v_cmp_le_i32_e64 s[0:1], v0, v4
	s_and_b64 s[0:1], vcc, s[0:1]
	s_and_saveexec_b64 s[4:5], s[0:1]
	s_cbranch_execz .LBB704_6
; %bb.5:
	v_ashrrev_i32_e32 v1, 31, v0
	v_lshlrev_b64 v[1:2], 4, v[0:1]
	v_add_co_u32_e64 v1, s[0:1], v5, v1
	v_addc_co_u32_e64 v2, s[0:1], v22, v2, s[0:1]
	flat_load_dwordx4 v[23:26], v[1:2]
	s_waitcnt vmcnt(0) lgkmcnt(0)
	v_add_f64 v[14:15], v[14:15], -v[23:24]
	v_add_f64 v[16:17], v[16:17], -v[25:26]
	flat_store_dwordx4 v[1:2], v[14:17]
.LBB704_6:
	s_or_b64 exec, exec, s[4:5]
	v_add_u32_e32 v2, 16, v0
	v_cmp_le_i32_e64 s[0:1], v2, v4
	s_and_b64 s[4:5], vcc, s[0:1]
	s_and_saveexec_b64 s[0:1], s[4:5]
	s_cbranch_execz .LBB704_8
; %bb.7:
	v_ashrrev_i32_e32 v3, 31, v2
	v_lshlrev_b64 v[14:15], 4, v[2:3]
	v_add_co_u32_e32 v23, vcc, v5, v14
	v_addc_co_u32_e32 v24, vcc, v22, v15, vcc
	flat_load_dwordx4 v[14:17], v[23:24]
	s_waitcnt vmcnt(0) lgkmcnt(0)
	v_add_f64 v[14:15], v[8:9], -v[14:15]
	v_add_f64 v[16:17], v[6:7], -v[16:17]
	flat_store_dwordx4 v[23:24], v[14:17]
.LBB704_8:
	s_or_b64 exec, exec, s[0:1]
	v_add_u32_e32 v3, 16, v4
	v_mad_i64_i32 v[4:5], s[0:1], v3, s3, 0
	v_mov_b32_e32 v1, s11
	v_cmp_gt_i32_e32 vcc, s2, v3
	v_lshlrev_b64 v[4:5], 4, v[4:5]
	v_add_co_u32_e64 v4, s[0:1], s10, v4
	v_addc_co_u32_e64 v5, s[0:1], v1, v5, s[0:1]
	v_cmp_le_i32_e64 s[0:1], v0, v3
	s_and_b64 s[0:1], vcc, s[0:1]
	s_and_saveexec_b64 s[2:3], s[0:1]
	s_cbranch_execz .LBB704_10
; %bb.9:
	v_ashrrev_i32_e32 v1, 31, v0
	v_lshlrev_b64 v[0:1], 4, v[0:1]
	v_add_co_u32_e64 v0, s[0:1], v4, v0
	v_addc_co_u32_e64 v1, s[0:1], v5, v1, s[0:1]
	flat_load_dwordx4 v[6:9], v[0:1]
	s_waitcnt vmcnt(0) lgkmcnt(0)
	v_add_f64 v[6:7], v[20:21], -v[6:7]
	v_add_f64 v[8:9], v[18:19], -v[8:9]
	flat_store_dwordx4 v[0:1], v[6:9]
.LBB704_10:
	s_or_b64 exec, exec, s[2:3]
	v_cmp_le_i32_e64 s[0:1], v2, v3
	s_and_b64 s[0:1], vcc, s[0:1]
	s_and_saveexec_b64 s[2:3], s[0:1]
	s_cbranch_execz .LBB704_12
; %bb.11:
	v_ashrrev_i32_e32 v3, 31, v2
	v_lshlrev_b64 v[0:1], 4, v[2:3]
	v_add_co_u32_e32 v4, vcc, v4, v0
	v_addc_co_u32_e32 v5, vcc, v5, v1, vcc
	flat_load_dwordx4 v[0:3], v[4:5]
	s_waitcnt vmcnt(0) lgkmcnt(0)
	v_add_f64 v[0:1], v[12:13], -v[0:1]
	v_add_f64 v[2:3], v[10:11], -v[2:3]
	flat_store_dwordx4 v[4:5], v[0:3]
.LBB704_12:
	s_endpgm
	.section	.rodata,"a",@progbits
	.p2align	6, 0x0
	.amdhsa_kernel _ZL37rocblas_syrkx_herkx_restricted_kernelIi19rocblas_complex_numIdELi16ELi32ELi8ELi1ELin1ELb0ELc84ELc85EKPKS1_KPS1_EviT_PT9_S7_lS9_S7_lPT10_S7_li
		.amdhsa_group_segment_fixed_size 8192
		.amdhsa_private_segment_fixed_size 0
		.amdhsa_kernarg_size 84
		.amdhsa_user_sgpr_count 6
		.amdhsa_user_sgpr_private_segment_buffer 1
		.amdhsa_user_sgpr_dispatch_ptr 0
		.amdhsa_user_sgpr_queue_ptr 0
		.amdhsa_user_sgpr_kernarg_segment_ptr 1
		.amdhsa_user_sgpr_dispatch_id 0
		.amdhsa_user_sgpr_flat_scratch_init 0
		.amdhsa_user_sgpr_private_segment_size 0
		.amdhsa_uses_dynamic_stack 0
		.amdhsa_system_sgpr_private_segment_wavefront_offset 0
		.amdhsa_system_sgpr_workgroup_id_x 1
		.amdhsa_system_sgpr_workgroup_id_y 1
		.amdhsa_system_sgpr_workgroup_id_z 1
		.amdhsa_system_sgpr_workgroup_info 0
		.amdhsa_system_vgpr_workitem_id 1
		.amdhsa_next_free_vgpr 52
		.amdhsa_next_free_sgpr 61
		.amdhsa_reserve_vcc 1
		.amdhsa_reserve_flat_scratch 0
		.amdhsa_float_round_mode_32 0
		.amdhsa_float_round_mode_16_64 0
		.amdhsa_float_denorm_mode_32 3
		.amdhsa_float_denorm_mode_16_64 3
		.amdhsa_dx10_clamp 1
		.amdhsa_ieee_mode 1
		.amdhsa_fp16_overflow 0
		.amdhsa_exception_fp_ieee_invalid_op 0
		.amdhsa_exception_fp_denorm_src 0
		.amdhsa_exception_fp_ieee_div_zero 0
		.amdhsa_exception_fp_ieee_overflow 0
		.amdhsa_exception_fp_ieee_underflow 0
		.amdhsa_exception_fp_ieee_inexact 0
		.amdhsa_exception_int_div_zero 0
	.end_amdhsa_kernel
	.section	.text._ZL37rocblas_syrkx_herkx_restricted_kernelIi19rocblas_complex_numIdELi16ELi32ELi8ELi1ELin1ELb0ELc84ELc85EKPKS1_KPS1_EviT_PT9_S7_lS9_S7_lPT10_S7_li,"axG",@progbits,_ZL37rocblas_syrkx_herkx_restricted_kernelIi19rocblas_complex_numIdELi16ELi32ELi8ELi1ELin1ELb0ELc84ELc85EKPKS1_KPS1_EviT_PT9_S7_lS9_S7_lPT10_S7_li,comdat
.Lfunc_end704:
	.size	_ZL37rocblas_syrkx_herkx_restricted_kernelIi19rocblas_complex_numIdELi16ELi32ELi8ELi1ELin1ELb0ELc84ELc85EKPKS1_KPS1_EviT_PT9_S7_lS9_S7_lPT10_S7_li, .Lfunc_end704-_ZL37rocblas_syrkx_herkx_restricted_kernelIi19rocblas_complex_numIdELi16ELi32ELi8ELi1ELin1ELb0ELc84ELc85EKPKS1_KPS1_EviT_PT9_S7_lS9_S7_lPT10_S7_li
                                        ; -- End function
	.set _ZL37rocblas_syrkx_herkx_restricted_kernelIi19rocblas_complex_numIdELi16ELi32ELi8ELi1ELin1ELb0ELc84ELc85EKPKS1_KPS1_EviT_PT9_S7_lS9_S7_lPT10_S7_li.num_vgpr, 52
	.set _ZL37rocblas_syrkx_herkx_restricted_kernelIi19rocblas_complex_numIdELi16ELi32ELi8ELi1ELin1ELb0ELc84ELc85EKPKS1_KPS1_EviT_PT9_S7_lS9_S7_lPT10_S7_li.num_agpr, 0
	.set _ZL37rocblas_syrkx_herkx_restricted_kernelIi19rocblas_complex_numIdELi16ELi32ELi8ELi1ELin1ELb0ELc84ELc85EKPKS1_KPS1_EviT_PT9_S7_lS9_S7_lPT10_S7_li.numbered_sgpr, 17
	.set _ZL37rocblas_syrkx_herkx_restricted_kernelIi19rocblas_complex_numIdELi16ELi32ELi8ELi1ELin1ELb0ELc84ELc85EKPKS1_KPS1_EviT_PT9_S7_lS9_S7_lPT10_S7_li.num_named_barrier, 0
	.set _ZL37rocblas_syrkx_herkx_restricted_kernelIi19rocblas_complex_numIdELi16ELi32ELi8ELi1ELin1ELb0ELc84ELc85EKPKS1_KPS1_EviT_PT9_S7_lS9_S7_lPT10_S7_li.private_seg_size, 0
	.set _ZL37rocblas_syrkx_herkx_restricted_kernelIi19rocblas_complex_numIdELi16ELi32ELi8ELi1ELin1ELb0ELc84ELc85EKPKS1_KPS1_EviT_PT9_S7_lS9_S7_lPT10_S7_li.uses_vcc, 1
	.set _ZL37rocblas_syrkx_herkx_restricted_kernelIi19rocblas_complex_numIdELi16ELi32ELi8ELi1ELin1ELb0ELc84ELc85EKPKS1_KPS1_EviT_PT9_S7_lS9_S7_lPT10_S7_li.uses_flat_scratch, 0
	.set _ZL37rocblas_syrkx_herkx_restricted_kernelIi19rocblas_complex_numIdELi16ELi32ELi8ELi1ELin1ELb0ELc84ELc85EKPKS1_KPS1_EviT_PT9_S7_lS9_S7_lPT10_S7_li.has_dyn_sized_stack, 0
	.set _ZL37rocblas_syrkx_herkx_restricted_kernelIi19rocblas_complex_numIdELi16ELi32ELi8ELi1ELin1ELb0ELc84ELc85EKPKS1_KPS1_EviT_PT9_S7_lS9_S7_lPT10_S7_li.has_recursion, 0
	.set _ZL37rocblas_syrkx_herkx_restricted_kernelIi19rocblas_complex_numIdELi16ELi32ELi8ELi1ELin1ELb0ELc84ELc85EKPKS1_KPS1_EviT_PT9_S7_lS9_S7_lPT10_S7_li.has_indirect_call, 0
	.section	.AMDGPU.csdata,"",@progbits
; Kernel info:
; codeLenInByte = 2832
; TotalNumSgprs: 21
; NumVgprs: 52
; ScratchSize: 0
; MemoryBound: 0
; FloatMode: 240
; IeeeMode: 1
; LDSByteSize: 8192 bytes/workgroup (compile time only)
; SGPRBlocks: 8
; VGPRBlocks: 12
; NumSGPRsForWavesPerEU: 65
; NumVGPRsForWavesPerEU: 52
; Occupancy: 4
; WaveLimiterHint : 1
; COMPUTE_PGM_RSRC2:SCRATCH_EN: 0
; COMPUTE_PGM_RSRC2:USER_SGPR: 6
; COMPUTE_PGM_RSRC2:TRAP_HANDLER: 0
; COMPUTE_PGM_RSRC2:TGID_X_EN: 1
; COMPUTE_PGM_RSRC2:TGID_Y_EN: 1
; COMPUTE_PGM_RSRC2:TGID_Z_EN: 1
; COMPUTE_PGM_RSRC2:TIDIG_COMP_CNT: 1
	.section	.text._ZL37rocblas_syrkx_herkx_restricted_kernelIi19rocblas_complex_numIdELi16ELi32ELi8ELi1ELin1ELb0ELc67ELc85EKPKS1_KPS1_EviT_PT9_S7_lS9_S7_lPT10_S7_li,"axG",@progbits,_ZL37rocblas_syrkx_herkx_restricted_kernelIi19rocblas_complex_numIdELi16ELi32ELi8ELi1ELin1ELb0ELc67ELc85EKPKS1_KPS1_EviT_PT9_S7_lS9_S7_lPT10_S7_li,comdat
	.globl	_ZL37rocblas_syrkx_herkx_restricted_kernelIi19rocblas_complex_numIdELi16ELi32ELi8ELi1ELin1ELb0ELc67ELc85EKPKS1_KPS1_EviT_PT9_S7_lS9_S7_lPT10_S7_li ; -- Begin function _ZL37rocblas_syrkx_herkx_restricted_kernelIi19rocblas_complex_numIdELi16ELi32ELi8ELi1ELin1ELb0ELc67ELc85EKPKS1_KPS1_EviT_PT9_S7_lS9_S7_lPT10_S7_li
	.p2align	8
	.type	_ZL37rocblas_syrkx_herkx_restricted_kernelIi19rocblas_complex_numIdELi16ELi32ELi8ELi1ELin1ELb0ELc67ELc85EKPKS1_KPS1_EviT_PT9_S7_lS9_S7_lPT10_S7_li,@function
_ZL37rocblas_syrkx_herkx_restricted_kernelIi19rocblas_complex_numIdELi16ELi32ELi8ELi1ELin1ELb0ELc67ELc85EKPKS1_KPS1_EviT_PT9_S7_lS9_S7_lPT10_S7_li: ; @_ZL37rocblas_syrkx_herkx_restricted_kernelIi19rocblas_complex_numIdELi16ELi32ELi8ELi1ELin1ELb0ELc67ELc85EKPKS1_KPS1_EviT_PT9_S7_lS9_S7_lPT10_S7_li
; %bb.0:
	s_load_dwordx2 s[10:11], s[4:5], 0x38
	s_load_dwordx2 s[2:3], s[4:5], 0x0
	s_mov_b32 s9, 0
	s_lshl_b64 s[0:1], s[8:9], 3
	s_waitcnt lgkmcnt(0)
	s_add_u32 s10, s10, s0
	s_addc_u32 s11, s11, s1
	s_load_dwordx2 s[10:11], s[10:11], 0x0
	s_lshl_b32 s6, s6, 5
	s_lshl_b32 s7, s7, 5
	s_cmp_lt_i32 s3, 1
	s_cbranch_scc1 .LBB705_3
; %bb.1:
	s_load_dwordx2 s[12:13], s[4:5], 0x8
	s_load_dword s8, s[4:5], 0x10
	s_load_dwordx2 s[14:15], s[4:5], 0x20
	s_load_dword s16, s[4:5], 0x28
	v_lshl_add_u32 v6, v1, 4, v0
	s_waitcnt lgkmcnt(0)
	s_add_u32 s12, s12, s0
	s_addc_u32 s13, s13, s1
	v_lshrrev_b32_e32 v8, 3, v6
	s_add_u32 s0, s14, s0
	v_add_u32_e32 v4, s7, v8
	v_and_b32_e32 v2, 7, v0
	v_mov_b32_e32 v3, 0
	s_addc_u32 s1, s15, s1
	v_mad_i64_i32 v[4:5], s[14:15], s16, v4, v[2:3]
	v_and_b32_e32 v9, 31, v6
	v_lshlrev_b32_e32 v2, 4, v2
	v_lshrrev_b32_e32 v6, 5, v6
	v_mov_b32_e32 v7, v3
	v_lshlrev_b32_e32 v3, 4, v9
	v_lshl_or_b32 v8, v8, 7, v2
	v_add_u32_e32 v2, s6, v9
	v_lshl_or_b32 v22, v6, 9, v3
	v_mad_i64_i32 v[2:3], s[14:15], s8, v2, v[6:7]
	s_load_dwordx2 s[12:13], s[12:13], 0x0
	v_lshlrev_b64 v[4:5], 4, v[4:5]
	s_load_dwordx2 s[0:1], s[0:1], 0x0
	v_lshlrev_b64 v[2:3], 4, v[2:3]
	v_add_u32_e32 v23, 0x1000, v8
	s_waitcnt lgkmcnt(0)
	v_mov_b32_e32 v6, s13
	v_add_co_u32_e32 v2, vcc, s12, v2
	v_addc_co_u32_e32 v3, vcc, v6, v3, vcc
	v_mov_b32_e32 v6, s1
	v_add_co_u32_e32 v4, vcc, s0, v4
	v_mov_b32_e32 v25, 0x1000
	v_addc_co_u32_e32 v5, vcc, v6, v5, vcc
	v_mov_b32_e32 v10, 0
	v_mov_b32_e32 v12, 0
	;; [unrolled: 1-line block ×8, first 2 shown]
	v_lshlrev_b32_e32 v24, 4, v0
	v_mov_b32_e32 v11, 0
	v_mov_b32_e32 v13, 0
	;; [unrolled: 1-line block ×8, first 2 shown]
	v_lshl_add_u32 v25, v1, 7, v25
.LBB705_2:                              ; =>This Inner Loop Header: Depth=1
	flat_load_dwordx4 v[26:29], v[2:3]
	v_add_co_u32_e32 v2, vcc, 0x80, v2
	v_addc_co_u32_e32 v3, vcc, 0, v3, vcc
	s_add_i32 s9, s9, 8
	s_cmp_ge_i32 s9, s3
	s_waitcnt vmcnt(0) lgkmcnt(0)
	ds_write_b128 v22, v[26:29]
	flat_load_dwordx4 v[26:29], v[4:5]
	v_add_co_u32_e32 v4, vcc, 0x80, v4
	v_addc_co_u32_e32 v5, vcc, 0, v5, vcc
	s_waitcnt vmcnt(0) lgkmcnt(0)
	ds_write_b128 v23, v[26:29]
	s_waitcnt lgkmcnt(0)
	s_barrier
	ds_read_b128 v[26:29], v25
	ds_read_b128 v[30:33], v25 offset:16
	ds_read_b128 v[34:37], v25 offset:32
	;; [unrolled: 1-line block ×3, first 2 shown]
	ds_read_b128 v[42:45], v24
	s_waitcnt lgkmcnt(0)
	v_mul_f64 v[46:47], v[28:29], v[44:45]
	v_mul_f64 v[48:49], v[26:27], v[44:45]
	v_fma_f64 v[46:47], v[26:27], v[42:43], -v[46:47]
	v_fma_f64 v[48:49], v[28:29], v[42:43], v[48:49]
	v_add_f64 v[46:47], v[14:15], v[46:47]
	v_add_f64 v[48:49], v[48:49], v[16:17]
	ds_read_b128 v[14:17], v24 offset:256
	s_waitcnt lgkmcnt(0)
	v_mul_f64 v[50:51], v[28:29], v[16:17]
	v_fma_f64 v[50:51], v[26:27], v[14:15], -v[50:51]
	v_mul_f64 v[26:27], v[26:27], v[16:17]
	v_fma_f64 v[26:27], v[28:29], v[14:15], v[26:27]
	v_add_f64 v[28:29], v[8:9], v[50:51]
	v_add_f64 v[26:27], v[26:27], v[6:7]
	ds_read_b128 v[6:9], v25 offset:2048
	s_waitcnt lgkmcnt(0)
	v_mul_f64 v[50:51], v[8:9], v[44:45]
	v_mul_f64 v[44:45], v[6:7], v[44:45]
	v_fma_f64 v[50:51], v[6:7], v[42:43], -v[50:51]
	v_fma_f64 v[42:43], v[8:9], v[42:43], v[44:45]
	v_add_f64 v[20:21], v[20:21], v[50:51]
	v_add_f64 v[18:19], v[42:43], v[18:19]
	v_mul_f64 v[42:43], v[8:9], v[16:17]
	v_fma_f64 v[42:43], v[6:7], v[14:15], -v[42:43]
	v_mul_f64 v[6:7], v[6:7], v[16:17]
	v_add_f64 v[42:43], v[12:13], v[42:43]
	v_fma_f64 v[6:7], v[8:9], v[14:15], v[6:7]
	v_add_f64 v[44:45], v[6:7], v[10:11]
	ds_read_b128 v[6:9], v24 offset:512
	s_waitcnt lgkmcnt(0)
	v_mul_f64 v[10:11], v[32:33], v[8:9]
	v_mul_f64 v[12:13], v[30:31], v[8:9]
	v_fma_f64 v[10:11], v[30:31], v[6:7], -v[10:11]
	v_fma_f64 v[12:13], v[32:33], v[6:7], v[12:13]
	v_add_f64 v[46:47], v[46:47], v[10:11]
	v_add_f64 v[48:49], v[12:13], v[48:49]
	ds_read_b128 v[10:13], v24 offset:768
	s_waitcnt lgkmcnt(0)
	v_mul_f64 v[14:15], v[32:33], v[12:13]
	v_mul_f64 v[16:17], v[30:31], v[12:13]
	v_fma_f64 v[14:15], v[30:31], v[10:11], -v[14:15]
	v_fma_f64 v[16:17], v[32:33], v[10:11], v[16:17]
	v_add_f64 v[28:29], v[28:29], v[14:15]
	v_add_f64 v[26:27], v[16:17], v[26:27]
	ds_read_b128 v[14:17], v25 offset:2064
	s_waitcnt lgkmcnt(0)
	v_mul_f64 v[30:31], v[16:17], v[8:9]
	v_mul_f64 v[8:9], v[14:15], v[8:9]
	v_fma_f64 v[30:31], v[14:15], v[6:7], -v[30:31]
	v_fma_f64 v[6:7], v[16:17], v[6:7], v[8:9]
	v_mul_f64 v[8:9], v[14:15], v[12:13]
	v_add_f64 v[20:21], v[20:21], v[30:31]
	v_add_f64 v[18:19], v[6:7], v[18:19]
	v_mul_f64 v[6:7], v[16:17], v[12:13]
	v_fma_f64 v[8:9], v[16:17], v[10:11], v[8:9]
	v_fma_f64 v[6:7], v[14:15], v[10:11], -v[6:7]
	v_add_f64 v[32:33], v[8:9], v[44:45]
	v_add_f64 v[30:31], v[42:43], v[6:7]
	ds_read_b128 v[6:9], v24 offset:1024
	s_waitcnt lgkmcnt(0)
	v_mul_f64 v[10:11], v[36:37], v[8:9]
	v_mul_f64 v[12:13], v[34:35], v[8:9]
	v_fma_f64 v[10:11], v[34:35], v[6:7], -v[10:11]
	v_fma_f64 v[12:13], v[36:37], v[6:7], v[12:13]
	v_add_f64 v[42:43], v[46:47], v[10:11]
	v_add_f64 v[44:45], v[12:13], v[48:49]
	ds_read_b128 v[10:13], v24 offset:1280
	s_waitcnt lgkmcnt(0)
	v_mul_f64 v[14:15], v[36:37], v[12:13]
	v_mul_f64 v[16:17], v[34:35], v[12:13]
	v_fma_f64 v[14:15], v[34:35], v[10:11], -v[14:15]
	v_fma_f64 v[16:17], v[36:37], v[10:11], v[16:17]
	v_add_f64 v[28:29], v[28:29], v[14:15]
	v_add_f64 v[26:27], v[16:17], v[26:27]
	ds_read_b128 v[14:17], v25 offset:2080
	s_waitcnt lgkmcnt(0)
	v_mul_f64 v[34:35], v[16:17], v[8:9]
	v_mul_f64 v[8:9], v[14:15], v[8:9]
	v_fma_f64 v[34:35], v[14:15], v[6:7], -v[34:35]
	v_fma_f64 v[6:7], v[16:17], v[6:7], v[8:9]
	v_mul_f64 v[8:9], v[14:15], v[12:13]
	v_add_f64 v[20:21], v[20:21], v[34:35]
	v_add_f64 v[18:19], v[6:7], v[18:19]
	v_mul_f64 v[6:7], v[16:17], v[12:13]
	v_fma_f64 v[8:9], v[16:17], v[10:11], v[8:9]
	v_fma_f64 v[6:7], v[14:15], v[10:11], -v[6:7]
	v_add_f64 v[32:33], v[8:9], v[32:33]
	;; [unrolled: 30-line block ×3, first 2 shown]
	v_add_f64 v[30:31], v[30:31], v[6:7]
	ds_read_b128 v[6:9], v25 offset:64
	ds_read_b128 v[10:13], v24 offset:2048
	s_waitcnt lgkmcnt(0)
	v_mul_f64 v[14:15], v[8:9], v[12:13]
	v_mul_f64 v[16:17], v[6:7], v[12:13]
	v_fma_f64 v[14:15], v[6:7], v[10:11], -v[14:15]
	v_fma_f64 v[16:17], v[8:9], v[10:11], v[16:17]
	v_add_f64 v[34:35], v[34:35], v[14:15]
	v_add_f64 v[36:37], v[16:17], v[36:37]
	ds_read_b128 v[14:17], v24 offset:2304
	s_waitcnt lgkmcnt(0)
	v_mul_f64 v[38:39], v[8:9], v[16:17]
	v_fma_f64 v[38:39], v[6:7], v[14:15], -v[38:39]
	v_mul_f64 v[6:7], v[6:7], v[16:17]
	v_add_f64 v[28:29], v[28:29], v[38:39]
	v_fma_f64 v[6:7], v[8:9], v[14:15], v[6:7]
	v_add_f64 v[26:27], v[6:7], v[26:27]
	ds_read_b128 v[6:9], v25 offset:2112
	s_waitcnt lgkmcnt(0)
	v_mul_f64 v[38:39], v[8:9], v[12:13]
	v_mul_f64 v[12:13], v[6:7], v[12:13]
	v_fma_f64 v[38:39], v[6:7], v[10:11], -v[38:39]
	v_fma_f64 v[10:11], v[8:9], v[10:11], v[12:13]
	v_add_f64 v[20:21], v[20:21], v[38:39]
	v_add_f64 v[18:19], v[10:11], v[18:19]
	v_mul_f64 v[10:11], v[8:9], v[16:17]
	v_fma_f64 v[10:11], v[6:7], v[14:15], -v[10:11]
	v_mul_f64 v[6:7], v[6:7], v[16:17]
	v_add_f64 v[30:31], v[30:31], v[10:11]
	v_fma_f64 v[6:7], v[8:9], v[14:15], v[6:7]
	v_add_f64 v[32:33], v[6:7], v[32:33]
	ds_read_b128 v[6:9], v25 offset:80
	ds_read_b128 v[10:13], v24 offset:2560
	s_waitcnt lgkmcnt(0)
	v_mul_f64 v[14:15], v[8:9], v[12:13]
	v_mul_f64 v[16:17], v[6:7], v[12:13]
	v_fma_f64 v[14:15], v[6:7], v[10:11], -v[14:15]
	v_fma_f64 v[16:17], v[8:9], v[10:11], v[16:17]
	v_add_f64 v[34:35], v[34:35], v[14:15]
	v_add_f64 v[36:37], v[16:17], v[36:37]
	ds_read_b128 v[14:17], v24 offset:2816
	s_waitcnt lgkmcnt(0)
	v_mul_f64 v[38:39], v[8:9], v[16:17]
	v_fma_f64 v[38:39], v[6:7], v[14:15], -v[38:39]
	v_mul_f64 v[6:7], v[6:7], v[16:17]
	v_add_f64 v[28:29], v[28:29], v[38:39]
	v_fma_f64 v[6:7], v[8:9], v[14:15], v[6:7]
	v_add_f64 v[26:27], v[6:7], v[26:27]
	ds_read_b128 v[6:9], v25 offset:2128
	s_waitcnt lgkmcnt(0)
	v_mul_f64 v[38:39], v[8:9], v[12:13]
	v_mul_f64 v[12:13], v[6:7], v[12:13]
	v_fma_f64 v[38:39], v[6:7], v[10:11], -v[38:39]
	v_fma_f64 v[10:11], v[8:9], v[10:11], v[12:13]
	v_add_f64 v[20:21], v[20:21], v[38:39]
	v_add_f64 v[18:19], v[10:11], v[18:19]
	v_mul_f64 v[10:11], v[8:9], v[16:17]
	v_fma_f64 v[10:11], v[6:7], v[14:15], -v[10:11]
	v_mul_f64 v[6:7], v[6:7], v[16:17]
	v_add_f64 v[30:31], v[30:31], v[10:11]
	v_fma_f64 v[6:7], v[8:9], v[14:15], v[6:7]
	;; [unrolled: 31-line block ×3, first 2 shown]
	v_add_f64 v[44:45], v[6:7], v[32:33]
	ds_read_b128 v[6:9], v25 offset:112
	ds_read_b128 v[10:13], v24 offset:3584
	ds_read_b128 v[26:29], v24 offset:3840
	s_waitcnt lgkmcnt(1)
	v_mul_f64 v[14:15], v[8:9], v[12:13]
	s_waitcnt lgkmcnt(0)
	v_mul_f64 v[30:31], v[8:9], v[28:29]
	v_mul_f64 v[16:17], v[6:7], v[12:13]
	v_fma_f64 v[14:15], v[6:7], v[10:11], -v[14:15]
	v_fma_f64 v[30:31], v[6:7], v[26:27], -v[30:31]
	v_mul_f64 v[6:7], v[6:7], v[28:29]
	v_fma_f64 v[16:17], v[8:9], v[10:11], v[16:17]
	v_add_f64 v[14:15], v[34:35], v[14:15]
	v_fma_f64 v[6:7], v[8:9], v[26:27], v[6:7]
	v_add_f64 v[8:9], v[38:39], v[30:31]
	ds_read_b128 v[30:33], v25 offset:2160
	v_add_f64 v[16:17], v[16:17], v[36:37]
	s_waitcnt lgkmcnt(0)
	s_barrier
	v_mul_f64 v[34:35], v[32:33], v[12:13]
	v_mul_f64 v[12:13], v[30:31], v[12:13]
	v_add_f64 v[6:7], v[6:7], v[40:41]
	v_fma_f64 v[34:35], v[30:31], v[10:11], -v[34:35]
	v_fma_f64 v[10:11], v[32:33], v[10:11], v[12:13]
	v_mul_f64 v[12:13], v[30:31], v[28:29]
	v_add_f64 v[20:21], v[20:21], v[34:35]
	v_add_f64 v[18:19], v[10:11], v[18:19]
	v_mul_f64 v[10:11], v[32:33], v[28:29]
	v_fma_f64 v[10:11], v[30:31], v[26:27], -v[10:11]
	v_fma_f64 v[26:27], v[32:33], v[26:27], v[12:13]
	v_add_f64 v[12:13], v[42:43], v[10:11]
	v_add_f64 v[10:11], v[26:27], v[44:45]
	s_cbranch_scc0 .LBB705_2
	s_branch .LBB705_4
.LBB705_3:
	v_mov_b32_e32 v14, 0
	v_mov_b32_e32 v16, 0
	;; [unrolled: 1-line block ×16, first 2 shown]
.LBB705_4:
	s_load_dword s3, s[4:5], 0x40
	v_add_u32_e32 v4, s7, v1
	s_waitcnt lgkmcnt(0)
	v_mov_b32_e32 v3, s11
	v_add_u32_e32 v0, s6, v0
	v_cmp_gt_i32_e32 vcc, s2, v4
	v_mad_i64_i32 v[1:2], s[0:1], v4, s3, 0
	v_lshlrev_b64 v[1:2], 4, v[1:2]
	v_add_co_u32_e64 v5, s[0:1], s10, v1
	v_addc_co_u32_e64 v22, s[0:1], v3, v2, s[0:1]
	v_cmp_le_i32_e64 s[0:1], v0, v4
	s_and_b64 s[0:1], vcc, s[0:1]
	s_and_saveexec_b64 s[4:5], s[0:1]
	s_cbranch_execz .LBB705_6
; %bb.5:
	v_ashrrev_i32_e32 v1, 31, v0
	v_lshlrev_b64 v[1:2], 4, v[0:1]
	v_add_co_u32_e64 v1, s[0:1], v5, v1
	v_addc_co_u32_e64 v2, s[0:1], v22, v2, s[0:1]
	flat_load_dwordx4 v[23:26], v[1:2]
	s_waitcnt vmcnt(0) lgkmcnt(0)
	v_add_f64 v[14:15], v[14:15], -v[23:24]
	v_add_f64 v[16:17], v[16:17], -v[25:26]
	flat_store_dwordx4 v[1:2], v[14:17]
.LBB705_6:
	s_or_b64 exec, exec, s[4:5]
	v_add_u32_e32 v2, 16, v0
	v_cmp_le_i32_e64 s[0:1], v2, v4
	s_and_b64 s[4:5], vcc, s[0:1]
	s_and_saveexec_b64 s[0:1], s[4:5]
	s_cbranch_execz .LBB705_8
; %bb.7:
	v_ashrrev_i32_e32 v3, 31, v2
	v_lshlrev_b64 v[14:15], 4, v[2:3]
	v_add_co_u32_e32 v23, vcc, v5, v14
	v_addc_co_u32_e32 v24, vcc, v22, v15, vcc
	flat_load_dwordx4 v[14:17], v[23:24]
	s_waitcnt vmcnt(0) lgkmcnt(0)
	v_add_f64 v[14:15], v[8:9], -v[14:15]
	v_add_f64 v[16:17], v[6:7], -v[16:17]
	flat_store_dwordx4 v[23:24], v[14:17]
.LBB705_8:
	s_or_b64 exec, exec, s[0:1]
	v_add_u32_e32 v3, 16, v4
	v_mad_i64_i32 v[4:5], s[0:1], v3, s3, 0
	v_mov_b32_e32 v1, s11
	v_cmp_gt_i32_e32 vcc, s2, v3
	v_lshlrev_b64 v[4:5], 4, v[4:5]
	v_add_co_u32_e64 v4, s[0:1], s10, v4
	v_addc_co_u32_e64 v5, s[0:1], v1, v5, s[0:1]
	v_cmp_le_i32_e64 s[0:1], v0, v3
	s_and_b64 s[0:1], vcc, s[0:1]
	s_and_saveexec_b64 s[2:3], s[0:1]
	s_cbranch_execz .LBB705_10
; %bb.9:
	v_ashrrev_i32_e32 v1, 31, v0
	v_lshlrev_b64 v[0:1], 4, v[0:1]
	v_add_co_u32_e64 v0, s[0:1], v4, v0
	v_addc_co_u32_e64 v1, s[0:1], v5, v1, s[0:1]
	flat_load_dwordx4 v[6:9], v[0:1]
	s_waitcnt vmcnt(0) lgkmcnt(0)
	v_add_f64 v[6:7], v[20:21], -v[6:7]
	v_add_f64 v[8:9], v[18:19], -v[8:9]
	flat_store_dwordx4 v[0:1], v[6:9]
.LBB705_10:
	s_or_b64 exec, exec, s[2:3]
	v_cmp_le_i32_e64 s[0:1], v2, v3
	s_and_b64 s[0:1], vcc, s[0:1]
	s_and_saveexec_b64 s[2:3], s[0:1]
	s_cbranch_execz .LBB705_12
; %bb.11:
	v_ashrrev_i32_e32 v3, 31, v2
	v_lshlrev_b64 v[0:1], 4, v[2:3]
	v_add_co_u32_e32 v4, vcc, v4, v0
	v_addc_co_u32_e32 v5, vcc, v5, v1, vcc
	flat_load_dwordx4 v[0:3], v[4:5]
	s_waitcnt vmcnt(0) lgkmcnt(0)
	v_add_f64 v[0:1], v[12:13], -v[0:1]
	v_add_f64 v[2:3], v[10:11], -v[2:3]
	flat_store_dwordx4 v[4:5], v[0:3]
.LBB705_12:
	s_endpgm
	.section	.rodata,"a",@progbits
	.p2align	6, 0x0
	.amdhsa_kernel _ZL37rocblas_syrkx_herkx_restricted_kernelIi19rocblas_complex_numIdELi16ELi32ELi8ELi1ELin1ELb0ELc67ELc85EKPKS1_KPS1_EviT_PT9_S7_lS9_S7_lPT10_S7_li
		.amdhsa_group_segment_fixed_size 8192
		.amdhsa_private_segment_fixed_size 0
		.amdhsa_kernarg_size 84
		.amdhsa_user_sgpr_count 6
		.amdhsa_user_sgpr_private_segment_buffer 1
		.amdhsa_user_sgpr_dispatch_ptr 0
		.amdhsa_user_sgpr_queue_ptr 0
		.amdhsa_user_sgpr_kernarg_segment_ptr 1
		.amdhsa_user_sgpr_dispatch_id 0
		.amdhsa_user_sgpr_flat_scratch_init 0
		.amdhsa_user_sgpr_private_segment_size 0
		.amdhsa_uses_dynamic_stack 0
		.amdhsa_system_sgpr_private_segment_wavefront_offset 0
		.amdhsa_system_sgpr_workgroup_id_x 1
		.amdhsa_system_sgpr_workgroup_id_y 1
		.amdhsa_system_sgpr_workgroup_id_z 1
		.amdhsa_system_sgpr_workgroup_info 0
		.amdhsa_system_vgpr_workitem_id 1
		.amdhsa_next_free_vgpr 52
		.amdhsa_next_free_sgpr 61
		.amdhsa_reserve_vcc 1
		.amdhsa_reserve_flat_scratch 0
		.amdhsa_float_round_mode_32 0
		.amdhsa_float_round_mode_16_64 0
		.amdhsa_float_denorm_mode_32 3
		.amdhsa_float_denorm_mode_16_64 3
		.amdhsa_dx10_clamp 1
		.amdhsa_ieee_mode 1
		.amdhsa_fp16_overflow 0
		.amdhsa_exception_fp_ieee_invalid_op 0
		.amdhsa_exception_fp_denorm_src 0
		.amdhsa_exception_fp_ieee_div_zero 0
		.amdhsa_exception_fp_ieee_overflow 0
		.amdhsa_exception_fp_ieee_underflow 0
		.amdhsa_exception_fp_ieee_inexact 0
		.amdhsa_exception_int_div_zero 0
	.end_amdhsa_kernel
	.section	.text._ZL37rocblas_syrkx_herkx_restricted_kernelIi19rocblas_complex_numIdELi16ELi32ELi8ELi1ELin1ELb0ELc67ELc85EKPKS1_KPS1_EviT_PT9_S7_lS9_S7_lPT10_S7_li,"axG",@progbits,_ZL37rocblas_syrkx_herkx_restricted_kernelIi19rocblas_complex_numIdELi16ELi32ELi8ELi1ELin1ELb0ELc67ELc85EKPKS1_KPS1_EviT_PT9_S7_lS9_S7_lPT10_S7_li,comdat
.Lfunc_end705:
	.size	_ZL37rocblas_syrkx_herkx_restricted_kernelIi19rocblas_complex_numIdELi16ELi32ELi8ELi1ELin1ELb0ELc67ELc85EKPKS1_KPS1_EviT_PT9_S7_lS9_S7_lPT10_S7_li, .Lfunc_end705-_ZL37rocblas_syrkx_herkx_restricted_kernelIi19rocblas_complex_numIdELi16ELi32ELi8ELi1ELin1ELb0ELc67ELc85EKPKS1_KPS1_EviT_PT9_S7_lS9_S7_lPT10_S7_li
                                        ; -- End function
	.set _ZL37rocblas_syrkx_herkx_restricted_kernelIi19rocblas_complex_numIdELi16ELi32ELi8ELi1ELin1ELb0ELc67ELc85EKPKS1_KPS1_EviT_PT9_S7_lS9_S7_lPT10_S7_li.num_vgpr, 52
	.set _ZL37rocblas_syrkx_herkx_restricted_kernelIi19rocblas_complex_numIdELi16ELi32ELi8ELi1ELin1ELb0ELc67ELc85EKPKS1_KPS1_EviT_PT9_S7_lS9_S7_lPT10_S7_li.num_agpr, 0
	.set _ZL37rocblas_syrkx_herkx_restricted_kernelIi19rocblas_complex_numIdELi16ELi32ELi8ELi1ELin1ELb0ELc67ELc85EKPKS1_KPS1_EviT_PT9_S7_lS9_S7_lPT10_S7_li.numbered_sgpr, 17
	.set _ZL37rocblas_syrkx_herkx_restricted_kernelIi19rocblas_complex_numIdELi16ELi32ELi8ELi1ELin1ELb0ELc67ELc85EKPKS1_KPS1_EviT_PT9_S7_lS9_S7_lPT10_S7_li.num_named_barrier, 0
	.set _ZL37rocblas_syrkx_herkx_restricted_kernelIi19rocblas_complex_numIdELi16ELi32ELi8ELi1ELin1ELb0ELc67ELc85EKPKS1_KPS1_EviT_PT9_S7_lS9_S7_lPT10_S7_li.private_seg_size, 0
	.set _ZL37rocblas_syrkx_herkx_restricted_kernelIi19rocblas_complex_numIdELi16ELi32ELi8ELi1ELin1ELb0ELc67ELc85EKPKS1_KPS1_EviT_PT9_S7_lS9_S7_lPT10_S7_li.uses_vcc, 1
	.set _ZL37rocblas_syrkx_herkx_restricted_kernelIi19rocblas_complex_numIdELi16ELi32ELi8ELi1ELin1ELb0ELc67ELc85EKPKS1_KPS1_EviT_PT9_S7_lS9_S7_lPT10_S7_li.uses_flat_scratch, 0
	.set _ZL37rocblas_syrkx_herkx_restricted_kernelIi19rocblas_complex_numIdELi16ELi32ELi8ELi1ELin1ELb0ELc67ELc85EKPKS1_KPS1_EviT_PT9_S7_lS9_S7_lPT10_S7_li.has_dyn_sized_stack, 0
	.set _ZL37rocblas_syrkx_herkx_restricted_kernelIi19rocblas_complex_numIdELi16ELi32ELi8ELi1ELin1ELb0ELc67ELc85EKPKS1_KPS1_EviT_PT9_S7_lS9_S7_lPT10_S7_li.has_recursion, 0
	.set _ZL37rocblas_syrkx_herkx_restricted_kernelIi19rocblas_complex_numIdELi16ELi32ELi8ELi1ELin1ELb0ELc67ELc85EKPKS1_KPS1_EviT_PT9_S7_lS9_S7_lPT10_S7_li.has_indirect_call, 0
	.section	.AMDGPU.csdata,"",@progbits
; Kernel info:
; codeLenInByte = 2832
; TotalNumSgprs: 21
; NumVgprs: 52
; ScratchSize: 0
; MemoryBound: 0
; FloatMode: 240
; IeeeMode: 1
; LDSByteSize: 8192 bytes/workgroup (compile time only)
; SGPRBlocks: 8
; VGPRBlocks: 12
; NumSGPRsForWavesPerEU: 65
; NumVGPRsForWavesPerEU: 52
; Occupancy: 4
; WaveLimiterHint : 1
; COMPUTE_PGM_RSRC2:SCRATCH_EN: 0
; COMPUTE_PGM_RSRC2:USER_SGPR: 6
; COMPUTE_PGM_RSRC2:TRAP_HANDLER: 0
; COMPUTE_PGM_RSRC2:TGID_X_EN: 1
; COMPUTE_PGM_RSRC2:TGID_Y_EN: 1
; COMPUTE_PGM_RSRC2:TGID_Z_EN: 1
; COMPUTE_PGM_RSRC2:TIDIG_COMP_CNT: 1
	.section	.text._ZL37rocblas_syrkx_herkx_restricted_kernelIi19rocblas_complex_numIdELi16ELi32ELi8ELi1ELin1ELb0ELc78ELc85EKPKS1_KPS1_EviT_PT9_S7_lS9_S7_lPT10_S7_li,"axG",@progbits,_ZL37rocblas_syrkx_herkx_restricted_kernelIi19rocblas_complex_numIdELi16ELi32ELi8ELi1ELin1ELb0ELc78ELc85EKPKS1_KPS1_EviT_PT9_S7_lS9_S7_lPT10_S7_li,comdat
	.globl	_ZL37rocblas_syrkx_herkx_restricted_kernelIi19rocblas_complex_numIdELi16ELi32ELi8ELi1ELin1ELb0ELc78ELc85EKPKS1_KPS1_EviT_PT9_S7_lS9_S7_lPT10_S7_li ; -- Begin function _ZL37rocblas_syrkx_herkx_restricted_kernelIi19rocblas_complex_numIdELi16ELi32ELi8ELi1ELin1ELb0ELc78ELc85EKPKS1_KPS1_EviT_PT9_S7_lS9_S7_lPT10_S7_li
	.p2align	8
	.type	_ZL37rocblas_syrkx_herkx_restricted_kernelIi19rocblas_complex_numIdELi16ELi32ELi8ELi1ELin1ELb0ELc78ELc85EKPKS1_KPS1_EviT_PT9_S7_lS9_S7_lPT10_S7_li,@function
_ZL37rocblas_syrkx_herkx_restricted_kernelIi19rocblas_complex_numIdELi16ELi32ELi8ELi1ELin1ELb0ELc78ELc85EKPKS1_KPS1_EviT_PT9_S7_lS9_S7_lPT10_S7_li: ; @_ZL37rocblas_syrkx_herkx_restricted_kernelIi19rocblas_complex_numIdELi16ELi32ELi8ELi1ELin1ELb0ELc78ELc85EKPKS1_KPS1_EviT_PT9_S7_lS9_S7_lPT10_S7_li
; %bb.0:
	s_load_dwordx2 s[10:11], s[4:5], 0x38
	s_load_dwordx2 s[2:3], s[4:5], 0x0
	s_mov_b32 s9, 0
	s_lshl_b64 s[0:1], s[8:9], 3
	s_waitcnt lgkmcnt(0)
	s_add_u32 s10, s10, s0
	s_addc_u32 s11, s11, s1
	s_load_dwordx2 s[10:11], s[10:11], 0x0
	s_lshl_b32 s8, s6, 5
	s_lshl_b32 s12, s7, 5
	s_cmp_lt_i32 s3, 1
	s_cbranch_scc1 .LBB706_3
; %bb.1:
	s_load_dword s6, s[4:5], 0x10
	s_load_dword s14, s[4:5], 0x28
	s_load_dwordx2 s[16:17], s[4:5], 0x20
	s_load_dwordx2 s[18:19], s[4:5], 0x8
	v_lshl_add_u32 v7, v1, 4, v0
	s_waitcnt lgkmcnt(0)
	s_ashr_i32 s7, s6, 31
	s_ashr_i32 s15, s14, 31
	v_lshrrev_b32_e32 v8, 3, v7
	s_add_u32 s18, s18, s0
	s_addc_u32 s19, s19, s1
	s_add_u32 s0, s16, s0
	v_add_u32_e32 v2, s12, v8
	s_addc_u32 s1, s17, s1
	v_and_b32_e32 v6, 7, v0
	v_ashrrev_i32_e32 v3, 31, v2
	s_load_dwordx2 s[16:17], s[0:1], 0x0
	v_mad_i64_i32 v[4:5], s[0:1], s14, v6, v[2:3]
	v_and_b32_e32 v2, 31, v7
	v_lshrrev_b32_e32 v9, 5, v7
	v_lshlrev_b32_e32 v3, 4, v2
	v_lshl_or_b32 v22, v9, 9, v3
	v_lshlrev_b32_e32 v3, 4, v6
	v_lshl_or_b32 v3, v8, 7, v3
	v_add_u32_e32 v2, s8, v2
	v_add_u32_e32 v23, 0x1000, v3
	v_ashrrev_i32_e32 v3, 31, v2
	v_mad_i64_i32 v[2:3], s[0:1], s6, v9, v[2:3]
	s_load_dwordx2 s[18:19], s[18:19], 0x0
	v_mov_b32_e32 v6, 0x1000
	v_lshlrev_b64 v[2:3], 4, v[2:3]
	v_lshl_add_u32 v25, v1, 7, v6
	v_lshlrev_b64 v[4:5], 4, v[4:5]
	s_waitcnt lgkmcnt(0)
	v_mov_b32_e32 v6, s19
	v_add_co_u32_e32 v2, vcc, s18, v2
	v_addc_co_u32_e32 v3, vcc, v6, v3, vcc
	v_mov_b32_e32 v6, s17
	v_add_co_u32_e32 v4, vcc, s16, v4
	s_lshl_b64 s[0:1], s[6:7], 7
	v_addc_co_u32_e32 v5, vcc, v6, v5, vcc
	s_lshl_b64 s[6:7], s[14:15], 7
	v_mov_b32_e32 v10, 0
	v_mov_b32_e32 v12, 0
	;; [unrolled: 1-line block ×8, first 2 shown]
	v_lshlrev_b32_e32 v24, 4, v0
	v_mov_b32_e32 v11, 0
	v_mov_b32_e32 v26, s1
	;; [unrolled: 1-line block ×10, first 2 shown]
.LBB706_2:                              ; =>This Inner Loop Header: Depth=1
	flat_load_dwordx4 v[28:31], v[2:3]
	v_add_co_u32_e32 v2, vcc, s0, v2
	v_addc_co_u32_e32 v3, vcc, v3, v26, vcc
	s_add_i32 s9, s9, 8
	s_cmp_ge_i32 s9, s3
	s_waitcnt vmcnt(0) lgkmcnt(0)
	ds_write_b128 v22, v[28:31]
	flat_load_dwordx4 v[28:31], v[4:5]
	v_add_co_u32_e32 v4, vcc, s6, v4
	v_addc_co_u32_e32 v5, vcc, v5, v27, vcc
	s_waitcnt vmcnt(0) lgkmcnt(0)
	ds_write_b128 v23, v[28:31]
	s_waitcnt lgkmcnt(0)
	s_barrier
	ds_read_b128 v[28:31], v25
	ds_read_b128 v[32:35], v25 offset:16
	ds_read_b128 v[36:39], v25 offset:32
	;; [unrolled: 1-line block ×3, first 2 shown]
	ds_read_b128 v[44:47], v24
	s_waitcnt lgkmcnt(0)
	v_mul_f64 v[48:49], v[30:31], v[46:47]
	v_mul_f64 v[50:51], v[28:29], v[46:47]
	v_fma_f64 v[48:49], v[28:29], v[44:45], -v[48:49]
	v_fma_f64 v[50:51], v[30:31], v[44:45], v[50:51]
	v_add_f64 v[48:49], v[18:19], v[48:49]
	v_add_f64 v[50:51], v[50:51], v[20:21]
	ds_read_b128 v[18:21], v24 offset:256
	s_waitcnt lgkmcnt(0)
	v_mul_f64 v[52:53], v[30:31], v[20:21]
	v_fma_f64 v[52:53], v[28:29], v[18:19], -v[52:53]
	v_mul_f64 v[28:29], v[28:29], v[20:21]
	v_fma_f64 v[28:29], v[30:31], v[18:19], v[28:29]
	v_add_f64 v[30:31], v[8:9], v[52:53]
	v_add_f64 v[28:29], v[28:29], v[6:7]
	ds_read_b128 v[6:9], v25 offset:2048
	s_waitcnt lgkmcnt(0)
	v_mul_f64 v[52:53], v[8:9], v[46:47]
	v_mul_f64 v[46:47], v[6:7], v[46:47]
	v_fma_f64 v[52:53], v[6:7], v[44:45], -v[52:53]
	v_fma_f64 v[44:45], v[8:9], v[44:45], v[46:47]
	v_add_f64 v[46:47], v[16:17], v[52:53]
	v_add_f64 v[44:45], v[44:45], v[14:15]
	v_mul_f64 v[14:15], v[8:9], v[20:21]
	v_fma_f64 v[14:15], v[6:7], v[18:19], -v[14:15]
	v_mul_f64 v[6:7], v[6:7], v[20:21]
	v_fma_f64 v[6:7], v[8:9], v[18:19], v[6:7]
	v_add_f64 v[18:19], v[12:13], v[14:15]
	v_add_f64 v[20:21], v[6:7], v[10:11]
	ds_read_b128 v[6:9], v24 offset:512
	s_waitcnt lgkmcnt(0)
	v_mul_f64 v[10:11], v[34:35], v[8:9]
	v_mul_f64 v[12:13], v[32:33], v[8:9]
	v_fma_f64 v[10:11], v[32:33], v[6:7], -v[10:11]
	v_fma_f64 v[12:13], v[34:35], v[6:7], v[12:13]
	v_add_f64 v[48:49], v[48:49], v[10:11]
	v_add_f64 v[50:51], v[12:13], v[50:51]
	ds_read_b128 v[10:13], v24 offset:768
	s_waitcnt lgkmcnt(0)
	v_mul_f64 v[14:15], v[34:35], v[12:13]
	v_mul_f64 v[16:17], v[32:33], v[12:13]
	v_fma_f64 v[14:15], v[32:33], v[10:11], -v[14:15]
	;; [unrolled: 8-line block ×3, first 2 shown]
	v_fma_f64 v[6:7], v[16:17], v[6:7], v[8:9]
	v_mul_f64 v[8:9], v[14:15], v[12:13]
	v_add_f64 v[32:33], v[46:47], v[32:33]
	v_add_f64 v[34:35], v[6:7], v[44:45]
	v_mul_f64 v[6:7], v[16:17], v[12:13]
	v_fma_f64 v[8:9], v[16:17], v[10:11], v[8:9]
	v_fma_f64 v[6:7], v[14:15], v[10:11], -v[6:7]
	v_add_f64 v[20:21], v[8:9], v[20:21]
	v_add_f64 v[18:19], v[18:19], v[6:7]
	ds_read_b128 v[6:9], v24 offset:1024
	s_waitcnt lgkmcnt(0)
	v_mul_f64 v[10:11], v[38:39], v[8:9]
	v_mul_f64 v[12:13], v[36:37], v[8:9]
	v_fma_f64 v[10:11], v[36:37], v[6:7], -v[10:11]
	v_fma_f64 v[12:13], v[38:39], v[6:7], v[12:13]
	v_add_f64 v[44:45], v[48:49], v[10:11]
	v_add_f64 v[46:47], v[12:13], v[50:51]
	ds_read_b128 v[10:13], v24 offset:1280
	s_waitcnt lgkmcnt(0)
	v_mul_f64 v[14:15], v[38:39], v[12:13]
	v_mul_f64 v[16:17], v[36:37], v[12:13]
	v_fma_f64 v[14:15], v[36:37], v[10:11], -v[14:15]
	v_fma_f64 v[16:17], v[38:39], v[10:11], v[16:17]
	;; [unrolled: 8-line block ×3, first 2 shown]
	v_mul_f64 v[8:9], v[14:15], v[12:13]
	v_add_f64 v[32:33], v[32:33], v[36:37]
	v_add_f64 v[34:35], v[6:7], v[34:35]
	v_mul_f64 v[6:7], v[16:17], v[12:13]
	v_fma_f64 v[8:9], v[16:17], v[10:11], v[8:9]
	v_fma_f64 v[6:7], v[14:15], v[10:11], -v[6:7]
	v_add_f64 v[20:21], v[8:9], v[20:21]
	v_add_f64 v[18:19], v[18:19], v[6:7]
	ds_read_b128 v[6:9], v24 offset:1536
	s_waitcnt lgkmcnt(0)
	v_mul_f64 v[10:11], v[42:43], v[8:9]
	v_mul_f64 v[12:13], v[40:41], v[8:9]
	v_fma_f64 v[10:11], v[40:41], v[6:7], -v[10:11]
	v_fma_f64 v[12:13], v[42:43], v[6:7], v[12:13]
	v_add_f64 v[36:37], v[44:45], v[10:11]
	v_add_f64 v[38:39], v[12:13], v[46:47]
	ds_read_b128 v[10:13], v24 offset:1792
	s_waitcnt lgkmcnt(0)
	v_mul_f64 v[14:15], v[42:43], v[12:13]
	v_mul_f64 v[16:17], v[40:41], v[12:13]
	v_fma_f64 v[14:15], v[40:41], v[10:11], -v[14:15]
	v_fma_f64 v[16:17], v[42:43], v[10:11], v[16:17]
	;; [unrolled: 8-line block ×3, first 2 shown]
	v_mul_f64 v[8:9], v[14:15], v[12:13]
	v_add_f64 v[32:33], v[32:33], v[40:41]
	v_add_f64 v[34:35], v[6:7], v[34:35]
	v_mul_f64 v[6:7], v[16:17], v[12:13]
	v_fma_f64 v[8:9], v[16:17], v[10:11], v[8:9]
	v_fma_f64 v[6:7], v[14:15], v[10:11], -v[6:7]
	v_add_f64 v[20:21], v[8:9], v[20:21]
	v_add_f64 v[18:19], v[18:19], v[6:7]
	ds_read_b128 v[6:9], v25 offset:64
	ds_read_b128 v[10:13], v24 offset:2048
	s_waitcnt lgkmcnt(0)
	v_mul_f64 v[14:15], v[8:9], v[12:13]
	v_mul_f64 v[16:17], v[6:7], v[12:13]
	v_fma_f64 v[14:15], v[6:7], v[10:11], -v[14:15]
	v_fma_f64 v[16:17], v[8:9], v[10:11], v[16:17]
	v_add_f64 v[36:37], v[36:37], v[14:15]
	v_add_f64 v[38:39], v[16:17], v[38:39]
	ds_read_b128 v[14:17], v24 offset:2304
	s_waitcnt lgkmcnt(0)
	v_mul_f64 v[40:41], v[8:9], v[16:17]
	v_fma_f64 v[40:41], v[6:7], v[14:15], -v[40:41]
	v_mul_f64 v[6:7], v[6:7], v[16:17]
	v_add_f64 v[30:31], v[30:31], v[40:41]
	v_fma_f64 v[6:7], v[8:9], v[14:15], v[6:7]
	v_add_f64 v[28:29], v[6:7], v[28:29]
	ds_read_b128 v[6:9], v25 offset:2112
	s_waitcnt lgkmcnt(0)
	v_mul_f64 v[40:41], v[8:9], v[12:13]
	v_mul_f64 v[12:13], v[6:7], v[12:13]
	v_fma_f64 v[40:41], v[6:7], v[10:11], -v[40:41]
	v_fma_f64 v[10:11], v[8:9], v[10:11], v[12:13]
	v_add_f64 v[32:33], v[32:33], v[40:41]
	v_add_f64 v[34:35], v[10:11], v[34:35]
	v_mul_f64 v[10:11], v[8:9], v[16:17]
	v_fma_f64 v[10:11], v[6:7], v[14:15], -v[10:11]
	v_mul_f64 v[6:7], v[6:7], v[16:17]
	v_add_f64 v[18:19], v[18:19], v[10:11]
	v_fma_f64 v[6:7], v[8:9], v[14:15], v[6:7]
	v_add_f64 v[20:21], v[6:7], v[20:21]
	ds_read_b128 v[6:9], v25 offset:80
	ds_read_b128 v[10:13], v24 offset:2560
	s_waitcnt lgkmcnt(0)
	v_mul_f64 v[14:15], v[8:9], v[12:13]
	v_mul_f64 v[16:17], v[6:7], v[12:13]
	v_fma_f64 v[14:15], v[6:7], v[10:11], -v[14:15]
	v_fma_f64 v[16:17], v[8:9], v[10:11], v[16:17]
	v_add_f64 v[36:37], v[36:37], v[14:15]
	v_add_f64 v[38:39], v[16:17], v[38:39]
	ds_read_b128 v[14:17], v24 offset:2816
	s_waitcnt lgkmcnt(0)
	v_mul_f64 v[40:41], v[8:9], v[16:17]
	v_fma_f64 v[40:41], v[6:7], v[14:15], -v[40:41]
	v_mul_f64 v[6:7], v[6:7], v[16:17]
	v_add_f64 v[30:31], v[30:31], v[40:41]
	v_fma_f64 v[6:7], v[8:9], v[14:15], v[6:7]
	v_add_f64 v[28:29], v[6:7], v[28:29]
	ds_read_b128 v[6:9], v25 offset:2128
	s_waitcnt lgkmcnt(0)
	v_mul_f64 v[40:41], v[8:9], v[12:13]
	v_mul_f64 v[12:13], v[6:7], v[12:13]
	v_fma_f64 v[40:41], v[6:7], v[10:11], -v[40:41]
	v_fma_f64 v[10:11], v[8:9], v[10:11], v[12:13]
	v_add_f64 v[32:33], v[32:33], v[40:41]
	v_add_f64 v[34:35], v[10:11], v[34:35]
	v_mul_f64 v[10:11], v[8:9], v[16:17]
	v_fma_f64 v[10:11], v[6:7], v[14:15], -v[10:11]
	v_mul_f64 v[6:7], v[6:7], v[16:17]
	v_add_f64 v[18:19], v[18:19], v[10:11]
	v_fma_f64 v[6:7], v[8:9], v[14:15], v[6:7]
	;; [unrolled: 31-line block ×3, first 2 shown]
	v_add_f64 v[50:51], v[6:7], v[20:21]
	ds_read_b128 v[6:9], v25 offset:112
	ds_read_b128 v[10:13], v24 offset:3584
	;; [unrolled: 1-line block ×4, first 2 shown]
	s_waitcnt lgkmcnt(0)
	s_barrier
	v_mul_f64 v[14:15], v[8:9], v[12:13]
	v_mul_f64 v[16:17], v[6:7], v[12:13]
	v_fma_f64 v[14:15], v[6:7], v[10:11], -v[14:15]
	v_fma_f64 v[16:17], v[8:9], v[10:11], v[16:17]
	v_add_f64 v[18:19], v[36:37], v[14:15]
	v_mul_f64 v[14:15], v[8:9], v[30:31]
	v_add_f64 v[20:21], v[16:17], v[38:39]
	v_fma_f64 v[14:15], v[6:7], v[28:29], -v[14:15]
	v_mul_f64 v[6:7], v[6:7], v[30:31]
	v_fma_f64 v[6:7], v[8:9], v[28:29], v[6:7]
	v_add_f64 v[8:9], v[40:41], v[14:15]
	v_mul_f64 v[14:15], v[34:35], v[12:13]
	v_mul_f64 v[12:13], v[32:33], v[12:13]
	v_add_f64 v[6:7], v[6:7], v[42:43]
	v_fma_f64 v[14:15], v[32:33], v[10:11], -v[14:15]
	v_fma_f64 v[10:11], v[34:35], v[10:11], v[12:13]
	v_mul_f64 v[12:13], v[32:33], v[30:31]
	v_add_f64 v[16:17], v[44:45], v[14:15]
	v_add_f64 v[14:15], v[10:11], v[46:47]
	v_mul_f64 v[10:11], v[34:35], v[30:31]
	v_fma_f64 v[10:11], v[32:33], v[28:29], -v[10:11]
	v_fma_f64 v[28:29], v[34:35], v[28:29], v[12:13]
	v_add_f64 v[12:13], v[48:49], v[10:11]
	v_add_f64 v[10:11], v[28:29], v[50:51]
	s_cbranch_scc0 .LBB706_2
	s_branch .LBB706_4
.LBB706_3:
	v_mov_b32_e32 v18, 0
	v_mov_b32_e32 v20, 0
	;; [unrolled: 1-line block ×16, first 2 shown]
.LBB706_4:
	s_load_dword s3, s[4:5], 0x40
	v_add_u32_e32 v4, s12, v1
	s_waitcnt lgkmcnt(0)
	v_mov_b32_e32 v3, s11
	v_add_u32_e32 v0, s8, v0
	v_cmp_gt_i32_e32 vcc, s2, v4
	v_mad_i64_i32 v[1:2], s[0:1], v4, s3, 0
	v_lshlrev_b64 v[1:2], 4, v[1:2]
	v_add_co_u32_e64 v5, s[0:1], s10, v1
	v_addc_co_u32_e64 v22, s[0:1], v3, v2, s[0:1]
	v_cmp_le_i32_e64 s[0:1], v0, v4
	s_and_b64 s[0:1], vcc, s[0:1]
	s_and_saveexec_b64 s[4:5], s[0:1]
	s_cbranch_execz .LBB706_6
; %bb.5:
	v_ashrrev_i32_e32 v1, 31, v0
	v_lshlrev_b64 v[1:2], 4, v[0:1]
	v_add_co_u32_e64 v1, s[0:1], v5, v1
	v_addc_co_u32_e64 v2, s[0:1], v22, v2, s[0:1]
	flat_load_dwordx4 v[23:26], v[1:2]
	s_waitcnt vmcnt(0) lgkmcnt(0)
	v_add_f64 v[18:19], v[18:19], -v[23:24]
	v_add_f64 v[20:21], v[20:21], -v[25:26]
	flat_store_dwordx4 v[1:2], v[18:21]
.LBB706_6:
	s_or_b64 exec, exec, s[4:5]
	v_add_u32_e32 v2, 16, v0
	v_cmp_le_i32_e64 s[0:1], v2, v4
	s_and_b64 s[4:5], vcc, s[0:1]
	s_and_saveexec_b64 s[0:1], s[4:5]
	s_cbranch_execz .LBB706_8
; %bb.7:
	v_ashrrev_i32_e32 v3, 31, v2
	v_lshlrev_b64 v[18:19], 4, v[2:3]
	v_add_co_u32_e32 v23, vcc, v5, v18
	v_addc_co_u32_e32 v24, vcc, v22, v19, vcc
	flat_load_dwordx4 v[18:21], v[23:24]
	s_waitcnt vmcnt(0) lgkmcnt(0)
	v_add_f64 v[18:19], v[8:9], -v[18:19]
	v_add_f64 v[20:21], v[6:7], -v[20:21]
	flat_store_dwordx4 v[23:24], v[18:21]
.LBB706_8:
	s_or_b64 exec, exec, s[0:1]
	v_add_u32_e32 v3, 16, v4
	v_mad_i64_i32 v[4:5], s[0:1], v3, s3, 0
	v_mov_b32_e32 v1, s11
	v_cmp_gt_i32_e32 vcc, s2, v3
	v_lshlrev_b64 v[4:5], 4, v[4:5]
	v_add_co_u32_e64 v4, s[0:1], s10, v4
	v_addc_co_u32_e64 v5, s[0:1], v1, v5, s[0:1]
	v_cmp_le_i32_e64 s[0:1], v0, v3
	s_and_b64 s[0:1], vcc, s[0:1]
	s_and_saveexec_b64 s[2:3], s[0:1]
	s_cbranch_execz .LBB706_10
; %bb.9:
	v_ashrrev_i32_e32 v1, 31, v0
	v_lshlrev_b64 v[0:1], 4, v[0:1]
	v_add_co_u32_e64 v0, s[0:1], v4, v0
	v_addc_co_u32_e64 v1, s[0:1], v5, v1, s[0:1]
	flat_load_dwordx4 v[6:9], v[0:1]
	s_waitcnt vmcnt(0) lgkmcnt(0)
	v_add_f64 v[6:7], v[16:17], -v[6:7]
	v_add_f64 v[8:9], v[14:15], -v[8:9]
	flat_store_dwordx4 v[0:1], v[6:9]
.LBB706_10:
	s_or_b64 exec, exec, s[2:3]
	v_cmp_le_i32_e64 s[0:1], v2, v3
	s_and_b64 s[0:1], vcc, s[0:1]
	s_and_saveexec_b64 s[2:3], s[0:1]
	s_cbranch_execz .LBB706_12
; %bb.11:
	v_ashrrev_i32_e32 v3, 31, v2
	v_lshlrev_b64 v[0:1], 4, v[2:3]
	v_add_co_u32_e32 v4, vcc, v4, v0
	v_addc_co_u32_e32 v5, vcc, v5, v1, vcc
	flat_load_dwordx4 v[0:3], v[4:5]
	s_waitcnt vmcnt(0) lgkmcnt(0)
	v_add_f64 v[0:1], v[12:13], -v[0:1]
	v_add_f64 v[2:3], v[10:11], -v[2:3]
	flat_store_dwordx4 v[4:5], v[0:3]
.LBB706_12:
	s_endpgm
	.section	.rodata,"a",@progbits
	.p2align	6, 0x0
	.amdhsa_kernel _ZL37rocblas_syrkx_herkx_restricted_kernelIi19rocblas_complex_numIdELi16ELi32ELi8ELi1ELin1ELb0ELc78ELc85EKPKS1_KPS1_EviT_PT9_S7_lS9_S7_lPT10_S7_li
		.amdhsa_group_segment_fixed_size 8192
		.amdhsa_private_segment_fixed_size 0
		.amdhsa_kernarg_size 84
		.amdhsa_user_sgpr_count 6
		.amdhsa_user_sgpr_private_segment_buffer 1
		.amdhsa_user_sgpr_dispatch_ptr 0
		.amdhsa_user_sgpr_queue_ptr 0
		.amdhsa_user_sgpr_kernarg_segment_ptr 1
		.amdhsa_user_sgpr_dispatch_id 0
		.amdhsa_user_sgpr_flat_scratch_init 0
		.amdhsa_user_sgpr_private_segment_size 0
		.amdhsa_uses_dynamic_stack 0
		.amdhsa_system_sgpr_private_segment_wavefront_offset 0
		.amdhsa_system_sgpr_workgroup_id_x 1
		.amdhsa_system_sgpr_workgroup_id_y 1
		.amdhsa_system_sgpr_workgroup_id_z 1
		.amdhsa_system_sgpr_workgroup_info 0
		.amdhsa_system_vgpr_workitem_id 1
		.amdhsa_next_free_vgpr 54
		.amdhsa_next_free_sgpr 61
		.amdhsa_reserve_vcc 1
		.amdhsa_reserve_flat_scratch 0
		.amdhsa_float_round_mode_32 0
		.amdhsa_float_round_mode_16_64 0
		.amdhsa_float_denorm_mode_32 3
		.amdhsa_float_denorm_mode_16_64 3
		.amdhsa_dx10_clamp 1
		.amdhsa_ieee_mode 1
		.amdhsa_fp16_overflow 0
		.amdhsa_exception_fp_ieee_invalid_op 0
		.amdhsa_exception_fp_denorm_src 0
		.amdhsa_exception_fp_ieee_div_zero 0
		.amdhsa_exception_fp_ieee_overflow 0
		.amdhsa_exception_fp_ieee_underflow 0
		.amdhsa_exception_fp_ieee_inexact 0
		.amdhsa_exception_int_div_zero 0
	.end_amdhsa_kernel
	.section	.text._ZL37rocblas_syrkx_herkx_restricted_kernelIi19rocblas_complex_numIdELi16ELi32ELi8ELi1ELin1ELb0ELc78ELc85EKPKS1_KPS1_EviT_PT9_S7_lS9_S7_lPT10_S7_li,"axG",@progbits,_ZL37rocblas_syrkx_herkx_restricted_kernelIi19rocblas_complex_numIdELi16ELi32ELi8ELi1ELin1ELb0ELc78ELc85EKPKS1_KPS1_EviT_PT9_S7_lS9_S7_lPT10_S7_li,comdat
.Lfunc_end706:
	.size	_ZL37rocblas_syrkx_herkx_restricted_kernelIi19rocblas_complex_numIdELi16ELi32ELi8ELi1ELin1ELb0ELc78ELc85EKPKS1_KPS1_EviT_PT9_S7_lS9_S7_lPT10_S7_li, .Lfunc_end706-_ZL37rocblas_syrkx_herkx_restricted_kernelIi19rocblas_complex_numIdELi16ELi32ELi8ELi1ELin1ELb0ELc78ELc85EKPKS1_KPS1_EviT_PT9_S7_lS9_S7_lPT10_S7_li
                                        ; -- End function
	.set _ZL37rocblas_syrkx_herkx_restricted_kernelIi19rocblas_complex_numIdELi16ELi32ELi8ELi1ELin1ELb0ELc78ELc85EKPKS1_KPS1_EviT_PT9_S7_lS9_S7_lPT10_S7_li.num_vgpr, 54
	.set _ZL37rocblas_syrkx_herkx_restricted_kernelIi19rocblas_complex_numIdELi16ELi32ELi8ELi1ELin1ELb0ELc78ELc85EKPKS1_KPS1_EviT_PT9_S7_lS9_S7_lPT10_S7_li.num_agpr, 0
	.set _ZL37rocblas_syrkx_herkx_restricted_kernelIi19rocblas_complex_numIdELi16ELi32ELi8ELi1ELin1ELb0ELc78ELc85EKPKS1_KPS1_EviT_PT9_S7_lS9_S7_lPT10_S7_li.numbered_sgpr, 20
	.set _ZL37rocblas_syrkx_herkx_restricted_kernelIi19rocblas_complex_numIdELi16ELi32ELi8ELi1ELin1ELb0ELc78ELc85EKPKS1_KPS1_EviT_PT9_S7_lS9_S7_lPT10_S7_li.num_named_barrier, 0
	.set _ZL37rocblas_syrkx_herkx_restricted_kernelIi19rocblas_complex_numIdELi16ELi32ELi8ELi1ELin1ELb0ELc78ELc85EKPKS1_KPS1_EviT_PT9_S7_lS9_S7_lPT10_S7_li.private_seg_size, 0
	.set _ZL37rocblas_syrkx_herkx_restricted_kernelIi19rocblas_complex_numIdELi16ELi32ELi8ELi1ELin1ELb0ELc78ELc85EKPKS1_KPS1_EviT_PT9_S7_lS9_S7_lPT10_S7_li.uses_vcc, 1
	.set _ZL37rocblas_syrkx_herkx_restricted_kernelIi19rocblas_complex_numIdELi16ELi32ELi8ELi1ELin1ELb0ELc78ELc85EKPKS1_KPS1_EviT_PT9_S7_lS9_S7_lPT10_S7_li.uses_flat_scratch, 0
	.set _ZL37rocblas_syrkx_herkx_restricted_kernelIi19rocblas_complex_numIdELi16ELi32ELi8ELi1ELin1ELb0ELc78ELc85EKPKS1_KPS1_EviT_PT9_S7_lS9_S7_lPT10_S7_li.has_dyn_sized_stack, 0
	.set _ZL37rocblas_syrkx_herkx_restricted_kernelIi19rocblas_complex_numIdELi16ELi32ELi8ELi1ELin1ELb0ELc78ELc85EKPKS1_KPS1_EviT_PT9_S7_lS9_S7_lPT10_S7_li.has_recursion, 0
	.set _ZL37rocblas_syrkx_herkx_restricted_kernelIi19rocblas_complex_numIdELi16ELi32ELi8ELi1ELin1ELb0ELc78ELc85EKPKS1_KPS1_EviT_PT9_S7_lS9_S7_lPT10_S7_li.has_indirect_call, 0
	.section	.AMDGPU.csdata,"",@progbits
; Kernel info:
; codeLenInByte = 2840
; TotalNumSgprs: 24
; NumVgprs: 54
; ScratchSize: 0
; MemoryBound: 0
; FloatMode: 240
; IeeeMode: 1
; LDSByteSize: 8192 bytes/workgroup (compile time only)
; SGPRBlocks: 8
; VGPRBlocks: 13
; NumSGPRsForWavesPerEU: 65
; NumVGPRsForWavesPerEU: 54
; Occupancy: 4
; WaveLimiterHint : 1
; COMPUTE_PGM_RSRC2:SCRATCH_EN: 0
; COMPUTE_PGM_RSRC2:USER_SGPR: 6
; COMPUTE_PGM_RSRC2:TRAP_HANDLER: 0
; COMPUTE_PGM_RSRC2:TGID_X_EN: 1
; COMPUTE_PGM_RSRC2:TGID_Y_EN: 1
; COMPUTE_PGM_RSRC2:TGID_Z_EN: 1
; COMPUTE_PGM_RSRC2:TIDIG_COMP_CNT: 1
	.section	.text._ZL37rocblas_syrkx_herkx_restricted_kernelIi19rocblas_complex_numIdELi16ELi32ELi8ELi1ELi0ELb0ELc84ELc76EKPKS1_KPS1_EviT_PT9_S7_lS9_S7_lPT10_S7_li,"axG",@progbits,_ZL37rocblas_syrkx_herkx_restricted_kernelIi19rocblas_complex_numIdELi16ELi32ELi8ELi1ELi0ELb0ELc84ELc76EKPKS1_KPS1_EviT_PT9_S7_lS9_S7_lPT10_S7_li,comdat
	.globl	_ZL37rocblas_syrkx_herkx_restricted_kernelIi19rocblas_complex_numIdELi16ELi32ELi8ELi1ELi0ELb0ELc84ELc76EKPKS1_KPS1_EviT_PT9_S7_lS9_S7_lPT10_S7_li ; -- Begin function _ZL37rocblas_syrkx_herkx_restricted_kernelIi19rocblas_complex_numIdELi16ELi32ELi8ELi1ELi0ELb0ELc84ELc76EKPKS1_KPS1_EviT_PT9_S7_lS9_S7_lPT10_S7_li
	.p2align	8
	.type	_ZL37rocblas_syrkx_herkx_restricted_kernelIi19rocblas_complex_numIdELi16ELi32ELi8ELi1ELi0ELb0ELc84ELc76EKPKS1_KPS1_EviT_PT9_S7_lS9_S7_lPT10_S7_li,@function
_ZL37rocblas_syrkx_herkx_restricted_kernelIi19rocblas_complex_numIdELi16ELi32ELi8ELi1ELi0ELb0ELc84ELc76EKPKS1_KPS1_EviT_PT9_S7_lS9_S7_lPT10_S7_li: ; @_ZL37rocblas_syrkx_herkx_restricted_kernelIi19rocblas_complex_numIdELi16ELi32ELi8ELi1ELi0ELb0ELc84ELc76EKPKS1_KPS1_EviT_PT9_S7_lS9_S7_lPT10_S7_li
; %bb.0:
	s_load_dwordx2 s[2:3], s[4:5], 0x38
	s_load_dwordx2 s[12:13], s[4:5], 0x0
	s_mov_b32 s9, 0
	s_lshl_b64 s[0:1], s[8:9], 3
	s_waitcnt lgkmcnt(0)
	s_add_u32 s2, s2, s0
	s_addc_u32 s3, s3, s1
	s_load_dwordx2 s[10:11], s[2:3], 0x0
	s_lshl_b32 s2, s6, 5
	s_lshl_b32 s3, s7, 5
	s_cmp_lt_i32 s13, 1
	s_cbranch_scc1 .LBB707_3
; %bb.1:
	s_load_dwordx2 s[6:7], s[4:5], 0x8
	s_load_dword s8, s[4:5], 0x10
	s_load_dwordx2 s[14:15], s[4:5], 0x20
	s_load_dword s16, s[4:5], 0x28
	v_lshl_add_u32 v6, v1, 4, v0
	s_waitcnt lgkmcnt(0)
	s_add_u32 s6, s6, s0
	s_addc_u32 s7, s7, s1
	v_lshrrev_b32_e32 v8, 3, v6
	s_add_u32 s0, s14, s0
	v_add_u32_e32 v4, s3, v8
	v_and_b32_e32 v2, 7, v0
	v_mov_b32_e32 v3, 0
	s_addc_u32 s1, s15, s1
	v_mad_i64_i32 v[4:5], s[14:15], s16, v4, v[2:3]
	v_and_b32_e32 v9, 31, v6
	v_lshlrev_b32_e32 v2, 4, v2
	v_lshrrev_b32_e32 v6, 5, v6
	v_mov_b32_e32 v7, v3
	v_lshlrev_b32_e32 v3, 4, v9
	v_lshl_or_b32 v8, v8, 7, v2
	v_add_u32_e32 v2, s2, v9
	v_lshl_or_b32 v22, v6, 9, v3
	v_mad_i64_i32 v[2:3], s[14:15], s8, v2, v[6:7]
	s_load_dwordx2 s[6:7], s[6:7], 0x0
	v_add_u32_e32 v23, 0x1000, v8
	s_load_dwordx2 s[0:1], s[0:1], 0x0
	v_lshlrev_b64 v[2:3], 4, v[2:3]
	v_mov_b32_e32 v25, 0x1000
	s_waitcnt lgkmcnt(0)
	v_mov_b32_e32 v6, s7
	v_add_co_u32_e32 v18, vcc, s6, v2
	v_addc_co_u32_e32 v19, vcc, v6, v3, vcc
	v_lshlrev_b64 v[2:3], 4, v[4:5]
	v_mov_b32_e32 v4, s1
	v_add_co_u32_e32 v20, vcc, s0, v2
	v_addc_co_u32_e32 v21, vcc, v4, v3, vcc
	v_mov_b32_e32 v12, 0
	v_mov_b32_e32 v10, 0
	v_mov_b32_e32 v16, 0
	v_mov_b32_e32 v14, 0
	v_mov_b32_e32 v4, 0
	v_mov_b32_e32 v2, 0
	v_mov_b32_e32 v8, 0
	v_mov_b32_e32 v6, 0
	v_lshlrev_b32_e32 v24, 4, v0
	v_mov_b32_e32 v13, 0
	v_mov_b32_e32 v11, 0
	;; [unrolled: 1-line block ×8, first 2 shown]
	v_lshl_add_u32 v25, v1, 7, v25
.LBB707_2:                              ; =>This Inner Loop Header: Depth=1
	flat_load_dwordx4 v[26:29], v[18:19]
	v_add_co_u32_e32 v18, vcc, 0x80, v18
	v_addc_co_u32_e32 v19, vcc, 0, v19, vcc
	s_add_i32 s9, s9, 8
	s_cmp_ge_i32 s9, s13
	s_waitcnt vmcnt(0) lgkmcnt(0)
	ds_write_b128 v22, v[26:29]
	flat_load_dwordx4 v[26:29], v[20:21]
	v_add_co_u32_e32 v20, vcc, 0x80, v20
	v_addc_co_u32_e32 v21, vcc, 0, v21, vcc
	s_waitcnt vmcnt(0) lgkmcnt(0)
	ds_write_b128 v23, v[26:29]
	s_waitcnt lgkmcnt(0)
	s_barrier
	ds_read_b128 v[26:29], v25
	ds_read_b128 v[30:33], v25 offset:16
	ds_read_b128 v[34:37], v25 offset:32
	;; [unrolled: 1-line block ×3, first 2 shown]
	ds_read_b128 v[42:45], v24
	s_waitcnt lgkmcnt(0)
	v_mul_f64 v[46:47], v[28:29], v[44:45]
	v_mul_f64 v[48:49], v[26:27], v[44:45]
	v_fma_f64 v[46:47], v[26:27], v[42:43], -v[46:47]
	v_fma_f64 v[48:49], v[28:29], v[42:43], v[48:49]
	v_add_f64 v[46:47], v[6:7], v[46:47]
	v_add_f64 v[48:49], v[48:49], v[8:9]
	ds_read_b128 v[6:9], v24 offset:256
	s_waitcnt lgkmcnt(0)
	v_mul_f64 v[50:51], v[28:29], v[8:9]
	v_fma_f64 v[50:51], v[26:27], v[6:7], -v[50:51]
	v_mul_f64 v[26:27], v[26:27], v[8:9]
	v_fma_f64 v[26:27], v[28:29], v[6:7], v[26:27]
	v_add_f64 v[28:29], v[2:3], v[50:51]
	v_add_f64 v[26:27], v[26:27], v[4:5]
	ds_read_b128 v[2:5], v25 offset:2048
	s_waitcnt lgkmcnt(0)
	v_mul_f64 v[50:51], v[4:5], v[44:45]
	v_mul_f64 v[44:45], v[2:3], v[44:45]
	v_fma_f64 v[50:51], v[2:3], v[42:43], -v[50:51]
	v_fma_f64 v[42:43], v[4:5], v[42:43], v[44:45]
	v_add_f64 v[14:15], v[14:15], v[50:51]
	v_add_f64 v[16:17], v[42:43], v[16:17]
	v_mul_f64 v[42:43], v[4:5], v[8:9]
	v_fma_f64 v[42:43], v[2:3], v[6:7], -v[42:43]
	v_mul_f64 v[2:3], v[2:3], v[8:9]
	v_add_f64 v[42:43], v[10:11], v[42:43]
	v_fma_f64 v[2:3], v[4:5], v[6:7], v[2:3]
	v_add_f64 v[44:45], v[2:3], v[12:13]
	ds_read_b128 v[2:5], v24 offset:512
	s_waitcnt lgkmcnt(0)
	v_mul_f64 v[6:7], v[32:33], v[4:5]
	v_mul_f64 v[8:9], v[30:31], v[4:5]
	v_fma_f64 v[6:7], v[30:31], v[2:3], -v[6:7]
	v_fma_f64 v[8:9], v[32:33], v[2:3], v[8:9]
	v_add_f64 v[46:47], v[46:47], v[6:7]
	v_add_f64 v[48:49], v[8:9], v[48:49]
	ds_read_b128 v[6:9], v24 offset:768
	s_waitcnt lgkmcnt(0)
	v_mul_f64 v[10:11], v[32:33], v[8:9]
	v_mul_f64 v[12:13], v[30:31], v[8:9]
	v_fma_f64 v[10:11], v[30:31], v[6:7], -v[10:11]
	v_fma_f64 v[12:13], v[32:33], v[6:7], v[12:13]
	v_add_f64 v[28:29], v[28:29], v[10:11]
	v_add_f64 v[26:27], v[12:13], v[26:27]
	ds_read_b128 v[10:13], v25 offset:2064
	s_waitcnt lgkmcnt(0)
	v_mul_f64 v[30:31], v[12:13], v[4:5]
	v_mul_f64 v[4:5], v[10:11], v[4:5]
	v_fma_f64 v[30:31], v[10:11], v[2:3], -v[30:31]
	v_fma_f64 v[2:3], v[12:13], v[2:3], v[4:5]
	v_mul_f64 v[4:5], v[10:11], v[8:9]
	v_add_f64 v[14:15], v[14:15], v[30:31]
	v_add_f64 v[16:17], v[2:3], v[16:17]
	v_mul_f64 v[2:3], v[12:13], v[8:9]
	v_fma_f64 v[4:5], v[12:13], v[6:7], v[4:5]
	v_fma_f64 v[2:3], v[10:11], v[6:7], -v[2:3]
	v_add_f64 v[32:33], v[4:5], v[44:45]
	v_add_f64 v[30:31], v[42:43], v[2:3]
	ds_read_b128 v[2:5], v24 offset:1024
	s_waitcnt lgkmcnt(0)
	v_mul_f64 v[6:7], v[36:37], v[4:5]
	v_mul_f64 v[8:9], v[34:35], v[4:5]
	v_fma_f64 v[6:7], v[34:35], v[2:3], -v[6:7]
	v_fma_f64 v[8:9], v[36:37], v[2:3], v[8:9]
	v_add_f64 v[42:43], v[46:47], v[6:7]
	v_add_f64 v[44:45], v[8:9], v[48:49]
	ds_read_b128 v[6:9], v24 offset:1280
	s_waitcnt lgkmcnt(0)
	v_mul_f64 v[10:11], v[36:37], v[8:9]
	v_mul_f64 v[12:13], v[34:35], v[8:9]
	v_fma_f64 v[10:11], v[34:35], v[6:7], -v[10:11]
	v_fma_f64 v[12:13], v[36:37], v[6:7], v[12:13]
	v_add_f64 v[28:29], v[28:29], v[10:11]
	v_add_f64 v[26:27], v[12:13], v[26:27]
	ds_read_b128 v[10:13], v25 offset:2080
	s_waitcnt lgkmcnt(0)
	v_mul_f64 v[34:35], v[12:13], v[4:5]
	v_mul_f64 v[4:5], v[10:11], v[4:5]
	v_fma_f64 v[34:35], v[10:11], v[2:3], -v[34:35]
	v_fma_f64 v[2:3], v[12:13], v[2:3], v[4:5]
	v_mul_f64 v[4:5], v[10:11], v[8:9]
	v_add_f64 v[14:15], v[14:15], v[34:35]
	v_add_f64 v[16:17], v[2:3], v[16:17]
	v_mul_f64 v[2:3], v[12:13], v[8:9]
	v_fma_f64 v[4:5], v[12:13], v[6:7], v[4:5]
	v_fma_f64 v[2:3], v[10:11], v[6:7], -v[2:3]
	v_add_f64 v[32:33], v[4:5], v[32:33]
	;; [unrolled: 30-line block ×3, first 2 shown]
	v_add_f64 v[30:31], v[30:31], v[2:3]
	ds_read_b128 v[2:5], v25 offset:64
	ds_read_b128 v[6:9], v24 offset:2048
	s_waitcnt lgkmcnt(0)
	v_mul_f64 v[10:11], v[4:5], v[8:9]
	v_mul_f64 v[12:13], v[2:3], v[8:9]
	v_fma_f64 v[10:11], v[2:3], v[6:7], -v[10:11]
	v_fma_f64 v[12:13], v[4:5], v[6:7], v[12:13]
	v_add_f64 v[34:35], v[34:35], v[10:11]
	v_add_f64 v[36:37], v[12:13], v[36:37]
	ds_read_b128 v[10:13], v24 offset:2304
	s_waitcnt lgkmcnt(0)
	v_mul_f64 v[38:39], v[4:5], v[12:13]
	v_fma_f64 v[38:39], v[2:3], v[10:11], -v[38:39]
	v_mul_f64 v[2:3], v[2:3], v[12:13]
	v_add_f64 v[28:29], v[28:29], v[38:39]
	v_fma_f64 v[2:3], v[4:5], v[10:11], v[2:3]
	v_add_f64 v[26:27], v[2:3], v[26:27]
	ds_read_b128 v[2:5], v25 offset:2112
	s_waitcnt lgkmcnt(0)
	v_mul_f64 v[38:39], v[4:5], v[8:9]
	v_mul_f64 v[8:9], v[2:3], v[8:9]
	v_fma_f64 v[38:39], v[2:3], v[6:7], -v[38:39]
	v_fma_f64 v[6:7], v[4:5], v[6:7], v[8:9]
	v_add_f64 v[14:15], v[14:15], v[38:39]
	v_add_f64 v[16:17], v[6:7], v[16:17]
	v_mul_f64 v[6:7], v[4:5], v[12:13]
	v_fma_f64 v[6:7], v[2:3], v[10:11], -v[6:7]
	v_mul_f64 v[2:3], v[2:3], v[12:13]
	v_add_f64 v[30:31], v[30:31], v[6:7]
	v_fma_f64 v[2:3], v[4:5], v[10:11], v[2:3]
	v_add_f64 v[32:33], v[2:3], v[32:33]
	ds_read_b128 v[2:5], v25 offset:80
	ds_read_b128 v[6:9], v24 offset:2560
	s_waitcnt lgkmcnt(0)
	v_mul_f64 v[10:11], v[4:5], v[8:9]
	v_mul_f64 v[12:13], v[2:3], v[8:9]
	v_fma_f64 v[10:11], v[2:3], v[6:7], -v[10:11]
	v_fma_f64 v[12:13], v[4:5], v[6:7], v[12:13]
	v_add_f64 v[34:35], v[34:35], v[10:11]
	v_add_f64 v[36:37], v[12:13], v[36:37]
	ds_read_b128 v[10:13], v24 offset:2816
	s_waitcnt lgkmcnt(0)
	v_mul_f64 v[38:39], v[4:5], v[12:13]
	v_fma_f64 v[38:39], v[2:3], v[10:11], -v[38:39]
	v_mul_f64 v[2:3], v[2:3], v[12:13]
	v_add_f64 v[28:29], v[28:29], v[38:39]
	v_fma_f64 v[2:3], v[4:5], v[10:11], v[2:3]
	v_add_f64 v[26:27], v[2:3], v[26:27]
	ds_read_b128 v[2:5], v25 offset:2128
	s_waitcnt lgkmcnt(0)
	v_mul_f64 v[38:39], v[4:5], v[8:9]
	v_mul_f64 v[8:9], v[2:3], v[8:9]
	v_fma_f64 v[38:39], v[2:3], v[6:7], -v[38:39]
	v_fma_f64 v[6:7], v[4:5], v[6:7], v[8:9]
	v_add_f64 v[14:15], v[14:15], v[38:39]
	v_add_f64 v[16:17], v[6:7], v[16:17]
	v_mul_f64 v[6:7], v[4:5], v[12:13]
	v_fma_f64 v[6:7], v[2:3], v[10:11], -v[6:7]
	v_mul_f64 v[2:3], v[2:3], v[12:13]
	v_add_f64 v[30:31], v[30:31], v[6:7]
	v_fma_f64 v[2:3], v[4:5], v[10:11], v[2:3]
	;; [unrolled: 31-line block ×3, first 2 shown]
	v_add_f64 v[44:45], v[2:3], v[32:33]
	ds_read_b128 v[2:5], v25 offset:112
	ds_read_b128 v[10:13], v24 offset:3584
	;; [unrolled: 1-line block ×3, first 2 shown]
	s_waitcnt lgkmcnt(1)
	v_mul_f64 v[6:7], v[4:5], v[12:13]
	s_waitcnt lgkmcnt(0)
	v_mul_f64 v[30:31], v[4:5], v[28:29]
	v_mul_f64 v[8:9], v[2:3], v[12:13]
	v_fma_f64 v[6:7], v[2:3], v[10:11], -v[6:7]
	v_fma_f64 v[30:31], v[2:3], v[26:27], -v[30:31]
	v_mul_f64 v[2:3], v[2:3], v[28:29]
	v_fma_f64 v[8:9], v[4:5], v[10:11], v[8:9]
	v_add_f64 v[6:7], v[34:35], v[6:7]
	v_fma_f64 v[4:5], v[4:5], v[26:27], v[2:3]
	v_add_f64 v[2:3], v[38:39], v[30:31]
	ds_read_b128 v[30:33], v25 offset:2160
	v_add_f64 v[8:9], v[8:9], v[36:37]
	s_waitcnt lgkmcnt(0)
	s_barrier
	v_mul_f64 v[34:35], v[32:33], v[12:13]
	v_mul_f64 v[12:13], v[30:31], v[12:13]
	v_add_f64 v[4:5], v[4:5], v[40:41]
	v_fma_f64 v[34:35], v[30:31], v[10:11], -v[34:35]
	v_fma_f64 v[10:11], v[32:33], v[10:11], v[12:13]
	v_mul_f64 v[12:13], v[30:31], v[28:29]
	v_add_f64 v[14:15], v[14:15], v[34:35]
	v_add_f64 v[16:17], v[10:11], v[16:17]
	v_mul_f64 v[10:11], v[32:33], v[28:29]
	v_fma_f64 v[12:13], v[32:33], v[26:27], v[12:13]
	v_fma_f64 v[10:11], v[30:31], v[26:27], -v[10:11]
	v_add_f64 v[12:13], v[12:13], v[44:45]
	v_add_f64 v[10:11], v[42:43], v[10:11]
	s_cbranch_scc0 .LBB707_2
	s_branch .LBB707_4
.LBB707_3:
	v_mov_b32_e32 v6, 0
	v_mov_b32_e32 v8, 0
	;; [unrolled: 1-line block ×16, first 2 shown]
.LBB707_4:
	s_load_dword s6, s[4:5], 0x40
	v_add_u32_e32 v18, s3, v1
	s_waitcnt lgkmcnt(0)
	v_mov_b32_e32 v1, s11
	v_add_u32_e32 v0, s2, v0
	v_mad_i64_i32 v[19:20], s[0:1], v18, s6, 0
	v_cmp_le_i32_e64 s[0:1], v18, v0
	v_lshlrev_b64 v[19:20], 4, v[19:20]
	v_add_co_u32_e32 v19, vcc, s10, v19
	v_addc_co_u32_e32 v20, vcc, v1, v20, vcc
	v_cmp_gt_i32_e32 vcc, s12, v0
	s_and_b64 s[0:1], s[0:1], vcc
	s_and_saveexec_b64 s[2:3], s[0:1]
	s_cbranch_execz .LBB707_6
; %bb.5:
	v_ashrrev_i32_e32 v1, 31, v0
	v_lshlrev_b64 v[21:22], 4, v[0:1]
	v_add_co_u32_e64 v21, s[0:1], v19, v21
	v_addc_co_u32_e64 v22, s[0:1], v20, v22, s[0:1]
	flat_store_dwordx4 v[21:22], v[6:9]
.LBB707_6:
	s_or_b64 exec, exec, s[2:3]
	v_add_u32_e32 v6, 16, v0
	v_cmp_le_i32_e64 s[2:3], v18, v6
	v_cmp_gt_i32_e64 s[0:1], s12, v6
	s_and_b64 s[2:3], s[2:3], s[0:1]
	s_and_saveexec_b64 s[4:5], s[2:3]
	s_cbranch_execz .LBB707_8
; %bb.7:
	v_ashrrev_i32_e32 v7, 31, v6
	v_lshlrev_b64 v[7:8], 4, v[6:7]
	v_add_co_u32_e64 v7, s[2:3], v19, v7
	v_addc_co_u32_e64 v8, s[2:3], v20, v8, s[2:3]
	flat_store_dwordx4 v[7:8], v[2:5]
.LBB707_8:
	s_or_b64 exec, exec, s[4:5]
	v_add_u32_e32 v4, 16, v18
	v_mad_i64_i32 v[1:2], s[2:3], v4, s6, 0
	v_mov_b32_e32 v5, s11
	v_lshlrev_b64 v[2:3], 4, v[1:2]
	v_add_co_u32_e64 v2, s[2:3], s10, v2
	v_addc_co_u32_e64 v3, s[2:3], v5, v3, s[2:3]
	v_cmp_le_i32_e64 s[2:3], v4, v0
	s_and_b64 s[4:5], s[2:3], vcc
	s_and_saveexec_b64 s[2:3], s[4:5]
	s_cbranch_execz .LBB707_10
; %bb.9:
	v_ashrrev_i32_e32 v1, 31, v0
	v_lshlrev_b64 v[0:1], 4, v[0:1]
	v_add_co_u32_e32 v0, vcc, v2, v0
	v_addc_co_u32_e32 v1, vcc, v3, v1, vcc
	flat_store_dwordx4 v[0:1], v[14:17]
.LBB707_10:
	s_or_b64 exec, exec, s[2:3]
	v_cmp_le_i32_e32 vcc, v4, v6
	s_and_b64 s[0:1], vcc, s[0:1]
	s_and_saveexec_b64 s[2:3], s[0:1]
	s_cbranch_execz .LBB707_12
; %bb.11:
	v_ashrrev_i32_e32 v7, 31, v6
	v_lshlrev_b64 v[0:1], 4, v[6:7]
	v_add_co_u32_e32 v0, vcc, v2, v0
	v_addc_co_u32_e32 v1, vcc, v3, v1, vcc
	flat_store_dwordx4 v[0:1], v[10:13]
.LBB707_12:
	s_endpgm
	.section	.rodata,"a",@progbits
	.p2align	6, 0x0
	.amdhsa_kernel _ZL37rocblas_syrkx_herkx_restricted_kernelIi19rocblas_complex_numIdELi16ELi32ELi8ELi1ELi0ELb0ELc84ELc76EKPKS1_KPS1_EviT_PT9_S7_lS9_S7_lPT10_S7_li
		.amdhsa_group_segment_fixed_size 8192
		.amdhsa_private_segment_fixed_size 0
		.amdhsa_kernarg_size 84
		.amdhsa_user_sgpr_count 6
		.amdhsa_user_sgpr_private_segment_buffer 1
		.amdhsa_user_sgpr_dispatch_ptr 0
		.amdhsa_user_sgpr_queue_ptr 0
		.amdhsa_user_sgpr_kernarg_segment_ptr 1
		.amdhsa_user_sgpr_dispatch_id 0
		.amdhsa_user_sgpr_flat_scratch_init 0
		.amdhsa_user_sgpr_private_segment_size 0
		.amdhsa_uses_dynamic_stack 0
		.amdhsa_system_sgpr_private_segment_wavefront_offset 0
		.amdhsa_system_sgpr_workgroup_id_x 1
		.amdhsa_system_sgpr_workgroup_id_y 1
		.amdhsa_system_sgpr_workgroup_id_z 1
		.amdhsa_system_sgpr_workgroup_info 0
		.amdhsa_system_vgpr_workitem_id 1
		.amdhsa_next_free_vgpr 52
		.amdhsa_next_free_sgpr 61
		.amdhsa_reserve_vcc 1
		.amdhsa_reserve_flat_scratch 0
		.amdhsa_float_round_mode_32 0
		.amdhsa_float_round_mode_16_64 0
		.amdhsa_float_denorm_mode_32 3
		.amdhsa_float_denorm_mode_16_64 3
		.amdhsa_dx10_clamp 1
		.amdhsa_ieee_mode 1
		.amdhsa_fp16_overflow 0
		.amdhsa_exception_fp_ieee_invalid_op 0
		.amdhsa_exception_fp_denorm_src 0
		.amdhsa_exception_fp_ieee_div_zero 0
		.amdhsa_exception_fp_ieee_overflow 0
		.amdhsa_exception_fp_ieee_underflow 0
		.amdhsa_exception_fp_ieee_inexact 0
		.amdhsa_exception_int_div_zero 0
	.end_amdhsa_kernel
	.section	.text._ZL37rocblas_syrkx_herkx_restricted_kernelIi19rocblas_complex_numIdELi16ELi32ELi8ELi1ELi0ELb0ELc84ELc76EKPKS1_KPS1_EviT_PT9_S7_lS9_S7_lPT10_S7_li,"axG",@progbits,_ZL37rocblas_syrkx_herkx_restricted_kernelIi19rocblas_complex_numIdELi16ELi32ELi8ELi1ELi0ELb0ELc84ELc76EKPKS1_KPS1_EviT_PT9_S7_lS9_S7_lPT10_S7_li,comdat
.Lfunc_end707:
	.size	_ZL37rocblas_syrkx_herkx_restricted_kernelIi19rocblas_complex_numIdELi16ELi32ELi8ELi1ELi0ELb0ELc84ELc76EKPKS1_KPS1_EviT_PT9_S7_lS9_S7_lPT10_S7_li, .Lfunc_end707-_ZL37rocblas_syrkx_herkx_restricted_kernelIi19rocblas_complex_numIdELi16ELi32ELi8ELi1ELi0ELb0ELc84ELc76EKPKS1_KPS1_EviT_PT9_S7_lS9_S7_lPT10_S7_li
                                        ; -- End function
	.set _ZL37rocblas_syrkx_herkx_restricted_kernelIi19rocblas_complex_numIdELi16ELi32ELi8ELi1ELi0ELb0ELc84ELc76EKPKS1_KPS1_EviT_PT9_S7_lS9_S7_lPT10_S7_li.num_vgpr, 52
	.set _ZL37rocblas_syrkx_herkx_restricted_kernelIi19rocblas_complex_numIdELi16ELi32ELi8ELi1ELi0ELb0ELc84ELc76EKPKS1_KPS1_EviT_PT9_S7_lS9_S7_lPT10_S7_li.num_agpr, 0
	.set _ZL37rocblas_syrkx_herkx_restricted_kernelIi19rocblas_complex_numIdELi16ELi32ELi8ELi1ELi0ELb0ELc84ELc76EKPKS1_KPS1_EviT_PT9_S7_lS9_S7_lPT10_S7_li.numbered_sgpr, 17
	.set _ZL37rocblas_syrkx_herkx_restricted_kernelIi19rocblas_complex_numIdELi16ELi32ELi8ELi1ELi0ELb0ELc84ELc76EKPKS1_KPS1_EviT_PT9_S7_lS9_S7_lPT10_S7_li.num_named_barrier, 0
	.set _ZL37rocblas_syrkx_herkx_restricted_kernelIi19rocblas_complex_numIdELi16ELi32ELi8ELi1ELi0ELb0ELc84ELc76EKPKS1_KPS1_EviT_PT9_S7_lS9_S7_lPT10_S7_li.private_seg_size, 0
	.set _ZL37rocblas_syrkx_herkx_restricted_kernelIi19rocblas_complex_numIdELi16ELi32ELi8ELi1ELi0ELb0ELc84ELc76EKPKS1_KPS1_EviT_PT9_S7_lS9_S7_lPT10_S7_li.uses_vcc, 1
	.set _ZL37rocblas_syrkx_herkx_restricted_kernelIi19rocblas_complex_numIdELi16ELi32ELi8ELi1ELi0ELb0ELc84ELc76EKPKS1_KPS1_EviT_PT9_S7_lS9_S7_lPT10_S7_li.uses_flat_scratch, 0
	.set _ZL37rocblas_syrkx_herkx_restricted_kernelIi19rocblas_complex_numIdELi16ELi32ELi8ELi1ELi0ELb0ELc84ELc76EKPKS1_KPS1_EviT_PT9_S7_lS9_S7_lPT10_S7_li.has_dyn_sized_stack, 0
	.set _ZL37rocblas_syrkx_herkx_restricted_kernelIi19rocblas_complex_numIdELi16ELi32ELi8ELi1ELi0ELb0ELc84ELc76EKPKS1_KPS1_EviT_PT9_S7_lS9_S7_lPT10_S7_li.has_recursion, 0
	.set _ZL37rocblas_syrkx_herkx_restricted_kernelIi19rocblas_complex_numIdELi16ELi32ELi8ELi1ELi0ELb0ELc84ELc76EKPKS1_KPS1_EviT_PT9_S7_lS9_S7_lPT10_S7_li.has_indirect_call, 0
	.section	.AMDGPU.csdata,"",@progbits
; Kernel info:
; codeLenInByte = 2712
; TotalNumSgprs: 21
; NumVgprs: 52
; ScratchSize: 0
; MemoryBound: 0
; FloatMode: 240
; IeeeMode: 1
; LDSByteSize: 8192 bytes/workgroup (compile time only)
; SGPRBlocks: 8
; VGPRBlocks: 12
; NumSGPRsForWavesPerEU: 65
; NumVGPRsForWavesPerEU: 52
; Occupancy: 4
; WaveLimiterHint : 1
; COMPUTE_PGM_RSRC2:SCRATCH_EN: 0
; COMPUTE_PGM_RSRC2:USER_SGPR: 6
; COMPUTE_PGM_RSRC2:TRAP_HANDLER: 0
; COMPUTE_PGM_RSRC2:TGID_X_EN: 1
; COMPUTE_PGM_RSRC2:TGID_Y_EN: 1
; COMPUTE_PGM_RSRC2:TGID_Z_EN: 1
; COMPUTE_PGM_RSRC2:TIDIG_COMP_CNT: 1
	.section	.text._ZL37rocblas_syrkx_herkx_restricted_kernelIi19rocblas_complex_numIdELi16ELi32ELi8ELi1ELi0ELb0ELc67ELc76EKPKS1_KPS1_EviT_PT9_S7_lS9_S7_lPT10_S7_li,"axG",@progbits,_ZL37rocblas_syrkx_herkx_restricted_kernelIi19rocblas_complex_numIdELi16ELi32ELi8ELi1ELi0ELb0ELc67ELc76EKPKS1_KPS1_EviT_PT9_S7_lS9_S7_lPT10_S7_li,comdat
	.globl	_ZL37rocblas_syrkx_herkx_restricted_kernelIi19rocblas_complex_numIdELi16ELi32ELi8ELi1ELi0ELb0ELc67ELc76EKPKS1_KPS1_EviT_PT9_S7_lS9_S7_lPT10_S7_li ; -- Begin function _ZL37rocblas_syrkx_herkx_restricted_kernelIi19rocblas_complex_numIdELi16ELi32ELi8ELi1ELi0ELb0ELc67ELc76EKPKS1_KPS1_EviT_PT9_S7_lS9_S7_lPT10_S7_li
	.p2align	8
	.type	_ZL37rocblas_syrkx_herkx_restricted_kernelIi19rocblas_complex_numIdELi16ELi32ELi8ELi1ELi0ELb0ELc67ELc76EKPKS1_KPS1_EviT_PT9_S7_lS9_S7_lPT10_S7_li,@function
_ZL37rocblas_syrkx_herkx_restricted_kernelIi19rocblas_complex_numIdELi16ELi32ELi8ELi1ELi0ELb0ELc67ELc76EKPKS1_KPS1_EviT_PT9_S7_lS9_S7_lPT10_S7_li: ; @_ZL37rocblas_syrkx_herkx_restricted_kernelIi19rocblas_complex_numIdELi16ELi32ELi8ELi1ELi0ELb0ELc67ELc76EKPKS1_KPS1_EviT_PT9_S7_lS9_S7_lPT10_S7_li
; %bb.0:
	s_load_dwordx2 s[2:3], s[4:5], 0x38
	s_load_dwordx2 s[12:13], s[4:5], 0x0
	s_mov_b32 s9, 0
	s_lshl_b64 s[0:1], s[8:9], 3
	s_waitcnt lgkmcnt(0)
	s_add_u32 s2, s2, s0
	s_addc_u32 s3, s3, s1
	s_load_dwordx2 s[10:11], s[2:3], 0x0
	s_lshl_b32 s2, s6, 5
	s_lshl_b32 s3, s7, 5
	s_cmp_lt_i32 s13, 1
	s_cbranch_scc1 .LBB708_3
; %bb.1:
	s_load_dwordx2 s[6:7], s[4:5], 0x8
	s_load_dword s8, s[4:5], 0x10
	s_load_dwordx2 s[14:15], s[4:5], 0x20
	s_load_dword s16, s[4:5], 0x28
	v_lshl_add_u32 v6, v1, 4, v0
	s_waitcnt lgkmcnt(0)
	s_add_u32 s6, s6, s0
	s_addc_u32 s7, s7, s1
	v_lshrrev_b32_e32 v8, 3, v6
	s_add_u32 s0, s14, s0
	v_add_u32_e32 v4, s3, v8
	v_and_b32_e32 v2, 7, v0
	v_mov_b32_e32 v3, 0
	s_addc_u32 s1, s15, s1
	v_mad_i64_i32 v[4:5], s[14:15], s16, v4, v[2:3]
	v_and_b32_e32 v9, 31, v6
	v_lshlrev_b32_e32 v2, 4, v2
	v_lshrrev_b32_e32 v6, 5, v6
	v_mov_b32_e32 v7, v3
	v_lshlrev_b32_e32 v3, 4, v9
	v_lshl_or_b32 v8, v8, 7, v2
	v_add_u32_e32 v2, s2, v9
	v_lshl_or_b32 v22, v6, 9, v3
	v_mad_i64_i32 v[2:3], s[14:15], s8, v2, v[6:7]
	s_load_dwordx2 s[6:7], s[6:7], 0x0
	v_add_u32_e32 v23, 0x1000, v8
	s_load_dwordx2 s[0:1], s[0:1], 0x0
	v_lshlrev_b64 v[2:3], 4, v[2:3]
	v_mov_b32_e32 v25, 0x1000
	s_waitcnt lgkmcnt(0)
	v_mov_b32_e32 v6, s7
	v_add_co_u32_e32 v18, vcc, s6, v2
	v_addc_co_u32_e32 v19, vcc, v6, v3, vcc
	v_lshlrev_b64 v[2:3], 4, v[4:5]
	v_mov_b32_e32 v4, s1
	v_add_co_u32_e32 v20, vcc, s0, v2
	v_addc_co_u32_e32 v21, vcc, v4, v3, vcc
	v_mov_b32_e32 v12, 0
	v_mov_b32_e32 v10, 0
	;; [unrolled: 1-line block ×8, first 2 shown]
	v_lshlrev_b32_e32 v24, 4, v0
	v_mov_b32_e32 v13, 0
	v_mov_b32_e32 v11, 0
	;; [unrolled: 1-line block ×8, first 2 shown]
	v_lshl_add_u32 v25, v1, 7, v25
.LBB708_2:                              ; =>This Inner Loop Header: Depth=1
	flat_load_dwordx4 v[26:29], v[18:19]
	v_add_co_u32_e32 v18, vcc, 0x80, v18
	v_addc_co_u32_e32 v19, vcc, 0, v19, vcc
	s_add_i32 s9, s9, 8
	s_cmp_ge_i32 s9, s13
	s_waitcnt vmcnt(0) lgkmcnt(0)
	ds_write_b128 v22, v[26:29]
	flat_load_dwordx4 v[26:29], v[20:21]
	v_add_co_u32_e32 v20, vcc, 0x80, v20
	v_addc_co_u32_e32 v21, vcc, 0, v21, vcc
	s_waitcnt vmcnt(0) lgkmcnt(0)
	ds_write_b128 v23, v[26:29]
	s_waitcnt lgkmcnt(0)
	s_barrier
	ds_read_b128 v[26:29], v25
	ds_read_b128 v[30:33], v25 offset:16
	ds_read_b128 v[34:37], v25 offset:32
	;; [unrolled: 1-line block ×3, first 2 shown]
	ds_read_b128 v[42:45], v24
	s_waitcnt lgkmcnt(0)
	v_mul_f64 v[46:47], v[28:29], v[44:45]
	v_mul_f64 v[48:49], v[26:27], v[44:45]
	v_fma_f64 v[46:47], v[26:27], v[42:43], -v[46:47]
	v_fma_f64 v[48:49], v[28:29], v[42:43], v[48:49]
	v_add_f64 v[46:47], v[6:7], v[46:47]
	v_add_f64 v[48:49], v[48:49], v[8:9]
	ds_read_b128 v[6:9], v24 offset:256
	s_waitcnt lgkmcnt(0)
	v_mul_f64 v[50:51], v[28:29], v[8:9]
	v_fma_f64 v[50:51], v[26:27], v[6:7], -v[50:51]
	v_mul_f64 v[26:27], v[26:27], v[8:9]
	v_fma_f64 v[26:27], v[28:29], v[6:7], v[26:27]
	v_add_f64 v[28:29], v[2:3], v[50:51]
	v_add_f64 v[26:27], v[26:27], v[4:5]
	ds_read_b128 v[2:5], v25 offset:2048
	s_waitcnt lgkmcnt(0)
	v_mul_f64 v[50:51], v[4:5], v[44:45]
	v_mul_f64 v[44:45], v[2:3], v[44:45]
	v_fma_f64 v[50:51], v[2:3], v[42:43], -v[50:51]
	v_fma_f64 v[42:43], v[4:5], v[42:43], v[44:45]
	v_add_f64 v[14:15], v[14:15], v[50:51]
	v_add_f64 v[16:17], v[42:43], v[16:17]
	v_mul_f64 v[42:43], v[4:5], v[8:9]
	v_fma_f64 v[42:43], v[2:3], v[6:7], -v[42:43]
	v_mul_f64 v[2:3], v[2:3], v[8:9]
	v_add_f64 v[42:43], v[10:11], v[42:43]
	v_fma_f64 v[2:3], v[4:5], v[6:7], v[2:3]
	v_add_f64 v[44:45], v[2:3], v[12:13]
	ds_read_b128 v[2:5], v24 offset:512
	s_waitcnt lgkmcnt(0)
	v_mul_f64 v[6:7], v[32:33], v[4:5]
	v_mul_f64 v[8:9], v[30:31], v[4:5]
	v_fma_f64 v[6:7], v[30:31], v[2:3], -v[6:7]
	v_fma_f64 v[8:9], v[32:33], v[2:3], v[8:9]
	v_add_f64 v[46:47], v[46:47], v[6:7]
	v_add_f64 v[48:49], v[8:9], v[48:49]
	ds_read_b128 v[6:9], v24 offset:768
	s_waitcnt lgkmcnt(0)
	v_mul_f64 v[10:11], v[32:33], v[8:9]
	v_mul_f64 v[12:13], v[30:31], v[8:9]
	v_fma_f64 v[10:11], v[30:31], v[6:7], -v[10:11]
	v_fma_f64 v[12:13], v[32:33], v[6:7], v[12:13]
	v_add_f64 v[28:29], v[28:29], v[10:11]
	v_add_f64 v[26:27], v[12:13], v[26:27]
	ds_read_b128 v[10:13], v25 offset:2064
	s_waitcnt lgkmcnt(0)
	v_mul_f64 v[30:31], v[12:13], v[4:5]
	v_mul_f64 v[4:5], v[10:11], v[4:5]
	v_fma_f64 v[30:31], v[10:11], v[2:3], -v[30:31]
	v_fma_f64 v[2:3], v[12:13], v[2:3], v[4:5]
	v_mul_f64 v[4:5], v[10:11], v[8:9]
	v_add_f64 v[14:15], v[14:15], v[30:31]
	v_add_f64 v[16:17], v[2:3], v[16:17]
	v_mul_f64 v[2:3], v[12:13], v[8:9]
	v_fma_f64 v[4:5], v[12:13], v[6:7], v[4:5]
	v_fma_f64 v[2:3], v[10:11], v[6:7], -v[2:3]
	v_add_f64 v[32:33], v[4:5], v[44:45]
	v_add_f64 v[30:31], v[42:43], v[2:3]
	ds_read_b128 v[2:5], v24 offset:1024
	s_waitcnt lgkmcnt(0)
	v_mul_f64 v[6:7], v[36:37], v[4:5]
	v_mul_f64 v[8:9], v[34:35], v[4:5]
	v_fma_f64 v[6:7], v[34:35], v[2:3], -v[6:7]
	v_fma_f64 v[8:9], v[36:37], v[2:3], v[8:9]
	v_add_f64 v[42:43], v[46:47], v[6:7]
	v_add_f64 v[44:45], v[8:9], v[48:49]
	ds_read_b128 v[6:9], v24 offset:1280
	s_waitcnt lgkmcnt(0)
	v_mul_f64 v[10:11], v[36:37], v[8:9]
	v_mul_f64 v[12:13], v[34:35], v[8:9]
	v_fma_f64 v[10:11], v[34:35], v[6:7], -v[10:11]
	v_fma_f64 v[12:13], v[36:37], v[6:7], v[12:13]
	v_add_f64 v[28:29], v[28:29], v[10:11]
	v_add_f64 v[26:27], v[12:13], v[26:27]
	ds_read_b128 v[10:13], v25 offset:2080
	s_waitcnt lgkmcnt(0)
	v_mul_f64 v[34:35], v[12:13], v[4:5]
	v_mul_f64 v[4:5], v[10:11], v[4:5]
	v_fma_f64 v[34:35], v[10:11], v[2:3], -v[34:35]
	v_fma_f64 v[2:3], v[12:13], v[2:3], v[4:5]
	v_mul_f64 v[4:5], v[10:11], v[8:9]
	v_add_f64 v[14:15], v[14:15], v[34:35]
	v_add_f64 v[16:17], v[2:3], v[16:17]
	v_mul_f64 v[2:3], v[12:13], v[8:9]
	v_fma_f64 v[4:5], v[12:13], v[6:7], v[4:5]
	v_fma_f64 v[2:3], v[10:11], v[6:7], -v[2:3]
	v_add_f64 v[32:33], v[4:5], v[32:33]
	;; [unrolled: 30-line block ×3, first 2 shown]
	v_add_f64 v[30:31], v[30:31], v[2:3]
	ds_read_b128 v[2:5], v25 offset:64
	ds_read_b128 v[6:9], v24 offset:2048
	s_waitcnt lgkmcnt(0)
	v_mul_f64 v[10:11], v[4:5], v[8:9]
	v_mul_f64 v[12:13], v[2:3], v[8:9]
	v_fma_f64 v[10:11], v[2:3], v[6:7], -v[10:11]
	v_fma_f64 v[12:13], v[4:5], v[6:7], v[12:13]
	v_add_f64 v[34:35], v[34:35], v[10:11]
	v_add_f64 v[36:37], v[12:13], v[36:37]
	ds_read_b128 v[10:13], v24 offset:2304
	s_waitcnt lgkmcnt(0)
	v_mul_f64 v[38:39], v[4:5], v[12:13]
	v_fma_f64 v[38:39], v[2:3], v[10:11], -v[38:39]
	v_mul_f64 v[2:3], v[2:3], v[12:13]
	v_add_f64 v[28:29], v[28:29], v[38:39]
	v_fma_f64 v[2:3], v[4:5], v[10:11], v[2:3]
	v_add_f64 v[26:27], v[2:3], v[26:27]
	ds_read_b128 v[2:5], v25 offset:2112
	s_waitcnt lgkmcnt(0)
	v_mul_f64 v[38:39], v[4:5], v[8:9]
	v_mul_f64 v[8:9], v[2:3], v[8:9]
	v_fma_f64 v[38:39], v[2:3], v[6:7], -v[38:39]
	v_fma_f64 v[6:7], v[4:5], v[6:7], v[8:9]
	v_add_f64 v[14:15], v[14:15], v[38:39]
	v_add_f64 v[16:17], v[6:7], v[16:17]
	v_mul_f64 v[6:7], v[4:5], v[12:13]
	v_fma_f64 v[6:7], v[2:3], v[10:11], -v[6:7]
	v_mul_f64 v[2:3], v[2:3], v[12:13]
	v_add_f64 v[30:31], v[30:31], v[6:7]
	v_fma_f64 v[2:3], v[4:5], v[10:11], v[2:3]
	v_add_f64 v[32:33], v[2:3], v[32:33]
	ds_read_b128 v[2:5], v25 offset:80
	ds_read_b128 v[6:9], v24 offset:2560
	s_waitcnt lgkmcnt(0)
	v_mul_f64 v[10:11], v[4:5], v[8:9]
	v_mul_f64 v[12:13], v[2:3], v[8:9]
	v_fma_f64 v[10:11], v[2:3], v[6:7], -v[10:11]
	v_fma_f64 v[12:13], v[4:5], v[6:7], v[12:13]
	v_add_f64 v[34:35], v[34:35], v[10:11]
	v_add_f64 v[36:37], v[12:13], v[36:37]
	ds_read_b128 v[10:13], v24 offset:2816
	s_waitcnt lgkmcnt(0)
	v_mul_f64 v[38:39], v[4:5], v[12:13]
	v_fma_f64 v[38:39], v[2:3], v[10:11], -v[38:39]
	v_mul_f64 v[2:3], v[2:3], v[12:13]
	v_add_f64 v[28:29], v[28:29], v[38:39]
	v_fma_f64 v[2:3], v[4:5], v[10:11], v[2:3]
	v_add_f64 v[26:27], v[2:3], v[26:27]
	ds_read_b128 v[2:5], v25 offset:2128
	s_waitcnt lgkmcnt(0)
	v_mul_f64 v[38:39], v[4:5], v[8:9]
	v_mul_f64 v[8:9], v[2:3], v[8:9]
	v_fma_f64 v[38:39], v[2:3], v[6:7], -v[38:39]
	v_fma_f64 v[6:7], v[4:5], v[6:7], v[8:9]
	v_add_f64 v[14:15], v[14:15], v[38:39]
	v_add_f64 v[16:17], v[6:7], v[16:17]
	v_mul_f64 v[6:7], v[4:5], v[12:13]
	v_fma_f64 v[6:7], v[2:3], v[10:11], -v[6:7]
	v_mul_f64 v[2:3], v[2:3], v[12:13]
	v_add_f64 v[30:31], v[30:31], v[6:7]
	v_fma_f64 v[2:3], v[4:5], v[10:11], v[2:3]
	;; [unrolled: 31-line block ×3, first 2 shown]
	v_add_f64 v[44:45], v[2:3], v[32:33]
	ds_read_b128 v[2:5], v25 offset:112
	ds_read_b128 v[10:13], v24 offset:3584
	;; [unrolled: 1-line block ×3, first 2 shown]
	s_waitcnt lgkmcnt(1)
	v_mul_f64 v[6:7], v[4:5], v[12:13]
	s_waitcnt lgkmcnt(0)
	v_mul_f64 v[30:31], v[4:5], v[28:29]
	v_mul_f64 v[8:9], v[2:3], v[12:13]
	v_fma_f64 v[6:7], v[2:3], v[10:11], -v[6:7]
	v_fma_f64 v[30:31], v[2:3], v[26:27], -v[30:31]
	v_mul_f64 v[2:3], v[2:3], v[28:29]
	v_fma_f64 v[8:9], v[4:5], v[10:11], v[8:9]
	v_add_f64 v[6:7], v[34:35], v[6:7]
	v_fma_f64 v[4:5], v[4:5], v[26:27], v[2:3]
	v_add_f64 v[2:3], v[38:39], v[30:31]
	ds_read_b128 v[30:33], v25 offset:2160
	v_add_f64 v[8:9], v[8:9], v[36:37]
	s_waitcnt lgkmcnt(0)
	s_barrier
	v_mul_f64 v[34:35], v[32:33], v[12:13]
	v_mul_f64 v[12:13], v[30:31], v[12:13]
	v_add_f64 v[4:5], v[4:5], v[40:41]
	v_fma_f64 v[34:35], v[30:31], v[10:11], -v[34:35]
	v_fma_f64 v[10:11], v[32:33], v[10:11], v[12:13]
	v_mul_f64 v[12:13], v[30:31], v[28:29]
	v_add_f64 v[14:15], v[14:15], v[34:35]
	v_add_f64 v[16:17], v[10:11], v[16:17]
	v_mul_f64 v[10:11], v[32:33], v[28:29]
	v_fma_f64 v[12:13], v[32:33], v[26:27], v[12:13]
	v_fma_f64 v[10:11], v[30:31], v[26:27], -v[10:11]
	v_add_f64 v[12:13], v[12:13], v[44:45]
	v_add_f64 v[10:11], v[42:43], v[10:11]
	s_cbranch_scc0 .LBB708_2
	s_branch .LBB708_4
.LBB708_3:
	v_mov_b32_e32 v6, 0
	v_mov_b32_e32 v8, 0
	;; [unrolled: 1-line block ×16, first 2 shown]
.LBB708_4:
	s_load_dword s6, s[4:5], 0x40
	v_add_u32_e32 v18, s3, v1
	s_waitcnt lgkmcnt(0)
	v_mov_b32_e32 v1, s11
	v_add_u32_e32 v0, s2, v0
	v_mad_i64_i32 v[19:20], s[0:1], v18, s6, 0
	v_cmp_le_i32_e64 s[0:1], v18, v0
	v_lshlrev_b64 v[19:20], 4, v[19:20]
	v_add_co_u32_e32 v19, vcc, s10, v19
	v_addc_co_u32_e32 v20, vcc, v1, v20, vcc
	v_cmp_gt_i32_e32 vcc, s12, v0
	s_and_b64 s[0:1], s[0:1], vcc
	s_and_saveexec_b64 s[2:3], s[0:1]
	s_cbranch_execz .LBB708_6
; %bb.5:
	v_ashrrev_i32_e32 v1, 31, v0
	v_lshlrev_b64 v[21:22], 4, v[0:1]
	v_add_co_u32_e64 v21, s[0:1], v19, v21
	v_addc_co_u32_e64 v22, s[0:1], v20, v22, s[0:1]
	flat_store_dwordx4 v[21:22], v[6:9]
.LBB708_6:
	s_or_b64 exec, exec, s[2:3]
	v_add_u32_e32 v6, 16, v0
	v_cmp_le_i32_e64 s[2:3], v18, v6
	v_cmp_gt_i32_e64 s[0:1], s12, v6
	s_and_b64 s[2:3], s[2:3], s[0:1]
	s_and_saveexec_b64 s[4:5], s[2:3]
	s_cbranch_execz .LBB708_8
; %bb.7:
	v_ashrrev_i32_e32 v7, 31, v6
	v_lshlrev_b64 v[7:8], 4, v[6:7]
	v_add_co_u32_e64 v7, s[2:3], v19, v7
	v_addc_co_u32_e64 v8, s[2:3], v20, v8, s[2:3]
	flat_store_dwordx4 v[7:8], v[2:5]
.LBB708_8:
	s_or_b64 exec, exec, s[4:5]
	v_add_u32_e32 v4, 16, v18
	v_mad_i64_i32 v[1:2], s[2:3], v4, s6, 0
	v_mov_b32_e32 v5, s11
	v_lshlrev_b64 v[2:3], 4, v[1:2]
	v_add_co_u32_e64 v2, s[2:3], s10, v2
	v_addc_co_u32_e64 v3, s[2:3], v5, v3, s[2:3]
	v_cmp_le_i32_e64 s[2:3], v4, v0
	s_and_b64 s[4:5], s[2:3], vcc
	s_and_saveexec_b64 s[2:3], s[4:5]
	s_cbranch_execz .LBB708_10
; %bb.9:
	v_ashrrev_i32_e32 v1, 31, v0
	v_lshlrev_b64 v[0:1], 4, v[0:1]
	v_add_co_u32_e32 v0, vcc, v2, v0
	v_addc_co_u32_e32 v1, vcc, v3, v1, vcc
	flat_store_dwordx4 v[0:1], v[14:17]
.LBB708_10:
	s_or_b64 exec, exec, s[2:3]
	v_cmp_le_i32_e32 vcc, v4, v6
	s_and_b64 s[0:1], vcc, s[0:1]
	s_and_saveexec_b64 s[2:3], s[0:1]
	s_cbranch_execz .LBB708_12
; %bb.11:
	v_ashrrev_i32_e32 v7, 31, v6
	v_lshlrev_b64 v[0:1], 4, v[6:7]
	v_add_co_u32_e32 v0, vcc, v2, v0
	v_addc_co_u32_e32 v1, vcc, v3, v1, vcc
	flat_store_dwordx4 v[0:1], v[10:13]
.LBB708_12:
	s_endpgm
	.section	.rodata,"a",@progbits
	.p2align	6, 0x0
	.amdhsa_kernel _ZL37rocblas_syrkx_herkx_restricted_kernelIi19rocblas_complex_numIdELi16ELi32ELi8ELi1ELi0ELb0ELc67ELc76EKPKS1_KPS1_EviT_PT9_S7_lS9_S7_lPT10_S7_li
		.amdhsa_group_segment_fixed_size 8192
		.amdhsa_private_segment_fixed_size 0
		.amdhsa_kernarg_size 84
		.amdhsa_user_sgpr_count 6
		.amdhsa_user_sgpr_private_segment_buffer 1
		.amdhsa_user_sgpr_dispatch_ptr 0
		.amdhsa_user_sgpr_queue_ptr 0
		.amdhsa_user_sgpr_kernarg_segment_ptr 1
		.amdhsa_user_sgpr_dispatch_id 0
		.amdhsa_user_sgpr_flat_scratch_init 0
		.amdhsa_user_sgpr_private_segment_size 0
		.amdhsa_uses_dynamic_stack 0
		.amdhsa_system_sgpr_private_segment_wavefront_offset 0
		.amdhsa_system_sgpr_workgroup_id_x 1
		.amdhsa_system_sgpr_workgroup_id_y 1
		.amdhsa_system_sgpr_workgroup_id_z 1
		.amdhsa_system_sgpr_workgroup_info 0
		.amdhsa_system_vgpr_workitem_id 1
		.amdhsa_next_free_vgpr 52
		.amdhsa_next_free_sgpr 61
		.amdhsa_reserve_vcc 1
		.amdhsa_reserve_flat_scratch 0
		.amdhsa_float_round_mode_32 0
		.amdhsa_float_round_mode_16_64 0
		.amdhsa_float_denorm_mode_32 3
		.amdhsa_float_denorm_mode_16_64 3
		.amdhsa_dx10_clamp 1
		.amdhsa_ieee_mode 1
		.amdhsa_fp16_overflow 0
		.amdhsa_exception_fp_ieee_invalid_op 0
		.amdhsa_exception_fp_denorm_src 0
		.amdhsa_exception_fp_ieee_div_zero 0
		.amdhsa_exception_fp_ieee_overflow 0
		.amdhsa_exception_fp_ieee_underflow 0
		.amdhsa_exception_fp_ieee_inexact 0
		.amdhsa_exception_int_div_zero 0
	.end_amdhsa_kernel
	.section	.text._ZL37rocblas_syrkx_herkx_restricted_kernelIi19rocblas_complex_numIdELi16ELi32ELi8ELi1ELi0ELb0ELc67ELc76EKPKS1_KPS1_EviT_PT9_S7_lS9_S7_lPT10_S7_li,"axG",@progbits,_ZL37rocblas_syrkx_herkx_restricted_kernelIi19rocblas_complex_numIdELi16ELi32ELi8ELi1ELi0ELb0ELc67ELc76EKPKS1_KPS1_EviT_PT9_S7_lS9_S7_lPT10_S7_li,comdat
.Lfunc_end708:
	.size	_ZL37rocblas_syrkx_herkx_restricted_kernelIi19rocblas_complex_numIdELi16ELi32ELi8ELi1ELi0ELb0ELc67ELc76EKPKS1_KPS1_EviT_PT9_S7_lS9_S7_lPT10_S7_li, .Lfunc_end708-_ZL37rocblas_syrkx_herkx_restricted_kernelIi19rocblas_complex_numIdELi16ELi32ELi8ELi1ELi0ELb0ELc67ELc76EKPKS1_KPS1_EviT_PT9_S7_lS9_S7_lPT10_S7_li
                                        ; -- End function
	.set _ZL37rocblas_syrkx_herkx_restricted_kernelIi19rocblas_complex_numIdELi16ELi32ELi8ELi1ELi0ELb0ELc67ELc76EKPKS1_KPS1_EviT_PT9_S7_lS9_S7_lPT10_S7_li.num_vgpr, 52
	.set _ZL37rocblas_syrkx_herkx_restricted_kernelIi19rocblas_complex_numIdELi16ELi32ELi8ELi1ELi0ELb0ELc67ELc76EKPKS1_KPS1_EviT_PT9_S7_lS9_S7_lPT10_S7_li.num_agpr, 0
	.set _ZL37rocblas_syrkx_herkx_restricted_kernelIi19rocblas_complex_numIdELi16ELi32ELi8ELi1ELi0ELb0ELc67ELc76EKPKS1_KPS1_EviT_PT9_S7_lS9_S7_lPT10_S7_li.numbered_sgpr, 17
	.set _ZL37rocblas_syrkx_herkx_restricted_kernelIi19rocblas_complex_numIdELi16ELi32ELi8ELi1ELi0ELb0ELc67ELc76EKPKS1_KPS1_EviT_PT9_S7_lS9_S7_lPT10_S7_li.num_named_barrier, 0
	.set _ZL37rocblas_syrkx_herkx_restricted_kernelIi19rocblas_complex_numIdELi16ELi32ELi8ELi1ELi0ELb0ELc67ELc76EKPKS1_KPS1_EviT_PT9_S7_lS9_S7_lPT10_S7_li.private_seg_size, 0
	.set _ZL37rocblas_syrkx_herkx_restricted_kernelIi19rocblas_complex_numIdELi16ELi32ELi8ELi1ELi0ELb0ELc67ELc76EKPKS1_KPS1_EviT_PT9_S7_lS9_S7_lPT10_S7_li.uses_vcc, 1
	.set _ZL37rocblas_syrkx_herkx_restricted_kernelIi19rocblas_complex_numIdELi16ELi32ELi8ELi1ELi0ELb0ELc67ELc76EKPKS1_KPS1_EviT_PT9_S7_lS9_S7_lPT10_S7_li.uses_flat_scratch, 0
	.set _ZL37rocblas_syrkx_herkx_restricted_kernelIi19rocblas_complex_numIdELi16ELi32ELi8ELi1ELi0ELb0ELc67ELc76EKPKS1_KPS1_EviT_PT9_S7_lS9_S7_lPT10_S7_li.has_dyn_sized_stack, 0
	.set _ZL37rocblas_syrkx_herkx_restricted_kernelIi19rocblas_complex_numIdELi16ELi32ELi8ELi1ELi0ELb0ELc67ELc76EKPKS1_KPS1_EviT_PT9_S7_lS9_S7_lPT10_S7_li.has_recursion, 0
	.set _ZL37rocblas_syrkx_herkx_restricted_kernelIi19rocblas_complex_numIdELi16ELi32ELi8ELi1ELi0ELb0ELc67ELc76EKPKS1_KPS1_EviT_PT9_S7_lS9_S7_lPT10_S7_li.has_indirect_call, 0
	.section	.AMDGPU.csdata,"",@progbits
; Kernel info:
; codeLenInByte = 2712
; TotalNumSgprs: 21
; NumVgprs: 52
; ScratchSize: 0
; MemoryBound: 0
; FloatMode: 240
; IeeeMode: 1
; LDSByteSize: 8192 bytes/workgroup (compile time only)
; SGPRBlocks: 8
; VGPRBlocks: 12
; NumSGPRsForWavesPerEU: 65
; NumVGPRsForWavesPerEU: 52
; Occupancy: 4
; WaveLimiterHint : 1
; COMPUTE_PGM_RSRC2:SCRATCH_EN: 0
; COMPUTE_PGM_RSRC2:USER_SGPR: 6
; COMPUTE_PGM_RSRC2:TRAP_HANDLER: 0
; COMPUTE_PGM_RSRC2:TGID_X_EN: 1
; COMPUTE_PGM_RSRC2:TGID_Y_EN: 1
; COMPUTE_PGM_RSRC2:TGID_Z_EN: 1
; COMPUTE_PGM_RSRC2:TIDIG_COMP_CNT: 1
	.section	.text._ZL37rocblas_syrkx_herkx_restricted_kernelIi19rocblas_complex_numIdELi16ELi32ELi8ELi1ELi0ELb0ELc78ELc76EKPKS1_KPS1_EviT_PT9_S7_lS9_S7_lPT10_S7_li,"axG",@progbits,_ZL37rocblas_syrkx_herkx_restricted_kernelIi19rocblas_complex_numIdELi16ELi32ELi8ELi1ELi0ELb0ELc78ELc76EKPKS1_KPS1_EviT_PT9_S7_lS9_S7_lPT10_S7_li,comdat
	.globl	_ZL37rocblas_syrkx_herkx_restricted_kernelIi19rocblas_complex_numIdELi16ELi32ELi8ELi1ELi0ELb0ELc78ELc76EKPKS1_KPS1_EviT_PT9_S7_lS9_S7_lPT10_S7_li ; -- Begin function _ZL37rocblas_syrkx_herkx_restricted_kernelIi19rocblas_complex_numIdELi16ELi32ELi8ELi1ELi0ELb0ELc78ELc76EKPKS1_KPS1_EviT_PT9_S7_lS9_S7_lPT10_S7_li
	.p2align	8
	.type	_ZL37rocblas_syrkx_herkx_restricted_kernelIi19rocblas_complex_numIdELi16ELi32ELi8ELi1ELi0ELb0ELc78ELc76EKPKS1_KPS1_EviT_PT9_S7_lS9_S7_lPT10_S7_li,@function
_ZL37rocblas_syrkx_herkx_restricted_kernelIi19rocblas_complex_numIdELi16ELi32ELi8ELi1ELi0ELb0ELc78ELc76EKPKS1_KPS1_EviT_PT9_S7_lS9_S7_lPT10_S7_li: ; @_ZL37rocblas_syrkx_herkx_restricted_kernelIi19rocblas_complex_numIdELi16ELi32ELi8ELi1ELi0ELb0ELc78ELc76EKPKS1_KPS1_EviT_PT9_S7_lS9_S7_lPT10_S7_li
; %bb.0:
	s_load_dwordx2 s[2:3], s[4:5], 0x38
	s_load_dwordx2 s[12:13], s[4:5], 0x0
	s_mov_b32 s9, 0
	s_lshl_b64 s[0:1], s[8:9], 3
	s_waitcnt lgkmcnt(0)
	s_add_u32 s2, s2, s0
	s_addc_u32 s3, s3, s1
	s_load_dwordx2 s[10:11], s[2:3], 0x0
	s_lshl_b32 s6, s6, 5
	s_lshl_b32 s7, s7, 5
	s_cmp_lt_i32 s13, 1
	s_cbranch_scc1 .LBB709_3
; %bb.1:
	s_load_dword s2, s[4:5], 0x10
	s_load_dword s14, s[4:5], 0x28
	s_load_dwordx2 s[16:17], s[4:5], 0x20
	s_load_dwordx2 s[18:19], s[4:5], 0x8
	v_lshl_add_u32 v5, v1, 4, v0
	s_waitcnt lgkmcnt(0)
	s_ashr_i32 s3, s2, 31
	s_ashr_i32 s15, s14, 31
	v_lshrrev_b32_e32 v6, 3, v5
	s_add_u32 s18, s18, s0
	s_addc_u32 s19, s19, s1
	s_add_u32 s0, s16, s0
	v_add_u32_e32 v2, s7, v6
	s_addc_u32 s1, s17, s1
	v_and_b32_e32 v4, 7, v0
	v_ashrrev_i32_e32 v3, 31, v2
	s_load_dwordx2 s[16:17], s[0:1], 0x0
	v_mad_i64_i32 v[2:3], s[0:1], s14, v4, v[2:3]
	v_lshlrev_b32_e32 v4, 4, v4
	v_lshrrev_b32_e32 v7, 5, v5
	v_and_b32_e32 v5, 31, v5
	v_lshl_or_b32 v4, v6, 7, v4
	v_add_u32_e32 v23, 0x1000, v4
	v_add_u32_e32 v4, s6, v5
	v_lshlrev_b32_e32 v8, 4, v5
	v_ashrrev_i32_e32 v5, 31, v4
	v_mad_i64_i32 v[4:5], s[0:1], s2, v7, v[4:5]
	s_load_dwordx2 s[18:19], s[18:19], 0x0
	v_mov_b32_e32 v6, 0x1000
	v_lshlrev_b64 v[4:5], 4, v[4:5]
	v_lshl_add_u32 v25, v1, 7, v6
	v_lshlrev_b64 v[2:3], 4, v[2:3]
	s_waitcnt lgkmcnt(0)
	v_mov_b32_e32 v6, s19
	v_add_co_u32_e32 v18, vcc, s18, v4
	v_addc_co_u32_e32 v19, vcc, v6, v5, vcc
	v_mov_b32_e32 v4, s17
	v_add_co_u32_e32 v20, vcc, s16, v2
	v_lshl_or_b32 v22, v7, 9, v8
	s_lshl_b64 s[0:1], s[2:3], 7
	v_addc_co_u32_e32 v21, vcc, v4, v3, vcc
	s_lshl_b64 s[2:3], s[14:15], 7
	v_mov_b32_e32 v8, 0
	v_mov_b32_e32 v6, 0
	;; [unrolled: 1-line block ×8, first 2 shown]
	v_lshlrev_b32_e32 v24, 4, v0
	v_mov_b32_e32 v9, 0
	v_mov_b32_e32 v26, s1
	;; [unrolled: 1-line block ×10, first 2 shown]
.LBB709_2:                              ; =>This Inner Loop Header: Depth=1
	flat_load_dwordx4 v[28:31], v[18:19]
	v_add_co_u32_e32 v18, vcc, s0, v18
	v_addc_co_u32_e32 v19, vcc, v19, v26, vcc
	s_add_i32 s9, s9, 8
	s_cmp_ge_i32 s9, s13
	s_waitcnt vmcnt(0) lgkmcnt(0)
	ds_write_b128 v22, v[28:31]
	flat_load_dwordx4 v[28:31], v[20:21]
	v_add_co_u32_e32 v20, vcc, s2, v20
	v_addc_co_u32_e32 v21, vcc, v21, v27, vcc
	s_waitcnt vmcnt(0) lgkmcnt(0)
	ds_write_b128 v23, v[28:31]
	s_waitcnt lgkmcnt(0)
	s_barrier
	ds_read_b128 v[28:31], v25
	ds_read_b128 v[32:35], v25 offset:16
	ds_read_b128 v[36:39], v25 offset:32
	;; [unrolled: 1-line block ×3, first 2 shown]
	ds_read_b128 v[44:47], v24
	s_waitcnt lgkmcnt(0)
	v_mul_f64 v[48:49], v[30:31], v[46:47]
	v_mul_f64 v[50:51], v[28:29], v[46:47]
	v_fma_f64 v[48:49], v[28:29], v[44:45], -v[48:49]
	v_fma_f64 v[50:51], v[30:31], v[44:45], v[50:51]
	v_add_f64 v[48:49], v[10:11], v[48:49]
	v_add_f64 v[50:51], v[50:51], v[12:13]
	ds_read_b128 v[10:13], v24 offset:256
	s_waitcnt lgkmcnt(0)
	v_mul_f64 v[52:53], v[30:31], v[12:13]
	v_fma_f64 v[52:53], v[28:29], v[10:11], -v[52:53]
	v_mul_f64 v[28:29], v[28:29], v[12:13]
	v_fma_f64 v[28:29], v[30:31], v[10:11], v[28:29]
	v_add_f64 v[30:31], v[2:3], v[52:53]
	v_add_f64 v[28:29], v[28:29], v[4:5]
	ds_read_b128 v[2:5], v25 offset:2048
	s_waitcnt lgkmcnt(0)
	v_mul_f64 v[52:53], v[4:5], v[46:47]
	v_mul_f64 v[46:47], v[2:3], v[46:47]
	v_fma_f64 v[52:53], v[2:3], v[44:45], -v[52:53]
	v_fma_f64 v[44:45], v[4:5], v[44:45], v[46:47]
	v_add_f64 v[14:15], v[14:15], v[52:53]
	v_add_f64 v[16:17], v[44:45], v[16:17]
	v_mul_f64 v[44:45], v[4:5], v[12:13]
	v_fma_f64 v[44:45], v[2:3], v[10:11], -v[44:45]
	v_mul_f64 v[2:3], v[2:3], v[12:13]
	v_add_f64 v[44:45], v[6:7], v[44:45]
	v_fma_f64 v[2:3], v[4:5], v[10:11], v[2:3]
	v_add_f64 v[46:47], v[2:3], v[8:9]
	ds_read_b128 v[2:5], v24 offset:512
	s_waitcnt lgkmcnt(0)
	v_mul_f64 v[6:7], v[34:35], v[4:5]
	v_mul_f64 v[8:9], v[32:33], v[4:5]
	v_fma_f64 v[6:7], v[32:33], v[2:3], -v[6:7]
	v_fma_f64 v[8:9], v[34:35], v[2:3], v[8:9]
	v_add_f64 v[48:49], v[48:49], v[6:7]
	v_add_f64 v[50:51], v[8:9], v[50:51]
	ds_read_b128 v[6:9], v24 offset:768
	s_waitcnt lgkmcnt(0)
	v_mul_f64 v[10:11], v[34:35], v[8:9]
	v_mul_f64 v[12:13], v[32:33], v[8:9]
	v_fma_f64 v[10:11], v[32:33], v[6:7], -v[10:11]
	v_fma_f64 v[12:13], v[34:35], v[6:7], v[12:13]
	v_add_f64 v[30:31], v[30:31], v[10:11]
	v_add_f64 v[28:29], v[12:13], v[28:29]
	ds_read_b128 v[10:13], v25 offset:2064
	s_waitcnt lgkmcnt(0)
	v_mul_f64 v[32:33], v[12:13], v[4:5]
	v_mul_f64 v[4:5], v[10:11], v[4:5]
	v_fma_f64 v[32:33], v[10:11], v[2:3], -v[32:33]
	v_fma_f64 v[2:3], v[12:13], v[2:3], v[4:5]
	v_mul_f64 v[4:5], v[10:11], v[8:9]
	v_add_f64 v[14:15], v[14:15], v[32:33]
	v_add_f64 v[16:17], v[2:3], v[16:17]
	v_mul_f64 v[2:3], v[12:13], v[8:9]
	v_fma_f64 v[4:5], v[12:13], v[6:7], v[4:5]
	v_fma_f64 v[2:3], v[10:11], v[6:7], -v[2:3]
	v_add_f64 v[34:35], v[4:5], v[46:47]
	v_add_f64 v[32:33], v[44:45], v[2:3]
	ds_read_b128 v[2:5], v24 offset:1024
	s_waitcnt lgkmcnt(0)
	v_mul_f64 v[6:7], v[38:39], v[4:5]
	v_mul_f64 v[8:9], v[36:37], v[4:5]
	v_fma_f64 v[6:7], v[36:37], v[2:3], -v[6:7]
	v_fma_f64 v[8:9], v[38:39], v[2:3], v[8:9]
	v_add_f64 v[44:45], v[48:49], v[6:7]
	v_add_f64 v[46:47], v[8:9], v[50:51]
	ds_read_b128 v[6:9], v24 offset:1280
	s_waitcnt lgkmcnt(0)
	v_mul_f64 v[10:11], v[38:39], v[8:9]
	v_mul_f64 v[12:13], v[36:37], v[8:9]
	v_fma_f64 v[10:11], v[36:37], v[6:7], -v[10:11]
	v_fma_f64 v[12:13], v[38:39], v[6:7], v[12:13]
	v_add_f64 v[30:31], v[30:31], v[10:11]
	v_add_f64 v[28:29], v[12:13], v[28:29]
	ds_read_b128 v[10:13], v25 offset:2080
	s_waitcnt lgkmcnt(0)
	v_mul_f64 v[36:37], v[12:13], v[4:5]
	v_mul_f64 v[4:5], v[10:11], v[4:5]
	v_fma_f64 v[36:37], v[10:11], v[2:3], -v[36:37]
	v_fma_f64 v[2:3], v[12:13], v[2:3], v[4:5]
	v_mul_f64 v[4:5], v[10:11], v[8:9]
	v_add_f64 v[14:15], v[14:15], v[36:37]
	v_add_f64 v[16:17], v[2:3], v[16:17]
	v_mul_f64 v[2:3], v[12:13], v[8:9]
	v_fma_f64 v[4:5], v[12:13], v[6:7], v[4:5]
	v_fma_f64 v[2:3], v[10:11], v[6:7], -v[2:3]
	v_add_f64 v[34:35], v[4:5], v[34:35]
	;; [unrolled: 30-line block ×3, first 2 shown]
	v_add_f64 v[32:33], v[32:33], v[2:3]
	ds_read_b128 v[2:5], v25 offset:64
	ds_read_b128 v[6:9], v24 offset:2048
	s_waitcnt lgkmcnt(0)
	v_mul_f64 v[10:11], v[4:5], v[8:9]
	v_mul_f64 v[12:13], v[2:3], v[8:9]
	v_fma_f64 v[10:11], v[2:3], v[6:7], -v[10:11]
	v_fma_f64 v[12:13], v[4:5], v[6:7], v[12:13]
	v_add_f64 v[36:37], v[36:37], v[10:11]
	v_add_f64 v[38:39], v[12:13], v[38:39]
	ds_read_b128 v[10:13], v24 offset:2304
	s_waitcnt lgkmcnt(0)
	v_mul_f64 v[40:41], v[4:5], v[12:13]
	v_fma_f64 v[40:41], v[2:3], v[10:11], -v[40:41]
	v_mul_f64 v[2:3], v[2:3], v[12:13]
	v_add_f64 v[30:31], v[30:31], v[40:41]
	v_fma_f64 v[2:3], v[4:5], v[10:11], v[2:3]
	v_add_f64 v[28:29], v[2:3], v[28:29]
	ds_read_b128 v[2:5], v25 offset:2112
	s_waitcnt lgkmcnt(0)
	v_mul_f64 v[40:41], v[4:5], v[8:9]
	v_mul_f64 v[8:9], v[2:3], v[8:9]
	v_fma_f64 v[40:41], v[2:3], v[6:7], -v[40:41]
	v_fma_f64 v[6:7], v[4:5], v[6:7], v[8:9]
	v_add_f64 v[14:15], v[14:15], v[40:41]
	v_add_f64 v[16:17], v[6:7], v[16:17]
	v_mul_f64 v[6:7], v[4:5], v[12:13]
	v_fma_f64 v[6:7], v[2:3], v[10:11], -v[6:7]
	v_mul_f64 v[2:3], v[2:3], v[12:13]
	v_add_f64 v[32:33], v[32:33], v[6:7]
	v_fma_f64 v[2:3], v[4:5], v[10:11], v[2:3]
	v_add_f64 v[34:35], v[2:3], v[34:35]
	ds_read_b128 v[2:5], v25 offset:80
	ds_read_b128 v[6:9], v24 offset:2560
	s_waitcnt lgkmcnt(0)
	v_mul_f64 v[10:11], v[4:5], v[8:9]
	v_mul_f64 v[12:13], v[2:3], v[8:9]
	v_fma_f64 v[10:11], v[2:3], v[6:7], -v[10:11]
	v_fma_f64 v[12:13], v[4:5], v[6:7], v[12:13]
	v_add_f64 v[36:37], v[36:37], v[10:11]
	v_add_f64 v[38:39], v[12:13], v[38:39]
	ds_read_b128 v[10:13], v24 offset:2816
	s_waitcnt lgkmcnt(0)
	v_mul_f64 v[40:41], v[4:5], v[12:13]
	v_fma_f64 v[40:41], v[2:3], v[10:11], -v[40:41]
	v_mul_f64 v[2:3], v[2:3], v[12:13]
	v_add_f64 v[30:31], v[30:31], v[40:41]
	v_fma_f64 v[2:3], v[4:5], v[10:11], v[2:3]
	v_add_f64 v[28:29], v[2:3], v[28:29]
	ds_read_b128 v[2:5], v25 offset:2128
	s_waitcnt lgkmcnt(0)
	v_mul_f64 v[40:41], v[4:5], v[8:9]
	v_mul_f64 v[8:9], v[2:3], v[8:9]
	v_fma_f64 v[40:41], v[2:3], v[6:7], -v[40:41]
	v_fma_f64 v[6:7], v[4:5], v[6:7], v[8:9]
	v_add_f64 v[14:15], v[14:15], v[40:41]
	v_add_f64 v[16:17], v[6:7], v[16:17]
	v_mul_f64 v[6:7], v[4:5], v[12:13]
	v_fma_f64 v[6:7], v[2:3], v[10:11], -v[6:7]
	v_mul_f64 v[2:3], v[2:3], v[12:13]
	v_add_f64 v[32:33], v[32:33], v[6:7]
	v_fma_f64 v[2:3], v[4:5], v[10:11], v[2:3]
	;; [unrolled: 31-line block ×3, first 2 shown]
	v_add_f64 v[46:47], v[2:3], v[34:35]
	ds_read_b128 v[2:5], v25 offset:112
	ds_read_b128 v[6:9], v24 offset:3584
	;; [unrolled: 1-line block ×3, first 2 shown]
	s_waitcnt lgkmcnt(1)
	v_mul_f64 v[10:11], v[4:5], v[8:9]
	s_waitcnt lgkmcnt(0)
	v_mul_f64 v[32:33], v[4:5], v[30:31]
	v_mul_f64 v[12:13], v[2:3], v[8:9]
	v_fma_f64 v[10:11], v[2:3], v[6:7], -v[10:11]
	v_fma_f64 v[32:33], v[2:3], v[28:29], -v[32:33]
	v_mul_f64 v[2:3], v[2:3], v[30:31]
	v_fma_f64 v[12:13], v[4:5], v[6:7], v[12:13]
	v_add_f64 v[10:11], v[36:37], v[10:11]
	v_fma_f64 v[4:5], v[4:5], v[28:29], v[2:3]
	v_add_f64 v[2:3], v[40:41], v[32:33]
	ds_read_b128 v[32:35], v25 offset:2160
	v_add_f64 v[12:13], v[12:13], v[38:39]
	s_waitcnt lgkmcnt(0)
	s_barrier
	v_mul_f64 v[36:37], v[34:35], v[8:9]
	v_mul_f64 v[8:9], v[32:33], v[8:9]
	v_add_f64 v[4:5], v[4:5], v[42:43]
	v_fma_f64 v[36:37], v[32:33], v[6:7], -v[36:37]
	v_fma_f64 v[6:7], v[34:35], v[6:7], v[8:9]
	v_mul_f64 v[8:9], v[32:33], v[30:31]
	v_add_f64 v[14:15], v[14:15], v[36:37]
	v_add_f64 v[16:17], v[6:7], v[16:17]
	v_mul_f64 v[6:7], v[34:35], v[30:31]
	v_fma_f64 v[8:9], v[34:35], v[28:29], v[8:9]
	v_fma_f64 v[6:7], v[32:33], v[28:29], -v[6:7]
	v_add_f64 v[8:9], v[8:9], v[46:47]
	v_add_f64 v[6:7], v[44:45], v[6:7]
	s_cbranch_scc0 .LBB709_2
	s_branch .LBB709_4
.LBB709_3:
	v_mov_b32_e32 v10, 0
	v_mov_b32_e32 v12, 0
	;; [unrolled: 1-line block ×16, first 2 shown]
.LBB709_4:
	s_load_dword s8, s[4:5], 0x40
	v_add_u32_e32 v18, s7, v1
	s_waitcnt lgkmcnt(0)
	v_mov_b32_e32 v1, s11
	v_add_u32_e32 v0, s6, v0
	v_mad_i64_i32 v[19:20], s[0:1], v18, s8, 0
	v_cmp_le_i32_e64 s[0:1], v18, v0
	v_lshlrev_b64 v[19:20], 4, v[19:20]
	v_add_co_u32_e32 v19, vcc, s10, v19
	v_addc_co_u32_e32 v20, vcc, v1, v20, vcc
	v_cmp_gt_i32_e32 vcc, s12, v0
	s_and_b64 s[0:1], s[0:1], vcc
	s_and_saveexec_b64 s[2:3], s[0:1]
	s_cbranch_execz .LBB709_6
; %bb.5:
	v_ashrrev_i32_e32 v1, 31, v0
	v_lshlrev_b64 v[21:22], 4, v[0:1]
	v_add_co_u32_e64 v21, s[0:1], v19, v21
	v_addc_co_u32_e64 v22, s[0:1], v20, v22, s[0:1]
	flat_store_dwordx4 v[21:22], v[10:13]
.LBB709_6:
	s_or_b64 exec, exec, s[2:3]
	v_add_u32_e32 v10, 16, v0
	v_cmp_le_i32_e64 s[2:3], v18, v10
	v_cmp_gt_i32_e64 s[0:1], s12, v10
	s_and_b64 s[2:3], s[2:3], s[0:1]
	s_and_saveexec_b64 s[4:5], s[2:3]
	s_cbranch_execz .LBB709_8
; %bb.7:
	v_ashrrev_i32_e32 v11, 31, v10
	v_lshlrev_b64 v[11:12], 4, v[10:11]
	v_add_co_u32_e64 v11, s[2:3], v19, v11
	v_addc_co_u32_e64 v12, s[2:3], v20, v12, s[2:3]
	flat_store_dwordx4 v[11:12], v[2:5]
.LBB709_8:
	s_or_b64 exec, exec, s[4:5]
	v_add_u32_e32 v4, 16, v18
	v_mad_i64_i32 v[1:2], s[2:3], v4, s8, 0
	v_mov_b32_e32 v5, s11
	v_lshlrev_b64 v[2:3], 4, v[1:2]
	v_add_co_u32_e64 v2, s[2:3], s10, v2
	v_addc_co_u32_e64 v3, s[2:3], v5, v3, s[2:3]
	v_cmp_le_i32_e64 s[2:3], v4, v0
	s_and_b64 s[4:5], s[2:3], vcc
	s_and_saveexec_b64 s[2:3], s[4:5]
	s_cbranch_execz .LBB709_10
; %bb.9:
	v_ashrrev_i32_e32 v1, 31, v0
	v_lshlrev_b64 v[0:1], 4, v[0:1]
	v_add_co_u32_e32 v0, vcc, v2, v0
	v_addc_co_u32_e32 v1, vcc, v3, v1, vcc
	flat_store_dwordx4 v[0:1], v[14:17]
.LBB709_10:
	s_or_b64 exec, exec, s[2:3]
	v_cmp_le_i32_e32 vcc, v4, v10
	s_and_b64 s[0:1], vcc, s[0:1]
	s_and_saveexec_b64 s[2:3], s[0:1]
	s_cbranch_execz .LBB709_12
; %bb.11:
	v_ashrrev_i32_e32 v11, 31, v10
	v_lshlrev_b64 v[0:1], 4, v[10:11]
	v_add_co_u32_e32 v0, vcc, v2, v0
	v_addc_co_u32_e32 v1, vcc, v3, v1, vcc
	flat_store_dwordx4 v[0:1], v[6:9]
.LBB709_12:
	s_endpgm
	.section	.rodata,"a",@progbits
	.p2align	6, 0x0
	.amdhsa_kernel _ZL37rocblas_syrkx_herkx_restricted_kernelIi19rocblas_complex_numIdELi16ELi32ELi8ELi1ELi0ELb0ELc78ELc76EKPKS1_KPS1_EviT_PT9_S7_lS9_S7_lPT10_S7_li
		.amdhsa_group_segment_fixed_size 8192
		.amdhsa_private_segment_fixed_size 0
		.amdhsa_kernarg_size 84
		.amdhsa_user_sgpr_count 6
		.amdhsa_user_sgpr_private_segment_buffer 1
		.amdhsa_user_sgpr_dispatch_ptr 0
		.amdhsa_user_sgpr_queue_ptr 0
		.amdhsa_user_sgpr_kernarg_segment_ptr 1
		.amdhsa_user_sgpr_dispatch_id 0
		.amdhsa_user_sgpr_flat_scratch_init 0
		.amdhsa_user_sgpr_private_segment_size 0
		.amdhsa_uses_dynamic_stack 0
		.amdhsa_system_sgpr_private_segment_wavefront_offset 0
		.amdhsa_system_sgpr_workgroup_id_x 1
		.amdhsa_system_sgpr_workgroup_id_y 1
		.amdhsa_system_sgpr_workgroup_id_z 1
		.amdhsa_system_sgpr_workgroup_info 0
		.amdhsa_system_vgpr_workitem_id 1
		.amdhsa_next_free_vgpr 54
		.amdhsa_next_free_sgpr 61
		.amdhsa_reserve_vcc 1
		.amdhsa_reserve_flat_scratch 0
		.amdhsa_float_round_mode_32 0
		.amdhsa_float_round_mode_16_64 0
		.amdhsa_float_denorm_mode_32 3
		.amdhsa_float_denorm_mode_16_64 3
		.amdhsa_dx10_clamp 1
		.amdhsa_ieee_mode 1
		.amdhsa_fp16_overflow 0
		.amdhsa_exception_fp_ieee_invalid_op 0
		.amdhsa_exception_fp_denorm_src 0
		.amdhsa_exception_fp_ieee_div_zero 0
		.amdhsa_exception_fp_ieee_overflow 0
		.amdhsa_exception_fp_ieee_underflow 0
		.amdhsa_exception_fp_ieee_inexact 0
		.amdhsa_exception_int_div_zero 0
	.end_amdhsa_kernel
	.section	.text._ZL37rocblas_syrkx_herkx_restricted_kernelIi19rocblas_complex_numIdELi16ELi32ELi8ELi1ELi0ELb0ELc78ELc76EKPKS1_KPS1_EviT_PT9_S7_lS9_S7_lPT10_S7_li,"axG",@progbits,_ZL37rocblas_syrkx_herkx_restricted_kernelIi19rocblas_complex_numIdELi16ELi32ELi8ELi1ELi0ELb0ELc78ELc76EKPKS1_KPS1_EviT_PT9_S7_lS9_S7_lPT10_S7_li,comdat
.Lfunc_end709:
	.size	_ZL37rocblas_syrkx_herkx_restricted_kernelIi19rocblas_complex_numIdELi16ELi32ELi8ELi1ELi0ELb0ELc78ELc76EKPKS1_KPS1_EviT_PT9_S7_lS9_S7_lPT10_S7_li, .Lfunc_end709-_ZL37rocblas_syrkx_herkx_restricted_kernelIi19rocblas_complex_numIdELi16ELi32ELi8ELi1ELi0ELb0ELc78ELc76EKPKS1_KPS1_EviT_PT9_S7_lS9_S7_lPT10_S7_li
                                        ; -- End function
	.set _ZL37rocblas_syrkx_herkx_restricted_kernelIi19rocblas_complex_numIdELi16ELi32ELi8ELi1ELi0ELb0ELc78ELc76EKPKS1_KPS1_EviT_PT9_S7_lS9_S7_lPT10_S7_li.num_vgpr, 54
	.set _ZL37rocblas_syrkx_herkx_restricted_kernelIi19rocblas_complex_numIdELi16ELi32ELi8ELi1ELi0ELb0ELc78ELc76EKPKS1_KPS1_EviT_PT9_S7_lS9_S7_lPT10_S7_li.num_agpr, 0
	.set _ZL37rocblas_syrkx_herkx_restricted_kernelIi19rocblas_complex_numIdELi16ELi32ELi8ELi1ELi0ELb0ELc78ELc76EKPKS1_KPS1_EviT_PT9_S7_lS9_S7_lPT10_S7_li.numbered_sgpr, 20
	.set _ZL37rocblas_syrkx_herkx_restricted_kernelIi19rocblas_complex_numIdELi16ELi32ELi8ELi1ELi0ELb0ELc78ELc76EKPKS1_KPS1_EviT_PT9_S7_lS9_S7_lPT10_S7_li.num_named_barrier, 0
	.set _ZL37rocblas_syrkx_herkx_restricted_kernelIi19rocblas_complex_numIdELi16ELi32ELi8ELi1ELi0ELb0ELc78ELc76EKPKS1_KPS1_EviT_PT9_S7_lS9_S7_lPT10_S7_li.private_seg_size, 0
	.set _ZL37rocblas_syrkx_herkx_restricted_kernelIi19rocblas_complex_numIdELi16ELi32ELi8ELi1ELi0ELb0ELc78ELc76EKPKS1_KPS1_EviT_PT9_S7_lS9_S7_lPT10_S7_li.uses_vcc, 1
	.set _ZL37rocblas_syrkx_herkx_restricted_kernelIi19rocblas_complex_numIdELi16ELi32ELi8ELi1ELi0ELb0ELc78ELc76EKPKS1_KPS1_EviT_PT9_S7_lS9_S7_lPT10_S7_li.uses_flat_scratch, 0
	.set _ZL37rocblas_syrkx_herkx_restricted_kernelIi19rocblas_complex_numIdELi16ELi32ELi8ELi1ELi0ELb0ELc78ELc76EKPKS1_KPS1_EviT_PT9_S7_lS9_S7_lPT10_S7_li.has_dyn_sized_stack, 0
	.set _ZL37rocblas_syrkx_herkx_restricted_kernelIi19rocblas_complex_numIdELi16ELi32ELi8ELi1ELi0ELb0ELc78ELc76EKPKS1_KPS1_EviT_PT9_S7_lS9_S7_lPT10_S7_li.has_recursion, 0
	.set _ZL37rocblas_syrkx_herkx_restricted_kernelIi19rocblas_complex_numIdELi16ELi32ELi8ELi1ELi0ELb0ELc78ELc76EKPKS1_KPS1_EviT_PT9_S7_lS9_S7_lPT10_S7_li.has_indirect_call, 0
	.section	.AMDGPU.csdata,"",@progbits
; Kernel info:
; codeLenInByte = 2728
; TotalNumSgprs: 24
; NumVgprs: 54
; ScratchSize: 0
; MemoryBound: 0
; FloatMode: 240
; IeeeMode: 1
; LDSByteSize: 8192 bytes/workgroup (compile time only)
; SGPRBlocks: 8
; VGPRBlocks: 13
; NumSGPRsForWavesPerEU: 65
; NumVGPRsForWavesPerEU: 54
; Occupancy: 4
; WaveLimiterHint : 1
; COMPUTE_PGM_RSRC2:SCRATCH_EN: 0
; COMPUTE_PGM_RSRC2:USER_SGPR: 6
; COMPUTE_PGM_RSRC2:TRAP_HANDLER: 0
; COMPUTE_PGM_RSRC2:TGID_X_EN: 1
; COMPUTE_PGM_RSRC2:TGID_Y_EN: 1
; COMPUTE_PGM_RSRC2:TGID_Z_EN: 1
; COMPUTE_PGM_RSRC2:TIDIG_COMP_CNT: 1
	.section	.text._ZL37rocblas_syrkx_herkx_restricted_kernelIi19rocblas_complex_numIdELi16ELi32ELi8ELi1ELi0ELb0ELc84ELc85EKPKS1_KPS1_EviT_PT9_S7_lS9_S7_lPT10_S7_li,"axG",@progbits,_ZL37rocblas_syrkx_herkx_restricted_kernelIi19rocblas_complex_numIdELi16ELi32ELi8ELi1ELi0ELb0ELc84ELc85EKPKS1_KPS1_EviT_PT9_S7_lS9_S7_lPT10_S7_li,comdat
	.globl	_ZL37rocblas_syrkx_herkx_restricted_kernelIi19rocblas_complex_numIdELi16ELi32ELi8ELi1ELi0ELb0ELc84ELc85EKPKS1_KPS1_EviT_PT9_S7_lS9_S7_lPT10_S7_li ; -- Begin function _ZL37rocblas_syrkx_herkx_restricted_kernelIi19rocblas_complex_numIdELi16ELi32ELi8ELi1ELi0ELb0ELc84ELc85EKPKS1_KPS1_EviT_PT9_S7_lS9_S7_lPT10_S7_li
	.p2align	8
	.type	_ZL37rocblas_syrkx_herkx_restricted_kernelIi19rocblas_complex_numIdELi16ELi32ELi8ELi1ELi0ELb0ELc84ELc85EKPKS1_KPS1_EviT_PT9_S7_lS9_S7_lPT10_S7_li,@function
_ZL37rocblas_syrkx_herkx_restricted_kernelIi19rocblas_complex_numIdELi16ELi32ELi8ELi1ELi0ELb0ELc84ELc85EKPKS1_KPS1_EviT_PT9_S7_lS9_S7_lPT10_S7_li: ; @_ZL37rocblas_syrkx_herkx_restricted_kernelIi19rocblas_complex_numIdELi16ELi32ELi8ELi1ELi0ELb0ELc84ELc85EKPKS1_KPS1_EviT_PT9_S7_lS9_S7_lPT10_S7_li
; %bb.0:
	s_load_dwordx2 s[10:11], s[4:5], 0x38
	s_load_dwordx2 s[2:3], s[4:5], 0x0
	s_mov_b32 s9, 0
	s_lshl_b64 s[0:1], s[8:9], 3
	s_waitcnt lgkmcnt(0)
	s_add_u32 s10, s10, s0
	s_addc_u32 s11, s11, s1
	s_load_dwordx2 s[10:11], s[10:11], 0x0
	s_lshl_b32 s6, s6, 5
	s_lshl_b32 s7, s7, 5
	s_cmp_lt_i32 s3, 1
	s_cbranch_scc1 .LBB710_3
; %bb.1:
	s_load_dwordx2 s[12:13], s[4:5], 0x8
	s_load_dword s8, s[4:5], 0x10
	s_load_dwordx2 s[14:15], s[4:5], 0x20
	s_load_dword s16, s[4:5], 0x28
	v_lshl_add_u32 v6, v1, 4, v0
	s_waitcnt lgkmcnt(0)
	s_add_u32 s12, s12, s0
	s_addc_u32 s13, s13, s1
	v_lshrrev_b32_e32 v8, 3, v6
	s_add_u32 s0, s14, s0
	v_add_u32_e32 v4, s7, v8
	v_and_b32_e32 v2, 7, v0
	v_mov_b32_e32 v3, 0
	s_addc_u32 s1, s15, s1
	v_mad_i64_i32 v[4:5], s[14:15], s16, v4, v[2:3]
	v_and_b32_e32 v9, 31, v6
	v_lshlrev_b32_e32 v2, 4, v2
	v_lshrrev_b32_e32 v6, 5, v6
	v_mov_b32_e32 v7, v3
	v_lshlrev_b32_e32 v3, 4, v9
	v_lshl_or_b32 v8, v8, 7, v2
	v_add_u32_e32 v2, s6, v9
	v_lshl_or_b32 v22, v6, 9, v3
	v_mad_i64_i32 v[2:3], s[14:15], s8, v2, v[6:7]
	s_load_dwordx2 s[12:13], s[12:13], 0x0
	v_add_u32_e32 v23, 0x1000, v8
	s_load_dwordx2 s[0:1], s[0:1], 0x0
	v_lshlrev_b64 v[2:3], 4, v[2:3]
	v_mov_b32_e32 v25, 0x1000
	s_waitcnt lgkmcnt(0)
	v_mov_b32_e32 v6, s13
	v_add_co_u32_e32 v18, vcc, s12, v2
	v_addc_co_u32_e32 v19, vcc, v6, v3, vcc
	v_lshlrev_b64 v[2:3], 4, v[4:5]
	v_mov_b32_e32 v4, s1
	v_add_co_u32_e32 v20, vcc, s0, v2
	v_addc_co_u32_e32 v21, vcc, v4, v3, vcc
	v_mov_b32_e32 v12, 0
	v_mov_b32_e32 v10, 0
	;; [unrolled: 1-line block ×8, first 2 shown]
	v_lshlrev_b32_e32 v24, 4, v0
	v_mov_b32_e32 v13, 0
	v_mov_b32_e32 v11, 0
	;; [unrolled: 1-line block ×8, first 2 shown]
	v_lshl_add_u32 v25, v1, 7, v25
.LBB710_2:                              ; =>This Inner Loop Header: Depth=1
	flat_load_dwordx4 v[26:29], v[18:19]
	v_add_co_u32_e32 v18, vcc, 0x80, v18
	v_addc_co_u32_e32 v19, vcc, 0, v19, vcc
	s_add_i32 s9, s9, 8
	s_cmp_ge_i32 s9, s3
	s_waitcnt vmcnt(0) lgkmcnt(0)
	ds_write_b128 v22, v[26:29]
	flat_load_dwordx4 v[26:29], v[20:21]
	v_add_co_u32_e32 v20, vcc, 0x80, v20
	v_addc_co_u32_e32 v21, vcc, 0, v21, vcc
	s_waitcnt vmcnt(0) lgkmcnt(0)
	ds_write_b128 v23, v[26:29]
	s_waitcnt lgkmcnt(0)
	s_barrier
	ds_read_b128 v[26:29], v25
	ds_read_b128 v[30:33], v25 offset:16
	ds_read_b128 v[34:37], v25 offset:32
	;; [unrolled: 1-line block ×3, first 2 shown]
	ds_read_b128 v[42:45], v24
	s_waitcnt lgkmcnt(0)
	v_mul_f64 v[46:47], v[28:29], v[44:45]
	v_mul_f64 v[48:49], v[26:27], v[44:45]
	v_fma_f64 v[46:47], v[26:27], v[42:43], -v[46:47]
	v_fma_f64 v[48:49], v[28:29], v[42:43], v[48:49]
	v_add_f64 v[46:47], v[6:7], v[46:47]
	v_add_f64 v[48:49], v[48:49], v[8:9]
	ds_read_b128 v[6:9], v24 offset:256
	s_waitcnt lgkmcnt(0)
	v_mul_f64 v[50:51], v[28:29], v[8:9]
	v_fma_f64 v[50:51], v[26:27], v[6:7], -v[50:51]
	v_mul_f64 v[26:27], v[26:27], v[8:9]
	v_fma_f64 v[26:27], v[28:29], v[6:7], v[26:27]
	v_add_f64 v[28:29], v[2:3], v[50:51]
	v_add_f64 v[26:27], v[26:27], v[4:5]
	ds_read_b128 v[2:5], v25 offset:2048
	s_waitcnt lgkmcnt(0)
	v_mul_f64 v[50:51], v[4:5], v[44:45]
	v_mul_f64 v[44:45], v[2:3], v[44:45]
	v_fma_f64 v[50:51], v[2:3], v[42:43], -v[50:51]
	v_fma_f64 v[42:43], v[4:5], v[42:43], v[44:45]
	v_add_f64 v[14:15], v[14:15], v[50:51]
	v_add_f64 v[16:17], v[42:43], v[16:17]
	v_mul_f64 v[42:43], v[4:5], v[8:9]
	v_fma_f64 v[42:43], v[2:3], v[6:7], -v[42:43]
	v_mul_f64 v[2:3], v[2:3], v[8:9]
	v_add_f64 v[42:43], v[10:11], v[42:43]
	v_fma_f64 v[2:3], v[4:5], v[6:7], v[2:3]
	v_add_f64 v[44:45], v[2:3], v[12:13]
	ds_read_b128 v[2:5], v24 offset:512
	s_waitcnt lgkmcnt(0)
	v_mul_f64 v[6:7], v[32:33], v[4:5]
	v_mul_f64 v[8:9], v[30:31], v[4:5]
	v_fma_f64 v[6:7], v[30:31], v[2:3], -v[6:7]
	v_fma_f64 v[8:9], v[32:33], v[2:3], v[8:9]
	v_add_f64 v[46:47], v[46:47], v[6:7]
	v_add_f64 v[48:49], v[8:9], v[48:49]
	ds_read_b128 v[6:9], v24 offset:768
	s_waitcnt lgkmcnt(0)
	v_mul_f64 v[10:11], v[32:33], v[8:9]
	v_mul_f64 v[12:13], v[30:31], v[8:9]
	v_fma_f64 v[10:11], v[30:31], v[6:7], -v[10:11]
	v_fma_f64 v[12:13], v[32:33], v[6:7], v[12:13]
	v_add_f64 v[28:29], v[28:29], v[10:11]
	v_add_f64 v[26:27], v[12:13], v[26:27]
	ds_read_b128 v[10:13], v25 offset:2064
	s_waitcnt lgkmcnt(0)
	v_mul_f64 v[30:31], v[12:13], v[4:5]
	v_mul_f64 v[4:5], v[10:11], v[4:5]
	v_fma_f64 v[30:31], v[10:11], v[2:3], -v[30:31]
	v_fma_f64 v[2:3], v[12:13], v[2:3], v[4:5]
	v_mul_f64 v[4:5], v[10:11], v[8:9]
	v_add_f64 v[14:15], v[14:15], v[30:31]
	v_add_f64 v[16:17], v[2:3], v[16:17]
	v_mul_f64 v[2:3], v[12:13], v[8:9]
	v_fma_f64 v[4:5], v[12:13], v[6:7], v[4:5]
	v_fma_f64 v[2:3], v[10:11], v[6:7], -v[2:3]
	v_add_f64 v[32:33], v[4:5], v[44:45]
	v_add_f64 v[30:31], v[42:43], v[2:3]
	ds_read_b128 v[2:5], v24 offset:1024
	s_waitcnt lgkmcnt(0)
	v_mul_f64 v[6:7], v[36:37], v[4:5]
	v_mul_f64 v[8:9], v[34:35], v[4:5]
	v_fma_f64 v[6:7], v[34:35], v[2:3], -v[6:7]
	v_fma_f64 v[8:9], v[36:37], v[2:3], v[8:9]
	v_add_f64 v[42:43], v[46:47], v[6:7]
	v_add_f64 v[44:45], v[8:9], v[48:49]
	ds_read_b128 v[6:9], v24 offset:1280
	s_waitcnt lgkmcnt(0)
	v_mul_f64 v[10:11], v[36:37], v[8:9]
	v_mul_f64 v[12:13], v[34:35], v[8:9]
	v_fma_f64 v[10:11], v[34:35], v[6:7], -v[10:11]
	v_fma_f64 v[12:13], v[36:37], v[6:7], v[12:13]
	v_add_f64 v[28:29], v[28:29], v[10:11]
	v_add_f64 v[26:27], v[12:13], v[26:27]
	ds_read_b128 v[10:13], v25 offset:2080
	s_waitcnt lgkmcnt(0)
	v_mul_f64 v[34:35], v[12:13], v[4:5]
	v_mul_f64 v[4:5], v[10:11], v[4:5]
	v_fma_f64 v[34:35], v[10:11], v[2:3], -v[34:35]
	v_fma_f64 v[2:3], v[12:13], v[2:3], v[4:5]
	v_mul_f64 v[4:5], v[10:11], v[8:9]
	v_add_f64 v[14:15], v[14:15], v[34:35]
	v_add_f64 v[16:17], v[2:3], v[16:17]
	v_mul_f64 v[2:3], v[12:13], v[8:9]
	v_fma_f64 v[4:5], v[12:13], v[6:7], v[4:5]
	v_fma_f64 v[2:3], v[10:11], v[6:7], -v[2:3]
	v_add_f64 v[32:33], v[4:5], v[32:33]
	;; [unrolled: 30-line block ×3, first 2 shown]
	v_add_f64 v[30:31], v[30:31], v[2:3]
	ds_read_b128 v[2:5], v25 offset:64
	ds_read_b128 v[6:9], v24 offset:2048
	s_waitcnt lgkmcnt(0)
	v_mul_f64 v[10:11], v[4:5], v[8:9]
	v_mul_f64 v[12:13], v[2:3], v[8:9]
	v_fma_f64 v[10:11], v[2:3], v[6:7], -v[10:11]
	v_fma_f64 v[12:13], v[4:5], v[6:7], v[12:13]
	v_add_f64 v[34:35], v[34:35], v[10:11]
	v_add_f64 v[36:37], v[12:13], v[36:37]
	ds_read_b128 v[10:13], v24 offset:2304
	s_waitcnt lgkmcnt(0)
	v_mul_f64 v[38:39], v[4:5], v[12:13]
	v_fma_f64 v[38:39], v[2:3], v[10:11], -v[38:39]
	v_mul_f64 v[2:3], v[2:3], v[12:13]
	v_add_f64 v[28:29], v[28:29], v[38:39]
	v_fma_f64 v[2:3], v[4:5], v[10:11], v[2:3]
	v_add_f64 v[26:27], v[2:3], v[26:27]
	ds_read_b128 v[2:5], v25 offset:2112
	s_waitcnt lgkmcnt(0)
	v_mul_f64 v[38:39], v[4:5], v[8:9]
	v_mul_f64 v[8:9], v[2:3], v[8:9]
	v_fma_f64 v[38:39], v[2:3], v[6:7], -v[38:39]
	v_fma_f64 v[6:7], v[4:5], v[6:7], v[8:9]
	v_add_f64 v[14:15], v[14:15], v[38:39]
	v_add_f64 v[16:17], v[6:7], v[16:17]
	v_mul_f64 v[6:7], v[4:5], v[12:13]
	v_fma_f64 v[6:7], v[2:3], v[10:11], -v[6:7]
	v_mul_f64 v[2:3], v[2:3], v[12:13]
	v_add_f64 v[30:31], v[30:31], v[6:7]
	v_fma_f64 v[2:3], v[4:5], v[10:11], v[2:3]
	v_add_f64 v[32:33], v[2:3], v[32:33]
	ds_read_b128 v[2:5], v25 offset:80
	ds_read_b128 v[6:9], v24 offset:2560
	s_waitcnt lgkmcnt(0)
	v_mul_f64 v[10:11], v[4:5], v[8:9]
	v_mul_f64 v[12:13], v[2:3], v[8:9]
	v_fma_f64 v[10:11], v[2:3], v[6:7], -v[10:11]
	v_fma_f64 v[12:13], v[4:5], v[6:7], v[12:13]
	v_add_f64 v[34:35], v[34:35], v[10:11]
	v_add_f64 v[36:37], v[12:13], v[36:37]
	ds_read_b128 v[10:13], v24 offset:2816
	s_waitcnt lgkmcnt(0)
	v_mul_f64 v[38:39], v[4:5], v[12:13]
	v_fma_f64 v[38:39], v[2:3], v[10:11], -v[38:39]
	v_mul_f64 v[2:3], v[2:3], v[12:13]
	v_add_f64 v[28:29], v[28:29], v[38:39]
	v_fma_f64 v[2:3], v[4:5], v[10:11], v[2:3]
	v_add_f64 v[26:27], v[2:3], v[26:27]
	ds_read_b128 v[2:5], v25 offset:2128
	s_waitcnt lgkmcnt(0)
	v_mul_f64 v[38:39], v[4:5], v[8:9]
	v_mul_f64 v[8:9], v[2:3], v[8:9]
	v_fma_f64 v[38:39], v[2:3], v[6:7], -v[38:39]
	v_fma_f64 v[6:7], v[4:5], v[6:7], v[8:9]
	v_add_f64 v[14:15], v[14:15], v[38:39]
	v_add_f64 v[16:17], v[6:7], v[16:17]
	v_mul_f64 v[6:7], v[4:5], v[12:13]
	v_fma_f64 v[6:7], v[2:3], v[10:11], -v[6:7]
	v_mul_f64 v[2:3], v[2:3], v[12:13]
	v_add_f64 v[30:31], v[30:31], v[6:7]
	v_fma_f64 v[2:3], v[4:5], v[10:11], v[2:3]
	;; [unrolled: 31-line block ×3, first 2 shown]
	v_add_f64 v[44:45], v[2:3], v[32:33]
	ds_read_b128 v[2:5], v25 offset:112
	ds_read_b128 v[10:13], v24 offset:3584
	ds_read_b128 v[26:29], v24 offset:3840
	s_waitcnt lgkmcnt(1)
	v_mul_f64 v[6:7], v[4:5], v[12:13]
	s_waitcnt lgkmcnt(0)
	v_mul_f64 v[30:31], v[4:5], v[28:29]
	v_mul_f64 v[8:9], v[2:3], v[12:13]
	v_fma_f64 v[6:7], v[2:3], v[10:11], -v[6:7]
	v_fma_f64 v[30:31], v[2:3], v[26:27], -v[30:31]
	v_mul_f64 v[2:3], v[2:3], v[28:29]
	v_fma_f64 v[8:9], v[4:5], v[10:11], v[8:9]
	v_add_f64 v[6:7], v[34:35], v[6:7]
	v_fma_f64 v[4:5], v[4:5], v[26:27], v[2:3]
	v_add_f64 v[2:3], v[38:39], v[30:31]
	ds_read_b128 v[30:33], v25 offset:2160
	v_add_f64 v[8:9], v[8:9], v[36:37]
	s_waitcnt lgkmcnt(0)
	s_barrier
	v_mul_f64 v[34:35], v[32:33], v[12:13]
	v_mul_f64 v[12:13], v[30:31], v[12:13]
	v_add_f64 v[4:5], v[4:5], v[40:41]
	v_fma_f64 v[34:35], v[30:31], v[10:11], -v[34:35]
	v_fma_f64 v[10:11], v[32:33], v[10:11], v[12:13]
	v_mul_f64 v[12:13], v[30:31], v[28:29]
	v_add_f64 v[14:15], v[14:15], v[34:35]
	v_add_f64 v[16:17], v[10:11], v[16:17]
	v_mul_f64 v[10:11], v[32:33], v[28:29]
	v_fma_f64 v[12:13], v[32:33], v[26:27], v[12:13]
	v_fma_f64 v[10:11], v[30:31], v[26:27], -v[10:11]
	v_add_f64 v[12:13], v[12:13], v[44:45]
	v_add_f64 v[10:11], v[42:43], v[10:11]
	s_cbranch_scc0 .LBB710_2
	s_branch .LBB710_4
.LBB710_3:
	v_mov_b32_e32 v6, 0
	v_mov_b32_e32 v8, 0
	;; [unrolled: 1-line block ×16, first 2 shown]
.LBB710_4:
	s_load_dword s3, s[4:5], 0x40
	v_add_u32_e32 v18, s7, v1
	s_waitcnt lgkmcnt(0)
	v_mov_b32_e32 v1, s11
	v_add_u32_e32 v0, s6, v0
	v_cmp_gt_i32_e32 vcc, s2, v18
	v_mad_i64_i32 v[19:20], s[0:1], v18, s3, 0
	v_lshlrev_b64 v[19:20], 4, v[19:20]
	v_add_co_u32_e64 v19, s[0:1], s10, v19
	v_addc_co_u32_e64 v20, s[0:1], v1, v20, s[0:1]
	v_cmp_le_i32_e64 s[0:1], v0, v18
	s_and_b64 s[0:1], vcc, s[0:1]
	s_and_saveexec_b64 s[4:5], s[0:1]
	s_cbranch_execz .LBB710_6
; %bb.5:
	v_ashrrev_i32_e32 v1, 31, v0
	v_lshlrev_b64 v[21:22], 4, v[0:1]
	v_add_co_u32_e64 v21, s[0:1], v19, v21
	v_addc_co_u32_e64 v22, s[0:1], v20, v22, s[0:1]
	flat_store_dwordx4 v[21:22], v[6:9]
.LBB710_6:
	s_or_b64 exec, exec, s[4:5]
	v_add_u32_e32 v6, 16, v0
	v_cmp_le_i32_e64 s[0:1], v6, v18
	s_and_b64 s[4:5], vcc, s[0:1]
	s_and_saveexec_b64 s[0:1], s[4:5]
	s_cbranch_execz .LBB710_8
; %bb.7:
	v_ashrrev_i32_e32 v7, 31, v6
	v_lshlrev_b64 v[7:8], 4, v[6:7]
	v_add_co_u32_e32 v7, vcc, v19, v7
	v_addc_co_u32_e32 v8, vcc, v20, v8, vcc
	flat_store_dwordx4 v[7:8], v[2:5]
.LBB710_8:
	s_or_b64 exec, exec, s[0:1]
	v_add_u32_e32 v4, 16, v18
	v_mad_i64_i32 v[1:2], s[0:1], v4, s3, 0
	v_mov_b32_e32 v5, s11
	v_cmp_gt_i32_e32 vcc, s2, v4
	v_lshlrev_b64 v[2:3], 4, v[1:2]
	v_add_co_u32_e64 v2, s[0:1], s10, v2
	v_addc_co_u32_e64 v3, s[0:1], v5, v3, s[0:1]
	v_cmp_le_i32_e64 s[0:1], v0, v4
	s_and_b64 s[0:1], vcc, s[0:1]
	s_and_saveexec_b64 s[2:3], s[0:1]
	s_cbranch_execz .LBB710_10
; %bb.9:
	v_ashrrev_i32_e32 v1, 31, v0
	v_lshlrev_b64 v[0:1], 4, v[0:1]
	v_add_co_u32_e64 v0, s[0:1], v2, v0
	v_addc_co_u32_e64 v1, s[0:1], v3, v1, s[0:1]
	flat_store_dwordx4 v[0:1], v[14:17]
.LBB710_10:
	s_or_b64 exec, exec, s[2:3]
	v_cmp_le_i32_e64 s[0:1], v6, v4
	s_and_b64 s[0:1], vcc, s[0:1]
	s_and_saveexec_b64 s[2:3], s[0:1]
	s_cbranch_execz .LBB710_12
; %bb.11:
	v_ashrrev_i32_e32 v7, 31, v6
	v_lshlrev_b64 v[0:1], 4, v[6:7]
	v_add_co_u32_e32 v0, vcc, v2, v0
	v_addc_co_u32_e32 v1, vcc, v3, v1, vcc
	flat_store_dwordx4 v[0:1], v[10:13]
.LBB710_12:
	s_endpgm
	.section	.rodata,"a",@progbits
	.p2align	6, 0x0
	.amdhsa_kernel _ZL37rocblas_syrkx_herkx_restricted_kernelIi19rocblas_complex_numIdELi16ELi32ELi8ELi1ELi0ELb0ELc84ELc85EKPKS1_KPS1_EviT_PT9_S7_lS9_S7_lPT10_S7_li
		.amdhsa_group_segment_fixed_size 8192
		.amdhsa_private_segment_fixed_size 0
		.amdhsa_kernarg_size 84
		.amdhsa_user_sgpr_count 6
		.amdhsa_user_sgpr_private_segment_buffer 1
		.amdhsa_user_sgpr_dispatch_ptr 0
		.amdhsa_user_sgpr_queue_ptr 0
		.amdhsa_user_sgpr_kernarg_segment_ptr 1
		.amdhsa_user_sgpr_dispatch_id 0
		.amdhsa_user_sgpr_flat_scratch_init 0
		.amdhsa_user_sgpr_private_segment_size 0
		.amdhsa_uses_dynamic_stack 0
		.amdhsa_system_sgpr_private_segment_wavefront_offset 0
		.amdhsa_system_sgpr_workgroup_id_x 1
		.amdhsa_system_sgpr_workgroup_id_y 1
		.amdhsa_system_sgpr_workgroup_id_z 1
		.amdhsa_system_sgpr_workgroup_info 0
		.amdhsa_system_vgpr_workitem_id 1
		.amdhsa_next_free_vgpr 52
		.amdhsa_next_free_sgpr 61
		.amdhsa_reserve_vcc 1
		.amdhsa_reserve_flat_scratch 0
		.amdhsa_float_round_mode_32 0
		.amdhsa_float_round_mode_16_64 0
		.amdhsa_float_denorm_mode_32 3
		.amdhsa_float_denorm_mode_16_64 3
		.amdhsa_dx10_clamp 1
		.amdhsa_ieee_mode 1
		.amdhsa_fp16_overflow 0
		.amdhsa_exception_fp_ieee_invalid_op 0
		.amdhsa_exception_fp_denorm_src 0
		.amdhsa_exception_fp_ieee_div_zero 0
		.amdhsa_exception_fp_ieee_overflow 0
		.amdhsa_exception_fp_ieee_underflow 0
		.amdhsa_exception_fp_ieee_inexact 0
		.amdhsa_exception_int_div_zero 0
	.end_amdhsa_kernel
	.section	.text._ZL37rocblas_syrkx_herkx_restricted_kernelIi19rocblas_complex_numIdELi16ELi32ELi8ELi1ELi0ELb0ELc84ELc85EKPKS1_KPS1_EviT_PT9_S7_lS9_S7_lPT10_S7_li,"axG",@progbits,_ZL37rocblas_syrkx_herkx_restricted_kernelIi19rocblas_complex_numIdELi16ELi32ELi8ELi1ELi0ELb0ELc84ELc85EKPKS1_KPS1_EviT_PT9_S7_lS9_S7_lPT10_S7_li,comdat
.Lfunc_end710:
	.size	_ZL37rocblas_syrkx_herkx_restricted_kernelIi19rocblas_complex_numIdELi16ELi32ELi8ELi1ELi0ELb0ELc84ELc85EKPKS1_KPS1_EviT_PT9_S7_lS9_S7_lPT10_S7_li, .Lfunc_end710-_ZL37rocblas_syrkx_herkx_restricted_kernelIi19rocblas_complex_numIdELi16ELi32ELi8ELi1ELi0ELb0ELc84ELc85EKPKS1_KPS1_EviT_PT9_S7_lS9_S7_lPT10_S7_li
                                        ; -- End function
	.set _ZL37rocblas_syrkx_herkx_restricted_kernelIi19rocblas_complex_numIdELi16ELi32ELi8ELi1ELi0ELb0ELc84ELc85EKPKS1_KPS1_EviT_PT9_S7_lS9_S7_lPT10_S7_li.num_vgpr, 52
	.set _ZL37rocblas_syrkx_herkx_restricted_kernelIi19rocblas_complex_numIdELi16ELi32ELi8ELi1ELi0ELb0ELc84ELc85EKPKS1_KPS1_EviT_PT9_S7_lS9_S7_lPT10_S7_li.num_agpr, 0
	.set _ZL37rocblas_syrkx_herkx_restricted_kernelIi19rocblas_complex_numIdELi16ELi32ELi8ELi1ELi0ELb0ELc84ELc85EKPKS1_KPS1_EviT_PT9_S7_lS9_S7_lPT10_S7_li.numbered_sgpr, 17
	.set _ZL37rocblas_syrkx_herkx_restricted_kernelIi19rocblas_complex_numIdELi16ELi32ELi8ELi1ELi0ELb0ELc84ELc85EKPKS1_KPS1_EviT_PT9_S7_lS9_S7_lPT10_S7_li.num_named_barrier, 0
	.set _ZL37rocblas_syrkx_herkx_restricted_kernelIi19rocblas_complex_numIdELi16ELi32ELi8ELi1ELi0ELb0ELc84ELc85EKPKS1_KPS1_EviT_PT9_S7_lS9_S7_lPT10_S7_li.private_seg_size, 0
	.set _ZL37rocblas_syrkx_herkx_restricted_kernelIi19rocblas_complex_numIdELi16ELi32ELi8ELi1ELi0ELb0ELc84ELc85EKPKS1_KPS1_EviT_PT9_S7_lS9_S7_lPT10_S7_li.uses_vcc, 1
	.set _ZL37rocblas_syrkx_herkx_restricted_kernelIi19rocblas_complex_numIdELi16ELi32ELi8ELi1ELi0ELb0ELc84ELc85EKPKS1_KPS1_EviT_PT9_S7_lS9_S7_lPT10_S7_li.uses_flat_scratch, 0
	.set _ZL37rocblas_syrkx_herkx_restricted_kernelIi19rocblas_complex_numIdELi16ELi32ELi8ELi1ELi0ELb0ELc84ELc85EKPKS1_KPS1_EviT_PT9_S7_lS9_S7_lPT10_S7_li.has_dyn_sized_stack, 0
	.set _ZL37rocblas_syrkx_herkx_restricted_kernelIi19rocblas_complex_numIdELi16ELi32ELi8ELi1ELi0ELb0ELc84ELc85EKPKS1_KPS1_EviT_PT9_S7_lS9_S7_lPT10_S7_li.has_recursion, 0
	.set _ZL37rocblas_syrkx_herkx_restricted_kernelIi19rocblas_complex_numIdELi16ELi32ELi8ELi1ELi0ELb0ELc84ELc85EKPKS1_KPS1_EviT_PT9_S7_lS9_S7_lPT10_S7_li.has_indirect_call, 0
	.section	.AMDGPU.csdata,"",@progbits
; Kernel info:
; codeLenInByte = 2720
; TotalNumSgprs: 21
; NumVgprs: 52
; ScratchSize: 0
; MemoryBound: 0
; FloatMode: 240
; IeeeMode: 1
; LDSByteSize: 8192 bytes/workgroup (compile time only)
; SGPRBlocks: 8
; VGPRBlocks: 12
; NumSGPRsForWavesPerEU: 65
; NumVGPRsForWavesPerEU: 52
; Occupancy: 4
; WaveLimiterHint : 1
; COMPUTE_PGM_RSRC2:SCRATCH_EN: 0
; COMPUTE_PGM_RSRC2:USER_SGPR: 6
; COMPUTE_PGM_RSRC2:TRAP_HANDLER: 0
; COMPUTE_PGM_RSRC2:TGID_X_EN: 1
; COMPUTE_PGM_RSRC2:TGID_Y_EN: 1
; COMPUTE_PGM_RSRC2:TGID_Z_EN: 1
; COMPUTE_PGM_RSRC2:TIDIG_COMP_CNT: 1
	.section	.text._ZL37rocblas_syrkx_herkx_restricted_kernelIi19rocblas_complex_numIdELi16ELi32ELi8ELi1ELi0ELb0ELc67ELc85EKPKS1_KPS1_EviT_PT9_S7_lS9_S7_lPT10_S7_li,"axG",@progbits,_ZL37rocblas_syrkx_herkx_restricted_kernelIi19rocblas_complex_numIdELi16ELi32ELi8ELi1ELi0ELb0ELc67ELc85EKPKS1_KPS1_EviT_PT9_S7_lS9_S7_lPT10_S7_li,comdat
	.globl	_ZL37rocblas_syrkx_herkx_restricted_kernelIi19rocblas_complex_numIdELi16ELi32ELi8ELi1ELi0ELb0ELc67ELc85EKPKS1_KPS1_EviT_PT9_S7_lS9_S7_lPT10_S7_li ; -- Begin function _ZL37rocblas_syrkx_herkx_restricted_kernelIi19rocblas_complex_numIdELi16ELi32ELi8ELi1ELi0ELb0ELc67ELc85EKPKS1_KPS1_EviT_PT9_S7_lS9_S7_lPT10_S7_li
	.p2align	8
	.type	_ZL37rocblas_syrkx_herkx_restricted_kernelIi19rocblas_complex_numIdELi16ELi32ELi8ELi1ELi0ELb0ELc67ELc85EKPKS1_KPS1_EviT_PT9_S7_lS9_S7_lPT10_S7_li,@function
_ZL37rocblas_syrkx_herkx_restricted_kernelIi19rocblas_complex_numIdELi16ELi32ELi8ELi1ELi0ELb0ELc67ELc85EKPKS1_KPS1_EviT_PT9_S7_lS9_S7_lPT10_S7_li: ; @_ZL37rocblas_syrkx_herkx_restricted_kernelIi19rocblas_complex_numIdELi16ELi32ELi8ELi1ELi0ELb0ELc67ELc85EKPKS1_KPS1_EviT_PT9_S7_lS9_S7_lPT10_S7_li
; %bb.0:
	s_load_dwordx2 s[10:11], s[4:5], 0x38
	s_load_dwordx2 s[2:3], s[4:5], 0x0
	s_mov_b32 s9, 0
	s_lshl_b64 s[0:1], s[8:9], 3
	s_waitcnt lgkmcnt(0)
	s_add_u32 s10, s10, s0
	s_addc_u32 s11, s11, s1
	s_load_dwordx2 s[10:11], s[10:11], 0x0
	s_lshl_b32 s6, s6, 5
	s_lshl_b32 s7, s7, 5
	s_cmp_lt_i32 s3, 1
	s_cbranch_scc1 .LBB711_3
; %bb.1:
	s_load_dwordx2 s[12:13], s[4:5], 0x8
	s_load_dword s8, s[4:5], 0x10
	s_load_dwordx2 s[14:15], s[4:5], 0x20
	s_load_dword s16, s[4:5], 0x28
	v_lshl_add_u32 v6, v1, 4, v0
	s_waitcnt lgkmcnt(0)
	s_add_u32 s12, s12, s0
	s_addc_u32 s13, s13, s1
	v_lshrrev_b32_e32 v8, 3, v6
	s_add_u32 s0, s14, s0
	v_add_u32_e32 v4, s7, v8
	v_and_b32_e32 v2, 7, v0
	v_mov_b32_e32 v3, 0
	s_addc_u32 s1, s15, s1
	v_mad_i64_i32 v[4:5], s[14:15], s16, v4, v[2:3]
	v_and_b32_e32 v9, 31, v6
	v_lshlrev_b32_e32 v2, 4, v2
	v_lshrrev_b32_e32 v6, 5, v6
	v_mov_b32_e32 v7, v3
	v_lshlrev_b32_e32 v3, 4, v9
	v_lshl_or_b32 v8, v8, 7, v2
	v_add_u32_e32 v2, s6, v9
	v_lshl_or_b32 v22, v6, 9, v3
	v_mad_i64_i32 v[2:3], s[14:15], s8, v2, v[6:7]
	s_load_dwordx2 s[12:13], s[12:13], 0x0
	v_add_u32_e32 v23, 0x1000, v8
	s_load_dwordx2 s[0:1], s[0:1], 0x0
	v_lshlrev_b64 v[2:3], 4, v[2:3]
	v_mov_b32_e32 v25, 0x1000
	s_waitcnt lgkmcnt(0)
	v_mov_b32_e32 v6, s13
	v_add_co_u32_e32 v18, vcc, s12, v2
	v_addc_co_u32_e32 v19, vcc, v6, v3, vcc
	v_lshlrev_b64 v[2:3], 4, v[4:5]
	v_mov_b32_e32 v4, s1
	v_add_co_u32_e32 v20, vcc, s0, v2
	v_addc_co_u32_e32 v21, vcc, v4, v3, vcc
	v_mov_b32_e32 v12, 0
	v_mov_b32_e32 v10, 0
	;; [unrolled: 1-line block ×8, first 2 shown]
	v_lshlrev_b32_e32 v24, 4, v0
	v_mov_b32_e32 v13, 0
	v_mov_b32_e32 v11, 0
	;; [unrolled: 1-line block ×8, first 2 shown]
	v_lshl_add_u32 v25, v1, 7, v25
.LBB711_2:                              ; =>This Inner Loop Header: Depth=1
	flat_load_dwordx4 v[26:29], v[18:19]
	v_add_co_u32_e32 v18, vcc, 0x80, v18
	v_addc_co_u32_e32 v19, vcc, 0, v19, vcc
	s_add_i32 s9, s9, 8
	s_cmp_ge_i32 s9, s3
	s_waitcnt vmcnt(0) lgkmcnt(0)
	ds_write_b128 v22, v[26:29]
	flat_load_dwordx4 v[26:29], v[20:21]
	v_add_co_u32_e32 v20, vcc, 0x80, v20
	v_addc_co_u32_e32 v21, vcc, 0, v21, vcc
	s_waitcnt vmcnt(0) lgkmcnt(0)
	ds_write_b128 v23, v[26:29]
	s_waitcnt lgkmcnt(0)
	s_barrier
	ds_read_b128 v[26:29], v25
	ds_read_b128 v[30:33], v25 offset:16
	ds_read_b128 v[34:37], v25 offset:32
	;; [unrolled: 1-line block ×3, first 2 shown]
	ds_read_b128 v[42:45], v24
	s_waitcnt lgkmcnt(0)
	v_mul_f64 v[46:47], v[28:29], v[44:45]
	v_mul_f64 v[48:49], v[26:27], v[44:45]
	v_fma_f64 v[46:47], v[26:27], v[42:43], -v[46:47]
	v_fma_f64 v[48:49], v[28:29], v[42:43], v[48:49]
	v_add_f64 v[46:47], v[6:7], v[46:47]
	v_add_f64 v[48:49], v[48:49], v[8:9]
	ds_read_b128 v[6:9], v24 offset:256
	s_waitcnt lgkmcnt(0)
	v_mul_f64 v[50:51], v[28:29], v[8:9]
	v_fma_f64 v[50:51], v[26:27], v[6:7], -v[50:51]
	v_mul_f64 v[26:27], v[26:27], v[8:9]
	v_fma_f64 v[26:27], v[28:29], v[6:7], v[26:27]
	v_add_f64 v[28:29], v[2:3], v[50:51]
	v_add_f64 v[26:27], v[26:27], v[4:5]
	ds_read_b128 v[2:5], v25 offset:2048
	s_waitcnt lgkmcnt(0)
	v_mul_f64 v[50:51], v[4:5], v[44:45]
	v_mul_f64 v[44:45], v[2:3], v[44:45]
	v_fma_f64 v[50:51], v[2:3], v[42:43], -v[50:51]
	v_fma_f64 v[42:43], v[4:5], v[42:43], v[44:45]
	v_add_f64 v[14:15], v[14:15], v[50:51]
	v_add_f64 v[16:17], v[42:43], v[16:17]
	v_mul_f64 v[42:43], v[4:5], v[8:9]
	v_fma_f64 v[42:43], v[2:3], v[6:7], -v[42:43]
	v_mul_f64 v[2:3], v[2:3], v[8:9]
	v_add_f64 v[42:43], v[10:11], v[42:43]
	v_fma_f64 v[2:3], v[4:5], v[6:7], v[2:3]
	v_add_f64 v[44:45], v[2:3], v[12:13]
	ds_read_b128 v[2:5], v24 offset:512
	s_waitcnt lgkmcnt(0)
	v_mul_f64 v[6:7], v[32:33], v[4:5]
	v_mul_f64 v[8:9], v[30:31], v[4:5]
	v_fma_f64 v[6:7], v[30:31], v[2:3], -v[6:7]
	v_fma_f64 v[8:9], v[32:33], v[2:3], v[8:9]
	v_add_f64 v[46:47], v[46:47], v[6:7]
	v_add_f64 v[48:49], v[8:9], v[48:49]
	ds_read_b128 v[6:9], v24 offset:768
	s_waitcnt lgkmcnt(0)
	v_mul_f64 v[10:11], v[32:33], v[8:9]
	v_mul_f64 v[12:13], v[30:31], v[8:9]
	v_fma_f64 v[10:11], v[30:31], v[6:7], -v[10:11]
	v_fma_f64 v[12:13], v[32:33], v[6:7], v[12:13]
	v_add_f64 v[28:29], v[28:29], v[10:11]
	v_add_f64 v[26:27], v[12:13], v[26:27]
	ds_read_b128 v[10:13], v25 offset:2064
	s_waitcnt lgkmcnt(0)
	v_mul_f64 v[30:31], v[12:13], v[4:5]
	v_mul_f64 v[4:5], v[10:11], v[4:5]
	v_fma_f64 v[30:31], v[10:11], v[2:3], -v[30:31]
	v_fma_f64 v[2:3], v[12:13], v[2:3], v[4:5]
	v_mul_f64 v[4:5], v[10:11], v[8:9]
	v_add_f64 v[14:15], v[14:15], v[30:31]
	v_add_f64 v[16:17], v[2:3], v[16:17]
	v_mul_f64 v[2:3], v[12:13], v[8:9]
	v_fma_f64 v[4:5], v[12:13], v[6:7], v[4:5]
	v_fma_f64 v[2:3], v[10:11], v[6:7], -v[2:3]
	v_add_f64 v[32:33], v[4:5], v[44:45]
	v_add_f64 v[30:31], v[42:43], v[2:3]
	ds_read_b128 v[2:5], v24 offset:1024
	s_waitcnt lgkmcnt(0)
	v_mul_f64 v[6:7], v[36:37], v[4:5]
	v_mul_f64 v[8:9], v[34:35], v[4:5]
	v_fma_f64 v[6:7], v[34:35], v[2:3], -v[6:7]
	v_fma_f64 v[8:9], v[36:37], v[2:3], v[8:9]
	v_add_f64 v[42:43], v[46:47], v[6:7]
	v_add_f64 v[44:45], v[8:9], v[48:49]
	ds_read_b128 v[6:9], v24 offset:1280
	s_waitcnt lgkmcnt(0)
	v_mul_f64 v[10:11], v[36:37], v[8:9]
	v_mul_f64 v[12:13], v[34:35], v[8:9]
	v_fma_f64 v[10:11], v[34:35], v[6:7], -v[10:11]
	v_fma_f64 v[12:13], v[36:37], v[6:7], v[12:13]
	v_add_f64 v[28:29], v[28:29], v[10:11]
	v_add_f64 v[26:27], v[12:13], v[26:27]
	ds_read_b128 v[10:13], v25 offset:2080
	s_waitcnt lgkmcnt(0)
	v_mul_f64 v[34:35], v[12:13], v[4:5]
	v_mul_f64 v[4:5], v[10:11], v[4:5]
	v_fma_f64 v[34:35], v[10:11], v[2:3], -v[34:35]
	v_fma_f64 v[2:3], v[12:13], v[2:3], v[4:5]
	v_mul_f64 v[4:5], v[10:11], v[8:9]
	v_add_f64 v[14:15], v[14:15], v[34:35]
	v_add_f64 v[16:17], v[2:3], v[16:17]
	v_mul_f64 v[2:3], v[12:13], v[8:9]
	v_fma_f64 v[4:5], v[12:13], v[6:7], v[4:5]
	v_fma_f64 v[2:3], v[10:11], v[6:7], -v[2:3]
	v_add_f64 v[32:33], v[4:5], v[32:33]
	;; [unrolled: 30-line block ×3, first 2 shown]
	v_add_f64 v[30:31], v[30:31], v[2:3]
	ds_read_b128 v[2:5], v25 offset:64
	ds_read_b128 v[6:9], v24 offset:2048
	s_waitcnt lgkmcnt(0)
	v_mul_f64 v[10:11], v[4:5], v[8:9]
	v_mul_f64 v[12:13], v[2:3], v[8:9]
	v_fma_f64 v[10:11], v[2:3], v[6:7], -v[10:11]
	v_fma_f64 v[12:13], v[4:5], v[6:7], v[12:13]
	v_add_f64 v[34:35], v[34:35], v[10:11]
	v_add_f64 v[36:37], v[12:13], v[36:37]
	ds_read_b128 v[10:13], v24 offset:2304
	s_waitcnt lgkmcnt(0)
	v_mul_f64 v[38:39], v[4:5], v[12:13]
	v_fma_f64 v[38:39], v[2:3], v[10:11], -v[38:39]
	v_mul_f64 v[2:3], v[2:3], v[12:13]
	v_add_f64 v[28:29], v[28:29], v[38:39]
	v_fma_f64 v[2:3], v[4:5], v[10:11], v[2:3]
	v_add_f64 v[26:27], v[2:3], v[26:27]
	ds_read_b128 v[2:5], v25 offset:2112
	s_waitcnt lgkmcnt(0)
	v_mul_f64 v[38:39], v[4:5], v[8:9]
	v_mul_f64 v[8:9], v[2:3], v[8:9]
	v_fma_f64 v[38:39], v[2:3], v[6:7], -v[38:39]
	v_fma_f64 v[6:7], v[4:5], v[6:7], v[8:9]
	v_add_f64 v[14:15], v[14:15], v[38:39]
	v_add_f64 v[16:17], v[6:7], v[16:17]
	v_mul_f64 v[6:7], v[4:5], v[12:13]
	v_fma_f64 v[6:7], v[2:3], v[10:11], -v[6:7]
	v_mul_f64 v[2:3], v[2:3], v[12:13]
	v_add_f64 v[30:31], v[30:31], v[6:7]
	v_fma_f64 v[2:3], v[4:5], v[10:11], v[2:3]
	v_add_f64 v[32:33], v[2:3], v[32:33]
	ds_read_b128 v[2:5], v25 offset:80
	ds_read_b128 v[6:9], v24 offset:2560
	s_waitcnt lgkmcnt(0)
	v_mul_f64 v[10:11], v[4:5], v[8:9]
	v_mul_f64 v[12:13], v[2:3], v[8:9]
	v_fma_f64 v[10:11], v[2:3], v[6:7], -v[10:11]
	v_fma_f64 v[12:13], v[4:5], v[6:7], v[12:13]
	v_add_f64 v[34:35], v[34:35], v[10:11]
	v_add_f64 v[36:37], v[12:13], v[36:37]
	ds_read_b128 v[10:13], v24 offset:2816
	s_waitcnt lgkmcnt(0)
	v_mul_f64 v[38:39], v[4:5], v[12:13]
	v_fma_f64 v[38:39], v[2:3], v[10:11], -v[38:39]
	v_mul_f64 v[2:3], v[2:3], v[12:13]
	v_add_f64 v[28:29], v[28:29], v[38:39]
	v_fma_f64 v[2:3], v[4:5], v[10:11], v[2:3]
	v_add_f64 v[26:27], v[2:3], v[26:27]
	ds_read_b128 v[2:5], v25 offset:2128
	s_waitcnt lgkmcnt(0)
	v_mul_f64 v[38:39], v[4:5], v[8:9]
	v_mul_f64 v[8:9], v[2:3], v[8:9]
	v_fma_f64 v[38:39], v[2:3], v[6:7], -v[38:39]
	v_fma_f64 v[6:7], v[4:5], v[6:7], v[8:9]
	v_add_f64 v[14:15], v[14:15], v[38:39]
	v_add_f64 v[16:17], v[6:7], v[16:17]
	v_mul_f64 v[6:7], v[4:5], v[12:13]
	v_fma_f64 v[6:7], v[2:3], v[10:11], -v[6:7]
	v_mul_f64 v[2:3], v[2:3], v[12:13]
	v_add_f64 v[30:31], v[30:31], v[6:7]
	v_fma_f64 v[2:3], v[4:5], v[10:11], v[2:3]
	;; [unrolled: 31-line block ×3, first 2 shown]
	v_add_f64 v[44:45], v[2:3], v[32:33]
	ds_read_b128 v[2:5], v25 offset:112
	ds_read_b128 v[10:13], v24 offset:3584
	;; [unrolled: 1-line block ×3, first 2 shown]
	s_waitcnt lgkmcnt(1)
	v_mul_f64 v[6:7], v[4:5], v[12:13]
	s_waitcnt lgkmcnt(0)
	v_mul_f64 v[30:31], v[4:5], v[28:29]
	v_mul_f64 v[8:9], v[2:3], v[12:13]
	v_fma_f64 v[6:7], v[2:3], v[10:11], -v[6:7]
	v_fma_f64 v[30:31], v[2:3], v[26:27], -v[30:31]
	v_mul_f64 v[2:3], v[2:3], v[28:29]
	v_fma_f64 v[8:9], v[4:5], v[10:11], v[8:9]
	v_add_f64 v[6:7], v[34:35], v[6:7]
	v_fma_f64 v[4:5], v[4:5], v[26:27], v[2:3]
	v_add_f64 v[2:3], v[38:39], v[30:31]
	ds_read_b128 v[30:33], v25 offset:2160
	v_add_f64 v[8:9], v[8:9], v[36:37]
	s_waitcnt lgkmcnt(0)
	s_barrier
	v_mul_f64 v[34:35], v[32:33], v[12:13]
	v_mul_f64 v[12:13], v[30:31], v[12:13]
	v_add_f64 v[4:5], v[4:5], v[40:41]
	v_fma_f64 v[34:35], v[30:31], v[10:11], -v[34:35]
	v_fma_f64 v[10:11], v[32:33], v[10:11], v[12:13]
	v_mul_f64 v[12:13], v[30:31], v[28:29]
	v_add_f64 v[14:15], v[14:15], v[34:35]
	v_add_f64 v[16:17], v[10:11], v[16:17]
	v_mul_f64 v[10:11], v[32:33], v[28:29]
	v_fma_f64 v[12:13], v[32:33], v[26:27], v[12:13]
	v_fma_f64 v[10:11], v[30:31], v[26:27], -v[10:11]
	v_add_f64 v[12:13], v[12:13], v[44:45]
	v_add_f64 v[10:11], v[42:43], v[10:11]
	s_cbranch_scc0 .LBB711_2
	s_branch .LBB711_4
.LBB711_3:
	v_mov_b32_e32 v6, 0
	v_mov_b32_e32 v8, 0
	;; [unrolled: 1-line block ×16, first 2 shown]
.LBB711_4:
	s_load_dword s3, s[4:5], 0x40
	v_add_u32_e32 v18, s7, v1
	s_waitcnt lgkmcnt(0)
	v_mov_b32_e32 v1, s11
	v_add_u32_e32 v0, s6, v0
	v_cmp_gt_i32_e32 vcc, s2, v18
	v_mad_i64_i32 v[19:20], s[0:1], v18, s3, 0
	v_lshlrev_b64 v[19:20], 4, v[19:20]
	v_add_co_u32_e64 v19, s[0:1], s10, v19
	v_addc_co_u32_e64 v20, s[0:1], v1, v20, s[0:1]
	v_cmp_le_i32_e64 s[0:1], v0, v18
	s_and_b64 s[0:1], vcc, s[0:1]
	s_and_saveexec_b64 s[4:5], s[0:1]
	s_cbranch_execz .LBB711_6
; %bb.5:
	v_ashrrev_i32_e32 v1, 31, v0
	v_lshlrev_b64 v[21:22], 4, v[0:1]
	v_add_co_u32_e64 v21, s[0:1], v19, v21
	v_addc_co_u32_e64 v22, s[0:1], v20, v22, s[0:1]
	flat_store_dwordx4 v[21:22], v[6:9]
.LBB711_6:
	s_or_b64 exec, exec, s[4:5]
	v_add_u32_e32 v6, 16, v0
	v_cmp_le_i32_e64 s[0:1], v6, v18
	s_and_b64 s[4:5], vcc, s[0:1]
	s_and_saveexec_b64 s[0:1], s[4:5]
	s_cbranch_execz .LBB711_8
; %bb.7:
	v_ashrrev_i32_e32 v7, 31, v6
	v_lshlrev_b64 v[7:8], 4, v[6:7]
	v_add_co_u32_e32 v7, vcc, v19, v7
	v_addc_co_u32_e32 v8, vcc, v20, v8, vcc
	flat_store_dwordx4 v[7:8], v[2:5]
.LBB711_8:
	s_or_b64 exec, exec, s[0:1]
	v_add_u32_e32 v4, 16, v18
	v_mad_i64_i32 v[1:2], s[0:1], v4, s3, 0
	v_mov_b32_e32 v5, s11
	v_cmp_gt_i32_e32 vcc, s2, v4
	v_lshlrev_b64 v[2:3], 4, v[1:2]
	v_add_co_u32_e64 v2, s[0:1], s10, v2
	v_addc_co_u32_e64 v3, s[0:1], v5, v3, s[0:1]
	v_cmp_le_i32_e64 s[0:1], v0, v4
	s_and_b64 s[0:1], vcc, s[0:1]
	s_and_saveexec_b64 s[2:3], s[0:1]
	s_cbranch_execz .LBB711_10
; %bb.9:
	v_ashrrev_i32_e32 v1, 31, v0
	v_lshlrev_b64 v[0:1], 4, v[0:1]
	v_add_co_u32_e64 v0, s[0:1], v2, v0
	v_addc_co_u32_e64 v1, s[0:1], v3, v1, s[0:1]
	flat_store_dwordx4 v[0:1], v[14:17]
.LBB711_10:
	s_or_b64 exec, exec, s[2:3]
	v_cmp_le_i32_e64 s[0:1], v6, v4
	s_and_b64 s[0:1], vcc, s[0:1]
	s_and_saveexec_b64 s[2:3], s[0:1]
	s_cbranch_execz .LBB711_12
; %bb.11:
	v_ashrrev_i32_e32 v7, 31, v6
	v_lshlrev_b64 v[0:1], 4, v[6:7]
	v_add_co_u32_e32 v0, vcc, v2, v0
	v_addc_co_u32_e32 v1, vcc, v3, v1, vcc
	flat_store_dwordx4 v[0:1], v[10:13]
.LBB711_12:
	s_endpgm
	.section	.rodata,"a",@progbits
	.p2align	6, 0x0
	.amdhsa_kernel _ZL37rocblas_syrkx_herkx_restricted_kernelIi19rocblas_complex_numIdELi16ELi32ELi8ELi1ELi0ELb0ELc67ELc85EKPKS1_KPS1_EviT_PT9_S7_lS9_S7_lPT10_S7_li
		.amdhsa_group_segment_fixed_size 8192
		.amdhsa_private_segment_fixed_size 0
		.amdhsa_kernarg_size 84
		.amdhsa_user_sgpr_count 6
		.amdhsa_user_sgpr_private_segment_buffer 1
		.amdhsa_user_sgpr_dispatch_ptr 0
		.amdhsa_user_sgpr_queue_ptr 0
		.amdhsa_user_sgpr_kernarg_segment_ptr 1
		.amdhsa_user_sgpr_dispatch_id 0
		.amdhsa_user_sgpr_flat_scratch_init 0
		.amdhsa_user_sgpr_private_segment_size 0
		.amdhsa_uses_dynamic_stack 0
		.amdhsa_system_sgpr_private_segment_wavefront_offset 0
		.amdhsa_system_sgpr_workgroup_id_x 1
		.amdhsa_system_sgpr_workgroup_id_y 1
		.amdhsa_system_sgpr_workgroup_id_z 1
		.amdhsa_system_sgpr_workgroup_info 0
		.amdhsa_system_vgpr_workitem_id 1
		.amdhsa_next_free_vgpr 52
		.amdhsa_next_free_sgpr 61
		.amdhsa_reserve_vcc 1
		.amdhsa_reserve_flat_scratch 0
		.amdhsa_float_round_mode_32 0
		.amdhsa_float_round_mode_16_64 0
		.amdhsa_float_denorm_mode_32 3
		.amdhsa_float_denorm_mode_16_64 3
		.amdhsa_dx10_clamp 1
		.amdhsa_ieee_mode 1
		.amdhsa_fp16_overflow 0
		.amdhsa_exception_fp_ieee_invalid_op 0
		.amdhsa_exception_fp_denorm_src 0
		.amdhsa_exception_fp_ieee_div_zero 0
		.amdhsa_exception_fp_ieee_overflow 0
		.amdhsa_exception_fp_ieee_underflow 0
		.amdhsa_exception_fp_ieee_inexact 0
		.amdhsa_exception_int_div_zero 0
	.end_amdhsa_kernel
	.section	.text._ZL37rocblas_syrkx_herkx_restricted_kernelIi19rocblas_complex_numIdELi16ELi32ELi8ELi1ELi0ELb0ELc67ELc85EKPKS1_KPS1_EviT_PT9_S7_lS9_S7_lPT10_S7_li,"axG",@progbits,_ZL37rocblas_syrkx_herkx_restricted_kernelIi19rocblas_complex_numIdELi16ELi32ELi8ELi1ELi0ELb0ELc67ELc85EKPKS1_KPS1_EviT_PT9_S7_lS9_S7_lPT10_S7_li,comdat
.Lfunc_end711:
	.size	_ZL37rocblas_syrkx_herkx_restricted_kernelIi19rocblas_complex_numIdELi16ELi32ELi8ELi1ELi0ELb0ELc67ELc85EKPKS1_KPS1_EviT_PT9_S7_lS9_S7_lPT10_S7_li, .Lfunc_end711-_ZL37rocblas_syrkx_herkx_restricted_kernelIi19rocblas_complex_numIdELi16ELi32ELi8ELi1ELi0ELb0ELc67ELc85EKPKS1_KPS1_EviT_PT9_S7_lS9_S7_lPT10_S7_li
                                        ; -- End function
	.set _ZL37rocblas_syrkx_herkx_restricted_kernelIi19rocblas_complex_numIdELi16ELi32ELi8ELi1ELi0ELb0ELc67ELc85EKPKS1_KPS1_EviT_PT9_S7_lS9_S7_lPT10_S7_li.num_vgpr, 52
	.set _ZL37rocblas_syrkx_herkx_restricted_kernelIi19rocblas_complex_numIdELi16ELi32ELi8ELi1ELi0ELb0ELc67ELc85EKPKS1_KPS1_EviT_PT9_S7_lS9_S7_lPT10_S7_li.num_agpr, 0
	.set _ZL37rocblas_syrkx_herkx_restricted_kernelIi19rocblas_complex_numIdELi16ELi32ELi8ELi1ELi0ELb0ELc67ELc85EKPKS1_KPS1_EviT_PT9_S7_lS9_S7_lPT10_S7_li.numbered_sgpr, 17
	.set _ZL37rocblas_syrkx_herkx_restricted_kernelIi19rocblas_complex_numIdELi16ELi32ELi8ELi1ELi0ELb0ELc67ELc85EKPKS1_KPS1_EviT_PT9_S7_lS9_S7_lPT10_S7_li.num_named_barrier, 0
	.set _ZL37rocblas_syrkx_herkx_restricted_kernelIi19rocblas_complex_numIdELi16ELi32ELi8ELi1ELi0ELb0ELc67ELc85EKPKS1_KPS1_EviT_PT9_S7_lS9_S7_lPT10_S7_li.private_seg_size, 0
	.set _ZL37rocblas_syrkx_herkx_restricted_kernelIi19rocblas_complex_numIdELi16ELi32ELi8ELi1ELi0ELb0ELc67ELc85EKPKS1_KPS1_EviT_PT9_S7_lS9_S7_lPT10_S7_li.uses_vcc, 1
	.set _ZL37rocblas_syrkx_herkx_restricted_kernelIi19rocblas_complex_numIdELi16ELi32ELi8ELi1ELi0ELb0ELc67ELc85EKPKS1_KPS1_EviT_PT9_S7_lS9_S7_lPT10_S7_li.uses_flat_scratch, 0
	.set _ZL37rocblas_syrkx_herkx_restricted_kernelIi19rocblas_complex_numIdELi16ELi32ELi8ELi1ELi0ELb0ELc67ELc85EKPKS1_KPS1_EviT_PT9_S7_lS9_S7_lPT10_S7_li.has_dyn_sized_stack, 0
	.set _ZL37rocblas_syrkx_herkx_restricted_kernelIi19rocblas_complex_numIdELi16ELi32ELi8ELi1ELi0ELb0ELc67ELc85EKPKS1_KPS1_EviT_PT9_S7_lS9_S7_lPT10_S7_li.has_recursion, 0
	.set _ZL37rocblas_syrkx_herkx_restricted_kernelIi19rocblas_complex_numIdELi16ELi32ELi8ELi1ELi0ELb0ELc67ELc85EKPKS1_KPS1_EviT_PT9_S7_lS9_S7_lPT10_S7_li.has_indirect_call, 0
	.section	.AMDGPU.csdata,"",@progbits
; Kernel info:
; codeLenInByte = 2720
; TotalNumSgprs: 21
; NumVgprs: 52
; ScratchSize: 0
; MemoryBound: 0
; FloatMode: 240
; IeeeMode: 1
; LDSByteSize: 8192 bytes/workgroup (compile time only)
; SGPRBlocks: 8
; VGPRBlocks: 12
; NumSGPRsForWavesPerEU: 65
; NumVGPRsForWavesPerEU: 52
; Occupancy: 4
; WaveLimiterHint : 1
; COMPUTE_PGM_RSRC2:SCRATCH_EN: 0
; COMPUTE_PGM_RSRC2:USER_SGPR: 6
; COMPUTE_PGM_RSRC2:TRAP_HANDLER: 0
; COMPUTE_PGM_RSRC2:TGID_X_EN: 1
; COMPUTE_PGM_RSRC2:TGID_Y_EN: 1
; COMPUTE_PGM_RSRC2:TGID_Z_EN: 1
; COMPUTE_PGM_RSRC2:TIDIG_COMP_CNT: 1
	.section	.text._ZL37rocblas_syrkx_herkx_restricted_kernelIi19rocblas_complex_numIdELi16ELi32ELi8ELi1ELi0ELb0ELc78ELc85EKPKS1_KPS1_EviT_PT9_S7_lS9_S7_lPT10_S7_li,"axG",@progbits,_ZL37rocblas_syrkx_herkx_restricted_kernelIi19rocblas_complex_numIdELi16ELi32ELi8ELi1ELi0ELb0ELc78ELc85EKPKS1_KPS1_EviT_PT9_S7_lS9_S7_lPT10_S7_li,comdat
	.globl	_ZL37rocblas_syrkx_herkx_restricted_kernelIi19rocblas_complex_numIdELi16ELi32ELi8ELi1ELi0ELb0ELc78ELc85EKPKS1_KPS1_EviT_PT9_S7_lS9_S7_lPT10_S7_li ; -- Begin function _ZL37rocblas_syrkx_herkx_restricted_kernelIi19rocblas_complex_numIdELi16ELi32ELi8ELi1ELi0ELb0ELc78ELc85EKPKS1_KPS1_EviT_PT9_S7_lS9_S7_lPT10_S7_li
	.p2align	8
	.type	_ZL37rocblas_syrkx_herkx_restricted_kernelIi19rocblas_complex_numIdELi16ELi32ELi8ELi1ELi0ELb0ELc78ELc85EKPKS1_KPS1_EviT_PT9_S7_lS9_S7_lPT10_S7_li,@function
_ZL37rocblas_syrkx_herkx_restricted_kernelIi19rocblas_complex_numIdELi16ELi32ELi8ELi1ELi0ELb0ELc78ELc85EKPKS1_KPS1_EviT_PT9_S7_lS9_S7_lPT10_S7_li: ; @_ZL37rocblas_syrkx_herkx_restricted_kernelIi19rocblas_complex_numIdELi16ELi32ELi8ELi1ELi0ELb0ELc78ELc85EKPKS1_KPS1_EviT_PT9_S7_lS9_S7_lPT10_S7_li
; %bb.0:
	s_load_dwordx2 s[10:11], s[4:5], 0x38
	s_load_dwordx2 s[2:3], s[4:5], 0x0
	s_mov_b32 s9, 0
	s_lshl_b64 s[0:1], s[8:9], 3
	s_waitcnt lgkmcnt(0)
	s_add_u32 s10, s10, s0
	s_addc_u32 s11, s11, s1
	s_load_dwordx2 s[10:11], s[10:11], 0x0
	s_lshl_b32 s8, s6, 5
	s_lshl_b32 s12, s7, 5
	s_cmp_lt_i32 s3, 1
	s_cbranch_scc1 .LBB712_3
; %bb.1:
	s_load_dword s6, s[4:5], 0x10
	s_load_dword s14, s[4:5], 0x28
	s_load_dwordx2 s[16:17], s[4:5], 0x20
	s_load_dwordx2 s[18:19], s[4:5], 0x8
	v_lshl_add_u32 v5, v1, 4, v0
	s_waitcnt lgkmcnt(0)
	s_ashr_i32 s7, s6, 31
	s_ashr_i32 s15, s14, 31
	v_lshrrev_b32_e32 v6, 3, v5
	s_add_u32 s18, s18, s0
	s_addc_u32 s19, s19, s1
	s_add_u32 s0, s16, s0
	v_add_u32_e32 v2, s12, v6
	s_addc_u32 s1, s17, s1
	v_and_b32_e32 v4, 7, v0
	v_ashrrev_i32_e32 v3, 31, v2
	s_load_dwordx2 s[16:17], s[0:1], 0x0
	v_mad_i64_i32 v[2:3], s[0:1], s14, v4, v[2:3]
	v_lshlrev_b32_e32 v4, 4, v4
	v_lshrrev_b32_e32 v7, 5, v5
	v_and_b32_e32 v5, 31, v5
	v_lshl_or_b32 v4, v6, 7, v4
	v_add_u32_e32 v23, 0x1000, v4
	v_add_u32_e32 v4, s8, v5
	v_lshlrev_b32_e32 v8, 4, v5
	v_ashrrev_i32_e32 v5, 31, v4
	v_mad_i64_i32 v[4:5], s[0:1], s6, v7, v[4:5]
	s_load_dwordx2 s[18:19], s[18:19], 0x0
	v_mov_b32_e32 v6, 0x1000
	v_lshlrev_b64 v[4:5], 4, v[4:5]
	v_lshl_add_u32 v25, v1, 7, v6
	v_lshlrev_b64 v[2:3], 4, v[2:3]
	s_waitcnt lgkmcnt(0)
	v_mov_b32_e32 v6, s19
	v_add_co_u32_e32 v18, vcc, s18, v4
	v_addc_co_u32_e32 v19, vcc, v6, v5, vcc
	v_mov_b32_e32 v4, s17
	v_add_co_u32_e32 v20, vcc, s16, v2
	v_lshl_or_b32 v22, v7, 9, v8
	s_lshl_b64 s[0:1], s[6:7], 7
	v_addc_co_u32_e32 v21, vcc, v4, v3, vcc
	s_lshl_b64 s[6:7], s[14:15], 7
	v_mov_b32_e32 v8, 0
	v_mov_b32_e32 v6, 0
	;; [unrolled: 1-line block ×8, first 2 shown]
	v_lshlrev_b32_e32 v24, 4, v0
	v_mov_b32_e32 v9, 0
	v_mov_b32_e32 v26, s1
	;; [unrolled: 1-line block ×10, first 2 shown]
.LBB712_2:                              ; =>This Inner Loop Header: Depth=1
	flat_load_dwordx4 v[28:31], v[18:19]
	v_add_co_u32_e32 v18, vcc, s0, v18
	v_addc_co_u32_e32 v19, vcc, v19, v26, vcc
	s_add_i32 s9, s9, 8
	s_cmp_ge_i32 s9, s3
	s_waitcnt vmcnt(0) lgkmcnt(0)
	ds_write_b128 v22, v[28:31]
	flat_load_dwordx4 v[28:31], v[20:21]
	v_add_co_u32_e32 v20, vcc, s6, v20
	v_addc_co_u32_e32 v21, vcc, v21, v27, vcc
	s_waitcnt vmcnt(0) lgkmcnt(0)
	ds_write_b128 v23, v[28:31]
	s_waitcnt lgkmcnt(0)
	s_barrier
	ds_read_b128 v[28:31], v25
	ds_read_b128 v[32:35], v25 offset:16
	ds_read_b128 v[36:39], v25 offset:32
	;; [unrolled: 1-line block ×3, first 2 shown]
	ds_read_b128 v[44:47], v24
	s_waitcnt lgkmcnt(0)
	v_mul_f64 v[48:49], v[30:31], v[46:47]
	v_mul_f64 v[50:51], v[28:29], v[46:47]
	v_fma_f64 v[48:49], v[28:29], v[44:45], -v[48:49]
	v_fma_f64 v[50:51], v[30:31], v[44:45], v[50:51]
	v_add_f64 v[48:49], v[10:11], v[48:49]
	v_add_f64 v[50:51], v[50:51], v[12:13]
	ds_read_b128 v[10:13], v24 offset:256
	s_waitcnt lgkmcnt(0)
	v_mul_f64 v[52:53], v[30:31], v[12:13]
	v_fma_f64 v[52:53], v[28:29], v[10:11], -v[52:53]
	v_mul_f64 v[28:29], v[28:29], v[12:13]
	v_fma_f64 v[28:29], v[30:31], v[10:11], v[28:29]
	v_add_f64 v[30:31], v[2:3], v[52:53]
	v_add_f64 v[28:29], v[28:29], v[4:5]
	ds_read_b128 v[2:5], v25 offset:2048
	s_waitcnt lgkmcnt(0)
	v_mul_f64 v[52:53], v[4:5], v[46:47]
	v_mul_f64 v[46:47], v[2:3], v[46:47]
	v_fma_f64 v[52:53], v[2:3], v[44:45], -v[52:53]
	v_fma_f64 v[44:45], v[4:5], v[44:45], v[46:47]
	v_add_f64 v[14:15], v[14:15], v[52:53]
	v_add_f64 v[16:17], v[44:45], v[16:17]
	v_mul_f64 v[44:45], v[4:5], v[12:13]
	v_fma_f64 v[44:45], v[2:3], v[10:11], -v[44:45]
	v_mul_f64 v[2:3], v[2:3], v[12:13]
	v_add_f64 v[44:45], v[6:7], v[44:45]
	v_fma_f64 v[2:3], v[4:5], v[10:11], v[2:3]
	v_add_f64 v[46:47], v[2:3], v[8:9]
	ds_read_b128 v[2:5], v24 offset:512
	s_waitcnt lgkmcnt(0)
	v_mul_f64 v[6:7], v[34:35], v[4:5]
	v_mul_f64 v[8:9], v[32:33], v[4:5]
	v_fma_f64 v[6:7], v[32:33], v[2:3], -v[6:7]
	v_fma_f64 v[8:9], v[34:35], v[2:3], v[8:9]
	v_add_f64 v[48:49], v[48:49], v[6:7]
	v_add_f64 v[50:51], v[8:9], v[50:51]
	ds_read_b128 v[6:9], v24 offset:768
	s_waitcnt lgkmcnt(0)
	v_mul_f64 v[10:11], v[34:35], v[8:9]
	v_mul_f64 v[12:13], v[32:33], v[8:9]
	v_fma_f64 v[10:11], v[32:33], v[6:7], -v[10:11]
	v_fma_f64 v[12:13], v[34:35], v[6:7], v[12:13]
	v_add_f64 v[30:31], v[30:31], v[10:11]
	v_add_f64 v[28:29], v[12:13], v[28:29]
	ds_read_b128 v[10:13], v25 offset:2064
	s_waitcnt lgkmcnt(0)
	v_mul_f64 v[32:33], v[12:13], v[4:5]
	v_mul_f64 v[4:5], v[10:11], v[4:5]
	v_fma_f64 v[32:33], v[10:11], v[2:3], -v[32:33]
	v_fma_f64 v[2:3], v[12:13], v[2:3], v[4:5]
	v_mul_f64 v[4:5], v[10:11], v[8:9]
	v_add_f64 v[14:15], v[14:15], v[32:33]
	v_add_f64 v[16:17], v[2:3], v[16:17]
	v_mul_f64 v[2:3], v[12:13], v[8:9]
	v_fma_f64 v[4:5], v[12:13], v[6:7], v[4:5]
	v_fma_f64 v[2:3], v[10:11], v[6:7], -v[2:3]
	v_add_f64 v[34:35], v[4:5], v[46:47]
	v_add_f64 v[32:33], v[44:45], v[2:3]
	ds_read_b128 v[2:5], v24 offset:1024
	s_waitcnt lgkmcnt(0)
	v_mul_f64 v[6:7], v[38:39], v[4:5]
	v_mul_f64 v[8:9], v[36:37], v[4:5]
	v_fma_f64 v[6:7], v[36:37], v[2:3], -v[6:7]
	v_fma_f64 v[8:9], v[38:39], v[2:3], v[8:9]
	v_add_f64 v[44:45], v[48:49], v[6:7]
	v_add_f64 v[46:47], v[8:9], v[50:51]
	ds_read_b128 v[6:9], v24 offset:1280
	s_waitcnt lgkmcnt(0)
	v_mul_f64 v[10:11], v[38:39], v[8:9]
	v_mul_f64 v[12:13], v[36:37], v[8:9]
	v_fma_f64 v[10:11], v[36:37], v[6:7], -v[10:11]
	v_fma_f64 v[12:13], v[38:39], v[6:7], v[12:13]
	v_add_f64 v[30:31], v[30:31], v[10:11]
	v_add_f64 v[28:29], v[12:13], v[28:29]
	ds_read_b128 v[10:13], v25 offset:2080
	s_waitcnt lgkmcnt(0)
	v_mul_f64 v[36:37], v[12:13], v[4:5]
	v_mul_f64 v[4:5], v[10:11], v[4:5]
	v_fma_f64 v[36:37], v[10:11], v[2:3], -v[36:37]
	v_fma_f64 v[2:3], v[12:13], v[2:3], v[4:5]
	v_mul_f64 v[4:5], v[10:11], v[8:9]
	v_add_f64 v[14:15], v[14:15], v[36:37]
	v_add_f64 v[16:17], v[2:3], v[16:17]
	v_mul_f64 v[2:3], v[12:13], v[8:9]
	v_fma_f64 v[4:5], v[12:13], v[6:7], v[4:5]
	v_fma_f64 v[2:3], v[10:11], v[6:7], -v[2:3]
	v_add_f64 v[34:35], v[4:5], v[34:35]
	;; [unrolled: 30-line block ×3, first 2 shown]
	v_add_f64 v[32:33], v[32:33], v[2:3]
	ds_read_b128 v[2:5], v25 offset:64
	ds_read_b128 v[6:9], v24 offset:2048
	s_waitcnt lgkmcnt(0)
	v_mul_f64 v[10:11], v[4:5], v[8:9]
	v_mul_f64 v[12:13], v[2:3], v[8:9]
	v_fma_f64 v[10:11], v[2:3], v[6:7], -v[10:11]
	v_fma_f64 v[12:13], v[4:5], v[6:7], v[12:13]
	v_add_f64 v[36:37], v[36:37], v[10:11]
	v_add_f64 v[38:39], v[12:13], v[38:39]
	ds_read_b128 v[10:13], v24 offset:2304
	s_waitcnt lgkmcnt(0)
	v_mul_f64 v[40:41], v[4:5], v[12:13]
	v_fma_f64 v[40:41], v[2:3], v[10:11], -v[40:41]
	v_mul_f64 v[2:3], v[2:3], v[12:13]
	v_add_f64 v[30:31], v[30:31], v[40:41]
	v_fma_f64 v[2:3], v[4:5], v[10:11], v[2:3]
	v_add_f64 v[28:29], v[2:3], v[28:29]
	ds_read_b128 v[2:5], v25 offset:2112
	s_waitcnt lgkmcnt(0)
	v_mul_f64 v[40:41], v[4:5], v[8:9]
	v_mul_f64 v[8:9], v[2:3], v[8:9]
	v_fma_f64 v[40:41], v[2:3], v[6:7], -v[40:41]
	v_fma_f64 v[6:7], v[4:5], v[6:7], v[8:9]
	v_add_f64 v[14:15], v[14:15], v[40:41]
	v_add_f64 v[16:17], v[6:7], v[16:17]
	v_mul_f64 v[6:7], v[4:5], v[12:13]
	v_fma_f64 v[6:7], v[2:3], v[10:11], -v[6:7]
	v_mul_f64 v[2:3], v[2:3], v[12:13]
	v_add_f64 v[32:33], v[32:33], v[6:7]
	v_fma_f64 v[2:3], v[4:5], v[10:11], v[2:3]
	v_add_f64 v[34:35], v[2:3], v[34:35]
	ds_read_b128 v[2:5], v25 offset:80
	ds_read_b128 v[6:9], v24 offset:2560
	s_waitcnt lgkmcnt(0)
	v_mul_f64 v[10:11], v[4:5], v[8:9]
	v_mul_f64 v[12:13], v[2:3], v[8:9]
	v_fma_f64 v[10:11], v[2:3], v[6:7], -v[10:11]
	v_fma_f64 v[12:13], v[4:5], v[6:7], v[12:13]
	v_add_f64 v[36:37], v[36:37], v[10:11]
	v_add_f64 v[38:39], v[12:13], v[38:39]
	ds_read_b128 v[10:13], v24 offset:2816
	s_waitcnt lgkmcnt(0)
	v_mul_f64 v[40:41], v[4:5], v[12:13]
	v_fma_f64 v[40:41], v[2:3], v[10:11], -v[40:41]
	v_mul_f64 v[2:3], v[2:3], v[12:13]
	v_add_f64 v[30:31], v[30:31], v[40:41]
	v_fma_f64 v[2:3], v[4:5], v[10:11], v[2:3]
	v_add_f64 v[28:29], v[2:3], v[28:29]
	ds_read_b128 v[2:5], v25 offset:2128
	s_waitcnt lgkmcnt(0)
	v_mul_f64 v[40:41], v[4:5], v[8:9]
	v_mul_f64 v[8:9], v[2:3], v[8:9]
	v_fma_f64 v[40:41], v[2:3], v[6:7], -v[40:41]
	v_fma_f64 v[6:7], v[4:5], v[6:7], v[8:9]
	v_add_f64 v[14:15], v[14:15], v[40:41]
	v_add_f64 v[16:17], v[6:7], v[16:17]
	v_mul_f64 v[6:7], v[4:5], v[12:13]
	v_fma_f64 v[6:7], v[2:3], v[10:11], -v[6:7]
	v_mul_f64 v[2:3], v[2:3], v[12:13]
	v_add_f64 v[32:33], v[32:33], v[6:7]
	v_fma_f64 v[2:3], v[4:5], v[10:11], v[2:3]
	;; [unrolled: 31-line block ×3, first 2 shown]
	v_add_f64 v[46:47], v[2:3], v[34:35]
	ds_read_b128 v[2:5], v25 offset:112
	ds_read_b128 v[6:9], v24 offset:3584
	;; [unrolled: 1-line block ×3, first 2 shown]
	s_waitcnt lgkmcnt(1)
	v_mul_f64 v[10:11], v[4:5], v[8:9]
	s_waitcnt lgkmcnt(0)
	v_mul_f64 v[32:33], v[4:5], v[30:31]
	v_mul_f64 v[12:13], v[2:3], v[8:9]
	v_fma_f64 v[10:11], v[2:3], v[6:7], -v[10:11]
	v_fma_f64 v[32:33], v[2:3], v[28:29], -v[32:33]
	v_mul_f64 v[2:3], v[2:3], v[30:31]
	v_fma_f64 v[12:13], v[4:5], v[6:7], v[12:13]
	v_add_f64 v[10:11], v[36:37], v[10:11]
	v_fma_f64 v[4:5], v[4:5], v[28:29], v[2:3]
	v_add_f64 v[2:3], v[40:41], v[32:33]
	ds_read_b128 v[32:35], v25 offset:2160
	v_add_f64 v[12:13], v[12:13], v[38:39]
	s_waitcnt lgkmcnt(0)
	s_barrier
	v_mul_f64 v[36:37], v[34:35], v[8:9]
	v_mul_f64 v[8:9], v[32:33], v[8:9]
	v_add_f64 v[4:5], v[4:5], v[42:43]
	v_fma_f64 v[36:37], v[32:33], v[6:7], -v[36:37]
	v_fma_f64 v[6:7], v[34:35], v[6:7], v[8:9]
	v_mul_f64 v[8:9], v[32:33], v[30:31]
	v_add_f64 v[14:15], v[14:15], v[36:37]
	v_add_f64 v[16:17], v[6:7], v[16:17]
	v_mul_f64 v[6:7], v[34:35], v[30:31]
	v_fma_f64 v[8:9], v[34:35], v[28:29], v[8:9]
	v_fma_f64 v[6:7], v[32:33], v[28:29], -v[6:7]
	v_add_f64 v[8:9], v[8:9], v[46:47]
	v_add_f64 v[6:7], v[44:45], v[6:7]
	s_cbranch_scc0 .LBB712_2
	s_branch .LBB712_4
.LBB712_3:
	v_mov_b32_e32 v10, 0
	v_mov_b32_e32 v12, 0
	;; [unrolled: 1-line block ×16, first 2 shown]
.LBB712_4:
	s_load_dword s3, s[4:5], 0x40
	v_add_u32_e32 v18, s12, v1
	s_waitcnt lgkmcnt(0)
	v_mov_b32_e32 v1, s11
	v_add_u32_e32 v0, s8, v0
	v_cmp_gt_i32_e32 vcc, s2, v18
	v_mad_i64_i32 v[19:20], s[0:1], v18, s3, 0
	v_lshlrev_b64 v[19:20], 4, v[19:20]
	v_add_co_u32_e64 v19, s[0:1], s10, v19
	v_addc_co_u32_e64 v20, s[0:1], v1, v20, s[0:1]
	v_cmp_le_i32_e64 s[0:1], v0, v18
	s_and_b64 s[0:1], vcc, s[0:1]
	s_and_saveexec_b64 s[4:5], s[0:1]
	s_cbranch_execz .LBB712_6
; %bb.5:
	v_ashrrev_i32_e32 v1, 31, v0
	v_lshlrev_b64 v[21:22], 4, v[0:1]
	v_add_co_u32_e64 v21, s[0:1], v19, v21
	v_addc_co_u32_e64 v22, s[0:1], v20, v22, s[0:1]
	flat_store_dwordx4 v[21:22], v[10:13]
.LBB712_6:
	s_or_b64 exec, exec, s[4:5]
	v_add_u32_e32 v10, 16, v0
	v_cmp_le_i32_e64 s[0:1], v10, v18
	s_and_b64 s[4:5], vcc, s[0:1]
	s_and_saveexec_b64 s[0:1], s[4:5]
	s_cbranch_execz .LBB712_8
; %bb.7:
	v_ashrrev_i32_e32 v11, 31, v10
	v_lshlrev_b64 v[11:12], 4, v[10:11]
	v_add_co_u32_e32 v11, vcc, v19, v11
	v_addc_co_u32_e32 v12, vcc, v20, v12, vcc
	flat_store_dwordx4 v[11:12], v[2:5]
.LBB712_8:
	s_or_b64 exec, exec, s[0:1]
	v_add_u32_e32 v4, 16, v18
	v_mad_i64_i32 v[1:2], s[0:1], v4, s3, 0
	v_mov_b32_e32 v5, s11
	v_cmp_gt_i32_e32 vcc, s2, v4
	v_lshlrev_b64 v[2:3], 4, v[1:2]
	v_add_co_u32_e64 v2, s[0:1], s10, v2
	v_addc_co_u32_e64 v3, s[0:1], v5, v3, s[0:1]
	v_cmp_le_i32_e64 s[0:1], v0, v4
	s_and_b64 s[0:1], vcc, s[0:1]
	s_and_saveexec_b64 s[2:3], s[0:1]
	s_cbranch_execz .LBB712_10
; %bb.9:
	v_ashrrev_i32_e32 v1, 31, v0
	v_lshlrev_b64 v[0:1], 4, v[0:1]
	v_add_co_u32_e64 v0, s[0:1], v2, v0
	v_addc_co_u32_e64 v1, s[0:1], v3, v1, s[0:1]
	flat_store_dwordx4 v[0:1], v[14:17]
.LBB712_10:
	s_or_b64 exec, exec, s[2:3]
	v_cmp_le_i32_e64 s[0:1], v10, v4
	s_and_b64 s[0:1], vcc, s[0:1]
	s_and_saveexec_b64 s[2:3], s[0:1]
	s_cbranch_execz .LBB712_12
; %bb.11:
	v_ashrrev_i32_e32 v11, 31, v10
	v_lshlrev_b64 v[0:1], 4, v[10:11]
	v_add_co_u32_e32 v0, vcc, v2, v0
	v_addc_co_u32_e32 v1, vcc, v3, v1, vcc
	flat_store_dwordx4 v[0:1], v[6:9]
.LBB712_12:
	s_endpgm
	.section	.rodata,"a",@progbits
	.p2align	6, 0x0
	.amdhsa_kernel _ZL37rocblas_syrkx_herkx_restricted_kernelIi19rocblas_complex_numIdELi16ELi32ELi8ELi1ELi0ELb0ELc78ELc85EKPKS1_KPS1_EviT_PT9_S7_lS9_S7_lPT10_S7_li
		.amdhsa_group_segment_fixed_size 8192
		.amdhsa_private_segment_fixed_size 0
		.amdhsa_kernarg_size 84
		.amdhsa_user_sgpr_count 6
		.amdhsa_user_sgpr_private_segment_buffer 1
		.amdhsa_user_sgpr_dispatch_ptr 0
		.amdhsa_user_sgpr_queue_ptr 0
		.amdhsa_user_sgpr_kernarg_segment_ptr 1
		.amdhsa_user_sgpr_dispatch_id 0
		.amdhsa_user_sgpr_flat_scratch_init 0
		.amdhsa_user_sgpr_private_segment_size 0
		.amdhsa_uses_dynamic_stack 0
		.amdhsa_system_sgpr_private_segment_wavefront_offset 0
		.amdhsa_system_sgpr_workgroup_id_x 1
		.amdhsa_system_sgpr_workgroup_id_y 1
		.amdhsa_system_sgpr_workgroup_id_z 1
		.amdhsa_system_sgpr_workgroup_info 0
		.amdhsa_system_vgpr_workitem_id 1
		.amdhsa_next_free_vgpr 54
		.amdhsa_next_free_sgpr 61
		.amdhsa_reserve_vcc 1
		.amdhsa_reserve_flat_scratch 0
		.amdhsa_float_round_mode_32 0
		.amdhsa_float_round_mode_16_64 0
		.amdhsa_float_denorm_mode_32 3
		.amdhsa_float_denorm_mode_16_64 3
		.amdhsa_dx10_clamp 1
		.amdhsa_ieee_mode 1
		.amdhsa_fp16_overflow 0
		.amdhsa_exception_fp_ieee_invalid_op 0
		.amdhsa_exception_fp_denorm_src 0
		.amdhsa_exception_fp_ieee_div_zero 0
		.amdhsa_exception_fp_ieee_overflow 0
		.amdhsa_exception_fp_ieee_underflow 0
		.amdhsa_exception_fp_ieee_inexact 0
		.amdhsa_exception_int_div_zero 0
	.end_amdhsa_kernel
	.section	.text._ZL37rocblas_syrkx_herkx_restricted_kernelIi19rocblas_complex_numIdELi16ELi32ELi8ELi1ELi0ELb0ELc78ELc85EKPKS1_KPS1_EviT_PT9_S7_lS9_S7_lPT10_S7_li,"axG",@progbits,_ZL37rocblas_syrkx_herkx_restricted_kernelIi19rocblas_complex_numIdELi16ELi32ELi8ELi1ELi0ELb0ELc78ELc85EKPKS1_KPS1_EviT_PT9_S7_lS9_S7_lPT10_S7_li,comdat
.Lfunc_end712:
	.size	_ZL37rocblas_syrkx_herkx_restricted_kernelIi19rocblas_complex_numIdELi16ELi32ELi8ELi1ELi0ELb0ELc78ELc85EKPKS1_KPS1_EviT_PT9_S7_lS9_S7_lPT10_S7_li, .Lfunc_end712-_ZL37rocblas_syrkx_herkx_restricted_kernelIi19rocblas_complex_numIdELi16ELi32ELi8ELi1ELi0ELb0ELc78ELc85EKPKS1_KPS1_EviT_PT9_S7_lS9_S7_lPT10_S7_li
                                        ; -- End function
	.set _ZL37rocblas_syrkx_herkx_restricted_kernelIi19rocblas_complex_numIdELi16ELi32ELi8ELi1ELi0ELb0ELc78ELc85EKPKS1_KPS1_EviT_PT9_S7_lS9_S7_lPT10_S7_li.num_vgpr, 54
	.set _ZL37rocblas_syrkx_herkx_restricted_kernelIi19rocblas_complex_numIdELi16ELi32ELi8ELi1ELi0ELb0ELc78ELc85EKPKS1_KPS1_EviT_PT9_S7_lS9_S7_lPT10_S7_li.num_agpr, 0
	.set _ZL37rocblas_syrkx_herkx_restricted_kernelIi19rocblas_complex_numIdELi16ELi32ELi8ELi1ELi0ELb0ELc78ELc85EKPKS1_KPS1_EviT_PT9_S7_lS9_S7_lPT10_S7_li.numbered_sgpr, 20
	.set _ZL37rocblas_syrkx_herkx_restricted_kernelIi19rocblas_complex_numIdELi16ELi32ELi8ELi1ELi0ELb0ELc78ELc85EKPKS1_KPS1_EviT_PT9_S7_lS9_S7_lPT10_S7_li.num_named_barrier, 0
	.set _ZL37rocblas_syrkx_herkx_restricted_kernelIi19rocblas_complex_numIdELi16ELi32ELi8ELi1ELi0ELb0ELc78ELc85EKPKS1_KPS1_EviT_PT9_S7_lS9_S7_lPT10_S7_li.private_seg_size, 0
	.set _ZL37rocblas_syrkx_herkx_restricted_kernelIi19rocblas_complex_numIdELi16ELi32ELi8ELi1ELi0ELb0ELc78ELc85EKPKS1_KPS1_EviT_PT9_S7_lS9_S7_lPT10_S7_li.uses_vcc, 1
	.set _ZL37rocblas_syrkx_herkx_restricted_kernelIi19rocblas_complex_numIdELi16ELi32ELi8ELi1ELi0ELb0ELc78ELc85EKPKS1_KPS1_EviT_PT9_S7_lS9_S7_lPT10_S7_li.uses_flat_scratch, 0
	.set _ZL37rocblas_syrkx_herkx_restricted_kernelIi19rocblas_complex_numIdELi16ELi32ELi8ELi1ELi0ELb0ELc78ELc85EKPKS1_KPS1_EviT_PT9_S7_lS9_S7_lPT10_S7_li.has_dyn_sized_stack, 0
	.set _ZL37rocblas_syrkx_herkx_restricted_kernelIi19rocblas_complex_numIdELi16ELi32ELi8ELi1ELi0ELb0ELc78ELc85EKPKS1_KPS1_EviT_PT9_S7_lS9_S7_lPT10_S7_li.has_recursion, 0
	.set _ZL37rocblas_syrkx_herkx_restricted_kernelIi19rocblas_complex_numIdELi16ELi32ELi8ELi1ELi0ELb0ELc78ELc85EKPKS1_KPS1_EviT_PT9_S7_lS9_S7_lPT10_S7_li.has_indirect_call, 0
	.section	.AMDGPU.csdata,"",@progbits
; Kernel info:
; codeLenInByte = 2736
; TotalNumSgprs: 24
; NumVgprs: 54
; ScratchSize: 0
; MemoryBound: 0
; FloatMode: 240
; IeeeMode: 1
; LDSByteSize: 8192 bytes/workgroup (compile time only)
; SGPRBlocks: 8
; VGPRBlocks: 13
; NumSGPRsForWavesPerEU: 65
; NumVGPRsForWavesPerEU: 54
; Occupancy: 4
; WaveLimiterHint : 1
; COMPUTE_PGM_RSRC2:SCRATCH_EN: 0
; COMPUTE_PGM_RSRC2:USER_SGPR: 6
; COMPUTE_PGM_RSRC2:TRAP_HANDLER: 0
; COMPUTE_PGM_RSRC2:TGID_X_EN: 1
; COMPUTE_PGM_RSRC2:TGID_Y_EN: 1
; COMPUTE_PGM_RSRC2:TGID_Z_EN: 1
; COMPUTE_PGM_RSRC2:TIDIG_COMP_CNT: 1
	.section	.text._ZL37rocblas_syrkx_herkx_restricted_kernelIi19rocblas_complex_numIdELi16ELi32ELi8ELin1ELi0ELb0ELc84ELc76EKPKS1_KPS1_EviT_PT9_S7_lS9_S7_lPT10_S7_li,"axG",@progbits,_ZL37rocblas_syrkx_herkx_restricted_kernelIi19rocblas_complex_numIdELi16ELi32ELi8ELin1ELi0ELb0ELc84ELc76EKPKS1_KPS1_EviT_PT9_S7_lS9_S7_lPT10_S7_li,comdat
	.globl	_ZL37rocblas_syrkx_herkx_restricted_kernelIi19rocblas_complex_numIdELi16ELi32ELi8ELin1ELi0ELb0ELc84ELc76EKPKS1_KPS1_EviT_PT9_S7_lS9_S7_lPT10_S7_li ; -- Begin function _ZL37rocblas_syrkx_herkx_restricted_kernelIi19rocblas_complex_numIdELi16ELi32ELi8ELin1ELi0ELb0ELc84ELc76EKPKS1_KPS1_EviT_PT9_S7_lS9_S7_lPT10_S7_li
	.p2align	8
	.type	_ZL37rocblas_syrkx_herkx_restricted_kernelIi19rocblas_complex_numIdELi16ELi32ELi8ELin1ELi0ELb0ELc84ELc76EKPKS1_KPS1_EviT_PT9_S7_lS9_S7_lPT10_S7_li,@function
_ZL37rocblas_syrkx_herkx_restricted_kernelIi19rocblas_complex_numIdELi16ELi32ELi8ELin1ELi0ELb0ELc84ELc76EKPKS1_KPS1_EviT_PT9_S7_lS9_S7_lPT10_S7_li: ; @_ZL37rocblas_syrkx_herkx_restricted_kernelIi19rocblas_complex_numIdELi16ELi32ELi8ELin1ELi0ELb0ELc84ELc76EKPKS1_KPS1_EviT_PT9_S7_lS9_S7_lPT10_S7_li
; %bb.0:
	s_load_dwordx2 s[2:3], s[4:5], 0x38
	s_load_dwordx2 s[12:13], s[4:5], 0x0
	s_mov_b32 s9, 0
	s_lshl_b64 s[0:1], s[8:9], 3
	s_waitcnt lgkmcnt(0)
	s_add_u32 s2, s2, s0
	s_addc_u32 s3, s3, s1
	s_load_dwordx2 s[10:11], s[2:3], 0x0
	s_lshl_b32 s2, s6, 5
	s_lshl_b32 s3, s7, 5
	s_cmp_lt_i32 s13, 1
	s_cbranch_scc1 .LBB713_3
; %bb.1:
	s_load_dwordx2 s[6:7], s[4:5], 0x8
	s_load_dword s8, s[4:5], 0x10
	s_load_dwordx2 s[14:15], s[4:5], 0x20
	s_load_dword s16, s[4:5], 0x28
	v_lshl_add_u32 v6, v1, 4, v0
	s_waitcnt lgkmcnt(0)
	s_add_u32 s6, s6, s0
	s_addc_u32 s7, s7, s1
	v_lshrrev_b32_e32 v8, 3, v6
	s_add_u32 s0, s14, s0
	v_add_u32_e32 v4, s3, v8
	v_and_b32_e32 v2, 7, v0
	v_mov_b32_e32 v3, 0
	s_addc_u32 s1, s15, s1
	v_mad_i64_i32 v[4:5], s[14:15], s16, v4, v[2:3]
	v_and_b32_e32 v9, 31, v6
	v_lshlrev_b32_e32 v2, 4, v2
	v_lshrrev_b32_e32 v6, 5, v6
	v_mov_b32_e32 v7, v3
	v_lshlrev_b32_e32 v3, 4, v9
	v_lshl_or_b32 v8, v8, 7, v2
	v_add_u32_e32 v2, s2, v9
	v_lshl_or_b32 v22, v6, 9, v3
	v_mad_i64_i32 v[2:3], s[14:15], s8, v2, v[6:7]
	s_load_dwordx2 s[6:7], s[6:7], 0x0
	v_add_u32_e32 v23, 0x1000, v8
	s_load_dwordx2 s[0:1], s[0:1], 0x0
	v_lshlrev_b64 v[2:3], 4, v[2:3]
	v_mov_b32_e32 v25, 0x1000
	s_waitcnt lgkmcnt(0)
	v_mov_b32_e32 v6, s7
	v_add_co_u32_e32 v18, vcc, s6, v2
	v_addc_co_u32_e32 v19, vcc, v6, v3, vcc
	v_lshlrev_b64 v[2:3], 4, v[4:5]
	v_mov_b32_e32 v4, s1
	v_add_co_u32_e32 v20, vcc, s0, v2
	v_addc_co_u32_e32 v21, vcc, v4, v3, vcc
	v_mov_b32_e32 v8, 0
	v_mov_b32_e32 v6, 0
	;; [unrolled: 1-line block ×8, first 2 shown]
	v_lshlrev_b32_e32 v24, 4, v0
	v_mov_b32_e32 v9, 0
	v_mov_b32_e32 v7, 0
	;; [unrolled: 1-line block ×8, first 2 shown]
	v_lshl_add_u32 v25, v1, 7, v25
.LBB713_2:                              ; =>This Inner Loop Header: Depth=1
	flat_load_dwordx4 v[26:29], v[18:19]
	v_add_co_u32_e32 v18, vcc, 0x80, v18
	v_addc_co_u32_e32 v19, vcc, 0, v19, vcc
	s_add_i32 s9, s9, 8
	s_cmp_ge_i32 s9, s13
	s_waitcnt vmcnt(0) lgkmcnt(0)
	ds_write_b128 v22, v[26:29]
	flat_load_dwordx4 v[26:29], v[20:21]
	v_add_co_u32_e32 v20, vcc, 0x80, v20
	v_addc_co_u32_e32 v21, vcc, 0, v21, vcc
	s_waitcnt vmcnt(0) lgkmcnt(0)
	ds_write_b128 v23, v[26:29]
	s_waitcnt lgkmcnt(0)
	s_barrier
	ds_read_b128 v[26:29], v25
	ds_read_b128 v[30:33], v25 offset:16
	ds_read_b128 v[34:37], v25 offset:32
	;; [unrolled: 1-line block ×3, first 2 shown]
	ds_read_b128 v[42:45], v24
	s_waitcnt lgkmcnt(0)
	v_mul_f64 v[46:47], v[28:29], v[44:45]
	v_mul_f64 v[48:49], v[26:27], v[44:45]
	v_fma_f64 v[46:47], v[26:27], v[42:43], -v[46:47]
	v_fma_f64 v[48:49], v[28:29], v[42:43], v[48:49]
	v_add_f64 v[46:47], v[10:11], v[46:47]
	v_add_f64 v[48:49], v[48:49], v[12:13]
	ds_read_b128 v[10:13], v24 offset:256
	s_waitcnt lgkmcnt(0)
	v_mul_f64 v[50:51], v[28:29], v[12:13]
	v_fma_f64 v[50:51], v[26:27], v[10:11], -v[50:51]
	v_mul_f64 v[26:27], v[26:27], v[12:13]
	v_fma_f64 v[26:27], v[28:29], v[10:11], v[26:27]
	v_add_f64 v[28:29], v[2:3], v[50:51]
	v_add_f64 v[26:27], v[26:27], v[4:5]
	ds_read_b128 v[2:5], v25 offset:2048
	s_waitcnt lgkmcnt(0)
	v_mul_f64 v[50:51], v[4:5], v[44:45]
	v_mul_f64 v[44:45], v[2:3], v[44:45]
	v_fma_f64 v[50:51], v[2:3], v[42:43], -v[50:51]
	v_fma_f64 v[42:43], v[4:5], v[42:43], v[44:45]
	v_add_f64 v[14:15], v[14:15], v[50:51]
	v_add_f64 v[16:17], v[42:43], v[16:17]
	v_mul_f64 v[42:43], v[4:5], v[12:13]
	v_fma_f64 v[42:43], v[2:3], v[10:11], -v[42:43]
	v_mul_f64 v[2:3], v[2:3], v[12:13]
	v_add_f64 v[42:43], v[6:7], v[42:43]
	v_fma_f64 v[2:3], v[4:5], v[10:11], v[2:3]
	v_add_f64 v[44:45], v[2:3], v[8:9]
	ds_read_b128 v[2:5], v24 offset:512
	s_waitcnt lgkmcnt(0)
	v_mul_f64 v[6:7], v[32:33], v[4:5]
	v_mul_f64 v[8:9], v[30:31], v[4:5]
	v_fma_f64 v[6:7], v[30:31], v[2:3], -v[6:7]
	v_fma_f64 v[8:9], v[32:33], v[2:3], v[8:9]
	v_add_f64 v[46:47], v[46:47], v[6:7]
	v_add_f64 v[48:49], v[8:9], v[48:49]
	ds_read_b128 v[6:9], v24 offset:768
	s_waitcnt lgkmcnt(0)
	v_mul_f64 v[10:11], v[32:33], v[8:9]
	v_mul_f64 v[12:13], v[30:31], v[8:9]
	v_fma_f64 v[10:11], v[30:31], v[6:7], -v[10:11]
	v_fma_f64 v[12:13], v[32:33], v[6:7], v[12:13]
	v_add_f64 v[28:29], v[28:29], v[10:11]
	v_add_f64 v[26:27], v[12:13], v[26:27]
	ds_read_b128 v[10:13], v25 offset:2064
	s_waitcnt lgkmcnt(0)
	v_mul_f64 v[30:31], v[12:13], v[4:5]
	v_mul_f64 v[4:5], v[10:11], v[4:5]
	v_fma_f64 v[30:31], v[10:11], v[2:3], -v[30:31]
	v_fma_f64 v[2:3], v[12:13], v[2:3], v[4:5]
	v_mul_f64 v[4:5], v[10:11], v[8:9]
	v_add_f64 v[14:15], v[14:15], v[30:31]
	v_add_f64 v[16:17], v[2:3], v[16:17]
	v_mul_f64 v[2:3], v[12:13], v[8:9]
	v_fma_f64 v[4:5], v[12:13], v[6:7], v[4:5]
	v_fma_f64 v[2:3], v[10:11], v[6:7], -v[2:3]
	v_add_f64 v[32:33], v[4:5], v[44:45]
	v_add_f64 v[30:31], v[42:43], v[2:3]
	ds_read_b128 v[2:5], v24 offset:1024
	s_waitcnt lgkmcnt(0)
	v_mul_f64 v[6:7], v[36:37], v[4:5]
	v_mul_f64 v[8:9], v[34:35], v[4:5]
	v_fma_f64 v[6:7], v[34:35], v[2:3], -v[6:7]
	v_fma_f64 v[8:9], v[36:37], v[2:3], v[8:9]
	v_add_f64 v[42:43], v[46:47], v[6:7]
	v_add_f64 v[44:45], v[8:9], v[48:49]
	ds_read_b128 v[6:9], v24 offset:1280
	s_waitcnt lgkmcnt(0)
	v_mul_f64 v[10:11], v[36:37], v[8:9]
	v_mul_f64 v[12:13], v[34:35], v[8:9]
	v_fma_f64 v[10:11], v[34:35], v[6:7], -v[10:11]
	v_fma_f64 v[12:13], v[36:37], v[6:7], v[12:13]
	v_add_f64 v[28:29], v[28:29], v[10:11]
	v_add_f64 v[26:27], v[12:13], v[26:27]
	ds_read_b128 v[10:13], v25 offset:2080
	s_waitcnt lgkmcnt(0)
	v_mul_f64 v[34:35], v[12:13], v[4:5]
	v_mul_f64 v[4:5], v[10:11], v[4:5]
	v_fma_f64 v[34:35], v[10:11], v[2:3], -v[34:35]
	v_fma_f64 v[2:3], v[12:13], v[2:3], v[4:5]
	v_mul_f64 v[4:5], v[10:11], v[8:9]
	v_add_f64 v[14:15], v[14:15], v[34:35]
	v_add_f64 v[16:17], v[2:3], v[16:17]
	v_mul_f64 v[2:3], v[12:13], v[8:9]
	v_fma_f64 v[4:5], v[12:13], v[6:7], v[4:5]
	v_fma_f64 v[2:3], v[10:11], v[6:7], -v[2:3]
	v_add_f64 v[32:33], v[4:5], v[32:33]
	;; [unrolled: 30-line block ×3, first 2 shown]
	v_add_f64 v[30:31], v[30:31], v[2:3]
	ds_read_b128 v[2:5], v25 offset:64
	ds_read_b128 v[6:9], v24 offset:2048
	s_waitcnt lgkmcnt(0)
	v_mul_f64 v[10:11], v[4:5], v[8:9]
	v_mul_f64 v[12:13], v[2:3], v[8:9]
	v_fma_f64 v[10:11], v[2:3], v[6:7], -v[10:11]
	v_fma_f64 v[12:13], v[4:5], v[6:7], v[12:13]
	v_add_f64 v[34:35], v[34:35], v[10:11]
	v_add_f64 v[36:37], v[12:13], v[36:37]
	ds_read_b128 v[10:13], v24 offset:2304
	s_waitcnt lgkmcnt(0)
	v_mul_f64 v[38:39], v[4:5], v[12:13]
	v_fma_f64 v[38:39], v[2:3], v[10:11], -v[38:39]
	v_mul_f64 v[2:3], v[2:3], v[12:13]
	v_add_f64 v[28:29], v[28:29], v[38:39]
	v_fma_f64 v[2:3], v[4:5], v[10:11], v[2:3]
	v_add_f64 v[26:27], v[2:3], v[26:27]
	ds_read_b128 v[2:5], v25 offset:2112
	s_waitcnt lgkmcnt(0)
	v_mul_f64 v[38:39], v[4:5], v[8:9]
	v_mul_f64 v[8:9], v[2:3], v[8:9]
	v_fma_f64 v[38:39], v[2:3], v[6:7], -v[38:39]
	v_fma_f64 v[6:7], v[4:5], v[6:7], v[8:9]
	v_add_f64 v[14:15], v[14:15], v[38:39]
	v_add_f64 v[16:17], v[6:7], v[16:17]
	v_mul_f64 v[6:7], v[4:5], v[12:13]
	v_fma_f64 v[6:7], v[2:3], v[10:11], -v[6:7]
	v_mul_f64 v[2:3], v[2:3], v[12:13]
	v_add_f64 v[30:31], v[30:31], v[6:7]
	v_fma_f64 v[2:3], v[4:5], v[10:11], v[2:3]
	v_add_f64 v[32:33], v[2:3], v[32:33]
	ds_read_b128 v[2:5], v25 offset:80
	ds_read_b128 v[6:9], v24 offset:2560
	s_waitcnt lgkmcnt(0)
	v_mul_f64 v[10:11], v[4:5], v[8:9]
	v_mul_f64 v[12:13], v[2:3], v[8:9]
	v_fma_f64 v[10:11], v[2:3], v[6:7], -v[10:11]
	v_fma_f64 v[12:13], v[4:5], v[6:7], v[12:13]
	v_add_f64 v[34:35], v[34:35], v[10:11]
	v_add_f64 v[36:37], v[12:13], v[36:37]
	ds_read_b128 v[10:13], v24 offset:2816
	s_waitcnt lgkmcnt(0)
	v_mul_f64 v[38:39], v[4:5], v[12:13]
	v_fma_f64 v[38:39], v[2:3], v[10:11], -v[38:39]
	v_mul_f64 v[2:3], v[2:3], v[12:13]
	v_add_f64 v[28:29], v[28:29], v[38:39]
	v_fma_f64 v[2:3], v[4:5], v[10:11], v[2:3]
	v_add_f64 v[26:27], v[2:3], v[26:27]
	ds_read_b128 v[2:5], v25 offset:2128
	s_waitcnt lgkmcnt(0)
	v_mul_f64 v[38:39], v[4:5], v[8:9]
	v_mul_f64 v[8:9], v[2:3], v[8:9]
	v_fma_f64 v[38:39], v[2:3], v[6:7], -v[38:39]
	v_fma_f64 v[6:7], v[4:5], v[6:7], v[8:9]
	v_add_f64 v[14:15], v[14:15], v[38:39]
	v_add_f64 v[16:17], v[6:7], v[16:17]
	v_mul_f64 v[6:7], v[4:5], v[12:13]
	v_fma_f64 v[6:7], v[2:3], v[10:11], -v[6:7]
	v_mul_f64 v[2:3], v[2:3], v[12:13]
	v_add_f64 v[30:31], v[30:31], v[6:7]
	v_fma_f64 v[2:3], v[4:5], v[10:11], v[2:3]
	;; [unrolled: 31-line block ×3, first 2 shown]
	v_add_f64 v[44:45], v[2:3], v[32:33]
	ds_read_b128 v[2:5], v25 offset:112
	ds_read_b128 v[6:9], v24 offset:3584
	ds_read_b128 v[26:29], v24 offset:3840
	s_waitcnt lgkmcnt(1)
	v_mul_f64 v[10:11], v[4:5], v[8:9]
	s_waitcnt lgkmcnt(0)
	v_mul_f64 v[30:31], v[4:5], v[28:29]
	v_mul_f64 v[12:13], v[2:3], v[8:9]
	v_fma_f64 v[10:11], v[2:3], v[6:7], -v[10:11]
	v_fma_f64 v[30:31], v[2:3], v[26:27], -v[30:31]
	v_mul_f64 v[2:3], v[2:3], v[28:29]
	v_fma_f64 v[12:13], v[4:5], v[6:7], v[12:13]
	v_add_f64 v[10:11], v[34:35], v[10:11]
	v_fma_f64 v[4:5], v[4:5], v[26:27], v[2:3]
	v_add_f64 v[2:3], v[38:39], v[30:31]
	ds_read_b128 v[30:33], v25 offset:2160
	v_add_f64 v[12:13], v[12:13], v[36:37]
	s_waitcnt lgkmcnt(0)
	s_barrier
	v_mul_f64 v[34:35], v[32:33], v[8:9]
	v_mul_f64 v[8:9], v[30:31], v[8:9]
	v_add_f64 v[4:5], v[4:5], v[40:41]
	v_fma_f64 v[34:35], v[30:31], v[6:7], -v[34:35]
	v_fma_f64 v[6:7], v[32:33], v[6:7], v[8:9]
	v_mul_f64 v[8:9], v[30:31], v[28:29]
	v_add_f64 v[14:15], v[14:15], v[34:35]
	v_add_f64 v[16:17], v[6:7], v[16:17]
	v_mul_f64 v[6:7], v[32:33], v[28:29]
	v_fma_f64 v[8:9], v[32:33], v[26:27], v[8:9]
	v_fma_f64 v[6:7], v[30:31], v[26:27], -v[6:7]
	v_add_f64 v[8:9], v[8:9], v[44:45]
	v_add_f64 v[6:7], v[42:43], v[6:7]
	s_cbranch_scc0 .LBB713_2
	s_branch .LBB713_4
.LBB713_3:
	v_mov_b32_e32 v10, 0
	v_mov_b32_e32 v12, 0
	;; [unrolled: 1-line block ×16, first 2 shown]
.LBB713_4:
	s_load_dword s6, s[4:5], 0x40
	v_add_u32_e32 v18, s3, v1
	s_waitcnt lgkmcnt(0)
	v_mov_b32_e32 v1, s11
	v_add_u32_e32 v0, s2, v0
	v_mad_i64_i32 v[19:20], s[0:1], v18, s6, 0
	v_cmp_le_i32_e64 s[0:1], v18, v0
	v_lshlrev_b64 v[19:20], 4, v[19:20]
	v_add_co_u32_e32 v19, vcc, s10, v19
	v_addc_co_u32_e32 v20, vcc, v1, v20, vcc
	v_cmp_gt_i32_e32 vcc, s12, v0
	s_and_b64 s[0:1], s[0:1], vcc
	s_and_saveexec_b64 s[2:3], s[0:1]
	s_cbranch_execz .LBB713_6
; %bb.5:
	v_ashrrev_i32_e32 v1, 31, v0
	v_lshlrev_b64 v[21:22], 4, v[0:1]
	v_xor_b32_e32 v11, 0x80000000, v11
	v_add_co_u32_e64 v21, s[0:1], v19, v21
	v_xor_b32_e32 v13, 0x80000000, v13
	v_addc_co_u32_e64 v22, s[0:1], v20, v22, s[0:1]
	flat_store_dwordx4 v[21:22], v[10:13]
.LBB713_6:
	s_or_b64 exec, exec, s[2:3]
	v_add_u32_e32 v10, 16, v0
	v_cmp_le_i32_e64 s[2:3], v18, v10
	v_cmp_gt_i32_e64 s[0:1], s12, v10
	s_and_b64 s[2:3], s[2:3], s[0:1]
	s_and_saveexec_b64 s[4:5], s[2:3]
	s_cbranch_execz .LBB713_8
; %bb.7:
	v_ashrrev_i32_e32 v11, 31, v10
	v_lshlrev_b64 v[11:12], 4, v[10:11]
	v_xor_b32_e32 v3, 0x80000000, v3
	v_add_co_u32_e64 v11, s[2:3], v19, v11
	v_xor_b32_e32 v5, 0x80000000, v5
	v_addc_co_u32_e64 v12, s[2:3], v20, v12, s[2:3]
	flat_store_dwordx4 v[11:12], v[2:5]
.LBB713_8:
	s_or_b64 exec, exec, s[4:5]
	v_add_u32_e32 v4, 16, v18
	v_mad_i64_i32 v[1:2], s[2:3], v4, s6, 0
	v_mov_b32_e32 v5, s11
	v_lshlrev_b64 v[2:3], 4, v[1:2]
	v_add_co_u32_e64 v2, s[2:3], s10, v2
	v_addc_co_u32_e64 v3, s[2:3], v5, v3, s[2:3]
	v_cmp_le_i32_e64 s[2:3], v4, v0
	s_and_b64 s[4:5], s[2:3], vcc
	s_and_saveexec_b64 s[2:3], s[4:5]
	s_cbranch_execz .LBB713_10
; %bb.9:
	v_ashrrev_i32_e32 v1, 31, v0
	v_lshlrev_b64 v[0:1], 4, v[0:1]
	v_xor_b32_e32 v15, 0x80000000, v15
	v_add_co_u32_e32 v0, vcc, v2, v0
	v_xor_b32_e32 v17, 0x80000000, v17
	v_addc_co_u32_e32 v1, vcc, v3, v1, vcc
	flat_store_dwordx4 v[0:1], v[14:17]
.LBB713_10:
	s_or_b64 exec, exec, s[2:3]
	v_cmp_le_i32_e32 vcc, v4, v10
	s_and_b64 s[0:1], vcc, s[0:1]
	s_and_saveexec_b64 s[2:3], s[0:1]
	s_cbranch_execz .LBB713_12
; %bb.11:
	v_ashrrev_i32_e32 v11, 31, v10
	v_lshlrev_b64 v[0:1], 4, v[10:11]
	v_xor_b32_e32 v7, 0x80000000, v7
	v_add_co_u32_e32 v0, vcc, v2, v0
	v_xor_b32_e32 v9, 0x80000000, v9
	v_addc_co_u32_e32 v1, vcc, v3, v1, vcc
	flat_store_dwordx4 v[0:1], v[6:9]
.LBB713_12:
	s_endpgm
	.section	.rodata,"a",@progbits
	.p2align	6, 0x0
	.amdhsa_kernel _ZL37rocblas_syrkx_herkx_restricted_kernelIi19rocblas_complex_numIdELi16ELi32ELi8ELin1ELi0ELb0ELc84ELc76EKPKS1_KPS1_EviT_PT9_S7_lS9_S7_lPT10_S7_li
		.amdhsa_group_segment_fixed_size 8192
		.amdhsa_private_segment_fixed_size 0
		.amdhsa_kernarg_size 84
		.amdhsa_user_sgpr_count 6
		.amdhsa_user_sgpr_private_segment_buffer 1
		.amdhsa_user_sgpr_dispatch_ptr 0
		.amdhsa_user_sgpr_queue_ptr 0
		.amdhsa_user_sgpr_kernarg_segment_ptr 1
		.amdhsa_user_sgpr_dispatch_id 0
		.amdhsa_user_sgpr_flat_scratch_init 0
		.amdhsa_user_sgpr_private_segment_size 0
		.amdhsa_uses_dynamic_stack 0
		.amdhsa_system_sgpr_private_segment_wavefront_offset 0
		.amdhsa_system_sgpr_workgroup_id_x 1
		.amdhsa_system_sgpr_workgroup_id_y 1
		.amdhsa_system_sgpr_workgroup_id_z 1
		.amdhsa_system_sgpr_workgroup_info 0
		.amdhsa_system_vgpr_workitem_id 1
		.amdhsa_next_free_vgpr 52
		.amdhsa_next_free_sgpr 61
		.amdhsa_reserve_vcc 1
		.amdhsa_reserve_flat_scratch 0
		.amdhsa_float_round_mode_32 0
		.amdhsa_float_round_mode_16_64 0
		.amdhsa_float_denorm_mode_32 3
		.amdhsa_float_denorm_mode_16_64 3
		.amdhsa_dx10_clamp 1
		.amdhsa_ieee_mode 1
		.amdhsa_fp16_overflow 0
		.amdhsa_exception_fp_ieee_invalid_op 0
		.amdhsa_exception_fp_denorm_src 0
		.amdhsa_exception_fp_ieee_div_zero 0
		.amdhsa_exception_fp_ieee_overflow 0
		.amdhsa_exception_fp_ieee_underflow 0
		.amdhsa_exception_fp_ieee_inexact 0
		.amdhsa_exception_int_div_zero 0
	.end_amdhsa_kernel
	.section	.text._ZL37rocblas_syrkx_herkx_restricted_kernelIi19rocblas_complex_numIdELi16ELi32ELi8ELin1ELi0ELb0ELc84ELc76EKPKS1_KPS1_EviT_PT9_S7_lS9_S7_lPT10_S7_li,"axG",@progbits,_ZL37rocblas_syrkx_herkx_restricted_kernelIi19rocblas_complex_numIdELi16ELi32ELi8ELin1ELi0ELb0ELc84ELc76EKPKS1_KPS1_EviT_PT9_S7_lS9_S7_lPT10_S7_li,comdat
.Lfunc_end713:
	.size	_ZL37rocblas_syrkx_herkx_restricted_kernelIi19rocblas_complex_numIdELi16ELi32ELi8ELin1ELi0ELb0ELc84ELc76EKPKS1_KPS1_EviT_PT9_S7_lS9_S7_lPT10_S7_li, .Lfunc_end713-_ZL37rocblas_syrkx_herkx_restricted_kernelIi19rocblas_complex_numIdELi16ELi32ELi8ELin1ELi0ELb0ELc84ELc76EKPKS1_KPS1_EviT_PT9_S7_lS9_S7_lPT10_S7_li
                                        ; -- End function
	.set _ZL37rocblas_syrkx_herkx_restricted_kernelIi19rocblas_complex_numIdELi16ELi32ELi8ELin1ELi0ELb0ELc84ELc76EKPKS1_KPS1_EviT_PT9_S7_lS9_S7_lPT10_S7_li.num_vgpr, 52
	.set _ZL37rocblas_syrkx_herkx_restricted_kernelIi19rocblas_complex_numIdELi16ELi32ELi8ELin1ELi0ELb0ELc84ELc76EKPKS1_KPS1_EviT_PT9_S7_lS9_S7_lPT10_S7_li.num_agpr, 0
	.set _ZL37rocblas_syrkx_herkx_restricted_kernelIi19rocblas_complex_numIdELi16ELi32ELi8ELin1ELi0ELb0ELc84ELc76EKPKS1_KPS1_EviT_PT9_S7_lS9_S7_lPT10_S7_li.numbered_sgpr, 17
	.set _ZL37rocblas_syrkx_herkx_restricted_kernelIi19rocblas_complex_numIdELi16ELi32ELi8ELin1ELi0ELb0ELc84ELc76EKPKS1_KPS1_EviT_PT9_S7_lS9_S7_lPT10_S7_li.num_named_barrier, 0
	.set _ZL37rocblas_syrkx_herkx_restricted_kernelIi19rocblas_complex_numIdELi16ELi32ELi8ELin1ELi0ELb0ELc84ELc76EKPKS1_KPS1_EviT_PT9_S7_lS9_S7_lPT10_S7_li.private_seg_size, 0
	.set _ZL37rocblas_syrkx_herkx_restricted_kernelIi19rocblas_complex_numIdELi16ELi32ELi8ELin1ELi0ELb0ELc84ELc76EKPKS1_KPS1_EviT_PT9_S7_lS9_S7_lPT10_S7_li.uses_vcc, 1
	.set _ZL37rocblas_syrkx_herkx_restricted_kernelIi19rocblas_complex_numIdELi16ELi32ELi8ELin1ELi0ELb0ELc84ELc76EKPKS1_KPS1_EviT_PT9_S7_lS9_S7_lPT10_S7_li.uses_flat_scratch, 0
	.set _ZL37rocblas_syrkx_herkx_restricted_kernelIi19rocblas_complex_numIdELi16ELi32ELi8ELin1ELi0ELb0ELc84ELc76EKPKS1_KPS1_EviT_PT9_S7_lS9_S7_lPT10_S7_li.has_dyn_sized_stack, 0
	.set _ZL37rocblas_syrkx_herkx_restricted_kernelIi19rocblas_complex_numIdELi16ELi32ELi8ELin1ELi0ELb0ELc84ELc76EKPKS1_KPS1_EviT_PT9_S7_lS9_S7_lPT10_S7_li.has_recursion, 0
	.set _ZL37rocblas_syrkx_herkx_restricted_kernelIi19rocblas_complex_numIdELi16ELi32ELi8ELin1ELi0ELb0ELc84ELc76EKPKS1_KPS1_EviT_PT9_S7_lS9_S7_lPT10_S7_li.has_indirect_call, 0
	.section	.AMDGPU.csdata,"",@progbits
; Kernel info:
; codeLenInByte = 2776
; TotalNumSgprs: 21
; NumVgprs: 52
; ScratchSize: 0
; MemoryBound: 0
; FloatMode: 240
; IeeeMode: 1
; LDSByteSize: 8192 bytes/workgroup (compile time only)
; SGPRBlocks: 8
; VGPRBlocks: 12
; NumSGPRsForWavesPerEU: 65
; NumVGPRsForWavesPerEU: 52
; Occupancy: 4
; WaveLimiterHint : 1
; COMPUTE_PGM_RSRC2:SCRATCH_EN: 0
; COMPUTE_PGM_RSRC2:USER_SGPR: 6
; COMPUTE_PGM_RSRC2:TRAP_HANDLER: 0
; COMPUTE_PGM_RSRC2:TGID_X_EN: 1
; COMPUTE_PGM_RSRC2:TGID_Y_EN: 1
; COMPUTE_PGM_RSRC2:TGID_Z_EN: 1
; COMPUTE_PGM_RSRC2:TIDIG_COMP_CNT: 1
	.section	.text._ZL37rocblas_syrkx_herkx_restricted_kernelIi19rocblas_complex_numIdELi16ELi32ELi8ELin1ELi0ELb0ELc67ELc76EKPKS1_KPS1_EviT_PT9_S7_lS9_S7_lPT10_S7_li,"axG",@progbits,_ZL37rocblas_syrkx_herkx_restricted_kernelIi19rocblas_complex_numIdELi16ELi32ELi8ELin1ELi0ELb0ELc67ELc76EKPKS1_KPS1_EviT_PT9_S7_lS9_S7_lPT10_S7_li,comdat
	.globl	_ZL37rocblas_syrkx_herkx_restricted_kernelIi19rocblas_complex_numIdELi16ELi32ELi8ELin1ELi0ELb0ELc67ELc76EKPKS1_KPS1_EviT_PT9_S7_lS9_S7_lPT10_S7_li ; -- Begin function _ZL37rocblas_syrkx_herkx_restricted_kernelIi19rocblas_complex_numIdELi16ELi32ELi8ELin1ELi0ELb0ELc67ELc76EKPKS1_KPS1_EviT_PT9_S7_lS9_S7_lPT10_S7_li
	.p2align	8
	.type	_ZL37rocblas_syrkx_herkx_restricted_kernelIi19rocblas_complex_numIdELi16ELi32ELi8ELin1ELi0ELb0ELc67ELc76EKPKS1_KPS1_EviT_PT9_S7_lS9_S7_lPT10_S7_li,@function
_ZL37rocblas_syrkx_herkx_restricted_kernelIi19rocblas_complex_numIdELi16ELi32ELi8ELin1ELi0ELb0ELc67ELc76EKPKS1_KPS1_EviT_PT9_S7_lS9_S7_lPT10_S7_li: ; @_ZL37rocblas_syrkx_herkx_restricted_kernelIi19rocblas_complex_numIdELi16ELi32ELi8ELin1ELi0ELb0ELc67ELc76EKPKS1_KPS1_EviT_PT9_S7_lS9_S7_lPT10_S7_li
; %bb.0:
	s_load_dwordx2 s[2:3], s[4:5], 0x38
	s_load_dwordx2 s[12:13], s[4:5], 0x0
	s_mov_b32 s9, 0
	s_lshl_b64 s[0:1], s[8:9], 3
	s_waitcnt lgkmcnt(0)
	s_add_u32 s2, s2, s0
	s_addc_u32 s3, s3, s1
	s_load_dwordx2 s[10:11], s[2:3], 0x0
	s_lshl_b32 s2, s6, 5
	s_lshl_b32 s3, s7, 5
	s_cmp_lt_i32 s13, 1
	s_cbranch_scc1 .LBB714_3
; %bb.1:
	s_load_dwordx2 s[6:7], s[4:5], 0x8
	s_load_dword s8, s[4:5], 0x10
	s_load_dwordx2 s[14:15], s[4:5], 0x20
	s_load_dword s16, s[4:5], 0x28
	v_lshl_add_u32 v6, v1, 4, v0
	s_waitcnt lgkmcnt(0)
	s_add_u32 s6, s6, s0
	s_addc_u32 s7, s7, s1
	v_lshrrev_b32_e32 v8, 3, v6
	s_add_u32 s0, s14, s0
	v_add_u32_e32 v4, s3, v8
	v_and_b32_e32 v2, 7, v0
	v_mov_b32_e32 v3, 0
	s_addc_u32 s1, s15, s1
	v_mad_i64_i32 v[4:5], s[14:15], s16, v4, v[2:3]
	v_and_b32_e32 v9, 31, v6
	v_lshlrev_b32_e32 v2, 4, v2
	v_lshrrev_b32_e32 v6, 5, v6
	v_mov_b32_e32 v7, v3
	v_lshlrev_b32_e32 v3, 4, v9
	v_lshl_or_b32 v8, v8, 7, v2
	v_add_u32_e32 v2, s2, v9
	v_lshl_or_b32 v22, v6, 9, v3
	v_mad_i64_i32 v[2:3], s[14:15], s8, v2, v[6:7]
	s_load_dwordx2 s[6:7], s[6:7], 0x0
	v_add_u32_e32 v23, 0x1000, v8
	s_load_dwordx2 s[0:1], s[0:1], 0x0
	v_lshlrev_b64 v[2:3], 4, v[2:3]
	v_mov_b32_e32 v25, 0x1000
	s_waitcnt lgkmcnt(0)
	v_mov_b32_e32 v6, s7
	v_add_co_u32_e32 v18, vcc, s6, v2
	v_addc_co_u32_e32 v19, vcc, v6, v3, vcc
	v_lshlrev_b64 v[2:3], 4, v[4:5]
	v_mov_b32_e32 v4, s1
	v_add_co_u32_e32 v20, vcc, s0, v2
	v_addc_co_u32_e32 v21, vcc, v4, v3, vcc
	v_mov_b32_e32 v8, 0
	v_mov_b32_e32 v6, 0
	;; [unrolled: 1-line block ×8, first 2 shown]
	v_lshlrev_b32_e32 v24, 4, v0
	v_mov_b32_e32 v9, 0
	v_mov_b32_e32 v7, 0
	;; [unrolled: 1-line block ×8, first 2 shown]
	v_lshl_add_u32 v25, v1, 7, v25
.LBB714_2:                              ; =>This Inner Loop Header: Depth=1
	flat_load_dwordx4 v[26:29], v[18:19]
	v_add_co_u32_e32 v18, vcc, 0x80, v18
	v_addc_co_u32_e32 v19, vcc, 0, v19, vcc
	s_add_i32 s9, s9, 8
	s_cmp_ge_i32 s9, s13
	s_waitcnt vmcnt(0) lgkmcnt(0)
	ds_write_b128 v22, v[26:29]
	flat_load_dwordx4 v[26:29], v[20:21]
	v_add_co_u32_e32 v20, vcc, 0x80, v20
	v_addc_co_u32_e32 v21, vcc, 0, v21, vcc
	s_waitcnt vmcnt(0) lgkmcnt(0)
	ds_write_b128 v23, v[26:29]
	s_waitcnt lgkmcnt(0)
	s_barrier
	ds_read_b128 v[26:29], v25
	ds_read_b128 v[30:33], v25 offset:16
	ds_read_b128 v[34:37], v25 offset:32
	;; [unrolled: 1-line block ×3, first 2 shown]
	ds_read_b128 v[42:45], v24
	s_waitcnt lgkmcnt(0)
	v_mul_f64 v[46:47], v[28:29], v[44:45]
	v_mul_f64 v[48:49], v[26:27], v[44:45]
	v_fma_f64 v[46:47], v[26:27], v[42:43], -v[46:47]
	v_fma_f64 v[48:49], v[28:29], v[42:43], v[48:49]
	v_add_f64 v[46:47], v[10:11], v[46:47]
	v_add_f64 v[48:49], v[48:49], v[12:13]
	ds_read_b128 v[10:13], v24 offset:256
	s_waitcnt lgkmcnt(0)
	v_mul_f64 v[50:51], v[28:29], v[12:13]
	v_fma_f64 v[50:51], v[26:27], v[10:11], -v[50:51]
	v_mul_f64 v[26:27], v[26:27], v[12:13]
	v_fma_f64 v[26:27], v[28:29], v[10:11], v[26:27]
	v_add_f64 v[28:29], v[2:3], v[50:51]
	v_add_f64 v[26:27], v[26:27], v[4:5]
	ds_read_b128 v[2:5], v25 offset:2048
	s_waitcnt lgkmcnt(0)
	v_mul_f64 v[50:51], v[4:5], v[44:45]
	v_mul_f64 v[44:45], v[2:3], v[44:45]
	v_fma_f64 v[50:51], v[2:3], v[42:43], -v[50:51]
	v_fma_f64 v[42:43], v[4:5], v[42:43], v[44:45]
	v_add_f64 v[14:15], v[14:15], v[50:51]
	v_add_f64 v[16:17], v[42:43], v[16:17]
	v_mul_f64 v[42:43], v[4:5], v[12:13]
	v_fma_f64 v[42:43], v[2:3], v[10:11], -v[42:43]
	v_mul_f64 v[2:3], v[2:3], v[12:13]
	v_add_f64 v[42:43], v[6:7], v[42:43]
	v_fma_f64 v[2:3], v[4:5], v[10:11], v[2:3]
	v_add_f64 v[44:45], v[2:3], v[8:9]
	ds_read_b128 v[2:5], v24 offset:512
	s_waitcnt lgkmcnt(0)
	v_mul_f64 v[6:7], v[32:33], v[4:5]
	v_mul_f64 v[8:9], v[30:31], v[4:5]
	v_fma_f64 v[6:7], v[30:31], v[2:3], -v[6:7]
	v_fma_f64 v[8:9], v[32:33], v[2:3], v[8:9]
	v_add_f64 v[46:47], v[46:47], v[6:7]
	v_add_f64 v[48:49], v[8:9], v[48:49]
	ds_read_b128 v[6:9], v24 offset:768
	s_waitcnt lgkmcnt(0)
	v_mul_f64 v[10:11], v[32:33], v[8:9]
	v_mul_f64 v[12:13], v[30:31], v[8:9]
	v_fma_f64 v[10:11], v[30:31], v[6:7], -v[10:11]
	v_fma_f64 v[12:13], v[32:33], v[6:7], v[12:13]
	v_add_f64 v[28:29], v[28:29], v[10:11]
	v_add_f64 v[26:27], v[12:13], v[26:27]
	ds_read_b128 v[10:13], v25 offset:2064
	s_waitcnt lgkmcnt(0)
	v_mul_f64 v[30:31], v[12:13], v[4:5]
	v_mul_f64 v[4:5], v[10:11], v[4:5]
	v_fma_f64 v[30:31], v[10:11], v[2:3], -v[30:31]
	v_fma_f64 v[2:3], v[12:13], v[2:3], v[4:5]
	v_mul_f64 v[4:5], v[10:11], v[8:9]
	v_add_f64 v[14:15], v[14:15], v[30:31]
	v_add_f64 v[16:17], v[2:3], v[16:17]
	v_mul_f64 v[2:3], v[12:13], v[8:9]
	v_fma_f64 v[4:5], v[12:13], v[6:7], v[4:5]
	v_fma_f64 v[2:3], v[10:11], v[6:7], -v[2:3]
	v_add_f64 v[32:33], v[4:5], v[44:45]
	v_add_f64 v[30:31], v[42:43], v[2:3]
	ds_read_b128 v[2:5], v24 offset:1024
	s_waitcnt lgkmcnt(0)
	v_mul_f64 v[6:7], v[36:37], v[4:5]
	v_mul_f64 v[8:9], v[34:35], v[4:5]
	v_fma_f64 v[6:7], v[34:35], v[2:3], -v[6:7]
	v_fma_f64 v[8:9], v[36:37], v[2:3], v[8:9]
	v_add_f64 v[42:43], v[46:47], v[6:7]
	v_add_f64 v[44:45], v[8:9], v[48:49]
	ds_read_b128 v[6:9], v24 offset:1280
	s_waitcnt lgkmcnt(0)
	v_mul_f64 v[10:11], v[36:37], v[8:9]
	v_mul_f64 v[12:13], v[34:35], v[8:9]
	v_fma_f64 v[10:11], v[34:35], v[6:7], -v[10:11]
	v_fma_f64 v[12:13], v[36:37], v[6:7], v[12:13]
	v_add_f64 v[28:29], v[28:29], v[10:11]
	v_add_f64 v[26:27], v[12:13], v[26:27]
	ds_read_b128 v[10:13], v25 offset:2080
	s_waitcnt lgkmcnt(0)
	v_mul_f64 v[34:35], v[12:13], v[4:5]
	v_mul_f64 v[4:5], v[10:11], v[4:5]
	v_fma_f64 v[34:35], v[10:11], v[2:3], -v[34:35]
	v_fma_f64 v[2:3], v[12:13], v[2:3], v[4:5]
	v_mul_f64 v[4:5], v[10:11], v[8:9]
	v_add_f64 v[14:15], v[14:15], v[34:35]
	v_add_f64 v[16:17], v[2:3], v[16:17]
	v_mul_f64 v[2:3], v[12:13], v[8:9]
	v_fma_f64 v[4:5], v[12:13], v[6:7], v[4:5]
	v_fma_f64 v[2:3], v[10:11], v[6:7], -v[2:3]
	v_add_f64 v[32:33], v[4:5], v[32:33]
	;; [unrolled: 30-line block ×3, first 2 shown]
	v_add_f64 v[30:31], v[30:31], v[2:3]
	ds_read_b128 v[2:5], v25 offset:64
	ds_read_b128 v[6:9], v24 offset:2048
	s_waitcnt lgkmcnt(0)
	v_mul_f64 v[10:11], v[4:5], v[8:9]
	v_mul_f64 v[12:13], v[2:3], v[8:9]
	v_fma_f64 v[10:11], v[2:3], v[6:7], -v[10:11]
	v_fma_f64 v[12:13], v[4:5], v[6:7], v[12:13]
	v_add_f64 v[34:35], v[34:35], v[10:11]
	v_add_f64 v[36:37], v[12:13], v[36:37]
	ds_read_b128 v[10:13], v24 offset:2304
	s_waitcnt lgkmcnt(0)
	v_mul_f64 v[38:39], v[4:5], v[12:13]
	v_fma_f64 v[38:39], v[2:3], v[10:11], -v[38:39]
	v_mul_f64 v[2:3], v[2:3], v[12:13]
	v_add_f64 v[28:29], v[28:29], v[38:39]
	v_fma_f64 v[2:3], v[4:5], v[10:11], v[2:3]
	v_add_f64 v[26:27], v[2:3], v[26:27]
	ds_read_b128 v[2:5], v25 offset:2112
	s_waitcnt lgkmcnt(0)
	v_mul_f64 v[38:39], v[4:5], v[8:9]
	v_mul_f64 v[8:9], v[2:3], v[8:9]
	v_fma_f64 v[38:39], v[2:3], v[6:7], -v[38:39]
	v_fma_f64 v[6:7], v[4:5], v[6:7], v[8:9]
	v_add_f64 v[14:15], v[14:15], v[38:39]
	v_add_f64 v[16:17], v[6:7], v[16:17]
	v_mul_f64 v[6:7], v[4:5], v[12:13]
	v_fma_f64 v[6:7], v[2:3], v[10:11], -v[6:7]
	v_mul_f64 v[2:3], v[2:3], v[12:13]
	v_add_f64 v[30:31], v[30:31], v[6:7]
	v_fma_f64 v[2:3], v[4:5], v[10:11], v[2:3]
	v_add_f64 v[32:33], v[2:3], v[32:33]
	ds_read_b128 v[2:5], v25 offset:80
	ds_read_b128 v[6:9], v24 offset:2560
	s_waitcnt lgkmcnt(0)
	v_mul_f64 v[10:11], v[4:5], v[8:9]
	v_mul_f64 v[12:13], v[2:3], v[8:9]
	v_fma_f64 v[10:11], v[2:3], v[6:7], -v[10:11]
	v_fma_f64 v[12:13], v[4:5], v[6:7], v[12:13]
	v_add_f64 v[34:35], v[34:35], v[10:11]
	v_add_f64 v[36:37], v[12:13], v[36:37]
	ds_read_b128 v[10:13], v24 offset:2816
	s_waitcnt lgkmcnt(0)
	v_mul_f64 v[38:39], v[4:5], v[12:13]
	v_fma_f64 v[38:39], v[2:3], v[10:11], -v[38:39]
	v_mul_f64 v[2:3], v[2:3], v[12:13]
	v_add_f64 v[28:29], v[28:29], v[38:39]
	v_fma_f64 v[2:3], v[4:5], v[10:11], v[2:3]
	v_add_f64 v[26:27], v[2:3], v[26:27]
	ds_read_b128 v[2:5], v25 offset:2128
	s_waitcnt lgkmcnt(0)
	v_mul_f64 v[38:39], v[4:5], v[8:9]
	v_mul_f64 v[8:9], v[2:3], v[8:9]
	v_fma_f64 v[38:39], v[2:3], v[6:7], -v[38:39]
	v_fma_f64 v[6:7], v[4:5], v[6:7], v[8:9]
	v_add_f64 v[14:15], v[14:15], v[38:39]
	v_add_f64 v[16:17], v[6:7], v[16:17]
	v_mul_f64 v[6:7], v[4:5], v[12:13]
	v_fma_f64 v[6:7], v[2:3], v[10:11], -v[6:7]
	v_mul_f64 v[2:3], v[2:3], v[12:13]
	v_add_f64 v[30:31], v[30:31], v[6:7]
	v_fma_f64 v[2:3], v[4:5], v[10:11], v[2:3]
	;; [unrolled: 31-line block ×3, first 2 shown]
	v_add_f64 v[44:45], v[2:3], v[32:33]
	ds_read_b128 v[2:5], v25 offset:112
	ds_read_b128 v[6:9], v24 offset:3584
	ds_read_b128 v[26:29], v24 offset:3840
	s_waitcnt lgkmcnt(1)
	v_mul_f64 v[10:11], v[4:5], v[8:9]
	s_waitcnt lgkmcnt(0)
	v_mul_f64 v[30:31], v[4:5], v[28:29]
	v_mul_f64 v[12:13], v[2:3], v[8:9]
	v_fma_f64 v[10:11], v[2:3], v[6:7], -v[10:11]
	v_fma_f64 v[30:31], v[2:3], v[26:27], -v[30:31]
	v_mul_f64 v[2:3], v[2:3], v[28:29]
	v_fma_f64 v[12:13], v[4:5], v[6:7], v[12:13]
	v_add_f64 v[10:11], v[34:35], v[10:11]
	v_fma_f64 v[4:5], v[4:5], v[26:27], v[2:3]
	v_add_f64 v[2:3], v[38:39], v[30:31]
	ds_read_b128 v[30:33], v25 offset:2160
	v_add_f64 v[12:13], v[12:13], v[36:37]
	s_waitcnt lgkmcnt(0)
	s_barrier
	v_mul_f64 v[34:35], v[32:33], v[8:9]
	v_mul_f64 v[8:9], v[30:31], v[8:9]
	v_add_f64 v[4:5], v[4:5], v[40:41]
	v_fma_f64 v[34:35], v[30:31], v[6:7], -v[34:35]
	v_fma_f64 v[6:7], v[32:33], v[6:7], v[8:9]
	v_mul_f64 v[8:9], v[30:31], v[28:29]
	v_add_f64 v[14:15], v[14:15], v[34:35]
	v_add_f64 v[16:17], v[6:7], v[16:17]
	v_mul_f64 v[6:7], v[32:33], v[28:29]
	v_fma_f64 v[8:9], v[32:33], v[26:27], v[8:9]
	v_fma_f64 v[6:7], v[30:31], v[26:27], -v[6:7]
	v_add_f64 v[8:9], v[8:9], v[44:45]
	v_add_f64 v[6:7], v[42:43], v[6:7]
	s_cbranch_scc0 .LBB714_2
	s_branch .LBB714_4
.LBB714_3:
	v_mov_b32_e32 v10, 0
	v_mov_b32_e32 v12, 0
	;; [unrolled: 1-line block ×16, first 2 shown]
.LBB714_4:
	s_load_dword s6, s[4:5], 0x40
	v_add_u32_e32 v18, s3, v1
	s_waitcnt lgkmcnt(0)
	v_mov_b32_e32 v1, s11
	v_add_u32_e32 v0, s2, v0
	v_mad_i64_i32 v[19:20], s[0:1], v18, s6, 0
	v_cmp_le_i32_e64 s[0:1], v18, v0
	v_lshlrev_b64 v[19:20], 4, v[19:20]
	v_add_co_u32_e32 v19, vcc, s10, v19
	v_addc_co_u32_e32 v20, vcc, v1, v20, vcc
	v_cmp_gt_i32_e32 vcc, s12, v0
	s_and_b64 s[0:1], s[0:1], vcc
	s_and_saveexec_b64 s[2:3], s[0:1]
	s_cbranch_execz .LBB714_6
; %bb.5:
	v_ashrrev_i32_e32 v1, 31, v0
	v_lshlrev_b64 v[21:22], 4, v[0:1]
	v_xor_b32_e32 v11, 0x80000000, v11
	v_add_co_u32_e64 v21, s[0:1], v19, v21
	v_xor_b32_e32 v13, 0x80000000, v13
	v_addc_co_u32_e64 v22, s[0:1], v20, v22, s[0:1]
	flat_store_dwordx4 v[21:22], v[10:13]
.LBB714_6:
	s_or_b64 exec, exec, s[2:3]
	v_add_u32_e32 v10, 16, v0
	v_cmp_le_i32_e64 s[2:3], v18, v10
	v_cmp_gt_i32_e64 s[0:1], s12, v10
	s_and_b64 s[2:3], s[2:3], s[0:1]
	s_and_saveexec_b64 s[4:5], s[2:3]
	s_cbranch_execz .LBB714_8
; %bb.7:
	v_ashrrev_i32_e32 v11, 31, v10
	v_lshlrev_b64 v[11:12], 4, v[10:11]
	v_xor_b32_e32 v3, 0x80000000, v3
	v_add_co_u32_e64 v11, s[2:3], v19, v11
	v_xor_b32_e32 v5, 0x80000000, v5
	v_addc_co_u32_e64 v12, s[2:3], v20, v12, s[2:3]
	flat_store_dwordx4 v[11:12], v[2:5]
.LBB714_8:
	s_or_b64 exec, exec, s[4:5]
	v_add_u32_e32 v4, 16, v18
	v_mad_i64_i32 v[1:2], s[2:3], v4, s6, 0
	v_mov_b32_e32 v5, s11
	v_lshlrev_b64 v[2:3], 4, v[1:2]
	v_add_co_u32_e64 v2, s[2:3], s10, v2
	v_addc_co_u32_e64 v3, s[2:3], v5, v3, s[2:3]
	v_cmp_le_i32_e64 s[2:3], v4, v0
	s_and_b64 s[4:5], s[2:3], vcc
	s_and_saveexec_b64 s[2:3], s[4:5]
	s_cbranch_execz .LBB714_10
; %bb.9:
	v_ashrrev_i32_e32 v1, 31, v0
	v_lshlrev_b64 v[0:1], 4, v[0:1]
	v_xor_b32_e32 v15, 0x80000000, v15
	v_add_co_u32_e32 v0, vcc, v2, v0
	v_xor_b32_e32 v17, 0x80000000, v17
	v_addc_co_u32_e32 v1, vcc, v3, v1, vcc
	flat_store_dwordx4 v[0:1], v[14:17]
.LBB714_10:
	s_or_b64 exec, exec, s[2:3]
	v_cmp_le_i32_e32 vcc, v4, v10
	s_and_b64 s[0:1], vcc, s[0:1]
	s_and_saveexec_b64 s[2:3], s[0:1]
	s_cbranch_execz .LBB714_12
; %bb.11:
	v_ashrrev_i32_e32 v11, 31, v10
	v_lshlrev_b64 v[0:1], 4, v[10:11]
	v_xor_b32_e32 v7, 0x80000000, v7
	v_add_co_u32_e32 v0, vcc, v2, v0
	v_xor_b32_e32 v9, 0x80000000, v9
	v_addc_co_u32_e32 v1, vcc, v3, v1, vcc
	flat_store_dwordx4 v[0:1], v[6:9]
.LBB714_12:
	s_endpgm
	.section	.rodata,"a",@progbits
	.p2align	6, 0x0
	.amdhsa_kernel _ZL37rocblas_syrkx_herkx_restricted_kernelIi19rocblas_complex_numIdELi16ELi32ELi8ELin1ELi0ELb0ELc67ELc76EKPKS1_KPS1_EviT_PT9_S7_lS9_S7_lPT10_S7_li
		.amdhsa_group_segment_fixed_size 8192
		.amdhsa_private_segment_fixed_size 0
		.amdhsa_kernarg_size 84
		.amdhsa_user_sgpr_count 6
		.amdhsa_user_sgpr_private_segment_buffer 1
		.amdhsa_user_sgpr_dispatch_ptr 0
		.amdhsa_user_sgpr_queue_ptr 0
		.amdhsa_user_sgpr_kernarg_segment_ptr 1
		.amdhsa_user_sgpr_dispatch_id 0
		.amdhsa_user_sgpr_flat_scratch_init 0
		.amdhsa_user_sgpr_private_segment_size 0
		.amdhsa_uses_dynamic_stack 0
		.amdhsa_system_sgpr_private_segment_wavefront_offset 0
		.amdhsa_system_sgpr_workgroup_id_x 1
		.amdhsa_system_sgpr_workgroup_id_y 1
		.amdhsa_system_sgpr_workgroup_id_z 1
		.amdhsa_system_sgpr_workgroup_info 0
		.amdhsa_system_vgpr_workitem_id 1
		.amdhsa_next_free_vgpr 52
		.amdhsa_next_free_sgpr 61
		.amdhsa_reserve_vcc 1
		.amdhsa_reserve_flat_scratch 0
		.amdhsa_float_round_mode_32 0
		.amdhsa_float_round_mode_16_64 0
		.amdhsa_float_denorm_mode_32 3
		.amdhsa_float_denorm_mode_16_64 3
		.amdhsa_dx10_clamp 1
		.amdhsa_ieee_mode 1
		.amdhsa_fp16_overflow 0
		.amdhsa_exception_fp_ieee_invalid_op 0
		.amdhsa_exception_fp_denorm_src 0
		.amdhsa_exception_fp_ieee_div_zero 0
		.amdhsa_exception_fp_ieee_overflow 0
		.amdhsa_exception_fp_ieee_underflow 0
		.amdhsa_exception_fp_ieee_inexact 0
		.amdhsa_exception_int_div_zero 0
	.end_amdhsa_kernel
	.section	.text._ZL37rocblas_syrkx_herkx_restricted_kernelIi19rocblas_complex_numIdELi16ELi32ELi8ELin1ELi0ELb0ELc67ELc76EKPKS1_KPS1_EviT_PT9_S7_lS9_S7_lPT10_S7_li,"axG",@progbits,_ZL37rocblas_syrkx_herkx_restricted_kernelIi19rocblas_complex_numIdELi16ELi32ELi8ELin1ELi0ELb0ELc67ELc76EKPKS1_KPS1_EviT_PT9_S7_lS9_S7_lPT10_S7_li,comdat
.Lfunc_end714:
	.size	_ZL37rocblas_syrkx_herkx_restricted_kernelIi19rocblas_complex_numIdELi16ELi32ELi8ELin1ELi0ELb0ELc67ELc76EKPKS1_KPS1_EviT_PT9_S7_lS9_S7_lPT10_S7_li, .Lfunc_end714-_ZL37rocblas_syrkx_herkx_restricted_kernelIi19rocblas_complex_numIdELi16ELi32ELi8ELin1ELi0ELb0ELc67ELc76EKPKS1_KPS1_EviT_PT9_S7_lS9_S7_lPT10_S7_li
                                        ; -- End function
	.set _ZL37rocblas_syrkx_herkx_restricted_kernelIi19rocblas_complex_numIdELi16ELi32ELi8ELin1ELi0ELb0ELc67ELc76EKPKS1_KPS1_EviT_PT9_S7_lS9_S7_lPT10_S7_li.num_vgpr, 52
	.set _ZL37rocblas_syrkx_herkx_restricted_kernelIi19rocblas_complex_numIdELi16ELi32ELi8ELin1ELi0ELb0ELc67ELc76EKPKS1_KPS1_EviT_PT9_S7_lS9_S7_lPT10_S7_li.num_agpr, 0
	.set _ZL37rocblas_syrkx_herkx_restricted_kernelIi19rocblas_complex_numIdELi16ELi32ELi8ELin1ELi0ELb0ELc67ELc76EKPKS1_KPS1_EviT_PT9_S7_lS9_S7_lPT10_S7_li.numbered_sgpr, 17
	.set _ZL37rocblas_syrkx_herkx_restricted_kernelIi19rocblas_complex_numIdELi16ELi32ELi8ELin1ELi0ELb0ELc67ELc76EKPKS1_KPS1_EviT_PT9_S7_lS9_S7_lPT10_S7_li.num_named_barrier, 0
	.set _ZL37rocblas_syrkx_herkx_restricted_kernelIi19rocblas_complex_numIdELi16ELi32ELi8ELin1ELi0ELb0ELc67ELc76EKPKS1_KPS1_EviT_PT9_S7_lS9_S7_lPT10_S7_li.private_seg_size, 0
	.set _ZL37rocblas_syrkx_herkx_restricted_kernelIi19rocblas_complex_numIdELi16ELi32ELi8ELin1ELi0ELb0ELc67ELc76EKPKS1_KPS1_EviT_PT9_S7_lS9_S7_lPT10_S7_li.uses_vcc, 1
	.set _ZL37rocblas_syrkx_herkx_restricted_kernelIi19rocblas_complex_numIdELi16ELi32ELi8ELin1ELi0ELb0ELc67ELc76EKPKS1_KPS1_EviT_PT9_S7_lS9_S7_lPT10_S7_li.uses_flat_scratch, 0
	.set _ZL37rocblas_syrkx_herkx_restricted_kernelIi19rocblas_complex_numIdELi16ELi32ELi8ELin1ELi0ELb0ELc67ELc76EKPKS1_KPS1_EviT_PT9_S7_lS9_S7_lPT10_S7_li.has_dyn_sized_stack, 0
	.set _ZL37rocblas_syrkx_herkx_restricted_kernelIi19rocblas_complex_numIdELi16ELi32ELi8ELin1ELi0ELb0ELc67ELc76EKPKS1_KPS1_EviT_PT9_S7_lS9_S7_lPT10_S7_li.has_recursion, 0
	.set _ZL37rocblas_syrkx_herkx_restricted_kernelIi19rocblas_complex_numIdELi16ELi32ELi8ELin1ELi0ELb0ELc67ELc76EKPKS1_KPS1_EviT_PT9_S7_lS9_S7_lPT10_S7_li.has_indirect_call, 0
	.section	.AMDGPU.csdata,"",@progbits
; Kernel info:
; codeLenInByte = 2776
; TotalNumSgprs: 21
; NumVgprs: 52
; ScratchSize: 0
; MemoryBound: 0
; FloatMode: 240
; IeeeMode: 1
; LDSByteSize: 8192 bytes/workgroup (compile time only)
; SGPRBlocks: 8
; VGPRBlocks: 12
; NumSGPRsForWavesPerEU: 65
; NumVGPRsForWavesPerEU: 52
; Occupancy: 4
; WaveLimiterHint : 1
; COMPUTE_PGM_RSRC2:SCRATCH_EN: 0
; COMPUTE_PGM_RSRC2:USER_SGPR: 6
; COMPUTE_PGM_RSRC2:TRAP_HANDLER: 0
; COMPUTE_PGM_RSRC2:TGID_X_EN: 1
; COMPUTE_PGM_RSRC2:TGID_Y_EN: 1
; COMPUTE_PGM_RSRC2:TGID_Z_EN: 1
; COMPUTE_PGM_RSRC2:TIDIG_COMP_CNT: 1
	.section	.text._ZL37rocblas_syrkx_herkx_restricted_kernelIi19rocblas_complex_numIdELi16ELi32ELi8ELin1ELi0ELb0ELc78ELc76EKPKS1_KPS1_EviT_PT9_S7_lS9_S7_lPT10_S7_li,"axG",@progbits,_ZL37rocblas_syrkx_herkx_restricted_kernelIi19rocblas_complex_numIdELi16ELi32ELi8ELin1ELi0ELb0ELc78ELc76EKPKS1_KPS1_EviT_PT9_S7_lS9_S7_lPT10_S7_li,comdat
	.globl	_ZL37rocblas_syrkx_herkx_restricted_kernelIi19rocblas_complex_numIdELi16ELi32ELi8ELin1ELi0ELb0ELc78ELc76EKPKS1_KPS1_EviT_PT9_S7_lS9_S7_lPT10_S7_li ; -- Begin function _ZL37rocblas_syrkx_herkx_restricted_kernelIi19rocblas_complex_numIdELi16ELi32ELi8ELin1ELi0ELb0ELc78ELc76EKPKS1_KPS1_EviT_PT9_S7_lS9_S7_lPT10_S7_li
	.p2align	8
	.type	_ZL37rocblas_syrkx_herkx_restricted_kernelIi19rocblas_complex_numIdELi16ELi32ELi8ELin1ELi0ELb0ELc78ELc76EKPKS1_KPS1_EviT_PT9_S7_lS9_S7_lPT10_S7_li,@function
_ZL37rocblas_syrkx_herkx_restricted_kernelIi19rocblas_complex_numIdELi16ELi32ELi8ELin1ELi0ELb0ELc78ELc76EKPKS1_KPS1_EviT_PT9_S7_lS9_S7_lPT10_S7_li: ; @_ZL37rocblas_syrkx_herkx_restricted_kernelIi19rocblas_complex_numIdELi16ELi32ELi8ELin1ELi0ELb0ELc78ELc76EKPKS1_KPS1_EviT_PT9_S7_lS9_S7_lPT10_S7_li
; %bb.0:
	s_load_dwordx2 s[2:3], s[4:5], 0x38
	s_load_dwordx2 s[12:13], s[4:5], 0x0
	s_mov_b32 s9, 0
	s_lshl_b64 s[0:1], s[8:9], 3
	s_waitcnt lgkmcnt(0)
	s_add_u32 s2, s2, s0
	s_addc_u32 s3, s3, s1
	s_load_dwordx2 s[10:11], s[2:3], 0x0
	s_lshl_b32 s6, s6, 5
	s_lshl_b32 s7, s7, 5
	s_cmp_lt_i32 s13, 1
	s_cbranch_scc1 .LBB715_3
; %bb.1:
	s_load_dword s2, s[4:5], 0x10
	s_load_dword s14, s[4:5], 0x28
	s_load_dwordx2 s[16:17], s[4:5], 0x20
	s_load_dwordx2 s[18:19], s[4:5], 0x8
	v_lshl_add_u32 v5, v1, 4, v0
	s_waitcnt lgkmcnt(0)
	s_ashr_i32 s3, s2, 31
	s_ashr_i32 s15, s14, 31
	v_lshrrev_b32_e32 v6, 3, v5
	s_add_u32 s18, s18, s0
	s_addc_u32 s19, s19, s1
	s_add_u32 s0, s16, s0
	v_add_u32_e32 v2, s7, v6
	s_addc_u32 s1, s17, s1
	v_and_b32_e32 v4, 7, v0
	v_ashrrev_i32_e32 v3, 31, v2
	s_load_dwordx2 s[16:17], s[0:1], 0x0
	v_mad_i64_i32 v[2:3], s[0:1], s14, v4, v[2:3]
	v_lshlrev_b32_e32 v4, 4, v4
	v_lshrrev_b32_e32 v7, 5, v5
	v_and_b32_e32 v5, 31, v5
	v_lshl_or_b32 v4, v6, 7, v4
	v_add_u32_e32 v23, 0x1000, v4
	v_add_u32_e32 v4, s6, v5
	v_lshlrev_b32_e32 v8, 4, v5
	v_ashrrev_i32_e32 v5, 31, v4
	v_mad_i64_i32 v[4:5], s[0:1], s2, v7, v[4:5]
	s_load_dwordx2 s[18:19], s[18:19], 0x0
	v_mov_b32_e32 v6, 0x1000
	v_lshlrev_b64 v[4:5], 4, v[4:5]
	v_lshl_add_u32 v25, v1, 7, v6
	v_lshlrev_b64 v[2:3], 4, v[2:3]
	s_waitcnt lgkmcnt(0)
	v_mov_b32_e32 v6, s19
	v_add_co_u32_e32 v18, vcc, s18, v4
	v_addc_co_u32_e32 v19, vcc, v6, v5, vcc
	v_mov_b32_e32 v4, s17
	v_add_co_u32_e32 v20, vcc, s16, v2
	v_lshl_or_b32 v22, v7, 9, v8
	s_lshl_b64 s[0:1], s[2:3], 7
	v_addc_co_u32_e32 v21, vcc, v4, v3, vcc
	s_lshl_b64 s[2:3], s[14:15], 7
	v_mov_b32_e32 v8, 0
	v_mov_b32_e32 v6, 0
	;; [unrolled: 1-line block ×8, first 2 shown]
	v_lshlrev_b32_e32 v24, 4, v0
	v_mov_b32_e32 v9, 0
	v_mov_b32_e32 v26, s1
	;; [unrolled: 1-line block ×10, first 2 shown]
.LBB715_2:                              ; =>This Inner Loop Header: Depth=1
	flat_load_dwordx4 v[28:31], v[18:19]
	v_add_co_u32_e32 v18, vcc, s0, v18
	v_addc_co_u32_e32 v19, vcc, v19, v26, vcc
	s_add_i32 s9, s9, 8
	s_cmp_ge_i32 s9, s13
	s_waitcnt vmcnt(0) lgkmcnt(0)
	ds_write_b128 v22, v[28:31]
	flat_load_dwordx4 v[28:31], v[20:21]
	v_add_co_u32_e32 v20, vcc, s2, v20
	v_addc_co_u32_e32 v21, vcc, v21, v27, vcc
	s_waitcnt vmcnt(0) lgkmcnt(0)
	ds_write_b128 v23, v[28:31]
	s_waitcnt lgkmcnt(0)
	s_barrier
	ds_read_b128 v[28:31], v25
	ds_read_b128 v[32:35], v25 offset:16
	ds_read_b128 v[36:39], v25 offset:32
	;; [unrolled: 1-line block ×3, first 2 shown]
	ds_read_b128 v[44:47], v24
	s_waitcnt lgkmcnt(0)
	v_mul_f64 v[48:49], v[30:31], v[46:47]
	v_mul_f64 v[50:51], v[28:29], v[46:47]
	v_fma_f64 v[48:49], v[28:29], v[44:45], -v[48:49]
	v_fma_f64 v[50:51], v[30:31], v[44:45], v[50:51]
	v_add_f64 v[48:49], v[10:11], v[48:49]
	v_add_f64 v[50:51], v[50:51], v[12:13]
	ds_read_b128 v[10:13], v24 offset:256
	s_waitcnt lgkmcnt(0)
	v_mul_f64 v[52:53], v[30:31], v[12:13]
	v_fma_f64 v[52:53], v[28:29], v[10:11], -v[52:53]
	v_mul_f64 v[28:29], v[28:29], v[12:13]
	v_fma_f64 v[28:29], v[30:31], v[10:11], v[28:29]
	v_add_f64 v[30:31], v[2:3], v[52:53]
	v_add_f64 v[28:29], v[28:29], v[4:5]
	ds_read_b128 v[2:5], v25 offset:2048
	s_waitcnt lgkmcnt(0)
	v_mul_f64 v[52:53], v[4:5], v[46:47]
	v_mul_f64 v[46:47], v[2:3], v[46:47]
	v_fma_f64 v[52:53], v[2:3], v[44:45], -v[52:53]
	v_fma_f64 v[44:45], v[4:5], v[44:45], v[46:47]
	v_add_f64 v[14:15], v[14:15], v[52:53]
	v_add_f64 v[16:17], v[44:45], v[16:17]
	v_mul_f64 v[44:45], v[4:5], v[12:13]
	v_fma_f64 v[44:45], v[2:3], v[10:11], -v[44:45]
	v_mul_f64 v[2:3], v[2:3], v[12:13]
	v_add_f64 v[44:45], v[6:7], v[44:45]
	v_fma_f64 v[2:3], v[4:5], v[10:11], v[2:3]
	v_add_f64 v[46:47], v[2:3], v[8:9]
	ds_read_b128 v[2:5], v24 offset:512
	s_waitcnt lgkmcnt(0)
	v_mul_f64 v[6:7], v[34:35], v[4:5]
	v_mul_f64 v[8:9], v[32:33], v[4:5]
	v_fma_f64 v[6:7], v[32:33], v[2:3], -v[6:7]
	v_fma_f64 v[8:9], v[34:35], v[2:3], v[8:9]
	v_add_f64 v[48:49], v[48:49], v[6:7]
	v_add_f64 v[50:51], v[8:9], v[50:51]
	ds_read_b128 v[6:9], v24 offset:768
	s_waitcnt lgkmcnt(0)
	v_mul_f64 v[10:11], v[34:35], v[8:9]
	v_mul_f64 v[12:13], v[32:33], v[8:9]
	v_fma_f64 v[10:11], v[32:33], v[6:7], -v[10:11]
	v_fma_f64 v[12:13], v[34:35], v[6:7], v[12:13]
	v_add_f64 v[30:31], v[30:31], v[10:11]
	v_add_f64 v[28:29], v[12:13], v[28:29]
	ds_read_b128 v[10:13], v25 offset:2064
	s_waitcnt lgkmcnt(0)
	v_mul_f64 v[32:33], v[12:13], v[4:5]
	v_mul_f64 v[4:5], v[10:11], v[4:5]
	v_fma_f64 v[32:33], v[10:11], v[2:3], -v[32:33]
	v_fma_f64 v[2:3], v[12:13], v[2:3], v[4:5]
	v_mul_f64 v[4:5], v[10:11], v[8:9]
	v_add_f64 v[14:15], v[14:15], v[32:33]
	v_add_f64 v[16:17], v[2:3], v[16:17]
	v_mul_f64 v[2:3], v[12:13], v[8:9]
	v_fma_f64 v[4:5], v[12:13], v[6:7], v[4:5]
	v_fma_f64 v[2:3], v[10:11], v[6:7], -v[2:3]
	v_add_f64 v[34:35], v[4:5], v[46:47]
	v_add_f64 v[32:33], v[44:45], v[2:3]
	ds_read_b128 v[2:5], v24 offset:1024
	s_waitcnt lgkmcnt(0)
	v_mul_f64 v[6:7], v[38:39], v[4:5]
	v_mul_f64 v[8:9], v[36:37], v[4:5]
	v_fma_f64 v[6:7], v[36:37], v[2:3], -v[6:7]
	v_fma_f64 v[8:9], v[38:39], v[2:3], v[8:9]
	v_add_f64 v[44:45], v[48:49], v[6:7]
	v_add_f64 v[46:47], v[8:9], v[50:51]
	ds_read_b128 v[6:9], v24 offset:1280
	s_waitcnt lgkmcnt(0)
	v_mul_f64 v[10:11], v[38:39], v[8:9]
	v_mul_f64 v[12:13], v[36:37], v[8:9]
	v_fma_f64 v[10:11], v[36:37], v[6:7], -v[10:11]
	v_fma_f64 v[12:13], v[38:39], v[6:7], v[12:13]
	v_add_f64 v[30:31], v[30:31], v[10:11]
	v_add_f64 v[28:29], v[12:13], v[28:29]
	ds_read_b128 v[10:13], v25 offset:2080
	s_waitcnt lgkmcnt(0)
	v_mul_f64 v[36:37], v[12:13], v[4:5]
	v_mul_f64 v[4:5], v[10:11], v[4:5]
	v_fma_f64 v[36:37], v[10:11], v[2:3], -v[36:37]
	v_fma_f64 v[2:3], v[12:13], v[2:3], v[4:5]
	v_mul_f64 v[4:5], v[10:11], v[8:9]
	v_add_f64 v[14:15], v[14:15], v[36:37]
	v_add_f64 v[16:17], v[2:3], v[16:17]
	v_mul_f64 v[2:3], v[12:13], v[8:9]
	v_fma_f64 v[4:5], v[12:13], v[6:7], v[4:5]
	v_fma_f64 v[2:3], v[10:11], v[6:7], -v[2:3]
	v_add_f64 v[34:35], v[4:5], v[34:35]
	v_add_f64 v[32:33], v[32:33], v[2:3]
	ds_read_b128 v[2:5], v24 offset:1536
	s_waitcnt lgkmcnt(0)
	v_mul_f64 v[6:7], v[42:43], v[4:5]
	v_mul_f64 v[8:9], v[40:41], v[4:5]
	v_fma_f64 v[6:7], v[40:41], v[2:3], -v[6:7]
	v_fma_f64 v[8:9], v[42:43], v[2:3], v[8:9]
	v_add_f64 v[36:37], v[44:45], v[6:7]
	v_add_f64 v[38:39], v[8:9], v[46:47]
	ds_read_b128 v[6:9], v24 offset:1792
	s_waitcnt lgkmcnt(0)
	v_mul_f64 v[10:11], v[42:43], v[8:9]
	v_mul_f64 v[12:13], v[40:41], v[8:9]
	v_fma_f64 v[10:11], v[40:41], v[6:7], -v[10:11]
	v_fma_f64 v[12:13], v[42:43], v[6:7], v[12:13]
	v_add_f64 v[30:31], v[30:31], v[10:11]
	v_add_f64 v[28:29], v[12:13], v[28:29]
	ds_read_b128 v[10:13], v25 offset:2096
	s_waitcnt lgkmcnt(0)
	v_mul_f64 v[40:41], v[12:13], v[4:5]
	v_mul_f64 v[4:5], v[10:11], v[4:5]
	v_fma_f64 v[40:41], v[10:11], v[2:3], -v[40:41]
	v_fma_f64 v[2:3], v[12:13], v[2:3], v[4:5]
	v_mul_f64 v[4:5], v[10:11], v[8:9]
	v_add_f64 v[14:15], v[14:15], v[40:41]
	v_add_f64 v[16:17], v[2:3], v[16:17]
	v_mul_f64 v[2:3], v[12:13], v[8:9]
	v_fma_f64 v[4:5], v[12:13], v[6:7], v[4:5]
	v_fma_f64 v[2:3], v[10:11], v[6:7], -v[2:3]
	v_add_f64 v[34:35], v[4:5], v[34:35]
	v_add_f64 v[32:33], v[32:33], v[2:3]
	ds_read_b128 v[2:5], v25 offset:64
	ds_read_b128 v[6:9], v24 offset:2048
	s_waitcnt lgkmcnt(0)
	v_mul_f64 v[10:11], v[4:5], v[8:9]
	v_mul_f64 v[12:13], v[2:3], v[8:9]
	v_fma_f64 v[10:11], v[2:3], v[6:7], -v[10:11]
	v_fma_f64 v[12:13], v[4:5], v[6:7], v[12:13]
	v_add_f64 v[36:37], v[36:37], v[10:11]
	v_add_f64 v[38:39], v[12:13], v[38:39]
	ds_read_b128 v[10:13], v24 offset:2304
	s_waitcnt lgkmcnt(0)
	v_mul_f64 v[40:41], v[4:5], v[12:13]
	v_fma_f64 v[40:41], v[2:3], v[10:11], -v[40:41]
	v_mul_f64 v[2:3], v[2:3], v[12:13]
	v_add_f64 v[30:31], v[30:31], v[40:41]
	v_fma_f64 v[2:3], v[4:5], v[10:11], v[2:3]
	v_add_f64 v[28:29], v[2:3], v[28:29]
	ds_read_b128 v[2:5], v25 offset:2112
	s_waitcnt lgkmcnt(0)
	v_mul_f64 v[40:41], v[4:5], v[8:9]
	v_mul_f64 v[8:9], v[2:3], v[8:9]
	v_fma_f64 v[40:41], v[2:3], v[6:7], -v[40:41]
	v_fma_f64 v[6:7], v[4:5], v[6:7], v[8:9]
	v_add_f64 v[14:15], v[14:15], v[40:41]
	v_add_f64 v[16:17], v[6:7], v[16:17]
	v_mul_f64 v[6:7], v[4:5], v[12:13]
	v_fma_f64 v[6:7], v[2:3], v[10:11], -v[6:7]
	v_mul_f64 v[2:3], v[2:3], v[12:13]
	v_add_f64 v[32:33], v[32:33], v[6:7]
	v_fma_f64 v[2:3], v[4:5], v[10:11], v[2:3]
	v_add_f64 v[34:35], v[2:3], v[34:35]
	ds_read_b128 v[2:5], v25 offset:80
	ds_read_b128 v[6:9], v24 offset:2560
	s_waitcnt lgkmcnt(0)
	v_mul_f64 v[10:11], v[4:5], v[8:9]
	v_mul_f64 v[12:13], v[2:3], v[8:9]
	v_fma_f64 v[10:11], v[2:3], v[6:7], -v[10:11]
	v_fma_f64 v[12:13], v[4:5], v[6:7], v[12:13]
	v_add_f64 v[36:37], v[36:37], v[10:11]
	v_add_f64 v[38:39], v[12:13], v[38:39]
	ds_read_b128 v[10:13], v24 offset:2816
	s_waitcnt lgkmcnt(0)
	v_mul_f64 v[40:41], v[4:5], v[12:13]
	v_fma_f64 v[40:41], v[2:3], v[10:11], -v[40:41]
	v_mul_f64 v[2:3], v[2:3], v[12:13]
	v_add_f64 v[30:31], v[30:31], v[40:41]
	v_fma_f64 v[2:3], v[4:5], v[10:11], v[2:3]
	v_add_f64 v[28:29], v[2:3], v[28:29]
	ds_read_b128 v[2:5], v25 offset:2128
	s_waitcnt lgkmcnt(0)
	v_mul_f64 v[40:41], v[4:5], v[8:9]
	v_mul_f64 v[8:9], v[2:3], v[8:9]
	v_fma_f64 v[40:41], v[2:3], v[6:7], -v[40:41]
	v_fma_f64 v[6:7], v[4:5], v[6:7], v[8:9]
	v_add_f64 v[14:15], v[14:15], v[40:41]
	v_add_f64 v[16:17], v[6:7], v[16:17]
	v_mul_f64 v[6:7], v[4:5], v[12:13]
	v_fma_f64 v[6:7], v[2:3], v[10:11], -v[6:7]
	v_mul_f64 v[2:3], v[2:3], v[12:13]
	v_add_f64 v[32:33], v[32:33], v[6:7]
	v_fma_f64 v[2:3], v[4:5], v[10:11], v[2:3]
	;; [unrolled: 31-line block ×3, first 2 shown]
	v_add_f64 v[46:47], v[2:3], v[34:35]
	ds_read_b128 v[2:5], v25 offset:112
	ds_read_b128 v[6:9], v24 offset:3584
	;; [unrolled: 1-line block ×3, first 2 shown]
	s_waitcnt lgkmcnt(1)
	v_mul_f64 v[10:11], v[4:5], v[8:9]
	s_waitcnt lgkmcnt(0)
	v_mul_f64 v[32:33], v[4:5], v[30:31]
	v_mul_f64 v[12:13], v[2:3], v[8:9]
	v_fma_f64 v[10:11], v[2:3], v[6:7], -v[10:11]
	v_fma_f64 v[32:33], v[2:3], v[28:29], -v[32:33]
	v_mul_f64 v[2:3], v[2:3], v[30:31]
	v_fma_f64 v[12:13], v[4:5], v[6:7], v[12:13]
	v_add_f64 v[10:11], v[36:37], v[10:11]
	v_fma_f64 v[4:5], v[4:5], v[28:29], v[2:3]
	v_add_f64 v[2:3], v[40:41], v[32:33]
	ds_read_b128 v[32:35], v25 offset:2160
	v_add_f64 v[12:13], v[12:13], v[38:39]
	s_waitcnt lgkmcnt(0)
	s_barrier
	v_mul_f64 v[36:37], v[34:35], v[8:9]
	v_mul_f64 v[8:9], v[32:33], v[8:9]
	v_add_f64 v[4:5], v[4:5], v[42:43]
	v_fma_f64 v[36:37], v[32:33], v[6:7], -v[36:37]
	v_fma_f64 v[6:7], v[34:35], v[6:7], v[8:9]
	v_mul_f64 v[8:9], v[32:33], v[30:31]
	v_add_f64 v[14:15], v[14:15], v[36:37]
	v_add_f64 v[16:17], v[6:7], v[16:17]
	v_mul_f64 v[6:7], v[34:35], v[30:31]
	v_fma_f64 v[8:9], v[34:35], v[28:29], v[8:9]
	v_fma_f64 v[6:7], v[32:33], v[28:29], -v[6:7]
	v_add_f64 v[8:9], v[8:9], v[46:47]
	v_add_f64 v[6:7], v[44:45], v[6:7]
	s_cbranch_scc0 .LBB715_2
	s_branch .LBB715_4
.LBB715_3:
	v_mov_b32_e32 v10, 0
	v_mov_b32_e32 v12, 0
	;; [unrolled: 1-line block ×16, first 2 shown]
.LBB715_4:
	s_load_dword s8, s[4:5], 0x40
	v_add_u32_e32 v18, s7, v1
	s_waitcnt lgkmcnt(0)
	v_mov_b32_e32 v1, s11
	v_add_u32_e32 v0, s6, v0
	v_mad_i64_i32 v[19:20], s[0:1], v18, s8, 0
	v_cmp_le_i32_e64 s[0:1], v18, v0
	v_lshlrev_b64 v[19:20], 4, v[19:20]
	v_add_co_u32_e32 v19, vcc, s10, v19
	v_addc_co_u32_e32 v20, vcc, v1, v20, vcc
	v_cmp_gt_i32_e32 vcc, s12, v0
	s_and_b64 s[0:1], s[0:1], vcc
	s_and_saveexec_b64 s[2:3], s[0:1]
	s_cbranch_execz .LBB715_6
; %bb.5:
	v_ashrrev_i32_e32 v1, 31, v0
	v_lshlrev_b64 v[21:22], 4, v[0:1]
	v_xor_b32_e32 v11, 0x80000000, v11
	v_add_co_u32_e64 v21, s[0:1], v19, v21
	v_xor_b32_e32 v13, 0x80000000, v13
	v_addc_co_u32_e64 v22, s[0:1], v20, v22, s[0:1]
	flat_store_dwordx4 v[21:22], v[10:13]
.LBB715_6:
	s_or_b64 exec, exec, s[2:3]
	v_add_u32_e32 v10, 16, v0
	v_cmp_le_i32_e64 s[2:3], v18, v10
	v_cmp_gt_i32_e64 s[0:1], s12, v10
	s_and_b64 s[2:3], s[2:3], s[0:1]
	s_and_saveexec_b64 s[4:5], s[2:3]
	s_cbranch_execz .LBB715_8
; %bb.7:
	v_ashrrev_i32_e32 v11, 31, v10
	v_lshlrev_b64 v[11:12], 4, v[10:11]
	v_xor_b32_e32 v3, 0x80000000, v3
	v_add_co_u32_e64 v11, s[2:3], v19, v11
	v_xor_b32_e32 v5, 0x80000000, v5
	v_addc_co_u32_e64 v12, s[2:3], v20, v12, s[2:3]
	flat_store_dwordx4 v[11:12], v[2:5]
.LBB715_8:
	s_or_b64 exec, exec, s[4:5]
	v_add_u32_e32 v4, 16, v18
	v_mad_i64_i32 v[1:2], s[2:3], v4, s8, 0
	v_mov_b32_e32 v5, s11
	v_lshlrev_b64 v[2:3], 4, v[1:2]
	v_add_co_u32_e64 v2, s[2:3], s10, v2
	v_addc_co_u32_e64 v3, s[2:3], v5, v3, s[2:3]
	v_cmp_le_i32_e64 s[2:3], v4, v0
	s_and_b64 s[4:5], s[2:3], vcc
	s_and_saveexec_b64 s[2:3], s[4:5]
	s_cbranch_execz .LBB715_10
; %bb.9:
	v_ashrrev_i32_e32 v1, 31, v0
	v_lshlrev_b64 v[0:1], 4, v[0:1]
	v_xor_b32_e32 v15, 0x80000000, v15
	v_add_co_u32_e32 v0, vcc, v2, v0
	v_xor_b32_e32 v17, 0x80000000, v17
	v_addc_co_u32_e32 v1, vcc, v3, v1, vcc
	flat_store_dwordx4 v[0:1], v[14:17]
.LBB715_10:
	s_or_b64 exec, exec, s[2:3]
	v_cmp_le_i32_e32 vcc, v4, v10
	s_and_b64 s[0:1], vcc, s[0:1]
	s_and_saveexec_b64 s[2:3], s[0:1]
	s_cbranch_execz .LBB715_12
; %bb.11:
	v_ashrrev_i32_e32 v11, 31, v10
	v_lshlrev_b64 v[0:1], 4, v[10:11]
	v_xor_b32_e32 v7, 0x80000000, v7
	v_add_co_u32_e32 v0, vcc, v2, v0
	v_xor_b32_e32 v9, 0x80000000, v9
	v_addc_co_u32_e32 v1, vcc, v3, v1, vcc
	flat_store_dwordx4 v[0:1], v[6:9]
.LBB715_12:
	s_endpgm
	.section	.rodata,"a",@progbits
	.p2align	6, 0x0
	.amdhsa_kernel _ZL37rocblas_syrkx_herkx_restricted_kernelIi19rocblas_complex_numIdELi16ELi32ELi8ELin1ELi0ELb0ELc78ELc76EKPKS1_KPS1_EviT_PT9_S7_lS9_S7_lPT10_S7_li
		.amdhsa_group_segment_fixed_size 8192
		.amdhsa_private_segment_fixed_size 0
		.amdhsa_kernarg_size 84
		.amdhsa_user_sgpr_count 6
		.amdhsa_user_sgpr_private_segment_buffer 1
		.amdhsa_user_sgpr_dispatch_ptr 0
		.amdhsa_user_sgpr_queue_ptr 0
		.amdhsa_user_sgpr_kernarg_segment_ptr 1
		.amdhsa_user_sgpr_dispatch_id 0
		.amdhsa_user_sgpr_flat_scratch_init 0
		.amdhsa_user_sgpr_private_segment_size 0
		.amdhsa_uses_dynamic_stack 0
		.amdhsa_system_sgpr_private_segment_wavefront_offset 0
		.amdhsa_system_sgpr_workgroup_id_x 1
		.amdhsa_system_sgpr_workgroup_id_y 1
		.amdhsa_system_sgpr_workgroup_id_z 1
		.amdhsa_system_sgpr_workgroup_info 0
		.amdhsa_system_vgpr_workitem_id 1
		.amdhsa_next_free_vgpr 54
		.amdhsa_next_free_sgpr 61
		.amdhsa_reserve_vcc 1
		.amdhsa_reserve_flat_scratch 0
		.amdhsa_float_round_mode_32 0
		.amdhsa_float_round_mode_16_64 0
		.amdhsa_float_denorm_mode_32 3
		.amdhsa_float_denorm_mode_16_64 3
		.amdhsa_dx10_clamp 1
		.amdhsa_ieee_mode 1
		.amdhsa_fp16_overflow 0
		.amdhsa_exception_fp_ieee_invalid_op 0
		.amdhsa_exception_fp_denorm_src 0
		.amdhsa_exception_fp_ieee_div_zero 0
		.amdhsa_exception_fp_ieee_overflow 0
		.amdhsa_exception_fp_ieee_underflow 0
		.amdhsa_exception_fp_ieee_inexact 0
		.amdhsa_exception_int_div_zero 0
	.end_amdhsa_kernel
	.section	.text._ZL37rocblas_syrkx_herkx_restricted_kernelIi19rocblas_complex_numIdELi16ELi32ELi8ELin1ELi0ELb0ELc78ELc76EKPKS1_KPS1_EviT_PT9_S7_lS9_S7_lPT10_S7_li,"axG",@progbits,_ZL37rocblas_syrkx_herkx_restricted_kernelIi19rocblas_complex_numIdELi16ELi32ELi8ELin1ELi0ELb0ELc78ELc76EKPKS1_KPS1_EviT_PT9_S7_lS9_S7_lPT10_S7_li,comdat
.Lfunc_end715:
	.size	_ZL37rocblas_syrkx_herkx_restricted_kernelIi19rocblas_complex_numIdELi16ELi32ELi8ELin1ELi0ELb0ELc78ELc76EKPKS1_KPS1_EviT_PT9_S7_lS9_S7_lPT10_S7_li, .Lfunc_end715-_ZL37rocblas_syrkx_herkx_restricted_kernelIi19rocblas_complex_numIdELi16ELi32ELi8ELin1ELi0ELb0ELc78ELc76EKPKS1_KPS1_EviT_PT9_S7_lS9_S7_lPT10_S7_li
                                        ; -- End function
	.set _ZL37rocblas_syrkx_herkx_restricted_kernelIi19rocblas_complex_numIdELi16ELi32ELi8ELin1ELi0ELb0ELc78ELc76EKPKS1_KPS1_EviT_PT9_S7_lS9_S7_lPT10_S7_li.num_vgpr, 54
	.set _ZL37rocblas_syrkx_herkx_restricted_kernelIi19rocblas_complex_numIdELi16ELi32ELi8ELin1ELi0ELb0ELc78ELc76EKPKS1_KPS1_EviT_PT9_S7_lS9_S7_lPT10_S7_li.num_agpr, 0
	.set _ZL37rocblas_syrkx_herkx_restricted_kernelIi19rocblas_complex_numIdELi16ELi32ELi8ELin1ELi0ELb0ELc78ELc76EKPKS1_KPS1_EviT_PT9_S7_lS9_S7_lPT10_S7_li.numbered_sgpr, 20
	.set _ZL37rocblas_syrkx_herkx_restricted_kernelIi19rocblas_complex_numIdELi16ELi32ELi8ELin1ELi0ELb0ELc78ELc76EKPKS1_KPS1_EviT_PT9_S7_lS9_S7_lPT10_S7_li.num_named_barrier, 0
	.set _ZL37rocblas_syrkx_herkx_restricted_kernelIi19rocblas_complex_numIdELi16ELi32ELi8ELin1ELi0ELb0ELc78ELc76EKPKS1_KPS1_EviT_PT9_S7_lS9_S7_lPT10_S7_li.private_seg_size, 0
	.set _ZL37rocblas_syrkx_herkx_restricted_kernelIi19rocblas_complex_numIdELi16ELi32ELi8ELin1ELi0ELb0ELc78ELc76EKPKS1_KPS1_EviT_PT9_S7_lS9_S7_lPT10_S7_li.uses_vcc, 1
	.set _ZL37rocblas_syrkx_herkx_restricted_kernelIi19rocblas_complex_numIdELi16ELi32ELi8ELin1ELi0ELb0ELc78ELc76EKPKS1_KPS1_EviT_PT9_S7_lS9_S7_lPT10_S7_li.uses_flat_scratch, 0
	.set _ZL37rocblas_syrkx_herkx_restricted_kernelIi19rocblas_complex_numIdELi16ELi32ELi8ELin1ELi0ELb0ELc78ELc76EKPKS1_KPS1_EviT_PT9_S7_lS9_S7_lPT10_S7_li.has_dyn_sized_stack, 0
	.set _ZL37rocblas_syrkx_herkx_restricted_kernelIi19rocblas_complex_numIdELi16ELi32ELi8ELin1ELi0ELb0ELc78ELc76EKPKS1_KPS1_EviT_PT9_S7_lS9_S7_lPT10_S7_li.has_recursion, 0
	.set _ZL37rocblas_syrkx_herkx_restricted_kernelIi19rocblas_complex_numIdELi16ELi32ELi8ELin1ELi0ELb0ELc78ELc76EKPKS1_KPS1_EviT_PT9_S7_lS9_S7_lPT10_S7_li.has_indirect_call, 0
	.section	.AMDGPU.csdata,"",@progbits
; Kernel info:
; codeLenInByte = 2792
; TotalNumSgprs: 24
; NumVgprs: 54
; ScratchSize: 0
; MemoryBound: 0
; FloatMode: 240
; IeeeMode: 1
; LDSByteSize: 8192 bytes/workgroup (compile time only)
; SGPRBlocks: 8
; VGPRBlocks: 13
; NumSGPRsForWavesPerEU: 65
; NumVGPRsForWavesPerEU: 54
; Occupancy: 4
; WaveLimiterHint : 1
; COMPUTE_PGM_RSRC2:SCRATCH_EN: 0
; COMPUTE_PGM_RSRC2:USER_SGPR: 6
; COMPUTE_PGM_RSRC2:TRAP_HANDLER: 0
; COMPUTE_PGM_RSRC2:TGID_X_EN: 1
; COMPUTE_PGM_RSRC2:TGID_Y_EN: 1
; COMPUTE_PGM_RSRC2:TGID_Z_EN: 1
; COMPUTE_PGM_RSRC2:TIDIG_COMP_CNT: 1
	.section	.text._ZL37rocblas_syrkx_herkx_restricted_kernelIi19rocblas_complex_numIdELi16ELi32ELi8ELin1ELi0ELb0ELc84ELc85EKPKS1_KPS1_EviT_PT9_S7_lS9_S7_lPT10_S7_li,"axG",@progbits,_ZL37rocblas_syrkx_herkx_restricted_kernelIi19rocblas_complex_numIdELi16ELi32ELi8ELin1ELi0ELb0ELc84ELc85EKPKS1_KPS1_EviT_PT9_S7_lS9_S7_lPT10_S7_li,comdat
	.globl	_ZL37rocblas_syrkx_herkx_restricted_kernelIi19rocblas_complex_numIdELi16ELi32ELi8ELin1ELi0ELb0ELc84ELc85EKPKS1_KPS1_EviT_PT9_S7_lS9_S7_lPT10_S7_li ; -- Begin function _ZL37rocblas_syrkx_herkx_restricted_kernelIi19rocblas_complex_numIdELi16ELi32ELi8ELin1ELi0ELb0ELc84ELc85EKPKS1_KPS1_EviT_PT9_S7_lS9_S7_lPT10_S7_li
	.p2align	8
	.type	_ZL37rocblas_syrkx_herkx_restricted_kernelIi19rocblas_complex_numIdELi16ELi32ELi8ELin1ELi0ELb0ELc84ELc85EKPKS1_KPS1_EviT_PT9_S7_lS9_S7_lPT10_S7_li,@function
_ZL37rocblas_syrkx_herkx_restricted_kernelIi19rocblas_complex_numIdELi16ELi32ELi8ELin1ELi0ELb0ELc84ELc85EKPKS1_KPS1_EviT_PT9_S7_lS9_S7_lPT10_S7_li: ; @_ZL37rocblas_syrkx_herkx_restricted_kernelIi19rocblas_complex_numIdELi16ELi32ELi8ELin1ELi0ELb0ELc84ELc85EKPKS1_KPS1_EviT_PT9_S7_lS9_S7_lPT10_S7_li
; %bb.0:
	s_load_dwordx2 s[10:11], s[4:5], 0x38
	s_load_dwordx2 s[2:3], s[4:5], 0x0
	s_mov_b32 s9, 0
	s_lshl_b64 s[0:1], s[8:9], 3
	s_waitcnt lgkmcnt(0)
	s_add_u32 s10, s10, s0
	s_addc_u32 s11, s11, s1
	s_load_dwordx2 s[10:11], s[10:11], 0x0
	s_lshl_b32 s6, s6, 5
	s_lshl_b32 s7, s7, 5
	s_cmp_lt_i32 s3, 1
	s_cbranch_scc1 .LBB716_3
; %bb.1:
	s_load_dwordx2 s[12:13], s[4:5], 0x8
	s_load_dword s8, s[4:5], 0x10
	s_load_dwordx2 s[14:15], s[4:5], 0x20
	s_load_dword s16, s[4:5], 0x28
	v_lshl_add_u32 v6, v1, 4, v0
	s_waitcnt lgkmcnt(0)
	s_add_u32 s12, s12, s0
	s_addc_u32 s13, s13, s1
	v_lshrrev_b32_e32 v8, 3, v6
	s_add_u32 s0, s14, s0
	v_add_u32_e32 v4, s7, v8
	v_and_b32_e32 v2, 7, v0
	v_mov_b32_e32 v3, 0
	s_addc_u32 s1, s15, s1
	v_mad_i64_i32 v[4:5], s[14:15], s16, v4, v[2:3]
	v_and_b32_e32 v9, 31, v6
	v_lshlrev_b32_e32 v2, 4, v2
	v_lshrrev_b32_e32 v6, 5, v6
	v_mov_b32_e32 v7, v3
	v_lshlrev_b32_e32 v3, 4, v9
	v_lshl_or_b32 v8, v8, 7, v2
	v_add_u32_e32 v2, s6, v9
	v_lshl_or_b32 v22, v6, 9, v3
	v_mad_i64_i32 v[2:3], s[14:15], s8, v2, v[6:7]
	s_load_dwordx2 s[12:13], s[12:13], 0x0
	v_add_u32_e32 v23, 0x1000, v8
	s_load_dwordx2 s[0:1], s[0:1], 0x0
	v_lshlrev_b64 v[2:3], 4, v[2:3]
	v_mov_b32_e32 v25, 0x1000
	s_waitcnt lgkmcnt(0)
	v_mov_b32_e32 v6, s13
	v_add_co_u32_e32 v18, vcc, s12, v2
	v_addc_co_u32_e32 v19, vcc, v6, v3, vcc
	v_lshlrev_b64 v[2:3], 4, v[4:5]
	v_mov_b32_e32 v4, s1
	v_add_co_u32_e32 v20, vcc, s0, v2
	v_addc_co_u32_e32 v21, vcc, v4, v3, vcc
	v_mov_b32_e32 v8, 0
	v_mov_b32_e32 v6, 0
	;; [unrolled: 1-line block ×8, first 2 shown]
	v_lshlrev_b32_e32 v24, 4, v0
	v_mov_b32_e32 v9, 0
	v_mov_b32_e32 v7, 0
	;; [unrolled: 1-line block ×8, first 2 shown]
	v_lshl_add_u32 v25, v1, 7, v25
.LBB716_2:                              ; =>This Inner Loop Header: Depth=1
	flat_load_dwordx4 v[26:29], v[18:19]
	v_add_co_u32_e32 v18, vcc, 0x80, v18
	v_addc_co_u32_e32 v19, vcc, 0, v19, vcc
	s_add_i32 s9, s9, 8
	s_cmp_ge_i32 s9, s3
	s_waitcnt vmcnt(0) lgkmcnt(0)
	ds_write_b128 v22, v[26:29]
	flat_load_dwordx4 v[26:29], v[20:21]
	v_add_co_u32_e32 v20, vcc, 0x80, v20
	v_addc_co_u32_e32 v21, vcc, 0, v21, vcc
	s_waitcnt vmcnt(0) lgkmcnt(0)
	ds_write_b128 v23, v[26:29]
	s_waitcnt lgkmcnt(0)
	s_barrier
	ds_read_b128 v[26:29], v25
	ds_read_b128 v[30:33], v25 offset:16
	ds_read_b128 v[34:37], v25 offset:32
	;; [unrolled: 1-line block ×3, first 2 shown]
	ds_read_b128 v[42:45], v24
	s_waitcnt lgkmcnt(0)
	v_mul_f64 v[46:47], v[28:29], v[44:45]
	v_mul_f64 v[48:49], v[26:27], v[44:45]
	v_fma_f64 v[46:47], v[26:27], v[42:43], -v[46:47]
	v_fma_f64 v[48:49], v[28:29], v[42:43], v[48:49]
	v_add_f64 v[46:47], v[10:11], v[46:47]
	v_add_f64 v[48:49], v[48:49], v[12:13]
	ds_read_b128 v[10:13], v24 offset:256
	s_waitcnt lgkmcnt(0)
	v_mul_f64 v[50:51], v[28:29], v[12:13]
	v_fma_f64 v[50:51], v[26:27], v[10:11], -v[50:51]
	v_mul_f64 v[26:27], v[26:27], v[12:13]
	v_fma_f64 v[26:27], v[28:29], v[10:11], v[26:27]
	v_add_f64 v[28:29], v[2:3], v[50:51]
	v_add_f64 v[26:27], v[26:27], v[4:5]
	ds_read_b128 v[2:5], v25 offset:2048
	s_waitcnt lgkmcnt(0)
	v_mul_f64 v[50:51], v[4:5], v[44:45]
	v_mul_f64 v[44:45], v[2:3], v[44:45]
	v_fma_f64 v[50:51], v[2:3], v[42:43], -v[50:51]
	v_fma_f64 v[42:43], v[4:5], v[42:43], v[44:45]
	v_add_f64 v[14:15], v[14:15], v[50:51]
	v_add_f64 v[16:17], v[42:43], v[16:17]
	v_mul_f64 v[42:43], v[4:5], v[12:13]
	v_fma_f64 v[42:43], v[2:3], v[10:11], -v[42:43]
	v_mul_f64 v[2:3], v[2:3], v[12:13]
	v_add_f64 v[42:43], v[6:7], v[42:43]
	v_fma_f64 v[2:3], v[4:5], v[10:11], v[2:3]
	v_add_f64 v[44:45], v[2:3], v[8:9]
	ds_read_b128 v[2:5], v24 offset:512
	s_waitcnt lgkmcnt(0)
	v_mul_f64 v[6:7], v[32:33], v[4:5]
	v_mul_f64 v[8:9], v[30:31], v[4:5]
	v_fma_f64 v[6:7], v[30:31], v[2:3], -v[6:7]
	v_fma_f64 v[8:9], v[32:33], v[2:3], v[8:9]
	v_add_f64 v[46:47], v[46:47], v[6:7]
	v_add_f64 v[48:49], v[8:9], v[48:49]
	ds_read_b128 v[6:9], v24 offset:768
	s_waitcnt lgkmcnt(0)
	v_mul_f64 v[10:11], v[32:33], v[8:9]
	v_mul_f64 v[12:13], v[30:31], v[8:9]
	v_fma_f64 v[10:11], v[30:31], v[6:7], -v[10:11]
	v_fma_f64 v[12:13], v[32:33], v[6:7], v[12:13]
	v_add_f64 v[28:29], v[28:29], v[10:11]
	v_add_f64 v[26:27], v[12:13], v[26:27]
	ds_read_b128 v[10:13], v25 offset:2064
	s_waitcnt lgkmcnt(0)
	v_mul_f64 v[30:31], v[12:13], v[4:5]
	v_mul_f64 v[4:5], v[10:11], v[4:5]
	v_fma_f64 v[30:31], v[10:11], v[2:3], -v[30:31]
	v_fma_f64 v[2:3], v[12:13], v[2:3], v[4:5]
	v_mul_f64 v[4:5], v[10:11], v[8:9]
	v_add_f64 v[14:15], v[14:15], v[30:31]
	v_add_f64 v[16:17], v[2:3], v[16:17]
	v_mul_f64 v[2:3], v[12:13], v[8:9]
	v_fma_f64 v[4:5], v[12:13], v[6:7], v[4:5]
	v_fma_f64 v[2:3], v[10:11], v[6:7], -v[2:3]
	v_add_f64 v[32:33], v[4:5], v[44:45]
	v_add_f64 v[30:31], v[42:43], v[2:3]
	ds_read_b128 v[2:5], v24 offset:1024
	s_waitcnt lgkmcnt(0)
	v_mul_f64 v[6:7], v[36:37], v[4:5]
	v_mul_f64 v[8:9], v[34:35], v[4:5]
	v_fma_f64 v[6:7], v[34:35], v[2:3], -v[6:7]
	v_fma_f64 v[8:9], v[36:37], v[2:3], v[8:9]
	v_add_f64 v[42:43], v[46:47], v[6:7]
	v_add_f64 v[44:45], v[8:9], v[48:49]
	ds_read_b128 v[6:9], v24 offset:1280
	s_waitcnt lgkmcnt(0)
	v_mul_f64 v[10:11], v[36:37], v[8:9]
	v_mul_f64 v[12:13], v[34:35], v[8:9]
	v_fma_f64 v[10:11], v[34:35], v[6:7], -v[10:11]
	v_fma_f64 v[12:13], v[36:37], v[6:7], v[12:13]
	v_add_f64 v[28:29], v[28:29], v[10:11]
	v_add_f64 v[26:27], v[12:13], v[26:27]
	ds_read_b128 v[10:13], v25 offset:2080
	s_waitcnt lgkmcnt(0)
	v_mul_f64 v[34:35], v[12:13], v[4:5]
	v_mul_f64 v[4:5], v[10:11], v[4:5]
	v_fma_f64 v[34:35], v[10:11], v[2:3], -v[34:35]
	v_fma_f64 v[2:3], v[12:13], v[2:3], v[4:5]
	v_mul_f64 v[4:5], v[10:11], v[8:9]
	v_add_f64 v[14:15], v[14:15], v[34:35]
	v_add_f64 v[16:17], v[2:3], v[16:17]
	v_mul_f64 v[2:3], v[12:13], v[8:9]
	v_fma_f64 v[4:5], v[12:13], v[6:7], v[4:5]
	v_fma_f64 v[2:3], v[10:11], v[6:7], -v[2:3]
	v_add_f64 v[32:33], v[4:5], v[32:33]
	;; [unrolled: 30-line block ×3, first 2 shown]
	v_add_f64 v[30:31], v[30:31], v[2:3]
	ds_read_b128 v[2:5], v25 offset:64
	ds_read_b128 v[6:9], v24 offset:2048
	s_waitcnt lgkmcnt(0)
	v_mul_f64 v[10:11], v[4:5], v[8:9]
	v_mul_f64 v[12:13], v[2:3], v[8:9]
	v_fma_f64 v[10:11], v[2:3], v[6:7], -v[10:11]
	v_fma_f64 v[12:13], v[4:5], v[6:7], v[12:13]
	v_add_f64 v[34:35], v[34:35], v[10:11]
	v_add_f64 v[36:37], v[12:13], v[36:37]
	ds_read_b128 v[10:13], v24 offset:2304
	s_waitcnt lgkmcnt(0)
	v_mul_f64 v[38:39], v[4:5], v[12:13]
	v_fma_f64 v[38:39], v[2:3], v[10:11], -v[38:39]
	v_mul_f64 v[2:3], v[2:3], v[12:13]
	v_add_f64 v[28:29], v[28:29], v[38:39]
	v_fma_f64 v[2:3], v[4:5], v[10:11], v[2:3]
	v_add_f64 v[26:27], v[2:3], v[26:27]
	ds_read_b128 v[2:5], v25 offset:2112
	s_waitcnt lgkmcnt(0)
	v_mul_f64 v[38:39], v[4:5], v[8:9]
	v_mul_f64 v[8:9], v[2:3], v[8:9]
	v_fma_f64 v[38:39], v[2:3], v[6:7], -v[38:39]
	v_fma_f64 v[6:7], v[4:5], v[6:7], v[8:9]
	v_add_f64 v[14:15], v[14:15], v[38:39]
	v_add_f64 v[16:17], v[6:7], v[16:17]
	v_mul_f64 v[6:7], v[4:5], v[12:13]
	v_fma_f64 v[6:7], v[2:3], v[10:11], -v[6:7]
	v_mul_f64 v[2:3], v[2:3], v[12:13]
	v_add_f64 v[30:31], v[30:31], v[6:7]
	v_fma_f64 v[2:3], v[4:5], v[10:11], v[2:3]
	v_add_f64 v[32:33], v[2:3], v[32:33]
	ds_read_b128 v[2:5], v25 offset:80
	ds_read_b128 v[6:9], v24 offset:2560
	s_waitcnt lgkmcnt(0)
	v_mul_f64 v[10:11], v[4:5], v[8:9]
	v_mul_f64 v[12:13], v[2:3], v[8:9]
	v_fma_f64 v[10:11], v[2:3], v[6:7], -v[10:11]
	v_fma_f64 v[12:13], v[4:5], v[6:7], v[12:13]
	v_add_f64 v[34:35], v[34:35], v[10:11]
	v_add_f64 v[36:37], v[12:13], v[36:37]
	ds_read_b128 v[10:13], v24 offset:2816
	s_waitcnt lgkmcnt(0)
	v_mul_f64 v[38:39], v[4:5], v[12:13]
	v_fma_f64 v[38:39], v[2:3], v[10:11], -v[38:39]
	v_mul_f64 v[2:3], v[2:3], v[12:13]
	v_add_f64 v[28:29], v[28:29], v[38:39]
	v_fma_f64 v[2:3], v[4:5], v[10:11], v[2:3]
	v_add_f64 v[26:27], v[2:3], v[26:27]
	ds_read_b128 v[2:5], v25 offset:2128
	s_waitcnt lgkmcnt(0)
	v_mul_f64 v[38:39], v[4:5], v[8:9]
	v_mul_f64 v[8:9], v[2:3], v[8:9]
	v_fma_f64 v[38:39], v[2:3], v[6:7], -v[38:39]
	v_fma_f64 v[6:7], v[4:5], v[6:7], v[8:9]
	v_add_f64 v[14:15], v[14:15], v[38:39]
	v_add_f64 v[16:17], v[6:7], v[16:17]
	v_mul_f64 v[6:7], v[4:5], v[12:13]
	v_fma_f64 v[6:7], v[2:3], v[10:11], -v[6:7]
	v_mul_f64 v[2:3], v[2:3], v[12:13]
	v_add_f64 v[30:31], v[30:31], v[6:7]
	v_fma_f64 v[2:3], v[4:5], v[10:11], v[2:3]
	;; [unrolled: 31-line block ×3, first 2 shown]
	v_add_f64 v[44:45], v[2:3], v[32:33]
	ds_read_b128 v[2:5], v25 offset:112
	ds_read_b128 v[6:9], v24 offset:3584
	;; [unrolled: 1-line block ×3, first 2 shown]
	s_waitcnt lgkmcnt(1)
	v_mul_f64 v[10:11], v[4:5], v[8:9]
	s_waitcnt lgkmcnt(0)
	v_mul_f64 v[30:31], v[4:5], v[28:29]
	v_mul_f64 v[12:13], v[2:3], v[8:9]
	v_fma_f64 v[10:11], v[2:3], v[6:7], -v[10:11]
	v_fma_f64 v[30:31], v[2:3], v[26:27], -v[30:31]
	v_mul_f64 v[2:3], v[2:3], v[28:29]
	v_fma_f64 v[12:13], v[4:5], v[6:7], v[12:13]
	v_add_f64 v[10:11], v[34:35], v[10:11]
	v_fma_f64 v[4:5], v[4:5], v[26:27], v[2:3]
	v_add_f64 v[2:3], v[38:39], v[30:31]
	ds_read_b128 v[30:33], v25 offset:2160
	v_add_f64 v[12:13], v[12:13], v[36:37]
	s_waitcnt lgkmcnt(0)
	s_barrier
	v_mul_f64 v[34:35], v[32:33], v[8:9]
	v_mul_f64 v[8:9], v[30:31], v[8:9]
	v_add_f64 v[4:5], v[4:5], v[40:41]
	v_fma_f64 v[34:35], v[30:31], v[6:7], -v[34:35]
	v_fma_f64 v[6:7], v[32:33], v[6:7], v[8:9]
	v_mul_f64 v[8:9], v[30:31], v[28:29]
	v_add_f64 v[14:15], v[14:15], v[34:35]
	v_add_f64 v[16:17], v[6:7], v[16:17]
	v_mul_f64 v[6:7], v[32:33], v[28:29]
	v_fma_f64 v[8:9], v[32:33], v[26:27], v[8:9]
	v_fma_f64 v[6:7], v[30:31], v[26:27], -v[6:7]
	v_add_f64 v[8:9], v[8:9], v[44:45]
	v_add_f64 v[6:7], v[42:43], v[6:7]
	s_cbranch_scc0 .LBB716_2
	s_branch .LBB716_4
.LBB716_3:
	v_mov_b32_e32 v10, 0
	v_mov_b32_e32 v12, 0
	;; [unrolled: 1-line block ×16, first 2 shown]
.LBB716_4:
	s_load_dword s3, s[4:5], 0x40
	v_add_u32_e32 v18, s7, v1
	s_waitcnt lgkmcnt(0)
	v_mov_b32_e32 v1, s11
	v_add_u32_e32 v0, s6, v0
	v_cmp_gt_i32_e32 vcc, s2, v18
	v_mad_i64_i32 v[19:20], s[0:1], v18, s3, 0
	v_lshlrev_b64 v[19:20], 4, v[19:20]
	v_add_co_u32_e64 v19, s[0:1], s10, v19
	v_addc_co_u32_e64 v20, s[0:1], v1, v20, s[0:1]
	v_cmp_le_i32_e64 s[0:1], v0, v18
	s_and_b64 s[0:1], vcc, s[0:1]
	s_and_saveexec_b64 s[4:5], s[0:1]
	s_cbranch_execz .LBB716_6
; %bb.5:
	v_ashrrev_i32_e32 v1, 31, v0
	v_lshlrev_b64 v[21:22], 4, v[0:1]
	v_xor_b32_e32 v11, 0x80000000, v11
	v_add_co_u32_e64 v21, s[0:1], v19, v21
	v_xor_b32_e32 v13, 0x80000000, v13
	v_addc_co_u32_e64 v22, s[0:1], v20, v22, s[0:1]
	flat_store_dwordx4 v[21:22], v[10:13]
.LBB716_6:
	s_or_b64 exec, exec, s[4:5]
	v_add_u32_e32 v10, 16, v0
	v_cmp_le_i32_e64 s[0:1], v10, v18
	s_and_b64 s[4:5], vcc, s[0:1]
	s_and_saveexec_b64 s[0:1], s[4:5]
	s_cbranch_execz .LBB716_8
; %bb.7:
	v_ashrrev_i32_e32 v11, 31, v10
	v_lshlrev_b64 v[11:12], 4, v[10:11]
	v_xor_b32_e32 v3, 0x80000000, v3
	v_add_co_u32_e32 v11, vcc, v19, v11
	v_xor_b32_e32 v5, 0x80000000, v5
	v_addc_co_u32_e32 v12, vcc, v20, v12, vcc
	flat_store_dwordx4 v[11:12], v[2:5]
.LBB716_8:
	s_or_b64 exec, exec, s[0:1]
	v_add_u32_e32 v4, 16, v18
	v_mad_i64_i32 v[1:2], s[0:1], v4, s3, 0
	v_mov_b32_e32 v5, s11
	v_cmp_gt_i32_e32 vcc, s2, v4
	v_lshlrev_b64 v[2:3], 4, v[1:2]
	v_add_co_u32_e64 v2, s[0:1], s10, v2
	v_addc_co_u32_e64 v3, s[0:1], v5, v3, s[0:1]
	v_cmp_le_i32_e64 s[0:1], v0, v4
	s_and_b64 s[0:1], vcc, s[0:1]
	s_and_saveexec_b64 s[2:3], s[0:1]
	s_cbranch_execz .LBB716_10
; %bb.9:
	v_ashrrev_i32_e32 v1, 31, v0
	v_lshlrev_b64 v[0:1], 4, v[0:1]
	v_xor_b32_e32 v15, 0x80000000, v15
	v_add_co_u32_e64 v0, s[0:1], v2, v0
	v_xor_b32_e32 v17, 0x80000000, v17
	v_addc_co_u32_e64 v1, s[0:1], v3, v1, s[0:1]
	flat_store_dwordx4 v[0:1], v[14:17]
.LBB716_10:
	s_or_b64 exec, exec, s[2:3]
	v_cmp_le_i32_e64 s[0:1], v10, v4
	s_and_b64 s[0:1], vcc, s[0:1]
	s_and_saveexec_b64 s[2:3], s[0:1]
	s_cbranch_execz .LBB716_12
; %bb.11:
	v_ashrrev_i32_e32 v11, 31, v10
	v_lshlrev_b64 v[0:1], 4, v[10:11]
	v_xor_b32_e32 v7, 0x80000000, v7
	v_add_co_u32_e32 v0, vcc, v2, v0
	v_xor_b32_e32 v9, 0x80000000, v9
	v_addc_co_u32_e32 v1, vcc, v3, v1, vcc
	flat_store_dwordx4 v[0:1], v[6:9]
.LBB716_12:
	s_endpgm
	.section	.rodata,"a",@progbits
	.p2align	6, 0x0
	.amdhsa_kernel _ZL37rocblas_syrkx_herkx_restricted_kernelIi19rocblas_complex_numIdELi16ELi32ELi8ELin1ELi0ELb0ELc84ELc85EKPKS1_KPS1_EviT_PT9_S7_lS9_S7_lPT10_S7_li
		.amdhsa_group_segment_fixed_size 8192
		.amdhsa_private_segment_fixed_size 0
		.amdhsa_kernarg_size 84
		.amdhsa_user_sgpr_count 6
		.amdhsa_user_sgpr_private_segment_buffer 1
		.amdhsa_user_sgpr_dispatch_ptr 0
		.amdhsa_user_sgpr_queue_ptr 0
		.amdhsa_user_sgpr_kernarg_segment_ptr 1
		.amdhsa_user_sgpr_dispatch_id 0
		.amdhsa_user_sgpr_flat_scratch_init 0
		.amdhsa_user_sgpr_private_segment_size 0
		.amdhsa_uses_dynamic_stack 0
		.amdhsa_system_sgpr_private_segment_wavefront_offset 0
		.amdhsa_system_sgpr_workgroup_id_x 1
		.amdhsa_system_sgpr_workgroup_id_y 1
		.amdhsa_system_sgpr_workgroup_id_z 1
		.amdhsa_system_sgpr_workgroup_info 0
		.amdhsa_system_vgpr_workitem_id 1
		.amdhsa_next_free_vgpr 52
		.amdhsa_next_free_sgpr 61
		.amdhsa_reserve_vcc 1
		.amdhsa_reserve_flat_scratch 0
		.amdhsa_float_round_mode_32 0
		.amdhsa_float_round_mode_16_64 0
		.amdhsa_float_denorm_mode_32 3
		.amdhsa_float_denorm_mode_16_64 3
		.amdhsa_dx10_clamp 1
		.amdhsa_ieee_mode 1
		.amdhsa_fp16_overflow 0
		.amdhsa_exception_fp_ieee_invalid_op 0
		.amdhsa_exception_fp_denorm_src 0
		.amdhsa_exception_fp_ieee_div_zero 0
		.amdhsa_exception_fp_ieee_overflow 0
		.amdhsa_exception_fp_ieee_underflow 0
		.amdhsa_exception_fp_ieee_inexact 0
		.amdhsa_exception_int_div_zero 0
	.end_amdhsa_kernel
	.section	.text._ZL37rocblas_syrkx_herkx_restricted_kernelIi19rocblas_complex_numIdELi16ELi32ELi8ELin1ELi0ELb0ELc84ELc85EKPKS1_KPS1_EviT_PT9_S7_lS9_S7_lPT10_S7_li,"axG",@progbits,_ZL37rocblas_syrkx_herkx_restricted_kernelIi19rocblas_complex_numIdELi16ELi32ELi8ELin1ELi0ELb0ELc84ELc85EKPKS1_KPS1_EviT_PT9_S7_lS9_S7_lPT10_S7_li,comdat
.Lfunc_end716:
	.size	_ZL37rocblas_syrkx_herkx_restricted_kernelIi19rocblas_complex_numIdELi16ELi32ELi8ELin1ELi0ELb0ELc84ELc85EKPKS1_KPS1_EviT_PT9_S7_lS9_S7_lPT10_S7_li, .Lfunc_end716-_ZL37rocblas_syrkx_herkx_restricted_kernelIi19rocblas_complex_numIdELi16ELi32ELi8ELin1ELi0ELb0ELc84ELc85EKPKS1_KPS1_EviT_PT9_S7_lS9_S7_lPT10_S7_li
                                        ; -- End function
	.set _ZL37rocblas_syrkx_herkx_restricted_kernelIi19rocblas_complex_numIdELi16ELi32ELi8ELin1ELi0ELb0ELc84ELc85EKPKS1_KPS1_EviT_PT9_S7_lS9_S7_lPT10_S7_li.num_vgpr, 52
	.set _ZL37rocblas_syrkx_herkx_restricted_kernelIi19rocblas_complex_numIdELi16ELi32ELi8ELin1ELi0ELb0ELc84ELc85EKPKS1_KPS1_EviT_PT9_S7_lS9_S7_lPT10_S7_li.num_agpr, 0
	.set _ZL37rocblas_syrkx_herkx_restricted_kernelIi19rocblas_complex_numIdELi16ELi32ELi8ELin1ELi0ELb0ELc84ELc85EKPKS1_KPS1_EviT_PT9_S7_lS9_S7_lPT10_S7_li.numbered_sgpr, 17
	.set _ZL37rocblas_syrkx_herkx_restricted_kernelIi19rocblas_complex_numIdELi16ELi32ELi8ELin1ELi0ELb0ELc84ELc85EKPKS1_KPS1_EviT_PT9_S7_lS9_S7_lPT10_S7_li.num_named_barrier, 0
	.set _ZL37rocblas_syrkx_herkx_restricted_kernelIi19rocblas_complex_numIdELi16ELi32ELi8ELin1ELi0ELb0ELc84ELc85EKPKS1_KPS1_EviT_PT9_S7_lS9_S7_lPT10_S7_li.private_seg_size, 0
	.set _ZL37rocblas_syrkx_herkx_restricted_kernelIi19rocblas_complex_numIdELi16ELi32ELi8ELin1ELi0ELb0ELc84ELc85EKPKS1_KPS1_EviT_PT9_S7_lS9_S7_lPT10_S7_li.uses_vcc, 1
	.set _ZL37rocblas_syrkx_herkx_restricted_kernelIi19rocblas_complex_numIdELi16ELi32ELi8ELin1ELi0ELb0ELc84ELc85EKPKS1_KPS1_EviT_PT9_S7_lS9_S7_lPT10_S7_li.uses_flat_scratch, 0
	.set _ZL37rocblas_syrkx_herkx_restricted_kernelIi19rocblas_complex_numIdELi16ELi32ELi8ELin1ELi0ELb0ELc84ELc85EKPKS1_KPS1_EviT_PT9_S7_lS9_S7_lPT10_S7_li.has_dyn_sized_stack, 0
	.set _ZL37rocblas_syrkx_herkx_restricted_kernelIi19rocblas_complex_numIdELi16ELi32ELi8ELin1ELi0ELb0ELc84ELc85EKPKS1_KPS1_EviT_PT9_S7_lS9_S7_lPT10_S7_li.has_recursion, 0
	.set _ZL37rocblas_syrkx_herkx_restricted_kernelIi19rocblas_complex_numIdELi16ELi32ELi8ELin1ELi0ELb0ELc84ELc85EKPKS1_KPS1_EviT_PT9_S7_lS9_S7_lPT10_S7_li.has_indirect_call, 0
	.section	.AMDGPU.csdata,"",@progbits
; Kernel info:
; codeLenInByte = 2784
; TotalNumSgprs: 21
; NumVgprs: 52
; ScratchSize: 0
; MemoryBound: 0
; FloatMode: 240
; IeeeMode: 1
; LDSByteSize: 8192 bytes/workgroup (compile time only)
; SGPRBlocks: 8
; VGPRBlocks: 12
; NumSGPRsForWavesPerEU: 65
; NumVGPRsForWavesPerEU: 52
; Occupancy: 4
; WaveLimiterHint : 1
; COMPUTE_PGM_RSRC2:SCRATCH_EN: 0
; COMPUTE_PGM_RSRC2:USER_SGPR: 6
; COMPUTE_PGM_RSRC2:TRAP_HANDLER: 0
; COMPUTE_PGM_RSRC2:TGID_X_EN: 1
; COMPUTE_PGM_RSRC2:TGID_Y_EN: 1
; COMPUTE_PGM_RSRC2:TGID_Z_EN: 1
; COMPUTE_PGM_RSRC2:TIDIG_COMP_CNT: 1
	.section	.text._ZL37rocblas_syrkx_herkx_restricted_kernelIi19rocblas_complex_numIdELi16ELi32ELi8ELin1ELi0ELb0ELc67ELc85EKPKS1_KPS1_EviT_PT9_S7_lS9_S7_lPT10_S7_li,"axG",@progbits,_ZL37rocblas_syrkx_herkx_restricted_kernelIi19rocblas_complex_numIdELi16ELi32ELi8ELin1ELi0ELb0ELc67ELc85EKPKS1_KPS1_EviT_PT9_S7_lS9_S7_lPT10_S7_li,comdat
	.globl	_ZL37rocblas_syrkx_herkx_restricted_kernelIi19rocblas_complex_numIdELi16ELi32ELi8ELin1ELi0ELb0ELc67ELc85EKPKS1_KPS1_EviT_PT9_S7_lS9_S7_lPT10_S7_li ; -- Begin function _ZL37rocblas_syrkx_herkx_restricted_kernelIi19rocblas_complex_numIdELi16ELi32ELi8ELin1ELi0ELb0ELc67ELc85EKPKS1_KPS1_EviT_PT9_S7_lS9_S7_lPT10_S7_li
	.p2align	8
	.type	_ZL37rocblas_syrkx_herkx_restricted_kernelIi19rocblas_complex_numIdELi16ELi32ELi8ELin1ELi0ELb0ELc67ELc85EKPKS1_KPS1_EviT_PT9_S7_lS9_S7_lPT10_S7_li,@function
_ZL37rocblas_syrkx_herkx_restricted_kernelIi19rocblas_complex_numIdELi16ELi32ELi8ELin1ELi0ELb0ELc67ELc85EKPKS1_KPS1_EviT_PT9_S7_lS9_S7_lPT10_S7_li: ; @_ZL37rocblas_syrkx_herkx_restricted_kernelIi19rocblas_complex_numIdELi16ELi32ELi8ELin1ELi0ELb0ELc67ELc85EKPKS1_KPS1_EviT_PT9_S7_lS9_S7_lPT10_S7_li
; %bb.0:
	s_load_dwordx2 s[10:11], s[4:5], 0x38
	s_load_dwordx2 s[2:3], s[4:5], 0x0
	s_mov_b32 s9, 0
	s_lshl_b64 s[0:1], s[8:9], 3
	s_waitcnt lgkmcnt(0)
	s_add_u32 s10, s10, s0
	s_addc_u32 s11, s11, s1
	s_load_dwordx2 s[10:11], s[10:11], 0x0
	s_lshl_b32 s6, s6, 5
	s_lshl_b32 s7, s7, 5
	s_cmp_lt_i32 s3, 1
	s_cbranch_scc1 .LBB717_3
; %bb.1:
	s_load_dwordx2 s[12:13], s[4:5], 0x8
	s_load_dword s8, s[4:5], 0x10
	s_load_dwordx2 s[14:15], s[4:5], 0x20
	s_load_dword s16, s[4:5], 0x28
	v_lshl_add_u32 v6, v1, 4, v0
	s_waitcnt lgkmcnt(0)
	s_add_u32 s12, s12, s0
	s_addc_u32 s13, s13, s1
	v_lshrrev_b32_e32 v8, 3, v6
	s_add_u32 s0, s14, s0
	v_add_u32_e32 v4, s7, v8
	v_and_b32_e32 v2, 7, v0
	v_mov_b32_e32 v3, 0
	s_addc_u32 s1, s15, s1
	v_mad_i64_i32 v[4:5], s[14:15], s16, v4, v[2:3]
	v_and_b32_e32 v9, 31, v6
	v_lshlrev_b32_e32 v2, 4, v2
	v_lshrrev_b32_e32 v6, 5, v6
	v_mov_b32_e32 v7, v3
	v_lshlrev_b32_e32 v3, 4, v9
	v_lshl_or_b32 v8, v8, 7, v2
	v_add_u32_e32 v2, s6, v9
	v_lshl_or_b32 v22, v6, 9, v3
	v_mad_i64_i32 v[2:3], s[14:15], s8, v2, v[6:7]
	s_load_dwordx2 s[12:13], s[12:13], 0x0
	v_add_u32_e32 v23, 0x1000, v8
	s_load_dwordx2 s[0:1], s[0:1], 0x0
	v_lshlrev_b64 v[2:3], 4, v[2:3]
	v_mov_b32_e32 v25, 0x1000
	s_waitcnt lgkmcnt(0)
	v_mov_b32_e32 v6, s13
	v_add_co_u32_e32 v18, vcc, s12, v2
	v_addc_co_u32_e32 v19, vcc, v6, v3, vcc
	v_lshlrev_b64 v[2:3], 4, v[4:5]
	v_mov_b32_e32 v4, s1
	v_add_co_u32_e32 v20, vcc, s0, v2
	v_addc_co_u32_e32 v21, vcc, v4, v3, vcc
	v_mov_b32_e32 v8, 0
	v_mov_b32_e32 v6, 0
	;; [unrolled: 1-line block ×8, first 2 shown]
	v_lshlrev_b32_e32 v24, 4, v0
	v_mov_b32_e32 v9, 0
	v_mov_b32_e32 v7, 0
	;; [unrolled: 1-line block ×8, first 2 shown]
	v_lshl_add_u32 v25, v1, 7, v25
.LBB717_2:                              ; =>This Inner Loop Header: Depth=1
	flat_load_dwordx4 v[26:29], v[18:19]
	v_add_co_u32_e32 v18, vcc, 0x80, v18
	v_addc_co_u32_e32 v19, vcc, 0, v19, vcc
	s_add_i32 s9, s9, 8
	s_cmp_ge_i32 s9, s3
	s_waitcnt vmcnt(0) lgkmcnt(0)
	ds_write_b128 v22, v[26:29]
	flat_load_dwordx4 v[26:29], v[20:21]
	v_add_co_u32_e32 v20, vcc, 0x80, v20
	v_addc_co_u32_e32 v21, vcc, 0, v21, vcc
	s_waitcnt vmcnt(0) lgkmcnt(0)
	ds_write_b128 v23, v[26:29]
	s_waitcnt lgkmcnt(0)
	s_barrier
	ds_read_b128 v[26:29], v25
	ds_read_b128 v[30:33], v25 offset:16
	ds_read_b128 v[34:37], v25 offset:32
	;; [unrolled: 1-line block ×3, first 2 shown]
	ds_read_b128 v[42:45], v24
	s_waitcnt lgkmcnt(0)
	v_mul_f64 v[46:47], v[28:29], v[44:45]
	v_mul_f64 v[48:49], v[26:27], v[44:45]
	v_fma_f64 v[46:47], v[26:27], v[42:43], -v[46:47]
	v_fma_f64 v[48:49], v[28:29], v[42:43], v[48:49]
	v_add_f64 v[46:47], v[10:11], v[46:47]
	v_add_f64 v[48:49], v[48:49], v[12:13]
	ds_read_b128 v[10:13], v24 offset:256
	s_waitcnt lgkmcnt(0)
	v_mul_f64 v[50:51], v[28:29], v[12:13]
	v_fma_f64 v[50:51], v[26:27], v[10:11], -v[50:51]
	v_mul_f64 v[26:27], v[26:27], v[12:13]
	v_fma_f64 v[26:27], v[28:29], v[10:11], v[26:27]
	v_add_f64 v[28:29], v[2:3], v[50:51]
	v_add_f64 v[26:27], v[26:27], v[4:5]
	ds_read_b128 v[2:5], v25 offset:2048
	s_waitcnt lgkmcnt(0)
	v_mul_f64 v[50:51], v[4:5], v[44:45]
	v_mul_f64 v[44:45], v[2:3], v[44:45]
	v_fma_f64 v[50:51], v[2:3], v[42:43], -v[50:51]
	v_fma_f64 v[42:43], v[4:5], v[42:43], v[44:45]
	v_add_f64 v[14:15], v[14:15], v[50:51]
	v_add_f64 v[16:17], v[42:43], v[16:17]
	v_mul_f64 v[42:43], v[4:5], v[12:13]
	v_fma_f64 v[42:43], v[2:3], v[10:11], -v[42:43]
	v_mul_f64 v[2:3], v[2:3], v[12:13]
	v_add_f64 v[42:43], v[6:7], v[42:43]
	v_fma_f64 v[2:3], v[4:5], v[10:11], v[2:3]
	v_add_f64 v[44:45], v[2:3], v[8:9]
	ds_read_b128 v[2:5], v24 offset:512
	s_waitcnt lgkmcnt(0)
	v_mul_f64 v[6:7], v[32:33], v[4:5]
	v_mul_f64 v[8:9], v[30:31], v[4:5]
	v_fma_f64 v[6:7], v[30:31], v[2:3], -v[6:7]
	v_fma_f64 v[8:9], v[32:33], v[2:3], v[8:9]
	v_add_f64 v[46:47], v[46:47], v[6:7]
	v_add_f64 v[48:49], v[8:9], v[48:49]
	ds_read_b128 v[6:9], v24 offset:768
	s_waitcnt lgkmcnt(0)
	v_mul_f64 v[10:11], v[32:33], v[8:9]
	v_mul_f64 v[12:13], v[30:31], v[8:9]
	v_fma_f64 v[10:11], v[30:31], v[6:7], -v[10:11]
	v_fma_f64 v[12:13], v[32:33], v[6:7], v[12:13]
	v_add_f64 v[28:29], v[28:29], v[10:11]
	v_add_f64 v[26:27], v[12:13], v[26:27]
	ds_read_b128 v[10:13], v25 offset:2064
	s_waitcnt lgkmcnt(0)
	v_mul_f64 v[30:31], v[12:13], v[4:5]
	v_mul_f64 v[4:5], v[10:11], v[4:5]
	v_fma_f64 v[30:31], v[10:11], v[2:3], -v[30:31]
	v_fma_f64 v[2:3], v[12:13], v[2:3], v[4:5]
	v_mul_f64 v[4:5], v[10:11], v[8:9]
	v_add_f64 v[14:15], v[14:15], v[30:31]
	v_add_f64 v[16:17], v[2:3], v[16:17]
	v_mul_f64 v[2:3], v[12:13], v[8:9]
	v_fma_f64 v[4:5], v[12:13], v[6:7], v[4:5]
	v_fma_f64 v[2:3], v[10:11], v[6:7], -v[2:3]
	v_add_f64 v[32:33], v[4:5], v[44:45]
	v_add_f64 v[30:31], v[42:43], v[2:3]
	ds_read_b128 v[2:5], v24 offset:1024
	s_waitcnt lgkmcnt(0)
	v_mul_f64 v[6:7], v[36:37], v[4:5]
	v_mul_f64 v[8:9], v[34:35], v[4:5]
	v_fma_f64 v[6:7], v[34:35], v[2:3], -v[6:7]
	v_fma_f64 v[8:9], v[36:37], v[2:3], v[8:9]
	v_add_f64 v[42:43], v[46:47], v[6:7]
	v_add_f64 v[44:45], v[8:9], v[48:49]
	ds_read_b128 v[6:9], v24 offset:1280
	s_waitcnt lgkmcnt(0)
	v_mul_f64 v[10:11], v[36:37], v[8:9]
	v_mul_f64 v[12:13], v[34:35], v[8:9]
	v_fma_f64 v[10:11], v[34:35], v[6:7], -v[10:11]
	v_fma_f64 v[12:13], v[36:37], v[6:7], v[12:13]
	v_add_f64 v[28:29], v[28:29], v[10:11]
	v_add_f64 v[26:27], v[12:13], v[26:27]
	ds_read_b128 v[10:13], v25 offset:2080
	s_waitcnt lgkmcnt(0)
	v_mul_f64 v[34:35], v[12:13], v[4:5]
	v_mul_f64 v[4:5], v[10:11], v[4:5]
	v_fma_f64 v[34:35], v[10:11], v[2:3], -v[34:35]
	v_fma_f64 v[2:3], v[12:13], v[2:3], v[4:5]
	v_mul_f64 v[4:5], v[10:11], v[8:9]
	v_add_f64 v[14:15], v[14:15], v[34:35]
	v_add_f64 v[16:17], v[2:3], v[16:17]
	v_mul_f64 v[2:3], v[12:13], v[8:9]
	v_fma_f64 v[4:5], v[12:13], v[6:7], v[4:5]
	v_fma_f64 v[2:3], v[10:11], v[6:7], -v[2:3]
	v_add_f64 v[32:33], v[4:5], v[32:33]
	;; [unrolled: 30-line block ×3, first 2 shown]
	v_add_f64 v[30:31], v[30:31], v[2:3]
	ds_read_b128 v[2:5], v25 offset:64
	ds_read_b128 v[6:9], v24 offset:2048
	s_waitcnt lgkmcnt(0)
	v_mul_f64 v[10:11], v[4:5], v[8:9]
	v_mul_f64 v[12:13], v[2:3], v[8:9]
	v_fma_f64 v[10:11], v[2:3], v[6:7], -v[10:11]
	v_fma_f64 v[12:13], v[4:5], v[6:7], v[12:13]
	v_add_f64 v[34:35], v[34:35], v[10:11]
	v_add_f64 v[36:37], v[12:13], v[36:37]
	ds_read_b128 v[10:13], v24 offset:2304
	s_waitcnt lgkmcnt(0)
	v_mul_f64 v[38:39], v[4:5], v[12:13]
	v_fma_f64 v[38:39], v[2:3], v[10:11], -v[38:39]
	v_mul_f64 v[2:3], v[2:3], v[12:13]
	v_add_f64 v[28:29], v[28:29], v[38:39]
	v_fma_f64 v[2:3], v[4:5], v[10:11], v[2:3]
	v_add_f64 v[26:27], v[2:3], v[26:27]
	ds_read_b128 v[2:5], v25 offset:2112
	s_waitcnt lgkmcnt(0)
	v_mul_f64 v[38:39], v[4:5], v[8:9]
	v_mul_f64 v[8:9], v[2:3], v[8:9]
	v_fma_f64 v[38:39], v[2:3], v[6:7], -v[38:39]
	v_fma_f64 v[6:7], v[4:5], v[6:7], v[8:9]
	v_add_f64 v[14:15], v[14:15], v[38:39]
	v_add_f64 v[16:17], v[6:7], v[16:17]
	v_mul_f64 v[6:7], v[4:5], v[12:13]
	v_fma_f64 v[6:7], v[2:3], v[10:11], -v[6:7]
	v_mul_f64 v[2:3], v[2:3], v[12:13]
	v_add_f64 v[30:31], v[30:31], v[6:7]
	v_fma_f64 v[2:3], v[4:5], v[10:11], v[2:3]
	v_add_f64 v[32:33], v[2:3], v[32:33]
	ds_read_b128 v[2:5], v25 offset:80
	ds_read_b128 v[6:9], v24 offset:2560
	s_waitcnt lgkmcnt(0)
	v_mul_f64 v[10:11], v[4:5], v[8:9]
	v_mul_f64 v[12:13], v[2:3], v[8:9]
	v_fma_f64 v[10:11], v[2:3], v[6:7], -v[10:11]
	v_fma_f64 v[12:13], v[4:5], v[6:7], v[12:13]
	v_add_f64 v[34:35], v[34:35], v[10:11]
	v_add_f64 v[36:37], v[12:13], v[36:37]
	ds_read_b128 v[10:13], v24 offset:2816
	s_waitcnt lgkmcnt(0)
	v_mul_f64 v[38:39], v[4:5], v[12:13]
	v_fma_f64 v[38:39], v[2:3], v[10:11], -v[38:39]
	v_mul_f64 v[2:3], v[2:3], v[12:13]
	v_add_f64 v[28:29], v[28:29], v[38:39]
	v_fma_f64 v[2:3], v[4:5], v[10:11], v[2:3]
	v_add_f64 v[26:27], v[2:3], v[26:27]
	ds_read_b128 v[2:5], v25 offset:2128
	s_waitcnt lgkmcnt(0)
	v_mul_f64 v[38:39], v[4:5], v[8:9]
	v_mul_f64 v[8:9], v[2:3], v[8:9]
	v_fma_f64 v[38:39], v[2:3], v[6:7], -v[38:39]
	v_fma_f64 v[6:7], v[4:5], v[6:7], v[8:9]
	v_add_f64 v[14:15], v[14:15], v[38:39]
	v_add_f64 v[16:17], v[6:7], v[16:17]
	v_mul_f64 v[6:7], v[4:5], v[12:13]
	v_fma_f64 v[6:7], v[2:3], v[10:11], -v[6:7]
	v_mul_f64 v[2:3], v[2:3], v[12:13]
	v_add_f64 v[30:31], v[30:31], v[6:7]
	v_fma_f64 v[2:3], v[4:5], v[10:11], v[2:3]
	;; [unrolled: 31-line block ×3, first 2 shown]
	v_add_f64 v[44:45], v[2:3], v[32:33]
	ds_read_b128 v[2:5], v25 offset:112
	ds_read_b128 v[6:9], v24 offset:3584
	;; [unrolled: 1-line block ×3, first 2 shown]
	s_waitcnt lgkmcnt(1)
	v_mul_f64 v[10:11], v[4:5], v[8:9]
	s_waitcnt lgkmcnt(0)
	v_mul_f64 v[30:31], v[4:5], v[28:29]
	v_mul_f64 v[12:13], v[2:3], v[8:9]
	v_fma_f64 v[10:11], v[2:3], v[6:7], -v[10:11]
	v_fma_f64 v[30:31], v[2:3], v[26:27], -v[30:31]
	v_mul_f64 v[2:3], v[2:3], v[28:29]
	v_fma_f64 v[12:13], v[4:5], v[6:7], v[12:13]
	v_add_f64 v[10:11], v[34:35], v[10:11]
	v_fma_f64 v[4:5], v[4:5], v[26:27], v[2:3]
	v_add_f64 v[2:3], v[38:39], v[30:31]
	ds_read_b128 v[30:33], v25 offset:2160
	v_add_f64 v[12:13], v[12:13], v[36:37]
	s_waitcnt lgkmcnt(0)
	s_barrier
	v_mul_f64 v[34:35], v[32:33], v[8:9]
	v_mul_f64 v[8:9], v[30:31], v[8:9]
	v_add_f64 v[4:5], v[4:5], v[40:41]
	v_fma_f64 v[34:35], v[30:31], v[6:7], -v[34:35]
	v_fma_f64 v[6:7], v[32:33], v[6:7], v[8:9]
	v_mul_f64 v[8:9], v[30:31], v[28:29]
	v_add_f64 v[14:15], v[14:15], v[34:35]
	v_add_f64 v[16:17], v[6:7], v[16:17]
	v_mul_f64 v[6:7], v[32:33], v[28:29]
	v_fma_f64 v[8:9], v[32:33], v[26:27], v[8:9]
	v_fma_f64 v[6:7], v[30:31], v[26:27], -v[6:7]
	v_add_f64 v[8:9], v[8:9], v[44:45]
	v_add_f64 v[6:7], v[42:43], v[6:7]
	s_cbranch_scc0 .LBB717_2
	s_branch .LBB717_4
.LBB717_3:
	v_mov_b32_e32 v10, 0
	v_mov_b32_e32 v12, 0
	;; [unrolled: 1-line block ×16, first 2 shown]
.LBB717_4:
	s_load_dword s3, s[4:5], 0x40
	v_add_u32_e32 v18, s7, v1
	s_waitcnt lgkmcnt(0)
	v_mov_b32_e32 v1, s11
	v_add_u32_e32 v0, s6, v0
	v_cmp_gt_i32_e32 vcc, s2, v18
	v_mad_i64_i32 v[19:20], s[0:1], v18, s3, 0
	v_lshlrev_b64 v[19:20], 4, v[19:20]
	v_add_co_u32_e64 v19, s[0:1], s10, v19
	v_addc_co_u32_e64 v20, s[0:1], v1, v20, s[0:1]
	v_cmp_le_i32_e64 s[0:1], v0, v18
	s_and_b64 s[0:1], vcc, s[0:1]
	s_and_saveexec_b64 s[4:5], s[0:1]
	s_cbranch_execz .LBB717_6
; %bb.5:
	v_ashrrev_i32_e32 v1, 31, v0
	v_lshlrev_b64 v[21:22], 4, v[0:1]
	v_xor_b32_e32 v11, 0x80000000, v11
	v_add_co_u32_e64 v21, s[0:1], v19, v21
	v_xor_b32_e32 v13, 0x80000000, v13
	v_addc_co_u32_e64 v22, s[0:1], v20, v22, s[0:1]
	flat_store_dwordx4 v[21:22], v[10:13]
.LBB717_6:
	s_or_b64 exec, exec, s[4:5]
	v_add_u32_e32 v10, 16, v0
	v_cmp_le_i32_e64 s[0:1], v10, v18
	s_and_b64 s[4:5], vcc, s[0:1]
	s_and_saveexec_b64 s[0:1], s[4:5]
	s_cbranch_execz .LBB717_8
; %bb.7:
	v_ashrrev_i32_e32 v11, 31, v10
	v_lshlrev_b64 v[11:12], 4, v[10:11]
	v_xor_b32_e32 v3, 0x80000000, v3
	v_add_co_u32_e32 v11, vcc, v19, v11
	v_xor_b32_e32 v5, 0x80000000, v5
	v_addc_co_u32_e32 v12, vcc, v20, v12, vcc
	flat_store_dwordx4 v[11:12], v[2:5]
.LBB717_8:
	s_or_b64 exec, exec, s[0:1]
	v_add_u32_e32 v4, 16, v18
	v_mad_i64_i32 v[1:2], s[0:1], v4, s3, 0
	v_mov_b32_e32 v5, s11
	v_cmp_gt_i32_e32 vcc, s2, v4
	v_lshlrev_b64 v[2:3], 4, v[1:2]
	v_add_co_u32_e64 v2, s[0:1], s10, v2
	v_addc_co_u32_e64 v3, s[0:1], v5, v3, s[0:1]
	v_cmp_le_i32_e64 s[0:1], v0, v4
	s_and_b64 s[0:1], vcc, s[0:1]
	s_and_saveexec_b64 s[2:3], s[0:1]
	s_cbranch_execz .LBB717_10
; %bb.9:
	v_ashrrev_i32_e32 v1, 31, v0
	v_lshlrev_b64 v[0:1], 4, v[0:1]
	v_xor_b32_e32 v15, 0x80000000, v15
	v_add_co_u32_e64 v0, s[0:1], v2, v0
	v_xor_b32_e32 v17, 0x80000000, v17
	v_addc_co_u32_e64 v1, s[0:1], v3, v1, s[0:1]
	flat_store_dwordx4 v[0:1], v[14:17]
.LBB717_10:
	s_or_b64 exec, exec, s[2:3]
	v_cmp_le_i32_e64 s[0:1], v10, v4
	s_and_b64 s[0:1], vcc, s[0:1]
	s_and_saveexec_b64 s[2:3], s[0:1]
	s_cbranch_execz .LBB717_12
; %bb.11:
	v_ashrrev_i32_e32 v11, 31, v10
	v_lshlrev_b64 v[0:1], 4, v[10:11]
	v_xor_b32_e32 v7, 0x80000000, v7
	v_add_co_u32_e32 v0, vcc, v2, v0
	v_xor_b32_e32 v9, 0x80000000, v9
	v_addc_co_u32_e32 v1, vcc, v3, v1, vcc
	flat_store_dwordx4 v[0:1], v[6:9]
.LBB717_12:
	s_endpgm
	.section	.rodata,"a",@progbits
	.p2align	6, 0x0
	.amdhsa_kernel _ZL37rocblas_syrkx_herkx_restricted_kernelIi19rocblas_complex_numIdELi16ELi32ELi8ELin1ELi0ELb0ELc67ELc85EKPKS1_KPS1_EviT_PT9_S7_lS9_S7_lPT10_S7_li
		.amdhsa_group_segment_fixed_size 8192
		.amdhsa_private_segment_fixed_size 0
		.amdhsa_kernarg_size 84
		.amdhsa_user_sgpr_count 6
		.amdhsa_user_sgpr_private_segment_buffer 1
		.amdhsa_user_sgpr_dispatch_ptr 0
		.amdhsa_user_sgpr_queue_ptr 0
		.amdhsa_user_sgpr_kernarg_segment_ptr 1
		.amdhsa_user_sgpr_dispatch_id 0
		.amdhsa_user_sgpr_flat_scratch_init 0
		.amdhsa_user_sgpr_private_segment_size 0
		.amdhsa_uses_dynamic_stack 0
		.amdhsa_system_sgpr_private_segment_wavefront_offset 0
		.amdhsa_system_sgpr_workgroup_id_x 1
		.amdhsa_system_sgpr_workgroup_id_y 1
		.amdhsa_system_sgpr_workgroup_id_z 1
		.amdhsa_system_sgpr_workgroup_info 0
		.amdhsa_system_vgpr_workitem_id 1
		.amdhsa_next_free_vgpr 52
		.amdhsa_next_free_sgpr 61
		.amdhsa_reserve_vcc 1
		.amdhsa_reserve_flat_scratch 0
		.amdhsa_float_round_mode_32 0
		.amdhsa_float_round_mode_16_64 0
		.amdhsa_float_denorm_mode_32 3
		.amdhsa_float_denorm_mode_16_64 3
		.amdhsa_dx10_clamp 1
		.amdhsa_ieee_mode 1
		.amdhsa_fp16_overflow 0
		.amdhsa_exception_fp_ieee_invalid_op 0
		.amdhsa_exception_fp_denorm_src 0
		.amdhsa_exception_fp_ieee_div_zero 0
		.amdhsa_exception_fp_ieee_overflow 0
		.amdhsa_exception_fp_ieee_underflow 0
		.amdhsa_exception_fp_ieee_inexact 0
		.amdhsa_exception_int_div_zero 0
	.end_amdhsa_kernel
	.section	.text._ZL37rocblas_syrkx_herkx_restricted_kernelIi19rocblas_complex_numIdELi16ELi32ELi8ELin1ELi0ELb0ELc67ELc85EKPKS1_KPS1_EviT_PT9_S7_lS9_S7_lPT10_S7_li,"axG",@progbits,_ZL37rocblas_syrkx_herkx_restricted_kernelIi19rocblas_complex_numIdELi16ELi32ELi8ELin1ELi0ELb0ELc67ELc85EKPKS1_KPS1_EviT_PT9_S7_lS9_S7_lPT10_S7_li,comdat
.Lfunc_end717:
	.size	_ZL37rocblas_syrkx_herkx_restricted_kernelIi19rocblas_complex_numIdELi16ELi32ELi8ELin1ELi0ELb0ELc67ELc85EKPKS1_KPS1_EviT_PT9_S7_lS9_S7_lPT10_S7_li, .Lfunc_end717-_ZL37rocblas_syrkx_herkx_restricted_kernelIi19rocblas_complex_numIdELi16ELi32ELi8ELin1ELi0ELb0ELc67ELc85EKPKS1_KPS1_EviT_PT9_S7_lS9_S7_lPT10_S7_li
                                        ; -- End function
	.set _ZL37rocblas_syrkx_herkx_restricted_kernelIi19rocblas_complex_numIdELi16ELi32ELi8ELin1ELi0ELb0ELc67ELc85EKPKS1_KPS1_EviT_PT9_S7_lS9_S7_lPT10_S7_li.num_vgpr, 52
	.set _ZL37rocblas_syrkx_herkx_restricted_kernelIi19rocblas_complex_numIdELi16ELi32ELi8ELin1ELi0ELb0ELc67ELc85EKPKS1_KPS1_EviT_PT9_S7_lS9_S7_lPT10_S7_li.num_agpr, 0
	.set _ZL37rocblas_syrkx_herkx_restricted_kernelIi19rocblas_complex_numIdELi16ELi32ELi8ELin1ELi0ELb0ELc67ELc85EKPKS1_KPS1_EviT_PT9_S7_lS9_S7_lPT10_S7_li.numbered_sgpr, 17
	.set _ZL37rocblas_syrkx_herkx_restricted_kernelIi19rocblas_complex_numIdELi16ELi32ELi8ELin1ELi0ELb0ELc67ELc85EKPKS1_KPS1_EviT_PT9_S7_lS9_S7_lPT10_S7_li.num_named_barrier, 0
	.set _ZL37rocblas_syrkx_herkx_restricted_kernelIi19rocblas_complex_numIdELi16ELi32ELi8ELin1ELi0ELb0ELc67ELc85EKPKS1_KPS1_EviT_PT9_S7_lS9_S7_lPT10_S7_li.private_seg_size, 0
	.set _ZL37rocblas_syrkx_herkx_restricted_kernelIi19rocblas_complex_numIdELi16ELi32ELi8ELin1ELi0ELb0ELc67ELc85EKPKS1_KPS1_EviT_PT9_S7_lS9_S7_lPT10_S7_li.uses_vcc, 1
	.set _ZL37rocblas_syrkx_herkx_restricted_kernelIi19rocblas_complex_numIdELi16ELi32ELi8ELin1ELi0ELb0ELc67ELc85EKPKS1_KPS1_EviT_PT9_S7_lS9_S7_lPT10_S7_li.uses_flat_scratch, 0
	.set _ZL37rocblas_syrkx_herkx_restricted_kernelIi19rocblas_complex_numIdELi16ELi32ELi8ELin1ELi0ELb0ELc67ELc85EKPKS1_KPS1_EviT_PT9_S7_lS9_S7_lPT10_S7_li.has_dyn_sized_stack, 0
	.set _ZL37rocblas_syrkx_herkx_restricted_kernelIi19rocblas_complex_numIdELi16ELi32ELi8ELin1ELi0ELb0ELc67ELc85EKPKS1_KPS1_EviT_PT9_S7_lS9_S7_lPT10_S7_li.has_recursion, 0
	.set _ZL37rocblas_syrkx_herkx_restricted_kernelIi19rocblas_complex_numIdELi16ELi32ELi8ELin1ELi0ELb0ELc67ELc85EKPKS1_KPS1_EviT_PT9_S7_lS9_S7_lPT10_S7_li.has_indirect_call, 0
	.section	.AMDGPU.csdata,"",@progbits
; Kernel info:
; codeLenInByte = 2784
; TotalNumSgprs: 21
; NumVgprs: 52
; ScratchSize: 0
; MemoryBound: 0
; FloatMode: 240
; IeeeMode: 1
; LDSByteSize: 8192 bytes/workgroup (compile time only)
; SGPRBlocks: 8
; VGPRBlocks: 12
; NumSGPRsForWavesPerEU: 65
; NumVGPRsForWavesPerEU: 52
; Occupancy: 4
; WaveLimiterHint : 1
; COMPUTE_PGM_RSRC2:SCRATCH_EN: 0
; COMPUTE_PGM_RSRC2:USER_SGPR: 6
; COMPUTE_PGM_RSRC2:TRAP_HANDLER: 0
; COMPUTE_PGM_RSRC2:TGID_X_EN: 1
; COMPUTE_PGM_RSRC2:TGID_Y_EN: 1
; COMPUTE_PGM_RSRC2:TGID_Z_EN: 1
; COMPUTE_PGM_RSRC2:TIDIG_COMP_CNT: 1
	.section	.text._ZL37rocblas_syrkx_herkx_restricted_kernelIi19rocblas_complex_numIdELi16ELi32ELi8ELin1ELi0ELb0ELc78ELc85EKPKS1_KPS1_EviT_PT9_S7_lS9_S7_lPT10_S7_li,"axG",@progbits,_ZL37rocblas_syrkx_herkx_restricted_kernelIi19rocblas_complex_numIdELi16ELi32ELi8ELin1ELi0ELb0ELc78ELc85EKPKS1_KPS1_EviT_PT9_S7_lS9_S7_lPT10_S7_li,comdat
	.globl	_ZL37rocblas_syrkx_herkx_restricted_kernelIi19rocblas_complex_numIdELi16ELi32ELi8ELin1ELi0ELb0ELc78ELc85EKPKS1_KPS1_EviT_PT9_S7_lS9_S7_lPT10_S7_li ; -- Begin function _ZL37rocblas_syrkx_herkx_restricted_kernelIi19rocblas_complex_numIdELi16ELi32ELi8ELin1ELi0ELb0ELc78ELc85EKPKS1_KPS1_EviT_PT9_S7_lS9_S7_lPT10_S7_li
	.p2align	8
	.type	_ZL37rocblas_syrkx_herkx_restricted_kernelIi19rocblas_complex_numIdELi16ELi32ELi8ELin1ELi0ELb0ELc78ELc85EKPKS1_KPS1_EviT_PT9_S7_lS9_S7_lPT10_S7_li,@function
_ZL37rocblas_syrkx_herkx_restricted_kernelIi19rocblas_complex_numIdELi16ELi32ELi8ELin1ELi0ELb0ELc78ELc85EKPKS1_KPS1_EviT_PT9_S7_lS9_S7_lPT10_S7_li: ; @_ZL37rocblas_syrkx_herkx_restricted_kernelIi19rocblas_complex_numIdELi16ELi32ELi8ELin1ELi0ELb0ELc78ELc85EKPKS1_KPS1_EviT_PT9_S7_lS9_S7_lPT10_S7_li
; %bb.0:
	s_load_dwordx2 s[10:11], s[4:5], 0x38
	s_load_dwordx2 s[2:3], s[4:5], 0x0
	s_mov_b32 s9, 0
	s_lshl_b64 s[0:1], s[8:9], 3
	s_waitcnt lgkmcnt(0)
	s_add_u32 s10, s10, s0
	s_addc_u32 s11, s11, s1
	s_load_dwordx2 s[10:11], s[10:11], 0x0
	s_lshl_b32 s8, s6, 5
	s_lshl_b32 s12, s7, 5
	s_cmp_lt_i32 s3, 1
	s_cbranch_scc1 .LBB718_3
; %bb.1:
	s_load_dword s6, s[4:5], 0x10
	s_load_dword s14, s[4:5], 0x28
	s_load_dwordx2 s[16:17], s[4:5], 0x20
	s_load_dwordx2 s[18:19], s[4:5], 0x8
	v_lshl_add_u32 v5, v1, 4, v0
	s_waitcnt lgkmcnt(0)
	s_ashr_i32 s7, s6, 31
	s_ashr_i32 s15, s14, 31
	v_lshrrev_b32_e32 v6, 3, v5
	s_add_u32 s18, s18, s0
	s_addc_u32 s19, s19, s1
	s_add_u32 s0, s16, s0
	v_add_u32_e32 v2, s12, v6
	s_addc_u32 s1, s17, s1
	v_and_b32_e32 v4, 7, v0
	v_ashrrev_i32_e32 v3, 31, v2
	s_load_dwordx2 s[16:17], s[0:1], 0x0
	v_mad_i64_i32 v[2:3], s[0:1], s14, v4, v[2:3]
	v_lshlrev_b32_e32 v4, 4, v4
	v_lshrrev_b32_e32 v7, 5, v5
	v_and_b32_e32 v5, 31, v5
	v_lshl_or_b32 v4, v6, 7, v4
	v_add_u32_e32 v23, 0x1000, v4
	v_add_u32_e32 v4, s8, v5
	v_lshlrev_b32_e32 v8, 4, v5
	v_ashrrev_i32_e32 v5, 31, v4
	v_mad_i64_i32 v[4:5], s[0:1], s6, v7, v[4:5]
	s_load_dwordx2 s[18:19], s[18:19], 0x0
	v_mov_b32_e32 v6, 0x1000
	v_lshlrev_b64 v[4:5], 4, v[4:5]
	v_lshl_add_u32 v25, v1, 7, v6
	v_lshlrev_b64 v[2:3], 4, v[2:3]
	s_waitcnt lgkmcnt(0)
	v_mov_b32_e32 v6, s19
	v_add_co_u32_e32 v18, vcc, s18, v4
	v_addc_co_u32_e32 v19, vcc, v6, v5, vcc
	v_mov_b32_e32 v4, s17
	v_add_co_u32_e32 v20, vcc, s16, v2
	v_lshl_or_b32 v22, v7, 9, v8
	s_lshl_b64 s[0:1], s[6:7], 7
	v_addc_co_u32_e32 v21, vcc, v4, v3, vcc
	s_lshl_b64 s[6:7], s[14:15], 7
	v_mov_b32_e32 v8, 0
	v_mov_b32_e32 v6, 0
	;; [unrolled: 1-line block ×8, first 2 shown]
	v_lshlrev_b32_e32 v24, 4, v0
	v_mov_b32_e32 v9, 0
	v_mov_b32_e32 v26, s1
	;; [unrolled: 1-line block ×10, first 2 shown]
.LBB718_2:                              ; =>This Inner Loop Header: Depth=1
	flat_load_dwordx4 v[28:31], v[18:19]
	v_add_co_u32_e32 v18, vcc, s0, v18
	v_addc_co_u32_e32 v19, vcc, v19, v26, vcc
	s_add_i32 s9, s9, 8
	s_cmp_ge_i32 s9, s3
	s_waitcnt vmcnt(0) lgkmcnt(0)
	ds_write_b128 v22, v[28:31]
	flat_load_dwordx4 v[28:31], v[20:21]
	v_add_co_u32_e32 v20, vcc, s6, v20
	v_addc_co_u32_e32 v21, vcc, v21, v27, vcc
	s_waitcnt vmcnt(0) lgkmcnt(0)
	ds_write_b128 v23, v[28:31]
	s_waitcnt lgkmcnt(0)
	s_barrier
	ds_read_b128 v[28:31], v25
	ds_read_b128 v[32:35], v25 offset:16
	ds_read_b128 v[36:39], v25 offset:32
	;; [unrolled: 1-line block ×3, first 2 shown]
	ds_read_b128 v[44:47], v24
	s_waitcnt lgkmcnt(0)
	v_mul_f64 v[48:49], v[30:31], v[46:47]
	v_mul_f64 v[50:51], v[28:29], v[46:47]
	v_fma_f64 v[48:49], v[28:29], v[44:45], -v[48:49]
	v_fma_f64 v[50:51], v[30:31], v[44:45], v[50:51]
	v_add_f64 v[48:49], v[14:15], v[48:49]
	v_add_f64 v[50:51], v[50:51], v[16:17]
	ds_read_b128 v[14:17], v24 offset:256
	s_waitcnt lgkmcnt(0)
	v_mul_f64 v[52:53], v[30:31], v[16:17]
	v_fma_f64 v[52:53], v[28:29], v[14:15], -v[52:53]
	v_mul_f64 v[28:29], v[28:29], v[16:17]
	v_fma_f64 v[28:29], v[30:31], v[14:15], v[28:29]
	v_add_f64 v[30:31], v[2:3], v[52:53]
	v_add_f64 v[28:29], v[28:29], v[4:5]
	ds_read_b128 v[2:5], v25 offset:2048
	s_waitcnt lgkmcnt(0)
	v_mul_f64 v[52:53], v[4:5], v[46:47]
	v_mul_f64 v[46:47], v[2:3], v[46:47]
	v_fma_f64 v[52:53], v[2:3], v[44:45], -v[52:53]
	v_fma_f64 v[44:45], v[4:5], v[44:45], v[46:47]
	v_add_f64 v[46:47], v[10:11], v[52:53]
	v_mul_f64 v[10:11], v[4:5], v[16:17]
	v_add_f64 v[44:45], v[44:45], v[12:13]
	v_fma_f64 v[10:11], v[2:3], v[14:15], -v[10:11]
	v_mul_f64 v[2:3], v[2:3], v[16:17]
	v_fma_f64 v[2:3], v[4:5], v[14:15], v[2:3]
	v_add_f64 v[14:15], v[6:7], v[10:11]
	v_add_f64 v[16:17], v[2:3], v[8:9]
	ds_read_b128 v[2:5], v24 offset:512
	s_waitcnt lgkmcnt(0)
	v_mul_f64 v[6:7], v[34:35], v[4:5]
	v_mul_f64 v[8:9], v[32:33], v[4:5]
	v_fma_f64 v[6:7], v[32:33], v[2:3], -v[6:7]
	v_fma_f64 v[8:9], v[34:35], v[2:3], v[8:9]
	v_add_f64 v[48:49], v[48:49], v[6:7]
	v_add_f64 v[50:51], v[8:9], v[50:51]
	ds_read_b128 v[6:9], v24 offset:768
	s_waitcnt lgkmcnt(0)
	v_mul_f64 v[10:11], v[34:35], v[8:9]
	v_mul_f64 v[12:13], v[32:33], v[8:9]
	v_fma_f64 v[10:11], v[32:33], v[6:7], -v[10:11]
	;; [unrolled: 8-line block ×3, first 2 shown]
	v_fma_f64 v[2:3], v[12:13], v[2:3], v[4:5]
	v_mul_f64 v[4:5], v[10:11], v[8:9]
	v_add_f64 v[32:33], v[46:47], v[32:33]
	v_add_f64 v[34:35], v[2:3], v[44:45]
	v_mul_f64 v[2:3], v[12:13], v[8:9]
	v_fma_f64 v[4:5], v[12:13], v[6:7], v[4:5]
	v_fma_f64 v[2:3], v[10:11], v[6:7], -v[2:3]
	v_add_f64 v[16:17], v[4:5], v[16:17]
	v_add_f64 v[14:15], v[14:15], v[2:3]
	ds_read_b128 v[2:5], v24 offset:1024
	s_waitcnt lgkmcnt(0)
	v_mul_f64 v[6:7], v[38:39], v[4:5]
	v_mul_f64 v[8:9], v[36:37], v[4:5]
	v_fma_f64 v[6:7], v[36:37], v[2:3], -v[6:7]
	v_fma_f64 v[8:9], v[38:39], v[2:3], v[8:9]
	v_add_f64 v[44:45], v[48:49], v[6:7]
	v_add_f64 v[46:47], v[8:9], v[50:51]
	ds_read_b128 v[6:9], v24 offset:1280
	s_waitcnt lgkmcnt(0)
	v_mul_f64 v[10:11], v[38:39], v[8:9]
	v_mul_f64 v[12:13], v[36:37], v[8:9]
	v_fma_f64 v[10:11], v[36:37], v[6:7], -v[10:11]
	v_fma_f64 v[12:13], v[38:39], v[6:7], v[12:13]
	;; [unrolled: 8-line block ×3, first 2 shown]
	v_mul_f64 v[4:5], v[10:11], v[8:9]
	v_add_f64 v[32:33], v[32:33], v[36:37]
	v_add_f64 v[34:35], v[2:3], v[34:35]
	v_mul_f64 v[2:3], v[12:13], v[8:9]
	v_fma_f64 v[4:5], v[12:13], v[6:7], v[4:5]
	v_fma_f64 v[2:3], v[10:11], v[6:7], -v[2:3]
	v_add_f64 v[16:17], v[4:5], v[16:17]
	v_add_f64 v[14:15], v[14:15], v[2:3]
	ds_read_b128 v[2:5], v24 offset:1536
	s_waitcnt lgkmcnt(0)
	v_mul_f64 v[6:7], v[42:43], v[4:5]
	v_mul_f64 v[8:9], v[40:41], v[4:5]
	v_fma_f64 v[6:7], v[40:41], v[2:3], -v[6:7]
	v_fma_f64 v[8:9], v[42:43], v[2:3], v[8:9]
	v_add_f64 v[36:37], v[44:45], v[6:7]
	v_add_f64 v[38:39], v[8:9], v[46:47]
	ds_read_b128 v[6:9], v24 offset:1792
	s_waitcnt lgkmcnt(0)
	v_mul_f64 v[10:11], v[42:43], v[8:9]
	v_mul_f64 v[12:13], v[40:41], v[8:9]
	v_fma_f64 v[10:11], v[40:41], v[6:7], -v[10:11]
	v_fma_f64 v[12:13], v[42:43], v[6:7], v[12:13]
	v_add_f64 v[30:31], v[30:31], v[10:11]
	v_add_f64 v[28:29], v[12:13], v[28:29]
	ds_read_b128 v[10:13], v25 offset:2096
	s_waitcnt lgkmcnt(0)
	v_mul_f64 v[40:41], v[12:13], v[4:5]
	v_mul_f64 v[4:5], v[10:11], v[4:5]
	v_fma_f64 v[40:41], v[10:11], v[2:3], -v[40:41]
	v_fma_f64 v[2:3], v[12:13], v[2:3], v[4:5]
	v_mul_f64 v[4:5], v[10:11], v[8:9]
	v_add_f64 v[32:33], v[32:33], v[40:41]
	v_add_f64 v[34:35], v[2:3], v[34:35]
	v_mul_f64 v[2:3], v[12:13], v[8:9]
	v_fma_f64 v[4:5], v[12:13], v[6:7], v[4:5]
	v_fma_f64 v[2:3], v[10:11], v[6:7], -v[2:3]
	v_add_f64 v[16:17], v[4:5], v[16:17]
	v_add_f64 v[14:15], v[14:15], v[2:3]
	ds_read_b128 v[2:5], v25 offset:64
	ds_read_b128 v[6:9], v24 offset:2048
	s_waitcnt lgkmcnt(0)
	v_mul_f64 v[10:11], v[4:5], v[8:9]
	v_mul_f64 v[12:13], v[2:3], v[8:9]
	v_fma_f64 v[10:11], v[2:3], v[6:7], -v[10:11]
	v_fma_f64 v[12:13], v[4:5], v[6:7], v[12:13]
	v_add_f64 v[36:37], v[36:37], v[10:11]
	v_add_f64 v[38:39], v[12:13], v[38:39]
	ds_read_b128 v[10:13], v24 offset:2304
	s_waitcnt lgkmcnt(0)
	v_mul_f64 v[40:41], v[4:5], v[12:13]
	v_fma_f64 v[40:41], v[2:3], v[10:11], -v[40:41]
	v_mul_f64 v[2:3], v[2:3], v[12:13]
	v_add_f64 v[30:31], v[30:31], v[40:41]
	v_fma_f64 v[2:3], v[4:5], v[10:11], v[2:3]
	v_add_f64 v[28:29], v[2:3], v[28:29]
	ds_read_b128 v[2:5], v25 offset:2112
	s_waitcnt lgkmcnt(0)
	v_mul_f64 v[40:41], v[4:5], v[8:9]
	v_mul_f64 v[8:9], v[2:3], v[8:9]
	v_fma_f64 v[40:41], v[2:3], v[6:7], -v[40:41]
	v_fma_f64 v[6:7], v[4:5], v[6:7], v[8:9]
	v_add_f64 v[32:33], v[32:33], v[40:41]
	v_add_f64 v[34:35], v[6:7], v[34:35]
	v_mul_f64 v[6:7], v[4:5], v[12:13]
	v_fma_f64 v[6:7], v[2:3], v[10:11], -v[6:7]
	v_mul_f64 v[2:3], v[2:3], v[12:13]
	v_add_f64 v[14:15], v[14:15], v[6:7]
	v_fma_f64 v[2:3], v[4:5], v[10:11], v[2:3]
	v_add_f64 v[16:17], v[2:3], v[16:17]
	ds_read_b128 v[2:5], v25 offset:80
	ds_read_b128 v[6:9], v24 offset:2560
	s_waitcnt lgkmcnt(0)
	v_mul_f64 v[10:11], v[4:5], v[8:9]
	v_mul_f64 v[12:13], v[2:3], v[8:9]
	v_fma_f64 v[10:11], v[2:3], v[6:7], -v[10:11]
	v_fma_f64 v[12:13], v[4:5], v[6:7], v[12:13]
	v_add_f64 v[36:37], v[36:37], v[10:11]
	v_add_f64 v[38:39], v[12:13], v[38:39]
	ds_read_b128 v[10:13], v24 offset:2816
	s_waitcnt lgkmcnt(0)
	v_mul_f64 v[40:41], v[4:5], v[12:13]
	v_fma_f64 v[40:41], v[2:3], v[10:11], -v[40:41]
	v_mul_f64 v[2:3], v[2:3], v[12:13]
	v_add_f64 v[30:31], v[30:31], v[40:41]
	v_fma_f64 v[2:3], v[4:5], v[10:11], v[2:3]
	v_add_f64 v[28:29], v[2:3], v[28:29]
	ds_read_b128 v[2:5], v25 offset:2128
	s_waitcnt lgkmcnt(0)
	v_mul_f64 v[40:41], v[4:5], v[8:9]
	v_mul_f64 v[8:9], v[2:3], v[8:9]
	v_fma_f64 v[40:41], v[2:3], v[6:7], -v[40:41]
	v_fma_f64 v[6:7], v[4:5], v[6:7], v[8:9]
	v_add_f64 v[32:33], v[32:33], v[40:41]
	v_add_f64 v[34:35], v[6:7], v[34:35]
	v_mul_f64 v[6:7], v[4:5], v[12:13]
	v_fma_f64 v[6:7], v[2:3], v[10:11], -v[6:7]
	v_mul_f64 v[2:3], v[2:3], v[12:13]
	v_add_f64 v[14:15], v[14:15], v[6:7]
	v_fma_f64 v[2:3], v[4:5], v[10:11], v[2:3]
	;; [unrolled: 31-line block ×3, first 2 shown]
	v_add_f64 v[50:51], v[2:3], v[16:17]
	ds_read_b128 v[2:5], v25 offset:112
	ds_read_b128 v[6:9], v24 offset:3584
	ds_read_b128 v[28:31], v24 offset:3840
	ds_read_b128 v[32:35], v25 offset:2160
	s_waitcnt lgkmcnt(0)
	s_barrier
	v_mul_f64 v[10:11], v[4:5], v[8:9]
	v_mul_f64 v[12:13], v[2:3], v[8:9]
	v_fma_f64 v[10:11], v[2:3], v[6:7], -v[10:11]
	v_fma_f64 v[12:13], v[4:5], v[6:7], v[12:13]
	v_add_f64 v[14:15], v[36:37], v[10:11]
	v_mul_f64 v[10:11], v[4:5], v[30:31]
	v_add_f64 v[16:17], v[12:13], v[38:39]
	v_fma_f64 v[10:11], v[2:3], v[28:29], -v[10:11]
	v_mul_f64 v[2:3], v[2:3], v[30:31]
	v_fma_f64 v[4:5], v[4:5], v[28:29], v[2:3]
	v_add_f64 v[2:3], v[40:41], v[10:11]
	v_mul_f64 v[10:11], v[34:35], v[8:9]
	v_mul_f64 v[8:9], v[32:33], v[8:9]
	v_add_f64 v[4:5], v[4:5], v[42:43]
	v_fma_f64 v[10:11], v[32:33], v[6:7], -v[10:11]
	v_fma_f64 v[6:7], v[34:35], v[6:7], v[8:9]
	v_mul_f64 v[8:9], v[32:33], v[30:31]
	v_add_f64 v[10:11], v[44:45], v[10:11]
	v_add_f64 v[12:13], v[6:7], v[46:47]
	v_mul_f64 v[6:7], v[34:35], v[30:31]
	v_fma_f64 v[8:9], v[34:35], v[28:29], v[8:9]
	v_fma_f64 v[6:7], v[32:33], v[28:29], -v[6:7]
	v_add_f64 v[8:9], v[8:9], v[50:51]
	v_add_f64 v[6:7], v[48:49], v[6:7]
	s_cbranch_scc0 .LBB718_2
	s_branch .LBB718_4
.LBB718_3:
	v_mov_b32_e32 v14, 0
	v_mov_b32_e32 v16, 0
	;; [unrolled: 1-line block ×16, first 2 shown]
.LBB718_4:
	s_load_dword s3, s[4:5], 0x40
	v_add_u32_e32 v18, s12, v1
	s_waitcnt lgkmcnt(0)
	v_mov_b32_e32 v1, s11
	v_add_u32_e32 v0, s8, v0
	v_cmp_gt_i32_e32 vcc, s2, v18
	v_mad_i64_i32 v[19:20], s[0:1], v18, s3, 0
	v_lshlrev_b64 v[19:20], 4, v[19:20]
	v_add_co_u32_e64 v19, s[0:1], s10, v19
	v_addc_co_u32_e64 v20, s[0:1], v1, v20, s[0:1]
	v_cmp_le_i32_e64 s[0:1], v0, v18
	s_and_b64 s[0:1], vcc, s[0:1]
	s_and_saveexec_b64 s[4:5], s[0:1]
	s_cbranch_execz .LBB718_6
; %bb.5:
	v_ashrrev_i32_e32 v1, 31, v0
	v_lshlrev_b64 v[21:22], 4, v[0:1]
	v_xor_b32_e32 v15, 0x80000000, v15
	v_add_co_u32_e64 v21, s[0:1], v19, v21
	v_xor_b32_e32 v17, 0x80000000, v17
	v_addc_co_u32_e64 v22, s[0:1], v20, v22, s[0:1]
	flat_store_dwordx4 v[21:22], v[14:17]
.LBB718_6:
	s_or_b64 exec, exec, s[4:5]
	v_add_u32_e32 v14, 16, v0
	v_cmp_le_i32_e64 s[0:1], v14, v18
	s_and_b64 s[4:5], vcc, s[0:1]
	s_and_saveexec_b64 s[0:1], s[4:5]
	s_cbranch_execz .LBB718_8
; %bb.7:
	v_ashrrev_i32_e32 v15, 31, v14
	v_lshlrev_b64 v[15:16], 4, v[14:15]
	v_xor_b32_e32 v3, 0x80000000, v3
	v_add_co_u32_e32 v15, vcc, v19, v15
	v_xor_b32_e32 v5, 0x80000000, v5
	v_addc_co_u32_e32 v16, vcc, v20, v16, vcc
	flat_store_dwordx4 v[15:16], v[2:5]
.LBB718_8:
	s_or_b64 exec, exec, s[0:1]
	v_add_u32_e32 v4, 16, v18
	v_mad_i64_i32 v[1:2], s[0:1], v4, s3, 0
	v_mov_b32_e32 v5, s11
	v_cmp_gt_i32_e32 vcc, s2, v4
	v_lshlrev_b64 v[2:3], 4, v[1:2]
	v_add_co_u32_e64 v2, s[0:1], s10, v2
	v_addc_co_u32_e64 v3, s[0:1], v5, v3, s[0:1]
	v_cmp_le_i32_e64 s[0:1], v0, v4
	s_and_b64 s[0:1], vcc, s[0:1]
	s_and_saveexec_b64 s[2:3], s[0:1]
	s_cbranch_execz .LBB718_10
; %bb.9:
	v_ashrrev_i32_e32 v1, 31, v0
	v_lshlrev_b64 v[0:1], 4, v[0:1]
	v_xor_b32_e32 v11, 0x80000000, v11
	v_add_co_u32_e64 v0, s[0:1], v2, v0
	v_xor_b32_e32 v13, 0x80000000, v13
	v_addc_co_u32_e64 v1, s[0:1], v3, v1, s[0:1]
	flat_store_dwordx4 v[0:1], v[10:13]
.LBB718_10:
	s_or_b64 exec, exec, s[2:3]
	v_cmp_le_i32_e64 s[0:1], v14, v4
	s_and_b64 s[0:1], vcc, s[0:1]
	s_and_saveexec_b64 s[2:3], s[0:1]
	s_cbranch_execz .LBB718_12
; %bb.11:
	v_ashrrev_i32_e32 v15, 31, v14
	v_lshlrev_b64 v[0:1], 4, v[14:15]
	v_xor_b32_e32 v7, 0x80000000, v7
	v_add_co_u32_e32 v0, vcc, v2, v0
	v_xor_b32_e32 v9, 0x80000000, v9
	v_addc_co_u32_e32 v1, vcc, v3, v1, vcc
	flat_store_dwordx4 v[0:1], v[6:9]
.LBB718_12:
	s_endpgm
	.section	.rodata,"a",@progbits
	.p2align	6, 0x0
	.amdhsa_kernel _ZL37rocblas_syrkx_herkx_restricted_kernelIi19rocblas_complex_numIdELi16ELi32ELi8ELin1ELi0ELb0ELc78ELc85EKPKS1_KPS1_EviT_PT9_S7_lS9_S7_lPT10_S7_li
		.amdhsa_group_segment_fixed_size 8192
		.amdhsa_private_segment_fixed_size 0
		.amdhsa_kernarg_size 84
		.amdhsa_user_sgpr_count 6
		.amdhsa_user_sgpr_private_segment_buffer 1
		.amdhsa_user_sgpr_dispatch_ptr 0
		.amdhsa_user_sgpr_queue_ptr 0
		.amdhsa_user_sgpr_kernarg_segment_ptr 1
		.amdhsa_user_sgpr_dispatch_id 0
		.amdhsa_user_sgpr_flat_scratch_init 0
		.amdhsa_user_sgpr_private_segment_size 0
		.amdhsa_uses_dynamic_stack 0
		.amdhsa_system_sgpr_private_segment_wavefront_offset 0
		.amdhsa_system_sgpr_workgroup_id_x 1
		.amdhsa_system_sgpr_workgroup_id_y 1
		.amdhsa_system_sgpr_workgroup_id_z 1
		.amdhsa_system_sgpr_workgroup_info 0
		.amdhsa_system_vgpr_workitem_id 1
		.amdhsa_next_free_vgpr 54
		.amdhsa_next_free_sgpr 61
		.amdhsa_reserve_vcc 1
		.amdhsa_reserve_flat_scratch 0
		.amdhsa_float_round_mode_32 0
		.amdhsa_float_round_mode_16_64 0
		.amdhsa_float_denorm_mode_32 3
		.amdhsa_float_denorm_mode_16_64 3
		.amdhsa_dx10_clamp 1
		.amdhsa_ieee_mode 1
		.amdhsa_fp16_overflow 0
		.amdhsa_exception_fp_ieee_invalid_op 0
		.amdhsa_exception_fp_denorm_src 0
		.amdhsa_exception_fp_ieee_div_zero 0
		.amdhsa_exception_fp_ieee_overflow 0
		.amdhsa_exception_fp_ieee_underflow 0
		.amdhsa_exception_fp_ieee_inexact 0
		.amdhsa_exception_int_div_zero 0
	.end_amdhsa_kernel
	.section	.text._ZL37rocblas_syrkx_herkx_restricted_kernelIi19rocblas_complex_numIdELi16ELi32ELi8ELin1ELi0ELb0ELc78ELc85EKPKS1_KPS1_EviT_PT9_S7_lS9_S7_lPT10_S7_li,"axG",@progbits,_ZL37rocblas_syrkx_herkx_restricted_kernelIi19rocblas_complex_numIdELi16ELi32ELi8ELin1ELi0ELb0ELc78ELc85EKPKS1_KPS1_EviT_PT9_S7_lS9_S7_lPT10_S7_li,comdat
.Lfunc_end718:
	.size	_ZL37rocblas_syrkx_herkx_restricted_kernelIi19rocblas_complex_numIdELi16ELi32ELi8ELin1ELi0ELb0ELc78ELc85EKPKS1_KPS1_EviT_PT9_S7_lS9_S7_lPT10_S7_li, .Lfunc_end718-_ZL37rocblas_syrkx_herkx_restricted_kernelIi19rocblas_complex_numIdELi16ELi32ELi8ELin1ELi0ELb0ELc78ELc85EKPKS1_KPS1_EviT_PT9_S7_lS9_S7_lPT10_S7_li
                                        ; -- End function
	.set _ZL37rocblas_syrkx_herkx_restricted_kernelIi19rocblas_complex_numIdELi16ELi32ELi8ELin1ELi0ELb0ELc78ELc85EKPKS1_KPS1_EviT_PT9_S7_lS9_S7_lPT10_S7_li.num_vgpr, 54
	.set _ZL37rocblas_syrkx_herkx_restricted_kernelIi19rocblas_complex_numIdELi16ELi32ELi8ELin1ELi0ELb0ELc78ELc85EKPKS1_KPS1_EviT_PT9_S7_lS9_S7_lPT10_S7_li.num_agpr, 0
	.set _ZL37rocblas_syrkx_herkx_restricted_kernelIi19rocblas_complex_numIdELi16ELi32ELi8ELin1ELi0ELb0ELc78ELc85EKPKS1_KPS1_EviT_PT9_S7_lS9_S7_lPT10_S7_li.numbered_sgpr, 20
	.set _ZL37rocblas_syrkx_herkx_restricted_kernelIi19rocblas_complex_numIdELi16ELi32ELi8ELin1ELi0ELb0ELc78ELc85EKPKS1_KPS1_EviT_PT9_S7_lS9_S7_lPT10_S7_li.num_named_barrier, 0
	.set _ZL37rocblas_syrkx_herkx_restricted_kernelIi19rocblas_complex_numIdELi16ELi32ELi8ELin1ELi0ELb0ELc78ELc85EKPKS1_KPS1_EviT_PT9_S7_lS9_S7_lPT10_S7_li.private_seg_size, 0
	.set _ZL37rocblas_syrkx_herkx_restricted_kernelIi19rocblas_complex_numIdELi16ELi32ELi8ELin1ELi0ELb0ELc78ELc85EKPKS1_KPS1_EviT_PT9_S7_lS9_S7_lPT10_S7_li.uses_vcc, 1
	.set _ZL37rocblas_syrkx_herkx_restricted_kernelIi19rocblas_complex_numIdELi16ELi32ELi8ELin1ELi0ELb0ELc78ELc85EKPKS1_KPS1_EviT_PT9_S7_lS9_S7_lPT10_S7_li.uses_flat_scratch, 0
	.set _ZL37rocblas_syrkx_herkx_restricted_kernelIi19rocblas_complex_numIdELi16ELi32ELi8ELin1ELi0ELb0ELc78ELc85EKPKS1_KPS1_EviT_PT9_S7_lS9_S7_lPT10_S7_li.has_dyn_sized_stack, 0
	.set _ZL37rocblas_syrkx_herkx_restricted_kernelIi19rocblas_complex_numIdELi16ELi32ELi8ELin1ELi0ELb0ELc78ELc85EKPKS1_KPS1_EviT_PT9_S7_lS9_S7_lPT10_S7_li.has_recursion, 0
	.set _ZL37rocblas_syrkx_herkx_restricted_kernelIi19rocblas_complex_numIdELi16ELi32ELi8ELin1ELi0ELb0ELc78ELc85EKPKS1_KPS1_EviT_PT9_S7_lS9_S7_lPT10_S7_li.has_indirect_call, 0
	.section	.AMDGPU.csdata,"",@progbits
; Kernel info:
; codeLenInByte = 2792
; TotalNumSgprs: 24
; NumVgprs: 54
; ScratchSize: 0
; MemoryBound: 0
; FloatMode: 240
; IeeeMode: 1
; LDSByteSize: 8192 bytes/workgroup (compile time only)
; SGPRBlocks: 8
; VGPRBlocks: 13
; NumSGPRsForWavesPerEU: 65
; NumVGPRsForWavesPerEU: 54
; Occupancy: 4
; WaveLimiterHint : 1
; COMPUTE_PGM_RSRC2:SCRATCH_EN: 0
; COMPUTE_PGM_RSRC2:USER_SGPR: 6
; COMPUTE_PGM_RSRC2:TRAP_HANDLER: 0
; COMPUTE_PGM_RSRC2:TGID_X_EN: 1
; COMPUTE_PGM_RSRC2:TGID_Y_EN: 1
; COMPUTE_PGM_RSRC2:TGID_Z_EN: 1
; COMPUTE_PGM_RSRC2:TIDIG_COMP_CNT: 1
	.section	.text._ZL37rocblas_syrkx_herkx_restricted_kernelIi19rocblas_complex_numIdELi16ELi32ELi8ELb1ELb0ELc84ELc76EKPKS1_KPS1_EviT_T0_PT8_S7_lSA_S7_lS8_PT9_S7_li,"axG",@progbits,_ZL37rocblas_syrkx_herkx_restricted_kernelIi19rocblas_complex_numIdELi16ELi32ELi8ELb1ELb0ELc84ELc76EKPKS1_KPS1_EviT_T0_PT8_S7_lSA_S7_lS8_PT9_S7_li,comdat
	.globl	_ZL37rocblas_syrkx_herkx_restricted_kernelIi19rocblas_complex_numIdELi16ELi32ELi8ELb1ELb0ELc84ELc76EKPKS1_KPS1_EviT_T0_PT8_S7_lSA_S7_lS8_PT9_S7_li ; -- Begin function _ZL37rocblas_syrkx_herkx_restricted_kernelIi19rocblas_complex_numIdELi16ELi32ELi8ELb1ELb0ELc84ELc76EKPKS1_KPS1_EviT_T0_PT8_S7_lSA_S7_lS8_PT9_S7_li
	.p2align	8
	.type	_ZL37rocblas_syrkx_herkx_restricted_kernelIi19rocblas_complex_numIdELi16ELi32ELi8ELb1ELb0ELc84ELc76EKPKS1_KPS1_EviT_T0_PT8_S7_lSA_S7_lS8_PT9_S7_li,@function
_ZL37rocblas_syrkx_herkx_restricted_kernelIi19rocblas_complex_numIdELi16ELi32ELi8ELb1ELb0ELc84ELc76EKPKS1_KPS1_EviT_T0_PT8_S7_lSA_S7_lS8_PT9_S7_li: ; @_ZL37rocblas_syrkx_herkx_restricted_kernelIi19rocblas_complex_numIdELi16ELi32ELi8ELb1ELb0ELc84ELc76EKPKS1_KPS1_EviT_T0_PT8_S7_lSA_S7_lS8_PT9_S7_li
; %bb.0:
	s_load_dwordx2 s[0:1], s[4:5], 0x18
	s_load_dwordx2 s[10:11], s[4:5], 0x58
	;; [unrolled: 1-line block ×3, first 2 shown]
	s_load_dwordx4 s[12:15], s[4:5], 0x8
	s_mov_b32 s9, 0
	s_lshl_b64 s[2:3], s[8:9], 3
	s_waitcnt lgkmcnt(0)
	s_add_u32 s10, s10, s2
	s_addc_u32 s11, s11, s3
	s_load_dwordx2 s[10:11], s[10:11], 0x0
	s_lshl_b32 s6, s6, 5
	s_lshl_b32 s7, s7, 5
	s_cmp_lt_i32 s17, 1
	s_cbranch_scc1 .LBB719_3
; %bb.1:
	s_load_dword s8, s[4:5], 0x20
	s_load_dwordx2 s[18:19], s[4:5], 0x30
	s_load_dword s20, s[4:5], 0x38
	s_add_u32 s0, s0, s2
	v_lshl_add_u32 v3, v1, 4, v0
	s_addc_u32 s1, s1, s3
	v_lshrrev_b32_e32 v8, 3, v3
	s_waitcnt lgkmcnt(0)
	s_add_u32 s2, s18, s2
	v_lshrrev_b32_e32 v2, 5, v3
	v_and_b32_e32 v4, 7, v0
	v_and_b32_e32 v9, 31, v3
	v_add_u32_e32 v3, s7, v8
	v_mov_b32_e32 v5, 0
	s_addc_u32 s3, s19, s3
	v_mad_i64_i32 v[6:7], s[18:19], s20, v3, v[4:5]
	v_mov_b32_e32 v3, v5
	v_lshlrev_b32_e32 v5, 4, v9
	v_lshl_or_b32 v22, v2, 9, v5
	v_add_u32_e32 v5, s6, v9
	v_mad_i64_i32 v[2:3], s[18:19], s8, v5, v[2:3]
	s_load_dwordx2 s[0:1], s[0:1], 0x0
	v_lshlrev_b32_e32 v4, 4, v4
	s_load_dwordx2 s[2:3], s[2:3], 0x0
	v_lshlrev_b64 v[2:3], 4, v[2:3]
	v_lshl_or_b32 v4, v8, 7, v4
	v_add_u32_e32 v23, 0x1000, v4
	s_waitcnt lgkmcnt(0)
	v_mov_b32_e32 v4, s1
	v_add_co_u32_e32 v2, vcc, s0, v2
	v_addc_co_u32_e32 v3, vcc, v4, v3, vcc
	v_lshlrev_b64 v[4:5], 4, v[6:7]
	v_mov_b32_e32 v6, s3
	v_add_co_u32_e32 v4, vcc, s2, v4
	v_mov_b32_e32 v25, 0x1000
	v_addc_co_u32_e32 v5, vcc, v6, v5, vcc
	v_mov_b32_e32 v10, 0
	v_mov_b32_e32 v12, 0
	;; [unrolled: 1-line block ×8, first 2 shown]
	v_lshlrev_b32_e32 v24, 4, v0
	v_mov_b32_e32 v11, 0
	v_mov_b32_e32 v13, 0
	;; [unrolled: 1-line block ×8, first 2 shown]
	v_lshl_add_u32 v25, v1, 7, v25
.LBB719_2:                              ; =>This Inner Loop Header: Depth=1
	flat_load_dwordx4 v[26:29], v[2:3]
	v_add_co_u32_e32 v2, vcc, 0x80, v2
	v_addc_co_u32_e32 v3, vcc, 0, v3, vcc
	s_add_i32 s9, s9, 8
	s_cmp_ge_i32 s9, s17
	s_waitcnt vmcnt(0) lgkmcnt(0)
	ds_write_b128 v22, v[26:29]
	flat_load_dwordx4 v[26:29], v[4:5]
	v_add_co_u32_e32 v4, vcc, 0x80, v4
	v_addc_co_u32_e32 v5, vcc, 0, v5, vcc
	s_waitcnt vmcnt(0) lgkmcnt(0)
	ds_write_b128 v23, v[26:29]
	s_waitcnt lgkmcnt(0)
	s_barrier
	ds_read_b128 v[26:29], v25
	ds_read_b128 v[30:33], v25 offset:16
	ds_read_b128 v[34:37], v25 offset:32
	;; [unrolled: 1-line block ×3, first 2 shown]
	ds_read_b128 v[42:45], v24
	s_waitcnt lgkmcnt(0)
	v_mul_f64 v[46:47], v[28:29], v[44:45]
	v_mul_f64 v[48:49], v[26:27], v[44:45]
	v_fma_f64 v[46:47], v[26:27], v[42:43], -v[46:47]
	v_fma_f64 v[48:49], v[28:29], v[42:43], v[48:49]
	v_add_f64 v[46:47], v[14:15], v[46:47]
	v_add_f64 v[48:49], v[48:49], v[16:17]
	ds_read_b128 v[14:17], v24 offset:256
	s_waitcnt lgkmcnt(0)
	v_mul_f64 v[50:51], v[28:29], v[16:17]
	v_fma_f64 v[50:51], v[26:27], v[14:15], -v[50:51]
	v_mul_f64 v[26:27], v[26:27], v[16:17]
	v_fma_f64 v[26:27], v[28:29], v[14:15], v[26:27]
	v_add_f64 v[28:29], v[6:7], v[50:51]
	v_add_f64 v[26:27], v[26:27], v[8:9]
	ds_read_b128 v[6:9], v25 offset:2048
	s_waitcnt lgkmcnt(0)
	v_mul_f64 v[50:51], v[8:9], v[44:45]
	v_mul_f64 v[44:45], v[6:7], v[44:45]
	v_fma_f64 v[50:51], v[6:7], v[42:43], -v[50:51]
	v_fma_f64 v[42:43], v[8:9], v[42:43], v[44:45]
	v_add_f64 v[18:19], v[18:19], v[50:51]
	v_add_f64 v[20:21], v[42:43], v[20:21]
	v_mul_f64 v[42:43], v[8:9], v[16:17]
	v_fma_f64 v[42:43], v[6:7], v[14:15], -v[42:43]
	v_mul_f64 v[6:7], v[6:7], v[16:17]
	v_add_f64 v[42:43], v[12:13], v[42:43]
	v_fma_f64 v[6:7], v[8:9], v[14:15], v[6:7]
	v_add_f64 v[44:45], v[6:7], v[10:11]
	ds_read_b128 v[6:9], v24 offset:512
	s_waitcnt lgkmcnt(0)
	v_mul_f64 v[10:11], v[32:33], v[8:9]
	v_mul_f64 v[12:13], v[30:31], v[8:9]
	v_fma_f64 v[10:11], v[30:31], v[6:7], -v[10:11]
	v_fma_f64 v[12:13], v[32:33], v[6:7], v[12:13]
	v_add_f64 v[46:47], v[46:47], v[10:11]
	v_add_f64 v[48:49], v[12:13], v[48:49]
	ds_read_b128 v[10:13], v24 offset:768
	s_waitcnt lgkmcnt(0)
	v_mul_f64 v[14:15], v[32:33], v[12:13]
	v_mul_f64 v[16:17], v[30:31], v[12:13]
	v_fma_f64 v[14:15], v[30:31], v[10:11], -v[14:15]
	v_fma_f64 v[16:17], v[32:33], v[10:11], v[16:17]
	v_add_f64 v[28:29], v[28:29], v[14:15]
	v_add_f64 v[26:27], v[16:17], v[26:27]
	ds_read_b128 v[14:17], v25 offset:2064
	s_waitcnt lgkmcnt(0)
	v_mul_f64 v[30:31], v[16:17], v[8:9]
	v_mul_f64 v[8:9], v[14:15], v[8:9]
	v_fma_f64 v[30:31], v[14:15], v[6:7], -v[30:31]
	v_fma_f64 v[6:7], v[16:17], v[6:7], v[8:9]
	v_mul_f64 v[8:9], v[14:15], v[12:13]
	v_add_f64 v[18:19], v[18:19], v[30:31]
	v_add_f64 v[20:21], v[6:7], v[20:21]
	v_mul_f64 v[6:7], v[16:17], v[12:13]
	v_fma_f64 v[8:9], v[16:17], v[10:11], v[8:9]
	v_fma_f64 v[6:7], v[14:15], v[10:11], -v[6:7]
	v_add_f64 v[32:33], v[8:9], v[44:45]
	v_add_f64 v[30:31], v[42:43], v[6:7]
	ds_read_b128 v[6:9], v24 offset:1024
	s_waitcnt lgkmcnt(0)
	v_mul_f64 v[10:11], v[36:37], v[8:9]
	v_mul_f64 v[12:13], v[34:35], v[8:9]
	v_fma_f64 v[10:11], v[34:35], v[6:7], -v[10:11]
	v_fma_f64 v[12:13], v[36:37], v[6:7], v[12:13]
	v_add_f64 v[42:43], v[46:47], v[10:11]
	v_add_f64 v[44:45], v[12:13], v[48:49]
	ds_read_b128 v[10:13], v24 offset:1280
	s_waitcnt lgkmcnt(0)
	v_mul_f64 v[14:15], v[36:37], v[12:13]
	v_mul_f64 v[16:17], v[34:35], v[12:13]
	v_fma_f64 v[14:15], v[34:35], v[10:11], -v[14:15]
	v_fma_f64 v[16:17], v[36:37], v[10:11], v[16:17]
	v_add_f64 v[28:29], v[28:29], v[14:15]
	v_add_f64 v[26:27], v[16:17], v[26:27]
	ds_read_b128 v[14:17], v25 offset:2080
	s_waitcnt lgkmcnt(0)
	v_mul_f64 v[34:35], v[16:17], v[8:9]
	v_mul_f64 v[8:9], v[14:15], v[8:9]
	v_fma_f64 v[34:35], v[14:15], v[6:7], -v[34:35]
	v_fma_f64 v[6:7], v[16:17], v[6:7], v[8:9]
	v_mul_f64 v[8:9], v[14:15], v[12:13]
	v_add_f64 v[18:19], v[18:19], v[34:35]
	v_add_f64 v[20:21], v[6:7], v[20:21]
	v_mul_f64 v[6:7], v[16:17], v[12:13]
	v_fma_f64 v[8:9], v[16:17], v[10:11], v[8:9]
	v_fma_f64 v[6:7], v[14:15], v[10:11], -v[6:7]
	v_add_f64 v[32:33], v[8:9], v[32:33]
	;; [unrolled: 30-line block ×3, first 2 shown]
	v_add_f64 v[30:31], v[30:31], v[6:7]
	ds_read_b128 v[6:9], v25 offset:64
	ds_read_b128 v[10:13], v24 offset:2048
	s_waitcnt lgkmcnt(0)
	v_mul_f64 v[14:15], v[8:9], v[12:13]
	v_mul_f64 v[16:17], v[6:7], v[12:13]
	v_fma_f64 v[14:15], v[6:7], v[10:11], -v[14:15]
	v_fma_f64 v[16:17], v[8:9], v[10:11], v[16:17]
	v_add_f64 v[34:35], v[34:35], v[14:15]
	v_add_f64 v[36:37], v[16:17], v[36:37]
	ds_read_b128 v[14:17], v24 offset:2304
	s_waitcnt lgkmcnt(0)
	v_mul_f64 v[38:39], v[8:9], v[16:17]
	v_fma_f64 v[38:39], v[6:7], v[14:15], -v[38:39]
	v_mul_f64 v[6:7], v[6:7], v[16:17]
	v_add_f64 v[28:29], v[28:29], v[38:39]
	v_fma_f64 v[6:7], v[8:9], v[14:15], v[6:7]
	v_add_f64 v[26:27], v[6:7], v[26:27]
	ds_read_b128 v[6:9], v25 offset:2112
	s_waitcnt lgkmcnt(0)
	v_mul_f64 v[38:39], v[8:9], v[12:13]
	v_mul_f64 v[12:13], v[6:7], v[12:13]
	v_fma_f64 v[38:39], v[6:7], v[10:11], -v[38:39]
	v_fma_f64 v[10:11], v[8:9], v[10:11], v[12:13]
	v_add_f64 v[18:19], v[18:19], v[38:39]
	v_add_f64 v[20:21], v[10:11], v[20:21]
	v_mul_f64 v[10:11], v[8:9], v[16:17]
	v_fma_f64 v[10:11], v[6:7], v[14:15], -v[10:11]
	v_mul_f64 v[6:7], v[6:7], v[16:17]
	v_add_f64 v[30:31], v[30:31], v[10:11]
	v_fma_f64 v[6:7], v[8:9], v[14:15], v[6:7]
	v_add_f64 v[32:33], v[6:7], v[32:33]
	ds_read_b128 v[6:9], v25 offset:80
	ds_read_b128 v[10:13], v24 offset:2560
	s_waitcnt lgkmcnt(0)
	v_mul_f64 v[14:15], v[8:9], v[12:13]
	v_mul_f64 v[16:17], v[6:7], v[12:13]
	v_fma_f64 v[14:15], v[6:7], v[10:11], -v[14:15]
	v_fma_f64 v[16:17], v[8:9], v[10:11], v[16:17]
	v_add_f64 v[34:35], v[34:35], v[14:15]
	v_add_f64 v[36:37], v[16:17], v[36:37]
	ds_read_b128 v[14:17], v24 offset:2816
	s_waitcnt lgkmcnt(0)
	v_mul_f64 v[38:39], v[8:9], v[16:17]
	v_fma_f64 v[38:39], v[6:7], v[14:15], -v[38:39]
	v_mul_f64 v[6:7], v[6:7], v[16:17]
	v_add_f64 v[28:29], v[28:29], v[38:39]
	v_fma_f64 v[6:7], v[8:9], v[14:15], v[6:7]
	v_add_f64 v[26:27], v[6:7], v[26:27]
	ds_read_b128 v[6:9], v25 offset:2128
	s_waitcnt lgkmcnt(0)
	v_mul_f64 v[38:39], v[8:9], v[12:13]
	v_mul_f64 v[12:13], v[6:7], v[12:13]
	v_fma_f64 v[38:39], v[6:7], v[10:11], -v[38:39]
	v_fma_f64 v[10:11], v[8:9], v[10:11], v[12:13]
	v_add_f64 v[18:19], v[18:19], v[38:39]
	v_add_f64 v[20:21], v[10:11], v[20:21]
	v_mul_f64 v[10:11], v[8:9], v[16:17]
	v_fma_f64 v[10:11], v[6:7], v[14:15], -v[10:11]
	v_mul_f64 v[6:7], v[6:7], v[16:17]
	v_add_f64 v[30:31], v[30:31], v[10:11]
	v_fma_f64 v[6:7], v[8:9], v[14:15], v[6:7]
	;; [unrolled: 31-line block ×3, first 2 shown]
	v_add_f64 v[44:45], v[6:7], v[32:33]
	ds_read_b128 v[6:9], v25 offset:112
	ds_read_b128 v[10:13], v24 offset:3584
	;; [unrolled: 1-line block ×3, first 2 shown]
	s_waitcnt lgkmcnt(1)
	v_mul_f64 v[14:15], v[8:9], v[12:13]
	s_waitcnt lgkmcnt(0)
	v_mul_f64 v[30:31], v[8:9], v[28:29]
	v_mul_f64 v[16:17], v[6:7], v[12:13]
	v_fma_f64 v[14:15], v[6:7], v[10:11], -v[14:15]
	v_fma_f64 v[30:31], v[6:7], v[26:27], -v[30:31]
	v_mul_f64 v[6:7], v[6:7], v[28:29]
	v_fma_f64 v[16:17], v[8:9], v[10:11], v[16:17]
	v_add_f64 v[14:15], v[34:35], v[14:15]
	v_fma_f64 v[8:9], v[8:9], v[26:27], v[6:7]
	v_add_f64 v[6:7], v[38:39], v[30:31]
	ds_read_b128 v[30:33], v25 offset:2160
	v_add_f64 v[16:17], v[16:17], v[36:37]
	s_waitcnt lgkmcnt(0)
	s_barrier
	v_mul_f64 v[34:35], v[32:33], v[12:13]
	v_mul_f64 v[12:13], v[30:31], v[12:13]
	v_add_f64 v[8:9], v[8:9], v[40:41]
	v_fma_f64 v[34:35], v[30:31], v[10:11], -v[34:35]
	v_fma_f64 v[10:11], v[32:33], v[10:11], v[12:13]
	v_mul_f64 v[12:13], v[30:31], v[28:29]
	v_add_f64 v[18:19], v[18:19], v[34:35]
	v_add_f64 v[20:21], v[10:11], v[20:21]
	v_mul_f64 v[10:11], v[32:33], v[28:29]
	v_fma_f64 v[10:11], v[30:31], v[26:27], -v[10:11]
	v_fma_f64 v[26:27], v[32:33], v[26:27], v[12:13]
	v_add_f64 v[12:13], v[42:43], v[10:11]
	v_add_f64 v[10:11], v[26:27], v[44:45]
	s_cbranch_scc0 .LBB719_2
	s_branch .LBB719_4
.LBB719_3:
	v_mov_b32_e32 v14, 0
	v_mov_b32_e32 v16, 0
	;; [unrolled: 1-line block ×16, first 2 shown]
.LBB719_4:
	s_load_dword s8, s[4:5], 0x60
	v_add_u32_e32 v4, s7, v1
	s_waitcnt lgkmcnt(0)
	v_mov_b32_e32 v3, s11
	v_add_u32_e32 v0, s6, v0
	v_mad_i64_i32 v[1:2], s[0:1], v4, s8, 0
	v_cmp_le_i32_e64 s[0:1], v4, v0
	v_lshlrev_b64 v[1:2], 4, v[1:2]
	v_add_co_u32_e32 v5, vcc, s10, v1
	v_addc_co_u32_e32 v22, vcc, v3, v2, vcc
	v_cmp_gt_i32_e32 vcc, s16, v0
	s_and_b64 s[0:1], s[0:1], vcc
	s_and_saveexec_b64 s[2:3], s[0:1]
	s_cbranch_execz .LBB719_6
; %bb.5:
	v_mul_f64 v[1:2], s[14:15], v[16:17]
	v_mul_f64 v[16:17], s[12:13], v[16:17]
	v_fma_f64 v[23:24], s[12:13], v[14:15], -v[1:2]
	v_fma_f64 v[25:26], s[14:15], v[14:15], v[16:17]
	v_ashrrev_i32_e32 v1, 31, v0
	v_lshlrev_b64 v[1:2], 4, v[0:1]
	v_add_co_u32_e64 v1, s[0:1], v5, v1
	v_addc_co_u32_e64 v2, s[0:1], v22, v2, s[0:1]
	flat_store_dwordx4 v[1:2], v[23:26]
.LBB719_6:
	s_or_b64 exec, exec, s[2:3]
	v_add_u32_e32 v2, 16, v0
	v_cmp_le_i32_e64 s[2:3], v4, v2
	v_cmp_gt_i32_e64 s[0:1], s16, v2
	s_and_b64 s[2:3], s[2:3], s[0:1]
	s_and_saveexec_b64 s[4:5], s[2:3]
	s_cbranch_execz .LBB719_8
; %bb.7:
	v_mul_f64 v[14:15], s[14:15], v[8:9]
	v_mul_f64 v[8:9], s[12:13], v[8:9]
	v_ashrrev_i32_e32 v3, 31, v2
	v_fma_f64 v[14:15], s[12:13], v[6:7], -v[14:15]
	v_fma_f64 v[16:17], s[14:15], v[6:7], v[8:9]
	v_lshlrev_b64 v[6:7], 4, v[2:3]
	v_add_co_u32_e64 v5, s[2:3], v5, v6
	v_addc_co_u32_e64 v6, s[2:3], v22, v7, s[2:3]
	flat_store_dwordx4 v[5:6], v[14:17]
.LBB719_8:
	s_or_b64 exec, exec, s[4:5]
	v_add_u32_e32 v3, 16, v4
	v_mad_i64_i32 v[4:5], s[2:3], v3, s8, 0
	v_mov_b32_e32 v1, s11
	v_lshlrev_b64 v[4:5], 4, v[4:5]
	v_add_co_u32_e64 v4, s[2:3], s10, v4
	v_addc_co_u32_e64 v5, s[2:3], v1, v5, s[2:3]
	v_cmp_le_i32_e64 s[2:3], v3, v0
	s_and_b64 s[4:5], s[2:3], vcc
	s_and_saveexec_b64 s[2:3], s[4:5]
	s_cbranch_execz .LBB719_10
; %bb.9:
	v_mul_f64 v[6:7], s[14:15], v[20:21]
	v_mul_f64 v[8:9], s[12:13], v[20:21]
	v_ashrrev_i32_e32 v1, 31, v0
	v_lshlrev_b64 v[0:1], 4, v[0:1]
	v_add_co_u32_e32 v0, vcc, v4, v0
	v_addc_co_u32_e32 v1, vcc, v5, v1, vcc
	v_fma_f64 v[6:7], s[12:13], v[18:19], -v[6:7]
	v_fma_f64 v[8:9], s[14:15], v[18:19], v[8:9]
	flat_store_dwordx4 v[0:1], v[6:9]
.LBB719_10:
	s_or_b64 exec, exec, s[2:3]
	v_cmp_le_i32_e32 vcc, v3, v2
	s_and_b64 s[0:1], vcc, s[0:1]
	s_and_saveexec_b64 s[2:3], s[0:1]
	s_cbranch_execz .LBB719_12
; %bb.11:
	v_mul_f64 v[0:1], s[14:15], v[10:11]
	v_mul_f64 v[8:9], s[12:13], v[10:11]
	v_ashrrev_i32_e32 v3, 31, v2
	v_fma_f64 v[6:7], s[12:13], v[12:13], -v[0:1]
	v_fma_f64 v[8:9], s[14:15], v[12:13], v[8:9]
	v_lshlrev_b64 v[0:1], 4, v[2:3]
	v_add_co_u32_e32 v0, vcc, v4, v0
	v_addc_co_u32_e32 v1, vcc, v5, v1, vcc
	flat_store_dwordx4 v[0:1], v[6:9]
.LBB719_12:
	s_endpgm
	.section	.rodata,"a",@progbits
	.p2align	6, 0x0
	.amdhsa_kernel _ZL37rocblas_syrkx_herkx_restricted_kernelIi19rocblas_complex_numIdELi16ELi32ELi8ELb1ELb0ELc84ELc76EKPKS1_KPS1_EviT_T0_PT8_S7_lSA_S7_lS8_PT9_S7_li
		.amdhsa_group_segment_fixed_size 8192
		.amdhsa_private_segment_fixed_size 0
		.amdhsa_kernarg_size 116
		.amdhsa_user_sgpr_count 6
		.amdhsa_user_sgpr_private_segment_buffer 1
		.amdhsa_user_sgpr_dispatch_ptr 0
		.amdhsa_user_sgpr_queue_ptr 0
		.amdhsa_user_sgpr_kernarg_segment_ptr 1
		.amdhsa_user_sgpr_dispatch_id 0
		.amdhsa_user_sgpr_flat_scratch_init 0
		.amdhsa_user_sgpr_private_segment_size 0
		.amdhsa_uses_dynamic_stack 0
		.amdhsa_system_sgpr_private_segment_wavefront_offset 0
		.amdhsa_system_sgpr_workgroup_id_x 1
		.amdhsa_system_sgpr_workgroup_id_y 1
		.amdhsa_system_sgpr_workgroup_id_z 1
		.amdhsa_system_sgpr_workgroup_info 0
		.amdhsa_system_vgpr_workitem_id 1
		.amdhsa_next_free_vgpr 52
		.amdhsa_next_free_sgpr 61
		.amdhsa_reserve_vcc 1
		.amdhsa_reserve_flat_scratch 0
		.amdhsa_float_round_mode_32 0
		.amdhsa_float_round_mode_16_64 0
		.amdhsa_float_denorm_mode_32 3
		.amdhsa_float_denorm_mode_16_64 3
		.amdhsa_dx10_clamp 1
		.amdhsa_ieee_mode 1
		.amdhsa_fp16_overflow 0
		.amdhsa_exception_fp_ieee_invalid_op 0
		.amdhsa_exception_fp_denorm_src 0
		.amdhsa_exception_fp_ieee_div_zero 0
		.amdhsa_exception_fp_ieee_overflow 0
		.amdhsa_exception_fp_ieee_underflow 0
		.amdhsa_exception_fp_ieee_inexact 0
		.amdhsa_exception_int_div_zero 0
	.end_amdhsa_kernel
	.section	.text._ZL37rocblas_syrkx_herkx_restricted_kernelIi19rocblas_complex_numIdELi16ELi32ELi8ELb1ELb0ELc84ELc76EKPKS1_KPS1_EviT_T0_PT8_S7_lSA_S7_lS8_PT9_S7_li,"axG",@progbits,_ZL37rocblas_syrkx_herkx_restricted_kernelIi19rocblas_complex_numIdELi16ELi32ELi8ELb1ELb0ELc84ELc76EKPKS1_KPS1_EviT_T0_PT8_S7_lSA_S7_lS8_PT9_S7_li,comdat
.Lfunc_end719:
	.size	_ZL37rocblas_syrkx_herkx_restricted_kernelIi19rocblas_complex_numIdELi16ELi32ELi8ELb1ELb0ELc84ELc76EKPKS1_KPS1_EviT_T0_PT8_S7_lSA_S7_lS8_PT9_S7_li, .Lfunc_end719-_ZL37rocblas_syrkx_herkx_restricted_kernelIi19rocblas_complex_numIdELi16ELi32ELi8ELb1ELb0ELc84ELc76EKPKS1_KPS1_EviT_T0_PT8_S7_lSA_S7_lS8_PT9_S7_li
                                        ; -- End function
	.set _ZL37rocblas_syrkx_herkx_restricted_kernelIi19rocblas_complex_numIdELi16ELi32ELi8ELb1ELb0ELc84ELc76EKPKS1_KPS1_EviT_T0_PT8_S7_lSA_S7_lS8_PT9_S7_li.num_vgpr, 52
	.set _ZL37rocblas_syrkx_herkx_restricted_kernelIi19rocblas_complex_numIdELi16ELi32ELi8ELb1ELb0ELc84ELc76EKPKS1_KPS1_EviT_T0_PT8_S7_lSA_S7_lS8_PT9_S7_li.num_agpr, 0
	.set _ZL37rocblas_syrkx_herkx_restricted_kernelIi19rocblas_complex_numIdELi16ELi32ELi8ELb1ELb0ELc84ELc76EKPKS1_KPS1_EviT_T0_PT8_S7_lSA_S7_lS8_PT9_S7_li.numbered_sgpr, 21
	.set _ZL37rocblas_syrkx_herkx_restricted_kernelIi19rocblas_complex_numIdELi16ELi32ELi8ELb1ELb0ELc84ELc76EKPKS1_KPS1_EviT_T0_PT8_S7_lSA_S7_lS8_PT9_S7_li.num_named_barrier, 0
	.set _ZL37rocblas_syrkx_herkx_restricted_kernelIi19rocblas_complex_numIdELi16ELi32ELi8ELb1ELb0ELc84ELc76EKPKS1_KPS1_EviT_T0_PT8_S7_lSA_S7_lS8_PT9_S7_li.private_seg_size, 0
	.set _ZL37rocblas_syrkx_herkx_restricted_kernelIi19rocblas_complex_numIdELi16ELi32ELi8ELb1ELb0ELc84ELc76EKPKS1_KPS1_EviT_T0_PT8_S7_lSA_S7_lS8_PT9_S7_li.uses_vcc, 1
	.set _ZL37rocblas_syrkx_herkx_restricted_kernelIi19rocblas_complex_numIdELi16ELi32ELi8ELb1ELb0ELc84ELc76EKPKS1_KPS1_EviT_T0_PT8_S7_lSA_S7_lS8_PT9_S7_li.uses_flat_scratch, 0
	.set _ZL37rocblas_syrkx_herkx_restricted_kernelIi19rocblas_complex_numIdELi16ELi32ELi8ELb1ELb0ELc84ELc76EKPKS1_KPS1_EviT_T0_PT8_S7_lSA_S7_lS8_PT9_S7_li.has_dyn_sized_stack, 0
	.set _ZL37rocblas_syrkx_herkx_restricted_kernelIi19rocblas_complex_numIdELi16ELi32ELi8ELb1ELb0ELc84ELc76EKPKS1_KPS1_EviT_T0_PT8_S7_lSA_S7_lS8_PT9_S7_li.has_recursion, 0
	.set _ZL37rocblas_syrkx_herkx_restricted_kernelIi19rocblas_complex_numIdELi16ELi32ELi8ELb1ELb0ELc84ELc76EKPKS1_KPS1_EviT_T0_PT8_S7_lSA_S7_lS8_PT9_S7_li.has_indirect_call, 0
	.section	.AMDGPU.csdata,"",@progbits
; Kernel info:
; codeLenInByte = 2848
; TotalNumSgprs: 25
; NumVgprs: 52
; ScratchSize: 0
; MemoryBound: 0
; FloatMode: 240
; IeeeMode: 1
; LDSByteSize: 8192 bytes/workgroup (compile time only)
; SGPRBlocks: 8
; VGPRBlocks: 12
; NumSGPRsForWavesPerEU: 65
; NumVGPRsForWavesPerEU: 52
; Occupancy: 4
; WaveLimiterHint : 1
; COMPUTE_PGM_RSRC2:SCRATCH_EN: 0
; COMPUTE_PGM_RSRC2:USER_SGPR: 6
; COMPUTE_PGM_RSRC2:TRAP_HANDLER: 0
; COMPUTE_PGM_RSRC2:TGID_X_EN: 1
; COMPUTE_PGM_RSRC2:TGID_Y_EN: 1
; COMPUTE_PGM_RSRC2:TGID_Z_EN: 1
; COMPUTE_PGM_RSRC2:TIDIG_COMP_CNT: 1
	.section	.text._ZL37rocblas_syrkx_herkx_restricted_kernelIi19rocblas_complex_numIdELi16ELi32ELi8ELb1ELb0ELc67ELc76EKPKS1_KPS1_EviT_T0_PT8_S7_lSA_S7_lS8_PT9_S7_li,"axG",@progbits,_ZL37rocblas_syrkx_herkx_restricted_kernelIi19rocblas_complex_numIdELi16ELi32ELi8ELb1ELb0ELc67ELc76EKPKS1_KPS1_EviT_T0_PT8_S7_lSA_S7_lS8_PT9_S7_li,comdat
	.globl	_ZL37rocblas_syrkx_herkx_restricted_kernelIi19rocblas_complex_numIdELi16ELi32ELi8ELb1ELb0ELc67ELc76EKPKS1_KPS1_EviT_T0_PT8_S7_lSA_S7_lS8_PT9_S7_li ; -- Begin function _ZL37rocblas_syrkx_herkx_restricted_kernelIi19rocblas_complex_numIdELi16ELi32ELi8ELb1ELb0ELc67ELc76EKPKS1_KPS1_EviT_T0_PT8_S7_lSA_S7_lS8_PT9_S7_li
	.p2align	8
	.type	_ZL37rocblas_syrkx_herkx_restricted_kernelIi19rocblas_complex_numIdELi16ELi32ELi8ELb1ELb0ELc67ELc76EKPKS1_KPS1_EviT_T0_PT8_S7_lSA_S7_lS8_PT9_S7_li,@function
_ZL37rocblas_syrkx_herkx_restricted_kernelIi19rocblas_complex_numIdELi16ELi32ELi8ELb1ELb0ELc67ELc76EKPKS1_KPS1_EviT_T0_PT8_S7_lSA_S7_lS8_PT9_S7_li: ; @_ZL37rocblas_syrkx_herkx_restricted_kernelIi19rocblas_complex_numIdELi16ELi32ELi8ELb1ELb0ELc67ELc76EKPKS1_KPS1_EviT_T0_PT8_S7_lSA_S7_lS8_PT9_S7_li
; %bb.0:
	s_load_dwordx2 s[0:1], s[4:5], 0x18
	s_load_dwordx2 s[10:11], s[4:5], 0x58
	;; [unrolled: 1-line block ×3, first 2 shown]
	s_load_dwordx4 s[12:15], s[4:5], 0x8
	s_mov_b32 s9, 0
	s_lshl_b64 s[2:3], s[8:9], 3
	s_waitcnt lgkmcnt(0)
	s_add_u32 s10, s10, s2
	s_addc_u32 s11, s11, s3
	s_load_dwordx2 s[10:11], s[10:11], 0x0
	s_lshl_b32 s6, s6, 5
	s_lshl_b32 s7, s7, 5
	s_cmp_lt_i32 s17, 1
	s_cbranch_scc1 .LBB720_3
; %bb.1:
	s_load_dword s8, s[4:5], 0x20
	s_load_dwordx2 s[18:19], s[4:5], 0x30
	s_load_dword s20, s[4:5], 0x38
	s_add_u32 s0, s0, s2
	v_lshl_add_u32 v3, v1, 4, v0
	s_addc_u32 s1, s1, s3
	v_lshrrev_b32_e32 v8, 3, v3
	s_waitcnt lgkmcnt(0)
	s_add_u32 s2, s18, s2
	v_lshrrev_b32_e32 v2, 5, v3
	v_and_b32_e32 v4, 7, v0
	v_and_b32_e32 v9, 31, v3
	v_add_u32_e32 v3, s7, v8
	v_mov_b32_e32 v5, 0
	s_addc_u32 s3, s19, s3
	v_mad_i64_i32 v[6:7], s[18:19], s20, v3, v[4:5]
	v_mov_b32_e32 v3, v5
	v_lshlrev_b32_e32 v5, 4, v9
	v_lshl_or_b32 v22, v2, 9, v5
	v_add_u32_e32 v5, s6, v9
	v_mad_i64_i32 v[2:3], s[18:19], s8, v5, v[2:3]
	s_load_dwordx2 s[0:1], s[0:1], 0x0
	v_lshlrev_b32_e32 v4, 4, v4
	s_load_dwordx2 s[2:3], s[2:3], 0x0
	v_lshlrev_b64 v[2:3], 4, v[2:3]
	v_lshl_or_b32 v4, v8, 7, v4
	v_add_u32_e32 v23, 0x1000, v4
	s_waitcnt lgkmcnt(0)
	v_mov_b32_e32 v4, s1
	v_add_co_u32_e32 v2, vcc, s0, v2
	v_addc_co_u32_e32 v3, vcc, v4, v3, vcc
	v_lshlrev_b64 v[4:5], 4, v[6:7]
	v_mov_b32_e32 v6, s3
	v_add_co_u32_e32 v4, vcc, s2, v4
	v_mov_b32_e32 v25, 0x1000
	v_addc_co_u32_e32 v5, vcc, v6, v5, vcc
	v_mov_b32_e32 v10, 0
	v_mov_b32_e32 v12, 0
	;; [unrolled: 1-line block ×8, first 2 shown]
	v_lshlrev_b32_e32 v24, 4, v0
	v_mov_b32_e32 v11, 0
	v_mov_b32_e32 v13, 0
	;; [unrolled: 1-line block ×8, first 2 shown]
	v_lshl_add_u32 v25, v1, 7, v25
.LBB720_2:                              ; =>This Inner Loop Header: Depth=1
	flat_load_dwordx4 v[26:29], v[2:3]
	v_add_co_u32_e32 v2, vcc, 0x80, v2
	v_addc_co_u32_e32 v3, vcc, 0, v3, vcc
	s_add_i32 s9, s9, 8
	s_cmp_ge_i32 s9, s17
	s_waitcnt vmcnt(0) lgkmcnt(0)
	ds_write_b128 v22, v[26:29]
	flat_load_dwordx4 v[26:29], v[4:5]
	v_add_co_u32_e32 v4, vcc, 0x80, v4
	v_addc_co_u32_e32 v5, vcc, 0, v5, vcc
	s_waitcnt vmcnt(0) lgkmcnt(0)
	ds_write_b128 v23, v[26:29]
	s_waitcnt lgkmcnt(0)
	s_barrier
	ds_read_b128 v[26:29], v25
	ds_read_b128 v[30:33], v25 offset:16
	ds_read_b128 v[34:37], v25 offset:32
	ds_read_b128 v[38:41], v25 offset:48
	ds_read_b128 v[42:45], v24
	s_waitcnt lgkmcnt(0)
	v_mul_f64 v[46:47], v[28:29], v[44:45]
	v_mul_f64 v[48:49], v[26:27], v[44:45]
	v_fma_f64 v[46:47], v[26:27], v[42:43], -v[46:47]
	v_fma_f64 v[48:49], v[28:29], v[42:43], v[48:49]
	v_add_f64 v[46:47], v[14:15], v[46:47]
	v_add_f64 v[48:49], v[48:49], v[16:17]
	ds_read_b128 v[14:17], v24 offset:256
	s_waitcnt lgkmcnt(0)
	v_mul_f64 v[50:51], v[28:29], v[16:17]
	v_fma_f64 v[50:51], v[26:27], v[14:15], -v[50:51]
	v_mul_f64 v[26:27], v[26:27], v[16:17]
	v_fma_f64 v[26:27], v[28:29], v[14:15], v[26:27]
	v_add_f64 v[28:29], v[6:7], v[50:51]
	v_add_f64 v[26:27], v[26:27], v[8:9]
	ds_read_b128 v[6:9], v25 offset:2048
	s_waitcnt lgkmcnt(0)
	v_mul_f64 v[50:51], v[8:9], v[44:45]
	v_mul_f64 v[44:45], v[6:7], v[44:45]
	v_fma_f64 v[50:51], v[6:7], v[42:43], -v[50:51]
	v_fma_f64 v[42:43], v[8:9], v[42:43], v[44:45]
	v_add_f64 v[18:19], v[18:19], v[50:51]
	v_add_f64 v[20:21], v[42:43], v[20:21]
	v_mul_f64 v[42:43], v[8:9], v[16:17]
	v_fma_f64 v[42:43], v[6:7], v[14:15], -v[42:43]
	v_mul_f64 v[6:7], v[6:7], v[16:17]
	v_add_f64 v[42:43], v[12:13], v[42:43]
	v_fma_f64 v[6:7], v[8:9], v[14:15], v[6:7]
	v_add_f64 v[44:45], v[6:7], v[10:11]
	ds_read_b128 v[6:9], v24 offset:512
	s_waitcnt lgkmcnt(0)
	v_mul_f64 v[10:11], v[32:33], v[8:9]
	v_mul_f64 v[12:13], v[30:31], v[8:9]
	v_fma_f64 v[10:11], v[30:31], v[6:7], -v[10:11]
	v_fma_f64 v[12:13], v[32:33], v[6:7], v[12:13]
	v_add_f64 v[46:47], v[46:47], v[10:11]
	v_add_f64 v[48:49], v[12:13], v[48:49]
	ds_read_b128 v[10:13], v24 offset:768
	s_waitcnt lgkmcnt(0)
	v_mul_f64 v[14:15], v[32:33], v[12:13]
	v_mul_f64 v[16:17], v[30:31], v[12:13]
	v_fma_f64 v[14:15], v[30:31], v[10:11], -v[14:15]
	v_fma_f64 v[16:17], v[32:33], v[10:11], v[16:17]
	v_add_f64 v[28:29], v[28:29], v[14:15]
	v_add_f64 v[26:27], v[16:17], v[26:27]
	ds_read_b128 v[14:17], v25 offset:2064
	s_waitcnt lgkmcnt(0)
	v_mul_f64 v[30:31], v[16:17], v[8:9]
	v_mul_f64 v[8:9], v[14:15], v[8:9]
	v_fma_f64 v[30:31], v[14:15], v[6:7], -v[30:31]
	v_fma_f64 v[6:7], v[16:17], v[6:7], v[8:9]
	v_mul_f64 v[8:9], v[14:15], v[12:13]
	v_add_f64 v[18:19], v[18:19], v[30:31]
	v_add_f64 v[20:21], v[6:7], v[20:21]
	v_mul_f64 v[6:7], v[16:17], v[12:13]
	v_fma_f64 v[8:9], v[16:17], v[10:11], v[8:9]
	v_fma_f64 v[6:7], v[14:15], v[10:11], -v[6:7]
	v_add_f64 v[32:33], v[8:9], v[44:45]
	v_add_f64 v[30:31], v[42:43], v[6:7]
	ds_read_b128 v[6:9], v24 offset:1024
	s_waitcnt lgkmcnt(0)
	v_mul_f64 v[10:11], v[36:37], v[8:9]
	v_mul_f64 v[12:13], v[34:35], v[8:9]
	v_fma_f64 v[10:11], v[34:35], v[6:7], -v[10:11]
	v_fma_f64 v[12:13], v[36:37], v[6:7], v[12:13]
	v_add_f64 v[42:43], v[46:47], v[10:11]
	v_add_f64 v[44:45], v[12:13], v[48:49]
	ds_read_b128 v[10:13], v24 offset:1280
	s_waitcnt lgkmcnt(0)
	v_mul_f64 v[14:15], v[36:37], v[12:13]
	v_mul_f64 v[16:17], v[34:35], v[12:13]
	v_fma_f64 v[14:15], v[34:35], v[10:11], -v[14:15]
	v_fma_f64 v[16:17], v[36:37], v[10:11], v[16:17]
	v_add_f64 v[28:29], v[28:29], v[14:15]
	v_add_f64 v[26:27], v[16:17], v[26:27]
	ds_read_b128 v[14:17], v25 offset:2080
	s_waitcnt lgkmcnt(0)
	v_mul_f64 v[34:35], v[16:17], v[8:9]
	v_mul_f64 v[8:9], v[14:15], v[8:9]
	v_fma_f64 v[34:35], v[14:15], v[6:7], -v[34:35]
	v_fma_f64 v[6:7], v[16:17], v[6:7], v[8:9]
	v_mul_f64 v[8:9], v[14:15], v[12:13]
	v_add_f64 v[18:19], v[18:19], v[34:35]
	v_add_f64 v[20:21], v[6:7], v[20:21]
	v_mul_f64 v[6:7], v[16:17], v[12:13]
	v_fma_f64 v[8:9], v[16:17], v[10:11], v[8:9]
	v_fma_f64 v[6:7], v[14:15], v[10:11], -v[6:7]
	v_add_f64 v[32:33], v[8:9], v[32:33]
	;; [unrolled: 30-line block ×3, first 2 shown]
	v_add_f64 v[30:31], v[30:31], v[6:7]
	ds_read_b128 v[6:9], v25 offset:64
	ds_read_b128 v[10:13], v24 offset:2048
	s_waitcnt lgkmcnt(0)
	v_mul_f64 v[14:15], v[8:9], v[12:13]
	v_mul_f64 v[16:17], v[6:7], v[12:13]
	v_fma_f64 v[14:15], v[6:7], v[10:11], -v[14:15]
	v_fma_f64 v[16:17], v[8:9], v[10:11], v[16:17]
	v_add_f64 v[34:35], v[34:35], v[14:15]
	v_add_f64 v[36:37], v[16:17], v[36:37]
	ds_read_b128 v[14:17], v24 offset:2304
	s_waitcnt lgkmcnt(0)
	v_mul_f64 v[38:39], v[8:9], v[16:17]
	v_fma_f64 v[38:39], v[6:7], v[14:15], -v[38:39]
	v_mul_f64 v[6:7], v[6:7], v[16:17]
	v_add_f64 v[28:29], v[28:29], v[38:39]
	v_fma_f64 v[6:7], v[8:9], v[14:15], v[6:7]
	v_add_f64 v[26:27], v[6:7], v[26:27]
	ds_read_b128 v[6:9], v25 offset:2112
	s_waitcnt lgkmcnt(0)
	v_mul_f64 v[38:39], v[8:9], v[12:13]
	v_mul_f64 v[12:13], v[6:7], v[12:13]
	v_fma_f64 v[38:39], v[6:7], v[10:11], -v[38:39]
	v_fma_f64 v[10:11], v[8:9], v[10:11], v[12:13]
	v_add_f64 v[18:19], v[18:19], v[38:39]
	v_add_f64 v[20:21], v[10:11], v[20:21]
	v_mul_f64 v[10:11], v[8:9], v[16:17]
	v_fma_f64 v[10:11], v[6:7], v[14:15], -v[10:11]
	v_mul_f64 v[6:7], v[6:7], v[16:17]
	v_add_f64 v[30:31], v[30:31], v[10:11]
	v_fma_f64 v[6:7], v[8:9], v[14:15], v[6:7]
	v_add_f64 v[32:33], v[6:7], v[32:33]
	ds_read_b128 v[6:9], v25 offset:80
	ds_read_b128 v[10:13], v24 offset:2560
	s_waitcnt lgkmcnt(0)
	v_mul_f64 v[14:15], v[8:9], v[12:13]
	v_mul_f64 v[16:17], v[6:7], v[12:13]
	v_fma_f64 v[14:15], v[6:7], v[10:11], -v[14:15]
	v_fma_f64 v[16:17], v[8:9], v[10:11], v[16:17]
	v_add_f64 v[34:35], v[34:35], v[14:15]
	v_add_f64 v[36:37], v[16:17], v[36:37]
	ds_read_b128 v[14:17], v24 offset:2816
	s_waitcnt lgkmcnt(0)
	v_mul_f64 v[38:39], v[8:9], v[16:17]
	v_fma_f64 v[38:39], v[6:7], v[14:15], -v[38:39]
	v_mul_f64 v[6:7], v[6:7], v[16:17]
	v_add_f64 v[28:29], v[28:29], v[38:39]
	v_fma_f64 v[6:7], v[8:9], v[14:15], v[6:7]
	v_add_f64 v[26:27], v[6:7], v[26:27]
	ds_read_b128 v[6:9], v25 offset:2128
	s_waitcnt lgkmcnt(0)
	v_mul_f64 v[38:39], v[8:9], v[12:13]
	v_mul_f64 v[12:13], v[6:7], v[12:13]
	v_fma_f64 v[38:39], v[6:7], v[10:11], -v[38:39]
	v_fma_f64 v[10:11], v[8:9], v[10:11], v[12:13]
	v_add_f64 v[18:19], v[18:19], v[38:39]
	v_add_f64 v[20:21], v[10:11], v[20:21]
	v_mul_f64 v[10:11], v[8:9], v[16:17]
	v_fma_f64 v[10:11], v[6:7], v[14:15], -v[10:11]
	v_mul_f64 v[6:7], v[6:7], v[16:17]
	v_add_f64 v[30:31], v[30:31], v[10:11]
	v_fma_f64 v[6:7], v[8:9], v[14:15], v[6:7]
	;; [unrolled: 31-line block ×3, first 2 shown]
	v_add_f64 v[44:45], v[6:7], v[32:33]
	ds_read_b128 v[6:9], v25 offset:112
	ds_read_b128 v[10:13], v24 offset:3584
	;; [unrolled: 1-line block ×3, first 2 shown]
	s_waitcnt lgkmcnt(1)
	v_mul_f64 v[14:15], v[8:9], v[12:13]
	s_waitcnt lgkmcnt(0)
	v_mul_f64 v[30:31], v[8:9], v[28:29]
	v_mul_f64 v[16:17], v[6:7], v[12:13]
	v_fma_f64 v[14:15], v[6:7], v[10:11], -v[14:15]
	v_fma_f64 v[30:31], v[6:7], v[26:27], -v[30:31]
	v_mul_f64 v[6:7], v[6:7], v[28:29]
	v_fma_f64 v[16:17], v[8:9], v[10:11], v[16:17]
	v_add_f64 v[14:15], v[34:35], v[14:15]
	v_fma_f64 v[8:9], v[8:9], v[26:27], v[6:7]
	v_add_f64 v[6:7], v[38:39], v[30:31]
	ds_read_b128 v[30:33], v25 offset:2160
	v_add_f64 v[16:17], v[16:17], v[36:37]
	s_waitcnt lgkmcnt(0)
	s_barrier
	v_mul_f64 v[34:35], v[32:33], v[12:13]
	v_mul_f64 v[12:13], v[30:31], v[12:13]
	v_add_f64 v[8:9], v[8:9], v[40:41]
	v_fma_f64 v[34:35], v[30:31], v[10:11], -v[34:35]
	v_fma_f64 v[10:11], v[32:33], v[10:11], v[12:13]
	v_mul_f64 v[12:13], v[30:31], v[28:29]
	v_add_f64 v[18:19], v[18:19], v[34:35]
	v_add_f64 v[20:21], v[10:11], v[20:21]
	v_mul_f64 v[10:11], v[32:33], v[28:29]
	v_fma_f64 v[10:11], v[30:31], v[26:27], -v[10:11]
	v_fma_f64 v[26:27], v[32:33], v[26:27], v[12:13]
	v_add_f64 v[12:13], v[42:43], v[10:11]
	v_add_f64 v[10:11], v[26:27], v[44:45]
	s_cbranch_scc0 .LBB720_2
	s_branch .LBB720_4
.LBB720_3:
	v_mov_b32_e32 v14, 0
	v_mov_b32_e32 v16, 0
	;; [unrolled: 1-line block ×16, first 2 shown]
.LBB720_4:
	s_load_dword s8, s[4:5], 0x60
	v_add_u32_e32 v4, s7, v1
	s_waitcnt lgkmcnt(0)
	v_mov_b32_e32 v3, s11
	v_add_u32_e32 v0, s6, v0
	v_mad_i64_i32 v[1:2], s[0:1], v4, s8, 0
	v_cmp_le_i32_e64 s[0:1], v4, v0
	v_lshlrev_b64 v[1:2], 4, v[1:2]
	v_add_co_u32_e32 v5, vcc, s10, v1
	v_addc_co_u32_e32 v22, vcc, v3, v2, vcc
	v_cmp_gt_i32_e32 vcc, s16, v0
	s_and_b64 s[0:1], s[0:1], vcc
	s_and_saveexec_b64 s[2:3], s[0:1]
	s_cbranch_execz .LBB720_6
; %bb.5:
	v_mul_f64 v[1:2], s[14:15], v[16:17]
	v_mul_f64 v[16:17], s[12:13], v[16:17]
	v_fma_f64 v[23:24], s[12:13], v[14:15], -v[1:2]
	v_fma_f64 v[25:26], s[14:15], v[14:15], v[16:17]
	v_ashrrev_i32_e32 v1, 31, v0
	v_lshlrev_b64 v[1:2], 4, v[0:1]
	v_add_co_u32_e64 v1, s[0:1], v5, v1
	v_addc_co_u32_e64 v2, s[0:1], v22, v2, s[0:1]
	flat_store_dwordx4 v[1:2], v[23:26]
.LBB720_6:
	s_or_b64 exec, exec, s[2:3]
	v_add_u32_e32 v2, 16, v0
	v_cmp_le_i32_e64 s[2:3], v4, v2
	v_cmp_gt_i32_e64 s[0:1], s16, v2
	s_and_b64 s[2:3], s[2:3], s[0:1]
	s_and_saveexec_b64 s[4:5], s[2:3]
	s_cbranch_execz .LBB720_8
; %bb.7:
	v_mul_f64 v[14:15], s[14:15], v[8:9]
	v_mul_f64 v[8:9], s[12:13], v[8:9]
	v_ashrrev_i32_e32 v3, 31, v2
	v_fma_f64 v[14:15], s[12:13], v[6:7], -v[14:15]
	v_fma_f64 v[16:17], s[14:15], v[6:7], v[8:9]
	v_lshlrev_b64 v[6:7], 4, v[2:3]
	v_add_co_u32_e64 v5, s[2:3], v5, v6
	v_addc_co_u32_e64 v6, s[2:3], v22, v7, s[2:3]
	flat_store_dwordx4 v[5:6], v[14:17]
.LBB720_8:
	s_or_b64 exec, exec, s[4:5]
	v_add_u32_e32 v3, 16, v4
	v_mad_i64_i32 v[4:5], s[2:3], v3, s8, 0
	v_mov_b32_e32 v1, s11
	v_lshlrev_b64 v[4:5], 4, v[4:5]
	v_add_co_u32_e64 v4, s[2:3], s10, v4
	v_addc_co_u32_e64 v5, s[2:3], v1, v5, s[2:3]
	v_cmp_le_i32_e64 s[2:3], v3, v0
	s_and_b64 s[4:5], s[2:3], vcc
	s_and_saveexec_b64 s[2:3], s[4:5]
	s_cbranch_execz .LBB720_10
; %bb.9:
	v_mul_f64 v[6:7], s[14:15], v[20:21]
	v_mul_f64 v[8:9], s[12:13], v[20:21]
	v_ashrrev_i32_e32 v1, 31, v0
	v_lshlrev_b64 v[0:1], 4, v[0:1]
	v_add_co_u32_e32 v0, vcc, v4, v0
	v_addc_co_u32_e32 v1, vcc, v5, v1, vcc
	v_fma_f64 v[6:7], s[12:13], v[18:19], -v[6:7]
	v_fma_f64 v[8:9], s[14:15], v[18:19], v[8:9]
	flat_store_dwordx4 v[0:1], v[6:9]
.LBB720_10:
	s_or_b64 exec, exec, s[2:3]
	v_cmp_le_i32_e32 vcc, v3, v2
	s_and_b64 s[0:1], vcc, s[0:1]
	s_and_saveexec_b64 s[2:3], s[0:1]
	s_cbranch_execz .LBB720_12
; %bb.11:
	v_mul_f64 v[0:1], s[14:15], v[10:11]
	v_mul_f64 v[8:9], s[12:13], v[10:11]
	v_ashrrev_i32_e32 v3, 31, v2
	v_fma_f64 v[6:7], s[12:13], v[12:13], -v[0:1]
	v_fma_f64 v[8:9], s[14:15], v[12:13], v[8:9]
	v_lshlrev_b64 v[0:1], 4, v[2:3]
	v_add_co_u32_e32 v0, vcc, v4, v0
	v_addc_co_u32_e32 v1, vcc, v5, v1, vcc
	flat_store_dwordx4 v[0:1], v[6:9]
.LBB720_12:
	s_endpgm
	.section	.rodata,"a",@progbits
	.p2align	6, 0x0
	.amdhsa_kernel _ZL37rocblas_syrkx_herkx_restricted_kernelIi19rocblas_complex_numIdELi16ELi32ELi8ELb1ELb0ELc67ELc76EKPKS1_KPS1_EviT_T0_PT8_S7_lSA_S7_lS8_PT9_S7_li
		.amdhsa_group_segment_fixed_size 8192
		.amdhsa_private_segment_fixed_size 0
		.amdhsa_kernarg_size 116
		.amdhsa_user_sgpr_count 6
		.amdhsa_user_sgpr_private_segment_buffer 1
		.amdhsa_user_sgpr_dispatch_ptr 0
		.amdhsa_user_sgpr_queue_ptr 0
		.amdhsa_user_sgpr_kernarg_segment_ptr 1
		.amdhsa_user_sgpr_dispatch_id 0
		.amdhsa_user_sgpr_flat_scratch_init 0
		.amdhsa_user_sgpr_private_segment_size 0
		.amdhsa_uses_dynamic_stack 0
		.amdhsa_system_sgpr_private_segment_wavefront_offset 0
		.amdhsa_system_sgpr_workgroup_id_x 1
		.amdhsa_system_sgpr_workgroup_id_y 1
		.amdhsa_system_sgpr_workgroup_id_z 1
		.amdhsa_system_sgpr_workgroup_info 0
		.amdhsa_system_vgpr_workitem_id 1
		.amdhsa_next_free_vgpr 52
		.amdhsa_next_free_sgpr 61
		.amdhsa_reserve_vcc 1
		.amdhsa_reserve_flat_scratch 0
		.amdhsa_float_round_mode_32 0
		.amdhsa_float_round_mode_16_64 0
		.amdhsa_float_denorm_mode_32 3
		.amdhsa_float_denorm_mode_16_64 3
		.amdhsa_dx10_clamp 1
		.amdhsa_ieee_mode 1
		.amdhsa_fp16_overflow 0
		.amdhsa_exception_fp_ieee_invalid_op 0
		.amdhsa_exception_fp_denorm_src 0
		.amdhsa_exception_fp_ieee_div_zero 0
		.amdhsa_exception_fp_ieee_overflow 0
		.amdhsa_exception_fp_ieee_underflow 0
		.amdhsa_exception_fp_ieee_inexact 0
		.amdhsa_exception_int_div_zero 0
	.end_amdhsa_kernel
	.section	.text._ZL37rocblas_syrkx_herkx_restricted_kernelIi19rocblas_complex_numIdELi16ELi32ELi8ELb1ELb0ELc67ELc76EKPKS1_KPS1_EviT_T0_PT8_S7_lSA_S7_lS8_PT9_S7_li,"axG",@progbits,_ZL37rocblas_syrkx_herkx_restricted_kernelIi19rocblas_complex_numIdELi16ELi32ELi8ELb1ELb0ELc67ELc76EKPKS1_KPS1_EviT_T0_PT8_S7_lSA_S7_lS8_PT9_S7_li,comdat
.Lfunc_end720:
	.size	_ZL37rocblas_syrkx_herkx_restricted_kernelIi19rocblas_complex_numIdELi16ELi32ELi8ELb1ELb0ELc67ELc76EKPKS1_KPS1_EviT_T0_PT8_S7_lSA_S7_lS8_PT9_S7_li, .Lfunc_end720-_ZL37rocblas_syrkx_herkx_restricted_kernelIi19rocblas_complex_numIdELi16ELi32ELi8ELb1ELb0ELc67ELc76EKPKS1_KPS1_EviT_T0_PT8_S7_lSA_S7_lS8_PT9_S7_li
                                        ; -- End function
	.set _ZL37rocblas_syrkx_herkx_restricted_kernelIi19rocblas_complex_numIdELi16ELi32ELi8ELb1ELb0ELc67ELc76EKPKS1_KPS1_EviT_T0_PT8_S7_lSA_S7_lS8_PT9_S7_li.num_vgpr, 52
	.set _ZL37rocblas_syrkx_herkx_restricted_kernelIi19rocblas_complex_numIdELi16ELi32ELi8ELb1ELb0ELc67ELc76EKPKS1_KPS1_EviT_T0_PT8_S7_lSA_S7_lS8_PT9_S7_li.num_agpr, 0
	.set _ZL37rocblas_syrkx_herkx_restricted_kernelIi19rocblas_complex_numIdELi16ELi32ELi8ELb1ELb0ELc67ELc76EKPKS1_KPS1_EviT_T0_PT8_S7_lSA_S7_lS8_PT9_S7_li.numbered_sgpr, 21
	.set _ZL37rocblas_syrkx_herkx_restricted_kernelIi19rocblas_complex_numIdELi16ELi32ELi8ELb1ELb0ELc67ELc76EKPKS1_KPS1_EviT_T0_PT8_S7_lSA_S7_lS8_PT9_S7_li.num_named_barrier, 0
	.set _ZL37rocblas_syrkx_herkx_restricted_kernelIi19rocblas_complex_numIdELi16ELi32ELi8ELb1ELb0ELc67ELc76EKPKS1_KPS1_EviT_T0_PT8_S7_lSA_S7_lS8_PT9_S7_li.private_seg_size, 0
	.set _ZL37rocblas_syrkx_herkx_restricted_kernelIi19rocblas_complex_numIdELi16ELi32ELi8ELb1ELb0ELc67ELc76EKPKS1_KPS1_EviT_T0_PT8_S7_lSA_S7_lS8_PT9_S7_li.uses_vcc, 1
	.set _ZL37rocblas_syrkx_herkx_restricted_kernelIi19rocblas_complex_numIdELi16ELi32ELi8ELb1ELb0ELc67ELc76EKPKS1_KPS1_EviT_T0_PT8_S7_lSA_S7_lS8_PT9_S7_li.uses_flat_scratch, 0
	.set _ZL37rocblas_syrkx_herkx_restricted_kernelIi19rocblas_complex_numIdELi16ELi32ELi8ELb1ELb0ELc67ELc76EKPKS1_KPS1_EviT_T0_PT8_S7_lSA_S7_lS8_PT9_S7_li.has_dyn_sized_stack, 0
	.set _ZL37rocblas_syrkx_herkx_restricted_kernelIi19rocblas_complex_numIdELi16ELi32ELi8ELb1ELb0ELc67ELc76EKPKS1_KPS1_EviT_T0_PT8_S7_lSA_S7_lS8_PT9_S7_li.has_recursion, 0
	.set _ZL37rocblas_syrkx_herkx_restricted_kernelIi19rocblas_complex_numIdELi16ELi32ELi8ELb1ELb0ELc67ELc76EKPKS1_KPS1_EviT_T0_PT8_S7_lSA_S7_lS8_PT9_S7_li.has_indirect_call, 0
	.section	.AMDGPU.csdata,"",@progbits
; Kernel info:
; codeLenInByte = 2848
; TotalNumSgprs: 25
; NumVgprs: 52
; ScratchSize: 0
; MemoryBound: 0
; FloatMode: 240
; IeeeMode: 1
; LDSByteSize: 8192 bytes/workgroup (compile time only)
; SGPRBlocks: 8
; VGPRBlocks: 12
; NumSGPRsForWavesPerEU: 65
; NumVGPRsForWavesPerEU: 52
; Occupancy: 4
; WaveLimiterHint : 1
; COMPUTE_PGM_RSRC2:SCRATCH_EN: 0
; COMPUTE_PGM_RSRC2:USER_SGPR: 6
; COMPUTE_PGM_RSRC2:TRAP_HANDLER: 0
; COMPUTE_PGM_RSRC2:TGID_X_EN: 1
; COMPUTE_PGM_RSRC2:TGID_Y_EN: 1
; COMPUTE_PGM_RSRC2:TGID_Z_EN: 1
; COMPUTE_PGM_RSRC2:TIDIG_COMP_CNT: 1
	.section	.text._ZL37rocblas_syrkx_herkx_restricted_kernelIi19rocblas_complex_numIdELi16ELi32ELi8ELb1ELb0ELc78ELc76EKPKS1_KPS1_EviT_T0_PT8_S7_lSA_S7_lS8_PT9_S7_li,"axG",@progbits,_ZL37rocblas_syrkx_herkx_restricted_kernelIi19rocblas_complex_numIdELi16ELi32ELi8ELb1ELb0ELc78ELc76EKPKS1_KPS1_EviT_T0_PT8_S7_lSA_S7_lS8_PT9_S7_li,comdat
	.globl	_ZL37rocblas_syrkx_herkx_restricted_kernelIi19rocblas_complex_numIdELi16ELi32ELi8ELb1ELb0ELc78ELc76EKPKS1_KPS1_EviT_T0_PT8_S7_lSA_S7_lS8_PT9_S7_li ; -- Begin function _ZL37rocblas_syrkx_herkx_restricted_kernelIi19rocblas_complex_numIdELi16ELi32ELi8ELb1ELb0ELc78ELc76EKPKS1_KPS1_EviT_T0_PT8_S7_lSA_S7_lS8_PT9_S7_li
	.p2align	8
	.type	_ZL37rocblas_syrkx_herkx_restricted_kernelIi19rocblas_complex_numIdELi16ELi32ELi8ELb1ELb0ELc78ELc76EKPKS1_KPS1_EviT_T0_PT8_S7_lSA_S7_lS8_PT9_S7_li,@function
_ZL37rocblas_syrkx_herkx_restricted_kernelIi19rocblas_complex_numIdELi16ELi32ELi8ELb1ELb0ELc78ELc76EKPKS1_KPS1_EviT_T0_PT8_S7_lSA_S7_lS8_PT9_S7_li: ; @_ZL37rocblas_syrkx_herkx_restricted_kernelIi19rocblas_complex_numIdELi16ELi32ELi8ELb1ELb0ELc78ELc76EKPKS1_KPS1_EviT_T0_PT8_S7_lSA_S7_lS8_PT9_S7_li
; %bb.0:
	s_load_dwordx2 s[0:1], s[4:5], 0x18
	s_load_dwordx2 s[10:11], s[4:5], 0x58
	;; [unrolled: 1-line block ×3, first 2 shown]
	s_load_dwordx4 s[12:15], s[4:5], 0x8
	s_mov_b32 s9, 0
	s_lshl_b64 s[2:3], s[8:9], 3
	s_waitcnt lgkmcnt(0)
	s_add_u32 s10, s10, s2
	s_addc_u32 s11, s11, s3
	s_load_dwordx2 s[10:11], s[10:11], 0x0
	s_lshl_b32 s6, s6, 5
	s_lshl_b32 s7, s7, 5
	s_cmp_lt_i32 s17, 1
	s_cbranch_scc1 .LBB721_3
; %bb.1:
	s_load_dword s18, s[4:5], 0x20
	s_load_dword s20, s[4:5], 0x38
	s_load_dwordx2 s[22:23], s[4:5], 0x30
	v_lshl_add_u32 v2, v1, 4, v0
	v_lshrrev_b32_e32 v6, 3, v2
	s_waitcnt lgkmcnt(0)
	s_ashr_i32 s19, s18, 31
	s_ashr_i32 s21, s20, 31
	s_add_u32 s0, s0, s2
	s_addc_u32 s1, s1, s3
	v_lshrrev_b32_e32 v7, 5, v2
	v_and_b32_e32 v9, 31, v2
	v_add_u32_e32 v2, s7, v6
	s_add_u32 s2, s22, s2
	v_and_b32_e32 v8, 7, v0
	v_ashrrev_i32_e32 v3, 31, v2
	s_addc_u32 s3, s23, s3
	v_mad_i64_i32 v[4:5], s[22:23], s20, v8, v[2:3]
	v_lshlrev_b32_e32 v2, 4, v9
	v_lshl_or_b32 v22, v7, 9, v2
	v_lshlrev_b32_e32 v2, 4, v8
	v_lshl_or_b32 v2, v6, 7, v2
	v_add_u32_e32 v23, 0x1000, v2
	v_add_u32_e32 v2, s6, v9
	v_ashrrev_i32_e32 v3, 31, v2
	v_mad_i64_i32 v[2:3], s[22:23], s18, v7, v[2:3]
	s_load_dwordx2 s[0:1], s[0:1], 0x0
	v_mov_b32_e32 v6, 0x1000
	s_load_dwordx2 s[2:3], s[2:3], 0x0
	v_lshlrev_b64 v[2:3], 4, v[2:3]
	v_lshl_add_u32 v25, v1, 7, v6
	s_waitcnt lgkmcnt(0)
	v_mov_b32_e32 v6, s1
	v_add_co_u32_e32 v2, vcc, s0, v2
	v_lshlrev_b64 v[4:5], 4, v[4:5]
	v_addc_co_u32_e32 v3, vcc, v6, v3, vcc
	v_mov_b32_e32 v6, s3
	v_add_co_u32_e32 v4, vcc, s2, v4
	s_lshl_b64 s[0:1], s[18:19], 7
	v_addc_co_u32_e32 v5, vcc, v6, v5, vcc
	s_lshl_b64 s[2:3], s[20:21], 7
	v_mov_b32_e32 v10, 0
	v_mov_b32_e32 v12, 0
	;; [unrolled: 1-line block ×8, first 2 shown]
	v_lshlrev_b32_e32 v24, 4, v0
	v_mov_b32_e32 v11, 0
	v_mov_b32_e32 v26, s1
	;; [unrolled: 1-line block ×10, first 2 shown]
.LBB721_2:                              ; =>This Inner Loop Header: Depth=1
	flat_load_dwordx4 v[28:31], v[2:3]
	v_add_co_u32_e32 v2, vcc, s0, v2
	v_addc_co_u32_e32 v3, vcc, v3, v26, vcc
	s_add_i32 s9, s9, 8
	s_cmp_ge_i32 s9, s17
	s_waitcnt vmcnt(0) lgkmcnt(0)
	ds_write_b128 v22, v[28:31]
	flat_load_dwordx4 v[28:31], v[4:5]
	v_add_co_u32_e32 v4, vcc, s2, v4
	v_addc_co_u32_e32 v5, vcc, v5, v27, vcc
	s_waitcnt vmcnt(0) lgkmcnt(0)
	ds_write_b128 v23, v[28:31]
	s_waitcnt lgkmcnt(0)
	s_barrier
	ds_read_b128 v[28:31], v25
	ds_read_b128 v[32:35], v25 offset:16
	ds_read_b128 v[36:39], v25 offset:32
	;; [unrolled: 1-line block ×3, first 2 shown]
	ds_read_b128 v[44:47], v24
	s_waitcnt lgkmcnt(0)
	v_mul_f64 v[48:49], v[30:31], v[46:47]
	v_mul_f64 v[50:51], v[28:29], v[46:47]
	v_fma_f64 v[48:49], v[28:29], v[44:45], -v[48:49]
	v_fma_f64 v[50:51], v[30:31], v[44:45], v[50:51]
	v_add_f64 v[48:49], v[18:19], v[48:49]
	v_add_f64 v[50:51], v[50:51], v[20:21]
	ds_read_b128 v[18:21], v24 offset:256
	s_waitcnt lgkmcnt(0)
	v_mul_f64 v[52:53], v[30:31], v[20:21]
	v_fma_f64 v[52:53], v[28:29], v[18:19], -v[52:53]
	v_mul_f64 v[28:29], v[28:29], v[20:21]
	v_fma_f64 v[28:29], v[30:31], v[18:19], v[28:29]
	v_add_f64 v[30:31], v[6:7], v[52:53]
	v_add_f64 v[28:29], v[28:29], v[8:9]
	ds_read_b128 v[6:9], v25 offset:2048
	s_waitcnt lgkmcnt(0)
	v_mul_f64 v[52:53], v[8:9], v[46:47]
	v_mul_f64 v[46:47], v[6:7], v[46:47]
	v_fma_f64 v[52:53], v[6:7], v[44:45], -v[52:53]
	v_fma_f64 v[44:45], v[8:9], v[44:45], v[46:47]
	v_add_f64 v[46:47], v[14:15], v[52:53]
	v_mul_f64 v[14:15], v[8:9], v[20:21]
	v_add_f64 v[44:45], v[44:45], v[16:17]
	v_fma_f64 v[14:15], v[6:7], v[18:19], -v[14:15]
	v_mul_f64 v[6:7], v[6:7], v[20:21]
	v_fma_f64 v[6:7], v[8:9], v[18:19], v[6:7]
	v_add_f64 v[18:19], v[12:13], v[14:15]
	v_add_f64 v[20:21], v[6:7], v[10:11]
	ds_read_b128 v[6:9], v24 offset:512
	s_waitcnt lgkmcnt(0)
	v_mul_f64 v[10:11], v[34:35], v[8:9]
	v_mul_f64 v[12:13], v[32:33], v[8:9]
	v_fma_f64 v[10:11], v[32:33], v[6:7], -v[10:11]
	v_fma_f64 v[12:13], v[34:35], v[6:7], v[12:13]
	v_add_f64 v[48:49], v[48:49], v[10:11]
	v_add_f64 v[50:51], v[12:13], v[50:51]
	ds_read_b128 v[10:13], v24 offset:768
	s_waitcnt lgkmcnt(0)
	v_mul_f64 v[14:15], v[34:35], v[12:13]
	v_mul_f64 v[16:17], v[32:33], v[12:13]
	v_fma_f64 v[14:15], v[32:33], v[10:11], -v[14:15]
	v_fma_f64 v[16:17], v[34:35], v[10:11], v[16:17]
	v_add_f64 v[30:31], v[30:31], v[14:15]
	v_add_f64 v[28:29], v[16:17], v[28:29]
	ds_read_b128 v[14:17], v25 offset:2064
	s_waitcnt lgkmcnt(0)
	v_mul_f64 v[32:33], v[16:17], v[8:9]
	v_mul_f64 v[8:9], v[14:15], v[8:9]
	v_fma_f64 v[32:33], v[14:15], v[6:7], -v[32:33]
	v_fma_f64 v[6:7], v[16:17], v[6:7], v[8:9]
	v_mul_f64 v[8:9], v[14:15], v[12:13]
	v_add_f64 v[32:33], v[46:47], v[32:33]
	v_add_f64 v[34:35], v[6:7], v[44:45]
	v_mul_f64 v[6:7], v[16:17], v[12:13]
	v_fma_f64 v[8:9], v[16:17], v[10:11], v[8:9]
	v_fma_f64 v[6:7], v[14:15], v[10:11], -v[6:7]
	v_add_f64 v[20:21], v[8:9], v[20:21]
	v_add_f64 v[18:19], v[18:19], v[6:7]
	ds_read_b128 v[6:9], v24 offset:1024
	s_waitcnt lgkmcnt(0)
	v_mul_f64 v[10:11], v[38:39], v[8:9]
	v_mul_f64 v[12:13], v[36:37], v[8:9]
	v_fma_f64 v[10:11], v[36:37], v[6:7], -v[10:11]
	v_fma_f64 v[12:13], v[38:39], v[6:7], v[12:13]
	v_add_f64 v[44:45], v[48:49], v[10:11]
	v_add_f64 v[46:47], v[12:13], v[50:51]
	ds_read_b128 v[10:13], v24 offset:1280
	s_waitcnt lgkmcnt(0)
	v_mul_f64 v[14:15], v[38:39], v[12:13]
	v_mul_f64 v[16:17], v[36:37], v[12:13]
	v_fma_f64 v[14:15], v[36:37], v[10:11], -v[14:15]
	v_fma_f64 v[16:17], v[38:39], v[10:11], v[16:17]
	;; [unrolled: 8-line block ×3, first 2 shown]
	v_mul_f64 v[8:9], v[14:15], v[12:13]
	v_add_f64 v[32:33], v[32:33], v[36:37]
	v_add_f64 v[34:35], v[6:7], v[34:35]
	v_mul_f64 v[6:7], v[16:17], v[12:13]
	v_fma_f64 v[8:9], v[16:17], v[10:11], v[8:9]
	v_fma_f64 v[6:7], v[14:15], v[10:11], -v[6:7]
	v_add_f64 v[20:21], v[8:9], v[20:21]
	v_add_f64 v[18:19], v[18:19], v[6:7]
	ds_read_b128 v[6:9], v24 offset:1536
	s_waitcnt lgkmcnt(0)
	v_mul_f64 v[10:11], v[42:43], v[8:9]
	v_mul_f64 v[12:13], v[40:41], v[8:9]
	v_fma_f64 v[10:11], v[40:41], v[6:7], -v[10:11]
	v_fma_f64 v[12:13], v[42:43], v[6:7], v[12:13]
	v_add_f64 v[36:37], v[44:45], v[10:11]
	v_add_f64 v[38:39], v[12:13], v[46:47]
	ds_read_b128 v[10:13], v24 offset:1792
	s_waitcnt lgkmcnt(0)
	v_mul_f64 v[14:15], v[42:43], v[12:13]
	v_mul_f64 v[16:17], v[40:41], v[12:13]
	v_fma_f64 v[14:15], v[40:41], v[10:11], -v[14:15]
	v_fma_f64 v[16:17], v[42:43], v[10:11], v[16:17]
	;; [unrolled: 8-line block ×3, first 2 shown]
	v_mul_f64 v[8:9], v[14:15], v[12:13]
	v_add_f64 v[32:33], v[32:33], v[40:41]
	v_add_f64 v[34:35], v[6:7], v[34:35]
	v_mul_f64 v[6:7], v[16:17], v[12:13]
	v_fma_f64 v[8:9], v[16:17], v[10:11], v[8:9]
	v_fma_f64 v[6:7], v[14:15], v[10:11], -v[6:7]
	v_add_f64 v[20:21], v[8:9], v[20:21]
	v_add_f64 v[18:19], v[18:19], v[6:7]
	ds_read_b128 v[6:9], v25 offset:64
	ds_read_b128 v[10:13], v24 offset:2048
	s_waitcnt lgkmcnt(0)
	v_mul_f64 v[14:15], v[8:9], v[12:13]
	v_mul_f64 v[16:17], v[6:7], v[12:13]
	v_fma_f64 v[14:15], v[6:7], v[10:11], -v[14:15]
	v_fma_f64 v[16:17], v[8:9], v[10:11], v[16:17]
	v_add_f64 v[36:37], v[36:37], v[14:15]
	v_add_f64 v[38:39], v[16:17], v[38:39]
	ds_read_b128 v[14:17], v24 offset:2304
	s_waitcnt lgkmcnt(0)
	v_mul_f64 v[40:41], v[8:9], v[16:17]
	v_fma_f64 v[40:41], v[6:7], v[14:15], -v[40:41]
	v_mul_f64 v[6:7], v[6:7], v[16:17]
	v_add_f64 v[30:31], v[30:31], v[40:41]
	v_fma_f64 v[6:7], v[8:9], v[14:15], v[6:7]
	v_add_f64 v[28:29], v[6:7], v[28:29]
	ds_read_b128 v[6:9], v25 offset:2112
	s_waitcnt lgkmcnt(0)
	v_mul_f64 v[40:41], v[8:9], v[12:13]
	v_mul_f64 v[12:13], v[6:7], v[12:13]
	v_fma_f64 v[40:41], v[6:7], v[10:11], -v[40:41]
	v_fma_f64 v[10:11], v[8:9], v[10:11], v[12:13]
	v_add_f64 v[32:33], v[32:33], v[40:41]
	v_add_f64 v[34:35], v[10:11], v[34:35]
	v_mul_f64 v[10:11], v[8:9], v[16:17]
	v_fma_f64 v[10:11], v[6:7], v[14:15], -v[10:11]
	v_mul_f64 v[6:7], v[6:7], v[16:17]
	v_add_f64 v[18:19], v[18:19], v[10:11]
	v_fma_f64 v[6:7], v[8:9], v[14:15], v[6:7]
	v_add_f64 v[20:21], v[6:7], v[20:21]
	ds_read_b128 v[6:9], v25 offset:80
	ds_read_b128 v[10:13], v24 offset:2560
	s_waitcnt lgkmcnt(0)
	v_mul_f64 v[14:15], v[8:9], v[12:13]
	v_mul_f64 v[16:17], v[6:7], v[12:13]
	v_fma_f64 v[14:15], v[6:7], v[10:11], -v[14:15]
	v_fma_f64 v[16:17], v[8:9], v[10:11], v[16:17]
	v_add_f64 v[36:37], v[36:37], v[14:15]
	v_add_f64 v[38:39], v[16:17], v[38:39]
	ds_read_b128 v[14:17], v24 offset:2816
	s_waitcnt lgkmcnt(0)
	v_mul_f64 v[40:41], v[8:9], v[16:17]
	v_fma_f64 v[40:41], v[6:7], v[14:15], -v[40:41]
	v_mul_f64 v[6:7], v[6:7], v[16:17]
	v_add_f64 v[30:31], v[30:31], v[40:41]
	v_fma_f64 v[6:7], v[8:9], v[14:15], v[6:7]
	v_add_f64 v[28:29], v[6:7], v[28:29]
	ds_read_b128 v[6:9], v25 offset:2128
	s_waitcnt lgkmcnt(0)
	v_mul_f64 v[40:41], v[8:9], v[12:13]
	v_mul_f64 v[12:13], v[6:7], v[12:13]
	v_fma_f64 v[40:41], v[6:7], v[10:11], -v[40:41]
	v_fma_f64 v[10:11], v[8:9], v[10:11], v[12:13]
	v_add_f64 v[32:33], v[32:33], v[40:41]
	v_add_f64 v[34:35], v[10:11], v[34:35]
	v_mul_f64 v[10:11], v[8:9], v[16:17]
	v_fma_f64 v[10:11], v[6:7], v[14:15], -v[10:11]
	v_mul_f64 v[6:7], v[6:7], v[16:17]
	v_add_f64 v[18:19], v[18:19], v[10:11]
	v_fma_f64 v[6:7], v[8:9], v[14:15], v[6:7]
	;; [unrolled: 31-line block ×3, first 2 shown]
	v_add_f64 v[50:51], v[6:7], v[20:21]
	ds_read_b128 v[6:9], v25 offset:112
	ds_read_b128 v[10:13], v24 offset:3584
	ds_read_b128 v[28:31], v24 offset:3840
	ds_read_b128 v[32:35], v25 offset:2160
	s_waitcnt lgkmcnt(0)
	s_barrier
	v_mul_f64 v[14:15], v[8:9], v[12:13]
	v_mul_f64 v[16:17], v[6:7], v[12:13]
	v_fma_f64 v[14:15], v[6:7], v[10:11], -v[14:15]
	v_fma_f64 v[16:17], v[8:9], v[10:11], v[16:17]
	v_add_f64 v[18:19], v[36:37], v[14:15]
	v_mul_f64 v[14:15], v[8:9], v[30:31]
	v_add_f64 v[20:21], v[16:17], v[38:39]
	v_fma_f64 v[14:15], v[6:7], v[28:29], -v[14:15]
	v_mul_f64 v[6:7], v[6:7], v[30:31]
	v_fma_f64 v[8:9], v[8:9], v[28:29], v[6:7]
	v_add_f64 v[6:7], v[40:41], v[14:15]
	v_mul_f64 v[14:15], v[34:35], v[12:13]
	v_mul_f64 v[12:13], v[32:33], v[12:13]
	v_add_f64 v[8:9], v[8:9], v[42:43]
	v_fma_f64 v[14:15], v[32:33], v[10:11], -v[14:15]
	v_fma_f64 v[10:11], v[34:35], v[10:11], v[12:13]
	v_mul_f64 v[12:13], v[32:33], v[30:31]
	v_add_f64 v[14:15], v[44:45], v[14:15]
	v_add_f64 v[16:17], v[10:11], v[46:47]
	v_mul_f64 v[10:11], v[34:35], v[30:31]
	v_fma_f64 v[10:11], v[32:33], v[28:29], -v[10:11]
	v_fma_f64 v[28:29], v[34:35], v[28:29], v[12:13]
	v_add_f64 v[12:13], v[48:49], v[10:11]
	v_add_f64 v[10:11], v[28:29], v[50:51]
	s_cbranch_scc0 .LBB721_2
	s_branch .LBB721_4
.LBB721_3:
	v_mov_b32_e32 v18, 0
	v_mov_b32_e32 v20, 0
	;; [unrolled: 1-line block ×16, first 2 shown]
.LBB721_4:
	s_load_dword s8, s[4:5], 0x60
	v_add_u32_e32 v4, s7, v1
	s_waitcnt lgkmcnt(0)
	v_mov_b32_e32 v3, s11
	v_add_u32_e32 v0, s6, v0
	v_mad_i64_i32 v[1:2], s[0:1], v4, s8, 0
	v_cmp_le_i32_e64 s[0:1], v4, v0
	v_lshlrev_b64 v[1:2], 4, v[1:2]
	v_add_co_u32_e32 v5, vcc, s10, v1
	v_addc_co_u32_e32 v22, vcc, v3, v2, vcc
	v_cmp_gt_i32_e32 vcc, s16, v0
	s_and_b64 s[0:1], s[0:1], vcc
	s_and_saveexec_b64 s[2:3], s[0:1]
	s_cbranch_execz .LBB721_6
; %bb.5:
	v_mul_f64 v[1:2], s[14:15], v[20:21]
	v_mul_f64 v[20:21], s[12:13], v[20:21]
	v_fma_f64 v[23:24], s[12:13], v[18:19], -v[1:2]
	v_fma_f64 v[25:26], s[14:15], v[18:19], v[20:21]
	v_ashrrev_i32_e32 v1, 31, v0
	v_lshlrev_b64 v[1:2], 4, v[0:1]
	v_add_co_u32_e64 v1, s[0:1], v5, v1
	v_addc_co_u32_e64 v2, s[0:1], v22, v2, s[0:1]
	flat_store_dwordx4 v[1:2], v[23:26]
.LBB721_6:
	s_or_b64 exec, exec, s[2:3]
	v_add_u32_e32 v2, 16, v0
	v_cmp_le_i32_e64 s[2:3], v4, v2
	v_cmp_gt_i32_e64 s[0:1], s16, v2
	s_and_b64 s[2:3], s[2:3], s[0:1]
	s_and_saveexec_b64 s[4:5], s[2:3]
	s_cbranch_execz .LBB721_8
; %bb.7:
	v_mul_f64 v[18:19], s[14:15], v[8:9]
	v_mul_f64 v[8:9], s[12:13], v[8:9]
	v_ashrrev_i32_e32 v3, 31, v2
	v_fma_f64 v[18:19], s[12:13], v[6:7], -v[18:19]
	v_fma_f64 v[20:21], s[14:15], v[6:7], v[8:9]
	v_lshlrev_b64 v[6:7], 4, v[2:3]
	v_add_co_u32_e64 v5, s[2:3], v5, v6
	v_addc_co_u32_e64 v6, s[2:3], v22, v7, s[2:3]
	flat_store_dwordx4 v[5:6], v[18:21]
.LBB721_8:
	s_or_b64 exec, exec, s[4:5]
	v_add_u32_e32 v3, 16, v4
	v_mad_i64_i32 v[4:5], s[2:3], v3, s8, 0
	v_mov_b32_e32 v1, s11
	v_lshlrev_b64 v[4:5], 4, v[4:5]
	v_add_co_u32_e64 v4, s[2:3], s10, v4
	v_addc_co_u32_e64 v5, s[2:3], v1, v5, s[2:3]
	v_cmp_le_i32_e64 s[2:3], v3, v0
	s_and_b64 s[4:5], s[2:3], vcc
	s_and_saveexec_b64 s[2:3], s[4:5]
	s_cbranch_execz .LBB721_10
; %bb.9:
	v_mul_f64 v[6:7], s[14:15], v[16:17]
	v_mul_f64 v[8:9], s[12:13], v[16:17]
	v_ashrrev_i32_e32 v1, 31, v0
	v_lshlrev_b64 v[0:1], 4, v[0:1]
	v_add_co_u32_e32 v0, vcc, v4, v0
	v_addc_co_u32_e32 v1, vcc, v5, v1, vcc
	v_fma_f64 v[6:7], s[12:13], v[14:15], -v[6:7]
	v_fma_f64 v[8:9], s[14:15], v[14:15], v[8:9]
	flat_store_dwordx4 v[0:1], v[6:9]
.LBB721_10:
	s_or_b64 exec, exec, s[2:3]
	v_cmp_le_i32_e32 vcc, v3, v2
	s_and_b64 s[0:1], vcc, s[0:1]
	s_and_saveexec_b64 s[2:3], s[0:1]
	s_cbranch_execz .LBB721_12
; %bb.11:
	v_mul_f64 v[0:1], s[14:15], v[10:11]
	v_mul_f64 v[8:9], s[12:13], v[10:11]
	v_ashrrev_i32_e32 v3, 31, v2
	v_fma_f64 v[6:7], s[12:13], v[12:13], -v[0:1]
	v_fma_f64 v[8:9], s[14:15], v[12:13], v[8:9]
	v_lshlrev_b64 v[0:1], 4, v[2:3]
	v_add_co_u32_e32 v0, vcc, v4, v0
	v_addc_co_u32_e32 v1, vcc, v5, v1, vcc
	flat_store_dwordx4 v[0:1], v[6:9]
.LBB721_12:
	s_endpgm
	.section	.rodata,"a",@progbits
	.p2align	6, 0x0
	.amdhsa_kernel _ZL37rocblas_syrkx_herkx_restricted_kernelIi19rocblas_complex_numIdELi16ELi32ELi8ELb1ELb0ELc78ELc76EKPKS1_KPS1_EviT_T0_PT8_S7_lSA_S7_lS8_PT9_S7_li
		.amdhsa_group_segment_fixed_size 8192
		.amdhsa_private_segment_fixed_size 0
		.amdhsa_kernarg_size 116
		.amdhsa_user_sgpr_count 6
		.amdhsa_user_sgpr_private_segment_buffer 1
		.amdhsa_user_sgpr_dispatch_ptr 0
		.amdhsa_user_sgpr_queue_ptr 0
		.amdhsa_user_sgpr_kernarg_segment_ptr 1
		.amdhsa_user_sgpr_dispatch_id 0
		.amdhsa_user_sgpr_flat_scratch_init 0
		.amdhsa_user_sgpr_private_segment_size 0
		.amdhsa_uses_dynamic_stack 0
		.amdhsa_system_sgpr_private_segment_wavefront_offset 0
		.amdhsa_system_sgpr_workgroup_id_x 1
		.amdhsa_system_sgpr_workgroup_id_y 1
		.amdhsa_system_sgpr_workgroup_id_z 1
		.amdhsa_system_sgpr_workgroup_info 0
		.amdhsa_system_vgpr_workitem_id 1
		.amdhsa_next_free_vgpr 54
		.amdhsa_next_free_sgpr 61
		.amdhsa_reserve_vcc 1
		.amdhsa_reserve_flat_scratch 0
		.amdhsa_float_round_mode_32 0
		.amdhsa_float_round_mode_16_64 0
		.amdhsa_float_denorm_mode_32 3
		.amdhsa_float_denorm_mode_16_64 3
		.amdhsa_dx10_clamp 1
		.amdhsa_ieee_mode 1
		.amdhsa_fp16_overflow 0
		.amdhsa_exception_fp_ieee_invalid_op 0
		.amdhsa_exception_fp_denorm_src 0
		.amdhsa_exception_fp_ieee_div_zero 0
		.amdhsa_exception_fp_ieee_overflow 0
		.amdhsa_exception_fp_ieee_underflow 0
		.amdhsa_exception_fp_ieee_inexact 0
		.amdhsa_exception_int_div_zero 0
	.end_amdhsa_kernel
	.section	.text._ZL37rocblas_syrkx_herkx_restricted_kernelIi19rocblas_complex_numIdELi16ELi32ELi8ELb1ELb0ELc78ELc76EKPKS1_KPS1_EviT_T0_PT8_S7_lSA_S7_lS8_PT9_S7_li,"axG",@progbits,_ZL37rocblas_syrkx_herkx_restricted_kernelIi19rocblas_complex_numIdELi16ELi32ELi8ELb1ELb0ELc78ELc76EKPKS1_KPS1_EviT_T0_PT8_S7_lSA_S7_lS8_PT9_S7_li,comdat
.Lfunc_end721:
	.size	_ZL37rocblas_syrkx_herkx_restricted_kernelIi19rocblas_complex_numIdELi16ELi32ELi8ELb1ELb0ELc78ELc76EKPKS1_KPS1_EviT_T0_PT8_S7_lSA_S7_lS8_PT9_S7_li, .Lfunc_end721-_ZL37rocblas_syrkx_herkx_restricted_kernelIi19rocblas_complex_numIdELi16ELi32ELi8ELb1ELb0ELc78ELc76EKPKS1_KPS1_EviT_T0_PT8_S7_lSA_S7_lS8_PT9_S7_li
                                        ; -- End function
	.set _ZL37rocblas_syrkx_herkx_restricted_kernelIi19rocblas_complex_numIdELi16ELi32ELi8ELb1ELb0ELc78ELc76EKPKS1_KPS1_EviT_T0_PT8_S7_lSA_S7_lS8_PT9_S7_li.num_vgpr, 54
	.set _ZL37rocblas_syrkx_herkx_restricted_kernelIi19rocblas_complex_numIdELi16ELi32ELi8ELb1ELb0ELc78ELc76EKPKS1_KPS1_EviT_T0_PT8_S7_lSA_S7_lS8_PT9_S7_li.num_agpr, 0
	.set _ZL37rocblas_syrkx_herkx_restricted_kernelIi19rocblas_complex_numIdELi16ELi32ELi8ELb1ELb0ELc78ELc76EKPKS1_KPS1_EviT_T0_PT8_S7_lSA_S7_lS8_PT9_S7_li.numbered_sgpr, 24
	.set _ZL37rocblas_syrkx_herkx_restricted_kernelIi19rocblas_complex_numIdELi16ELi32ELi8ELb1ELb0ELc78ELc76EKPKS1_KPS1_EviT_T0_PT8_S7_lSA_S7_lS8_PT9_S7_li.num_named_barrier, 0
	.set _ZL37rocblas_syrkx_herkx_restricted_kernelIi19rocblas_complex_numIdELi16ELi32ELi8ELb1ELb0ELc78ELc76EKPKS1_KPS1_EviT_T0_PT8_S7_lSA_S7_lS8_PT9_S7_li.private_seg_size, 0
	.set _ZL37rocblas_syrkx_herkx_restricted_kernelIi19rocblas_complex_numIdELi16ELi32ELi8ELb1ELb0ELc78ELc76EKPKS1_KPS1_EviT_T0_PT8_S7_lSA_S7_lS8_PT9_S7_li.uses_vcc, 1
	.set _ZL37rocblas_syrkx_herkx_restricted_kernelIi19rocblas_complex_numIdELi16ELi32ELi8ELb1ELb0ELc78ELc76EKPKS1_KPS1_EviT_T0_PT8_S7_lSA_S7_lS8_PT9_S7_li.uses_flat_scratch, 0
	.set _ZL37rocblas_syrkx_herkx_restricted_kernelIi19rocblas_complex_numIdELi16ELi32ELi8ELb1ELb0ELc78ELc76EKPKS1_KPS1_EviT_T0_PT8_S7_lSA_S7_lS8_PT9_S7_li.has_dyn_sized_stack, 0
	.set _ZL37rocblas_syrkx_herkx_restricted_kernelIi19rocblas_complex_numIdELi16ELi32ELi8ELb1ELb0ELc78ELc76EKPKS1_KPS1_EviT_T0_PT8_S7_lSA_S7_lS8_PT9_S7_li.has_recursion, 0
	.set _ZL37rocblas_syrkx_herkx_restricted_kernelIi19rocblas_complex_numIdELi16ELi32ELi8ELb1ELb0ELc78ELc76EKPKS1_KPS1_EviT_T0_PT8_S7_lSA_S7_lS8_PT9_S7_li.has_indirect_call, 0
	.section	.AMDGPU.csdata,"",@progbits
; Kernel info:
; codeLenInByte = 2856
; TotalNumSgprs: 28
; NumVgprs: 54
; ScratchSize: 0
; MemoryBound: 0
; FloatMode: 240
; IeeeMode: 1
; LDSByteSize: 8192 bytes/workgroup (compile time only)
; SGPRBlocks: 8
; VGPRBlocks: 13
; NumSGPRsForWavesPerEU: 65
; NumVGPRsForWavesPerEU: 54
; Occupancy: 4
; WaveLimiterHint : 1
; COMPUTE_PGM_RSRC2:SCRATCH_EN: 0
; COMPUTE_PGM_RSRC2:USER_SGPR: 6
; COMPUTE_PGM_RSRC2:TRAP_HANDLER: 0
; COMPUTE_PGM_RSRC2:TGID_X_EN: 1
; COMPUTE_PGM_RSRC2:TGID_Y_EN: 1
; COMPUTE_PGM_RSRC2:TGID_Z_EN: 1
; COMPUTE_PGM_RSRC2:TIDIG_COMP_CNT: 1
	.section	.text._ZL37rocblas_syrkx_herkx_restricted_kernelIi19rocblas_complex_numIdELi16ELi32ELi8ELb1ELb0ELc84ELc85EKPKS1_KPS1_EviT_T0_PT8_S7_lSA_S7_lS8_PT9_S7_li,"axG",@progbits,_ZL37rocblas_syrkx_herkx_restricted_kernelIi19rocblas_complex_numIdELi16ELi32ELi8ELb1ELb0ELc84ELc85EKPKS1_KPS1_EviT_T0_PT8_S7_lSA_S7_lS8_PT9_S7_li,comdat
	.globl	_ZL37rocblas_syrkx_herkx_restricted_kernelIi19rocblas_complex_numIdELi16ELi32ELi8ELb1ELb0ELc84ELc85EKPKS1_KPS1_EviT_T0_PT8_S7_lSA_S7_lS8_PT9_S7_li ; -- Begin function _ZL37rocblas_syrkx_herkx_restricted_kernelIi19rocblas_complex_numIdELi16ELi32ELi8ELb1ELb0ELc84ELc85EKPKS1_KPS1_EviT_T0_PT8_S7_lSA_S7_lS8_PT9_S7_li
	.p2align	8
	.type	_ZL37rocblas_syrkx_herkx_restricted_kernelIi19rocblas_complex_numIdELi16ELi32ELi8ELb1ELb0ELc84ELc85EKPKS1_KPS1_EviT_T0_PT8_S7_lSA_S7_lS8_PT9_S7_li,@function
_ZL37rocblas_syrkx_herkx_restricted_kernelIi19rocblas_complex_numIdELi16ELi32ELi8ELb1ELb0ELc84ELc85EKPKS1_KPS1_EviT_T0_PT8_S7_lSA_S7_lS8_PT9_S7_li: ; @_ZL37rocblas_syrkx_herkx_restricted_kernelIi19rocblas_complex_numIdELi16ELi32ELi8ELb1ELb0ELc84ELc85EKPKS1_KPS1_EviT_T0_PT8_S7_lSA_S7_lS8_PT9_S7_li
; %bb.0:
	s_load_dwordx2 s[0:1], s[4:5], 0x18
	s_load_dwordx2 s[10:11], s[4:5], 0x58
	;; [unrolled: 1-line block ×3, first 2 shown]
	s_load_dwordx4 s[12:15], s[4:5], 0x8
	s_mov_b32 s9, 0
	s_lshl_b64 s[16:17], s[8:9], 3
	s_waitcnt lgkmcnt(0)
	s_add_u32 s10, s10, s16
	s_addc_u32 s11, s11, s17
	s_load_dwordx2 s[10:11], s[10:11], 0x0
	s_lshl_b32 s6, s6, 5
	s_lshl_b32 s7, s7, 5
	s_cmp_lt_i32 s3, 1
	s_cbranch_scc1 .LBB722_3
; %bb.1:
	s_load_dword s8, s[4:5], 0x20
	s_load_dwordx2 s[18:19], s[4:5], 0x30
	s_load_dword s20, s[4:5], 0x38
	s_add_u32 s0, s0, s16
	v_lshl_add_u32 v3, v1, 4, v0
	s_addc_u32 s1, s1, s17
	v_lshrrev_b32_e32 v8, 3, v3
	s_waitcnt lgkmcnt(0)
	s_add_u32 s16, s18, s16
	v_lshrrev_b32_e32 v2, 5, v3
	v_and_b32_e32 v4, 7, v0
	v_and_b32_e32 v9, 31, v3
	v_add_u32_e32 v3, s7, v8
	v_mov_b32_e32 v5, 0
	s_addc_u32 s17, s19, s17
	v_mad_i64_i32 v[6:7], s[18:19], s20, v3, v[4:5]
	v_mov_b32_e32 v3, v5
	v_lshlrev_b32_e32 v5, 4, v9
	v_lshl_or_b32 v22, v2, 9, v5
	v_add_u32_e32 v5, s6, v9
	v_mad_i64_i32 v[2:3], s[18:19], s8, v5, v[2:3]
	s_load_dwordx2 s[0:1], s[0:1], 0x0
	v_lshlrev_b32_e32 v4, 4, v4
	s_load_dwordx2 s[16:17], s[16:17], 0x0
	v_lshlrev_b64 v[2:3], 4, v[2:3]
	v_lshl_or_b32 v4, v8, 7, v4
	v_add_u32_e32 v23, 0x1000, v4
	s_waitcnt lgkmcnt(0)
	v_mov_b32_e32 v4, s1
	v_add_co_u32_e32 v2, vcc, s0, v2
	v_addc_co_u32_e32 v3, vcc, v4, v3, vcc
	v_lshlrev_b64 v[4:5], 4, v[6:7]
	v_mov_b32_e32 v6, s17
	v_add_co_u32_e32 v4, vcc, s16, v4
	v_mov_b32_e32 v25, 0x1000
	v_addc_co_u32_e32 v5, vcc, v6, v5, vcc
	v_mov_b32_e32 v10, 0
	v_mov_b32_e32 v12, 0
	;; [unrolled: 1-line block ×8, first 2 shown]
	v_lshlrev_b32_e32 v24, 4, v0
	v_mov_b32_e32 v11, 0
	v_mov_b32_e32 v13, 0
	;; [unrolled: 1-line block ×8, first 2 shown]
	v_lshl_add_u32 v25, v1, 7, v25
.LBB722_2:                              ; =>This Inner Loop Header: Depth=1
	flat_load_dwordx4 v[26:29], v[2:3]
	v_add_co_u32_e32 v2, vcc, 0x80, v2
	v_addc_co_u32_e32 v3, vcc, 0, v3, vcc
	s_add_i32 s9, s9, 8
	s_cmp_ge_i32 s9, s3
	s_waitcnt vmcnt(0) lgkmcnt(0)
	ds_write_b128 v22, v[26:29]
	flat_load_dwordx4 v[26:29], v[4:5]
	v_add_co_u32_e32 v4, vcc, 0x80, v4
	v_addc_co_u32_e32 v5, vcc, 0, v5, vcc
	s_waitcnt vmcnt(0) lgkmcnt(0)
	ds_write_b128 v23, v[26:29]
	s_waitcnt lgkmcnt(0)
	s_barrier
	ds_read_b128 v[26:29], v25
	ds_read_b128 v[30:33], v25 offset:16
	ds_read_b128 v[34:37], v25 offset:32
	ds_read_b128 v[38:41], v25 offset:48
	ds_read_b128 v[42:45], v24
	s_waitcnt lgkmcnt(0)
	v_mul_f64 v[46:47], v[28:29], v[44:45]
	v_mul_f64 v[48:49], v[26:27], v[44:45]
	v_fma_f64 v[46:47], v[26:27], v[42:43], -v[46:47]
	v_fma_f64 v[48:49], v[28:29], v[42:43], v[48:49]
	v_add_f64 v[46:47], v[14:15], v[46:47]
	v_add_f64 v[48:49], v[48:49], v[16:17]
	ds_read_b128 v[14:17], v24 offset:256
	s_waitcnt lgkmcnt(0)
	v_mul_f64 v[50:51], v[28:29], v[16:17]
	v_fma_f64 v[50:51], v[26:27], v[14:15], -v[50:51]
	v_mul_f64 v[26:27], v[26:27], v[16:17]
	v_fma_f64 v[26:27], v[28:29], v[14:15], v[26:27]
	v_add_f64 v[28:29], v[6:7], v[50:51]
	v_add_f64 v[26:27], v[26:27], v[8:9]
	ds_read_b128 v[6:9], v25 offset:2048
	s_waitcnt lgkmcnt(0)
	v_mul_f64 v[50:51], v[8:9], v[44:45]
	v_mul_f64 v[44:45], v[6:7], v[44:45]
	v_fma_f64 v[50:51], v[6:7], v[42:43], -v[50:51]
	v_fma_f64 v[42:43], v[8:9], v[42:43], v[44:45]
	v_add_f64 v[18:19], v[18:19], v[50:51]
	v_add_f64 v[20:21], v[42:43], v[20:21]
	v_mul_f64 v[42:43], v[8:9], v[16:17]
	v_fma_f64 v[42:43], v[6:7], v[14:15], -v[42:43]
	v_mul_f64 v[6:7], v[6:7], v[16:17]
	v_add_f64 v[42:43], v[12:13], v[42:43]
	v_fma_f64 v[6:7], v[8:9], v[14:15], v[6:7]
	v_add_f64 v[44:45], v[6:7], v[10:11]
	ds_read_b128 v[6:9], v24 offset:512
	s_waitcnt lgkmcnt(0)
	v_mul_f64 v[10:11], v[32:33], v[8:9]
	v_mul_f64 v[12:13], v[30:31], v[8:9]
	v_fma_f64 v[10:11], v[30:31], v[6:7], -v[10:11]
	v_fma_f64 v[12:13], v[32:33], v[6:7], v[12:13]
	v_add_f64 v[46:47], v[46:47], v[10:11]
	v_add_f64 v[48:49], v[12:13], v[48:49]
	ds_read_b128 v[10:13], v24 offset:768
	s_waitcnt lgkmcnt(0)
	v_mul_f64 v[14:15], v[32:33], v[12:13]
	v_mul_f64 v[16:17], v[30:31], v[12:13]
	v_fma_f64 v[14:15], v[30:31], v[10:11], -v[14:15]
	v_fma_f64 v[16:17], v[32:33], v[10:11], v[16:17]
	v_add_f64 v[28:29], v[28:29], v[14:15]
	v_add_f64 v[26:27], v[16:17], v[26:27]
	ds_read_b128 v[14:17], v25 offset:2064
	s_waitcnt lgkmcnt(0)
	v_mul_f64 v[30:31], v[16:17], v[8:9]
	v_mul_f64 v[8:9], v[14:15], v[8:9]
	v_fma_f64 v[30:31], v[14:15], v[6:7], -v[30:31]
	v_fma_f64 v[6:7], v[16:17], v[6:7], v[8:9]
	v_mul_f64 v[8:9], v[14:15], v[12:13]
	v_add_f64 v[18:19], v[18:19], v[30:31]
	v_add_f64 v[20:21], v[6:7], v[20:21]
	v_mul_f64 v[6:7], v[16:17], v[12:13]
	v_fma_f64 v[8:9], v[16:17], v[10:11], v[8:9]
	v_fma_f64 v[6:7], v[14:15], v[10:11], -v[6:7]
	v_add_f64 v[32:33], v[8:9], v[44:45]
	v_add_f64 v[30:31], v[42:43], v[6:7]
	ds_read_b128 v[6:9], v24 offset:1024
	s_waitcnt lgkmcnt(0)
	v_mul_f64 v[10:11], v[36:37], v[8:9]
	v_mul_f64 v[12:13], v[34:35], v[8:9]
	v_fma_f64 v[10:11], v[34:35], v[6:7], -v[10:11]
	v_fma_f64 v[12:13], v[36:37], v[6:7], v[12:13]
	v_add_f64 v[42:43], v[46:47], v[10:11]
	v_add_f64 v[44:45], v[12:13], v[48:49]
	ds_read_b128 v[10:13], v24 offset:1280
	s_waitcnt lgkmcnt(0)
	v_mul_f64 v[14:15], v[36:37], v[12:13]
	v_mul_f64 v[16:17], v[34:35], v[12:13]
	v_fma_f64 v[14:15], v[34:35], v[10:11], -v[14:15]
	v_fma_f64 v[16:17], v[36:37], v[10:11], v[16:17]
	v_add_f64 v[28:29], v[28:29], v[14:15]
	v_add_f64 v[26:27], v[16:17], v[26:27]
	ds_read_b128 v[14:17], v25 offset:2080
	s_waitcnt lgkmcnt(0)
	v_mul_f64 v[34:35], v[16:17], v[8:9]
	v_mul_f64 v[8:9], v[14:15], v[8:9]
	v_fma_f64 v[34:35], v[14:15], v[6:7], -v[34:35]
	v_fma_f64 v[6:7], v[16:17], v[6:7], v[8:9]
	v_mul_f64 v[8:9], v[14:15], v[12:13]
	v_add_f64 v[18:19], v[18:19], v[34:35]
	v_add_f64 v[20:21], v[6:7], v[20:21]
	v_mul_f64 v[6:7], v[16:17], v[12:13]
	v_fma_f64 v[8:9], v[16:17], v[10:11], v[8:9]
	v_fma_f64 v[6:7], v[14:15], v[10:11], -v[6:7]
	v_add_f64 v[32:33], v[8:9], v[32:33]
	;; [unrolled: 30-line block ×3, first 2 shown]
	v_add_f64 v[30:31], v[30:31], v[6:7]
	ds_read_b128 v[6:9], v25 offset:64
	ds_read_b128 v[10:13], v24 offset:2048
	s_waitcnt lgkmcnt(0)
	v_mul_f64 v[14:15], v[8:9], v[12:13]
	v_mul_f64 v[16:17], v[6:7], v[12:13]
	v_fma_f64 v[14:15], v[6:7], v[10:11], -v[14:15]
	v_fma_f64 v[16:17], v[8:9], v[10:11], v[16:17]
	v_add_f64 v[34:35], v[34:35], v[14:15]
	v_add_f64 v[36:37], v[16:17], v[36:37]
	ds_read_b128 v[14:17], v24 offset:2304
	s_waitcnt lgkmcnt(0)
	v_mul_f64 v[38:39], v[8:9], v[16:17]
	v_fma_f64 v[38:39], v[6:7], v[14:15], -v[38:39]
	v_mul_f64 v[6:7], v[6:7], v[16:17]
	v_add_f64 v[28:29], v[28:29], v[38:39]
	v_fma_f64 v[6:7], v[8:9], v[14:15], v[6:7]
	v_add_f64 v[26:27], v[6:7], v[26:27]
	ds_read_b128 v[6:9], v25 offset:2112
	s_waitcnt lgkmcnt(0)
	v_mul_f64 v[38:39], v[8:9], v[12:13]
	v_mul_f64 v[12:13], v[6:7], v[12:13]
	v_fma_f64 v[38:39], v[6:7], v[10:11], -v[38:39]
	v_fma_f64 v[10:11], v[8:9], v[10:11], v[12:13]
	v_add_f64 v[18:19], v[18:19], v[38:39]
	v_add_f64 v[20:21], v[10:11], v[20:21]
	v_mul_f64 v[10:11], v[8:9], v[16:17]
	v_fma_f64 v[10:11], v[6:7], v[14:15], -v[10:11]
	v_mul_f64 v[6:7], v[6:7], v[16:17]
	v_add_f64 v[30:31], v[30:31], v[10:11]
	v_fma_f64 v[6:7], v[8:9], v[14:15], v[6:7]
	v_add_f64 v[32:33], v[6:7], v[32:33]
	ds_read_b128 v[6:9], v25 offset:80
	ds_read_b128 v[10:13], v24 offset:2560
	s_waitcnt lgkmcnt(0)
	v_mul_f64 v[14:15], v[8:9], v[12:13]
	v_mul_f64 v[16:17], v[6:7], v[12:13]
	v_fma_f64 v[14:15], v[6:7], v[10:11], -v[14:15]
	v_fma_f64 v[16:17], v[8:9], v[10:11], v[16:17]
	v_add_f64 v[34:35], v[34:35], v[14:15]
	v_add_f64 v[36:37], v[16:17], v[36:37]
	ds_read_b128 v[14:17], v24 offset:2816
	s_waitcnt lgkmcnt(0)
	v_mul_f64 v[38:39], v[8:9], v[16:17]
	v_fma_f64 v[38:39], v[6:7], v[14:15], -v[38:39]
	v_mul_f64 v[6:7], v[6:7], v[16:17]
	v_add_f64 v[28:29], v[28:29], v[38:39]
	v_fma_f64 v[6:7], v[8:9], v[14:15], v[6:7]
	v_add_f64 v[26:27], v[6:7], v[26:27]
	ds_read_b128 v[6:9], v25 offset:2128
	s_waitcnt lgkmcnt(0)
	v_mul_f64 v[38:39], v[8:9], v[12:13]
	v_mul_f64 v[12:13], v[6:7], v[12:13]
	v_fma_f64 v[38:39], v[6:7], v[10:11], -v[38:39]
	v_fma_f64 v[10:11], v[8:9], v[10:11], v[12:13]
	v_add_f64 v[18:19], v[18:19], v[38:39]
	v_add_f64 v[20:21], v[10:11], v[20:21]
	v_mul_f64 v[10:11], v[8:9], v[16:17]
	v_fma_f64 v[10:11], v[6:7], v[14:15], -v[10:11]
	v_mul_f64 v[6:7], v[6:7], v[16:17]
	v_add_f64 v[30:31], v[30:31], v[10:11]
	v_fma_f64 v[6:7], v[8:9], v[14:15], v[6:7]
	;; [unrolled: 31-line block ×3, first 2 shown]
	v_add_f64 v[44:45], v[6:7], v[32:33]
	ds_read_b128 v[6:9], v25 offset:112
	ds_read_b128 v[10:13], v24 offset:3584
	ds_read_b128 v[26:29], v24 offset:3840
	s_waitcnt lgkmcnt(1)
	v_mul_f64 v[14:15], v[8:9], v[12:13]
	s_waitcnt lgkmcnt(0)
	v_mul_f64 v[30:31], v[8:9], v[28:29]
	v_mul_f64 v[16:17], v[6:7], v[12:13]
	v_fma_f64 v[14:15], v[6:7], v[10:11], -v[14:15]
	v_fma_f64 v[30:31], v[6:7], v[26:27], -v[30:31]
	v_mul_f64 v[6:7], v[6:7], v[28:29]
	v_fma_f64 v[16:17], v[8:9], v[10:11], v[16:17]
	v_add_f64 v[14:15], v[34:35], v[14:15]
	v_fma_f64 v[8:9], v[8:9], v[26:27], v[6:7]
	v_add_f64 v[6:7], v[38:39], v[30:31]
	ds_read_b128 v[30:33], v25 offset:2160
	v_add_f64 v[16:17], v[16:17], v[36:37]
	s_waitcnt lgkmcnt(0)
	s_barrier
	v_mul_f64 v[34:35], v[32:33], v[12:13]
	v_mul_f64 v[12:13], v[30:31], v[12:13]
	v_add_f64 v[8:9], v[8:9], v[40:41]
	v_fma_f64 v[34:35], v[30:31], v[10:11], -v[34:35]
	v_fma_f64 v[10:11], v[32:33], v[10:11], v[12:13]
	v_mul_f64 v[12:13], v[30:31], v[28:29]
	v_add_f64 v[18:19], v[18:19], v[34:35]
	v_add_f64 v[20:21], v[10:11], v[20:21]
	v_mul_f64 v[10:11], v[32:33], v[28:29]
	v_fma_f64 v[10:11], v[30:31], v[26:27], -v[10:11]
	v_fma_f64 v[26:27], v[32:33], v[26:27], v[12:13]
	v_add_f64 v[12:13], v[42:43], v[10:11]
	v_add_f64 v[10:11], v[26:27], v[44:45]
	s_cbranch_scc0 .LBB722_2
	s_branch .LBB722_4
.LBB722_3:
	v_mov_b32_e32 v14, 0
	v_mov_b32_e32 v16, 0
	;; [unrolled: 1-line block ×16, first 2 shown]
.LBB722_4:
	s_load_dword s3, s[4:5], 0x60
	v_add_u32_e32 v4, s7, v1
	s_waitcnt lgkmcnt(0)
	v_mov_b32_e32 v3, s11
	v_add_u32_e32 v0, s6, v0
	v_cmp_gt_i32_e32 vcc, s2, v4
	v_mad_i64_i32 v[1:2], s[0:1], v4, s3, 0
	v_lshlrev_b64 v[1:2], 4, v[1:2]
	v_add_co_u32_e64 v5, s[0:1], s10, v1
	v_addc_co_u32_e64 v22, s[0:1], v3, v2, s[0:1]
	v_cmp_le_i32_e64 s[0:1], v0, v4
	s_and_b64 s[0:1], vcc, s[0:1]
	s_and_saveexec_b64 s[4:5], s[0:1]
	s_cbranch_execz .LBB722_6
; %bb.5:
	v_mul_f64 v[1:2], s[14:15], v[16:17]
	v_mul_f64 v[16:17], s[12:13], v[16:17]
	v_fma_f64 v[23:24], s[12:13], v[14:15], -v[1:2]
	v_fma_f64 v[25:26], s[14:15], v[14:15], v[16:17]
	v_ashrrev_i32_e32 v1, 31, v0
	v_lshlrev_b64 v[1:2], 4, v[0:1]
	v_add_co_u32_e64 v1, s[0:1], v5, v1
	v_addc_co_u32_e64 v2, s[0:1], v22, v2, s[0:1]
	flat_store_dwordx4 v[1:2], v[23:26]
.LBB722_6:
	s_or_b64 exec, exec, s[4:5]
	v_add_u32_e32 v2, 16, v0
	v_cmp_le_i32_e64 s[0:1], v2, v4
	s_and_b64 s[4:5], vcc, s[0:1]
	s_and_saveexec_b64 s[0:1], s[4:5]
	s_cbranch_execz .LBB722_8
; %bb.7:
	v_mul_f64 v[14:15], s[14:15], v[8:9]
	v_mul_f64 v[8:9], s[12:13], v[8:9]
	v_ashrrev_i32_e32 v3, 31, v2
	v_fma_f64 v[14:15], s[12:13], v[6:7], -v[14:15]
	v_fma_f64 v[16:17], s[14:15], v[6:7], v[8:9]
	v_lshlrev_b64 v[6:7], 4, v[2:3]
	v_add_co_u32_e32 v5, vcc, v5, v6
	v_addc_co_u32_e32 v6, vcc, v22, v7, vcc
	flat_store_dwordx4 v[5:6], v[14:17]
.LBB722_8:
	s_or_b64 exec, exec, s[0:1]
	v_add_u32_e32 v3, 16, v4
	v_mad_i64_i32 v[4:5], s[0:1], v3, s3, 0
	v_mov_b32_e32 v1, s11
	v_cmp_gt_i32_e32 vcc, s2, v3
	v_lshlrev_b64 v[4:5], 4, v[4:5]
	v_add_co_u32_e64 v4, s[0:1], s10, v4
	v_addc_co_u32_e64 v5, s[0:1], v1, v5, s[0:1]
	v_cmp_le_i32_e64 s[0:1], v0, v3
	s_and_b64 s[0:1], vcc, s[0:1]
	s_and_saveexec_b64 s[2:3], s[0:1]
	s_cbranch_execz .LBB722_10
; %bb.9:
	v_mul_f64 v[6:7], s[14:15], v[20:21]
	v_mul_f64 v[8:9], s[12:13], v[20:21]
	v_ashrrev_i32_e32 v1, 31, v0
	v_lshlrev_b64 v[0:1], 4, v[0:1]
	v_add_co_u32_e64 v0, s[0:1], v4, v0
	v_addc_co_u32_e64 v1, s[0:1], v5, v1, s[0:1]
	v_fma_f64 v[6:7], s[12:13], v[18:19], -v[6:7]
	v_fma_f64 v[8:9], s[14:15], v[18:19], v[8:9]
	flat_store_dwordx4 v[0:1], v[6:9]
.LBB722_10:
	s_or_b64 exec, exec, s[2:3]
	v_cmp_le_i32_e64 s[0:1], v2, v3
	s_and_b64 s[0:1], vcc, s[0:1]
	s_and_saveexec_b64 s[2:3], s[0:1]
	s_cbranch_execz .LBB722_12
; %bb.11:
	v_mul_f64 v[0:1], s[14:15], v[10:11]
	v_mul_f64 v[8:9], s[12:13], v[10:11]
	v_ashrrev_i32_e32 v3, 31, v2
	v_fma_f64 v[6:7], s[12:13], v[12:13], -v[0:1]
	v_fma_f64 v[8:9], s[14:15], v[12:13], v[8:9]
	v_lshlrev_b64 v[0:1], 4, v[2:3]
	v_add_co_u32_e32 v0, vcc, v4, v0
	v_addc_co_u32_e32 v1, vcc, v5, v1, vcc
	flat_store_dwordx4 v[0:1], v[6:9]
.LBB722_12:
	s_endpgm
	.section	.rodata,"a",@progbits
	.p2align	6, 0x0
	.amdhsa_kernel _ZL37rocblas_syrkx_herkx_restricted_kernelIi19rocblas_complex_numIdELi16ELi32ELi8ELb1ELb0ELc84ELc85EKPKS1_KPS1_EviT_T0_PT8_S7_lSA_S7_lS8_PT9_S7_li
		.amdhsa_group_segment_fixed_size 8192
		.amdhsa_private_segment_fixed_size 0
		.amdhsa_kernarg_size 116
		.amdhsa_user_sgpr_count 6
		.amdhsa_user_sgpr_private_segment_buffer 1
		.amdhsa_user_sgpr_dispatch_ptr 0
		.amdhsa_user_sgpr_queue_ptr 0
		.amdhsa_user_sgpr_kernarg_segment_ptr 1
		.amdhsa_user_sgpr_dispatch_id 0
		.amdhsa_user_sgpr_flat_scratch_init 0
		.amdhsa_user_sgpr_private_segment_size 0
		.amdhsa_uses_dynamic_stack 0
		.amdhsa_system_sgpr_private_segment_wavefront_offset 0
		.amdhsa_system_sgpr_workgroup_id_x 1
		.amdhsa_system_sgpr_workgroup_id_y 1
		.amdhsa_system_sgpr_workgroup_id_z 1
		.amdhsa_system_sgpr_workgroup_info 0
		.amdhsa_system_vgpr_workitem_id 1
		.amdhsa_next_free_vgpr 52
		.amdhsa_next_free_sgpr 61
		.amdhsa_reserve_vcc 1
		.amdhsa_reserve_flat_scratch 0
		.amdhsa_float_round_mode_32 0
		.amdhsa_float_round_mode_16_64 0
		.amdhsa_float_denorm_mode_32 3
		.amdhsa_float_denorm_mode_16_64 3
		.amdhsa_dx10_clamp 1
		.amdhsa_ieee_mode 1
		.amdhsa_fp16_overflow 0
		.amdhsa_exception_fp_ieee_invalid_op 0
		.amdhsa_exception_fp_denorm_src 0
		.amdhsa_exception_fp_ieee_div_zero 0
		.amdhsa_exception_fp_ieee_overflow 0
		.amdhsa_exception_fp_ieee_underflow 0
		.amdhsa_exception_fp_ieee_inexact 0
		.amdhsa_exception_int_div_zero 0
	.end_amdhsa_kernel
	.section	.text._ZL37rocblas_syrkx_herkx_restricted_kernelIi19rocblas_complex_numIdELi16ELi32ELi8ELb1ELb0ELc84ELc85EKPKS1_KPS1_EviT_T0_PT8_S7_lSA_S7_lS8_PT9_S7_li,"axG",@progbits,_ZL37rocblas_syrkx_herkx_restricted_kernelIi19rocblas_complex_numIdELi16ELi32ELi8ELb1ELb0ELc84ELc85EKPKS1_KPS1_EviT_T0_PT8_S7_lSA_S7_lS8_PT9_S7_li,comdat
.Lfunc_end722:
	.size	_ZL37rocblas_syrkx_herkx_restricted_kernelIi19rocblas_complex_numIdELi16ELi32ELi8ELb1ELb0ELc84ELc85EKPKS1_KPS1_EviT_T0_PT8_S7_lSA_S7_lS8_PT9_S7_li, .Lfunc_end722-_ZL37rocblas_syrkx_herkx_restricted_kernelIi19rocblas_complex_numIdELi16ELi32ELi8ELb1ELb0ELc84ELc85EKPKS1_KPS1_EviT_T0_PT8_S7_lSA_S7_lS8_PT9_S7_li
                                        ; -- End function
	.set _ZL37rocblas_syrkx_herkx_restricted_kernelIi19rocblas_complex_numIdELi16ELi32ELi8ELb1ELb0ELc84ELc85EKPKS1_KPS1_EviT_T0_PT8_S7_lSA_S7_lS8_PT9_S7_li.num_vgpr, 52
	.set _ZL37rocblas_syrkx_herkx_restricted_kernelIi19rocblas_complex_numIdELi16ELi32ELi8ELb1ELb0ELc84ELc85EKPKS1_KPS1_EviT_T0_PT8_S7_lSA_S7_lS8_PT9_S7_li.num_agpr, 0
	.set _ZL37rocblas_syrkx_herkx_restricted_kernelIi19rocblas_complex_numIdELi16ELi32ELi8ELb1ELb0ELc84ELc85EKPKS1_KPS1_EviT_T0_PT8_S7_lSA_S7_lS8_PT9_S7_li.numbered_sgpr, 21
	.set _ZL37rocblas_syrkx_herkx_restricted_kernelIi19rocblas_complex_numIdELi16ELi32ELi8ELb1ELb0ELc84ELc85EKPKS1_KPS1_EviT_T0_PT8_S7_lSA_S7_lS8_PT9_S7_li.num_named_barrier, 0
	.set _ZL37rocblas_syrkx_herkx_restricted_kernelIi19rocblas_complex_numIdELi16ELi32ELi8ELb1ELb0ELc84ELc85EKPKS1_KPS1_EviT_T0_PT8_S7_lSA_S7_lS8_PT9_S7_li.private_seg_size, 0
	.set _ZL37rocblas_syrkx_herkx_restricted_kernelIi19rocblas_complex_numIdELi16ELi32ELi8ELb1ELb0ELc84ELc85EKPKS1_KPS1_EviT_T0_PT8_S7_lSA_S7_lS8_PT9_S7_li.uses_vcc, 1
	.set _ZL37rocblas_syrkx_herkx_restricted_kernelIi19rocblas_complex_numIdELi16ELi32ELi8ELb1ELb0ELc84ELc85EKPKS1_KPS1_EviT_T0_PT8_S7_lSA_S7_lS8_PT9_S7_li.uses_flat_scratch, 0
	.set _ZL37rocblas_syrkx_herkx_restricted_kernelIi19rocblas_complex_numIdELi16ELi32ELi8ELb1ELb0ELc84ELc85EKPKS1_KPS1_EviT_T0_PT8_S7_lSA_S7_lS8_PT9_S7_li.has_dyn_sized_stack, 0
	.set _ZL37rocblas_syrkx_herkx_restricted_kernelIi19rocblas_complex_numIdELi16ELi32ELi8ELb1ELb0ELc84ELc85EKPKS1_KPS1_EviT_T0_PT8_S7_lSA_S7_lS8_PT9_S7_li.has_recursion, 0
	.set _ZL37rocblas_syrkx_herkx_restricted_kernelIi19rocblas_complex_numIdELi16ELi32ELi8ELb1ELb0ELc84ELc85EKPKS1_KPS1_EviT_T0_PT8_S7_lSA_S7_lS8_PT9_S7_li.has_indirect_call, 0
	.section	.AMDGPU.csdata,"",@progbits
; Kernel info:
; codeLenInByte = 2856
; TotalNumSgprs: 25
; NumVgprs: 52
; ScratchSize: 0
; MemoryBound: 0
; FloatMode: 240
; IeeeMode: 1
; LDSByteSize: 8192 bytes/workgroup (compile time only)
; SGPRBlocks: 8
; VGPRBlocks: 12
; NumSGPRsForWavesPerEU: 65
; NumVGPRsForWavesPerEU: 52
; Occupancy: 4
; WaveLimiterHint : 1
; COMPUTE_PGM_RSRC2:SCRATCH_EN: 0
; COMPUTE_PGM_RSRC2:USER_SGPR: 6
; COMPUTE_PGM_RSRC2:TRAP_HANDLER: 0
; COMPUTE_PGM_RSRC2:TGID_X_EN: 1
; COMPUTE_PGM_RSRC2:TGID_Y_EN: 1
; COMPUTE_PGM_RSRC2:TGID_Z_EN: 1
; COMPUTE_PGM_RSRC2:TIDIG_COMP_CNT: 1
	.section	.text._ZL37rocblas_syrkx_herkx_restricted_kernelIi19rocblas_complex_numIdELi16ELi32ELi8ELb1ELb0ELc67ELc85EKPKS1_KPS1_EviT_T0_PT8_S7_lSA_S7_lS8_PT9_S7_li,"axG",@progbits,_ZL37rocblas_syrkx_herkx_restricted_kernelIi19rocblas_complex_numIdELi16ELi32ELi8ELb1ELb0ELc67ELc85EKPKS1_KPS1_EviT_T0_PT8_S7_lSA_S7_lS8_PT9_S7_li,comdat
	.globl	_ZL37rocblas_syrkx_herkx_restricted_kernelIi19rocblas_complex_numIdELi16ELi32ELi8ELb1ELb0ELc67ELc85EKPKS1_KPS1_EviT_T0_PT8_S7_lSA_S7_lS8_PT9_S7_li ; -- Begin function _ZL37rocblas_syrkx_herkx_restricted_kernelIi19rocblas_complex_numIdELi16ELi32ELi8ELb1ELb0ELc67ELc85EKPKS1_KPS1_EviT_T0_PT8_S7_lSA_S7_lS8_PT9_S7_li
	.p2align	8
	.type	_ZL37rocblas_syrkx_herkx_restricted_kernelIi19rocblas_complex_numIdELi16ELi32ELi8ELb1ELb0ELc67ELc85EKPKS1_KPS1_EviT_T0_PT8_S7_lSA_S7_lS8_PT9_S7_li,@function
_ZL37rocblas_syrkx_herkx_restricted_kernelIi19rocblas_complex_numIdELi16ELi32ELi8ELb1ELb0ELc67ELc85EKPKS1_KPS1_EviT_T0_PT8_S7_lSA_S7_lS8_PT9_S7_li: ; @_ZL37rocblas_syrkx_herkx_restricted_kernelIi19rocblas_complex_numIdELi16ELi32ELi8ELb1ELb0ELc67ELc85EKPKS1_KPS1_EviT_T0_PT8_S7_lSA_S7_lS8_PT9_S7_li
; %bb.0:
	s_load_dwordx2 s[0:1], s[4:5], 0x18
	s_load_dwordx2 s[10:11], s[4:5], 0x58
	;; [unrolled: 1-line block ×3, first 2 shown]
	s_load_dwordx4 s[12:15], s[4:5], 0x8
	s_mov_b32 s9, 0
	s_lshl_b64 s[16:17], s[8:9], 3
	s_waitcnt lgkmcnt(0)
	s_add_u32 s10, s10, s16
	s_addc_u32 s11, s11, s17
	s_load_dwordx2 s[10:11], s[10:11], 0x0
	s_lshl_b32 s6, s6, 5
	s_lshl_b32 s7, s7, 5
	s_cmp_lt_i32 s3, 1
	s_cbranch_scc1 .LBB723_3
; %bb.1:
	s_load_dword s8, s[4:5], 0x20
	s_load_dwordx2 s[18:19], s[4:5], 0x30
	s_load_dword s20, s[4:5], 0x38
	s_add_u32 s0, s0, s16
	v_lshl_add_u32 v3, v1, 4, v0
	s_addc_u32 s1, s1, s17
	v_lshrrev_b32_e32 v8, 3, v3
	s_waitcnt lgkmcnt(0)
	s_add_u32 s16, s18, s16
	v_lshrrev_b32_e32 v2, 5, v3
	v_and_b32_e32 v4, 7, v0
	v_and_b32_e32 v9, 31, v3
	v_add_u32_e32 v3, s7, v8
	v_mov_b32_e32 v5, 0
	s_addc_u32 s17, s19, s17
	v_mad_i64_i32 v[6:7], s[18:19], s20, v3, v[4:5]
	v_mov_b32_e32 v3, v5
	v_lshlrev_b32_e32 v5, 4, v9
	v_lshl_or_b32 v22, v2, 9, v5
	v_add_u32_e32 v5, s6, v9
	v_mad_i64_i32 v[2:3], s[18:19], s8, v5, v[2:3]
	s_load_dwordx2 s[0:1], s[0:1], 0x0
	v_lshlrev_b32_e32 v4, 4, v4
	s_load_dwordx2 s[16:17], s[16:17], 0x0
	v_lshlrev_b64 v[2:3], 4, v[2:3]
	v_lshl_or_b32 v4, v8, 7, v4
	v_add_u32_e32 v23, 0x1000, v4
	s_waitcnt lgkmcnt(0)
	v_mov_b32_e32 v4, s1
	v_add_co_u32_e32 v2, vcc, s0, v2
	v_addc_co_u32_e32 v3, vcc, v4, v3, vcc
	v_lshlrev_b64 v[4:5], 4, v[6:7]
	v_mov_b32_e32 v6, s17
	v_add_co_u32_e32 v4, vcc, s16, v4
	v_mov_b32_e32 v25, 0x1000
	v_addc_co_u32_e32 v5, vcc, v6, v5, vcc
	v_mov_b32_e32 v10, 0
	v_mov_b32_e32 v12, 0
	;; [unrolled: 1-line block ×8, first 2 shown]
	v_lshlrev_b32_e32 v24, 4, v0
	v_mov_b32_e32 v11, 0
	v_mov_b32_e32 v13, 0
	;; [unrolled: 1-line block ×8, first 2 shown]
	v_lshl_add_u32 v25, v1, 7, v25
.LBB723_2:                              ; =>This Inner Loop Header: Depth=1
	flat_load_dwordx4 v[26:29], v[2:3]
	v_add_co_u32_e32 v2, vcc, 0x80, v2
	v_addc_co_u32_e32 v3, vcc, 0, v3, vcc
	s_add_i32 s9, s9, 8
	s_cmp_ge_i32 s9, s3
	s_waitcnt vmcnt(0) lgkmcnt(0)
	ds_write_b128 v22, v[26:29]
	flat_load_dwordx4 v[26:29], v[4:5]
	v_add_co_u32_e32 v4, vcc, 0x80, v4
	v_addc_co_u32_e32 v5, vcc, 0, v5, vcc
	s_waitcnt vmcnt(0) lgkmcnt(0)
	ds_write_b128 v23, v[26:29]
	s_waitcnt lgkmcnt(0)
	s_barrier
	ds_read_b128 v[26:29], v25
	ds_read_b128 v[30:33], v25 offset:16
	ds_read_b128 v[34:37], v25 offset:32
	;; [unrolled: 1-line block ×3, first 2 shown]
	ds_read_b128 v[42:45], v24
	s_waitcnt lgkmcnt(0)
	v_mul_f64 v[46:47], v[28:29], v[44:45]
	v_mul_f64 v[48:49], v[26:27], v[44:45]
	v_fma_f64 v[46:47], v[26:27], v[42:43], -v[46:47]
	v_fma_f64 v[48:49], v[28:29], v[42:43], v[48:49]
	v_add_f64 v[46:47], v[14:15], v[46:47]
	v_add_f64 v[48:49], v[48:49], v[16:17]
	ds_read_b128 v[14:17], v24 offset:256
	s_waitcnt lgkmcnt(0)
	v_mul_f64 v[50:51], v[28:29], v[16:17]
	v_fma_f64 v[50:51], v[26:27], v[14:15], -v[50:51]
	v_mul_f64 v[26:27], v[26:27], v[16:17]
	v_fma_f64 v[26:27], v[28:29], v[14:15], v[26:27]
	v_add_f64 v[28:29], v[6:7], v[50:51]
	v_add_f64 v[26:27], v[26:27], v[8:9]
	ds_read_b128 v[6:9], v25 offset:2048
	s_waitcnt lgkmcnt(0)
	v_mul_f64 v[50:51], v[8:9], v[44:45]
	v_mul_f64 v[44:45], v[6:7], v[44:45]
	v_fma_f64 v[50:51], v[6:7], v[42:43], -v[50:51]
	v_fma_f64 v[42:43], v[8:9], v[42:43], v[44:45]
	v_add_f64 v[18:19], v[18:19], v[50:51]
	v_add_f64 v[20:21], v[42:43], v[20:21]
	v_mul_f64 v[42:43], v[8:9], v[16:17]
	v_fma_f64 v[42:43], v[6:7], v[14:15], -v[42:43]
	v_mul_f64 v[6:7], v[6:7], v[16:17]
	v_add_f64 v[42:43], v[12:13], v[42:43]
	v_fma_f64 v[6:7], v[8:9], v[14:15], v[6:7]
	v_add_f64 v[44:45], v[6:7], v[10:11]
	ds_read_b128 v[6:9], v24 offset:512
	s_waitcnt lgkmcnt(0)
	v_mul_f64 v[10:11], v[32:33], v[8:9]
	v_mul_f64 v[12:13], v[30:31], v[8:9]
	v_fma_f64 v[10:11], v[30:31], v[6:7], -v[10:11]
	v_fma_f64 v[12:13], v[32:33], v[6:7], v[12:13]
	v_add_f64 v[46:47], v[46:47], v[10:11]
	v_add_f64 v[48:49], v[12:13], v[48:49]
	ds_read_b128 v[10:13], v24 offset:768
	s_waitcnt lgkmcnt(0)
	v_mul_f64 v[14:15], v[32:33], v[12:13]
	v_mul_f64 v[16:17], v[30:31], v[12:13]
	v_fma_f64 v[14:15], v[30:31], v[10:11], -v[14:15]
	v_fma_f64 v[16:17], v[32:33], v[10:11], v[16:17]
	v_add_f64 v[28:29], v[28:29], v[14:15]
	v_add_f64 v[26:27], v[16:17], v[26:27]
	ds_read_b128 v[14:17], v25 offset:2064
	s_waitcnt lgkmcnt(0)
	v_mul_f64 v[30:31], v[16:17], v[8:9]
	v_mul_f64 v[8:9], v[14:15], v[8:9]
	v_fma_f64 v[30:31], v[14:15], v[6:7], -v[30:31]
	v_fma_f64 v[6:7], v[16:17], v[6:7], v[8:9]
	v_mul_f64 v[8:9], v[14:15], v[12:13]
	v_add_f64 v[18:19], v[18:19], v[30:31]
	v_add_f64 v[20:21], v[6:7], v[20:21]
	v_mul_f64 v[6:7], v[16:17], v[12:13]
	v_fma_f64 v[8:9], v[16:17], v[10:11], v[8:9]
	v_fma_f64 v[6:7], v[14:15], v[10:11], -v[6:7]
	v_add_f64 v[32:33], v[8:9], v[44:45]
	v_add_f64 v[30:31], v[42:43], v[6:7]
	ds_read_b128 v[6:9], v24 offset:1024
	s_waitcnt lgkmcnt(0)
	v_mul_f64 v[10:11], v[36:37], v[8:9]
	v_mul_f64 v[12:13], v[34:35], v[8:9]
	v_fma_f64 v[10:11], v[34:35], v[6:7], -v[10:11]
	v_fma_f64 v[12:13], v[36:37], v[6:7], v[12:13]
	v_add_f64 v[42:43], v[46:47], v[10:11]
	v_add_f64 v[44:45], v[12:13], v[48:49]
	ds_read_b128 v[10:13], v24 offset:1280
	s_waitcnt lgkmcnt(0)
	v_mul_f64 v[14:15], v[36:37], v[12:13]
	v_mul_f64 v[16:17], v[34:35], v[12:13]
	v_fma_f64 v[14:15], v[34:35], v[10:11], -v[14:15]
	v_fma_f64 v[16:17], v[36:37], v[10:11], v[16:17]
	v_add_f64 v[28:29], v[28:29], v[14:15]
	v_add_f64 v[26:27], v[16:17], v[26:27]
	ds_read_b128 v[14:17], v25 offset:2080
	s_waitcnt lgkmcnt(0)
	v_mul_f64 v[34:35], v[16:17], v[8:9]
	v_mul_f64 v[8:9], v[14:15], v[8:9]
	v_fma_f64 v[34:35], v[14:15], v[6:7], -v[34:35]
	v_fma_f64 v[6:7], v[16:17], v[6:7], v[8:9]
	v_mul_f64 v[8:9], v[14:15], v[12:13]
	v_add_f64 v[18:19], v[18:19], v[34:35]
	v_add_f64 v[20:21], v[6:7], v[20:21]
	v_mul_f64 v[6:7], v[16:17], v[12:13]
	v_fma_f64 v[8:9], v[16:17], v[10:11], v[8:9]
	v_fma_f64 v[6:7], v[14:15], v[10:11], -v[6:7]
	v_add_f64 v[32:33], v[8:9], v[32:33]
	;; [unrolled: 30-line block ×3, first 2 shown]
	v_add_f64 v[30:31], v[30:31], v[6:7]
	ds_read_b128 v[6:9], v25 offset:64
	ds_read_b128 v[10:13], v24 offset:2048
	s_waitcnt lgkmcnt(0)
	v_mul_f64 v[14:15], v[8:9], v[12:13]
	v_mul_f64 v[16:17], v[6:7], v[12:13]
	v_fma_f64 v[14:15], v[6:7], v[10:11], -v[14:15]
	v_fma_f64 v[16:17], v[8:9], v[10:11], v[16:17]
	v_add_f64 v[34:35], v[34:35], v[14:15]
	v_add_f64 v[36:37], v[16:17], v[36:37]
	ds_read_b128 v[14:17], v24 offset:2304
	s_waitcnt lgkmcnt(0)
	v_mul_f64 v[38:39], v[8:9], v[16:17]
	v_fma_f64 v[38:39], v[6:7], v[14:15], -v[38:39]
	v_mul_f64 v[6:7], v[6:7], v[16:17]
	v_add_f64 v[28:29], v[28:29], v[38:39]
	v_fma_f64 v[6:7], v[8:9], v[14:15], v[6:7]
	v_add_f64 v[26:27], v[6:7], v[26:27]
	ds_read_b128 v[6:9], v25 offset:2112
	s_waitcnt lgkmcnt(0)
	v_mul_f64 v[38:39], v[8:9], v[12:13]
	v_mul_f64 v[12:13], v[6:7], v[12:13]
	v_fma_f64 v[38:39], v[6:7], v[10:11], -v[38:39]
	v_fma_f64 v[10:11], v[8:9], v[10:11], v[12:13]
	v_add_f64 v[18:19], v[18:19], v[38:39]
	v_add_f64 v[20:21], v[10:11], v[20:21]
	v_mul_f64 v[10:11], v[8:9], v[16:17]
	v_fma_f64 v[10:11], v[6:7], v[14:15], -v[10:11]
	v_mul_f64 v[6:7], v[6:7], v[16:17]
	v_add_f64 v[30:31], v[30:31], v[10:11]
	v_fma_f64 v[6:7], v[8:9], v[14:15], v[6:7]
	v_add_f64 v[32:33], v[6:7], v[32:33]
	ds_read_b128 v[6:9], v25 offset:80
	ds_read_b128 v[10:13], v24 offset:2560
	s_waitcnt lgkmcnt(0)
	v_mul_f64 v[14:15], v[8:9], v[12:13]
	v_mul_f64 v[16:17], v[6:7], v[12:13]
	v_fma_f64 v[14:15], v[6:7], v[10:11], -v[14:15]
	v_fma_f64 v[16:17], v[8:9], v[10:11], v[16:17]
	v_add_f64 v[34:35], v[34:35], v[14:15]
	v_add_f64 v[36:37], v[16:17], v[36:37]
	ds_read_b128 v[14:17], v24 offset:2816
	s_waitcnt lgkmcnt(0)
	v_mul_f64 v[38:39], v[8:9], v[16:17]
	v_fma_f64 v[38:39], v[6:7], v[14:15], -v[38:39]
	v_mul_f64 v[6:7], v[6:7], v[16:17]
	v_add_f64 v[28:29], v[28:29], v[38:39]
	v_fma_f64 v[6:7], v[8:9], v[14:15], v[6:7]
	v_add_f64 v[26:27], v[6:7], v[26:27]
	ds_read_b128 v[6:9], v25 offset:2128
	s_waitcnt lgkmcnt(0)
	v_mul_f64 v[38:39], v[8:9], v[12:13]
	v_mul_f64 v[12:13], v[6:7], v[12:13]
	v_fma_f64 v[38:39], v[6:7], v[10:11], -v[38:39]
	v_fma_f64 v[10:11], v[8:9], v[10:11], v[12:13]
	v_add_f64 v[18:19], v[18:19], v[38:39]
	v_add_f64 v[20:21], v[10:11], v[20:21]
	v_mul_f64 v[10:11], v[8:9], v[16:17]
	v_fma_f64 v[10:11], v[6:7], v[14:15], -v[10:11]
	v_mul_f64 v[6:7], v[6:7], v[16:17]
	v_add_f64 v[30:31], v[30:31], v[10:11]
	v_fma_f64 v[6:7], v[8:9], v[14:15], v[6:7]
	;; [unrolled: 31-line block ×3, first 2 shown]
	v_add_f64 v[44:45], v[6:7], v[32:33]
	ds_read_b128 v[6:9], v25 offset:112
	ds_read_b128 v[10:13], v24 offset:3584
	;; [unrolled: 1-line block ×3, first 2 shown]
	s_waitcnt lgkmcnt(1)
	v_mul_f64 v[14:15], v[8:9], v[12:13]
	s_waitcnt lgkmcnt(0)
	v_mul_f64 v[30:31], v[8:9], v[28:29]
	v_mul_f64 v[16:17], v[6:7], v[12:13]
	v_fma_f64 v[14:15], v[6:7], v[10:11], -v[14:15]
	v_fma_f64 v[30:31], v[6:7], v[26:27], -v[30:31]
	v_mul_f64 v[6:7], v[6:7], v[28:29]
	v_fma_f64 v[16:17], v[8:9], v[10:11], v[16:17]
	v_add_f64 v[14:15], v[34:35], v[14:15]
	v_fma_f64 v[8:9], v[8:9], v[26:27], v[6:7]
	v_add_f64 v[6:7], v[38:39], v[30:31]
	ds_read_b128 v[30:33], v25 offset:2160
	v_add_f64 v[16:17], v[16:17], v[36:37]
	s_waitcnt lgkmcnt(0)
	s_barrier
	v_mul_f64 v[34:35], v[32:33], v[12:13]
	v_mul_f64 v[12:13], v[30:31], v[12:13]
	v_add_f64 v[8:9], v[8:9], v[40:41]
	v_fma_f64 v[34:35], v[30:31], v[10:11], -v[34:35]
	v_fma_f64 v[10:11], v[32:33], v[10:11], v[12:13]
	v_mul_f64 v[12:13], v[30:31], v[28:29]
	v_add_f64 v[18:19], v[18:19], v[34:35]
	v_add_f64 v[20:21], v[10:11], v[20:21]
	v_mul_f64 v[10:11], v[32:33], v[28:29]
	v_fma_f64 v[10:11], v[30:31], v[26:27], -v[10:11]
	v_fma_f64 v[26:27], v[32:33], v[26:27], v[12:13]
	v_add_f64 v[12:13], v[42:43], v[10:11]
	v_add_f64 v[10:11], v[26:27], v[44:45]
	s_cbranch_scc0 .LBB723_2
	s_branch .LBB723_4
.LBB723_3:
	v_mov_b32_e32 v14, 0
	v_mov_b32_e32 v16, 0
	;; [unrolled: 1-line block ×16, first 2 shown]
.LBB723_4:
	s_load_dword s3, s[4:5], 0x60
	v_add_u32_e32 v4, s7, v1
	s_waitcnt lgkmcnt(0)
	v_mov_b32_e32 v3, s11
	v_add_u32_e32 v0, s6, v0
	v_cmp_gt_i32_e32 vcc, s2, v4
	v_mad_i64_i32 v[1:2], s[0:1], v4, s3, 0
	v_lshlrev_b64 v[1:2], 4, v[1:2]
	v_add_co_u32_e64 v5, s[0:1], s10, v1
	v_addc_co_u32_e64 v22, s[0:1], v3, v2, s[0:1]
	v_cmp_le_i32_e64 s[0:1], v0, v4
	s_and_b64 s[0:1], vcc, s[0:1]
	s_and_saveexec_b64 s[4:5], s[0:1]
	s_cbranch_execz .LBB723_6
; %bb.5:
	v_mul_f64 v[1:2], s[14:15], v[16:17]
	v_mul_f64 v[16:17], s[12:13], v[16:17]
	v_fma_f64 v[23:24], s[12:13], v[14:15], -v[1:2]
	v_fma_f64 v[25:26], s[14:15], v[14:15], v[16:17]
	v_ashrrev_i32_e32 v1, 31, v0
	v_lshlrev_b64 v[1:2], 4, v[0:1]
	v_add_co_u32_e64 v1, s[0:1], v5, v1
	v_addc_co_u32_e64 v2, s[0:1], v22, v2, s[0:1]
	flat_store_dwordx4 v[1:2], v[23:26]
.LBB723_6:
	s_or_b64 exec, exec, s[4:5]
	v_add_u32_e32 v2, 16, v0
	v_cmp_le_i32_e64 s[0:1], v2, v4
	s_and_b64 s[4:5], vcc, s[0:1]
	s_and_saveexec_b64 s[0:1], s[4:5]
	s_cbranch_execz .LBB723_8
; %bb.7:
	v_mul_f64 v[14:15], s[14:15], v[8:9]
	v_mul_f64 v[8:9], s[12:13], v[8:9]
	v_ashrrev_i32_e32 v3, 31, v2
	v_fma_f64 v[14:15], s[12:13], v[6:7], -v[14:15]
	v_fma_f64 v[16:17], s[14:15], v[6:7], v[8:9]
	v_lshlrev_b64 v[6:7], 4, v[2:3]
	v_add_co_u32_e32 v5, vcc, v5, v6
	v_addc_co_u32_e32 v6, vcc, v22, v7, vcc
	flat_store_dwordx4 v[5:6], v[14:17]
.LBB723_8:
	s_or_b64 exec, exec, s[0:1]
	v_add_u32_e32 v3, 16, v4
	v_mad_i64_i32 v[4:5], s[0:1], v3, s3, 0
	v_mov_b32_e32 v1, s11
	v_cmp_gt_i32_e32 vcc, s2, v3
	v_lshlrev_b64 v[4:5], 4, v[4:5]
	v_add_co_u32_e64 v4, s[0:1], s10, v4
	v_addc_co_u32_e64 v5, s[0:1], v1, v5, s[0:1]
	v_cmp_le_i32_e64 s[0:1], v0, v3
	s_and_b64 s[0:1], vcc, s[0:1]
	s_and_saveexec_b64 s[2:3], s[0:1]
	s_cbranch_execz .LBB723_10
; %bb.9:
	v_mul_f64 v[6:7], s[14:15], v[20:21]
	v_mul_f64 v[8:9], s[12:13], v[20:21]
	v_ashrrev_i32_e32 v1, 31, v0
	v_lshlrev_b64 v[0:1], 4, v[0:1]
	v_add_co_u32_e64 v0, s[0:1], v4, v0
	v_addc_co_u32_e64 v1, s[0:1], v5, v1, s[0:1]
	v_fma_f64 v[6:7], s[12:13], v[18:19], -v[6:7]
	v_fma_f64 v[8:9], s[14:15], v[18:19], v[8:9]
	flat_store_dwordx4 v[0:1], v[6:9]
.LBB723_10:
	s_or_b64 exec, exec, s[2:3]
	v_cmp_le_i32_e64 s[0:1], v2, v3
	s_and_b64 s[0:1], vcc, s[0:1]
	s_and_saveexec_b64 s[2:3], s[0:1]
	s_cbranch_execz .LBB723_12
; %bb.11:
	v_mul_f64 v[0:1], s[14:15], v[10:11]
	v_mul_f64 v[8:9], s[12:13], v[10:11]
	v_ashrrev_i32_e32 v3, 31, v2
	v_fma_f64 v[6:7], s[12:13], v[12:13], -v[0:1]
	v_fma_f64 v[8:9], s[14:15], v[12:13], v[8:9]
	v_lshlrev_b64 v[0:1], 4, v[2:3]
	v_add_co_u32_e32 v0, vcc, v4, v0
	v_addc_co_u32_e32 v1, vcc, v5, v1, vcc
	flat_store_dwordx4 v[0:1], v[6:9]
.LBB723_12:
	s_endpgm
	.section	.rodata,"a",@progbits
	.p2align	6, 0x0
	.amdhsa_kernel _ZL37rocblas_syrkx_herkx_restricted_kernelIi19rocblas_complex_numIdELi16ELi32ELi8ELb1ELb0ELc67ELc85EKPKS1_KPS1_EviT_T0_PT8_S7_lSA_S7_lS8_PT9_S7_li
		.amdhsa_group_segment_fixed_size 8192
		.amdhsa_private_segment_fixed_size 0
		.amdhsa_kernarg_size 116
		.amdhsa_user_sgpr_count 6
		.amdhsa_user_sgpr_private_segment_buffer 1
		.amdhsa_user_sgpr_dispatch_ptr 0
		.amdhsa_user_sgpr_queue_ptr 0
		.amdhsa_user_sgpr_kernarg_segment_ptr 1
		.amdhsa_user_sgpr_dispatch_id 0
		.amdhsa_user_sgpr_flat_scratch_init 0
		.amdhsa_user_sgpr_private_segment_size 0
		.amdhsa_uses_dynamic_stack 0
		.amdhsa_system_sgpr_private_segment_wavefront_offset 0
		.amdhsa_system_sgpr_workgroup_id_x 1
		.amdhsa_system_sgpr_workgroup_id_y 1
		.amdhsa_system_sgpr_workgroup_id_z 1
		.amdhsa_system_sgpr_workgroup_info 0
		.amdhsa_system_vgpr_workitem_id 1
		.amdhsa_next_free_vgpr 52
		.amdhsa_next_free_sgpr 61
		.amdhsa_reserve_vcc 1
		.amdhsa_reserve_flat_scratch 0
		.amdhsa_float_round_mode_32 0
		.amdhsa_float_round_mode_16_64 0
		.amdhsa_float_denorm_mode_32 3
		.amdhsa_float_denorm_mode_16_64 3
		.amdhsa_dx10_clamp 1
		.amdhsa_ieee_mode 1
		.amdhsa_fp16_overflow 0
		.amdhsa_exception_fp_ieee_invalid_op 0
		.amdhsa_exception_fp_denorm_src 0
		.amdhsa_exception_fp_ieee_div_zero 0
		.amdhsa_exception_fp_ieee_overflow 0
		.amdhsa_exception_fp_ieee_underflow 0
		.amdhsa_exception_fp_ieee_inexact 0
		.amdhsa_exception_int_div_zero 0
	.end_amdhsa_kernel
	.section	.text._ZL37rocblas_syrkx_herkx_restricted_kernelIi19rocblas_complex_numIdELi16ELi32ELi8ELb1ELb0ELc67ELc85EKPKS1_KPS1_EviT_T0_PT8_S7_lSA_S7_lS8_PT9_S7_li,"axG",@progbits,_ZL37rocblas_syrkx_herkx_restricted_kernelIi19rocblas_complex_numIdELi16ELi32ELi8ELb1ELb0ELc67ELc85EKPKS1_KPS1_EviT_T0_PT8_S7_lSA_S7_lS8_PT9_S7_li,comdat
.Lfunc_end723:
	.size	_ZL37rocblas_syrkx_herkx_restricted_kernelIi19rocblas_complex_numIdELi16ELi32ELi8ELb1ELb0ELc67ELc85EKPKS1_KPS1_EviT_T0_PT8_S7_lSA_S7_lS8_PT9_S7_li, .Lfunc_end723-_ZL37rocblas_syrkx_herkx_restricted_kernelIi19rocblas_complex_numIdELi16ELi32ELi8ELb1ELb0ELc67ELc85EKPKS1_KPS1_EviT_T0_PT8_S7_lSA_S7_lS8_PT9_S7_li
                                        ; -- End function
	.set _ZL37rocblas_syrkx_herkx_restricted_kernelIi19rocblas_complex_numIdELi16ELi32ELi8ELb1ELb0ELc67ELc85EKPKS1_KPS1_EviT_T0_PT8_S7_lSA_S7_lS8_PT9_S7_li.num_vgpr, 52
	.set _ZL37rocblas_syrkx_herkx_restricted_kernelIi19rocblas_complex_numIdELi16ELi32ELi8ELb1ELb0ELc67ELc85EKPKS1_KPS1_EviT_T0_PT8_S7_lSA_S7_lS8_PT9_S7_li.num_agpr, 0
	.set _ZL37rocblas_syrkx_herkx_restricted_kernelIi19rocblas_complex_numIdELi16ELi32ELi8ELb1ELb0ELc67ELc85EKPKS1_KPS1_EviT_T0_PT8_S7_lSA_S7_lS8_PT9_S7_li.numbered_sgpr, 21
	.set _ZL37rocblas_syrkx_herkx_restricted_kernelIi19rocblas_complex_numIdELi16ELi32ELi8ELb1ELb0ELc67ELc85EKPKS1_KPS1_EviT_T0_PT8_S7_lSA_S7_lS8_PT9_S7_li.num_named_barrier, 0
	.set _ZL37rocblas_syrkx_herkx_restricted_kernelIi19rocblas_complex_numIdELi16ELi32ELi8ELb1ELb0ELc67ELc85EKPKS1_KPS1_EviT_T0_PT8_S7_lSA_S7_lS8_PT9_S7_li.private_seg_size, 0
	.set _ZL37rocblas_syrkx_herkx_restricted_kernelIi19rocblas_complex_numIdELi16ELi32ELi8ELb1ELb0ELc67ELc85EKPKS1_KPS1_EviT_T0_PT8_S7_lSA_S7_lS8_PT9_S7_li.uses_vcc, 1
	.set _ZL37rocblas_syrkx_herkx_restricted_kernelIi19rocblas_complex_numIdELi16ELi32ELi8ELb1ELb0ELc67ELc85EKPKS1_KPS1_EviT_T0_PT8_S7_lSA_S7_lS8_PT9_S7_li.uses_flat_scratch, 0
	.set _ZL37rocblas_syrkx_herkx_restricted_kernelIi19rocblas_complex_numIdELi16ELi32ELi8ELb1ELb0ELc67ELc85EKPKS1_KPS1_EviT_T0_PT8_S7_lSA_S7_lS8_PT9_S7_li.has_dyn_sized_stack, 0
	.set _ZL37rocblas_syrkx_herkx_restricted_kernelIi19rocblas_complex_numIdELi16ELi32ELi8ELb1ELb0ELc67ELc85EKPKS1_KPS1_EviT_T0_PT8_S7_lSA_S7_lS8_PT9_S7_li.has_recursion, 0
	.set _ZL37rocblas_syrkx_herkx_restricted_kernelIi19rocblas_complex_numIdELi16ELi32ELi8ELb1ELb0ELc67ELc85EKPKS1_KPS1_EviT_T0_PT8_S7_lSA_S7_lS8_PT9_S7_li.has_indirect_call, 0
	.section	.AMDGPU.csdata,"",@progbits
; Kernel info:
; codeLenInByte = 2856
; TotalNumSgprs: 25
; NumVgprs: 52
; ScratchSize: 0
; MemoryBound: 0
; FloatMode: 240
; IeeeMode: 1
; LDSByteSize: 8192 bytes/workgroup (compile time only)
; SGPRBlocks: 8
; VGPRBlocks: 12
; NumSGPRsForWavesPerEU: 65
; NumVGPRsForWavesPerEU: 52
; Occupancy: 4
; WaveLimiterHint : 1
; COMPUTE_PGM_RSRC2:SCRATCH_EN: 0
; COMPUTE_PGM_RSRC2:USER_SGPR: 6
; COMPUTE_PGM_RSRC2:TRAP_HANDLER: 0
; COMPUTE_PGM_RSRC2:TGID_X_EN: 1
; COMPUTE_PGM_RSRC2:TGID_Y_EN: 1
; COMPUTE_PGM_RSRC2:TGID_Z_EN: 1
; COMPUTE_PGM_RSRC2:TIDIG_COMP_CNT: 1
	.section	.text._ZL37rocblas_syrkx_herkx_restricted_kernelIi19rocblas_complex_numIdELi16ELi32ELi8ELb1ELb0ELc78ELc85EKPKS1_KPS1_EviT_T0_PT8_S7_lSA_S7_lS8_PT9_S7_li,"axG",@progbits,_ZL37rocblas_syrkx_herkx_restricted_kernelIi19rocblas_complex_numIdELi16ELi32ELi8ELb1ELb0ELc78ELc85EKPKS1_KPS1_EviT_T0_PT8_S7_lSA_S7_lS8_PT9_S7_li,comdat
	.globl	_ZL37rocblas_syrkx_herkx_restricted_kernelIi19rocblas_complex_numIdELi16ELi32ELi8ELb1ELb0ELc78ELc85EKPKS1_KPS1_EviT_T0_PT8_S7_lSA_S7_lS8_PT9_S7_li ; -- Begin function _ZL37rocblas_syrkx_herkx_restricted_kernelIi19rocblas_complex_numIdELi16ELi32ELi8ELb1ELb0ELc78ELc85EKPKS1_KPS1_EviT_T0_PT8_S7_lSA_S7_lS8_PT9_S7_li
	.p2align	8
	.type	_ZL37rocblas_syrkx_herkx_restricted_kernelIi19rocblas_complex_numIdELi16ELi32ELi8ELb1ELb0ELc78ELc85EKPKS1_KPS1_EviT_T0_PT8_S7_lSA_S7_lS8_PT9_S7_li,@function
_ZL37rocblas_syrkx_herkx_restricted_kernelIi19rocblas_complex_numIdELi16ELi32ELi8ELb1ELb0ELc78ELc85EKPKS1_KPS1_EviT_T0_PT8_S7_lSA_S7_lS8_PT9_S7_li: ; @_ZL37rocblas_syrkx_herkx_restricted_kernelIi19rocblas_complex_numIdELi16ELi32ELi8ELb1ELb0ELc78ELc85EKPKS1_KPS1_EviT_T0_PT8_S7_lSA_S7_lS8_PT9_S7_li
; %bb.0:
	s_load_dwordx2 s[0:1], s[4:5], 0x18
	s_load_dwordx2 s[10:11], s[4:5], 0x58
	;; [unrolled: 1-line block ×3, first 2 shown]
	s_load_dwordx4 s[12:15], s[4:5], 0x8
	s_mov_b32 s9, 0
	s_lshl_b64 s[16:17], s[8:9], 3
	s_waitcnt lgkmcnt(0)
	s_add_u32 s10, s10, s16
	s_addc_u32 s11, s11, s17
	s_load_dwordx2 s[10:11], s[10:11], 0x0
	s_lshl_b32 s8, s6, 5
	s_lshl_b32 s18, s7, 5
	s_cmp_lt_i32 s3, 1
	s_cbranch_scc1 .LBB724_3
; %bb.1:
	s_load_dword s6, s[4:5], 0x20
	s_load_dword s20, s[4:5], 0x38
	s_load_dwordx2 s[22:23], s[4:5], 0x30
	v_lshl_add_u32 v2, v1, 4, v0
	v_lshrrev_b32_e32 v6, 3, v2
	s_waitcnt lgkmcnt(0)
	s_ashr_i32 s7, s6, 31
	s_ashr_i32 s21, s20, 31
	s_add_u32 s0, s0, s16
	s_addc_u32 s1, s1, s17
	v_lshrrev_b32_e32 v7, 5, v2
	v_and_b32_e32 v9, 31, v2
	v_add_u32_e32 v2, s18, v6
	s_add_u32 s16, s22, s16
	v_and_b32_e32 v8, 7, v0
	v_ashrrev_i32_e32 v3, 31, v2
	s_addc_u32 s17, s23, s17
	v_mad_i64_i32 v[4:5], s[22:23], s20, v8, v[2:3]
	v_lshlrev_b32_e32 v2, 4, v9
	v_lshl_or_b32 v22, v7, 9, v2
	v_lshlrev_b32_e32 v2, 4, v8
	v_lshl_or_b32 v2, v6, 7, v2
	v_add_u32_e32 v23, 0x1000, v2
	v_add_u32_e32 v2, s8, v9
	v_ashrrev_i32_e32 v3, 31, v2
	v_mad_i64_i32 v[2:3], s[22:23], s6, v7, v[2:3]
	s_load_dwordx2 s[0:1], s[0:1], 0x0
	v_mov_b32_e32 v6, 0x1000
	s_load_dwordx2 s[16:17], s[16:17], 0x0
	v_lshlrev_b64 v[2:3], 4, v[2:3]
	v_lshl_add_u32 v25, v1, 7, v6
	s_waitcnt lgkmcnt(0)
	v_mov_b32_e32 v6, s1
	v_add_co_u32_e32 v2, vcc, s0, v2
	v_lshlrev_b64 v[4:5], 4, v[4:5]
	v_addc_co_u32_e32 v3, vcc, v6, v3, vcc
	v_mov_b32_e32 v6, s17
	v_add_co_u32_e32 v4, vcc, s16, v4
	s_lshl_b64 s[0:1], s[6:7], 7
	v_addc_co_u32_e32 v5, vcc, v6, v5, vcc
	s_lshl_b64 s[6:7], s[20:21], 7
	v_mov_b32_e32 v10, 0
	v_mov_b32_e32 v12, 0
	;; [unrolled: 1-line block ×8, first 2 shown]
	v_lshlrev_b32_e32 v24, 4, v0
	v_mov_b32_e32 v11, 0
	v_mov_b32_e32 v26, s1
	;; [unrolled: 1-line block ×10, first 2 shown]
.LBB724_2:                              ; =>This Inner Loop Header: Depth=1
	flat_load_dwordx4 v[28:31], v[2:3]
	v_add_co_u32_e32 v2, vcc, s0, v2
	v_addc_co_u32_e32 v3, vcc, v3, v26, vcc
	s_add_i32 s9, s9, 8
	s_cmp_ge_i32 s9, s3
	s_waitcnt vmcnt(0) lgkmcnt(0)
	ds_write_b128 v22, v[28:31]
	flat_load_dwordx4 v[28:31], v[4:5]
	v_add_co_u32_e32 v4, vcc, s6, v4
	v_addc_co_u32_e32 v5, vcc, v5, v27, vcc
	s_waitcnt vmcnt(0) lgkmcnt(0)
	ds_write_b128 v23, v[28:31]
	s_waitcnt lgkmcnt(0)
	s_barrier
	ds_read_b128 v[28:31], v25
	ds_read_b128 v[32:35], v25 offset:16
	ds_read_b128 v[36:39], v25 offset:32
	;; [unrolled: 1-line block ×3, first 2 shown]
	ds_read_b128 v[44:47], v24
	s_waitcnt lgkmcnt(0)
	v_mul_f64 v[48:49], v[30:31], v[46:47]
	v_mul_f64 v[50:51], v[28:29], v[46:47]
	v_fma_f64 v[48:49], v[28:29], v[44:45], -v[48:49]
	v_fma_f64 v[50:51], v[30:31], v[44:45], v[50:51]
	v_add_f64 v[48:49], v[18:19], v[48:49]
	v_add_f64 v[50:51], v[50:51], v[20:21]
	ds_read_b128 v[18:21], v24 offset:256
	s_waitcnt lgkmcnt(0)
	v_mul_f64 v[52:53], v[30:31], v[20:21]
	v_fma_f64 v[52:53], v[28:29], v[18:19], -v[52:53]
	v_mul_f64 v[28:29], v[28:29], v[20:21]
	v_fma_f64 v[28:29], v[30:31], v[18:19], v[28:29]
	v_add_f64 v[30:31], v[6:7], v[52:53]
	v_add_f64 v[28:29], v[28:29], v[8:9]
	ds_read_b128 v[6:9], v25 offset:2048
	s_waitcnt lgkmcnt(0)
	v_mul_f64 v[52:53], v[8:9], v[46:47]
	v_mul_f64 v[46:47], v[6:7], v[46:47]
	v_fma_f64 v[52:53], v[6:7], v[44:45], -v[52:53]
	v_fma_f64 v[44:45], v[8:9], v[44:45], v[46:47]
	v_add_f64 v[46:47], v[14:15], v[52:53]
	v_mul_f64 v[14:15], v[8:9], v[20:21]
	v_add_f64 v[44:45], v[44:45], v[16:17]
	v_fma_f64 v[14:15], v[6:7], v[18:19], -v[14:15]
	v_mul_f64 v[6:7], v[6:7], v[20:21]
	v_fma_f64 v[6:7], v[8:9], v[18:19], v[6:7]
	v_add_f64 v[18:19], v[12:13], v[14:15]
	v_add_f64 v[20:21], v[6:7], v[10:11]
	ds_read_b128 v[6:9], v24 offset:512
	s_waitcnt lgkmcnt(0)
	v_mul_f64 v[10:11], v[34:35], v[8:9]
	v_mul_f64 v[12:13], v[32:33], v[8:9]
	v_fma_f64 v[10:11], v[32:33], v[6:7], -v[10:11]
	v_fma_f64 v[12:13], v[34:35], v[6:7], v[12:13]
	v_add_f64 v[48:49], v[48:49], v[10:11]
	v_add_f64 v[50:51], v[12:13], v[50:51]
	ds_read_b128 v[10:13], v24 offset:768
	s_waitcnt lgkmcnt(0)
	v_mul_f64 v[14:15], v[34:35], v[12:13]
	v_mul_f64 v[16:17], v[32:33], v[12:13]
	v_fma_f64 v[14:15], v[32:33], v[10:11], -v[14:15]
	;; [unrolled: 8-line block ×3, first 2 shown]
	v_fma_f64 v[6:7], v[16:17], v[6:7], v[8:9]
	v_mul_f64 v[8:9], v[14:15], v[12:13]
	v_add_f64 v[32:33], v[46:47], v[32:33]
	v_add_f64 v[34:35], v[6:7], v[44:45]
	v_mul_f64 v[6:7], v[16:17], v[12:13]
	v_fma_f64 v[8:9], v[16:17], v[10:11], v[8:9]
	v_fma_f64 v[6:7], v[14:15], v[10:11], -v[6:7]
	v_add_f64 v[20:21], v[8:9], v[20:21]
	v_add_f64 v[18:19], v[18:19], v[6:7]
	ds_read_b128 v[6:9], v24 offset:1024
	s_waitcnt lgkmcnt(0)
	v_mul_f64 v[10:11], v[38:39], v[8:9]
	v_mul_f64 v[12:13], v[36:37], v[8:9]
	v_fma_f64 v[10:11], v[36:37], v[6:7], -v[10:11]
	v_fma_f64 v[12:13], v[38:39], v[6:7], v[12:13]
	v_add_f64 v[44:45], v[48:49], v[10:11]
	v_add_f64 v[46:47], v[12:13], v[50:51]
	ds_read_b128 v[10:13], v24 offset:1280
	s_waitcnt lgkmcnt(0)
	v_mul_f64 v[14:15], v[38:39], v[12:13]
	v_mul_f64 v[16:17], v[36:37], v[12:13]
	v_fma_f64 v[14:15], v[36:37], v[10:11], -v[14:15]
	v_fma_f64 v[16:17], v[38:39], v[10:11], v[16:17]
	;; [unrolled: 8-line block ×3, first 2 shown]
	v_mul_f64 v[8:9], v[14:15], v[12:13]
	v_add_f64 v[32:33], v[32:33], v[36:37]
	v_add_f64 v[34:35], v[6:7], v[34:35]
	v_mul_f64 v[6:7], v[16:17], v[12:13]
	v_fma_f64 v[8:9], v[16:17], v[10:11], v[8:9]
	v_fma_f64 v[6:7], v[14:15], v[10:11], -v[6:7]
	v_add_f64 v[20:21], v[8:9], v[20:21]
	v_add_f64 v[18:19], v[18:19], v[6:7]
	ds_read_b128 v[6:9], v24 offset:1536
	s_waitcnt lgkmcnt(0)
	v_mul_f64 v[10:11], v[42:43], v[8:9]
	v_mul_f64 v[12:13], v[40:41], v[8:9]
	v_fma_f64 v[10:11], v[40:41], v[6:7], -v[10:11]
	v_fma_f64 v[12:13], v[42:43], v[6:7], v[12:13]
	v_add_f64 v[36:37], v[44:45], v[10:11]
	v_add_f64 v[38:39], v[12:13], v[46:47]
	ds_read_b128 v[10:13], v24 offset:1792
	s_waitcnt lgkmcnt(0)
	v_mul_f64 v[14:15], v[42:43], v[12:13]
	v_mul_f64 v[16:17], v[40:41], v[12:13]
	v_fma_f64 v[14:15], v[40:41], v[10:11], -v[14:15]
	v_fma_f64 v[16:17], v[42:43], v[10:11], v[16:17]
	;; [unrolled: 8-line block ×3, first 2 shown]
	v_mul_f64 v[8:9], v[14:15], v[12:13]
	v_add_f64 v[32:33], v[32:33], v[40:41]
	v_add_f64 v[34:35], v[6:7], v[34:35]
	v_mul_f64 v[6:7], v[16:17], v[12:13]
	v_fma_f64 v[8:9], v[16:17], v[10:11], v[8:9]
	v_fma_f64 v[6:7], v[14:15], v[10:11], -v[6:7]
	v_add_f64 v[20:21], v[8:9], v[20:21]
	v_add_f64 v[18:19], v[18:19], v[6:7]
	ds_read_b128 v[6:9], v25 offset:64
	ds_read_b128 v[10:13], v24 offset:2048
	s_waitcnt lgkmcnt(0)
	v_mul_f64 v[14:15], v[8:9], v[12:13]
	v_mul_f64 v[16:17], v[6:7], v[12:13]
	v_fma_f64 v[14:15], v[6:7], v[10:11], -v[14:15]
	v_fma_f64 v[16:17], v[8:9], v[10:11], v[16:17]
	v_add_f64 v[36:37], v[36:37], v[14:15]
	v_add_f64 v[38:39], v[16:17], v[38:39]
	ds_read_b128 v[14:17], v24 offset:2304
	s_waitcnt lgkmcnt(0)
	v_mul_f64 v[40:41], v[8:9], v[16:17]
	v_fma_f64 v[40:41], v[6:7], v[14:15], -v[40:41]
	v_mul_f64 v[6:7], v[6:7], v[16:17]
	v_add_f64 v[30:31], v[30:31], v[40:41]
	v_fma_f64 v[6:7], v[8:9], v[14:15], v[6:7]
	v_add_f64 v[28:29], v[6:7], v[28:29]
	ds_read_b128 v[6:9], v25 offset:2112
	s_waitcnt lgkmcnt(0)
	v_mul_f64 v[40:41], v[8:9], v[12:13]
	v_mul_f64 v[12:13], v[6:7], v[12:13]
	v_fma_f64 v[40:41], v[6:7], v[10:11], -v[40:41]
	v_fma_f64 v[10:11], v[8:9], v[10:11], v[12:13]
	v_add_f64 v[32:33], v[32:33], v[40:41]
	v_add_f64 v[34:35], v[10:11], v[34:35]
	v_mul_f64 v[10:11], v[8:9], v[16:17]
	v_fma_f64 v[10:11], v[6:7], v[14:15], -v[10:11]
	v_mul_f64 v[6:7], v[6:7], v[16:17]
	v_add_f64 v[18:19], v[18:19], v[10:11]
	v_fma_f64 v[6:7], v[8:9], v[14:15], v[6:7]
	v_add_f64 v[20:21], v[6:7], v[20:21]
	ds_read_b128 v[6:9], v25 offset:80
	ds_read_b128 v[10:13], v24 offset:2560
	s_waitcnt lgkmcnt(0)
	v_mul_f64 v[14:15], v[8:9], v[12:13]
	v_mul_f64 v[16:17], v[6:7], v[12:13]
	v_fma_f64 v[14:15], v[6:7], v[10:11], -v[14:15]
	v_fma_f64 v[16:17], v[8:9], v[10:11], v[16:17]
	v_add_f64 v[36:37], v[36:37], v[14:15]
	v_add_f64 v[38:39], v[16:17], v[38:39]
	ds_read_b128 v[14:17], v24 offset:2816
	s_waitcnt lgkmcnt(0)
	v_mul_f64 v[40:41], v[8:9], v[16:17]
	v_fma_f64 v[40:41], v[6:7], v[14:15], -v[40:41]
	v_mul_f64 v[6:7], v[6:7], v[16:17]
	v_add_f64 v[30:31], v[30:31], v[40:41]
	v_fma_f64 v[6:7], v[8:9], v[14:15], v[6:7]
	v_add_f64 v[28:29], v[6:7], v[28:29]
	ds_read_b128 v[6:9], v25 offset:2128
	s_waitcnt lgkmcnt(0)
	v_mul_f64 v[40:41], v[8:9], v[12:13]
	v_mul_f64 v[12:13], v[6:7], v[12:13]
	v_fma_f64 v[40:41], v[6:7], v[10:11], -v[40:41]
	v_fma_f64 v[10:11], v[8:9], v[10:11], v[12:13]
	v_add_f64 v[32:33], v[32:33], v[40:41]
	v_add_f64 v[34:35], v[10:11], v[34:35]
	v_mul_f64 v[10:11], v[8:9], v[16:17]
	v_fma_f64 v[10:11], v[6:7], v[14:15], -v[10:11]
	v_mul_f64 v[6:7], v[6:7], v[16:17]
	v_add_f64 v[18:19], v[18:19], v[10:11]
	v_fma_f64 v[6:7], v[8:9], v[14:15], v[6:7]
	;; [unrolled: 31-line block ×3, first 2 shown]
	v_add_f64 v[50:51], v[6:7], v[20:21]
	ds_read_b128 v[6:9], v25 offset:112
	ds_read_b128 v[10:13], v24 offset:3584
	;; [unrolled: 1-line block ×4, first 2 shown]
	s_waitcnt lgkmcnt(0)
	s_barrier
	v_mul_f64 v[14:15], v[8:9], v[12:13]
	v_mul_f64 v[16:17], v[6:7], v[12:13]
	v_fma_f64 v[14:15], v[6:7], v[10:11], -v[14:15]
	v_fma_f64 v[16:17], v[8:9], v[10:11], v[16:17]
	v_add_f64 v[18:19], v[36:37], v[14:15]
	v_mul_f64 v[14:15], v[8:9], v[30:31]
	v_add_f64 v[20:21], v[16:17], v[38:39]
	v_fma_f64 v[14:15], v[6:7], v[28:29], -v[14:15]
	v_mul_f64 v[6:7], v[6:7], v[30:31]
	v_fma_f64 v[8:9], v[8:9], v[28:29], v[6:7]
	v_add_f64 v[6:7], v[40:41], v[14:15]
	v_mul_f64 v[14:15], v[34:35], v[12:13]
	v_mul_f64 v[12:13], v[32:33], v[12:13]
	v_add_f64 v[8:9], v[8:9], v[42:43]
	v_fma_f64 v[14:15], v[32:33], v[10:11], -v[14:15]
	v_fma_f64 v[10:11], v[34:35], v[10:11], v[12:13]
	v_mul_f64 v[12:13], v[32:33], v[30:31]
	v_add_f64 v[14:15], v[44:45], v[14:15]
	v_add_f64 v[16:17], v[10:11], v[46:47]
	v_mul_f64 v[10:11], v[34:35], v[30:31]
	v_fma_f64 v[10:11], v[32:33], v[28:29], -v[10:11]
	v_fma_f64 v[28:29], v[34:35], v[28:29], v[12:13]
	v_add_f64 v[12:13], v[48:49], v[10:11]
	v_add_f64 v[10:11], v[28:29], v[50:51]
	s_cbranch_scc0 .LBB724_2
	s_branch .LBB724_4
.LBB724_3:
	v_mov_b32_e32 v18, 0
	v_mov_b32_e32 v20, 0
	;; [unrolled: 1-line block ×16, first 2 shown]
.LBB724_4:
	s_load_dword s3, s[4:5], 0x60
	v_add_u32_e32 v4, s18, v1
	s_waitcnt lgkmcnt(0)
	v_mov_b32_e32 v3, s11
	v_add_u32_e32 v0, s8, v0
	v_cmp_gt_i32_e32 vcc, s2, v4
	v_mad_i64_i32 v[1:2], s[0:1], v4, s3, 0
	v_lshlrev_b64 v[1:2], 4, v[1:2]
	v_add_co_u32_e64 v5, s[0:1], s10, v1
	v_addc_co_u32_e64 v22, s[0:1], v3, v2, s[0:1]
	v_cmp_le_i32_e64 s[0:1], v0, v4
	s_and_b64 s[0:1], vcc, s[0:1]
	s_and_saveexec_b64 s[4:5], s[0:1]
	s_cbranch_execz .LBB724_6
; %bb.5:
	v_mul_f64 v[1:2], s[14:15], v[20:21]
	v_mul_f64 v[20:21], s[12:13], v[20:21]
	v_fma_f64 v[23:24], s[12:13], v[18:19], -v[1:2]
	v_fma_f64 v[25:26], s[14:15], v[18:19], v[20:21]
	v_ashrrev_i32_e32 v1, 31, v0
	v_lshlrev_b64 v[1:2], 4, v[0:1]
	v_add_co_u32_e64 v1, s[0:1], v5, v1
	v_addc_co_u32_e64 v2, s[0:1], v22, v2, s[0:1]
	flat_store_dwordx4 v[1:2], v[23:26]
.LBB724_6:
	s_or_b64 exec, exec, s[4:5]
	v_add_u32_e32 v2, 16, v0
	v_cmp_le_i32_e64 s[0:1], v2, v4
	s_and_b64 s[4:5], vcc, s[0:1]
	s_and_saveexec_b64 s[0:1], s[4:5]
	s_cbranch_execz .LBB724_8
; %bb.7:
	v_mul_f64 v[18:19], s[14:15], v[8:9]
	v_mul_f64 v[8:9], s[12:13], v[8:9]
	v_ashrrev_i32_e32 v3, 31, v2
	v_fma_f64 v[18:19], s[12:13], v[6:7], -v[18:19]
	v_fma_f64 v[20:21], s[14:15], v[6:7], v[8:9]
	v_lshlrev_b64 v[6:7], 4, v[2:3]
	v_add_co_u32_e32 v5, vcc, v5, v6
	v_addc_co_u32_e32 v6, vcc, v22, v7, vcc
	flat_store_dwordx4 v[5:6], v[18:21]
.LBB724_8:
	s_or_b64 exec, exec, s[0:1]
	v_add_u32_e32 v3, 16, v4
	v_mad_i64_i32 v[4:5], s[0:1], v3, s3, 0
	v_mov_b32_e32 v1, s11
	v_cmp_gt_i32_e32 vcc, s2, v3
	v_lshlrev_b64 v[4:5], 4, v[4:5]
	v_add_co_u32_e64 v4, s[0:1], s10, v4
	v_addc_co_u32_e64 v5, s[0:1], v1, v5, s[0:1]
	v_cmp_le_i32_e64 s[0:1], v0, v3
	s_and_b64 s[0:1], vcc, s[0:1]
	s_and_saveexec_b64 s[2:3], s[0:1]
	s_cbranch_execz .LBB724_10
; %bb.9:
	v_mul_f64 v[6:7], s[14:15], v[16:17]
	v_mul_f64 v[8:9], s[12:13], v[16:17]
	v_ashrrev_i32_e32 v1, 31, v0
	v_lshlrev_b64 v[0:1], 4, v[0:1]
	v_add_co_u32_e64 v0, s[0:1], v4, v0
	v_addc_co_u32_e64 v1, s[0:1], v5, v1, s[0:1]
	v_fma_f64 v[6:7], s[12:13], v[14:15], -v[6:7]
	v_fma_f64 v[8:9], s[14:15], v[14:15], v[8:9]
	flat_store_dwordx4 v[0:1], v[6:9]
.LBB724_10:
	s_or_b64 exec, exec, s[2:3]
	v_cmp_le_i32_e64 s[0:1], v2, v3
	s_and_b64 s[0:1], vcc, s[0:1]
	s_and_saveexec_b64 s[2:3], s[0:1]
	s_cbranch_execz .LBB724_12
; %bb.11:
	v_mul_f64 v[0:1], s[14:15], v[10:11]
	v_mul_f64 v[8:9], s[12:13], v[10:11]
	v_ashrrev_i32_e32 v3, 31, v2
	v_fma_f64 v[6:7], s[12:13], v[12:13], -v[0:1]
	v_fma_f64 v[8:9], s[14:15], v[12:13], v[8:9]
	v_lshlrev_b64 v[0:1], 4, v[2:3]
	v_add_co_u32_e32 v0, vcc, v4, v0
	v_addc_co_u32_e32 v1, vcc, v5, v1, vcc
	flat_store_dwordx4 v[0:1], v[6:9]
.LBB724_12:
	s_endpgm
	.section	.rodata,"a",@progbits
	.p2align	6, 0x0
	.amdhsa_kernel _ZL37rocblas_syrkx_herkx_restricted_kernelIi19rocblas_complex_numIdELi16ELi32ELi8ELb1ELb0ELc78ELc85EKPKS1_KPS1_EviT_T0_PT8_S7_lSA_S7_lS8_PT9_S7_li
		.amdhsa_group_segment_fixed_size 8192
		.amdhsa_private_segment_fixed_size 0
		.amdhsa_kernarg_size 116
		.amdhsa_user_sgpr_count 6
		.amdhsa_user_sgpr_private_segment_buffer 1
		.amdhsa_user_sgpr_dispatch_ptr 0
		.amdhsa_user_sgpr_queue_ptr 0
		.amdhsa_user_sgpr_kernarg_segment_ptr 1
		.amdhsa_user_sgpr_dispatch_id 0
		.amdhsa_user_sgpr_flat_scratch_init 0
		.amdhsa_user_sgpr_private_segment_size 0
		.amdhsa_uses_dynamic_stack 0
		.amdhsa_system_sgpr_private_segment_wavefront_offset 0
		.amdhsa_system_sgpr_workgroup_id_x 1
		.amdhsa_system_sgpr_workgroup_id_y 1
		.amdhsa_system_sgpr_workgroup_id_z 1
		.amdhsa_system_sgpr_workgroup_info 0
		.amdhsa_system_vgpr_workitem_id 1
		.amdhsa_next_free_vgpr 54
		.amdhsa_next_free_sgpr 61
		.amdhsa_reserve_vcc 1
		.amdhsa_reserve_flat_scratch 0
		.amdhsa_float_round_mode_32 0
		.amdhsa_float_round_mode_16_64 0
		.amdhsa_float_denorm_mode_32 3
		.amdhsa_float_denorm_mode_16_64 3
		.amdhsa_dx10_clamp 1
		.amdhsa_ieee_mode 1
		.amdhsa_fp16_overflow 0
		.amdhsa_exception_fp_ieee_invalid_op 0
		.amdhsa_exception_fp_denorm_src 0
		.amdhsa_exception_fp_ieee_div_zero 0
		.amdhsa_exception_fp_ieee_overflow 0
		.amdhsa_exception_fp_ieee_underflow 0
		.amdhsa_exception_fp_ieee_inexact 0
		.amdhsa_exception_int_div_zero 0
	.end_amdhsa_kernel
	.section	.text._ZL37rocblas_syrkx_herkx_restricted_kernelIi19rocblas_complex_numIdELi16ELi32ELi8ELb1ELb0ELc78ELc85EKPKS1_KPS1_EviT_T0_PT8_S7_lSA_S7_lS8_PT9_S7_li,"axG",@progbits,_ZL37rocblas_syrkx_herkx_restricted_kernelIi19rocblas_complex_numIdELi16ELi32ELi8ELb1ELb0ELc78ELc85EKPKS1_KPS1_EviT_T0_PT8_S7_lSA_S7_lS8_PT9_S7_li,comdat
.Lfunc_end724:
	.size	_ZL37rocblas_syrkx_herkx_restricted_kernelIi19rocblas_complex_numIdELi16ELi32ELi8ELb1ELb0ELc78ELc85EKPKS1_KPS1_EviT_T0_PT8_S7_lSA_S7_lS8_PT9_S7_li, .Lfunc_end724-_ZL37rocblas_syrkx_herkx_restricted_kernelIi19rocblas_complex_numIdELi16ELi32ELi8ELb1ELb0ELc78ELc85EKPKS1_KPS1_EviT_T0_PT8_S7_lSA_S7_lS8_PT9_S7_li
                                        ; -- End function
	.set _ZL37rocblas_syrkx_herkx_restricted_kernelIi19rocblas_complex_numIdELi16ELi32ELi8ELb1ELb0ELc78ELc85EKPKS1_KPS1_EviT_T0_PT8_S7_lSA_S7_lS8_PT9_S7_li.num_vgpr, 54
	.set _ZL37rocblas_syrkx_herkx_restricted_kernelIi19rocblas_complex_numIdELi16ELi32ELi8ELb1ELb0ELc78ELc85EKPKS1_KPS1_EviT_T0_PT8_S7_lSA_S7_lS8_PT9_S7_li.num_agpr, 0
	.set _ZL37rocblas_syrkx_herkx_restricted_kernelIi19rocblas_complex_numIdELi16ELi32ELi8ELb1ELb0ELc78ELc85EKPKS1_KPS1_EviT_T0_PT8_S7_lSA_S7_lS8_PT9_S7_li.numbered_sgpr, 24
	.set _ZL37rocblas_syrkx_herkx_restricted_kernelIi19rocblas_complex_numIdELi16ELi32ELi8ELb1ELb0ELc78ELc85EKPKS1_KPS1_EviT_T0_PT8_S7_lSA_S7_lS8_PT9_S7_li.num_named_barrier, 0
	.set _ZL37rocblas_syrkx_herkx_restricted_kernelIi19rocblas_complex_numIdELi16ELi32ELi8ELb1ELb0ELc78ELc85EKPKS1_KPS1_EviT_T0_PT8_S7_lSA_S7_lS8_PT9_S7_li.private_seg_size, 0
	.set _ZL37rocblas_syrkx_herkx_restricted_kernelIi19rocblas_complex_numIdELi16ELi32ELi8ELb1ELb0ELc78ELc85EKPKS1_KPS1_EviT_T0_PT8_S7_lSA_S7_lS8_PT9_S7_li.uses_vcc, 1
	.set _ZL37rocblas_syrkx_herkx_restricted_kernelIi19rocblas_complex_numIdELi16ELi32ELi8ELb1ELb0ELc78ELc85EKPKS1_KPS1_EviT_T0_PT8_S7_lSA_S7_lS8_PT9_S7_li.uses_flat_scratch, 0
	.set _ZL37rocblas_syrkx_herkx_restricted_kernelIi19rocblas_complex_numIdELi16ELi32ELi8ELb1ELb0ELc78ELc85EKPKS1_KPS1_EviT_T0_PT8_S7_lSA_S7_lS8_PT9_S7_li.has_dyn_sized_stack, 0
	.set _ZL37rocblas_syrkx_herkx_restricted_kernelIi19rocblas_complex_numIdELi16ELi32ELi8ELb1ELb0ELc78ELc85EKPKS1_KPS1_EviT_T0_PT8_S7_lSA_S7_lS8_PT9_S7_li.has_recursion, 0
	.set _ZL37rocblas_syrkx_herkx_restricted_kernelIi19rocblas_complex_numIdELi16ELi32ELi8ELb1ELb0ELc78ELc85EKPKS1_KPS1_EviT_T0_PT8_S7_lSA_S7_lS8_PT9_S7_li.has_indirect_call, 0
	.section	.AMDGPU.csdata,"",@progbits
; Kernel info:
; codeLenInByte = 2864
; TotalNumSgprs: 28
; NumVgprs: 54
; ScratchSize: 0
; MemoryBound: 0
; FloatMode: 240
; IeeeMode: 1
; LDSByteSize: 8192 bytes/workgroup (compile time only)
; SGPRBlocks: 8
; VGPRBlocks: 13
; NumSGPRsForWavesPerEU: 65
; NumVGPRsForWavesPerEU: 54
; Occupancy: 4
; WaveLimiterHint : 1
; COMPUTE_PGM_RSRC2:SCRATCH_EN: 0
; COMPUTE_PGM_RSRC2:USER_SGPR: 6
; COMPUTE_PGM_RSRC2:TRAP_HANDLER: 0
; COMPUTE_PGM_RSRC2:TGID_X_EN: 1
; COMPUTE_PGM_RSRC2:TGID_Y_EN: 1
; COMPUTE_PGM_RSRC2:TGID_Z_EN: 1
; COMPUTE_PGM_RSRC2:TIDIG_COMP_CNT: 1
	.section	.text._ZL37rocblas_syrkx_herkx_restricted_kernelIi19rocblas_complex_numIdELi16ELi32ELi8ELb0ELb0ELc84ELc76EKPKS1_KPS1_EviT_T0_PT8_S7_lSA_S7_lS8_PT9_S7_li,"axG",@progbits,_ZL37rocblas_syrkx_herkx_restricted_kernelIi19rocblas_complex_numIdELi16ELi32ELi8ELb0ELb0ELc84ELc76EKPKS1_KPS1_EviT_T0_PT8_S7_lSA_S7_lS8_PT9_S7_li,comdat
	.globl	_ZL37rocblas_syrkx_herkx_restricted_kernelIi19rocblas_complex_numIdELi16ELi32ELi8ELb0ELb0ELc84ELc76EKPKS1_KPS1_EviT_T0_PT8_S7_lSA_S7_lS8_PT9_S7_li ; -- Begin function _ZL37rocblas_syrkx_herkx_restricted_kernelIi19rocblas_complex_numIdELi16ELi32ELi8ELb0ELb0ELc84ELc76EKPKS1_KPS1_EviT_T0_PT8_S7_lSA_S7_lS8_PT9_S7_li
	.p2align	8
	.type	_ZL37rocblas_syrkx_herkx_restricted_kernelIi19rocblas_complex_numIdELi16ELi32ELi8ELb0ELb0ELc84ELc76EKPKS1_KPS1_EviT_T0_PT8_S7_lSA_S7_lS8_PT9_S7_li,@function
_ZL37rocblas_syrkx_herkx_restricted_kernelIi19rocblas_complex_numIdELi16ELi32ELi8ELb0ELb0ELc84ELc76EKPKS1_KPS1_EviT_T0_PT8_S7_lSA_S7_lS8_PT9_S7_li: ; @_ZL37rocblas_syrkx_herkx_restricted_kernelIi19rocblas_complex_numIdELi16ELi32ELi8ELb0ELb0ELc84ELc76EKPKS1_KPS1_EviT_T0_PT8_S7_lSA_S7_lS8_PT9_S7_li
; %bb.0:
	s_load_dwordx2 s[20:21], s[4:5], 0x0
	s_load_dwordx4 s[12:15], s[4:5], 0x8
	s_load_dwordx2 s[10:11], s[4:5], 0x58
	s_load_dwordx2 s[0:1], s[4:5], 0x18
	s_load_dwordx4 s[16:19], s[4:5], 0x48
	s_mov_b32 s9, 0
	s_lshl_b64 s[2:3], s[8:9], 3
	s_waitcnt lgkmcnt(0)
	s_add_u32 s10, s10, s2
	s_addc_u32 s11, s11, s3
	s_load_dwordx2 s[10:11], s[10:11], 0x0
	s_lshl_b32 s6, s6, 5
	s_lshl_b32 s7, s7, 5
	s_cmp_lt_i32 s21, 1
	s_cbranch_scc1 .LBB725_3
; %bb.1:
	s_load_dword s8, s[4:5], 0x20
	s_load_dwordx2 s[22:23], s[4:5], 0x30
	s_load_dword s24, s[4:5], 0x38
	s_add_u32 s0, s0, s2
	v_lshl_add_u32 v3, v1, 4, v0
	s_addc_u32 s1, s1, s3
	v_lshrrev_b32_e32 v8, 3, v3
	s_waitcnt lgkmcnt(0)
	s_add_u32 s2, s22, s2
	v_lshrrev_b32_e32 v2, 5, v3
	v_and_b32_e32 v4, 7, v0
	v_and_b32_e32 v9, 31, v3
	v_add_u32_e32 v3, s7, v8
	v_mov_b32_e32 v5, 0
	s_addc_u32 s3, s23, s3
	v_mad_i64_i32 v[6:7], s[22:23], s24, v3, v[4:5]
	v_mov_b32_e32 v3, v5
	v_lshlrev_b32_e32 v5, 4, v9
	v_lshl_or_b32 v22, v2, 9, v5
	v_add_u32_e32 v5, s6, v9
	v_mad_i64_i32 v[2:3], s[22:23], s8, v5, v[2:3]
	s_load_dwordx2 s[0:1], s[0:1], 0x0
	v_lshlrev_b32_e32 v4, 4, v4
	s_load_dwordx2 s[2:3], s[2:3], 0x0
	v_lshlrev_b64 v[2:3], 4, v[2:3]
	v_lshl_or_b32 v4, v8, 7, v4
	v_add_u32_e32 v23, 0x1000, v4
	s_waitcnt lgkmcnt(0)
	v_mov_b32_e32 v4, s1
	v_add_co_u32_e32 v2, vcc, s0, v2
	v_addc_co_u32_e32 v3, vcc, v4, v3, vcc
	v_lshlrev_b64 v[4:5], 4, v[6:7]
	v_mov_b32_e32 v6, s3
	v_add_co_u32_e32 v4, vcc, s2, v4
	v_mov_b32_e32 v25, 0x1000
	v_addc_co_u32_e32 v5, vcc, v6, v5, vcc
	v_mov_b32_e32 v12, 0
	v_mov_b32_e32 v10, 0
	;; [unrolled: 1-line block ×8, first 2 shown]
	v_lshlrev_b32_e32 v24, 4, v0
	v_mov_b32_e32 v13, 0
	v_mov_b32_e32 v11, 0
	;; [unrolled: 1-line block ×8, first 2 shown]
	v_lshl_add_u32 v25, v1, 7, v25
.LBB725_2:                              ; =>This Inner Loop Header: Depth=1
	flat_load_dwordx4 v[26:29], v[2:3]
	v_add_co_u32_e32 v2, vcc, 0x80, v2
	v_addc_co_u32_e32 v3, vcc, 0, v3, vcc
	s_add_i32 s9, s9, 8
	s_cmp_ge_i32 s9, s21
	s_waitcnt vmcnt(0) lgkmcnt(0)
	ds_write_b128 v22, v[26:29]
	flat_load_dwordx4 v[26:29], v[4:5]
	v_add_co_u32_e32 v4, vcc, 0x80, v4
	v_addc_co_u32_e32 v5, vcc, 0, v5, vcc
	s_waitcnt vmcnt(0) lgkmcnt(0)
	ds_write_b128 v23, v[26:29]
	s_waitcnt lgkmcnt(0)
	s_barrier
	ds_read_b128 v[26:29], v25
	ds_read_b128 v[30:33], v25 offset:16
	ds_read_b128 v[34:37], v25 offset:32
	;; [unrolled: 1-line block ×3, first 2 shown]
	ds_read_b128 v[42:45], v24
	s_waitcnt lgkmcnt(0)
	v_mul_f64 v[46:47], v[28:29], v[44:45]
	v_mul_f64 v[48:49], v[26:27], v[44:45]
	v_fma_f64 v[46:47], v[26:27], v[42:43], -v[46:47]
	v_fma_f64 v[48:49], v[28:29], v[42:43], v[48:49]
	v_add_f64 v[46:47], v[18:19], v[46:47]
	v_add_f64 v[48:49], v[48:49], v[20:21]
	ds_read_b128 v[18:21], v24 offset:256
	s_waitcnt lgkmcnt(0)
	v_mul_f64 v[50:51], v[28:29], v[20:21]
	v_fma_f64 v[50:51], v[26:27], v[18:19], -v[50:51]
	v_mul_f64 v[26:27], v[26:27], v[20:21]
	v_fma_f64 v[26:27], v[28:29], v[18:19], v[26:27]
	v_add_f64 v[28:29], v[6:7], v[50:51]
	v_add_f64 v[26:27], v[26:27], v[8:9]
	ds_read_b128 v[6:9], v25 offset:2048
	s_waitcnt lgkmcnt(0)
	v_mul_f64 v[50:51], v[8:9], v[44:45]
	v_mul_f64 v[44:45], v[6:7], v[44:45]
	v_fma_f64 v[50:51], v[6:7], v[42:43], -v[50:51]
	v_fma_f64 v[42:43], v[8:9], v[42:43], v[44:45]
	v_add_f64 v[44:45], v[14:15], v[50:51]
	v_mul_f64 v[14:15], v[8:9], v[20:21]
	v_add_f64 v[42:43], v[42:43], v[16:17]
	v_fma_f64 v[14:15], v[6:7], v[18:19], -v[14:15]
	v_mul_f64 v[6:7], v[6:7], v[20:21]
	v_fma_f64 v[6:7], v[8:9], v[18:19], v[6:7]
	v_add_f64 v[18:19], v[10:11], v[14:15]
	v_add_f64 v[20:21], v[6:7], v[12:13]
	ds_read_b128 v[6:9], v24 offset:512
	s_waitcnt lgkmcnt(0)
	v_mul_f64 v[10:11], v[32:33], v[8:9]
	v_mul_f64 v[12:13], v[30:31], v[8:9]
	v_fma_f64 v[10:11], v[30:31], v[6:7], -v[10:11]
	v_fma_f64 v[12:13], v[32:33], v[6:7], v[12:13]
	v_add_f64 v[46:47], v[46:47], v[10:11]
	v_add_f64 v[48:49], v[12:13], v[48:49]
	ds_read_b128 v[10:13], v24 offset:768
	s_waitcnt lgkmcnt(0)
	v_mul_f64 v[14:15], v[32:33], v[12:13]
	v_mul_f64 v[16:17], v[30:31], v[12:13]
	v_fma_f64 v[14:15], v[30:31], v[10:11], -v[14:15]
	;; [unrolled: 8-line block ×3, first 2 shown]
	v_fma_f64 v[6:7], v[16:17], v[6:7], v[8:9]
	v_mul_f64 v[8:9], v[14:15], v[12:13]
	v_add_f64 v[30:31], v[44:45], v[30:31]
	v_add_f64 v[32:33], v[6:7], v[42:43]
	v_mul_f64 v[6:7], v[16:17], v[12:13]
	v_fma_f64 v[8:9], v[16:17], v[10:11], v[8:9]
	v_fma_f64 v[6:7], v[14:15], v[10:11], -v[6:7]
	v_add_f64 v[20:21], v[8:9], v[20:21]
	v_add_f64 v[18:19], v[18:19], v[6:7]
	ds_read_b128 v[6:9], v24 offset:1024
	s_waitcnt lgkmcnt(0)
	v_mul_f64 v[10:11], v[36:37], v[8:9]
	v_mul_f64 v[12:13], v[34:35], v[8:9]
	v_fma_f64 v[10:11], v[34:35], v[6:7], -v[10:11]
	v_fma_f64 v[12:13], v[36:37], v[6:7], v[12:13]
	v_add_f64 v[42:43], v[46:47], v[10:11]
	v_add_f64 v[44:45], v[12:13], v[48:49]
	ds_read_b128 v[10:13], v24 offset:1280
	s_waitcnt lgkmcnt(0)
	v_mul_f64 v[14:15], v[36:37], v[12:13]
	v_mul_f64 v[16:17], v[34:35], v[12:13]
	v_fma_f64 v[14:15], v[34:35], v[10:11], -v[14:15]
	v_fma_f64 v[16:17], v[36:37], v[10:11], v[16:17]
	;; [unrolled: 8-line block ×3, first 2 shown]
	v_mul_f64 v[8:9], v[14:15], v[12:13]
	v_add_f64 v[30:31], v[30:31], v[34:35]
	v_add_f64 v[32:33], v[6:7], v[32:33]
	v_mul_f64 v[6:7], v[16:17], v[12:13]
	v_fma_f64 v[8:9], v[16:17], v[10:11], v[8:9]
	v_fma_f64 v[6:7], v[14:15], v[10:11], -v[6:7]
	v_add_f64 v[20:21], v[8:9], v[20:21]
	v_add_f64 v[18:19], v[18:19], v[6:7]
	ds_read_b128 v[6:9], v24 offset:1536
	s_waitcnt lgkmcnt(0)
	v_mul_f64 v[10:11], v[40:41], v[8:9]
	v_mul_f64 v[12:13], v[38:39], v[8:9]
	v_fma_f64 v[10:11], v[38:39], v[6:7], -v[10:11]
	v_fma_f64 v[12:13], v[40:41], v[6:7], v[12:13]
	v_add_f64 v[34:35], v[42:43], v[10:11]
	v_add_f64 v[36:37], v[12:13], v[44:45]
	ds_read_b128 v[10:13], v24 offset:1792
	s_waitcnt lgkmcnt(0)
	v_mul_f64 v[14:15], v[40:41], v[12:13]
	v_mul_f64 v[16:17], v[38:39], v[12:13]
	v_fma_f64 v[14:15], v[38:39], v[10:11], -v[14:15]
	v_fma_f64 v[16:17], v[40:41], v[10:11], v[16:17]
	;; [unrolled: 8-line block ×3, first 2 shown]
	v_mul_f64 v[8:9], v[14:15], v[12:13]
	v_add_f64 v[30:31], v[30:31], v[38:39]
	v_add_f64 v[32:33], v[6:7], v[32:33]
	v_mul_f64 v[6:7], v[16:17], v[12:13]
	v_fma_f64 v[8:9], v[16:17], v[10:11], v[8:9]
	v_fma_f64 v[6:7], v[14:15], v[10:11], -v[6:7]
	v_add_f64 v[20:21], v[8:9], v[20:21]
	v_add_f64 v[18:19], v[18:19], v[6:7]
	ds_read_b128 v[6:9], v25 offset:64
	ds_read_b128 v[10:13], v24 offset:2048
	s_waitcnt lgkmcnt(0)
	v_mul_f64 v[14:15], v[8:9], v[12:13]
	v_mul_f64 v[16:17], v[6:7], v[12:13]
	v_fma_f64 v[14:15], v[6:7], v[10:11], -v[14:15]
	v_fma_f64 v[16:17], v[8:9], v[10:11], v[16:17]
	v_add_f64 v[34:35], v[34:35], v[14:15]
	v_add_f64 v[36:37], v[16:17], v[36:37]
	ds_read_b128 v[14:17], v24 offset:2304
	s_waitcnt lgkmcnt(0)
	v_mul_f64 v[38:39], v[8:9], v[16:17]
	v_fma_f64 v[38:39], v[6:7], v[14:15], -v[38:39]
	v_mul_f64 v[6:7], v[6:7], v[16:17]
	v_add_f64 v[28:29], v[28:29], v[38:39]
	v_fma_f64 v[6:7], v[8:9], v[14:15], v[6:7]
	v_add_f64 v[26:27], v[6:7], v[26:27]
	ds_read_b128 v[6:9], v25 offset:2112
	s_waitcnt lgkmcnt(0)
	v_mul_f64 v[38:39], v[8:9], v[12:13]
	v_mul_f64 v[12:13], v[6:7], v[12:13]
	v_fma_f64 v[38:39], v[6:7], v[10:11], -v[38:39]
	v_fma_f64 v[10:11], v[8:9], v[10:11], v[12:13]
	v_add_f64 v[30:31], v[30:31], v[38:39]
	v_add_f64 v[32:33], v[10:11], v[32:33]
	v_mul_f64 v[10:11], v[8:9], v[16:17]
	v_fma_f64 v[10:11], v[6:7], v[14:15], -v[10:11]
	v_mul_f64 v[6:7], v[6:7], v[16:17]
	v_add_f64 v[18:19], v[18:19], v[10:11]
	v_fma_f64 v[6:7], v[8:9], v[14:15], v[6:7]
	v_add_f64 v[20:21], v[6:7], v[20:21]
	ds_read_b128 v[6:9], v25 offset:80
	ds_read_b128 v[10:13], v24 offset:2560
	s_waitcnt lgkmcnt(0)
	v_mul_f64 v[14:15], v[8:9], v[12:13]
	v_mul_f64 v[16:17], v[6:7], v[12:13]
	v_fma_f64 v[14:15], v[6:7], v[10:11], -v[14:15]
	v_fma_f64 v[16:17], v[8:9], v[10:11], v[16:17]
	v_add_f64 v[34:35], v[34:35], v[14:15]
	v_add_f64 v[36:37], v[16:17], v[36:37]
	ds_read_b128 v[14:17], v24 offset:2816
	s_waitcnt lgkmcnt(0)
	v_mul_f64 v[38:39], v[8:9], v[16:17]
	v_fma_f64 v[38:39], v[6:7], v[14:15], -v[38:39]
	v_mul_f64 v[6:7], v[6:7], v[16:17]
	v_add_f64 v[28:29], v[28:29], v[38:39]
	v_fma_f64 v[6:7], v[8:9], v[14:15], v[6:7]
	v_add_f64 v[26:27], v[6:7], v[26:27]
	ds_read_b128 v[6:9], v25 offset:2128
	s_waitcnt lgkmcnt(0)
	v_mul_f64 v[38:39], v[8:9], v[12:13]
	v_mul_f64 v[12:13], v[6:7], v[12:13]
	v_fma_f64 v[38:39], v[6:7], v[10:11], -v[38:39]
	v_fma_f64 v[10:11], v[8:9], v[10:11], v[12:13]
	v_add_f64 v[30:31], v[30:31], v[38:39]
	v_add_f64 v[32:33], v[10:11], v[32:33]
	v_mul_f64 v[10:11], v[8:9], v[16:17]
	v_fma_f64 v[10:11], v[6:7], v[14:15], -v[10:11]
	v_mul_f64 v[6:7], v[6:7], v[16:17]
	v_add_f64 v[18:19], v[18:19], v[10:11]
	v_fma_f64 v[6:7], v[8:9], v[14:15], v[6:7]
	;; [unrolled: 31-line block ×3, first 2 shown]
	v_add_f64 v[48:49], v[6:7], v[20:21]
	ds_read_b128 v[6:9], v25 offset:112
	ds_read_b128 v[10:13], v24 offset:3584
	;; [unrolled: 1-line block ×4, first 2 shown]
	s_waitcnt lgkmcnt(0)
	s_barrier
	v_mul_f64 v[14:15], v[8:9], v[12:13]
	v_mul_f64 v[16:17], v[6:7], v[12:13]
	v_fma_f64 v[14:15], v[6:7], v[10:11], -v[14:15]
	v_fma_f64 v[16:17], v[8:9], v[10:11], v[16:17]
	v_add_f64 v[18:19], v[34:35], v[14:15]
	v_mul_f64 v[14:15], v[8:9], v[28:29]
	v_add_f64 v[20:21], v[16:17], v[36:37]
	v_fma_f64 v[14:15], v[6:7], v[26:27], -v[14:15]
	v_mul_f64 v[6:7], v[6:7], v[28:29]
	v_fma_f64 v[8:9], v[8:9], v[26:27], v[6:7]
	v_add_f64 v[6:7], v[38:39], v[14:15]
	v_mul_f64 v[14:15], v[32:33], v[12:13]
	v_mul_f64 v[12:13], v[30:31], v[12:13]
	v_add_f64 v[8:9], v[8:9], v[40:41]
	v_fma_f64 v[14:15], v[30:31], v[10:11], -v[14:15]
	v_fma_f64 v[10:11], v[32:33], v[10:11], v[12:13]
	v_mul_f64 v[12:13], v[30:31], v[28:29]
	v_add_f64 v[14:15], v[42:43], v[14:15]
	v_add_f64 v[16:17], v[10:11], v[44:45]
	v_mul_f64 v[10:11], v[32:33], v[28:29]
	v_fma_f64 v[12:13], v[32:33], v[26:27], v[12:13]
	v_fma_f64 v[10:11], v[30:31], v[26:27], -v[10:11]
	v_add_f64 v[12:13], v[12:13], v[48:49]
	v_add_f64 v[10:11], v[46:47], v[10:11]
	s_cbranch_scc0 .LBB725_2
	s_branch .LBB725_4
.LBB725_3:
	v_mov_b32_e32 v18, 0
	v_mov_b32_e32 v20, 0
	;; [unrolled: 1-line block ×16, first 2 shown]
.LBB725_4:
	s_load_dword s8, s[4:5], 0x60
	v_add_u32_e32 v4, s7, v1
	s_waitcnt lgkmcnt(0)
	v_mov_b32_e32 v3, s11
	v_add_u32_e32 v0, s6, v0
	v_mad_i64_i32 v[1:2], s[0:1], v4, s8, 0
	v_cmp_le_i32_e64 s[0:1], v4, v0
	v_lshlrev_b64 v[1:2], 4, v[1:2]
	v_add_co_u32_e32 v5, vcc, s10, v1
	v_addc_co_u32_e32 v22, vcc, v3, v2, vcc
	v_cmp_gt_i32_e32 vcc, s20, v0
	s_and_b64 s[0:1], s[0:1], vcc
	s_and_saveexec_b64 s[2:3], s[0:1]
	s_cbranch_execz .LBB725_6
; %bb.5:
	v_ashrrev_i32_e32 v1, 31, v0
	v_lshlrev_b64 v[1:2], 4, v[0:1]
	v_mul_f64 v[27:28], s[14:15], v[20:21]
	v_add_co_u32_e64 v1, s[0:1], v5, v1
	v_addc_co_u32_e64 v2, s[0:1], v22, v2, s[0:1]
	flat_load_dwordx4 v[23:26], v[1:2]
	v_mul_f64 v[20:21], s[12:13], v[20:21]
	v_fma_f64 v[27:28], s[12:13], v[18:19], -v[27:28]
	v_fma_f64 v[20:21], s[14:15], v[18:19], v[20:21]
	s_waitcnt vmcnt(0) lgkmcnt(0)
	v_mul_f64 v[29:30], s[18:19], v[25:26]
	v_mul_f64 v[25:26], s[16:17], v[25:26]
	v_fma_f64 v[18:19], s[16:17], v[23:24], -v[29:30]
	v_fma_f64 v[23:24], s[18:19], v[23:24], v[25:26]
	v_add_f64 v[18:19], v[27:28], v[18:19]
	v_add_f64 v[20:21], v[20:21], v[23:24]
	flat_store_dwordx4 v[1:2], v[18:21]
.LBB725_6:
	s_or_b64 exec, exec, s[2:3]
	v_add_u32_e32 v2, 16, v0
	v_cmp_le_i32_e64 s[2:3], v4, v2
	v_cmp_gt_i32_e64 s[0:1], s20, v2
	s_and_b64 s[2:3], s[2:3], s[0:1]
	s_and_saveexec_b64 s[4:5], s[2:3]
	s_cbranch_execz .LBB725_8
; %bb.7:
	v_ashrrev_i32_e32 v3, 31, v2
	v_lshlrev_b64 v[18:19], 4, v[2:3]
	v_mul_f64 v[25:26], s[14:15], v[8:9]
	v_add_co_u32_e64 v23, s[2:3], v5, v18
	v_addc_co_u32_e64 v24, s[2:3], v22, v19, s[2:3]
	flat_load_dwordx4 v[18:21], v[23:24]
	v_mul_f64 v[8:9], s[12:13], v[8:9]
	v_fma_f64 v[25:26], s[12:13], v[6:7], -v[25:26]
	v_fma_f64 v[7:8], s[14:15], v[6:7], v[8:9]
	s_waitcnt vmcnt(0) lgkmcnt(0)
	v_mul_f64 v[27:28], s[18:19], v[20:21]
	v_mul_f64 v[20:21], s[16:17], v[20:21]
	v_fma_f64 v[5:6], s[16:17], v[18:19], -v[27:28]
	v_fma_f64 v[18:19], s[18:19], v[18:19], v[20:21]
	v_add_f64 v[5:6], v[25:26], v[5:6]
	v_add_f64 v[7:8], v[7:8], v[18:19]
	flat_store_dwordx4 v[23:24], v[5:8]
.LBB725_8:
	s_or_b64 exec, exec, s[4:5]
	v_add_u32_e32 v3, 16, v4
	v_mad_i64_i32 v[4:5], s[2:3], v3, s8, 0
	v_mov_b32_e32 v1, s11
	v_lshlrev_b64 v[4:5], 4, v[4:5]
	v_add_co_u32_e64 v4, s[2:3], s10, v4
	v_addc_co_u32_e64 v5, s[2:3], v1, v5, s[2:3]
	v_cmp_le_i32_e64 s[2:3], v3, v0
	s_and_b64 s[4:5], s[2:3], vcc
	s_and_saveexec_b64 s[2:3], s[4:5]
	s_cbranch_execz .LBB725_10
; %bb.9:
	v_ashrrev_i32_e32 v1, 31, v0
	v_lshlrev_b64 v[0:1], 4, v[0:1]
	v_mul_f64 v[18:19], s[14:15], v[16:17]
	v_add_co_u32_e32 v0, vcc, v4, v0
	v_addc_co_u32_e32 v1, vcc, v5, v1, vcc
	flat_load_dwordx4 v[6:9], v[0:1]
	v_mul_f64 v[16:17], s[12:13], v[16:17]
	v_fma_f64 v[18:19], s[12:13], v[14:15], -v[18:19]
	v_fma_f64 v[14:15], s[14:15], v[14:15], v[16:17]
	s_waitcnt vmcnt(0) lgkmcnt(0)
	v_mul_f64 v[20:21], s[18:19], v[8:9]
	v_mul_f64 v[8:9], s[16:17], v[8:9]
	v_fma_f64 v[16:17], s[16:17], v[6:7], -v[20:21]
	v_fma_f64 v[8:9], s[18:19], v[6:7], v[8:9]
	v_add_f64 v[6:7], v[18:19], v[16:17]
	v_add_f64 v[8:9], v[14:15], v[8:9]
	flat_store_dwordx4 v[0:1], v[6:9]
.LBB725_10:
	s_or_b64 exec, exec, s[2:3]
	v_cmp_le_i32_e32 vcc, v3, v2
	s_and_b64 s[0:1], vcc, s[0:1]
	s_and_saveexec_b64 s[2:3], s[0:1]
	s_cbranch_execz .LBB725_12
; %bb.11:
	v_ashrrev_i32_e32 v3, 31, v2
	v_lshlrev_b64 v[0:1], 4, v[2:3]
	v_mul_f64 v[6:7], s[14:15], v[12:13]
	v_add_co_u32_e32 v4, vcc, v4, v0
	v_addc_co_u32_e32 v5, vcc, v5, v1, vcc
	flat_load_dwordx4 v[0:3], v[4:5]
	v_mul_f64 v[8:9], s[12:13], v[12:13]
	v_fma_f64 v[6:7], s[12:13], v[10:11], -v[6:7]
	v_fma_f64 v[8:9], s[14:15], v[10:11], v[8:9]
	s_waitcnt vmcnt(0) lgkmcnt(0)
	v_mul_f64 v[12:13], s[18:19], v[2:3]
	v_mul_f64 v[2:3], s[16:17], v[2:3]
	v_fma_f64 v[10:11], s[16:17], v[0:1], -v[12:13]
	v_fma_f64 v[2:3], s[18:19], v[0:1], v[2:3]
	v_add_f64 v[0:1], v[6:7], v[10:11]
	v_add_f64 v[2:3], v[8:9], v[2:3]
	flat_store_dwordx4 v[4:5], v[0:3]
.LBB725_12:
	s_endpgm
	.section	.rodata,"a",@progbits
	.p2align	6, 0x0
	.amdhsa_kernel _ZL37rocblas_syrkx_herkx_restricted_kernelIi19rocblas_complex_numIdELi16ELi32ELi8ELb0ELb0ELc84ELc76EKPKS1_KPS1_EviT_T0_PT8_S7_lSA_S7_lS8_PT9_S7_li
		.amdhsa_group_segment_fixed_size 8192
		.amdhsa_private_segment_fixed_size 0
		.amdhsa_kernarg_size 116
		.amdhsa_user_sgpr_count 6
		.amdhsa_user_sgpr_private_segment_buffer 1
		.amdhsa_user_sgpr_dispatch_ptr 0
		.amdhsa_user_sgpr_queue_ptr 0
		.amdhsa_user_sgpr_kernarg_segment_ptr 1
		.amdhsa_user_sgpr_dispatch_id 0
		.amdhsa_user_sgpr_flat_scratch_init 0
		.amdhsa_user_sgpr_private_segment_size 0
		.amdhsa_uses_dynamic_stack 0
		.amdhsa_system_sgpr_private_segment_wavefront_offset 0
		.amdhsa_system_sgpr_workgroup_id_x 1
		.amdhsa_system_sgpr_workgroup_id_y 1
		.amdhsa_system_sgpr_workgroup_id_z 1
		.amdhsa_system_sgpr_workgroup_info 0
		.amdhsa_system_vgpr_workitem_id 1
		.amdhsa_next_free_vgpr 52
		.amdhsa_next_free_sgpr 61
		.amdhsa_reserve_vcc 1
		.amdhsa_reserve_flat_scratch 0
		.amdhsa_float_round_mode_32 0
		.amdhsa_float_round_mode_16_64 0
		.amdhsa_float_denorm_mode_32 3
		.amdhsa_float_denorm_mode_16_64 3
		.amdhsa_dx10_clamp 1
		.amdhsa_ieee_mode 1
		.amdhsa_fp16_overflow 0
		.amdhsa_exception_fp_ieee_invalid_op 0
		.amdhsa_exception_fp_denorm_src 0
		.amdhsa_exception_fp_ieee_div_zero 0
		.amdhsa_exception_fp_ieee_overflow 0
		.amdhsa_exception_fp_ieee_underflow 0
		.amdhsa_exception_fp_ieee_inexact 0
		.amdhsa_exception_int_div_zero 0
	.end_amdhsa_kernel
	.section	.text._ZL37rocblas_syrkx_herkx_restricted_kernelIi19rocblas_complex_numIdELi16ELi32ELi8ELb0ELb0ELc84ELc76EKPKS1_KPS1_EviT_T0_PT8_S7_lSA_S7_lS8_PT9_S7_li,"axG",@progbits,_ZL37rocblas_syrkx_herkx_restricted_kernelIi19rocblas_complex_numIdELi16ELi32ELi8ELb0ELb0ELc84ELc76EKPKS1_KPS1_EviT_T0_PT8_S7_lSA_S7_lS8_PT9_S7_li,comdat
.Lfunc_end725:
	.size	_ZL37rocblas_syrkx_herkx_restricted_kernelIi19rocblas_complex_numIdELi16ELi32ELi8ELb0ELb0ELc84ELc76EKPKS1_KPS1_EviT_T0_PT8_S7_lSA_S7_lS8_PT9_S7_li, .Lfunc_end725-_ZL37rocblas_syrkx_herkx_restricted_kernelIi19rocblas_complex_numIdELi16ELi32ELi8ELb0ELb0ELc84ELc76EKPKS1_KPS1_EviT_T0_PT8_S7_lSA_S7_lS8_PT9_S7_li
                                        ; -- End function
	.set _ZL37rocblas_syrkx_herkx_restricted_kernelIi19rocblas_complex_numIdELi16ELi32ELi8ELb0ELb0ELc84ELc76EKPKS1_KPS1_EviT_T0_PT8_S7_lSA_S7_lS8_PT9_S7_li.num_vgpr, 52
	.set _ZL37rocblas_syrkx_herkx_restricted_kernelIi19rocblas_complex_numIdELi16ELi32ELi8ELb0ELb0ELc84ELc76EKPKS1_KPS1_EviT_T0_PT8_S7_lSA_S7_lS8_PT9_S7_li.num_agpr, 0
	.set _ZL37rocblas_syrkx_herkx_restricted_kernelIi19rocblas_complex_numIdELi16ELi32ELi8ELb0ELb0ELc84ELc76EKPKS1_KPS1_EviT_T0_PT8_S7_lSA_S7_lS8_PT9_S7_li.numbered_sgpr, 25
	.set _ZL37rocblas_syrkx_herkx_restricted_kernelIi19rocblas_complex_numIdELi16ELi32ELi8ELb0ELb0ELc84ELc76EKPKS1_KPS1_EviT_T0_PT8_S7_lSA_S7_lS8_PT9_S7_li.num_named_barrier, 0
	.set _ZL37rocblas_syrkx_herkx_restricted_kernelIi19rocblas_complex_numIdELi16ELi32ELi8ELb0ELb0ELc84ELc76EKPKS1_KPS1_EviT_T0_PT8_S7_lSA_S7_lS8_PT9_S7_li.private_seg_size, 0
	.set _ZL37rocblas_syrkx_herkx_restricted_kernelIi19rocblas_complex_numIdELi16ELi32ELi8ELb0ELb0ELc84ELc76EKPKS1_KPS1_EviT_T0_PT8_S7_lSA_S7_lS8_PT9_S7_li.uses_vcc, 1
	.set _ZL37rocblas_syrkx_herkx_restricted_kernelIi19rocblas_complex_numIdELi16ELi32ELi8ELb0ELb0ELc84ELc76EKPKS1_KPS1_EviT_T0_PT8_S7_lSA_S7_lS8_PT9_S7_li.uses_flat_scratch, 0
	.set _ZL37rocblas_syrkx_herkx_restricted_kernelIi19rocblas_complex_numIdELi16ELi32ELi8ELb0ELb0ELc84ELc76EKPKS1_KPS1_EviT_T0_PT8_S7_lSA_S7_lS8_PT9_S7_li.has_dyn_sized_stack, 0
	.set _ZL37rocblas_syrkx_herkx_restricted_kernelIi19rocblas_complex_numIdELi16ELi32ELi8ELb0ELb0ELc84ELc76EKPKS1_KPS1_EviT_T0_PT8_S7_lSA_S7_lS8_PT9_S7_li.has_recursion, 0
	.set _ZL37rocblas_syrkx_herkx_restricted_kernelIi19rocblas_complex_numIdELi16ELi32ELi8ELb0ELb0ELc84ELc76EKPKS1_KPS1_EviT_T0_PT8_S7_lSA_S7_lS8_PT9_S7_li.has_indirect_call, 0
	.section	.AMDGPU.csdata,"",@progbits
; Kernel info:
; codeLenInByte = 3088
; TotalNumSgprs: 29
; NumVgprs: 52
; ScratchSize: 0
; MemoryBound: 0
; FloatMode: 240
; IeeeMode: 1
; LDSByteSize: 8192 bytes/workgroup (compile time only)
; SGPRBlocks: 8
; VGPRBlocks: 12
; NumSGPRsForWavesPerEU: 65
; NumVGPRsForWavesPerEU: 52
; Occupancy: 4
; WaveLimiterHint : 1
; COMPUTE_PGM_RSRC2:SCRATCH_EN: 0
; COMPUTE_PGM_RSRC2:USER_SGPR: 6
; COMPUTE_PGM_RSRC2:TRAP_HANDLER: 0
; COMPUTE_PGM_RSRC2:TGID_X_EN: 1
; COMPUTE_PGM_RSRC2:TGID_Y_EN: 1
; COMPUTE_PGM_RSRC2:TGID_Z_EN: 1
; COMPUTE_PGM_RSRC2:TIDIG_COMP_CNT: 1
	.section	.text._ZL37rocblas_syrkx_herkx_restricted_kernelIi19rocblas_complex_numIdELi16ELi32ELi8ELb0ELb0ELc67ELc76EKPKS1_KPS1_EviT_T0_PT8_S7_lSA_S7_lS8_PT9_S7_li,"axG",@progbits,_ZL37rocblas_syrkx_herkx_restricted_kernelIi19rocblas_complex_numIdELi16ELi32ELi8ELb0ELb0ELc67ELc76EKPKS1_KPS1_EviT_T0_PT8_S7_lSA_S7_lS8_PT9_S7_li,comdat
	.globl	_ZL37rocblas_syrkx_herkx_restricted_kernelIi19rocblas_complex_numIdELi16ELi32ELi8ELb0ELb0ELc67ELc76EKPKS1_KPS1_EviT_T0_PT8_S7_lSA_S7_lS8_PT9_S7_li ; -- Begin function _ZL37rocblas_syrkx_herkx_restricted_kernelIi19rocblas_complex_numIdELi16ELi32ELi8ELb0ELb0ELc67ELc76EKPKS1_KPS1_EviT_T0_PT8_S7_lSA_S7_lS8_PT9_S7_li
	.p2align	8
	.type	_ZL37rocblas_syrkx_herkx_restricted_kernelIi19rocblas_complex_numIdELi16ELi32ELi8ELb0ELb0ELc67ELc76EKPKS1_KPS1_EviT_T0_PT8_S7_lSA_S7_lS8_PT9_S7_li,@function
_ZL37rocblas_syrkx_herkx_restricted_kernelIi19rocblas_complex_numIdELi16ELi32ELi8ELb0ELb0ELc67ELc76EKPKS1_KPS1_EviT_T0_PT8_S7_lSA_S7_lS8_PT9_S7_li: ; @_ZL37rocblas_syrkx_herkx_restricted_kernelIi19rocblas_complex_numIdELi16ELi32ELi8ELb0ELb0ELc67ELc76EKPKS1_KPS1_EviT_T0_PT8_S7_lSA_S7_lS8_PT9_S7_li
; %bb.0:
	s_load_dwordx2 s[20:21], s[4:5], 0x0
	s_load_dwordx4 s[12:15], s[4:5], 0x8
	s_load_dwordx2 s[10:11], s[4:5], 0x58
	s_load_dwordx2 s[0:1], s[4:5], 0x18
	s_load_dwordx4 s[16:19], s[4:5], 0x48
	s_mov_b32 s9, 0
	s_lshl_b64 s[2:3], s[8:9], 3
	s_waitcnt lgkmcnt(0)
	s_add_u32 s10, s10, s2
	s_addc_u32 s11, s11, s3
	s_load_dwordx2 s[10:11], s[10:11], 0x0
	s_lshl_b32 s6, s6, 5
	s_lshl_b32 s7, s7, 5
	s_cmp_lt_i32 s21, 1
	s_cbranch_scc1 .LBB726_3
; %bb.1:
	s_load_dword s8, s[4:5], 0x20
	s_load_dwordx2 s[22:23], s[4:5], 0x30
	s_load_dword s24, s[4:5], 0x38
	s_add_u32 s0, s0, s2
	v_lshl_add_u32 v3, v1, 4, v0
	s_addc_u32 s1, s1, s3
	v_lshrrev_b32_e32 v8, 3, v3
	s_waitcnt lgkmcnt(0)
	s_add_u32 s2, s22, s2
	v_lshrrev_b32_e32 v2, 5, v3
	v_and_b32_e32 v4, 7, v0
	v_and_b32_e32 v9, 31, v3
	v_add_u32_e32 v3, s7, v8
	v_mov_b32_e32 v5, 0
	s_addc_u32 s3, s23, s3
	v_mad_i64_i32 v[6:7], s[22:23], s24, v3, v[4:5]
	v_mov_b32_e32 v3, v5
	v_lshlrev_b32_e32 v5, 4, v9
	v_lshl_or_b32 v22, v2, 9, v5
	v_add_u32_e32 v5, s6, v9
	v_mad_i64_i32 v[2:3], s[22:23], s8, v5, v[2:3]
	s_load_dwordx2 s[0:1], s[0:1], 0x0
	v_lshlrev_b32_e32 v4, 4, v4
	s_load_dwordx2 s[2:3], s[2:3], 0x0
	v_lshlrev_b64 v[2:3], 4, v[2:3]
	v_lshl_or_b32 v4, v8, 7, v4
	v_add_u32_e32 v23, 0x1000, v4
	s_waitcnt lgkmcnt(0)
	v_mov_b32_e32 v4, s1
	v_add_co_u32_e32 v2, vcc, s0, v2
	v_addc_co_u32_e32 v3, vcc, v4, v3, vcc
	v_lshlrev_b64 v[4:5], 4, v[6:7]
	v_mov_b32_e32 v6, s3
	v_add_co_u32_e32 v4, vcc, s2, v4
	v_mov_b32_e32 v25, 0x1000
	v_addc_co_u32_e32 v5, vcc, v6, v5, vcc
	v_mov_b32_e32 v12, 0
	v_mov_b32_e32 v10, 0
	;; [unrolled: 1-line block ×8, first 2 shown]
	v_lshlrev_b32_e32 v24, 4, v0
	v_mov_b32_e32 v13, 0
	v_mov_b32_e32 v11, 0
	;; [unrolled: 1-line block ×8, first 2 shown]
	v_lshl_add_u32 v25, v1, 7, v25
.LBB726_2:                              ; =>This Inner Loop Header: Depth=1
	flat_load_dwordx4 v[26:29], v[2:3]
	v_add_co_u32_e32 v2, vcc, 0x80, v2
	v_addc_co_u32_e32 v3, vcc, 0, v3, vcc
	s_add_i32 s9, s9, 8
	s_cmp_ge_i32 s9, s21
	s_waitcnt vmcnt(0) lgkmcnt(0)
	ds_write_b128 v22, v[26:29]
	flat_load_dwordx4 v[26:29], v[4:5]
	v_add_co_u32_e32 v4, vcc, 0x80, v4
	v_addc_co_u32_e32 v5, vcc, 0, v5, vcc
	s_waitcnt vmcnt(0) lgkmcnt(0)
	ds_write_b128 v23, v[26:29]
	s_waitcnt lgkmcnt(0)
	s_barrier
	ds_read_b128 v[26:29], v25
	ds_read_b128 v[30:33], v25 offset:16
	ds_read_b128 v[34:37], v25 offset:32
	;; [unrolled: 1-line block ×3, first 2 shown]
	ds_read_b128 v[42:45], v24
	s_waitcnt lgkmcnt(0)
	v_mul_f64 v[46:47], v[28:29], v[44:45]
	v_mul_f64 v[48:49], v[26:27], v[44:45]
	v_fma_f64 v[46:47], v[26:27], v[42:43], -v[46:47]
	v_fma_f64 v[48:49], v[28:29], v[42:43], v[48:49]
	v_add_f64 v[46:47], v[18:19], v[46:47]
	v_add_f64 v[48:49], v[48:49], v[20:21]
	ds_read_b128 v[18:21], v24 offset:256
	s_waitcnt lgkmcnt(0)
	v_mul_f64 v[50:51], v[28:29], v[20:21]
	v_fma_f64 v[50:51], v[26:27], v[18:19], -v[50:51]
	v_mul_f64 v[26:27], v[26:27], v[20:21]
	v_fma_f64 v[26:27], v[28:29], v[18:19], v[26:27]
	v_add_f64 v[28:29], v[6:7], v[50:51]
	v_add_f64 v[26:27], v[26:27], v[8:9]
	ds_read_b128 v[6:9], v25 offset:2048
	s_waitcnt lgkmcnt(0)
	v_mul_f64 v[50:51], v[8:9], v[44:45]
	v_mul_f64 v[44:45], v[6:7], v[44:45]
	v_fma_f64 v[50:51], v[6:7], v[42:43], -v[50:51]
	v_fma_f64 v[42:43], v[8:9], v[42:43], v[44:45]
	v_add_f64 v[44:45], v[14:15], v[50:51]
	v_mul_f64 v[14:15], v[8:9], v[20:21]
	v_add_f64 v[42:43], v[42:43], v[16:17]
	v_fma_f64 v[14:15], v[6:7], v[18:19], -v[14:15]
	v_mul_f64 v[6:7], v[6:7], v[20:21]
	v_fma_f64 v[6:7], v[8:9], v[18:19], v[6:7]
	v_add_f64 v[18:19], v[10:11], v[14:15]
	v_add_f64 v[20:21], v[6:7], v[12:13]
	ds_read_b128 v[6:9], v24 offset:512
	s_waitcnt lgkmcnt(0)
	v_mul_f64 v[10:11], v[32:33], v[8:9]
	v_mul_f64 v[12:13], v[30:31], v[8:9]
	v_fma_f64 v[10:11], v[30:31], v[6:7], -v[10:11]
	v_fma_f64 v[12:13], v[32:33], v[6:7], v[12:13]
	v_add_f64 v[46:47], v[46:47], v[10:11]
	v_add_f64 v[48:49], v[12:13], v[48:49]
	ds_read_b128 v[10:13], v24 offset:768
	s_waitcnt lgkmcnt(0)
	v_mul_f64 v[14:15], v[32:33], v[12:13]
	v_mul_f64 v[16:17], v[30:31], v[12:13]
	v_fma_f64 v[14:15], v[30:31], v[10:11], -v[14:15]
	;; [unrolled: 8-line block ×3, first 2 shown]
	v_fma_f64 v[6:7], v[16:17], v[6:7], v[8:9]
	v_mul_f64 v[8:9], v[14:15], v[12:13]
	v_add_f64 v[30:31], v[44:45], v[30:31]
	v_add_f64 v[32:33], v[6:7], v[42:43]
	v_mul_f64 v[6:7], v[16:17], v[12:13]
	v_fma_f64 v[8:9], v[16:17], v[10:11], v[8:9]
	v_fma_f64 v[6:7], v[14:15], v[10:11], -v[6:7]
	v_add_f64 v[20:21], v[8:9], v[20:21]
	v_add_f64 v[18:19], v[18:19], v[6:7]
	ds_read_b128 v[6:9], v24 offset:1024
	s_waitcnt lgkmcnt(0)
	v_mul_f64 v[10:11], v[36:37], v[8:9]
	v_mul_f64 v[12:13], v[34:35], v[8:9]
	v_fma_f64 v[10:11], v[34:35], v[6:7], -v[10:11]
	v_fma_f64 v[12:13], v[36:37], v[6:7], v[12:13]
	v_add_f64 v[42:43], v[46:47], v[10:11]
	v_add_f64 v[44:45], v[12:13], v[48:49]
	ds_read_b128 v[10:13], v24 offset:1280
	s_waitcnt lgkmcnt(0)
	v_mul_f64 v[14:15], v[36:37], v[12:13]
	v_mul_f64 v[16:17], v[34:35], v[12:13]
	v_fma_f64 v[14:15], v[34:35], v[10:11], -v[14:15]
	v_fma_f64 v[16:17], v[36:37], v[10:11], v[16:17]
	;; [unrolled: 8-line block ×3, first 2 shown]
	v_mul_f64 v[8:9], v[14:15], v[12:13]
	v_add_f64 v[30:31], v[30:31], v[34:35]
	v_add_f64 v[32:33], v[6:7], v[32:33]
	v_mul_f64 v[6:7], v[16:17], v[12:13]
	v_fma_f64 v[8:9], v[16:17], v[10:11], v[8:9]
	v_fma_f64 v[6:7], v[14:15], v[10:11], -v[6:7]
	v_add_f64 v[20:21], v[8:9], v[20:21]
	v_add_f64 v[18:19], v[18:19], v[6:7]
	ds_read_b128 v[6:9], v24 offset:1536
	s_waitcnt lgkmcnt(0)
	v_mul_f64 v[10:11], v[40:41], v[8:9]
	v_mul_f64 v[12:13], v[38:39], v[8:9]
	v_fma_f64 v[10:11], v[38:39], v[6:7], -v[10:11]
	v_fma_f64 v[12:13], v[40:41], v[6:7], v[12:13]
	v_add_f64 v[34:35], v[42:43], v[10:11]
	v_add_f64 v[36:37], v[12:13], v[44:45]
	ds_read_b128 v[10:13], v24 offset:1792
	s_waitcnt lgkmcnt(0)
	v_mul_f64 v[14:15], v[40:41], v[12:13]
	v_mul_f64 v[16:17], v[38:39], v[12:13]
	v_fma_f64 v[14:15], v[38:39], v[10:11], -v[14:15]
	v_fma_f64 v[16:17], v[40:41], v[10:11], v[16:17]
	;; [unrolled: 8-line block ×3, first 2 shown]
	v_mul_f64 v[8:9], v[14:15], v[12:13]
	v_add_f64 v[30:31], v[30:31], v[38:39]
	v_add_f64 v[32:33], v[6:7], v[32:33]
	v_mul_f64 v[6:7], v[16:17], v[12:13]
	v_fma_f64 v[8:9], v[16:17], v[10:11], v[8:9]
	v_fma_f64 v[6:7], v[14:15], v[10:11], -v[6:7]
	v_add_f64 v[20:21], v[8:9], v[20:21]
	v_add_f64 v[18:19], v[18:19], v[6:7]
	ds_read_b128 v[6:9], v25 offset:64
	ds_read_b128 v[10:13], v24 offset:2048
	s_waitcnt lgkmcnt(0)
	v_mul_f64 v[14:15], v[8:9], v[12:13]
	v_mul_f64 v[16:17], v[6:7], v[12:13]
	v_fma_f64 v[14:15], v[6:7], v[10:11], -v[14:15]
	v_fma_f64 v[16:17], v[8:9], v[10:11], v[16:17]
	v_add_f64 v[34:35], v[34:35], v[14:15]
	v_add_f64 v[36:37], v[16:17], v[36:37]
	ds_read_b128 v[14:17], v24 offset:2304
	s_waitcnt lgkmcnt(0)
	v_mul_f64 v[38:39], v[8:9], v[16:17]
	v_fma_f64 v[38:39], v[6:7], v[14:15], -v[38:39]
	v_mul_f64 v[6:7], v[6:7], v[16:17]
	v_add_f64 v[28:29], v[28:29], v[38:39]
	v_fma_f64 v[6:7], v[8:9], v[14:15], v[6:7]
	v_add_f64 v[26:27], v[6:7], v[26:27]
	ds_read_b128 v[6:9], v25 offset:2112
	s_waitcnt lgkmcnt(0)
	v_mul_f64 v[38:39], v[8:9], v[12:13]
	v_mul_f64 v[12:13], v[6:7], v[12:13]
	v_fma_f64 v[38:39], v[6:7], v[10:11], -v[38:39]
	v_fma_f64 v[10:11], v[8:9], v[10:11], v[12:13]
	v_add_f64 v[30:31], v[30:31], v[38:39]
	v_add_f64 v[32:33], v[10:11], v[32:33]
	v_mul_f64 v[10:11], v[8:9], v[16:17]
	v_fma_f64 v[10:11], v[6:7], v[14:15], -v[10:11]
	v_mul_f64 v[6:7], v[6:7], v[16:17]
	v_add_f64 v[18:19], v[18:19], v[10:11]
	v_fma_f64 v[6:7], v[8:9], v[14:15], v[6:7]
	v_add_f64 v[20:21], v[6:7], v[20:21]
	ds_read_b128 v[6:9], v25 offset:80
	ds_read_b128 v[10:13], v24 offset:2560
	s_waitcnt lgkmcnt(0)
	v_mul_f64 v[14:15], v[8:9], v[12:13]
	v_mul_f64 v[16:17], v[6:7], v[12:13]
	v_fma_f64 v[14:15], v[6:7], v[10:11], -v[14:15]
	v_fma_f64 v[16:17], v[8:9], v[10:11], v[16:17]
	v_add_f64 v[34:35], v[34:35], v[14:15]
	v_add_f64 v[36:37], v[16:17], v[36:37]
	ds_read_b128 v[14:17], v24 offset:2816
	s_waitcnt lgkmcnt(0)
	v_mul_f64 v[38:39], v[8:9], v[16:17]
	v_fma_f64 v[38:39], v[6:7], v[14:15], -v[38:39]
	v_mul_f64 v[6:7], v[6:7], v[16:17]
	v_add_f64 v[28:29], v[28:29], v[38:39]
	v_fma_f64 v[6:7], v[8:9], v[14:15], v[6:7]
	v_add_f64 v[26:27], v[6:7], v[26:27]
	ds_read_b128 v[6:9], v25 offset:2128
	s_waitcnt lgkmcnt(0)
	v_mul_f64 v[38:39], v[8:9], v[12:13]
	v_mul_f64 v[12:13], v[6:7], v[12:13]
	v_fma_f64 v[38:39], v[6:7], v[10:11], -v[38:39]
	v_fma_f64 v[10:11], v[8:9], v[10:11], v[12:13]
	v_add_f64 v[30:31], v[30:31], v[38:39]
	v_add_f64 v[32:33], v[10:11], v[32:33]
	v_mul_f64 v[10:11], v[8:9], v[16:17]
	v_fma_f64 v[10:11], v[6:7], v[14:15], -v[10:11]
	v_mul_f64 v[6:7], v[6:7], v[16:17]
	v_add_f64 v[18:19], v[18:19], v[10:11]
	v_fma_f64 v[6:7], v[8:9], v[14:15], v[6:7]
	v_add_f64 v[20:21], v[6:7], v[20:21]
	ds_read_b128 v[6:9], v25 offset:96
	ds_read_b128 v[10:13], v24 offset:3072
	s_waitcnt lgkmcnt(0)
	v_mul_f64 v[14:15], v[8:9], v[12:13]
	v_mul_f64 v[16:17], v[6:7], v[12:13]
	v_fma_f64 v[14:15], v[6:7], v[10:11], -v[14:15]
	v_fma_f64 v[16:17], v[8:9], v[10:11], v[16:17]
	v_add_f64 v[34:35], v[34:35], v[14:15]
	v_add_f64 v[36:37], v[16:17], v[36:37]
	ds_read_b128 v[14:17], v24 offset:3328
	s_waitcnt lgkmcnt(0)
	v_mul_f64 v[38:39], v[8:9], v[16:17]
	v_fma_f64 v[38:39], v[6:7], v[14:15], -v[38:39]
	v_mul_f64 v[6:7], v[6:7], v[16:17]
	v_add_f64 v[38:39], v[28:29], v[38:39]
	v_fma_f64 v[6:7], v[8:9], v[14:15], v[6:7]
	v_add_f64 v[40:41], v[6:7], v[26:27]
	ds_read_b128 v[6:9], v25 offset:2144
	s_waitcnt lgkmcnt(0)
	v_mul_f64 v[26:27], v[8:9], v[12:13]
	v_mul_f64 v[12:13], v[6:7], v[12:13]
	v_fma_f64 v[26:27], v[6:7], v[10:11], -v[26:27]
	v_fma_f64 v[10:11], v[8:9], v[10:11], v[12:13]
	v_add_f64 v[42:43], v[30:31], v[26:27]
	v_add_f64 v[44:45], v[10:11], v[32:33]
	v_mul_f64 v[10:11], v[8:9], v[16:17]
	v_fma_f64 v[10:11], v[6:7], v[14:15], -v[10:11]
	v_mul_f64 v[6:7], v[6:7], v[16:17]
	v_add_f64 v[46:47], v[18:19], v[10:11]
	v_fma_f64 v[6:7], v[8:9], v[14:15], v[6:7]
	v_add_f64 v[48:49], v[6:7], v[20:21]
	ds_read_b128 v[6:9], v25 offset:112
	ds_read_b128 v[10:13], v24 offset:3584
	;; [unrolled: 1-line block ×4, first 2 shown]
	s_waitcnt lgkmcnt(0)
	s_barrier
	v_mul_f64 v[14:15], v[8:9], v[12:13]
	v_mul_f64 v[16:17], v[6:7], v[12:13]
	v_fma_f64 v[14:15], v[6:7], v[10:11], -v[14:15]
	v_fma_f64 v[16:17], v[8:9], v[10:11], v[16:17]
	v_add_f64 v[18:19], v[34:35], v[14:15]
	v_mul_f64 v[14:15], v[8:9], v[28:29]
	v_add_f64 v[20:21], v[16:17], v[36:37]
	v_fma_f64 v[14:15], v[6:7], v[26:27], -v[14:15]
	v_mul_f64 v[6:7], v[6:7], v[28:29]
	v_fma_f64 v[8:9], v[8:9], v[26:27], v[6:7]
	v_add_f64 v[6:7], v[38:39], v[14:15]
	v_mul_f64 v[14:15], v[32:33], v[12:13]
	v_mul_f64 v[12:13], v[30:31], v[12:13]
	v_add_f64 v[8:9], v[8:9], v[40:41]
	v_fma_f64 v[14:15], v[30:31], v[10:11], -v[14:15]
	v_fma_f64 v[10:11], v[32:33], v[10:11], v[12:13]
	v_mul_f64 v[12:13], v[30:31], v[28:29]
	v_add_f64 v[14:15], v[42:43], v[14:15]
	v_add_f64 v[16:17], v[10:11], v[44:45]
	v_mul_f64 v[10:11], v[32:33], v[28:29]
	v_fma_f64 v[12:13], v[32:33], v[26:27], v[12:13]
	v_fma_f64 v[10:11], v[30:31], v[26:27], -v[10:11]
	v_add_f64 v[12:13], v[12:13], v[48:49]
	v_add_f64 v[10:11], v[46:47], v[10:11]
	s_cbranch_scc0 .LBB726_2
	s_branch .LBB726_4
.LBB726_3:
	v_mov_b32_e32 v18, 0
	v_mov_b32_e32 v20, 0
	;; [unrolled: 1-line block ×16, first 2 shown]
.LBB726_4:
	s_load_dword s8, s[4:5], 0x60
	v_add_u32_e32 v4, s7, v1
	s_waitcnt lgkmcnt(0)
	v_mov_b32_e32 v3, s11
	v_add_u32_e32 v0, s6, v0
	v_mad_i64_i32 v[1:2], s[0:1], v4, s8, 0
	v_cmp_le_i32_e64 s[0:1], v4, v0
	v_lshlrev_b64 v[1:2], 4, v[1:2]
	v_add_co_u32_e32 v5, vcc, s10, v1
	v_addc_co_u32_e32 v22, vcc, v3, v2, vcc
	v_cmp_gt_i32_e32 vcc, s20, v0
	s_and_b64 s[0:1], s[0:1], vcc
	s_and_saveexec_b64 s[2:3], s[0:1]
	s_cbranch_execz .LBB726_6
; %bb.5:
	v_ashrrev_i32_e32 v1, 31, v0
	v_lshlrev_b64 v[1:2], 4, v[0:1]
	v_mul_f64 v[27:28], s[14:15], v[20:21]
	v_add_co_u32_e64 v1, s[0:1], v5, v1
	v_addc_co_u32_e64 v2, s[0:1], v22, v2, s[0:1]
	flat_load_dwordx4 v[23:26], v[1:2]
	v_mul_f64 v[20:21], s[12:13], v[20:21]
	v_fma_f64 v[27:28], s[12:13], v[18:19], -v[27:28]
	v_fma_f64 v[20:21], s[14:15], v[18:19], v[20:21]
	s_waitcnt vmcnt(0) lgkmcnt(0)
	v_mul_f64 v[29:30], s[18:19], v[25:26]
	v_mul_f64 v[25:26], s[16:17], v[25:26]
	v_fma_f64 v[18:19], s[16:17], v[23:24], -v[29:30]
	v_fma_f64 v[23:24], s[18:19], v[23:24], v[25:26]
	v_add_f64 v[18:19], v[27:28], v[18:19]
	v_add_f64 v[20:21], v[20:21], v[23:24]
	flat_store_dwordx4 v[1:2], v[18:21]
.LBB726_6:
	s_or_b64 exec, exec, s[2:3]
	v_add_u32_e32 v2, 16, v0
	v_cmp_le_i32_e64 s[2:3], v4, v2
	v_cmp_gt_i32_e64 s[0:1], s20, v2
	s_and_b64 s[2:3], s[2:3], s[0:1]
	s_and_saveexec_b64 s[4:5], s[2:3]
	s_cbranch_execz .LBB726_8
; %bb.7:
	v_ashrrev_i32_e32 v3, 31, v2
	v_lshlrev_b64 v[18:19], 4, v[2:3]
	v_mul_f64 v[25:26], s[14:15], v[8:9]
	v_add_co_u32_e64 v23, s[2:3], v5, v18
	v_addc_co_u32_e64 v24, s[2:3], v22, v19, s[2:3]
	flat_load_dwordx4 v[18:21], v[23:24]
	v_mul_f64 v[8:9], s[12:13], v[8:9]
	v_fma_f64 v[25:26], s[12:13], v[6:7], -v[25:26]
	v_fma_f64 v[7:8], s[14:15], v[6:7], v[8:9]
	s_waitcnt vmcnt(0) lgkmcnt(0)
	v_mul_f64 v[27:28], s[18:19], v[20:21]
	v_mul_f64 v[20:21], s[16:17], v[20:21]
	v_fma_f64 v[5:6], s[16:17], v[18:19], -v[27:28]
	v_fma_f64 v[18:19], s[18:19], v[18:19], v[20:21]
	v_add_f64 v[5:6], v[25:26], v[5:6]
	v_add_f64 v[7:8], v[7:8], v[18:19]
	flat_store_dwordx4 v[23:24], v[5:8]
.LBB726_8:
	s_or_b64 exec, exec, s[4:5]
	v_add_u32_e32 v3, 16, v4
	v_mad_i64_i32 v[4:5], s[2:3], v3, s8, 0
	v_mov_b32_e32 v1, s11
	v_lshlrev_b64 v[4:5], 4, v[4:5]
	v_add_co_u32_e64 v4, s[2:3], s10, v4
	v_addc_co_u32_e64 v5, s[2:3], v1, v5, s[2:3]
	v_cmp_le_i32_e64 s[2:3], v3, v0
	s_and_b64 s[4:5], s[2:3], vcc
	s_and_saveexec_b64 s[2:3], s[4:5]
	s_cbranch_execz .LBB726_10
; %bb.9:
	v_ashrrev_i32_e32 v1, 31, v0
	v_lshlrev_b64 v[0:1], 4, v[0:1]
	v_mul_f64 v[18:19], s[14:15], v[16:17]
	v_add_co_u32_e32 v0, vcc, v4, v0
	v_addc_co_u32_e32 v1, vcc, v5, v1, vcc
	flat_load_dwordx4 v[6:9], v[0:1]
	v_mul_f64 v[16:17], s[12:13], v[16:17]
	v_fma_f64 v[18:19], s[12:13], v[14:15], -v[18:19]
	v_fma_f64 v[14:15], s[14:15], v[14:15], v[16:17]
	s_waitcnt vmcnt(0) lgkmcnt(0)
	v_mul_f64 v[20:21], s[18:19], v[8:9]
	v_mul_f64 v[8:9], s[16:17], v[8:9]
	v_fma_f64 v[16:17], s[16:17], v[6:7], -v[20:21]
	v_fma_f64 v[8:9], s[18:19], v[6:7], v[8:9]
	v_add_f64 v[6:7], v[18:19], v[16:17]
	v_add_f64 v[8:9], v[14:15], v[8:9]
	flat_store_dwordx4 v[0:1], v[6:9]
.LBB726_10:
	s_or_b64 exec, exec, s[2:3]
	v_cmp_le_i32_e32 vcc, v3, v2
	s_and_b64 s[0:1], vcc, s[0:1]
	s_and_saveexec_b64 s[2:3], s[0:1]
	s_cbranch_execz .LBB726_12
; %bb.11:
	v_ashrrev_i32_e32 v3, 31, v2
	v_lshlrev_b64 v[0:1], 4, v[2:3]
	v_mul_f64 v[6:7], s[14:15], v[12:13]
	v_add_co_u32_e32 v4, vcc, v4, v0
	v_addc_co_u32_e32 v5, vcc, v5, v1, vcc
	flat_load_dwordx4 v[0:3], v[4:5]
	v_mul_f64 v[8:9], s[12:13], v[12:13]
	v_fma_f64 v[6:7], s[12:13], v[10:11], -v[6:7]
	v_fma_f64 v[8:9], s[14:15], v[10:11], v[8:9]
	s_waitcnt vmcnt(0) lgkmcnt(0)
	v_mul_f64 v[12:13], s[18:19], v[2:3]
	v_mul_f64 v[2:3], s[16:17], v[2:3]
	v_fma_f64 v[10:11], s[16:17], v[0:1], -v[12:13]
	v_fma_f64 v[2:3], s[18:19], v[0:1], v[2:3]
	v_add_f64 v[0:1], v[6:7], v[10:11]
	v_add_f64 v[2:3], v[8:9], v[2:3]
	flat_store_dwordx4 v[4:5], v[0:3]
.LBB726_12:
	s_endpgm
	.section	.rodata,"a",@progbits
	.p2align	6, 0x0
	.amdhsa_kernel _ZL37rocblas_syrkx_herkx_restricted_kernelIi19rocblas_complex_numIdELi16ELi32ELi8ELb0ELb0ELc67ELc76EKPKS1_KPS1_EviT_T0_PT8_S7_lSA_S7_lS8_PT9_S7_li
		.amdhsa_group_segment_fixed_size 8192
		.amdhsa_private_segment_fixed_size 0
		.amdhsa_kernarg_size 116
		.amdhsa_user_sgpr_count 6
		.amdhsa_user_sgpr_private_segment_buffer 1
		.amdhsa_user_sgpr_dispatch_ptr 0
		.amdhsa_user_sgpr_queue_ptr 0
		.amdhsa_user_sgpr_kernarg_segment_ptr 1
		.amdhsa_user_sgpr_dispatch_id 0
		.amdhsa_user_sgpr_flat_scratch_init 0
		.amdhsa_user_sgpr_private_segment_size 0
		.amdhsa_uses_dynamic_stack 0
		.amdhsa_system_sgpr_private_segment_wavefront_offset 0
		.amdhsa_system_sgpr_workgroup_id_x 1
		.amdhsa_system_sgpr_workgroup_id_y 1
		.amdhsa_system_sgpr_workgroup_id_z 1
		.amdhsa_system_sgpr_workgroup_info 0
		.amdhsa_system_vgpr_workitem_id 1
		.amdhsa_next_free_vgpr 52
		.amdhsa_next_free_sgpr 61
		.amdhsa_reserve_vcc 1
		.amdhsa_reserve_flat_scratch 0
		.amdhsa_float_round_mode_32 0
		.amdhsa_float_round_mode_16_64 0
		.amdhsa_float_denorm_mode_32 3
		.amdhsa_float_denorm_mode_16_64 3
		.amdhsa_dx10_clamp 1
		.amdhsa_ieee_mode 1
		.amdhsa_fp16_overflow 0
		.amdhsa_exception_fp_ieee_invalid_op 0
		.amdhsa_exception_fp_denorm_src 0
		.amdhsa_exception_fp_ieee_div_zero 0
		.amdhsa_exception_fp_ieee_overflow 0
		.amdhsa_exception_fp_ieee_underflow 0
		.amdhsa_exception_fp_ieee_inexact 0
		.amdhsa_exception_int_div_zero 0
	.end_amdhsa_kernel
	.section	.text._ZL37rocblas_syrkx_herkx_restricted_kernelIi19rocblas_complex_numIdELi16ELi32ELi8ELb0ELb0ELc67ELc76EKPKS1_KPS1_EviT_T0_PT8_S7_lSA_S7_lS8_PT9_S7_li,"axG",@progbits,_ZL37rocblas_syrkx_herkx_restricted_kernelIi19rocblas_complex_numIdELi16ELi32ELi8ELb0ELb0ELc67ELc76EKPKS1_KPS1_EviT_T0_PT8_S7_lSA_S7_lS8_PT9_S7_li,comdat
.Lfunc_end726:
	.size	_ZL37rocblas_syrkx_herkx_restricted_kernelIi19rocblas_complex_numIdELi16ELi32ELi8ELb0ELb0ELc67ELc76EKPKS1_KPS1_EviT_T0_PT8_S7_lSA_S7_lS8_PT9_S7_li, .Lfunc_end726-_ZL37rocblas_syrkx_herkx_restricted_kernelIi19rocblas_complex_numIdELi16ELi32ELi8ELb0ELb0ELc67ELc76EKPKS1_KPS1_EviT_T0_PT8_S7_lSA_S7_lS8_PT9_S7_li
                                        ; -- End function
	.set _ZL37rocblas_syrkx_herkx_restricted_kernelIi19rocblas_complex_numIdELi16ELi32ELi8ELb0ELb0ELc67ELc76EKPKS1_KPS1_EviT_T0_PT8_S7_lSA_S7_lS8_PT9_S7_li.num_vgpr, 52
	.set _ZL37rocblas_syrkx_herkx_restricted_kernelIi19rocblas_complex_numIdELi16ELi32ELi8ELb0ELb0ELc67ELc76EKPKS1_KPS1_EviT_T0_PT8_S7_lSA_S7_lS8_PT9_S7_li.num_agpr, 0
	.set _ZL37rocblas_syrkx_herkx_restricted_kernelIi19rocblas_complex_numIdELi16ELi32ELi8ELb0ELb0ELc67ELc76EKPKS1_KPS1_EviT_T0_PT8_S7_lSA_S7_lS8_PT9_S7_li.numbered_sgpr, 25
	.set _ZL37rocblas_syrkx_herkx_restricted_kernelIi19rocblas_complex_numIdELi16ELi32ELi8ELb0ELb0ELc67ELc76EKPKS1_KPS1_EviT_T0_PT8_S7_lSA_S7_lS8_PT9_S7_li.num_named_barrier, 0
	.set _ZL37rocblas_syrkx_herkx_restricted_kernelIi19rocblas_complex_numIdELi16ELi32ELi8ELb0ELb0ELc67ELc76EKPKS1_KPS1_EviT_T0_PT8_S7_lSA_S7_lS8_PT9_S7_li.private_seg_size, 0
	.set _ZL37rocblas_syrkx_herkx_restricted_kernelIi19rocblas_complex_numIdELi16ELi32ELi8ELb0ELb0ELc67ELc76EKPKS1_KPS1_EviT_T0_PT8_S7_lSA_S7_lS8_PT9_S7_li.uses_vcc, 1
	.set _ZL37rocblas_syrkx_herkx_restricted_kernelIi19rocblas_complex_numIdELi16ELi32ELi8ELb0ELb0ELc67ELc76EKPKS1_KPS1_EviT_T0_PT8_S7_lSA_S7_lS8_PT9_S7_li.uses_flat_scratch, 0
	.set _ZL37rocblas_syrkx_herkx_restricted_kernelIi19rocblas_complex_numIdELi16ELi32ELi8ELb0ELb0ELc67ELc76EKPKS1_KPS1_EviT_T0_PT8_S7_lSA_S7_lS8_PT9_S7_li.has_dyn_sized_stack, 0
	.set _ZL37rocblas_syrkx_herkx_restricted_kernelIi19rocblas_complex_numIdELi16ELi32ELi8ELb0ELb0ELc67ELc76EKPKS1_KPS1_EviT_T0_PT8_S7_lSA_S7_lS8_PT9_S7_li.has_recursion, 0
	.set _ZL37rocblas_syrkx_herkx_restricted_kernelIi19rocblas_complex_numIdELi16ELi32ELi8ELb0ELb0ELc67ELc76EKPKS1_KPS1_EviT_T0_PT8_S7_lSA_S7_lS8_PT9_S7_li.has_indirect_call, 0
	.section	.AMDGPU.csdata,"",@progbits
; Kernel info:
; codeLenInByte = 3088
; TotalNumSgprs: 29
; NumVgprs: 52
; ScratchSize: 0
; MemoryBound: 0
; FloatMode: 240
; IeeeMode: 1
; LDSByteSize: 8192 bytes/workgroup (compile time only)
; SGPRBlocks: 8
; VGPRBlocks: 12
; NumSGPRsForWavesPerEU: 65
; NumVGPRsForWavesPerEU: 52
; Occupancy: 4
; WaveLimiterHint : 1
; COMPUTE_PGM_RSRC2:SCRATCH_EN: 0
; COMPUTE_PGM_RSRC2:USER_SGPR: 6
; COMPUTE_PGM_RSRC2:TRAP_HANDLER: 0
; COMPUTE_PGM_RSRC2:TGID_X_EN: 1
; COMPUTE_PGM_RSRC2:TGID_Y_EN: 1
; COMPUTE_PGM_RSRC2:TGID_Z_EN: 1
; COMPUTE_PGM_RSRC2:TIDIG_COMP_CNT: 1
	.section	.text._ZL37rocblas_syrkx_herkx_restricted_kernelIi19rocblas_complex_numIdELi16ELi32ELi8ELb0ELb0ELc78ELc76EKPKS1_KPS1_EviT_T0_PT8_S7_lSA_S7_lS8_PT9_S7_li,"axG",@progbits,_ZL37rocblas_syrkx_herkx_restricted_kernelIi19rocblas_complex_numIdELi16ELi32ELi8ELb0ELb0ELc78ELc76EKPKS1_KPS1_EviT_T0_PT8_S7_lSA_S7_lS8_PT9_S7_li,comdat
	.globl	_ZL37rocblas_syrkx_herkx_restricted_kernelIi19rocblas_complex_numIdELi16ELi32ELi8ELb0ELb0ELc78ELc76EKPKS1_KPS1_EviT_T0_PT8_S7_lSA_S7_lS8_PT9_S7_li ; -- Begin function _ZL37rocblas_syrkx_herkx_restricted_kernelIi19rocblas_complex_numIdELi16ELi32ELi8ELb0ELb0ELc78ELc76EKPKS1_KPS1_EviT_T0_PT8_S7_lSA_S7_lS8_PT9_S7_li
	.p2align	8
	.type	_ZL37rocblas_syrkx_herkx_restricted_kernelIi19rocblas_complex_numIdELi16ELi32ELi8ELb0ELb0ELc78ELc76EKPKS1_KPS1_EviT_T0_PT8_S7_lSA_S7_lS8_PT9_S7_li,@function
_ZL37rocblas_syrkx_herkx_restricted_kernelIi19rocblas_complex_numIdELi16ELi32ELi8ELb0ELb0ELc78ELc76EKPKS1_KPS1_EviT_T0_PT8_S7_lSA_S7_lS8_PT9_S7_li: ; @_ZL37rocblas_syrkx_herkx_restricted_kernelIi19rocblas_complex_numIdELi16ELi32ELi8ELb0ELb0ELc78ELc76EKPKS1_KPS1_EviT_T0_PT8_S7_lSA_S7_lS8_PT9_S7_li
; %bb.0:
	s_load_dwordx2 s[20:21], s[4:5], 0x0
	s_load_dwordx4 s[12:15], s[4:5], 0x8
	s_load_dwordx2 s[10:11], s[4:5], 0x58
	s_load_dwordx2 s[0:1], s[4:5], 0x18
	s_load_dwordx4 s[16:19], s[4:5], 0x48
	s_mov_b32 s9, 0
	s_lshl_b64 s[2:3], s[8:9], 3
	s_waitcnt lgkmcnt(0)
	s_add_u32 s10, s10, s2
	s_addc_u32 s11, s11, s3
	s_load_dwordx2 s[10:11], s[10:11], 0x0
	s_lshl_b32 s6, s6, 5
	s_lshl_b32 s7, s7, 5
	s_cmp_lt_i32 s21, 1
	s_cbranch_scc1 .LBB727_3
; %bb.1:
	s_load_dword s22, s[4:5], 0x20
	s_load_dword s24, s[4:5], 0x38
	s_load_dwordx2 s[26:27], s[4:5], 0x30
	v_lshl_add_u32 v2, v1, 4, v0
	v_lshrrev_b32_e32 v6, 3, v2
	s_waitcnt lgkmcnt(0)
	s_ashr_i32 s23, s22, 31
	s_ashr_i32 s25, s24, 31
	s_add_u32 s0, s0, s2
	s_addc_u32 s1, s1, s3
	v_lshrrev_b32_e32 v7, 5, v2
	v_and_b32_e32 v9, 31, v2
	v_add_u32_e32 v2, s7, v6
	s_add_u32 s2, s26, s2
	v_and_b32_e32 v8, 7, v0
	v_ashrrev_i32_e32 v3, 31, v2
	s_addc_u32 s3, s27, s3
	v_mad_i64_i32 v[4:5], s[26:27], s24, v8, v[2:3]
	v_lshlrev_b32_e32 v2, 4, v9
	v_lshl_or_b32 v22, v7, 9, v2
	v_lshlrev_b32_e32 v2, 4, v8
	v_lshl_or_b32 v2, v6, 7, v2
	v_add_u32_e32 v23, 0x1000, v2
	v_add_u32_e32 v2, s6, v9
	v_ashrrev_i32_e32 v3, 31, v2
	v_mad_i64_i32 v[2:3], s[26:27], s22, v7, v[2:3]
	s_load_dwordx2 s[0:1], s[0:1], 0x0
	v_mov_b32_e32 v6, 0x1000
	s_load_dwordx2 s[2:3], s[2:3], 0x0
	v_lshlrev_b64 v[2:3], 4, v[2:3]
	v_lshl_add_u32 v25, v1, 7, v6
	s_waitcnt lgkmcnt(0)
	v_mov_b32_e32 v6, s1
	v_add_co_u32_e32 v2, vcc, s0, v2
	v_lshlrev_b64 v[4:5], 4, v[4:5]
	v_addc_co_u32_e32 v3, vcc, v6, v3, vcc
	v_mov_b32_e32 v6, s3
	v_add_co_u32_e32 v4, vcc, s2, v4
	s_lshl_b64 s[0:1], s[22:23], 7
	v_addc_co_u32_e32 v5, vcc, v6, v5, vcc
	s_lshl_b64 s[2:3], s[24:25], 7
	v_mov_b32_e32 v8, 0
	v_mov_b32_e32 v6, 0
	;; [unrolled: 1-line block ×8, first 2 shown]
	v_lshlrev_b32_e32 v24, 4, v0
	v_mov_b32_e32 v9, 0
	v_mov_b32_e32 v26, s1
	;; [unrolled: 1-line block ×10, first 2 shown]
.LBB727_2:                              ; =>This Inner Loop Header: Depth=1
	flat_load_dwordx4 v[28:31], v[2:3]
	v_add_co_u32_e32 v2, vcc, s0, v2
	v_addc_co_u32_e32 v3, vcc, v3, v26, vcc
	s_add_i32 s9, s9, 8
	s_cmp_ge_i32 s9, s21
	s_waitcnt vmcnt(0) lgkmcnt(0)
	ds_write_b128 v22, v[28:31]
	flat_load_dwordx4 v[28:31], v[4:5]
	v_add_co_u32_e32 v4, vcc, s2, v4
	v_addc_co_u32_e32 v5, vcc, v5, v27, vcc
	s_waitcnt vmcnt(0) lgkmcnt(0)
	ds_write_b128 v23, v[28:31]
	s_waitcnt lgkmcnt(0)
	s_barrier
	ds_read_b128 v[28:31], v25
	ds_read_b128 v[32:35], v25 offset:16
	ds_read_b128 v[36:39], v25 offset:32
	;; [unrolled: 1-line block ×3, first 2 shown]
	ds_read_b128 v[44:47], v24
	s_waitcnt lgkmcnt(0)
	v_mul_f64 v[48:49], v[30:31], v[46:47]
	v_mul_f64 v[50:51], v[28:29], v[46:47]
	v_fma_f64 v[48:49], v[28:29], v[44:45], -v[48:49]
	v_fma_f64 v[50:51], v[30:31], v[44:45], v[50:51]
	v_add_f64 v[48:49], v[18:19], v[48:49]
	v_add_f64 v[50:51], v[50:51], v[20:21]
	ds_read_b128 v[18:21], v24 offset:256
	s_waitcnt lgkmcnt(0)
	v_mul_f64 v[52:53], v[30:31], v[20:21]
	v_fma_f64 v[52:53], v[28:29], v[18:19], -v[52:53]
	v_mul_f64 v[28:29], v[28:29], v[20:21]
	v_fma_f64 v[28:29], v[30:31], v[18:19], v[28:29]
	v_add_f64 v[30:31], v[10:11], v[52:53]
	v_add_f64 v[28:29], v[28:29], v[12:13]
	ds_read_b128 v[10:13], v25 offset:2048
	s_waitcnt lgkmcnt(0)
	v_mul_f64 v[52:53], v[12:13], v[46:47]
	v_mul_f64 v[46:47], v[10:11], v[46:47]
	v_fma_f64 v[52:53], v[10:11], v[44:45], -v[52:53]
	v_fma_f64 v[44:45], v[12:13], v[44:45], v[46:47]
	v_add_f64 v[46:47], v[14:15], v[52:53]
	v_mul_f64 v[14:15], v[12:13], v[20:21]
	v_add_f64 v[44:45], v[44:45], v[16:17]
	v_fma_f64 v[14:15], v[10:11], v[18:19], -v[14:15]
	v_mul_f64 v[10:11], v[10:11], v[20:21]
	v_fma_f64 v[10:11], v[12:13], v[18:19], v[10:11]
	v_add_f64 v[18:19], v[6:7], v[14:15]
	v_add_f64 v[20:21], v[10:11], v[8:9]
	ds_read_b128 v[6:9], v24 offset:512
	s_waitcnt lgkmcnt(0)
	v_mul_f64 v[10:11], v[34:35], v[8:9]
	v_mul_f64 v[12:13], v[32:33], v[8:9]
	v_fma_f64 v[10:11], v[32:33], v[6:7], -v[10:11]
	v_fma_f64 v[12:13], v[34:35], v[6:7], v[12:13]
	v_add_f64 v[48:49], v[48:49], v[10:11]
	v_add_f64 v[50:51], v[12:13], v[50:51]
	ds_read_b128 v[10:13], v24 offset:768
	s_waitcnt lgkmcnt(0)
	v_mul_f64 v[14:15], v[34:35], v[12:13]
	v_mul_f64 v[16:17], v[32:33], v[12:13]
	v_fma_f64 v[14:15], v[32:33], v[10:11], -v[14:15]
	;; [unrolled: 8-line block ×3, first 2 shown]
	v_fma_f64 v[6:7], v[16:17], v[6:7], v[8:9]
	v_mul_f64 v[8:9], v[14:15], v[12:13]
	v_add_f64 v[32:33], v[46:47], v[32:33]
	v_add_f64 v[34:35], v[6:7], v[44:45]
	v_mul_f64 v[6:7], v[16:17], v[12:13]
	v_fma_f64 v[8:9], v[16:17], v[10:11], v[8:9]
	v_fma_f64 v[6:7], v[14:15], v[10:11], -v[6:7]
	v_add_f64 v[20:21], v[8:9], v[20:21]
	v_add_f64 v[18:19], v[18:19], v[6:7]
	ds_read_b128 v[6:9], v24 offset:1024
	s_waitcnt lgkmcnt(0)
	v_mul_f64 v[10:11], v[38:39], v[8:9]
	v_mul_f64 v[12:13], v[36:37], v[8:9]
	v_fma_f64 v[10:11], v[36:37], v[6:7], -v[10:11]
	v_fma_f64 v[12:13], v[38:39], v[6:7], v[12:13]
	v_add_f64 v[44:45], v[48:49], v[10:11]
	v_add_f64 v[46:47], v[12:13], v[50:51]
	ds_read_b128 v[10:13], v24 offset:1280
	s_waitcnt lgkmcnt(0)
	v_mul_f64 v[14:15], v[38:39], v[12:13]
	v_mul_f64 v[16:17], v[36:37], v[12:13]
	v_fma_f64 v[14:15], v[36:37], v[10:11], -v[14:15]
	v_fma_f64 v[16:17], v[38:39], v[10:11], v[16:17]
	;; [unrolled: 8-line block ×3, first 2 shown]
	v_mul_f64 v[8:9], v[14:15], v[12:13]
	v_add_f64 v[32:33], v[32:33], v[36:37]
	v_add_f64 v[34:35], v[6:7], v[34:35]
	v_mul_f64 v[6:7], v[16:17], v[12:13]
	v_fma_f64 v[8:9], v[16:17], v[10:11], v[8:9]
	v_fma_f64 v[6:7], v[14:15], v[10:11], -v[6:7]
	v_add_f64 v[20:21], v[8:9], v[20:21]
	v_add_f64 v[18:19], v[18:19], v[6:7]
	ds_read_b128 v[6:9], v24 offset:1536
	s_waitcnt lgkmcnt(0)
	v_mul_f64 v[10:11], v[42:43], v[8:9]
	v_mul_f64 v[12:13], v[40:41], v[8:9]
	v_fma_f64 v[10:11], v[40:41], v[6:7], -v[10:11]
	v_fma_f64 v[12:13], v[42:43], v[6:7], v[12:13]
	v_add_f64 v[36:37], v[44:45], v[10:11]
	v_add_f64 v[38:39], v[12:13], v[46:47]
	ds_read_b128 v[10:13], v24 offset:1792
	s_waitcnt lgkmcnt(0)
	v_mul_f64 v[14:15], v[42:43], v[12:13]
	v_mul_f64 v[16:17], v[40:41], v[12:13]
	v_fma_f64 v[14:15], v[40:41], v[10:11], -v[14:15]
	v_fma_f64 v[16:17], v[42:43], v[10:11], v[16:17]
	;; [unrolled: 8-line block ×3, first 2 shown]
	v_mul_f64 v[8:9], v[14:15], v[12:13]
	v_add_f64 v[32:33], v[32:33], v[40:41]
	v_add_f64 v[34:35], v[6:7], v[34:35]
	v_mul_f64 v[6:7], v[16:17], v[12:13]
	v_fma_f64 v[8:9], v[16:17], v[10:11], v[8:9]
	v_fma_f64 v[6:7], v[14:15], v[10:11], -v[6:7]
	v_add_f64 v[20:21], v[8:9], v[20:21]
	v_add_f64 v[18:19], v[18:19], v[6:7]
	ds_read_b128 v[6:9], v25 offset:64
	ds_read_b128 v[10:13], v24 offset:2048
	s_waitcnt lgkmcnt(0)
	v_mul_f64 v[14:15], v[8:9], v[12:13]
	v_mul_f64 v[16:17], v[6:7], v[12:13]
	v_fma_f64 v[14:15], v[6:7], v[10:11], -v[14:15]
	v_fma_f64 v[16:17], v[8:9], v[10:11], v[16:17]
	v_add_f64 v[36:37], v[36:37], v[14:15]
	v_add_f64 v[38:39], v[16:17], v[38:39]
	ds_read_b128 v[14:17], v24 offset:2304
	s_waitcnt lgkmcnt(0)
	v_mul_f64 v[40:41], v[8:9], v[16:17]
	v_fma_f64 v[40:41], v[6:7], v[14:15], -v[40:41]
	v_mul_f64 v[6:7], v[6:7], v[16:17]
	v_add_f64 v[30:31], v[30:31], v[40:41]
	v_fma_f64 v[6:7], v[8:9], v[14:15], v[6:7]
	v_add_f64 v[28:29], v[6:7], v[28:29]
	ds_read_b128 v[6:9], v25 offset:2112
	s_waitcnt lgkmcnt(0)
	v_mul_f64 v[40:41], v[8:9], v[12:13]
	v_mul_f64 v[12:13], v[6:7], v[12:13]
	v_fma_f64 v[40:41], v[6:7], v[10:11], -v[40:41]
	v_fma_f64 v[10:11], v[8:9], v[10:11], v[12:13]
	v_add_f64 v[32:33], v[32:33], v[40:41]
	v_add_f64 v[34:35], v[10:11], v[34:35]
	v_mul_f64 v[10:11], v[8:9], v[16:17]
	v_fma_f64 v[10:11], v[6:7], v[14:15], -v[10:11]
	v_mul_f64 v[6:7], v[6:7], v[16:17]
	v_add_f64 v[18:19], v[18:19], v[10:11]
	v_fma_f64 v[6:7], v[8:9], v[14:15], v[6:7]
	v_add_f64 v[20:21], v[6:7], v[20:21]
	ds_read_b128 v[6:9], v25 offset:80
	ds_read_b128 v[10:13], v24 offset:2560
	s_waitcnt lgkmcnt(0)
	v_mul_f64 v[14:15], v[8:9], v[12:13]
	v_mul_f64 v[16:17], v[6:7], v[12:13]
	v_fma_f64 v[14:15], v[6:7], v[10:11], -v[14:15]
	v_fma_f64 v[16:17], v[8:9], v[10:11], v[16:17]
	v_add_f64 v[36:37], v[36:37], v[14:15]
	v_add_f64 v[38:39], v[16:17], v[38:39]
	ds_read_b128 v[14:17], v24 offset:2816
	s_waitcnt lgkmcnt(0)
	v_mul_f64 v[40:41], v[8:9], v[16:17]
	v_fma_f64 v[40:41], v[6:7], v[14:15], -v[40:41]
	v_mul_f64 v[6:7], v[6:7], v[16:17]
	v_add_f64 v[30:31], v[30:31], v[40:41]
	v_fma_f64 v[6:7], v[8:9], v[14:15], v[6:7]
	v_add_f64 v[28:29], v[6:7], v[28:29]
	ds_read_b128 v[6:9], v25 offset:2128
	s_waitcnt lgkmcnt(0)
	v_mul_f64 v[40:41], v[8:9], v[12:13]
	v_mul_f64 v[12:13], v[6:7], v[12:13]
	v_fma_f64 v[40:41], v[6:7], v[10:11], -v[40:41]
	v_fma_f64 v[10:11], v[8:9], v[10:11], v[12:13]
	v_add_f64 v[32:33], v[32:33], v[40:41]
	v_add_f64 v[34:35], v[10:11], v[34:35]
	v_mul_f64 v[10:11], v[8:9], v[16:17]
	v_fma_f64 v[10:11], v[6:7], v[14:15], -v[10:11]
	v_mul_f64 v[6:7], v[6:7], v[16:17]
	v_add_f64 v[18:19], v[18:19], v[10:11]
	v_fma_f64 v[6:7], v[8:9], v[14:15], v[6:7]
	;; [unrolled: 31-line block ×3, first 2 shown]
	v_add_f64 v[46:47], v[6:7], v[20:21]
	ds_read_b128 v[6:9], v25 offset:112
	ds_read_b128 v[14:17], v24 offset:3584
	ds_read_b128 v[28:31], v24 offset:3840
	s_waitcnt lgkmcnt(1)
	v_mul_f64 v[10:11], v[8:9], v[16:17]
	v_mul_f64 v[12:13], v[6:7], v[16:17]
	v_fma_f64 v[10:11], v[6:7], v[14:15], -v[10:11]
	v_fma_f64 v[12:13], v[8:9], v[14:15], v[12:13]
	v_add_f64 v[18:19], v[36:37], v[10:11]
	s_waitcnt lgkmcnt(0)
	v_mul_f64 v[10:11], v[8:9], v[30:31]
	v_add_f64 v[20:21], v[12:13], v[38:39]
	v_fma_f64 v[10:11], v[6:7], v[28:29], -v[10:11]
	v_mul_f64 v[6:7], v[6:7], v[30:31]
	v_add_f64 v[10:11], v[40:41], v[10:11]
	v_fma_f64 v[6:7], v[8:9], v[28:29], v[6:7]
	v_add_f64 v[12:13], v[6:7], v[42:43]
	ds_read_b128 v[6:9], v25 offset:2160
	s_waitcnt lgkmcnt(0)
	s_barrier
	v_mul_f64 v[36:37], v[8:9], v[16:17]
	v_mul_f64 v[16:17], v[6:7], v[16:17]
	v_fma_f64 v[36:37], v[6:7], v[14:15], -v[36:37]
	v_fma_f64 v[16:17], v[8:9], v[14:15], v[16:17]
	v_add_f64 v[14:15], v[32:33], v[36:37]
	v_mul_f64 v[32:33], v[8:9], v[30:31]
	v_add_f64 v[16:17], v[16:17], v[34:35]
	v_fma_f64 v[32:33], v[6:7], v[28:29], -v[32:33]
	v_mul_f64 v[6:7], v[6:7], v[30:31]
	v_fma_f64 v[8:9], v[8:9], v[28:29], v[6:7]
	v_add_f64 v[6:7], v[44:45], v[32:33]
	v_add_f64 v[8:9], v[8:9], v[46:47]
	s_cbranch_scc0 .LBB727_2
	s_branch .LBB727_4
.LBB727_3:
	v_mov_b32_e32 v18, 0
	v_mov_b32_e32 v20, 0
	;; [unrolled: 1-line block ×16, first 2 shown]
.LBB727_4:
	s_load_dword s8, s[4:5], 0x60
	v_add_u32_e32 v4, s7, v1
	s_waitcnt lgkmcnt(0)
	v_mov_b32_e32 v3, s11
	v_add_u32_e32 v0, s6, v0
	v_mad_i64_i32 v[1:2], s[0:1], v4, s8, 0
	v_cmp_le_i32_e64 s[0:1], v4, v0
	v_lshlrev_b64 v[1:2], 4, v[1:2]
	v_add_co_u32_e32 v5, vcc, s10, v1
	v_addc_co_u32_e32 v22, vcc, v3, v2, vcc
	v_cmp_gt_i32_e32 vcc, s20, v0
	s_and_b64 s[0:1], s[0:1], vcc
	s_and_saveexec_b64 s[2:3], s[0:1]
	s_cbranch_execz .LBB727_6
; %bb.5:
	v_ashrrev_i32_e32 v1, 31, v0
	v_lshlrev_b64 v[1:2], 4, v[0:1]
	v_mul_f64 v[27:28], s[14:15], v[20:21]
	v_add_co_u32_e64 v1, s[0:1], v5, v1
	v_addc_co_u32_e64 v2, s[0:1], v22, v2, s[0:1]
	flat_load_dwordx4 v[23:26], v[1:2]
	v_mul_f64 v[20:21], s[12:13], v[20:21]
	v_fma_f64 v[27:28], s[12:13], v[18:19], -v[27:28]
	v_fma_f64 v[20:21], s[14:15], v[18:19], v[20:21]
	s_waitcnt vmcnt(0) lgkmcnt(0)
	v_mul_f64 v[29:30], s[18:19], v[25:26]
	v_mul_f64 v[25:26], s[16:17], v[25:26]
	v_fma_f64 v[18:19], s[16:17], v[23:24], -v[29:30]
	v_fma_f64 v[23:24], s[18:19], v[23:24], v[25:26]
	v_add_f64 v[18:19], v[27:28], v[18:19]
	v_add_f64 v[20:21], v[20:21], v[23:24]
	flat_store_dwordx4 v[1:2], v[18:21]
.LBB727_6:
	s_or_b64 exec, exec, s[2:3]
	v_add_u32_e32 v2, 16, v0
	v_cmp_le_i32_e64 s[2:3], v4, v2
	v_cmp_gt_i32_e64 s[0:1], s20, v2
	s_and_b64 s[2:3], s[2:3], s[0:1]
	s_and_saveexec_b64 s[4:5], s[2:3]
	s_cbranch_execz .LBB727_8
; %bb.7:
	v_ashrrev_i32_e32 v3, 31, v2
	v_lshlrev_b64 v[18:19], 4, v[2:3]
	v_mul_f64 v[25:26], s[14:15], v[12:13]
	v_add_co_u32_e64 v23, s[2:3], v5, v18
	v_addc_co_u32_e64 v24, s[2:3], v22, v19, s[2:3]
	flat_load_dwordx4 v[18:21], v[23:24]
	v_mul_f64 v[12:13], s[12:13], v[12:13]
	v_fma_f64 v[25:26], s[12:13], v[10:11], -v[25:26]
	v_fma_f64 v[12:13], s[14:15], v[10:11], v[12:13]
	s_waitcnt vmcnt(0) lgkmcnt(0)
	v_mul_f64 v[27:28], s[18:19], v[20:21]
	v_mul_f64 v[20:21], s[16:17], v[20:21]
	v_fma_f64 v[10:11], s[16:17], v[18:19], -v[27:28]
	v_fma_f64 v[18:19], s[18:19], v[18:19], v[20:21]
	v_add_f64 v[10:11], v[25:26], v[10:11]
	v_add_f64 v[12:13], v[12:13], v[18:19]
	flat_store_dwordx4 v[23:24], v[10:13]
.LBB727_8:
	s_or_b64 exec, exec, s[4:5]
	v_add_u32_e32 v3, 16, v4
	v_mad_i64_i32 v[4:5], s[2:3], v3, s8, 0
	v_mov_b32_e32 v1, s11
	v_lshlrev_b64 v[4:5], 4, v[4:5]
	v_add_co_u32_e64 v4, s[2:3], s10, v4
	v_addc_co_u32_e64 v5, s[2:3], v1, v5, s[2:3]
	v_cmp_le_i32_e64 s[2:3], v3, v0
	s_and_b64 s[4:5], s[2:3], vcc
	s_and_saveexec_b64 s[2:3], s[4:5]
	s_cbranch_execz .LBB727_10
; %bb.9:
	v_ashrrev_i32_e32 v1, 31, v0
	v_lshlrev_b64 v[0:1], 4, v[0:1]
	v_mul_f64 v[18:19], s[14:15], v[16:17]
	v_add_co_u32_e32 v0, vcc, v4, v0
	v_addc_co_u32_e32 v1, vcc, v5, v1, vcc
	flat_load_dwordx4 v[10:13], v[0:1]
	v_mul_f64 v[16:17], s[12:13], v[16:17]
	v_fma_f64 v[18:19], s[12:13], v[14:15], -v[18:19]
	v_fma_f64 v[14:15], s[14:15], v[14:15], v[16:17]
	s_waitcnt vmcnt(0) lgkmcnt(0)
	v_mul_f64 v[20:21], s[18:19], v[12:13]
	v_mul_f64 v[12:13], s[16:17], v[12:13]
	v_fma_f64 v[16:17], s[16:17], v[10:11], -v[20:21]
	v_fma_f64 v[12:13], s[18:19], v[10:11], v[12:13]
	v_add_f64 v[10:11], v[18:19], v[16:17]
	v_add_f64 v[12:13], v[14:15], v[12:13]
	flat_store_dwordx4 v[0:1], v[10:13]
.LBB727_10:
	s_or_b64 exec, exec, s[2:3]
	v_cmp_le_i32_e32 vcc, v3, v2
	s_and_b64 s[0:1], vcc, s[0:1]
	s_and_saveexec_b64 s[2:3], s[0:1]
	s_cbranch_execz .LBB727_12
; %bb.11:
	v_ashrrev_i32_e32 v3, 31, v2
	v_lshlrev_b64 v[0:1], 4, v[2:3]
	v_mul_f64 v[10:11], s[14:15], v[8:9]
	v_add_co_u32_e32 v4, vcc, v4, v0
	v_addc_co_u32_e32 v5, vcc, v5, v1, vcc
	flat_load_dwordx4 v[0:3], v[4:5]
	v_mul_f64 v[8:9], s[12:13], v[8:9]
	v_fma_f64 v[10:11], s[12:13], v[6:7], -v[10:11]
	v_fma_f64 v[6:7], s[14:15], v[6:7], v[8:9]
	s_waitcnt vmcnt(0) lgkmcnt(0)
	v_mul_f64 v[12:13], s[18:19], v[2:3]
	v_mul_f64 v[2:3], s[16:17], v[2:3]
	v_fma_f64 v[8:9], s[16:17], v[0:1], -v[12:13]
	v_fma_f64 v[2:3], s[18:19], v[0:1], v[2:3]
	v_add_f64 v[0:1], v[10:11], v[8:9]
	v_add_f64 v[2:3], v[6:7], v[2:3]
	flat_store_dwordx4 v[4:5], v[0:3]
.LBB727_12:
	s_endpgm
	.section	.rodata,"a",@progbits
	.p2align	6, 0x0
	.amdhsa_kernel _ZL37rocblas_syrkx_herkx_restricted_kernelIi19rocblas_complex_numIdELi16ELi32ELi8ELb0ELb0ELc78ELc76EKPKS1_KPS1_EviT_T0_PT8_S7_lSA_S7_lS8_PT9_S7_li
		.amdhsa_group_segment_fixed_size 8192
		.amdhsa_private_segment_fixed_size 0
		.amdhsa_kernarg_size 116
		.amdhsa_user_sgpr_count 6
		.amdhsa_user_sgpr_private_segment_buffer 1
		.amdhsa_user_sgpr_dispatch_ptr 0
		.amdhsa_user_sgpr_queue_ptr 0
		.amdhsa_user_sgpr_kernarg_segment_ptr 1
		.amdhsa_user_sgpr_dispatch_id 0
		.amdhsa_user_sgpr_flat_scratch_init 0
		.amdhsa_user_sgpr_private_segment_size 0
		.amdhsa_uses_dynamic_stack 0
		.amdhsa_system_sgpr_private_segment_wavefront_offset 0
		.amdhsa_system_sgpr_workgroup_id_x 1
		.amdhsa_system_sgpr_workgroup_id_y 1
		.amdhsa_system_sgpr_workgroup_id_z 1
		.amdhsa_system_sgpr_workgroup_info 0
		.amdhsa_system_vgpr_workitem_id 1
		.amdhsa_next_free_vgpr 54
		.amdhsa_next_free_sgpr 61
		.amdhsa_reserve_vcc 1
		.amdhsa_reserve_flat_scratch 0
		.amdhsa_float_round_mode_32 0
		.amdhsa_float_round_mode_16_64 0
		.amdhsa_float_denorm_mode_32 3
		.amdhsa_float_denorm_mode_16_64 3
		.amdhsa_dx10_clamp 1
		.amdhsa_ieee_mode 1
		.amdhsa_fp16_overflow 0
		.amdhsa_exception_fp_ieee_invalid_op 0
		.amdhsa_exception_fp_denorm_src 0
		.amdhsa_exception_fp_ieee_div_zero 0
		.amdhsa_exception_fp_ieee_overflow 0
		.amdhsa_exception_fp_ieee_underflow 0
		.amdhsa_exception_fp_ieee_inexact 0
		.amdhsa_exception_int_div_zero 0
	.end_amdhsa_kernel
	.section	.text._ZL37rocblas_syrkx_herkx_restricted_kernelIi19rocblas_complex_numIdELi16ELi32ELi8ELb0ELb0ELc78ELc76EKPKS1_KPS1_EviT_T0_PT8_S7_lSA_S7_lS8_PT9_S7_li,"axG",@progbits,_ZL37rocblas_syrkx_herkx_restricted_kernelIi19rocblas_complex_numIdELi16ELi32ELi8ELb0ELb0ELc78ELc76EKPKS1_KPS1_EviT_T0_PT8_S7_lSA_S7_lS8_PT9_S7_li,comdat
.Lfunc_end727:
	.size	_ZL37rocblas_syrkx_herkx_restricted_kernelIi19rocblas_complex_numIdELi16ELi32ELi8ELb0ELb0ELc78ELc76EKPKS1_KPS1_EviT_T0_PT8_S7_lSA_S7_lS8_PT9_S7_li, .Lfunc_end727-_ZL37rocblas_syrkx_herkx_restricted_kernelIi19rocblas_complex_numIdELi16ELi32ELi8ELb0ELb0ELc78ELc76EKPKS1_KPS1_EviT_T0_PT8_S7_lSA_S7_lS8_PT9_S7_li
                                        ; -- End function
	.set _ZL37rocblas_syrkx_herkx_restricted_kernelIi19rocblas_complex_numIdELi16ELi32ELi8ELb0ELb0ELc78ELc76EKPKS1_KPS1_EviT_T0_PT8_S7_lSA_S7_lS8_PT9_S7_li.num_vgpr, 54
	.set _ZL37rocblas_syrkx_herkx_restricted_kernelIi19rocblas_complex_numIdELi16ELi32ELi8ELb0ELb0ELc78ELc76EKPKS1_KPS1_EviT_T0_PT8_S7_lSA_S7_lS8_PT9_S7_li.num_agpr, 0
	.set _ZL37rocblas_syrkx_herkx_restricted_kernelIi19rocblas_complex_numIdELi16ELi32ELi8ELb0ELb0ELc78ELc76EKPKS1_KPS1_EviT_T0_PT8_S7_lSA_S7_lS8_PT9_S7_li.numbered_sgpr, 28
	.set _ZL37rocblas_syrkx_herkx_restricted_kernelIi19rocblas_complex_numIdELi16ELi32ELi8ELb0ELb0ELc78ELc76EKPKS1_KPS1_EviT_T0_PT8_S7_lSA_S7_lS8_PT9_S7_li.num_named_barrier, 0
	.set _ZL37rocblas_syrkx_herkx_restricted_kernelIi19rocblas_complex_numIdELi16ELi32ELi8ELb0ELb0ELc78ELc76EKPKS1_KPS1_EviT_T0_PT8_S7_lSA_S7_lS8_PT9_S7_li.private_seg_size, 0
	.set _ZL37rocblas_syrkx_herkx_restricted_kernelIi19rocblas_complex_numIdELi16ELi32ELi8ELb0ELb0ELc78ELc76EKPKS1_KPS1_EviT_T0_PT8_S7_lSA_S7_lS8_PT9_S7_li.uses_vcc, 1
	.set _ZL37rocblas_syrkx_herkx_restricted_kernelIi19rocblas_complex_numIdELi16ELi32ELi8ELb0ELb0ELc78ELc76EKPKS1_KPS1_EviT_T0_PT8_S7_lSA_S7_lS8_PT9_S7_li.uses_flat_scratch, 0
	.set _ZL37rocblas_syrkx_herkx_restricted_kernelIi19rocblas_complex_numIdELi16ELi32ELi8ELb0ELb0ELc78ELc76EKPKS1_KPS1_EviT_T0_PT8_S7_lSA_S7_lS8_PT9_S7_li.has_dyn_sized_stack, 0
	.set _ZL37rocblas_syrkx_herkx_restricted_kernelIi19rocblas_complex_numIdELi16ELi32ELi8ELb0ELb0ELc78ELc76EKPKS1_KPS1_EviT_T0_PT8_S7_lSA_S7_lS8_PT9_S7_li.has_recursion, 0
	.set _ZL37rocblas_syrkx_herkx_restricted_kernelIi19rocblas_complex_numIdELi16ELi32ELi8ELb0ELb0ELc78ELc76EKPKS1_KPS1_EviT_T0_PT8_S7_lSA_S7_lS8_PT9_S7_li.has_indirect_call, 0
	.section	.AMDGPU.csdata,"",@progbits
; Kernel info:
; codeLenInByte = 3112
; TotalNumSgprs: 32
; NumVgprs: 54
; ScratchSize: 0
; MemoryBound: 0
; FloatMode: 240
; IeeeMode: 1
; LDSByteSize: 8192 bytes/workgroup (compile time only)
; SGPRBlocks: 8
; VGPRBlocks: 13
; NumSGPRsForWavesPerEU: 65
; NumVGPRsForWavesPerEU: 54
; Occupancy: 4
; WaveLimiterHint : 1
; COMPUTE_PGM_RSRC2:SCRATCH_EN: 0
; COMPUTE_PGM_RSRC2:USER_SGPR: 6
; COMPUTE_PGM_RSRC2:TRAP_HANDLER: 0
; COMPUTE_PGM_RSRC2:TGID_X_EN: 1
; COMPUTE_PGM_RSRC2:TGID_Y_EN: 1
; COMPUTE_PGM_RSRC2:TGID_Z_EN: 1
; COMPUTE_PGM_RSRC2:TIDIG_COMP_CNT: 1
	.section	.text._ZL37rocblas_syrkx_herkx_restricted_kernelIi19rocblas_complex_numIdELi16ELi32ELi8ELb0ELb0ELc84ELc85EKPKS1_KPS1_EviT_T0_PT8_S7_lSA_S7_lS8_PT9_S7_li,"axG",@progbits,_ZL37rocblas_syrkx_herkx_restricted_kernelIi19rocblas_complex_numIdELi16ELi32ELi8ELb0ELb0ELc84ELc85EKPKS1_KPS1_EviT_T0_PT8_S7_lSA_S7_lS8_PT9_S7_li,comdat
	.globl	_ZL37rocblas_syrkx_herkx_restricted_kernelIi19rocblas_complex_numIdELi16ELi32ELi8ELb0ELb0ELc84ELc85EKPKS1_KPS1_EviT_T0_PT8_S7_lSA_S7_lS8_PT9_S7_li ; -- Begin function _ZL37rocblas_syrkx_herkx_restricted_kernelIi19rocblas_complex_numIdELi16ELi32ELi8ELb0ELb0ELc84ELc85EKPKS1_KPS1_EviT_T0_PT8_S7_lSA_S7_lS8_PT9_S7_li
	.p2align	8
	.type	_ZL37rocblas_syrkx_herkx_restricted_kernelIi19rocblas_complex_numIdELi16ELi32ELi8ELb0ELb0ELc84ELc85EKPKS1_KPS1_EviT_T0_PT8_S7_lSA_S7_lS8_PT9_S7_li,@function
_ZL37rocblas_syrkx_herkx_restricted_kernelIi19rocblas_complex_numIdELi16ELi32ELi8ELb0ELb0ELc84ELc85EKPKS1_KPS1_EviT_T0_PT8_S7_lSA_S7_lS8_PT9_S7_li: ; @_ZL37rocblas_syrkx_herkx_restricted_kernelIi19rocblas_complex_numIdELi16ELi32ELi8ELb0ELb0ELc84ELc85EKPKS1_KPS1_EviT_T0_PT8_S7_lSA_S7_lS8_PT9_S7_li
; %bb.0:
	s_load_dwordx2 s[2:3], s[4:5], 0x0
	s_load_dwordx4 s[12:15], s[4:5], 0x8
	s_load_dwordx2 s[10:11], s[4:5], 0x58
	s_load_dwordx2 s[0:1], s[4:5], 0x18
	s_load_dwordx4 s[16:19], s[4:5], 0x48
	s_mov_b32 s9, 0
	s_lshl_b64 s[20:21], s[8:9], 3
	s_waitcnt lgkmcnt(0)
	s_add_u32 s10, s10, s20
	s_addc_u32 s11, s11, s21
	s_load_dwordx2 s[10:11], s[10:11], 0x0
	s_lshl_b32 s6, s6, 5
	s_lshl_b32 s7, s7, 5
	s_cmp_lt_i32 s3, 1
	s_cbranch_scc1 .LBB728_3
; %bb.1:
	s_load_dword s8, s[4:5], 0x20
	s_load_dwordx2 s[22:23], s[4:5], 0x30
	s_load_dword s24, s[4:5], 0x38
	s_add_u32 s0, s0, s20
	v_lshl_add_u32 v3, v1, 4, v0
	s_addc_u32 s1, s1, s21
	v_lshrrev_b32_e32 v8, 3, v3
	s_waitcnt lgkmcnt(0)
	s_add_u32 s20, s22, s20
	v_lshrrev_b32_e32 v2, 5, v3
	v_and_b32_e32 v4, 7, v0
	v_and_b32_e32 v9, 31, v3
	v_add_u32_e32 v3, s7, v8
	v_mov_b32_e32 v5, 0
	s_addc_u32 s21, s23, s21
	v_mad_i64_i32 v[6:7], s[22:23], s24, v3, v[4:5]
	v_mov_b32_e32 v3, v5
	v_lshlrev_b32_e32 v5, 4, v9
	v_lshl_or_b32 v22, v2, 9, v5
	v_add_u32_e32 v5, s6, v9
	v_mad_i64_i32 v[2:3], s[22:23], s8, v5, v[2:3]
	s_load_dwordx2 s[0:1], s[0:1], 0x0
	v_lshlrev_b32_e32 v4, 4, v4
	s_load_dwordx2 s[20:21], s[20:21], 0x0
	v_lshlrev_b64 v[2:3], 4, v[2:3]
	v_lshl_or_b32 v4, v8, 7, v4
	v_add_u32_e32 v23, 0x1000, v4
	s_waitcnt lgkmcnt(0)
	v_mov_b32_e32 v4, s1
	v_add_co_u32_e32 v2, vcc, s0, v2
	v_addc_co_u32_e32 v3, vcc, v4, v3, vcc
	v_lshlrev_b64 v[4:5], 4, v[6:7]
	v_mov_b32_e32 v6, s21
	v_add_co_u32_e32 v4, vcc, s20, v4
	v_mov_b32_e32 v25, 0x1000
	v_addc_co_u32_e32 v5, vcc, v6, v5, vcc
	v_mov_b32_e32 v12, 0
	v_mov_b32_e32 v10, 0
	;; [unrolled: 1-line block ×8, first 2 shown]
	v_lshlrev_b32_e32 v24, 4, v0
	v_mov_b32_e32 v13, 0
	v_mov_b32_e32 v11, 0
	;; [unrolled: 1-line block ×8, first 2 shown]
	v_lshl_add_u32 v25, v1, 7, v25
.LBB728_2:                              ; =>This Inner Loop Header: Depth=1
	flat_load_dwordx4 v[26:29], v[2:3]
	v_add_co_u32_e32 v2, vcc, 0x80, v2
	v_addc_co_u32_e32 v3, vcc, 0, v3, vcc
	s_add_i32 s9, s9, 8
	s_cmp_ge_i32 s9, s3
	s_waitcnt vmcnt(0) lgkmcnt(0)
	ds_write_b128 v22, v[26:29]
	flat_load_dwordx4 v[26:29], v[4:5]
	v_add_co_u32_e32 v4, vcc, 0x80, v4
	v_addc_co_u32_e32 v5, vcc, 0, v5, vcc
	s_waitcnt vmcnt(0) lgkmcnt(0)
	ds_write_b128 v23, v[26:29]
	s_waitcnt lgkmcnt(0)
	s_barrier
	ds_read_b128 v[26:29], v25
	ds_read_b128 v[30:33], v25 offset:16
	ds_read_b128 v[34:37], v25 offset:32
	;; [unrolled: 1-line block ×3, first 2 shown]
	ds_read_b128 v[42:45], v24
	s_waitcnt lgkmcnt(0)
	v_mul_f64 v[46:47], v[28:29], v[44:45]
	v_mul_f64 v[48:49], v[26:27], v[44:45]
	v_fma_f64 v[46:47], v[26:27], v[42:43], -v[46:47]
	v_fma_f64 v[48:49], v[28:29], v[42:43], v[48:49]
	v_add_f64 v[46:47], v[18:19], v[46:47]
	v_add_f64 v[48:49], v[48:49], v[20:21]
	ds_read_b128 v[18:21], v24 offset:256
	s_waitcnt lgkmcnt(0)
	v_mul_f64 v[50:51], v[28:29], v[20:21]
	v_fma_f64 v[50:51], v[26:27], v[18:19], -v[50:51]
	v_mul_f64 v[26:27], v[26:27], v[20:21]
	v_fma_f64 v[26:27], v[28:29], v[18:19], v[26:27]
	v_add_f64 v[28:29], v[6:7], v[50:51]
	v_add_f64 v[26:27], v[26:27], v[8:9]
	ds_read_b128 v[6:9], v25 offset:2048
	s_waitcnt lgkmcnt(0)
	v_mul_f64 v[50:51], v[8:9], v[44:45]
	v_mul_f64 v[44:45], v[6:7], v[44:45]
	v_fma_f64 v[50:51], v[6:7], v[42:43], -v[50:51]
	v_fma_f64 v[42:43], v[8:9], v[42:43], v[44:45]
	v_add_f64 v[44:45], v[14:15], v[50:51]
	v_mul_f64 v[14:15], v[8:9], v[20:21]
	v_add_f64 v[42:43], v[42:43], v[16:17]
	v_fma_f64 v[14:15], v[6:7], v[18:19], -v[14:15]
	v_mul_f64 v[6:7], v[6:7], v[20:21]
	v_fma_f64 v[6:7], v[8:9], v[18:19], v[6:7]
	v_add_f64 v[18:19], v[10:11], v[14:15]
	v_add_f64 v[20:21], v[6:7], v[12:13]
	ds_read_b128 v[6:9], v24 offset:512
	s_waitcnt lgkmcnt(0)
	v_mul_f64 v[10:11], v[32:33], v[8:9]
	v_mul_f64 v[12:13], v[30:31], v[8:9]
	v_fma_f64 v[10:11], v[30:31], v[6:7], -v[10:11]
	v_fma_f64 v[12:13], v[32:33], v[6:7], v[12:13]
	v_add_f64 v[46:47], v[46:47], v[10:11]
	v_add_f64 v[48:49], v[12:13], v[48:49]
	ds_read_b128 v[10:13], v24 offset:768
	s_waitcnt lgkmcnt(0)
	v_mul_f64 v[14:15], v[32:33], v[12:13]
	v_mul_f64 v[16:17], v[30:31], v[12:13]
	v_fma_f64 v[14:15], v[30:31], v[10:11], -v[14:15]
	;; [unrolled: 8-line block ×3, first 2 shown]
	v_fma_f64 v[6:7], v[16:17], v[6:7], v[8:9]
	v_mul_f64 v[8:9], v[14:15], v[12:13]
	v_add_f64 v[30:31], v[44:45], v[30:31]
	v_add_f64 v[32:33], v[6:7], v[42:43]
	v_mul_f64 v[6:7], v[16:17], v[12:13]
	v_fma_f64 v[8:9], v[16:17], v[10:11], v[8:9]
	v_fma_f64 v[6:7], v[14:15], v[10:11], -v[6:7]
	v_add_f64 v[20:21], v[8:9], v[20:21]
	v_add_f64 v[18:19], v[18:19], v[6:7]
	ds_read_b128 v[6:9], v24 offset:1024
	s_waitcnt lgkmcnt(0)
	v_mul_f64 v[10:11], v[36:37], v[8:9]
	v_mul_f64 v[12:13], v[34:35], v[8:9]
	v_fma_f64 v[10:11], v[34:35], v[6:7], -v[10:11]
	v_fma_f64 v[12:13], v[36:37], v[6:7], v[12:13]
	v_add_f64 v[42:43], v[46:47], v[10:11]
	v_add_f64 v[44:45], v[12:13], v[48:49]
	ds_read_b128 v[10:13], v24 offset:1280
	s_waitcnt lgkmcnt(0)
	v_mul_f64 v[14:15], v[36:37], v[12:13]
	v_mul_f64 v[16:17], v[34:35], v[12:13]
	v_fma_f64 v[14:15], v[34:35], v[10:11], -v[14:15]
	v_fma_f64 v[16:17], v[36:37], v[10:11], v[16:17]
	v_add_f64 v[28:29], v[28:29], v[14:15]
	v_add_f64 v[26:27], v[16:17], v[26:27]
	ds_read_b128 v[14:17], v25 offset:2080
	s_waitcnt lgkmcnt(0)
	v_mul_f64 v[34:35], v[16:17], v[8:9]
	v_mul_f64 v[8:9], v[14:15], v[8:9]
	v_fma_f64 v[34:35], v[14:15], v[6:7], -v[34:35]
	v_fma_f64 v[6:7], v[16:17], v[6:7], v[8:9]
	v_mul_f64 v[8:9], v[14:15], v[12:13]
	v_add_f64 v[30:31], v[30:31], v[34:35]
	v_add_f64 v[32:33], v[6:7], v[32:33]
	v_mul_f64 v[6:7], v[16:17], v[12:13]
	v_fma_f64 v[8:9], v[16:17], v[10:11], v[8:9]
	v_fma_f64 v[6:7], v[14:15], v[10:11], -v[6:7]
	v_add_f64 v[20:21], v[8:9], v[20:21]
	v_add_f64 v[18:19], v[18:19], v[6:7]
	ds_read_b128 v[6:9], v24 offset:1536
	s_waitcnt lgkmcnt(0)
	v_mul_f64 v[10:11], v[40:41], v[8:9]
	v_mul_f64 v[12:13], v[38:39], v[8:9]
	v_fma_f64 v[10:11], v[38:39], v[6:7], -v[10:11]
	v_fma_f64 v[12:13], v[40:41], v[6:7], v[12:13]
	v_add_f64 v[34:35], v[42:43], v[10:11]
	v_add_f64 v[36:37], v[12:13], v[44:45]
	ds_read_b128 v[10:13], v24 offset:1792
	s_waitcnt lgkmcnt(0)
	v_mul_f64 v[14:15], v[40:41], v[12:13]
	v_mul_f64 v[16:17], v[38:39], v[12:13]
	v_fma_f64 v[14:15], v[38:39], v[10:11], -v[14:15]
	v_fma_f64 v[16:17], v[40:41], v[10:11], v[16:17]
	;; [unrolled: 8-line block ×3, first 2 shown]
	v_mul_f64 v[8:9], v[14:15], v[12:13]
	v_add_f64 v[30:31], v[30:31], v[38:39]
	v_add_f64 v[32:33], v[6:7], v[32:33]
	v_mul_f64 v[6:7], v[16:17], v[12:13]
	v_fma_f64 v[8:9], v[16:17], v[10:11], v[8:9]
	v_fma_f64 v[6:7], v[14:15], v[10:11], -v[6:7]
	v_add_f64 v[20:21], v[8:9], v[20:21]
	v_add_f64 v[18:19], v[18:19], v[6:7]
	ds_read_b128 v[6:9], v25 offset:64
	ds_read_b128 v[10:13], v24 offset:2048
	s_waitcnt lgkmcnt(0)
	v_mul_f64 v[14:15], v[8:9], v[12:13]
	v_mul_f64 v[16:17], v[6:7], v[12:13]
	v_fma_f64 v[14:15], v[6:7], v[10:11], -v[14:15]
	v_fma_f64 v[16:17], v[8:9], v[10:11], v[16:17]
	v_add_f64 v[34:35], v[34:35], v[14:15]
	v_add_f64 v[36:37], v[16:17], v[36:37]
	ds_read_b128 v[14:17], v24 offset:2304
	s_waitcnt lgkmcnt(0)
	v_mul_f64 v[38:39], v[8:9], v[16:17]
	v_fma_f64 v[38:39], v[6:7], v[14:15], -v[38:39]
	v_mul_f64 v[6:7], v[6:7], v[16:17]
	v_add_f64 v[28:29], v[28:29], v[38:39]
	v_fma_f64 v[6:7], v[8:9], v[14:15], v[6:7]
	v_add_f64 v[26:27], v[6:7], v[26:27]
	ds_read_b128 v[6:9], v25 offset:2112
	s_waitcnt lgkmcnt(0)
	v_mul_f64 v[38:39], v[8:9], v[12:13]
	v_mul_f64 v[12:13], v[6:7], v[12:13]
	v_fma_f64 v[38:39], v[6:7], v[10:11], -v[38:39]
	v_fma_f64 v[10:11], v[8:9], v[10:11], v[12:13]
	v_add_f64 v[30:31], v[30:31], v[38:39]
	v_add_f64 v[32:33], v[10:11], v[32:33]
	v_mul_f64 v[10:11], v[8:9], v[16:17]
	v_fma_f64 v[10:11], v[6:7], v[14:15], -v[10:11]
	v_mul_f64 v[6:7], v[6:7], v[16:17]
	v_add_f64 v[18:19], v[18:19], v[10:11]
	v_fma_f64 v[6:7], v[8:9], v[14:15], v[6:7]
	v_add_f64 v[20:21], v[6:7], v[20:21]
	ds_read_b128 v[6:9], v25 offset:80
	ds_read_b128 v[10:13], v24 offset:2560
	s_waitcnt lgkmcnt(0)
	v_mul_f64 v[14:15], v[8:9], v[12:13]
	v_mul_f64 v[16:17], v[6:7], v[12:13]
	v_fma_f64 v[14:15], v[6:7], v[10:11], -v[14:15]
	v_fma_f64 v[16:17], v[8:9], v[10:11], v[16:17]
	v_add_f64 v[34:35], v[34:35], v[14:15]
	v_add_f64 v[36:37], v[16:17], v[36:37]
	ds_read_b128 v[14:17], v24 offset:2816
	s_waitcnt lgkmcnt(0)
	v_mul_f64 v[38:39], v[8:9], v[16:17]
	v_fma_f64 v[38:39], v[6:7], v[14:15], -v[38:39]
	v_mul_f64 v[6:7], v[6:7], v[16:17]
	v_add_f64 v[28:29], v[28:29], v[38:39]
	v_fma_f64 v[6:7], v[8:9], v[14:15], v[6:7]
	v_add_f64 v[26:27], v[6:7], v[26:27]
	ds_read_b128 v[6:9], v25 offset:2128
	s_waitcnt lgkmcnt(0)
	v_mul_f64 v[38:39], v[8:9], v[12:13]
	v_mul_f64 v[12:13], v[6:7], v[12:13]
	v_fma_f64 v[38:39], v[6:7], v[10:11], -v[38:39]
	v_fma_f64 v[10:11], v[8:9], v[10:11], v[12:13]
	v_add_f64 v[30:31], v[30:31], v[38:39]
	v_add_f64 v[32:33], v[10:11], v[32:33]
	v_mul_f64 v[10:11], v[8:9], v[16:17]
	v_fma_f64 v[10:11], v[6:7], v[14:15], -v[10:11]
	v_mul_f64 v[6:7], v[6:7], v[16:17]
	v_add_f64 v[18:19], v[18:19], v[10:11]
	v_fma_f64 v[6:7], v[8:9], v[14:15], v[6:7]
	;; [unrolled: 31-line block ×3, first 2 shown]
	v_add_f64 v[48:49], v[6:7], v[20:21]
	ds_read_b128 v[6:9], v25 offset:112
	ds_read_b128 v[10:13], v24 offset:3584
	;; [unrolled: 1-line block ×4, first 2 shown]
	s_waitcnt lgkmcnt(0)
	s_barrier
	v_mul_f64 v[14:15], v[8:9], v[12:13]
	v_mul_f64 v[16:17], v[6:7], v[12:13]
	v_fma_f64 v[14:15], v[6:7], v[10:11], -v[14:15]
	v_fma_f64 v[16:17], v[8:9], v[10:11], v[16:17]
	v_add_f64 v[18:19], v[34:35], v[14:15]
	v_mul_f64 v[14:15], v[8:9], v[28:29]
	v_add_f64 v[20:21], v[16:17], v[36:37]
	v_fma_f64 v[14:15], v[6:7], v[26:27], -v[14:15]
	v_mul_f64 v[6:7], v[6:7], v[28:29]
	v_fma_f64 v[8:9], v[8:9], v[26:27], v[6:7]
	v_add_f64 v[6:7], v[38:39], v[14:15]
	v_mul_f64 v[14:15], v[32:33], v[12:13]
	v_mul_f64 v[12:13], v[30:31], v[12:13]
	v_add_f64 v[8:9], v[8:9], v[40:41]
	v_fma_f64 v[14:15], v[30:31], v[10:11], -v[14:15]
	v_fma_f64 v[10:11], v[32:33], v[10:11], v[12:13]
	v_mul_f64 v[12:13], v[30:31], v[28:29]
	v_add_f64 v[14:15], v[42:43], v[14:15]
	v_add_f64 v[16:17], v[10:11], v[44:45]
	v_mul_f64 v[10:11], v[32:33], v[28:29]
	v_fma_f64 v[12:13], v[32:33], v[26:27], v[12:13]
	v_fma_f64 v[10:11], v[30:31], v[26:27], -v[10:11]
	v_add_f64 v[12:13], v[12:13], v[48:49]
	v_add_f64 v[10:11], v[46:47], v[10:11]
	s_cbranch_scc0 .LBB728_2
	s_branch .LBB728_4
.LBB728_3:
	v_mov_b32_e32 v18, 0
	v_mov_b32_e32 v20, 0
	;; [unrolled: 1-line block ×16, first 2 shown]
.LBB728_4:
	s_load_dword s3, s[4:5], 0x60
	v_add_u32_e32 v4, s7, v1
	s_waitcnt lgkmcnt(0)
	v_mov_b32_e32 v3, s11
	v_add_u32_e32 v0, s6, v0
	v_cmp_gt_i32_e32 vcc, s2, v4
	v_mad_i64_i32 v[1:2], s[0:1], v4, s3, 0
	v_lshlrev_b64 v[1:2], 4, v[1:2]
	v_add_co_u32_e64 v5, s[0:1], s10, v1
	v_addc_co_u32_e64 v22, s[0:1], v3, v2, s[0:1]
	v_cmp_le_i32_e64 s[0:1], v0, v4
	s_and_b64 s[0:1], vcc, s[0:1]
	s_and_saveexec_b64 s[4:5], s[0:1]
	s_cbranch_execz .LBB728_6
; %bb.5:
	v_ashrrev_i32_e32 v1, 31, v0
	v_lshlrev_b64 v[1:2], 4, v[0:1]
	v_mul_f64 v[27:28], s[14:15], v[20:21]
	v_add_co_u32_e64 v1, s[0:1], v5, v1
	v_addc_co_u32_e64 v2, s[0:1], v22, v2, s[0:1]
	flat_load_dwordx4 v[23:26], v[1:2]
	v_mul_f64 v[20:21], s[12:13], v[20:21]
	v_fma_f64 v[27:28], s[12:13], v[18:19], -v[27:28]
	v_fma_f64 v[20:21], s[14:15], v[18:19], v[20:21]
	s_waitcnt vmcnt(0) lgkmcnt(0)
	v_mul_f64 v[29:30], s[18:19], v[25:26]
	v_mul_f64 v[25:26], s[16:17], v[25:26]
	v_fma_f64 v[18:19], s[16:17], v[23:24], -v[29:30]
	v_fma_f64 v[23:24], s[18:19], v[23:24], v[25:26]
	v_add_f64 v[18:19], v[27:28], v[18:19]
	v_add_f64 v[20:21], v[20:21], v[23:24]
	flat_store_dwordx4 v[1:2], v[18:21]
.LBB728_6:
	s_or_b64 exec, exec, s[4:5]
	v_add_u32_e32 v2, 16, v0
	v_cmp_le_i32_e64 s[0:1], v2, v4
	s_and_b64 s[4:5], vcc, s[0:1]
	s_and_saveexec_b64 s[0:1], s[4:5]
	s_cbranch_execz .LBB728_8
; %bb.7:
	v_ashrrev_i32_e32 v3, 31, v2
	v_lshlrev_b64 v[18:19], 4, v[2:3]
	v_mul_f64 v[25:26], s[14:15], v[8:9]
	v_add_co_u32_e32 v23, vcc, v5, v18
	v_addc_co_u32_e32 v24, vcc, v22, v19, vcc
	flat_load_dwordx4 v[18:21], v[23:24]
	v_mul_f64 v[8:9], s[12:13], v[8:9]
	v_fma_f64 v[25:26], s[12:13], v[6:7], -v[25:26]
	v_fma_f64 v[7:8], s[14:15], v[6:7], v[8:9]
	s_waitcnt vmcnt(0) lgkmcnt(0)
	v_mul_f64 v[27:28], s[18:19], v[20:21]
	v_mul_f64 v[20:21], s[16:17], v[20:21]
	v_fma_f64 v[5:6], s[16:17], v[18:19], -v[27:28]
	v_fma_f64 v[18:19], s[18:19], v[18:19], v[20:21]
	v_add_f64 v[5:6], v[25:26], v[5:6]
	v_add_f64 v[7:8], v[7:8], v[18:19]
	flat_store_dwordx4 v[23:24], v[5:8]
.LBB728_8:
	s_or_b64 exec, exec, s[0:1]
	v_add_u32_e32 v3, 16, v4
	v_mad_i64_i32 v[4:5], s[0:1], v3, s3, 0
	v_mov_b32_e32 v1, s11
	v_cmp_gt_i32_e32 vcc, s2, v3
	v_lshlrev_b64 v[4:5], 4, v[4:5]
	v_add_co_u32_e64 v4, s[0:1], s10, v4
	v_addc_co_u32_e64 v5, s[0:1], v1, v5, s[0:1]
	v_cmp_le_i32_e64 s[0:1], v0, v3
	s_and_b64 s[0:1], vcc, s[0:1]
	s_and_saveexec_b64 s[2:3], s[0:1]
	s_cbranch_execz .LBB728_10
; %bb.9:
	v_ashrrev_i32_e32 v1, 31, v0
	v_lshlrev_b64 v[0:1], 4, v[0:1]
	v_mul_f64 v[18:19], s[14:15], v[16:17]
	v_add_co_u32_e64 v0, s[0:1], v4, v0
	v_addc_co_u32_e64 v1, s[0:1], v5, v1, s[0:1]
	flat_load_dwordx4 v[6:9], v[0:1]
	v_mul_f64 v[16:17], s[12:13], v[16:17]
	v_fma_f64 v[18:19], s[12:13], v[14:15], -v[18:19]
	v_fma_f64 v[14:15], s[14:15], v[14:15], v[16:17]
	s_waitcnt vmcnt(0) lgkmcnt(0)
	v_mul_f64 v[20:21], s[18:19], v[8:9]
	v_mul_f64 v[8:9], s[16:17], v[8:9]
	v_fma_f64 v[16:17], s[16:17], v[6:7], -v[20:21]
	v_fma_f64 v[8:9], s[18:19], v[6:7], v[8:9]
	v_add_f64 v[6:7], v[18:19], v[16:17]
	v_add_f64 v[8:9], v[14:15], v[8:9]
	flat_store_dwordx4 v[0:1], v[6:9]
.LBB728_10:
	s_or_b64 exec, exec, s[2:3]
	v_cmp_le_i32_e64 s[0:1], v2, v3
	s_and_b64 s[0:1], vcc, s[0:1]
	s_and_saveexec_b64 s[2:3], s[0:1]
	s_cbranch_execz .LBB728_12
; %bb.11:
	v_ashrrev_i32_e32 v3, 31, v2
	v_lshlrev_b64 v[0:1], 4, v[2:3]
	v_mul_f64 v[6:7], s[14:15], v[12:13]
	v_add_co_u32_e32 v4, vcc, v4, v0
	v_addc_co_u32_e32 v5, vcc, v5, v1, vcc
	flat_load_dwordx4 v[0:3], v[4:5]
	v_mul_f64 v[8:9], s[12:13], v[12:13]
	v_fma_f64 v[6:7], s[12:13], v[10:11], -v[6:7]
	v_fma_f64 v[8:9], s[14:15], v[10:11], v[8:9]
	s_waitcnt vmcnt(0) lgkmcnt(0)
	v_mul_f64 v[12:13], s[18:19], v[2:3]
	v_mul_f64 v[2:3], s[16:17], v[2:3]
	v_fma_f64 v[10:11], s[16:17], v[0:1], -v[12:13]
	v_fma_f64 v[2:3], s[18:19], v[0:1], v[2:3]
	v_add_f64 v[0:1], v[6:7], v[10:11]
	v_add_f64 v[2:3], v[8:9], v[2:3]
	flat_store_dwordx4 v[4:5], v[0:3]
.LBB728_12:
	s_endpgm
	.section	.rodata,"a",@progbits
	.p2align	6, 0x0
	.amdhsa_kernel _ZL37rocblas_syrkx_herkx_restricted_kernelIi19rocblas_complex_numIdELi16ELi32ELi8ELb0ELb0ELc84ELc85EKPKS1_KPS1_EviT_T0_PT8_S7_lSA_S7_lS8_PT9_S7_li
		.amdhsa_group_segment_fixed_size 8192
		.amdhsa_private_segment_fixed_size 0
		.amdhsa_kernarg_size 116
		.amdhsa_user_sgpr_count 6
		.amdhsa_user_sgpr_private_segment_buffer 1
		.amdhsa_user_sgpr_dispatch_ptr 0
		.amdhsa_user_sgpr_queue_ptr 0
		.amdhsa_user_sgpr_kernarg_segment_ptr 1
		.amdhsa_user_sgpr_dispatch_id 0
		.amdhsa_user_sgpr_flat_scratch_init 0
		.amdhsa_user_sgpr_private_segment_size 0
		.amdhsa_uses_dynamic_stack 0
		.amdhsa_system_sgpr_private_segment_wavefront_offset 0
		.amdhsa_system_sgpr_workgroup_id_x 1
		.amdhsa_system_sgpr_workgroup_id_y 1
		.amdhsa_system_sgpr_workgroup_id_z 1
		.amdhsa_system_sgpr_workgroup_info 0
		.amdhsa_system_vgpr_workitem_id 1
		.amdhsa_next_free_vgpr 52
		.amdhsa_next_free_sgpr 61
		.amdhsa_reserve_vcc 1
		.amdhsa_reserve_flat_scratch 0
		.amdhsa_float_round_mode_32 0
		.amdhsa_float_round_mode_16_64 0
		.amdhsa_float_denorm_mode_32 3
		.amdhsa_float_denorm_mode_16_64 3
		.amdhsa_dx10_clamp 1
		.amdhsa_ieee_mode 1
		.amdhsa_fp16_overflow 0
		.amdhsa_exception_fp_ieee_invalid_op 0
		.amdhsa_exception_fp_denorm_src 0
		.amdhsa_exception_fp_ieee_div_zero 0
		.amdhsa_exception_fp_ieee_overflow 0
		.amdhsa_exception_fp_ieee_underflow 0
		.amdhsa_exception_fp_ieee_inexact 0
		.amdhsa_exception_int_div_zero 0
	.end_amdhsa_kernel
	.section	.text._ZL37rocblas_syrkx_herkx_restricted_kernelIi19rocblas_complex_numIdELi16ELi32ELi8ELb0ELb0ELc84ELc85EKPKS1_KPS1_EviT_T0_PT8_S7_lSA_S7_lS8_PT9_S7_li,"axG",@progbits,_ZL37rocblas_syrkx_herkx_restricted_kernelIi19rocblas_complex_numIdELi16ELi32ELi8ELb0ELb0ELc84ELc85EKPKS1_KPS1_EviT_T0_PT8_S7_lSA_S7_lS8_PT9_S7_li,comdat
.Lfunc_end728:
	.size	_ZL37rocblas_syrkx_herkx_restricted_kernelIi19rocblas_complex_numIdELi16ELi32ELi8ELb0ELb0ELc84ELc85EKPKS1_KPS1_EviT_T0_PT8_S7_lSA_S7_lS8_PT9_S7_li, .Lfunc_end728-_ZL37rocblas_syrkx_herkx_restricted_kernelIi19rocblas_complex_numIdELi16ELi32ELi8ELb0ELb0ELc84ELc85EKPKS1_KPS1_EviT_T0_PT8_S7_lSA_S7_lS8_PT9_S7_li
                                        ; -- End function
	.set _ZL37rocblas_syrkx_herkx_restricted_kernelIi19rocblas_complex_numIdELi16ELi32ELi8ELb0ELb0ELc84ELc85EKPKS1_KPS1_EviT_T0_PT8_S7_lSA_S7_lS8_PT9_S7_li.num_vgpr, 52
	.set _ZL37rocblas_syrkx_herkx_restricted_kernelIi19rocblas_complex_numIdELi16ELi32ELi8ELb0ELb0ELc84ELc85EKPKS1_KPS1_EviT_T0_PT8_S7_lSA_S7_lS8_PT9_S7_li.num_agpr, 0
	.set _ZL37rocblas_syrkx_herkx_restricted_kernelIi19rocblas_complex_numIdELi16ELi32ELi8ELb0ELb0ELc84ELc85EKPKS1_KPS1_EviT_T0_PT8_S7_lSA_S7_lS8_PT9_S7_li.numbered_sgpr, 25
	.set _ZL37rocblas_syrkx_herkx_restricted_kernelIi19rocblas_complex_numIdELi16ELi32ELi8ELb0ELb0ELc84ELc85EKPKS1_KPS1_EviT_T0_PT8_S7_lSA_S7_lS8_PT9_S7_li.num_named_barrier, 0
	.set _ZL37rocblas_syrkx_herkx_restricted_kernelIi19rocblas_complex_numIdELi16ELi32ELi8ELb0ELb0ELc84ELc85EKPKS1_KPS1_EviT_T0_PT8_S7_lSA_S7_lS8_PT9_S7_li.private_seg_size, 0
	.set _ZL37rocblas_syrkx_herkx_restricted_kernelIi19rocblas_complex_numIdELi16ELi32ELi8ELb0ELb0ELc84ELc85EKPKS1_KPS1_EviT_T0_PT8_S7_lSA_S7_lS8_PT9_S7_li.uses_vcc, 1
	.set _ZL37rocblas_syrkx_herkx_restricted_kernelIi19rocblas_complex_numIdELi16ELi32ELi8ELb0ELb0ELc84ELc85EKPKS1_KPS1_EviT_T0_PT8_S7_lSA_S7_lS8_PT9_S7_li.uses_flat_scratch, 0
	.set _ZL37rocblas_syrkx_herkx_restricted_kernelIi19rocblas_complex_numIdELi16ELi32ELi8ELb0ELb0ELc84ELc85EKPKS1_KPS1_EviT_T0_PT8_S7_lSA_S7_lS8_PT9_S7_li.has_dyn_sized_stack, 0
	.set _ZL37rocblas_syrkx_herkx_restricted_kernelIi19rocblas_complex_numIdELi16ELi32ELi8ELb0ELb0ELc84ELc85EKPKS1_KPS1_EviT_T0_PT8_S7_lSA_S7_lS8_PT9_S7_li.has_recursion, 0
	.set _ZL37rocblas_syrkx_herkx_restricted_kernelIi19rocblas_complex_numIdELi16ELi32ELi8ELb0ELb0ELc84ELc85EKPKS1_KPS1_EviT_T0_PT8_S7_lSA_S7_lS8_PT9_S7_li.has_indirect_call, 0
	.section	.AMDGPU.csdata,"",@progbits
; Kernel info:
; codeLenInByte = 3096
; TotalNumSgprs: 29
; NumVgprs: 52
; ScratchSize: 0
; MemoryBound: 0
; FloatMode: 240
; IeeeMode: 1
; LDSByteSize: 8192 bytes/workgroup (compile time only)
; SGPRBlocks: 8
; VGPRBlocks: 12
; NumSGPRsForWavesPerEU: 65
; NumVGPRsForWavesPerEU: 52
; Occupancy: 4
; WaveLimiterHint : 1
; COMPUTE_PGM_RSRC2:SCRATCH_EN: 0
; COMPUTE_PGM_RSRC2:USER_SGPR: 6
; COMPUTE_PGM_RSRC2:TRAP_HANDLER: 0
; COMPUTE_PGM_RSRC2:TGID_X_EN: 1
; COMPUTE_PGM_RSRC2:TGID_Y_EN: 1
; COMPUTE_PGM_RSRC2:TGID_Z_EN: 1
; COMPUTE_PGM_RSRC2:TIDIG_COMP_CNT: 1
	.section	.text._ZL37rocblas_syrkx_herkx_restricted_kernelIi19rocblas_complex_numIdELi16ELi32ELi8ELb0ELb0ELc67ELc85EKPKS1_KPS1_EviT_T0_PT8_S7_lSA_S7_lS8_PT9_S7_li,"axG",@progbits,_ZL37rocblas_syrkx_herkx_restricted_kernelIi19rocblas_complex_numIdELi16ELi32ELi8ELb0ELb0ELc67ELc85EKPKS1_KPS1_EviT_T0_PT8_S7_lSA_S7_lS8_PT9_S7_li,comdat
	.globl	_ZL37rocblas_syrkx_herkx_restricted_kernelIi19rocblas_complex_numIdELi16ELi32ELi8ELb0ELb0ELc67ELc85EKPKS1_KPS1_EviT_T0_PT8_S7_lSA_S7_lS8_PT9_S7_li ; -- Begin function _ZL37rocblas_syrkx_herkx_restricted_kernelIi19rocblas_complex_numIdELi16ELi32ELi8ELb0ELb0ELc67ELc85EKPKS1_KPS1_EviT_T0_PT8_S7_lSA_S7_lS8_PT9_S7_li
	.p2align	8
	.type	_ZL37rocblas_syrkx_herkx_restricted_kernelIi19rocblas_complex_numIdELi16ELi32ELi8ELb0ELb0ELc67ELc85EKPKS1_KPS1_EviT_T0_PT8_S7_lSA_S7_lS8_PT9_S7_li,@function
_ZL37rocblas_syrkx_herkx_restricted_kernelIi19rocblas_complex_numIdELi16ELi32ELi8ELb0ELb0ELc67ELc85EKPKS1_KPS1_EviT_T0_PT8_S7_lSA_S7_lS8_PT9_S7_li: ; @_ZL37rocblas_syrkx_herkx_restricted_kernelIi19rocblas_complex_numIdELi16ELi32ELi8ELb0ELb0ELc67ELc85EKPKS1_KPS1_EviT_T0_PT8_S7_lSA_S7_lS8_PT9_S7_li
; %bb.0:
	s_load_dwordx2 s[2:3], s[4:5], 0x0
	s_load_dwordx4 s[12:15], s[4:5], 0x8
	s_load_dwordx2 s[10:11], s[4:5], 0x58
	s_load_dwordx2 s[0:1], s[4:5], 0x18
	s_load_dwordx4 s[16:19], s[4:5], 0x48
	s_mov_b32 s9, 0
	s_lshl_b64 s[20:21], s[8:9], 3
	s_waitcnt lgkmcnt(0)
	s_add_u32 s10, s10, s20
	s_addc_u32 s11, s11, s21
	s_load_dwordx2 s[10:11], s[10:11], 0x0
	s_lshl_b32 s6, s6, 5
	s_lshl_b32 s7, s7, 5
	s_cmp_lt_i32 s3, 1
	s_cbranch_scc1 .LBB729_3
; %bb.1:
	s_load_dword s8, s[4:5], 0x20
	s_load_dwordx2 s[22:23], s[4:5], 0x30
	s_load_dword s24, s[4:5], 0x38
	s_add_u32 s0, s0, s20
	v_lshl_add_u32 v3, v1, 4, v0
	s_addc_u32 s1, s1, s21
	v_lshrrev_b32_e32 v8, 3, v3
	s_waitcnt lgkmcnt(0)
	s_add_u32 s20, s22, s20
	v_lshrrev_b32_e32 v2, 5, v3
	v_and_b32_e32 v4, 7, v0
	v_and_b32_e32 v9, 31, v3
	v_add_u32_e32 v3, s7, v8
	v_mov_b32_e32 v5, 0
	s_addc_u32 s21, s23, s21
	v_mad_i64_i32 v[6:7], s[22:23], s24, v3, v[4:5]
	v_mov_b32_e32 v3, v5
	v_lshlrev_b32_e32 v5, 4, v9
	v_lshl_or_b32 v22, v2, 9, v5
	v_add_u32_e32 v5, s6, v9
	v_mad_i64_i32 v[2:3], s[22:23], s8, v5, v[2:3]
	s_load_dwordx2 s[0:1], s[0:1], 0x0
	v_lshlrev_b32_e32 v4, 4, v4
	s_load_dwordx2 s[20:21], s[20:21], 0x0
	v_lshlrev_b64 v[2:3], 4, v[2:3]
	v_lshl_or_b32 v4, v8, 7, v4
	v_add_u32_e32 v23, 0x1000, v4
	s_waitcnt lgkmcnt(0)
	v_mov_b32_e32 v4, s1
	v_add_co_u32_e32 v2, vcc, s0, v2
	v_addc_co_u32_e32 v3, vcc, v4, v3, vcc
	v_lshlrev_b64 v[4:5], 4, v[6:7]
	v_mov_b32_e32 v6, s21
	v_add_co_u32_e32 v4, vcc, s20, v4
	v_mov_b32_e32 v25, 0x1000
	v_addc_co_u32_e32 v5, vcc, v6, v5, vcc
	v_mov_b32_e32 v12, 0
	v_mov_b32_e32 v10, 0
	;; [unrolled: 1-line block ×8, first 2 shown]
	v_lshlrev_b32_e32 v24, 4, v0
	v_mov_b32_e32 v13, 0
	v_mov_b32_e32 v11, 0
	;; [unrolled: 1-line block ×8, first 2 shown]
	v_lshl_add_u32 v25, v1, 7, v25
.LBB729_2:                              ; =>This Inner Loop Header: Depth=1
	flat_load_dwordx4 v[26:29], v[2:3]
	v_add_co_u32_e32 v2, vcc, 0x80, v2
	v_addc_co_u32_e32 v3, vcc, 0, v3, vcc
	s_add_i32 s9, s9, 8
	s_cmp_ge_i32 s9, s3
	s_waitcnt vmcnt(0) lgkmcnt(0)
	ds_write_b128 v22, v[26:29]
	flat_load_dwordx4 v[26:29], v[4:5]
	v_add_co_u32_e32 v4, vcc, 0x80, v4
	v_addc_co_u32_e32 v5, vcc, 0, v5, vcc
	s_waitcnt vmcnt(0) lgkmcnt(0)
	ds_write_b128 v23, v[26:29]
	s_waitcnt lgkmcnt(0)
	s_barrier
	ds_read_b128 v[26:29], v25
	ds_read_b128 v[30:33], v25 offset:16
	ds_read_b128 v[34:37], v25 offset:32
	;; [unrolled: 1-line block ×3, first 2 shown]
	ds_read_b128 v[42:45], v24
	s_waitcnt lgkmcnt(0)
	v_mul_f64 v[46:47], v[28:29], v[44:45]
	v_mul_f64 v[48:49], v[26:27], v[44:45]
	v_fma_f64 v[46:47], v[26:27], v[42:43], -v[46:47]
	v_fma_f64 v[48:49], v[28:29], v[42:43], v[48:49]
	v_add_f64 v[46:47], v[18:19], v[46:47]
	v_add_f64 v[48:49], v[48:49], v[20:21]
	ds_read_b128 v[18:21], v24 offset:256
	s_waitcnt lgkmcnt(0)
	v_mul_f64 v[50:51], v[28:29], v[20:21]
	v_fma_f64 v[50:51], v[26:27], v[18:19], -v[50:51]
	v_mul_f64 v[26:27], v[26:27], v[20:21]
	v_fma_f64 v[26:27], v[28:29], v[18:19], v[26:27]
	v_add_f64 v[28:29], v[6:7], v[50:51]
	v_add_f64 v[26:27], v[26:27], v[8:9]
	ds_read_b128 v[6:9], v25 offset:2048
	s_waitcnt lgkmcnt(0)
	v_mul_f64 v[50:51], v[8:9], v[44:45]
	v_mul_f64 v[44:45], v[6:7], v[44:45]
	v_fma_f64 v[50:51], v[6:7], v[42:43], -v[50:51]
	v_fma_f64 v[42:43], v[8:9], v[42:43], v[44:45]
	v_add_f64 v[44:45], v[14:15], v[50:51]
	v_mul_f64 v[14:15], v[8:9], v[20:21]
	v_add_f64 v[42:43], v[42:43], v[16:17]
	v_fma_f64 v[14:15], v[6:7], v[18:19], -v[14:15]
	v_mul_f64 v[6:7], v[6:7], v[20:21]
	v_fma_f64 v[6:7], v[8:9], v[18:19], v[6:7]
	v_add_f64 v[18:19], v[10:11], v[14:15]
	v_add_f64 v[20:21], v[6:7], v[12:13]
	ds_read_b128 v[6:9], v24 offset:512
	s_waitcnt lgkmcnt(0)
	v_mul_f64 v[10:11], v[32:33], v[8:9]
	v_mul_f64 v[12:13], v[30:31], v[8:9]
	v_fma_f64 v[10:11], v[30:31], v[6:7], -v[10:11]
	v_fma_f64 v[12:13], v[32:33], v[6:7], v[12:13]
	v_add_f64 v[46:47], v[46:47], v[10:11]
	v_add_f64 v[48:49], v[12:13], v[48:49]
	ds_read_b128 v[10:13], v24 offset:768
	s_waitcnt lgkmcnt(0)
	v_mul_f64 v[14:15], v[32:33], v[12:13]
	v_mul_f64 v[16:17], v[30:31], v[12:13]
	v_fma_f64 v[14:15], v[30:31], v[10:11], -v[14:15]
	;; [unrolled: 8-line block ×3, first 2 shown]
	v_fma_f64 v[6:7], v[16:17], v[6:7], v[8:9]
	v_mul_f64 v[8:9], v[14:15], v[12:13]
	v_add_f64 v[30:31], v[44:45], v[30:31]
	v_add_f64 v[32:33], v[6:7], v[42:43]
	v_mul_f64 v[6:7], v[16:17], v[12:13]
	v_fma_f64 v[8:9], v[16:17], v[10:11], v[8:9]
	v_fma_f64 v[6:7], v[14:15], v[10:11], -v[6:7]
	v_add_f64 v[20:21], v[8:9], v[20:21]
	v_add_f64 v[18:19], v[18:19], v[6:7]
	ds_read_b128 v[6:9], v24 offset:1024
	s_waitcnt lgkmcnt(0)
	v_mul_f64 v[10:11], v[36:37], v[8:9]
	v_mul_f64 v[12:13], v[34:35], v[8:9]
	v_fma_f64 v[10:11], v[34:35], v[6:7], -v[10:11]
	v_fma_f64 v[12:13], v[36:37], v[6:7], v[12:13]
	v_add_f64 v[42:43], v[46:47], v[10:11]
	v_add_f64 v[44:45], v[12:13], v[48:49]
	ds_read_b128 v[10:13], v24 offset:1280
	s_waitcnt lgkmcnt(0)
	v_mul_f64 v[14:15], v[36:37], v[12:13]
	v_mul_f64 v[16:17], v[34:35], v[12:13]
	v_fma_f64 v[14:15], v[34:35], v[10:11], -v[14:15]
	v_fma_f64 v[16:17], v[36:37], v[10:11], v[16:17]
	;; [unrolled: 8-line block ×3, first 2 shown]
	v_mul_f64 v[8:9], v[14:15], v[12:13]
	v_add_f64 v[30:31], v[30:31], v[34:35]
	v_add_f64 v[32:33], v[6:7], v[32:33]
	v_mul_f64 v[6:7], v[16:17], v[12:13]
	v_fma_f64 v[8:9], v[16:17], v[10:11], v[8:9]
	v_fma_f64 v[6:7], v[14:15], v[10:11], -v[6:7]
	v_add_f64 v[20:21], v[8:9], v[20:21]
	v_add_f64 v[18:19], v[18:19], v[6:7]
	ds_read_b128 v[6:9], v24 offset:1536
	s_waitcnt lgkmcnt(0)
	v_mul_f64 v[10:11], v[40:41], v[8:9]
	v_mul_f64 v[12:13], v[38:39], v[8:9]
	v_fma_f64 v[10:11], v[38:39], v[6:7], -v[10:11]
	v_fma_f64 v[12:13], v[40:41], v[6:7], v[12:13]
	v_add_f64 v[34:35], v[42:43], v[10:11]
	v_add_f64 v[36:37], v[12:13], v[44:45]
	ds_read_b128 v[10:13], v24 offset:1792
	s_waitcnt lgkmcnt(0)
	v_mul_f64 v[14:15], v[40:41], v[12:13]
	v_mul_f64 v[16:17], v[38:39], v[12:13]
	v_fma_f64 v[14:15], v[38:39], v[10:11], -v[14:15]
	v_fma_f64 v[16:17], v[40:41], v[10:11], v[16:17]
	;; [unrolled: 8-line block ×3, first 2 shown]
	v_mul_f64 v[8:9], v[14:15], v[12:13]
	v_add_f64 v[30:31], v[30:31], v[38:39]
	v_add_f64 v[32:33], v[6:7], v[32:33]
	v_mul_f64 v[6:7], v[16:17], v[12:13]
	v_fma_f64 v[8:9], v[16:17], v[10:11], v[8:9]
	v_fma_f64 v[6:7], v[14:15], v[10:11], -v[6:7]
	v_add_f64 v[20:21], v[8:9], v[20:21]
	v_add_f64 v[18:19], v[18:19], v[6:7]
	ds_read_b128 v[6:9], v25 offset:64
	ds_read_b128 v[10:13], v24 offset:2048
	s_waitcnt lgkmcnt(0)
	v_mul_f64 v[14:15], v[8:9], v[12:13]
	v_mul_f64 v[16:17], v[6:7], v[12:13]
	v_fma_f64 v[14:15], v[6:7], v[10:11], -v[14:15]
	v_fma_f64 v[16:17], v[8:9], v[10:11], v[16:17]
	v_add_f64 v[34:35], v[34:35], v[14:15]
	v_add_f64 v[36:37], v[16:17], v[36:37]
	ds_read_b128 v[14:17], v24 offset:2304
	s_waitcnt lgkmcnt(0)
	v_mul_f64 v[38:39], v[8:9], v[16:17]
	v_fma_f64 v[38:39], v[6:7], v[14:15], -v[38:39]
	v_mul_f64 v[6:7], v[6:7], v[16:17]
	v_add_f64 v[28:29], v[28:29], v[38:39]
	v_fma_f64 v[6:7], v[8:9], v[14:15], v[6:7]
	v_add_f64 v[26:27], v[6:7], v[26:27]
	ds_read_b128 v[6:9], v25 offset:2112
	s_waitcnt lgkmcnt(0)
	v_mul_f64 v[38:39], v[8:9], v[12:13]
	v_mul_f64 v[12:13], v[6:7], v[12:13]
	v_fma_f64 v[38:39], v[6:7], v[10:11], -v[38:39]
	v_fma_f64 v[10:11], v[8:9], v[10:11], v[12:13]
	v_add_f64 v[30:31], v[30:31], v[38:39]
	v_add_f64 v[32:33], v[10:11], v[32:33]
	v_mul_f64 v[10:11], v[8:9], v[16:17]
	v_fma_f64 v[10:11], v[6:7], v[14:15], -v[10:11]
	v_mul_f64 v[6:7], v[6:7], v[16:17]
	v_add_f64 v[18:19], v[18:19], v[10:11]
	v_fma_f64 v[6:7], v[8:9], v[14:15], v[6:7]
	v_add_f64 v[20:21], v[6:7], v[20:21]
	ds_read_b128 v[6:9], v25 offset:80
	ds_read_b128 v[10:13], v24 offset:2560
	s_waitcnt lgkmcnt(0)
	v_mul_f64 v[14:15], v[8:9], v[12:13]
	v_mul_f64 v[16:17], v[6:7], v[12:13]
	v_fma_f64 v[14:15], v[6:7], v[10:11], -v[14:15]
	v_fma_f64 v[16:17], v[8:9], v[10:11], v[16:17]
	v_add_f64 v[34:35], v[34:35], v[14:15]
	v_add_f64 v[36:37], v[16:17], v[36:37]
	ds_read_b128 v[14:17], v24 offset:2816
	s_waitcnt lgkmcnt(0)
	v_mul_f64 v[38:39], v[8:9], v[16:17]
	v_fma_f64 v[38:39], v[6:7], v[14:15], -v[38:39]
	v_mul_f64 v[6:7], v[6:7], v[16:17]
	v_add_f64 v[28:29], v[28:29], v[38:39]
	v_fma_f64 v[6:7], v[8:9], v[14:15], v[6:7]
	v_add_f64 v[26:27], v[6:7], v[26:27]
	ds_read_b128 v[6:9], v25 offset:2128
	s_waitcnt lgkmcnt(0)
	v_mul_f64 v[38:39], v[8:9], v[12:13]
	v_mul_f64 v[12:13], v[6:7], v[12:13]
	v_fma_f64 v[38:39], v[6:7], v[10:11], -v[38:39]
	v_fma_f64 v[10:11], v[8:9], v[10:11], v[12:13]
	v_add_f64 v[30:31], v[30:31], v[38:39]
	v_add_f64 v[32:33], v[10:11], v[32:33]
	v_mul_f64 v[10:11], v[8:9], v[16:17]
	v_fma_f64 v[10:11], v[6:7], v[14:15], -v[10:11]
	v_mul_f64 v[6:7], v[6:7], v[16:17]
	v_add_f64 v[18:19], v[18:19], v[10:11]
	v_fma_f64 v[6:7], v[8:9], v[14:15], v[6:7]
	;; [unrolled: 31-line block ×3, first 2 shown]
	v_add_f64 v[48:49], v[6:7], v[20:21]
	ds_read_b128 v[6:9], v25 offset:112
	ds_read_b128 v[10:13], v24 offset:3584
	;; [unrolled: 1-line block ×4, first 2 shown]
	s_waitcnt lgkmcnt(0)
	s_barrier
	v_mul_f64 v[14:15], v[8:9], v[12:13]
	v_mul_f64 v[16:17], v[6:7], v[12:13]
	v_fma_f64 v[14:15], v[6:7], v[10:11], -v[14:15]
	v_fma_f64 v[16:17], v[8:9], v[10:11], v[16:17]
	v_add_f64 v[18:19], v[34:35], v[14:15]
	v_mul_f64 v[14:15], v[8:9], v[28:29]
	v_add_f64 v[20:21], v[16:17], v[36:37]
	v_fma_f64 v[14:15], v[6:7], v[26:27], -v[14:15]
	v_mul_f64 v[6:7], v[6:7], v[28:29]
	v_fma_f64 v[8:9], v[8:9], v[26:27], v[6:7]
	v_add_f64 v[6:7], v[38:39], v[14:15]
	v_mul_f64 v[14:15], v[32:33], v[12:13]
	v_mul_f64 v[12:13], v[30:31], v[12:13]
	v_add_f64 v[8:9], v[8:9], v[40:41]
	v_fma_f64 v[14:15], v[30:31], v[10:11], -v[14:15]
	v_fma_f64 v[10:11], v[32:33], v[10:11], v[12:13]
	v_mul_f64 v[12:13], v[30:31], v[28:29]
	v_add_f64 v[14:15], v[42:43], v[14:15]
	v_add_f64 v[16:17], v[10:11], v[44:45]
	v_mul_f64 v[10:11], v[32:33], v[28:29]
	v_fma_f64 v[12:13], v[32:33], v[26:27], v[12:13]
	v_fma_f64 v[10:11], v[30:31], v[26:27], -v[10:11]
	v_add_f64 v[12:13], v[12:13], v[48:49]
	v_add_f64 v[10:11], v[46:47], v[10:11]
	s_cbranch_scc0 .LBB729_2
	s_branch .LBB729_4
.LBB729_3:
	v_mov_b32_e32 v18, 0
	v_mov_b32_e32 v20, 0
	;; [unrolled: 1-line block ×16, first 2 shown]
.LBB729_4:
	s_load_dword s3, s[4:5], 0x60
	v_add_u32_e32 v4, s7, v1
	s_waitcnt lgkmcnt(0)
	v_mov_b32_e32 v3, s11
	v_add_u32_e32 v0, s6, v0
	v_cmp_gt_i32_e32 vcc, s2, v4
	v_mad_i64_i32 v[1:2], s[0:1], v4, s3, 0
	v_lshlrev_b64 v[1:2], 4, v[1:2]
	v_add_co_u32_e64 v5, s[0:1], s10, v1
	v_addc_co_u32_e64 v22, s[0:1], v3, v2, s[0:1]
	v_cmp_le_i32_e64 s[0:1], v0, v4
	s_and_b64 s[0:1], vcc, s[0:1]
	s_and_saveexec_b64 s[4:5], s[0:1]
	s_cbranch_execz .LBB729_6
; %bb.5:
	v_ashrrev_i32_e32 v1, 31, v0
	v_lshlrev_b64 v[1:2], 4, v[0:1]
	v_mul_f64 v[27:28], s[14:15], v[20:21]
	v_add_co_u32_e64 v1, s[0:1], v5, v1
	v_addc_co_u32_e64 v2, s[0:1], v22, v2, s[0:1]
	flat_load_dwordx4 v[23:26], v[1:2]
	v_mul_f64 v[20:21], s[12:13], v[20:21]
	v_fma_f64 v[27:28], s[12:13], v[18:19], -v[27:28]
	v_fma_f64 v[20:21], s[14:15], v[18:19], v[20:21]
	s_waitcnt vmcnt(0) lgkmcnt(0)
	v_mul_f64 v[29:30], s[18:19], v[25:26]
	v_mul_f64 v[25:26], s[16:17], v[25:26]
	v_fma_f64 v[18:19], s[16:17], v[23:24], -v[29:30]
	v_fma_f64 v[23:24], s[18:19], v[23:24], v[25:26]
	v_add_f64 v[18:19], v[27:28], v[18:19]
	v_add_f64 v[20:21], v[20:21], v[23:24]
	flat_store_dwordx4 v[1:2], v[18:21]
.LBB729_6:
	s_or_b64 exec, exec, s[4:5]
	v_add_u32_e32 v2, 16, v0
	v_cmp_le_i32_e64 s[0:1], v2, v4
	s_and_b64 s[4:5], vcc, s[0:1]
	s_and_saveexec_b64 s[0:1], s[4:5]
	s_cbranch_execz .LBB729_8
; %bb.7:
	v_ashrrev_i32_e32 v3, 31, v2
	v_lshlrev_b64 v[18:19], 4, v[2:3]
	v_mul_f64 v[25:26], s[14:15], v[8:9]
	v_add_co_u32_e32 v23, vcc, v5, v18
	v_addc_co_u32_e32 v24, vcc, v22, v19, vcc
	flat_load_dwordx4 v[18:21], v[23:24]
	v_mul_f64 v[8:9], s[12:13], v[8:9]
	v_fma_f64 v[25:26], s[12:13], v[6:7], -v[25:26]
	v_fma_f64 v[7:8], s[14:15], v[6:7], v[8:9]
	s_waitcnt vmcnt(0) lgkmcnt(0)
	v_mul_f64 v[27:28], s[18:19], v[20:21]
	v_mul_f64 v[20:21], s[16:17], v[20:21]
	v_fma_f64 v[5:6], s[16:17], v[18:19], -v[27:28]
	v_fma_f64 v[18:19], s[18:19], v[18:19], v[20:21]
	v_add_f64 v[5:6], v[25:26], v[5:6]
	v_add_f64 v[7:8], v[7:8], v[18:19]
	flat_store_dwordx4 v[23:24], v[5:8]
.LBB729_8:
	s_or_b64 exec, exec, s[0:1]
	v_add_u32_e32 v3, 16, v4
	v_mad_i64_i32 v[4:5], s[0:1], v3, s3, 0
	v_mov_b32_e32 v1, s11
	v_cmp_gt_i32_e32 vcc, s2, v3
	v_lshlrev_b64 v[4:5], 4, v[4:5]
	v_add_co_u32_e64 v4, s[0:1], s10, v4
	v_addc_co_u32_e64 v5, s[0:1], v1, v5, s[0:1]
	v_cmp_le_i32_e64 s[0:1], v0, v3
	s_and_b64 s[0:1], vcc, s[0:1]
	s_and_saveexec_b64 s[2:3], s[0:1]
	s_cbranch_execz .LBB729_10
; %bb.9:
	v_ashrrev_i32_e32 v1, 31, v0
	v_lshlrev_b64 v[0:1], 4, v[0:1]
	v_mul_f64 v[18:19], s[14:15], v[16:17]
	v_add_co_u32_e64 v0, s[0:1], v4, v0
	v_addc_co_u32_e64 v1, s[0:1], v5, v1, s[0:1]
	flat_load_dwordx4 v[6:9], v[0:1]
	v_mul_f64 v[16:17], s[12:13], v[16:17]
	v_fma_f64 v[18:19], s[12:13], v[14:15], -v[18:19]
	v_fma_f64 v[14:15], s[14:15], v[14:15], v[16:17]
	s_waitcnt vmcnt(0) lgkmcnt(0)
	v_mul_f64 v[20:21], s[18:19], v[8:9]
	v_mul_f64 v[8:9], s[16:17], v[8:9]
	v_fma_f64 v[16:17], s[16:17], v[6:7], -v[20:21]
	v_fma_f64 v[8:9], s[18:19], v[6:7], v[8:9]
	v_add_f64 v[6:7], v[18:19], v[16:17]
	v_add_f64 v[8:9], v[14:15], v[8:9]
	flat_store_dwordx4 v[0:1], v[6:9]
.LBB729_10:
	s_or_b64 exec, exec, s[2:3]
	v_cmp_le_i32_e64 s[0:1], v2, v3
	s_and_b64 s[0:1], vcc, s[0:1]
	s_and_saveexec_b64 s[2:3], s[0:1]
	s_cbranch_execz .LBB729_12
; %bb.11:
	v_ashrrev_i32_e32 v3, 31, v2
	v_lshlrev_b64 v[0:1], 4, v[2:3]
	v_mul_f64 v[6:7], s[14:15], v[12:13]
	v_add_co_u32_e32 v4, vcc, v4, v0
	v_addc_co_u32_e32 v5, vcc, v5, v1, vcc
	flat_load_dwordx4 v[0:3], v[4:5]
	v_mul_f64 v[8:9], s[12:13], v[12:13]
	v_fma_f64 v[6:7], s[12:13], v[10:11], -v[6:7]
	v_fma_f64 v[8:9], s[14:15], v[10:11], v[8:9]
	s_waitcnt vmcnt(0) lgkmcnt(0)
	v_mul_f64 v[12:13], s[18:19], v[2:3]
	v_mul_f64 v[2:3], s[16:17], v[2:3]
	v_fma_f64 v[10:11], s[16:17], v[0:1], -v[12:13]
	v_fma_f64 v[2:3], s[18:19], v[0:1], v[2:3]
	v_add_f64 v[0:1], v[6:7], v[10:11]
	v_add_f64 v[2:3], v[8:9], v[2:3]
	flat_store_dwordx4 v[4:5], v[0:3]
.LBB729_12:
	s_endpgm
	.section	.rodata,"a",@progbits
	.p2align	6, 0x0
	.amdhsa_kernel _ZL37rocblas_syrkx_herkx_restricted_kernelIi19rocblas_complex_numIdELi16ELi32ELi8ELb0ELb0ELc67ELc85EKPKS1_KPS1_EviT_T0_PT8_S7_lSA_S7_lS8_PT9_S7_li
		.amdhsa_group_segment_fixed_size 8192
		.amdhsa_private_segment_fixed_size 0
		.amdhsa_kernarg_size 116
		.amdhsa_user_sgpr_count 6
		.amdhsa_user_sgpr_private_segment_buffer 1
		.amdhsa_user_sgpr_dispatch_ptr 0
		.amdhsa_user_sgpr_queue_ptr 0
		.amdhsa_user_sgpr_kernarg_segment_ptr 1
		.amdhsa_user_sgpr_dispatch_id 0
		.amdhsa_user_sgpr_flat_scratch_init 0
		.amdhsa_user_sgpr_private_segment_size 0
		.amdhsa_uses_dynamic_stack 0
		.amdhsa_system_sgpr_private_segment_wavefront_offset 0
		.amdhsa_system_sgpr_workgroup_id_x 1
		.amdhsa_system_sgpr_workgroup_id_y 1
		.amdhsa_system_sgpr_workgroup_id_z 1
		.amdhsa_system_sgpr_workgroup_info 0
		.amdhsa_system_vgpr_workitem_id 1
		.amdhsa_next_free_vgpr 52
		.amdhsa_next_free_sgpr 61
		.amdhsa_reserve_vcc 1
		.amdhsa_reserve_flat_scratch 0
		.amdhsa_float_round_mode_32 0
		.amdhsa_float_round_mode_16_64 0
		.amdhsa_float_denorm_mode_32 3
		.amdhsa_float_denorm_mode_16_64 3
		.amdhsa_dx10_clamp 1
		.amdhsa_ieee_mode 1
		.amdhsa_fp16_overflow 0
		.amdhsa_exception_fp_ieee_invalid_op 0
		.amdhsa_exception_fp_denorm_src 0
		.amdhsa_exception_fp_ieee_div_zero 0
		.amdhsa_exception_fp_ieee_overflow 0
		.amdhsa_exception_fp_ieee_underflow 0
		.amdhsa_exception_fp_ieee_inexact 0
		.amdhsa_exception_int_div_zero 0
	.end_amdhsa_kernel
	.section	.text._ZL37rocblas_syrkx_herkx_restricted_kernelIi19rocblas_complex_numIdELi16ELi32ELi8ELb0ELb0ELc67ELc85EKPKS1_KPS1_EviT_T0_PT8_S7_lSA_S7_lS8_PT9_S7_li,"axG",@progbits,_ZL37rocblas_syrkx_herkx_restricted_kernelIi19rocblas_complex_numIdELi16ELi32ELi8ELb0ELb0ELc67ELc85EKPKS1_KPS1_EviT_T0_PT8_S7_lSA_S7_lS8_PT9_S7_li,comdat
.Lfunc_end729:
	.size	_ZL37rocblas_syrkx_herkx_restricted_kernelIi19rocblas_complex_numIdELi16ELi32ELi8ELb0ELb0ELc67ELc85EKPKS1_KPS1_EviT_T0_PT8_S7_lSA_S7_lS8_PT9_S7_li, .Lfunc_end729-_ZL37rocblas_syrkx_herkx_restricted_kernelIi19rocblas_complex_numIdELi16ELi32ELi8ELb0ELb0ELc67ELc85EKPKS1_KPS1_EviT_T0_PT8_S7_lSA_S7_lS8_PT9_S7_li
                                        ; -- End function
	.set _ZL37rocblas_syrkx_herkx_restricted_kernelIi19rocblas_complex_numIdELi16ELi32ELi8ELb0ELb0ELc67ELc85EKPKS1_KPS1_EviT_T0_PT8_S7_lSA_S7_lS8_PT9_S7_li.num_vgpr, 52
	.set _ZL37rocblas_syrkx_herkx_restricted_kernelIi19rocblas_complex_numIdELi16ELi32ELi8ELb0ELb0ELc67ELc85EKPKS1_KPS1_EviT_T0_PT8_S7_lSA_S7_lS8_PT9_S7_li.num_agpr, 0
	.set _ZL37rocblas_syrkx_herkx_restricted_kernelIi19rocblas_complex_numIdELi16ELi32ELi8ELb0ELb0ELc67ELc85EKPKS1_KPS1_EviT_T0_PT8_S7_lSA_S7_lS8_PT9_S7_li.numbered_sgpr, 25
	.set _ZL37rocblas_syrkx_herkx_restricted_kernelIi19rocblas_complex_numIdELi16ELi32ELi8ELb0ELb0ELc67ELc85EKPKS1_KPS1_EviT_T0_PT8_S7_lSA_S7_lS8_PT9_S7_li.num_named_barrier, 0
	.set _ZL37rocblas_syrkx_herkx_restricted_kernelIi19rocblas_complex_numIdELi16ELi32ELi8ELb0ELb0ELc67ELc85EKPKS1_KPS1_EviT_T0_PT8_S7_lSA_S7_lS8_PT9_S7_li.private_seg_size, 0
	.set _ZL37rocblas_syrkx_herkx_restricted_kernelIi19rocblas_complex_numIdELi16ELi32ELi8ELb0ELb0ELc67ELc85EKPKS1_KPS1_EviT_T0_PT8_S7_lSA_S7_lS8_PT9_S7_li.uses_vcc, 1
	.set _ZL37rocblas_syrkx_herkx_restricted_kernelIi19rocblas_complex_numIdELi16ELi32ELi8ELb0ELb0ELc67ELc85EKPKS1_KPS1_EviT_T0_PT8_S7_lSA_S7_lS8_PT9_S7_li.uses_flat_scratch, 0
	.set _ZL37rocblas_syrkx_herkx_restricted_kernelIi19rocblas_complex_numIdELi16ELi32ELi8ELb0ELb0ELc67ELc85EKPKS1_KPS1_EviT_T0_PT8_S7_lSA_S7_lS8_PT9_S7_li.has_dyn_sized_stack, 0
	.set _ZL37rocblas_syrkx_herkx_restricted_kernelIi19rocblas_complex_numIdELi16ELi32ELi8ELb0ELb0ELc67ELc85EKPKS1_KPS1_EviT_T0_PT8_S7_lSA_S7_lS8_PT9_S7_li.has_recursion, 0
	.set _ZL37rocblas_syrkx_herkx_restricted_kernelIi19rocblas_complex_numIdELi16ELi32ELi8ELb0ELb0ELc67ELc85EKPKS1_KPS1_EviT_T0_PT8_S7_lSA_S7_lS8_PT9_S7_li.has_indirect_call, 0
	.section	.AMDGPU.csdata,"",@progbits
; Kernel info:
; codeLenInByte = 3096
; TotalNumSgprs: 29
; NumVgprs: 52
; ScratchSize: 0
; MemoryBound: 0
; FloatMode: 240
; IeeeMode: 1
; LDSByteSize: 8192 bytes/workgroup (compile time only)
; SGPRBlocks: 8
; VGPRBlocks: 12
; NumSGPRsForWavesPerEU: 65
; NumVGPRsForWavesPerEU: 52
; Occupancy: 4
; WaveLimiterHint : 1
; COMPUTE_PGM_RSRC2:SCRATCH_EN: 0
; COMPUTE_PGM_RSRC2:USER_SGPR: 6
; COMPUTE_PGM_RSRC2:TRAP_HANDLER: 0
; COMPUTE_PGM_RSRC2:TGID_X_EN: 1
; COMPUTE_PGM_RSRC2:TGID_Y_EN: 1
; COMPUTE_PGM_RSRC2:TGID_Z_EN: 1
; COMPUTE_PGM_RSRC2:TIDIG_COMP_CNT: 1
	.section	.text._ZL37rocblas_syrkx_herkx_restricted_kernelIi19rocblas_complex_numIdELi16ELi32ELi8ELb0ELb0ELc78ELc85EKPKS1_KPS1_EviT_T0_PT8_S7_lSA_S7_lS8_PT9_S7_li,"axG",@progbits,_ZL37rocblas_syrkx_herkx_restricted_kernelIi19rocblas_complex_numIdELi16ELi32ELi8ELb0ELb0ELc78ELc85EKPKS1_KPS1_EviT_T0_PT8_S7_lSA_S7_lS8_PT9_S7_li,comdat
	.globl	_ZL37rocblas_syrkx_herkx_restricted_kernelIi19rocblas_complex_numIdELi16ELi32ELi8ELb0ELb0ELc78ELc85EKPKS1_KPS1_EviT_T0_PT8_S7_lSA_S7_lS8_PT9_S7_li ; -- Begin function _ZL37rocblas_syrkx_herkx_restricted_kernelIi19rocblas_complex_numIdELi16ELi32ELi8ELb0ELb0ELc78ELc85EKPKS1_KPS1_EviT_T0_PT8_S7_lSA_S7_lS8_PT9_S7_li
	.p2align	8
	.type	_ZL37rocblas_syrkx_herkx_restricted_kernelIi19rocblas_complex_numIdELi16ELi32ELi8ELb0ELb0ELc78ELc85EKPKS1_KPS1_EviT_T0_PT8_S7_lSA_S7_lS8_PT9_S7_li,@function
_ZL37rocblas_syrkx_herkx_restricted_kernelIi19rocblas_complex_numIdELi16ELi32ELi8ELb0ELb0ELc78ELc85EKPKS1_KPS1_EviT_T0_PT8_S7_lSA_S7_lS8_PT9_S7_li: ; @_ZL37rocblas_syrkx_herkx_restricted_kernelIi19rocblas_complex_numIdELi16ELi32ELi8ELb0ELb0ELc78ELc85EKPKS1_KPS1_EviT_T0_PT8_S7_lSA_S7_lS8_PT9_S7_li
; %bb.0:
	s_load_dwordx2 s[2:3], s[4:5], 0x0
	s_load_dwordx4 s[12:15], s[4:5], 0x8
	s_load_dwordx2 s[10:11], s[4:5], 0x58
	s_load_dwordx2 s[0:1], s[4:5], 0x18
	s_load_dwordx4 s[16:19], s[4:5], 0x48
	s_mov_b32 s9, 0
	s_lshl_b64 s[20:21], s[8:9], 3
	s_waitcnt lgkmcnt(0)
	s_add_u32 s10, s10, s20
	s_addc_u32 s11, s11, s21
	s_load_dwordx2 s[10:11], s[10:11], 0x0
	s_lshl_b32 s8, s6, 5
	s_lshl_b32 s22, s7, 5
	s_cmp_lt_i32 s3, 1
	s_cbranch_scc1 .LBB730_3
; %bb.1:
	s_load_dword s6, s[4:5], 0x20
	s_load_dword s24, s[4:5], 0x38
	s_load_dwordx2 s[26:27], s[4:5], 0x30
	v_lshl_add_u32 v2, v1, 4, v0
	v_lshrrev_b32_e32 v6, 3, v2
	s_waitcnt lgkmcnt(0)
	s_ashr_i32 s7, s6, 31
	s_ashr_i32 s25, s24, 31
	s_add_u32 s0, s0, s20
	s_addc_u32 s1, s1, s21
	v_lshrrev_b32_e32 v7, 5, v2
	v_and_b32_e32 v9, 31, v2
	v_add_u32_e32 v2, s22, v6
	s_add_u32 s20, s26, s20
	v_and_b32_e32 v8, 7, v0
	v_ashrrev_i32_e32 v3, 31, v2
	s_addc_u32 s21, s27, s21
	v_mad_i64_i32 v[4:5], s[26:27], s24, v8, v[2:3]
	v_lshlrev_b32_e32 v2, 4, v9
	v_lshl_or_b32 v22, v7, 9, v2
	v_lshlrev_b32_e32 v2, 4, v8
	v_lshl_or_b32 v2, v6, 7, v2
	v_add_u32_e32 v23, 0x1000, v2
	v_add_u32_e32 v2, s8, v9
	v_ashrrev_i32_e32 v3, 31, v2
	v_mad_i64_i32 v[2:3], s[26:27], s6, v7, v[2:3]
	s_load_dwordx2 s[0:1], s[0:1], 0x0
	v_mov_b32_e32 v6, 0x1000
	s_load_dwordx2 s[20:21], s[20:21], 0x0
	v_lshlrev_b64 v[2:3], 4, v[2:3]
	v_lshl_add_u32 v25, v1, 7, v6
	s_waitcnt lgkmcnt(0)
	v_mov_b32_e32 v6, s1
	v_add_co_u32_e32 v2, vcc, s0, v2
	v_lshlrev_b64 v[4:5], 4, v[4:5]
	v_addc_co_u32_e32 v3, vcc, v6, v3, vcc
	v_mov_b32_e32 v6, s21
	v_add_co_u32_e32 v4, vcc, s20, v4
	s_lshl_b64 s[0:1], s[6:7], 7
	v_addc_co_u32_e32 v5, vcc, v6, v5, vcc
	s_lshl_b64 s[6:7], s[24:25], 7
	v_mov_b32_e32 v8, 0
	v_mov_b32_e32 v6, 0
	;; [unrolled: 1-line block ×8, first 2 shown]
	v_lshlrev_b32_e32 v24, 4, v0
	v_mov_b32_e32 v9, 0
	v_mov_b32_e32 v26, s1
	;; [unrolled: 1-line block ×10, first 2 shown]
.LBB730_2:                              ; =>This Inner Loop Header: Depth=1
	flat_load_dwordx4 v[28:31], v[2:3]
	v_add_co_u32_e32 v2, vcc, s0, v2
	v_addc_co_u32_e32 v3, vcc, v3, v26, vcc
	s_add_i32 s9, s9, 8
	s_cmp_ge_i32 s9, s3
	s_waitcnt vmcnt(0) lgkmcnt(0)
	ds_write_b128 v22, v[28:31]
	flat_load_dwordx4 v[28:31], v[4:5]
	v_add_co_u32_e32 v4, vcc, s6, v4
	v_addc_co_u32_e32 v5, vcc, v5, v27, vcc
	s_waitcnt vmcnt(0) lgkmcnt(0)
	ds_write_b128 v23, v[28:31]
	s_waitcnt lgkmcnt(0)
	s_barrier
	ds_read_b128 v[28:31], v25
	ds_read_b128 v[32:35], v25 offset:16
	ds_read_b128 v[36:39], v25 offset:32
	;; [unrolled: 1-line block ×3, first 2 shown]
	ds_read_b128 v[44:47], v24
	s_waitcnt lgkmcnt(0)
	v_mul_f64 v[48:49], v[30:31], v[46:47]
	v_mul_f64 v[50:51], v[28:29], v[46:47]
	v_fma_f64 v[48:49], v[28:29], v[44:45], -v[48:49]
	v_fma_f64 v[50:51], v[30:31], v[44:45], v[50:51]
	v_add_f64 v[48:49], v[18:19], v[48:49]
	v_add_f64 v[50:51], v[50:51], v[20:21]
	ds_read_b128 v[18:21], v24 offset:256
	s_waitcnt lgkmcnt(0)
	v_mul_f64 v[52:53], v[30:31], v[20:21]
	v_fma_f64 v[52:53], v[28:29], v[18:19], -v[52:53]
	v_mul_f64 v[28:29], v[28:29], v[20:21]
	v_fma_f64 v[28:29], v[30:31], v[18:19], v[28:29]
	v_add_f64 v[30:31], v[10:11], v[52:53]
	v_add_f64 v[28:29], v[28:29], v[12:13]
	ds_read_b128 v[10:13], v25 offset:2048
	s_waitcnt lgkmcnt(0)
	v_mul_f64 v[52:53], v[12:13], v[46:47]
	v_mul_f64 v[46:47], v[10:11], v[46:47]
	v_fma_f64 v[52:53], v[10:11], v[44:45], -v[52:53]
	v_fma_f64 v[44:45], v[12:13], v[44:45], v[46:47]
	v_add_f64 v[46:47], v[14:15], v[52:53]
	v_mul_f64 v[14:15], v[12:13], v[20:21]
	v_add_f64 v[44:45], v[44:45], v[16:17]
	v_fma_f64 v[14:15], v[10:11], v[18:19], -v[14:15]
	v_mul_f64 v[10:11], v[10:11], v[20:21]
	v_fma_f64 v[10:11], v[12:13], v[18:19], v[10:11]
	v_add_f64 v[18:19], v[6:7], v[14:15]
	v_add_f64 v[20:21], v[10:11], v[8:9]
	ds_read_b128 v[6:9], v24 offset:512
	s_waitcnt lgkmcnt(0)
	v_mul_f64 v[10:11], v[34:35], v[8:9]
	v_mul_f64 v[12:13], v[32:33], v[8:9]
	v_fma_f64 v[10:11], v[32:33], v[6:7], -v[10:11]
	v_fma_f64 v[12:13], v[34:35], v[6:7], v[12:13]
	v_add_f64 v[48:49], v[48:49], v[10:11]
	v_add_f64 v[50:51], v[12:13], v[50:51]
	ds_read_b128 v[10:13], v24 offset:768
	s_waitcnt lgkmcnt(0)
	v_mul_f64 v[14:15], v[34:35], v[12:13]
	v_mul_f64 v[16:17], v[32:33], v[12:13]
	v_fma_f64 v[14:15], v[32:33], v[10:11], -v[14:15]
	v_fma_f64 v[16:17], v[34:35], v[10:11], v[16:17]
	v_add_f64 v[30:31], v[30:31], v[14:15]
	v_add_f64 v[28:29], v[16:17], v[28:29]
	ds_read_b128 v[14:17], v25 offset:2064
	s_waitcnt lgkmcnt(0)
	v_mul_f64 v[32:33], v[16:17], v[8:9]
	v_mul_f64 v[8:9], v[14:15], v[8:9]
	v_fma_f64 v[32:33], v[14:15], v[6:7], -v[32:33]
	v_fma_f64 v[6:7], v[16:17], v[6:7], v[8:9]
	v_mul_f64 v[8:9], v[14:15], v[12:13]
	v_add_f64 v[32:33], v[46:47], v[32:33]
	v_add_f64 v[34:35], v[6:7], v[44:45]
	v_mul_f64 v[6:7], v[16:17], v[12:13]
	v_fma_f64 v[8:9], v[16:17], v[10:11], v[8:9]
	v_fma_f64 v[6:7], v[14:15], v[10:11], -v[6:7]
	v_add_f64 v[20:21], v[8:9], v[20:21]
	v_add_f64 v[18:19], v[18:19], v[6:7]
	ds_read_b128 v[6:9], v24 offset:1024
	s_waitcnt lgkmcnt(0)
	v_mul_f64 v[10:11], v[38:39], v[8:9]
	v_mul_f64 v[12:13], v[36:37], v[8:9]
	v_fma_f64 v[10:11], v[36:37], v[6:7], -v[10:11]
	v_fma_f64 v[12:13], v[38:39], v[6:7], v[12:13]
	v_add_f64 v[44:45], v[48:49], v[10:11]
	v_add_f64 v[46:47], v[12:13], v[50:51]
	ds_read_b128 v[10:13], v24 offset:1280
	s_waitcnt lgkmcnt(0)
	v_mul_f64 v[14:15], v[38:39], v[12:13]
	v_mul_f64 v[16:17], v[36:37], v[12:13]
	v_fma_f64 v[14:15], v[36:37], v[10:11], -v[14:15]
	v_fma_f64 v[16:17], v[38:39], v[10:11], v[16:17]
	;; [unrolled: 8-line block ×3, first 2 shown]
	v_mul_f64 v[8:9], v[14:15], v[12:13]
	v_add_f64 v[32:33], v[32:33], v[36:37]
	v_add_f64 v[34:35], v[6:7], v[34:35]
	v_mul_f64 v[6:7], v[16:17], v[12:13]
	v_fma_f64 v[8:9], v[16:17], v[10:11], v[8:9]
	v_fma_f64 v[6:7], v[14:15], v[10:11], -v[6:7]
	v_add_f64 v[20:21], v[8:9], v[20:21]
	v_add_f64 v[18:19], v[18:19], v[6:7]
	ds_read_b128 v[6:9], v24 offset:1536
	s_waitcnt lgkmcnt(0)
	v_mul_f64 v[10:11], v[42:43], v[8:9]
	v_mul_f64 v[12:13], v[40:41], v[8:9]
	v_fma_f64 v[10:11], v[40:41], v[6:7], -v[10:11]
	v_fma_f64 v[12:13], v[42:43], v[6:7], v[12:13]
	v_add_f64 v[36:37], v[44:45], v[10:11]
	v_add_f64 v[38:39], v[12:13], v[46:47]
	ds_read_b128 v[10:13], v24 offset:1792
	s_waitcnt lgkmcnt(0)
	v_mul_f64 v[14:15], v[42:43], v[12:13]
	v_mul_f64 v[16:17], v[40:41], v[12:13]
	v_fma_f64 v[14:15], v[40:41], v[10:11], -v[14:15]
	v_fma_f64 v[16:17], v[42:43], v[10:11], v[16:17]
	;; [unrolled: 8-line block ×3, first 2 shown]
	v_mul_f64 v[8:9], v[14:15], v[12:13]
	v_add_f64 v[32:33], v[32:33], v[40:41]
	v_add_f64 v[34:35], v[6:7], v[34:35]
	v_mul_f64 v[6:7], v[16:17], v[12:13]
	v_fma_f64 v[8:9], v[16:17], v[10:11], v[8:9]
	v_fma_f64 v[6:7], v[14:15], v[10:11], -v[6:7]
	v_add_f64 v[20:21], v[8:9], v[20:21]
	v_add_f64 v[18:19], v[18:19], v[6:7]
	ds_read_b128 v[6:9], v25 offset:64
	ds_read_b128 v[10:13], v24 offset:2048
	s_waitcnt lgkmcnt(0)
	v_mul_f64 v[14:15], v[8:9], v[12:13]
	v_mul_f64 v[16:17], v[6:7], v[12:13]
	v_fma_f64 v[14:15], v[6:7], v[10:11], -v[14:15]
	v_fma_f64 v[16:17], v[8:9], v[10:11], v[16:17]
	v_add_f64 v[36:37], v[36:37], v[14:15]
	v_add_f64 v[38:39], v[16:17], v[38:39]
	ds_read_b128 v[14:17], v24 offset:2304
	s_waitcnt lgkmcnt(0)
	v_mul_f64 v[40:41], v[8:9], v[16:17]
	v_fma_f64 v[40:41], v[6:7], v[14:15], -v[40:41]
	v_mul_f64 v[6:7], v[6:7], v[16:17]
	v_add_f64 v[30:31], v[30:31], v[40:41]
	v_fma_f64 v[6:7], v[8:9], v[14:15], v[6:7]
	v_add_f64 v[28:29], v[6:7], v[28:29]
	ds_read_b128 v[6:9], v25 offset:2112
	s_waitcnt lgkmcnt(0)
	v_mul_f64 v[40:41], v[8:9], v[12:13]
	v_mul_f64 v[12:13], v[6:7], v[12:13]
	v_fma_f64 v[40:41], v[6:7], v[10:11], -v[40:41]
	v_fma_f64 v[10:11], v[8:9], v[10:11], v[12:13]
	v_add_f64 v[32:33], v[32:33], v[40:41]
	v_add_f64 v[34:35], v[10:11], v[34:35]
	v_mul_f64 v[10:11], v[8:9], v[16:17]
	v_fma_f64 v[10:11], v[6:7], v[14:15], -v[10:11]
	v_mul_f64 v[6:7], v[6:7], v[16:17]
	v_add_f64 v[18:19], v[18:19], v[10:11]
	v_fma_f64 v[6:7], v[8:9], v[14:15], v[6:7]
	v_add_f64 v[20:21], v[6:7], v[20:21]
	ds_read_b128 v[6:9], v25 offset:80
	ds_read_b128 v[10:13], v24 offset:2560
	s_waitcnt lgkmcnt(0)
	v_mul_f64 v[14:15], v[8:9], v[12:13]
	v_mul_f64 v[16:17], v[6:7], v[12:13]
	v_fma_f64 v[14:15], v[6:7], v[10:11], -v[14:15]
	v_fma_f64 v[16:17], v[8:9], v[10:11], v[16:17]
	v_add_f64 v[36:37], v[36:37], v[14:15]
	v_add_f64 v[38:39], v[16:17], v[38:39]
	ds_read_b128 v[14:17], v24 offset:2816
	s_waitcnt lgkmcnt(0)
	v_mul_f64 v[40:41], v[8:9], v[16:17]
	v_fma_f64 v[40:41], v[6:7], v[14:15], -v[40:41]
	v_mul_f64 v[6:7], v[6:7], v[16:17]
	v_add_f64 v[30:31], v[30:31], v[40:41]
	v_fma_f64 v[6:7], v[8:9], v[14:15], v[6:7]
	v_add_f64 v[28:29], v[6:7], v[28:29]
	ds_read_b128 v[6:9], v25 offset:2128
	s_waitcnt lgkmcnt(0)
	v_mul_f64 v[40:41], v[8:9], v[12:13]
	v_mul_f64 v[12:13], v[6:7], v[12:13]
	v_fma_f64 v[40:41], v[6:7], v[10:11], -v[40:41]
	v_fma_f64 v[10:11], v[8:9], v[10:11], v[12:13]
	v_add_f64 v[32:33], v[32:33], v[40:41]
	v_add_f64 v[34:35], v[10:11], v[34:35]
	v_mul_f64 v[10:11], v[8:9], v[16:17]
	v_fma_f64 v[10:11], v[6:7], v[14:15], -v[10:11]
	v_mul_f64 v[6:7], v[6:7], v[16:17]
	v_add_f64 v[18:19], v[18:19], v[10:11]
	v_fma_f64 v[6:7], v[8:9], v[14:15], v[6:7]
	;; [unrolled: 31-line block ×3, first 2 shown]
	v_add_f64 v[46:47], v[6:7], v[20:21]
	ds_read_b128 v[6:9], v25 offset:112
	ds_read_b128 v[14:17], v24 offset:3584
	;; [unrolled: 1-line block ×3, first 2 shown]
	s_waitcnt lgkmcnt(1)
	v_mul_f64 v[10:11], v[8:9], v[16:17]
	v_mul_f64 v[12:13], v[6:7], v[16:17]
	v_fma_f64 v[10:11], v[6:7], v[14:15], -v[10:11]
	v_fma_f64 v[12:13], v[8:9], v[14:15], v[12:13]
	v_add_f64 v[18:19], v[36:37], v[10:11]
	s_waitcnt lgkmcnt(0)
	v_mul_f64 v[10:11], v[8:9], v[30:31]
	v_add_f64 v[20:21], v[12:13], v[38:39]
	v_fma_f64 v[10:11], v[6:7], v[28:29], -v[10:11]
	v_mul_f64 v[6:7], v[6:7], v[30:31]
	v_add_f64 v[10:11], v[40:41], v[10:11]
	v_fma_f64 v[6:7], v[8:9], v[28:29], v[6:7]
	v_add_f64 v[12:13], v[6:7], v[42:43]
	ds_read_b128 v[6:9], v25 offset:2160
	s_waitcnt lgkmcnt(0)
	s_barrier
	v_mul_f64 v[36:37], v[8:9], v[16:17]
	v_mul_f64 v[16:17], v[6:7], v[16:17]
	v_fma_f64 v[36:37], v[6:7], v[14:15], -v[36:37]
	v_fma_f64 v[16:17], v[8:9], v[14:15], v[16:17]
	v_add_f64 v[14:15], v[32:33], v[36:37]
	v_mul_f64 v[32:33], v[8:9], v[30:31]
	v_add_f64 v[16:17], v[16:17], v[34:35]
	v_fma_f64 v[32:33], v[6:7], v[28:29], -v[32:33]
	v_mul_f64 v[6:7], v[6:7], v[30:31]
	v_fma_f64 v[8:9], v[8:9], v[28:29], v[6:7]
	v_add_f64 v[6:7], v[44:45], v[32:33]
	v_add_f64 v[8:9], v[8:9], v[46:47]
	s_cbranch_scc0 .LBB730_2
	s_branch .LBB730_4
.LBB730_3:
	v_mov_b32_e32 v18, 0
	v_mov_b32_e32 v20, 0
	;; [unrolled: 1-line block ×16, first 2 shown]
.LBB730_4:
	s_load_dword s3, s[4:5], 0x60
	v_add_u32_e32 v4, s22, v1
	s_waitcnt lgkmcnt(0)
	v_mov_b32_e32 v3, s11
	v_add_u32_e32 v0, s8, v0
	v_cmp_gt_i32_e32 vcc, s2, v4
	v_mad_i64_i32 v[1:2], s[0:1], v4, s3, 0
	v_lshlrev_b64 v[1:2], 4, v[1:2]
	v_add_co_u32_e64 v5, s[0:1], s10, v1
	v_addc_co_u32_e64 v22, s[0:1], v3, v2, s[0:1]
	v_cmp_le_i32_e64 s[0:1], v0, v4
	s_and_b64 s[0:1], vcc, s[0:1]
	s_and_saveexec_b64 s[4:5], s[0:1]
	s_cbranch_execz .LBB730_6
; %bb.5:
	v_ashrrev_i32_e32 v1, 31, v0
	v_lshlrev_b64 v[1:2], 4, v[0:1]
	v_mul_f64 v[27:28], s[14:15], v[20:21]
	v_add_co_u32_e64 v1, s[0:1], v5, v1
	v_addc_co_u32_e64 v2, s[0:1], v22, v2, s[0:1]
	flat_load_dwordx4 v[23:26], v[1:2]
	v_mul_f64 v[20:21], s[12:13], v[20:21]
	v_fma_f64 v[27:28], s[12:13], v[18:19], -v[27:28]
	v_fma_f64 v[20:21], s[14:15], v[18:19], v[20:21]
	s_waitcnt vmcnt(0) lgkmcnt(0)
	v_mul_f64 v[29:30], s[18:19], v[25:26]
	v_mul_f64 v[25:26], s[16:17], v[25:26]
	v_fma_f64 v[18:19], s[16:17], v[23:24], -v[29:30]
	v_fma_f64 v[23:24], s[18:19], v[23:24], v[25:26]
	v_add_f64 v[18:19], v[27:28], v[18:19]
	v_add_f64 v[20:21], v[20:21], v[23:24]
	flat_store_dwordx4 v[1:2], v[18:21]
.LBB730_6:
	s_or_b64 exec, exec, s[4:5]
	v_add_u32_e32 v2, 16, v0
	v_cmp_le_i32_e64 s[0:1], v2, v4
	s_and_b64 s[4:5], vcc, s[0:1]
	s_and_saveexec_b64 s[0:1], s[4:5]
	s_cbranch_execz .LBB730_8
; %bb.7:
	v_ashrrev_i32_e32 v3, 31, v2
	v_lshlrev_b64 v[18:19], 4, v[2:3]
	v_mul_f64 v[25:26], s[14:15], v[12:13]
	v_add_co_u32_e32 v23, vcc, v5, v18
	v_addc_co_u32_e32 v24, vcc, v22, v19, vcc
	flat_load_dwordx4 v[18:21], v[23:24]
	v_mul_f64 v[12:13], s[12:13], v[12:13]
	v_fma_f64 v[25:26], s[12:13], v[10:11], -v[25:26]
	v_fma_f64 v[12:13], s[14:15], v[10:11], v[12:13]
	s_waitcnt vmcnt(0) lgkmcnt(0)
	v_mul_f64 v[27:28], s[18:19], v[20:21]
	v_mul_f64 v[20:21], s[16:17], v[20:21]
	v_fma_f64 v[10:11], s[16:17], v[18:19], -v[27:28]
	v_fma_f64 v[18:19], s[18:19], v[18:19], v[20:21]
	v_add_f64 v[10:11], v[25:26], v[10:11]
	v_add_f64 v[12:13], v[12:13], v[18:19]
	flat_store_dwordx4 v[23:24], v[10:13]
.LBB730_8:
	s_or_b64 exec, exec, s[0:1]
	v_add_u32_e32 v3, 16, v4
	v_mad_i64_i32 v[4:5], s[0:1], v3, s3, 0
	v_mov_b32_e32 v1, s11
	v_cmp_gt_i32_e32 vcc, s2, v3
	v_lshlrev_b64 v[4:5], 4, v[4:5]
	v_add_co_u32_e64 v4, s[0:1], s10, v4
	v_addc_co_u32_e64 v5, s[0:1], v1, v5, s[0:1]
	v_cmp_le_i32_e64 s[0:1], v0, v3
	s_and_b64 s[0:1], vcc, s[0:1]
	s_and_saveexec_b64 s[2:3], s[0:1]
	s_cbranch_execz .LBB730_10
; %bb.9:
	v_ashrrev_i32_e32 v1, 31, v0
	v_lshlrev_b64 v[0:1], 4, v[0:1]
	v_mul_f64 v[18:19], s[14:15], v[16:17]
	v_add_co_u32_e64 v0, s[0:1], v4, v0
	v_addc_co_u32_e64 v1, s[0:1], v5, v1, s[0:1]
	flat_load_dwordx4 v[10:13], v[0:1]
	v_mul_f64 v[16:17], s[12:13], v[16:17]
	v_fma_f64 v[18:19], s[12:13], v[14:15], -v[18:19]
	v_fma_f64 v[14:15], s[14:15], v[14:15], v[16:17]
	s_waitcnt vmcnt(0) lgkmcnt(0)
	v_mul_f64 v[20:21], s[18:19], v[12:13]
	v_mul_f64 v[12:13], s[16:17], v[12:13]
	v_fma_f64 v[16:17], s[16:17], v[10:11], -v[20:21]
	v_fma_f64 v[12:13], s[18:19], v[10:11], v[12:13]
	v_add_f64 v[10:11], v[18:19], v[16:17]
	v_add_f64 v[12:13], v[14:15], v[12:13]
	flat_store_dwordx4 v[0:1], v[10:13]
.LBB730_10:
	s_or_b64 exec, exec, s[2:3]
	v_cmp_le_i32_e64 s[0:1], v2, v3
	s_and_b64 s[0:1], vcc, s[0:1]
	s_and_saveexec_b64 s[2:3], s[0:1]
	s_cbranch_execz .LBB730_12
; %bb.11:
	v_ashrrev_i32_e32 v3, 31, v2
	v_lshlrev_b64 v[0:1], 4, v[2:3]
	v_mul_f64 v[10:11], s[14:15], v[8:9]
	v_add_co_u32_e32 v4, vcc, v4, v0
	v_addc_co_u32_e32 v5, vcc, v5, v1, vcc
	flat_load_dwordx4 v[0:3], v[4:5]
	v_mul_f64 v[8:9], s[12:13], v[8:9]
	v_fma_f64 v[10:11], s[12:13], v[6:7], -v[10:11]
	v_fma_f64 v[6:7], s[14:15], v[6:7], v[8:9]
	s_waitcnt vmcnt(0) lgkmcnt(0)
	v_mul_f64 v[12:13], s[18:19], v[2:3]
	v_mul_f64 v[2:3], s[16:17], v[2:3]
	v_fma_f64 v[8:9], s[16:17], v[0:1], -v[12:13]
	v_fma_f64 v[2:3], s[18:19], v[0:1], v[2:3]
	v_add_f64 v[0:1], v[10:11], v[8:9]
	v_add_f64 v[2:3], v[6:7], v[2:3]
	flat_store_dwordx4 v[4:5], v[0:3]
.LBB730_12:
	s_endpgm
	.section	.rodata,"a",@progbits
	.p2align	6, 0x0
	.amdhsa_kernel _ZL37rocblas_syrkx_herkx_restricted_kernelIi19rocblas_complex_numIdELi16ELi32ELi8ELb0ELb0ELc78ELc85EKPKS1_KPS1_EviT_T0_PT8_S7_lSA_S7_lS8_PT9_S7_li
		.amdhsa_group_segment_fixed_size 8192
		.amdhsa_private_segment_fixed_size 0
		.amdhsa_kernarg_size 116
		.amdhsa_user_sgpr_count 6
		.amdhsa_user_sgpr_private_segment_buffer 1
		.amdhsa_user_sgpr_dispatch_ptr 0
		.amdhsa_user_sgpr_queue_ptr 0
		.amdhsa_user_sgpr_kernarg_segment_ptr 1
		.amdhsa_user_sgpr_dispatch_id 0
		.amdhsa_user_sgpr_flat_scratch_init 0
		.amdhsa_user_sgpr_private_segment_size 0
		.amdhsa_uses_dynamic_stack 0
		.amdhsa_system_sgpr_private_segment_wavefront_offset 0
		.amdhsa_system_sgpr_workgroup_id_x 1
		.amdhsa_system_sgpr_workgroup_id_y 1
		.amdhsa_system_sgpr_workgroup_id_z 1
		.amdhsa_system_sgpr_workgroup_info 0
		.amdhsa_system_vgpr_workitem_id 1
		.amdhsa_next_free_vgpr 54
		.amdhsa_next_free_sgpr 61
		.amdhsa_reserve_vcc 1
		.amdhsa_reserve_flat_scratch 0
		.amdhsa_float_round_mode_32 0
		.amdhsa_float_round_mode_16_64 0
		.amdhsa_float_denorm_mode_32 3
		.amdhsa_float_denorm_mode_16_64 3
		.amdhsa_dx10_clamp 1
		.amdhsa_ieee_mode 1
		.amdhsa_fp16_overflow 0
		.amdhsa_exception_fp_ieee_invalid_op 0
		.amdhsa_exception_fp_denorm_src 0
		.amdhsa_exception_fp_ieee_div_zero 0
		.amdhsa_exception_fp_ieee_overflow 0
		.amdhsa_exception_fp_ieee_underflow 0
		.amdhsa_exception_fp_ieee_inexact 0
		.amdhsa_exception_int_div_zero 0
	.end_amdhsa_kernel
	.section	.text._ZL37rocblas_syrkx_herkx_restricted_kernelIi19rocblas_complex_numIdELi16ELi32ELi8ELb0ELb0ELc78ELc85EKPKS1_KPS1_EviT_T0_PT8_S7_lSA_S7_lS8_PT9_S7_li,"axG",@progbits,_ZL37rocblas_syrkx_herkx_restricted_kernelIi19rocblas_complex_numIdELi16ELi32ELi8ELb0ELb0ELc78ELc85EKPKS1_KPS1_EviT_T0_PT8_S7_lSA_S7_lS8_PT9_S7_li,comdat
.Lfunc_end730:
	.size	_ZL37rocblas_syrkx_herkx_restricted_kernelIi19rocblas_complex_numIdELi16ELi32ELi8ELb0ELb0ELc78ELc85EKPKS1_KPS1_EviT_T0_PT8_S7_lSA_S7_lS8_PT9_S7_li, .Lfunc_end730-_ZL37rocblas_syrkx_herkx_restricted_kernelIi19rocblas_complex_numIdELi16ELi32ELi8ELb0ELb0ELc78ELc85EKPKS1_KPS1_EviT_T0_PT8_S7_lSA_S7_lS8_PT9_S7_li
                                        ; -- End function
	.set _ZL37rocblas_syrkx_herkx_restricted_kernelIi19rocblas_complex_numIdELi16ELi32ELi8ELb0ELb0ELc78ELc85EKPKS1_KPS1_EviT_T0_PT8_S7_lSA_S7_lS8_PT9_S7_li.num_vgpr, 54
	.set _ZL37rocblas_syrkx_herkx_restricted_kernelIi19rocblas_complex_numIdELi16ELi32ELi8ELb0ELb0ELc78ELc85EKPKS1_KPS1_EviT_T0_PT8_S7_lSA_S7_lS8_PT9_S7_li.num_agpr, 0
	.set _ZL37rocblas_syrkx_herkx_restricted_kernelIi19rocblas_complex_numIdELi16ELi32ELi8ELb0ELb0ELc78ELc85EKPKS1_KPS1_EviT_T0_PT8_S7_lSA_S7_lS8_PT9_S7_li.numbered_sgpr, 28
	.set _ZL37rocblas_syrkx_herkx_restricted_kernelIi19rocblas_complex_numIdELi16ELi32ELi8ELb0ELb0ELc78ELc85EKPKS1_KPS1_EviT_T0_PT8_S7_lSA_S7_lS8_PT9_S7_li.num_named_barrier, 0
	.set _ZL37rocblas_syrkx_herkx_restricted_kernelIi19rocblas_complex_numIdELi16ELi32ELi8ELb0ELb0ELc78ELc85EKPKS1_KPS1_EviT_T0_PT8_S7_lSA_S7_lS8_PT9_S7_li.private_seg_size, 0
	.set _ZL37rocblas_syrkx_herkx_restricted_kernelIi19rocblas_complex_numIdELi16ELi32ELi8ELb0ELb0ELc78ELc85EKPKS1_KPS1_EviT_T0_PT8_S7_lSA_S7_lS8_PT9_S7_li.uses_vcc, 1
	.set _ZL37rocblas_syrkx_herkx_restricted_kernelIi19rocblas_complex_numIdELi16ELi32ELi8ELb0ELb0ELc78ELc85EKPKS1_KPS1_EviT_T0_PT8_S7_lSA_S7_lS8_PT9_S7_li.uses_flat_scratch, 0
	.set _ZL37rocblas_syrkx_herkx_restricted_kernelIi19rocblas_complex_numIdELi16ELi32ELi8ELb0ELb0ELc78ELc85EKPKS1_KPS1_EviT_T0_PT8_S7_lSA_S7_lS8_PT9_S7_li.has_dyn_sized_stack, 0
	.set _ZL37rocblas_syrkx_herkx_restricted_kernelIi19rocblas_complex_numIdELi16ELi32ELi8ELb0ELb0ELc78ELc85EKPKS1_KPS1_EviT_T0_PT8_S7_lSA_S7_lS8_PT9_S7_li.has_recursion, 0
	.set _ZL37rocblas_syrkx_herkx_restricted_kernelIi19rocblas_complex_numIdELi16ELi32ELi8ELb0ELb0ELc78ELc85EKPKS1_KPS1_EviT_T0_PT8_S7_lSA_S7_lS8_PT9_S7_li.has_indirect_call, 0
	.section	.AMDGPU.csdata,"",@progbits
; Kernel info:
; codeLenInByte = 3120
; TotalNumSgprs: 32
; NumVgprs: 54
; ScratchSize: 0
; MemoryBound: 0
; FloatMode: 240
; IeeeMode: 1
; LDSByteSize: 8192 bytes/workgroup (compile time only)
; SGPRBlocks: 8
; VGPRBlocks: 13
; NumSGPRsForWavesPerEU: 65
; NumVGPRsForWavesPerEU: 54
; Occupancy: 4
; WaveLimiterHint : 1
; COMPUTE_PGM_RSRC2:SCRATCH_EN: 0
; COMPUTE_PGM_RSRC2:USER_SGPR: 6
; COMPUTE_PGM_RSRC2:TRAP_HANDLER: 0
; COMPUTE_PGM_RSRC2:TGID_X_EN: 1
; COMPUTE_PGM_RSRC2:TGID_Y_EN: 1
; COMPUTE_PGM_RSRC2:TGID_Z_EN: 1
; COMPUTE_PGM_RSRC2:TIDIG_COMP_CNT: 1
	.section	.text._ZL41rocblas_syrkx_herkx_small_restrict_kernelIi19rocblas_complex_numIdELi16ELb1ELb0ELc84ELc76EKPKS1_KPS1_EviT_T0_PT6_S7_lSA_S7_lS8_PT7_S7_li,"axG",@progbits,_ZL41rocblas_syrkx_herkx_small_restrict_kernelIi19rocblas_complex_numIdELi16ELb1ELb0ELc84ELc76EKPKS1_KPS1_EviT_T0_PT6_S7_lSA_S7_lS8_PT7_S7_li,comdat
	.globl	_ZL41rocblas_syrkx_herkx_small_restrict_kernelIi19rocblas_complex_numIdELi16ELb1ELb0ELc84ELc76EKPKS1_KPS1_EviT_T0_PT6_S7_lSA_S7_lS8_PT7_S7_li ; -- Begin function _ZL41rocblas_syrkx_herkx_small_restrict_kernelIi19rocblas_complex_numIdELi16ELb1ELb0ELc84ELc76EKPKS1_KPS1_EviT_T0_PT6_S7_lSA_S7_lS8_PT7_S7_li
	.p2align	8
	.type	_ZL41rocblas_syrkx_herkx_small_restrict_kernelIi19rocblas_complex_numIdELi16ELb1ELb0ELc84ELc76EKPKS1_KPS1_EviT_T0_PT6_S7_lSA_S7_lS8_PT7_S7_li,@function
_ZL41rocblas_syrkx_herkx_small_restrict_kernelIi19rocblas_complex_numIdELi16ELb1ELb0ELc84ELc76EKPKS1_KPS1_EviT_T0_PT6_S7_lSA_S7_lS8_PT7_S7_li: ; @_ZL41rocblas_syrkx_herkx_small_restrict_kernelIi19rocblas_complex_numIdELi16ELb1ELb0ELc84ELc76EKPKS1_KPS1_EviT_T0_PT6_S7_lSA_S7_lS8_PT7_S7_li
; %bb.0:
	s_load_dwordx2 s[12:13], s[4:5], 0x18
	s_load_dwordx2 s[10:11], s[4:5], 0x58
	s_load_dword s16, s[4:5], 0x4
	s_load_dwordx4 s[0:3], s[4:5], 0x8
	s_mov_b32 s9, 0
	s_lshl_b64 s[14:15], s[8:9], 3
	s_waitcnt lgkmcnt(0)
	s_add_u32 s10, s10, s14
	s_addc_u32 s11, s11, s15
	s_load_dwordx2 s[10:11], s[10:11], 0x0
	v_lshl_add_u32 v2, s6, 4, v0
	s_cmp_lt_i32 s16, 1
	v_lshl_add_u32 v9, s7, 4, v1
	s_cbranch_scc1 .LBB731_6
; %bb.1:
	s_load_dwordx2 s[6:7], s[4:5], 0x30
	s_load_dword s8, s[4:5], 0x20
	s_load_dword s17, s[4:5], 0x38
	v_lshlrev_b32_e32 v5, 8, v1
	v_lshlrev_b32_e32 v10, 4, v0
	s_waitcnt lgkmcnt(0)
	s_add_u32 s6, s6, s14
	s_addc_u32 s7, s7, s15
	s_add_u32 s12, s12, s14
	s_addc_u32 s13, s13, s15
	v_mad_i64_i32 v[3:4], s[14:15], s17, v9, 0
	s_load_dwordx2 s[6:7], s[6:7], 0x0
	v_add_u32_e32 v11, v10, v5
	v_add_u32_e32 v12, 0x1000, v5
	v_lshlrev_b64 v[3:4], 4, v[3:4]
	v_mad_i64_i32 v[5:6], s[14:15], s8, v2, 0
	v_add_co_u32_e32 v0, vcc, v3, v10
	s_load_dwordx2 s[12:13], s[12:13], 0x0
	v_addc_co_u32_e32 v4, vcc, 0, v4, vcc
	s_waitcnt lgkmcnt(0)
	v_mov_b32_e32 v7, s7
	v_add_co_u32_e32 v3, vcc, s6, v0
	v_lshlrev_b64 v[5:6], 4, v[5:6]
	v_addc_co_u32_e32 v4, vcc, v7, v4, vcc
	v_lshlrev_b32_e32 v0, 4, v1
	v_add_co_u32_e32 v0, vcc, v5, v0
	v_addc_co_u32_e32 v1, vcc, 0, v6, vcc
	v_mov_b32_e32 v14, s13
	v_mov_b32_e32 v7, 0
	;; [unrolled: 1-line block ×3, first 2 shown]
	v_add_co_u32_e32 v0, vcc, s12, v0
	v_add_u32_e32 v13, v12, v10
	v_mov_b32_e32 v8, 0
	v_mov_b32_e32 v6, 0
	v_addc_co_u32_e32 v1, vcc, v14, v1, vcc
.LBB731_2:                              ; =>This Inner Loop Header: Depth=1
	flat_load_dwordx4 v[14:17], v[0:1]
	s_add_i32 s9, s9, 16
	s_cmp_lt_i32 s9, s16
	s_waitcnt vmcnt(0) lgkmcnt(0)
	ds_write2_b64 v11, v[14:15], v[16:17] offset1:1
	flat_load_dwordx4 v[14:17], v[3:4]
	v_add_co_u32_e32 v3, vcc, 0x100, v3
	v_addc_co_u32_e32 v4, vcc, 0, v4, vcc
	v_add_co_u32_e32 v0, vcc, 0x100, v0
	v_addc_co_u32_e32 v1, vcc, 0, v1, vcc
	s_waitcnt vmcnt(0) lgkmcnt(0)
	ds_write2_b64 v13, v[14:15], v[16:17] offset1:1
	s_waitcnt lgkmcnt(0)
	s_barrier
	ds_read_b128 v[14:17], v12
	ds_read_b128 v[18:21], v12 offset:16
	ds_read_b128 v[22:25], v12 offset:32
	;; [unrolled: 1-line block ×3, first 2 shown]
	ds_read_b128 v[30:33], v10
	s_waitcnt lgkmcnt(0)
	v_mul_f64 v[34:35], v[16:17], v[32:33]
	v_fma_f64 v[34:35], v[14:15], v[30:31], -v[34:35]
	v_mul_f64 v[14:15], v[14:15], v[32:33]
	v_fma_f64 v[14:15], v[16:17], v[30:31], v[14:15]
	v_add_f64 v[16:17], v[5:6], v[34:35]
	v_add_f64 v[14:15], v[7:8], v[14:15]
	ds_read_b128 v[5:8], v10 offset:256
	s_waitcnt lgkmcnt(0)
	v_mul_f64 v[30:31], v[20:21], v[7:8]
	v_mul_f64 v[7:8], v[18:19], v[7:8]
	v_fma_f64 v[30:31], v[18:19], v[5:6], -v[30:31]
	v_fma_f64 v[5:6], v[20:21], v[5:6], v[7:8]
	v_add_f64 v[16:17], v[16:17], v[30:31]
	v_add_f64 v[14:15], v[14:15], v[5:6]
	ds_read_b128 v[5:8], v10 offset:512
	s_waitcnt lgkmcnt(0)
	v_mul_f64 v[18:19], v[24:25], v[7:8]
	v_mul_f64 v[7:8], v[22:23], v[7:8]
	v_fma_f64 v[18:19], v[22:23], v[5:6], -v[18:19]
	;; [unrolled: 8-line block ×3, first 2 shown]
	v_fma_f64 v[5:6], v[28:29], v[5:6], v[7:8]
	v_add_f64 v[18:19], v[16:17], v[18:19]
	v_add_f64 v[20:21], v[14:15], v[5:6]
	ds_read_b128 v[5:8], v12 offset:64
	ds_read_b128 v[14:17], v10 offset:1024
	s_waitcnt lgkmcnt(0)
	v_mul_f64 v[22:23], v[7:8], v[16:17]
	v_fma_f64 v[22:23], v[5:6], v[14:15], -v[22:23]
	v_mul_f64 v[5:6], v[5:6], v[16:17]
	v_add_f64 v[18:19], v[18:19], v[22:23]
	v_fma_f64 v[5:6], v[7:8], v[14:15], v[5:6]
	v_add_f64 v[20:21], v[20:21], v[5:6]
	ds_read_b128 v[5:8], v12 offset:80
	ds_read_b128 v[14:17], v10 offset:1280
	s_waitcnt lgkmcnt(0)
	v_mul_f64 v[22:23], v[7:8], v[16:17]
	v_fma_f64 v[22:23], v[5:6], v[14:15], -v[22:23]
	v_mul_f64 v[5:6], v[5:6], v[16:17]
	v_add_f64 v[18:19], v[18:19], v[22:23]
	v_fma_f64 v[5:6], v[7:8], v[14:15], v[5:6]
	;; [unrolled: 9-line block ×11, first 2 shown]
	v_add_f64 v[20:21], v[20:21], v[5:6]
	ds_read_b128 v[5:8], v12 offset:240
	ds_read_b128 v[14:17], v10 offset:3840
	s_waitcnt lgkmcnt(0)
	s_barrier
	v_mul_f64 v[22:23], v[7:8], v[16:17]
	v_fma_f64 v[22:23], v[5:6], v[14:15], -v[22:23]
	v_mul_f64 v[5:6], v[5:6], v[16:17]
	v_fma_f64 v[7:8], v[7:8], v[14:15], v[5:6]
	v_add_f64 v[5:6], v[18:19], v[22:23]
	v_add_f64 v[7:8], v[20:21], v[7:8]
	s_cbranch_scc1 .LBB731_2
; %bb.3:
	v_cmp_le_i32_e32 vcc, v9, v2
	s_and_saveexec_b64 s[6:7], vcc
	s_cbranch_execz .LBB731_5
.LBB731_4:
	s_load_dword s4, s[4:5], 0x60
	v_mul_f64 v[0:1], s[2:3], v[7:8]
	v_mul_f64 v[10:11], s[0:1], v[7:8]
	v_ashrrev_i32_e32 v3, 31, v2
	s_waitcnt lgkmcnt(0)
	v_mov_b32_e32 v4, s11
	v_mad_i64_i32 v[12:13], s[4:5], s4, v9, 0
	v_fma_f64 v[7:8], s[0:1], v[5:6], -v[0:1]
	v_fma_f64 v[9:10], s[2:3], v[5:6], v[10:11]
	v_lshlrev_b64 v[0:1], 4, v[12:13]
	v_add_co_u32_e32 v5, vcc, s10, v0
	v_addc_co_u32_e32 v4, vcc, v4, v1, vcc
	v_lshlrev_b64 v[0:1], 4, v[2:3]
	v_add_co_u32_e32 v0, vcc, v5, v0
	v_addc_co_u32_e32 v1, vcc, v4, v1, vcc
	flat_store_dwordx4 v[0:1], v[7:10]
.LBB731_5:
	s_endpgm
.LBB731_6:
	v_mov_b32_e32 v7, 0
	v_mov_b32_e32 v5, 0
	;; [unrolled: 1-line block ×4, first 2 shown]
	v_cmp_le_i32_e32 vcc, v9, v2
	s_and_saveexec_b64 s[6:7], vcc
	s_cbranch_execnz .LBB731_4
	s_branch .LBB731_5
	.section	.rodata,"a",@progbits
	.p2align	6, 0x0
	.amdhsa_kernel _ZL41rocblas_syrkx_herkx_small_restrict_kernelIi19rocblas_complex_numIdELi16ELb1ELb0ELc84ELc76EKPKS1_KPS1_EviT_T0_PT6_S7_lSA_S7_lS8_PT7_S7_li
		.amdhsa_group_segment_fixed_size 8192
		.amdhsa_private_segment_fixed_size 0
		.amdhsa_kernarg_size 116
		.amdhsa_user_sgpr_count 6
		.amdhsa_user_sgpr_private_segment_buffer 1
		.amdhsa_user_sgpr_dispatch_ptr 0
		.amdhsa_user_sgpr_queue_ptr 0
		.amdhsa_user_sgpr_kernarg_segment_ptr 1
		.amdhsa_user_sgpr_dispatch_id 0
		.amdhsa_user_sgpr_flat_scratch_init 0
		.amdhsa_user_sgpr_private_segment_size 0
		.amdhsa_uses_dynamic_stack 0
		.amdhsa_system_sgpr_private_segment_wavefront_offset 0
		.amdhsa_system_sgpr_workgroup_id_x 1
		.amdhsa_system_sgpr_workgroup_id_y 1
		.amdhsa_system_sgpr_workgroup_id_z 1
		.amdhsa_system_sgpr_workgroup_info 0
		.amdhsa_system_vgpr_workitem_id 1
		.amdhsa_next_free_vgpr 36
		.amdhsa_next_free_sgpr 61
		.amdhsa_reserve_vcc 1
		.amdhsa_reserve_flat_scratch 0
		.amdhsa_float_round_mode_32 0
		.amdhsa_float_round_mode_16_64 0
		.amdhsa_float_denorm_mode_32 3
		.amdhsa_float_denorm_mode_16_64 3
		.amdhsa_dx10_clamp 1
		.amdhsa_ieee_mode 1
		.amdhsa_fp16_overflow 0
		.amdhsa_exception_fp_ieee_invalid_op 0
		.amdhsa_exception_fp_denorm_src 0
		.amdhsa_exception_fp_ieee_div_zero 0
		.amdhsa_exception_fp_ieee_overflow 0
		.amdhsa_exception_fp_ieee_underflow 0
		.amdhsa_exception_fp_ieee_inexact 0
		.amdhsa_exception_int_div_zero 0
	.end_amdhsa_kernel
	.section	.text._ZL41rocblas_syrkx_herkx_small_restrict_kernelIi19rocblas_complex_numIdELi16ELb1ELb0ELc84ELc76EKPKS1_KPS1_EviT_T0_PT6_S7_lSA_S7_lS8_PT7_S7_li,"axG",@progbits,_ZL41rocblas_syrkx_herkx_small_restrict_kernelIi19rocblas_complex_numIdELi16ELb1ELb0ELc84ELc76EKPKS1_KPS1_EviT_T0_PT6_S7_lSA_S7_lS8_PT7_S7_li,comdat
.Lfunc_end731:
	.size	_ZL41rocblas_syrkx_herkx_small_restrict_kernelIi19rocblas_complex_numIdELi16ELb1ELb0ELc84ELc76EKPKS1_KPS1_EviT_T0_PT6_S7_lSA_S7_lS8_PT7_S7_li, .Lfunc_end731-_ZL41rocblas_syrkx_herkx_small_restrict_kernelIi19rocblas_complex_numIdELi16ELb1ELb0ELc84ELc76EKPKS1_KPS1_EviT_T0_PT6_S7_lSA_S7_lS8_PT7_S7_li
                                        ; -- End function
	.set _ZL41rocblas_syrkx_herkx_small_restrict_kernelIi19rocblas_complex_numIdELi16ELb1ELb0ELc84ELc76EKPKS1_KPS1_EviT_T0_PT6_S7_lSA_S7_lS8_PT7_S7_li.num_vgpr, 36
	.set _ZL41rocblas_syrkx_herkx_small_restrict_kernelIi19rocblas_complex_numIdELi16ELb1ELb0ELc84ELc76EKPKS1_KPS1_EviT_T0_PT6_S7_lSA_S7_lS8_PT7_S7_li.num_agpr, 0
	.set _ZL41rocblas_syrkx_herkx_small_restrict_kernelIi19rocblas_complex_numIdELi16ELb1ELb0ELc84ELc76EKPKS1_KPS1_EviT_T0_PT6_S7_lSA_S7_lS8_PT7_S7_li.numbered_sgpr, 18
	.set _ZL41rocblas_syrkx_herkx_small_restrict_kernelIi19rocblas_complex_numIdELi16ELb1ELb0ELc84ELc76EKPKS1_KPS1_EviT_T0_PT6_S7_lSA_S7_lS8_PT7_S7_li.num_named_barrier, 0
	.set _ZL41rocblas_syrkx_herkx_small_restrict_kernelIi19rocblas_complex_numIdELi16ELb1ELb0ELc84ELc76EKPKS1_KPS1_EviT_T0_PT6_S7_lSA_S7_lS8_PT7_S7_li.private_seg_size, 0
	.set _ZL41rocblas_syrkx_herkx_small_restrict_kernelIi19rocblas_complex_numIdELi16ELb1ELb0ELc84ELc76EKPKS1_KPS1_EviT_T0_PT6_S7_lSA_S7_lS8_PT7_S7_li.uses_vcc, 1
	.set _ZL41rocblas_syrkx_herkx_small_restrict_kernelIi19rocblas_complex_numIdELi16ELb1ELb0ELc84ELc76EKPKS1_KPS1_EviT_T0_PT6_S7_lSA_S7_lS8_PT7_S7_li.uses_flat_scratch, 0
	.set _ZL41rocblas_syrkx_herkx_small_restrict_kernelIi19rocblas_complex_numIdELi16ELb1ELb0ELc84ELc76EKPKS1_KPS1_EviT_T0_PT6_S7_lSA_S7_lS8_PT7_S7_li.has_dyn_sized_stack, 0
	.set _ZL41rocblas_syrkx_herkx_small_restrict_kernelIi19rocblas_complex_numIdELi16ELb1ELb0ELc84ELc76EKPKS1_KPS1_EviT_T0_PT6_S7_lSA_S7_lS8_PT7_S7_li.has_recursion, 0
	.set _ZL41rocblas_syrkx_herkx_small_restrict_kernelIi19rocblas_complex_numIdELi16ELb1ELb0ELc84ELc76EKPKS1_KPS1_EviT_T0_PT6_S7_lSA_S7_lS8_PT7_S7_li.has_indirect_call, 0
	.section	.AMDGPU.csdata,"",@progbits
; Kernel info:
; codeLenInByte = 1588
; TotalNumSgprs: 22
; NumVgprs: 36
; ScratchSize: 0
; MemoryBound: 0
; FloatMode: 240
; IeeeMode: 1
; LDSByteSize: 8192 bytes/workgroup (compile time only)
; SGPRBlocks: 8
; VGPRBlocks: 8
; NumSGPRsForWavesPerEU: 65
; NumVGPRsForWavesPerEU: 36
; Occupancy: 7
; WaveLimiterHint : 1
; COMPUTE_PGM_RSRC2:SCRATCH_EN: 0
; COMPUTE_PGM_RSRC2:USER_SGPR: 6
; COMPUTE_PGM_RSRC2:TRAP_HANDLER: 0
; COMPUTE_PGM_RSRC2:TGID_X_EN: 1
; COMPUTE_PGM_RSRC2:TGID_Y_EN: 1
; COMPUTE_PGM_RSRC2:TGID_Z_EN: 1
; COMPUTE_PGM_RSRC2:TIDIG_COMP_CNT: 1
	.section	.text._ZL41rocblas_syrkx_herkx_small_restrict_kernelIi19rocblas_complex_numIdELi16ELb1ELb0ELc67ELc76EKPKS1_KPS1_EviT_T0_PT6_S7_lSA_S7_lS8_PT7_S7_li,"axG",@progbits,_ZL41rocblas_syrkx_herkx_small_restrict_kernelIi19rocblas_complex_numIdELi16ELb1ELb0ELc67ELc76EKPKS1_KPS1_EviT_T0_PT6_S7_lSA_S7_lS8_PT7_S7_li,comdat
	.globl	_ZL41rocblas_syrkx_herkx_small_restrict_kernelIi19rocblas_complex_numIdELi16ELb1ELb0ELc67ELc76EKPKS1_KPS1_EviT_T0_PT6_S7_lSA_S7_lS8_PT7_S7_li ; -- Begin function _ZL41rocblas_syrkx_herkx_small_restrict_kernelIi19rocblas_complex_numIdELi16ELb1ELb0ELc67ELc76EKPKS1_KPS1_EviT_T0_PT6_S7_lSA_S7_lS8_PT7_S7_li
	.p2align	8
	.type	_ZL41rocblas_syrkx_herkx_small_restrict_kernelIi19rocblas_complex_numIdELi16ELb1ELb0ELc67ELc76EKPKS1_KPS1_EviT_T0_PT6_S7_lSA_S7_lS8_PT7_S7_li,@function
_ZL41rocblas_syrkx_herkx_small_restrict_kernelIi19rocblas_complex_numIdELi16ELb1ELb0ELc67ELc76EKPKS1_KPS1_EviT_T0_PT6_S7_lSA_S7_lS8_PT7_S7_li: ; @_ZL41rocblas_syrkx_herkx_small_restrict_kernelIi19rocblas_complex_numIdELi16ELb1ELb0ELc67ELc76EKPKS1_KPS1_EviT_T0_PT6_S7_lSA_S7_lS8_PT7_S7_li
; %bb.0:
	s_load_dwordx2 s[12:13], s[4:5], 0x18
	s_load_dwordx2 s[10:11], s[4:5], 0x58
	s_load_dword s16, s[4:5], 0x4
	s_load_dwordx4 s[0:3], s[4:5], 0x8
	s_mov_b32 s9, 0
	s_lshl_b64 s[14:15], s[8:9], 3
	s_waitcnt lgkmcnt(0)
	s_add_u32 s10, s10, s14
	s_addc_u32 s11, s11, s15
	s_load_dwordx2 s[10:11], s[10:11], 0x0
	v_lshl_add_u32 v2, s6, 4, v0
	s_cmp_lt_i32 s16, 1
	v_lshl_add_u32 v9, s7, 4, v1
	s_cbranch_scc1 .LBB732_6
; %bb.1:
	s_load_dwordx2 s[6:7], s[4:5], 0x30
	s_load_dword s8, s[4:5], 0x20
	s_load_dword s17, s[4:5], 0x38
	v_lshlrev_b32_e32 v5, 8, v1
	v_lshlrev_b32_e32 v10, 4, v0
	s_waitcnt lgkmcnt(0)
	s_add_u32 s6, s6, s14
	s_addc_u32 s7, s7, s15
	s_add_u32 s12, s12, s14
	s_addc_u32 s13, s13, s15
	v_mad_i64_i32 v[3:4], s[14:15], s17, v9, 0
	s_load_dwordx2 s[6:7], s[6:7], 0x0
	v_add_u32_e32 v11, v10, v5
	v_add_u32_e32 v12, 0x1000, v5
	v_lshlrev_b64 v[3:4], 4, v[3:4]
	v_mad_i64_i32 v[5:6], s[14:15], s8, v2, 0
	v_add_co_u32_e32 v0, vcc, v3, v10
	s_load_dwordx2 s[12:13], s[12:13], 0x0
	v_addc_co_u32_e32 v4, vcc, 0, v4, vcc
	s_waitcnt lgkmcnt(0)
	v_mov_b32_e32 v7, s7
	v_add_co_u32_e32 v3, vcc, s6, v0
	v_lshlrev_b64 v[5:6], 4, v[5:6]
	v_addc_co_u32_e32 v4, vcc, v7, v4, vcc
	v_lshlrev_b32_e32 v0, 4, v1
	v_add_co_u32_e32 v0, vcc, v5, v0
	v_addc_co_u32_e32 v1, vcc, 0, v6, vcc
	v_mov_b32_e32 v14, s13
	v_mov_b32_e32 v7, 0
	;; [unrolled: 1-line block ×3, first 2 shown]
	v_add_co_u32_e32 v0, vcc, s12, v0
	v_add_u32_e32 v13, v12, v10
	v_mov_b32_e32 v8, 0
	v_mov_b32_e32 v6, 0
	v_addc_co_u32_e32 v1, vcc, v14, v1, vcc
.LBB732_2:                              ; =>This Inner Loop Header: Depth=1
	flat_load_dwordx4 v[14:17], v[0:1]
	s_add_i32 s9, s9, 16
	s_cmp_lt_i32 s9, s16
	s_waitcnt vmcnt(0) lgkmcnt(0)
	ds_write_b128 v11, v[14:17]
	flat_load_dwordx4 v[14:17], v[3:4]
	v_add_co_u32_e32 v3, vcc, 0x100, v3
	v_addc_co_u32_e32 v4, vcc, 0, v4, vcc
	v_add_co_u32_e32 v0, vcc, 0x100, v0
	v_addc_co_u32_e32 v1, vcc, 0, v1, vcc
	s_waitcnt vmcnt(0) lgkmcnt(0)
	ds_write2_b64 v13, v[14:15], v[16:17] offset1:1
	s_waitcnt lgkmcnt(0)
	s_barrier
	ds_read_b128 v[14:17], v12
	ds_read_b128 v[18:21], v12 offset:16
	ds_read_b128 v[22:25], v12 offset:32
	;; [unrolled: 1-line block ×3, first 2 shown]
	ds_read_b128 v[30:33], v10
	s_waitcnt lgkmcnt(0)
	v_mul_f64 v[34:35], v[16:17], v[32:33]
	v_fma_f64 v[34:35], v[14:15], v[30:31], -v[34:35]
	v_mul_f64 v[14:15], v[14:15], v[32:33]
	v_fma_f64 v[14:15], v[16:17], v[30:31], v[14:15]
	v_add_f64 v[16:17], v[5:6], v[34:35]
	v_add_f64 v[14:15], v[7:8], v[14:15]
	ds_read_b128 v[5:8], v10 offset:256
	s_waitcnt lgkmcnt(0)
	v_mul_f64 v[30:31], v[20:21], v[7:8]
	v_mul_f64 v[7:8], v[18:19], v[7:8]
	v_fma_f64 v[30:31], v[18:19], v[5:6], -v[30:31]
	v_fma_f64 v[5:6], v[20:21], v[5:6], v[7:8]
	v_add_f64 v[16:17], v[16:17], v[30:31]
	v_add_f64 v[14:15], v[14:15], v[5:6]
	ds_read_b128 v[5:8], v10 offset:512
	s_waitcnt lgkmcnt(0)
	v_mul_f64 v[18:19], v[24:25], v[7:8]
	v_mul_f64 v[7:8], v[22:23], v[7:8]
	v_fma_f64 v[18:19], v[22:23], v[5:6], -v[18:19]
	;; [unrolled: 8-line block ×3, first 2 shown]
	v_fma_f64 v[5:6], v[28:29], v[5:6], v[7:8]
	v_add_f64 v[18:19], v[16:17], v[18:19]
	v_add_f64 v[20:21], v[14:15], v[5:6]
	ds_read_b128 v[5:8], v12 offset:64
	ds_read_b128 v[14:17], v10 offset:1024
	s_waitcnt lgkmcnt(0)
	v_mul_f64 v[22:23], v[7:8], v[16:17]
	v_fma_f64 v[22:23], v[5:6], v[14:15], -v[22:23]
	v_mul_f64 v[5:6], v[5:6], v[16:17]
	v_add_f64 v[18:19], v[18:19], v[22:23]
	v_fma_f64 v[5:6], v[7:8], v[14:15], v[5:6]
	v_add_f64 v[20:21], v[20:21], v[5:6]
	ds_read_b128 v[5:8], v12 offset:80
	ds_read_b128 v[14:17], v10 offset:1280
	s_waitcnt lgkmcnt(0)
	v_mul_f64 v[22:23], v[7:8], v[16:17]
	v_fma_f64 v[22:23], v[5:6], v[14:15], -v[22:23]
	v_mul_f64 v[5:6], v[5:6], v[16:17]
	v_add_f64 v[18:19], v[18:19], v[22:23]
	v_fma_f64 v[5:6], v[7:8], v[14:15], v[5:6]
	;; [unrolled: 9-line block ×11, first 2 shown]
	v_add_f64 v[20:21], v[20:21], v[5:6]
	ds_read_b128 v[5:8], v12 offset:240
	ds_read_b128 v[14:17], v10 offset:3840
	s_waitcnt lgkmcnt(0)
	s_barrier
	v_mul_f64 v[22:23], v[7:8], v[16:17]
	v_fma_f64 v[22:23], v[5:6], v[14:15], -v[22:23]
	v_mul_f64 v[5:6], v[5:6], v[16:17]
	v_fma_f64 v[7:8], v[7:8], v[14:15], v[5:6]
	v_add_f64 v[5:6], v[18:19], v[22:23]
	v_add_f64 v[7:8], v[20:21], v[7:8]
	s_cbranch_scc1 .LBB732_2
; %bb.3:
	v_cmp_le_i32_e32 vcc, v9, v2
	s_and_saveexec_b64 s[6:7], vcc
	s_cbranch_execz .LBB732_5
.LBB732_4:
	s_load_dword s4, s[4:5], 0x60
	v_mul_f64 v[0:1], s[2:3], v[7:8]
	v_mul_f64 v[10:11], s[0:1], v[7:8]
	v_ashrrev_i32_e32 v3, 31, v2
	s_waitcnt lgkmcnt(0)
	v_mov_b32_e32 v4, s11
	v_mad_i64_i32 v[12:13], s[4:5], s4, v9, 0
	v_fma_f64 v[7:8], s[0:1], v[5:6], -v[0:1]
	v_fma_f64 v[9:10], s[2:3], v[5:6], v[10:11]
	v_lshlrev_b64 v[0:1], 4, v[12:13]
	v_add_co_u32_e32 v5, vcc, s10, v0
	v_addc_co_u32_e32 v4, vcc, v4, v1, vcc
	v_lshlrev_b64 v[0:1], 4, v[2:3]
	v_add_co_u32_e32 v0, vcc, v5, v0
	v_addc_co_u32_e32 v1, vcc, v4, v1, vcc
	flat_store_dwordx4 v[0:1], v[7:10]
.LBB732_5:
	s_endpgm
.LBB732_6:
	v_mov_b32_e32 v7, 0
	v_mov_b32_e32 v5, 0
	;; [unrolled: 1-line block ×4, first 2 shown]
	v_cmp_le_i32_e32 vcc, v9, v2
	s_and_saveexec_b64 s[6:7], vcc
	s_cbranch_execnz .LBB732_4
	s_branch .LBB732_5
	.section	.rodata,"a",@progbits
	.p2align	6, 0x0
	.amdhsa_kernel _ZL41rocblas_syrkx_herkx_small_restrict_kernelIi19rocblas_complex_numIdELi16ELb1ELb0ELc67ELc76EKPKS1_KPS1_EviT_T0_PT6_S7_lSA_S7_lS8_PT7_S7_li
		.amdhsa_group_segment_fixed_size 8192
		.amdhsa_private_segment_fixed_size 0
		.amdhsa_kernarg_size 116
		.amdhsa_user_sgpr_count 6
		.amdhsa_user_sgpr_private_segment_buffer 1
		.amdhsa_user_sgpr_dispatch_ptr 0
		.amdhsa_user_sgpr_queue_ptr 0
		.amdhsa_user_sgpr_kernarg_segment_ptr 1
		.amdhsa_user_sgpr_dispatch_id 0
		.amdhsa_user_sgpr_flat_scratch_init 0
		.amdhsa_user_sgpr_private_segment_size 0
		.amdhsa_uses_dynamic_stack 0
		.amdhsa_system_sgpr_private_segment_wavefront_offset 0
		.amdhsa_system_sgpr_workgroup_id_x 1
		.amdhsa_system_sgpr_workgroup_id_y 1
		.amdhsa_system_sgpr_workgroup_id_z 1
		.amdhsa_system_sgpr_workgroup_info 0
		.amdhsa_system_vgpr_workitem_id 1
		.amdhsa_next_free_vgpr 36
		.amdhsa_next_free_sgpr 61
		.amdhsa_reserve_vcc 1
		.amdhsa_reserve_flat_scratch 0
		.amdhsa_float_round_mode_32 0
		.amdhsa_float_round_mode_16_64 0
		.amdhsa_float_denorm_mode_32 3
		.amdhsa_float_denorm_mode_16_64 3
		.amdhsa_dx10_clamp 1
		.amdhsa_ieee_mode 1
		.amdhsa_fp16_overflow 0
		.amdhsa_exception_fp_ieee_invalid_op 0
		.amdhsa_exception_fp_denorm_src 0
		.amdhsa_exception_fp_ieee_div_zero 0
		.amdhsa_exception_fp_ieee_overflow 0
		.amdhsa_exception_fp_ieee_underflow 0
		.amdhsa_exception_fp_ieee_inexact 0
		.amdhsa_exception_int_div_zero 0
	.end_amdhsa_kernel
	.section	.text._ZL41rocblas_syrkx_herkx_small_restrict_kernelIi19rocblas_complex_numIdELi16ELb1ELb0ELc67ELc76EKPKS1_KPS1_EviT_T0_PT6_S7_lSA_S7_lS8_PT7_S7_li,"axG",@progbits,_ZL41rocblas_syrkx_herkx_small_restrict_kernelIi19rocblas_complex_numIdELi16ELb1ELb0ELc67ELc76EKPKS1_KPS1_EviT_T0_PT6_S7_lSA_S7_lS8_PT7_S7_li,comdat
.Lfunc_end732:
	.size	_ZL41rocblas_syrkx_herkx_small_restrict_kernelIi19rocblas_complex_numIdELi16ELb1ELb0ELc67ELc76EKPKS1_KPS1_EviT_T0_PT6_S7_lSA_S7_lS8_PT7_S7_li, .Lfunc_end732-_ZL41rocblas_syrkx_herkx_small_restrict_kernelIi19rocblas_complex_numIdELi16ELb1ELb0ELc67ELc76EKPKS1_KPS1_EviT_T0_PT6_S7_lSA_S7_lS8_PT7_S7_li
                                        ; -- End function
	.set _ZL41rocblas_syrkx_herkx_small_restrict_kernelIi19rocblas_complex_numIdELi16ELb1ELb0ELc67ELc76EKPKS1_KPS1_EviT_T0_PT6_S7_lSA_S7_lS8_PT7_S7_li.num_vgpr, 36
	.set _ZL41rocblas_syrkx_herkx_small_restrict_kernelIi19rocblas_complex_numIdELi16ELb1ELb0ELc67ELc76EKPKS1_KPS1_EviT_T0_PT6_S7_lSA_S7_lS8_PT7_S7_li.num_agpr, 0
	.set _ZL41rocblas_syrkx_herkx_small_restrict_kernelIi19rocblas_complex_numIdELi16ELb1ELb0ELc67ELc76EKPKS1_KPS1_EviT_T0_PT6_S7_lSA_S7_lS8_PT7_S7_li.numbered_sgpr, 18
	.set _ZL41rocblas_syrkx_herkx_small_restrict_kernelIi19rocblas_complex_numIdELi16ELb1ELb0ELc67ELc76EKPKS1_KPS1_EviT_T0_PT6_S7_lSA_S7_lS8_PT7_S7_li.num_named_barrier, 0
	.set _ZL41rocblas_syrkx_herkx_small_restrict_kernelIi19rocblas_complex_numIdELi16ELb1ELb0ELc67ELc76EKPKS1_KPS1_EviT_T0_PT6_S7_lSA_S7_lS8_PT7_S7_li.private_seg_size, 0
	.set _ZL41rocblas_syrkx_herkx_small_restrict_kernelIi19rocblas_complex_numIdELi16ELb1ELb0ELc67ELc76EKPKS1_KPS1_EviT_T0_PT6_S7_lSA_S7_lS8_PT7_S7_li.uses_vcc, 1
	.set _ZL41rocblas_syrkx_herkx_small_restrict_kernelIi19rocblas_complex_numIdELi16ELb1ELb0ELc67ELc76EKPKS1_KPS1_EviT_T0_PT6_S7_lSA_S7_lS8_PT7_S7_li.uses_flat_scratch, 0
	.set _ZL41rocblas_syrkx_herkx_small_restrict_kernelIi19rocblas_complex_numIdELi16ELb1ELb0ELc67ELc76EKPKS1_KPS1_EviT_T0_PT6_S7_lSA_S7_lS8_PT7_S7_li.has_dyn_sized_stack, 0
	.set _ZL41rocblas_syrkx_herkx_small_restrict_kernelIi19rocblas_complex_numIdELi16ELb1ELb0ELc67ELc76EKPKS1_KPS1_EviT_T0_PT6_S7_lSA_S7_lS8_PT7_S7_li.has_recursion, 0
	.set _ZL41rocblas_syrkx_herkx_small_restrict_kernelIi19rocblas_complex_numIdELi16ELb1ELb0ELc67ELc76EKPKS1_KPS1_EviT_T0_PT6_S7_lSA_S7_lS8_PT7_S7_li.has_indirect_call, 0
	.section	.AMDGPU.csdata,"",@progbits
; Kernel info:
; codeLenInByte = 1588
; TotalNumSgprs: 22
; NumVgprs: 36
; ScratchSize: 0
; MemoryBound: 0
; FloatMode: 240
; IeeeMode: 1
; LDSByteSize: 8192 bytes/workgroup (compile time only)
; SGPRBlocks: 8
; VGPRBlocks: 8
; NumSGPRsForWavesPerEU: 65
; NumVGPRsForWavesPerEU: 36
; Occupancy: 7
; WaveLimiterHint : 1
; COMPUTE_PGM_RSRC2:SCRATCH_EN: 0
; COMPUTE_PGM_RSRC2:USER_SGPR: 6
; COMPUTE_PGM_RSRC2:TRAP_HANDLER: 0
; COMPUTE_PGM_RSRC2:TGID_X_EN: 1
; COMPUTE_PGM_RSRC2:TGID_Y_EN: 1
; COMPUTE_PGM_RSRC2:TGID_Z_EN: 1
; COMPUTE_PGM_RSRC2:TIDIG_COMP_CNT: 1
	.section	.text._ZL41rocblas_syrkx_herkx_small_restrict_kernelIi19rocblas_complex_numIdELi16ELb1ELb0ELc78ELc76EKPKS1_KPS1_EviT_T0_PT6_S7_lSA_S7_lS8_PT7_S7_li,"axG",@progbits,_ZL41rocblas_syrkx_herkx_small_restrict_kernelIi19rocblas_complex_numIdELi16ELb1ELb0ELc78ELc76EKPKS1_KPS1_EviT_T0_PT6_S7_lSA_S7_lS8_PT7_S7_li,comdat
	.globl	_ZL41rocblas_syrkx_herkx_small_restrict_kernelIi19rocblas_complex_numIdELi16ELb1ELb0ELc78ELc76EKPKS1_KPS1_EviT_T0_PT6_S7_lSA_S7_lS8_PT7_S7_li ; -- Begin function _ZL41rocblas_syrkx_herkx_small_restrict_kernelIi19rocblas_complex_numIdELi16ELb1ELb0ELc78ELc76EKPKS1_KPS1_EviT_T0_PT6_S7_lSA_S7_lS8_PT7_S7_li
	.p2align	8
	.type	_ZL41rocblas_syrkx_herkx_small_restrict_kernelIi19rocblas_complex_numIdELi16ELb1ELb0ELc78ELc76EKPKS1_KPS1_EviT_T0_PT6_S7_lSA_S7_lS8_PT7_S7_li,@function
_ZL41rocblas_syrkx_herkx_small_restrict_kernelIi19rocblas_complex_numIdELi16ELb1ELb0ELc78ELc76EKPKS1_KPS1_EviT_T0_PT6_S7_lSA_S7_lS8_PT7_S7_li: ; @_ZL41rocblas_syrkx_herkx_small_restrict_kernelIi19rocblas_complex_numIdELi16ELb1ELb0ELc78ELc76EKPKS1_KPS1_EviT_T0_PT6_S7_lSA_S7_lS8_PT7_S7_li
; %bb.0:
	s_load_dwordx2 s[12:13], s[4:5], 0x18
	s_load_dwordx2 s[10:11], s[4:5], 0x58
	s_load_dword s16, s[4:5], 0x4
	s_load_dwordx4 s[0:3], s[4:5], 0x8
	s_mov_b32 s9, 0
	s_lshl_b64 s[14:15], s[8:9], 3
	s_waitcnt lgkmcnt(0)
	s_add_u32 s10, s10, s14
	s_addc_u32 s11, s11, s15
	s_load_dwordx2 s[10:11], s[10:11], 0x0
	v_lshl_add_u32 v2, s6, 4, v0
	v_lshl_add_u32 v4, s7, 4, v1
	s_cmp_lt_i32 s16, 1
	v_ashrrev_i32_e32 v3, 31, v2
	s_cbranch_scc1 .LBB733_6
; %bb.1:
	s_load_dword s18, s[4:5], 0x20
	s_load_dword s6, s[4:5], 0x38
	s_load_dwordx2 s[20:21], s[4:5], 0x30
	v_lshlrev_b32_e32 v8, 8, v1
	v_lshlrev_b32_e32 v11, 4, v0
	s_waitcnt lgkmcnt(0)
	s_ashr_i32 s19, s18, 31
	s_ashr_i32 s7, s6, 31
	s_add_u32 s20, s20, s14
	s_addc_u32 s21, s21, s15
	s_add_u32 s12, s12, s14
	s_addc_u32 s13, s13, s15
	v_mad_i64_i32 v[6:7], s[14:15], s6, v0, 0
	v_ashrrev_i32_e32 v5, 31, v4
	s_load_dwordx2 s[20:21], s[20:21], 0x0
	v_add_u32_e32 v12, v11, v8
	v_add_u32_e32 v13, 0x1000, v8
	v_lshlrev_b64 v[6:7], 4, v[6:7]
	v_lshlrev_b64 v[8:9], 4, v[4:5]
	s_load_dwordx2 s[12:13], s[12:13], 0x0
	v_add_co_u32_e32 v0, vcc, v6, v8
	v_mad_i64_i32 v[5:6], s[14:15], s18, v1, 0
	v_addc_co_u32_e32 v7, vcc, v7, v9, vcc
	s_waitcnt lgkmcnt(0)
	v_mov_b32_e32 v8, s21
	v_add_co_u32_e32 v0, vcc, s20, v0
	v_addc_co_u32_e32 v1, vcc, v8, v7, vcc
	v_lshlrev_b64 v[5:6], 4, v[5:6]
	v_lshlrev_b64 v[7:8], 4, v[2:3]
	s_lshl_b64 s[6:7], s[6:7], 8
	v_add_co_u32_e32 v5, vcc, v5, v7
	v_addc_co_u32_e32 v6, vcc, v6, v8, vcc
	v_mov_b32_e32 v7, s13
	v_add_co_u32_e32 v5, vcc, s12, v5
	v_addc_co_u32_e32 v6, vcc, v7, v6, vcc
	s_lshl_b64 s[12:13], s[18:19], 8
	v_mov_b32_e32 v9, 0
	v_mov_b32_e32 v7, 0
	;; [unrolled: 1-line block ×6, first 2 shown]
.LBB733_2:                              ; =>This Inner Loop Header: Depth=1
	flat_load_dwordx4 v[16:19], v[5:6]
	v_add_u32_e32 v20, v13, v11
	s_add_i32 s9, s9, 16
	s_cmp_lt_i32 s9, s16
	s_waitcnt vmcnt(0) lgkmcnt(0)
	ds_write2_b64 v12, v[16:17], v[18:19] offset1:1
	flat_load_dwordx4 v[16:19], v[0:1]
	v_add_co_u32_e32 v0, vcc, s6, v0
	v_addc_co_u32_e32 v1, vcc, v1, v14, vcc
	v_add_co_u32_e32 v5, vcc, s12, v5
	v_addc_co_u32_e32 v6, vcc, v6, v15, vcc
	s_waitcnt vmcnt(0) lgkmcnt(0)
	ds_write_b128 v20, v[16:19]
	s_waitcnt lgkmcnt(0)
	s_barrier
	ds_read_b128 v[16:19], v13
	ds_read_b128 v[20:23], v13 offset:16
	ds_read_b128 v[24:27], v13 offset:32
	;; [unrolled: 1-line block ×3, first 2 shown]
	ds_read_b128 v[32:35], v11
	s_waitcnt lgkmcnt(0)
	v_mul_f64 v[36:37], v[18:19], v[34:35]
	v_fma_f64 v[36:37], v[16:17], v[32:33], -v[36:37]
	v_mul_f64 v[16:17], v[16:17], v[34:35]
	v_fma_f64 v[16:17], v[18:19], v[32:33], v[16:17]
	v_add_f64 v[18:19], v[7:8], v[36:37]
	v_add_f64 v[16:17], v[9:10], v[16:17]
	ds_read_b128 v[7:10], v11 offset:256
	s_waitcnt lgkmcnt(0)
	v_mul_f64 v[32:33], v[22:23], v[9:10]
	v_mul_f64 v[9:10], v[20:21], v[9:10]
	v_fma_f64 v[32:33], v[20:21], v[7:8], -v[32:33]
	v_fma_f64 v[7:8], v[22:23], v[7:8], v[9:10]
	v_add_f64 v[18:19], v[18:19], v[32:33]
	v_add_f64 v[16:17], v[16:17], v[7:8]
	ds_read_b128 v[7:10], v11 offset:512
	s_waitcnt lgkmcnt(0)
	v_mul_f64 v[20:21], v[26:27], v[9:10]
	v_mul_f64 v[9:10], v[24:25], v[9:10]
	v_fma_f64 v[20:21], v[24:25], v[7:8], -v[20:21]
	;; [unrolled: 8-line block ×3, first 2 shown]
	v_fma_f64 v[7:8], v[30:31], v[7:8], v[9:10]
	v_add_f64 v[20:21], v[18:19], v[20:21]
	v_add_f64 v[22:23], v[16:17], v[7:8]
	ds_read_b128 v[7:10], v13 offset:64
	ds_read_b128 v[16:19], v11 offset:1024
	s_waitcnt lgkmcnt(0)
	v_mul_f64 v[24:25], v[9:10], v[18:19]
	v_fma_f64 v[24:25], v[7:8], v[16:17], -v[24:25]
	v_mul_f64 v[7:8], v[7:8], v[18:19]
	v_add_f64 v[20:21], v[20:21], v[24:25]
	v_fma_f64 v[7:8], v[9:10], v[16:17], v[7:8]
	v_add_f64 v[22:23], v[22:23], v[7:8]
	ds_read_b128 v[7:10], v13 offset:80
	ds_read_b128 v[16:19], v11 offset:1280
	s_waitcnt lgkmcnt(0)
	v_mul_f64 v[24:25], v[9:10], v[18:19]
	v_fma_f64 v[24:25], v[7:8], v[16:17], -v[24:25]
	v_mul_f64 v[7:8], v[7:8], v[18:19]
	v_add_f64 v[20:21], v[20:21], v[24:25]
	v_fma_f64 v[7:8], v[9:10], v[16:17], v[7:8]
	;; [unrolled: 9-line block ×11, first 2 shown]
	v_add_f64 v[22:23], v[22:23], v[7:8]
	ds_read_b128 v[7:10], v13 offset:240
	ds_read_b128 v[16:19], v11 offset:3840
	s_waitcnt lgkmcnt(0)
	s_barrier
	v_mul_f64 v[24:25], v[9:10], v[18:19]
	v_fma_f64 v[24:25], v[7:8], v[16:17], -v[24:25]
	v_mul_f64 v[7:8], v[7:8], v[18:19]
	v_fma_f64 v[9:10], v[9:10], v[16:17], v[7:8]
	v_add_f64 v[7:8], v[20:21], v[24:25]
	v_add_f64 v[9:10], v[22:23], v[9:10]
	s_cbranch_scc1 .LBB733_2
; %bb.3:
	v_cmp_le_i32_e32 vcc, v4, v2
	s_and_saveexec_b64 s[6:7], vcc
	s_cbranch_execz .LBB733_5
.LBB733_4:
	s_load_dword s4, s[4:5], 0x60
	v_mul_f64 v[0:1], s[2:3], v[9:10]
	v_mul_f64 v[9:10], s[0:1], v[9:10]
	s_waitcnt lgkmcnt(0)
	v_mov_b32_e32 v13, s11
	v_mad_i64_i32 v[11:12], s[4:5], s4, v4, 0
	v_fma_f64 v[4:5], s[0:1], v[7:8], -v[0:1]
	v_fma_f64 v[6:7], s[2:3], v[7:8], v[9:10]
	v_lshlrev_b64 v[0:1], 4, v[11:12]
	v_add_co_u32_e32 v8, vcc, s10, v0
	v_addc_co_u32_e32 v9, vcc, v13, v1, vcc
	v_lshlrev_b64 v[0:1], 4, v[2:3]
	v_add_co_u32_e32 v0, vcc, v8, v0
	v_addc_co_u32_e32 v1, vcc, v9, v1, vcc
	flat_store_dwordx4 v[0:1], v[4:7]
.LBB733_5:
	s_endpgm
.LBB733_6:
	v_mov_b32_e32 v9, 0
	v_mov_b32_e32 v7, 0
	;; [unrolled: 1-line block ×4, first 2 shown]
	v_cmp_le_i32_e32 vcc, v4, v2
	s_and_saveexec_b64 s[6:7], vcc
	s_cbranch_execnz .LBB733_4
	s_branch .LBB733_5
	.section	.rodata,"a",@progbits
	.p2align	6, 0x0
	.amdhsa_kernel _ZL41rocblas_syrkx_herkx_small_restrict_kernelIi19rocblas_complex_numIdELi16ELb1ELb0ELc78ELc76EKPKS1_KPS1_EviT_T0_PT6_S7_lSA_S7_lS8_PT7_S7_li
		.amdhsa_group_segment_fixed_size 8192
		.amdhsa_private_segment_fixed_size 0
		.amdhsa_kernarg_size 116
		.amdhsa_user_sgpr_count 6
		.amdhsa_user_sgpr_private_segment_buffer 1
		.amdhsa_user_sgpr_dispatch_ptr 0
		.amdhsa_user_sgpr_queue_ptr 0
		.amdhsa_user_sgpr_kernarg_segment_ptr 1
		.amdhsa_user_sgpr_dispatch_id 0
		.amdhsa_user_sgpr_flat_scratch_init 0
		.amdhsa_user_sgpr_private_segment_size 0
		.amdhsa_uses_dynamic_stack 0
		.amdhsa_system_sgpr_private_segment_wavefront_offset 0
		.amdhsa_system_sgpr_workgroup_id_x 1
		.amdhsa_system_sgpr_workgroup_id_y 1
		.amdhsa_system_sgpr_workgroup_id_z 1
		.amdhsa_system_sgpr_workgroup_info 0
		.amdhsa_system_vgpr_workitem_id 1
		.amdhsa_next_free_vgpr 38
		.amdhsa_next_free_sgpr 61
		.amdhsa_reserve_vcc 1
		.amdhsa_reserve_flat_scratch 0
		.amdhsa_float_round_mode_32 0
		.amdhsa_float_round_mode_16_64 0
		.amdhsa_float_denorm_mode_32 3
		.amdhsa_float_denorm_mode_16_64 3
		.amdhsa_dx10_clamp 1
		.amdhsa_ieee_mode 1
		.amdhsa_fp16_overflow 0
		.amdhsa_exception_fp_ieee_invalid_op 0
		.amdhsa_exception_fp_denorm_src 0
		.amdhsa_exception_fp_ieee_div_zero 0
		.amdhsa_exception_fp_ieee_overflow 0
		.amdhsa_exception_fp_ieee_underflow 0
		.amdhsa_exception_fp_ieee_inexact 0
		.amdhsa_exception_int_div_zero 0
	.end_amdhsa_kernel
	.section	.text._ZL41rocblas_syrkx_herkx_small_restrict_kernelIi19rocblas_complex_numIdELi16ELb1ELb0ELc78ELc76EKPKS1_KPS1_EviT_T0_PT6_S7_lSA_S7_lS8_PT7_S7_li,"axG",@progbits,_ZL41rocblas_syrkx_herkx_small_restrict_kernelIi19rocblas_complex_numIdELi16ELb1ELb0ELc78ELc76EKPKS1_KPS1_EviT_T0_PT6_S7_lSA_S7_lS8_PT7_S7_li,comdat
.Lfunc_end733:
	.size	_ZL41rocblas_syrkx_herkx_small_restrict_kernelIi19rocblas_complex_numIdELi16ELb1ELb0ELc78ELc76EKPKS1_KPS1_EviT_T0_PT6_S7_lSA_S7_lS8_PT7_S7_li, .Lfunc_end733-_ZL41rocblas_syrkx_herkx_small_restrict_kernelIi19rocblas_complex_numIdELi16ELb1ELb0ELc78ELc76EKPKS1_KPS1_EviT_T0_PT6_S7_lSA_S7_lS8_PT7_S7_li
                                        ; -- End function
	.set _ZL41rocblas_syrkx_herkx_small_restrict_kernelIi19rocblas_complex_numIdELi16ELb1ELb0ELc78ELc76EKPKS1_KPS1_EviT_T0_PT6_S7_lSA_S7_lS8_PT7_S7_li.num_vgpr, 38
	.set _ZL41rocblas_syrkx_herkx_small_restrict_kernelIi19rocblas_complex_numIdELi16ELb1ELb0ELc78ELc76EKPKS1_KPS1_EviT_T0_PT6_S7_lSA_S7_lS8_PT7_S7_li.num_agpr, 0
	.set _ZL41rocblas_syrkx_herkx_small_restrict_kernelIi19rocblas_complex_numIdELi16ELb1ELb0ELc78ELc76EKPKS1_KPS1_EviT_T0_PT6_S7_lSA_S7_lS8_PT7_S7_li.numbered_sgpr, 22
	.set _ZL41rocblas_syrkx_herkx_small_restrict_kernelIi19rocblas_complex_numIdELi16ELb1ELb0ELc78ELc76EKPKS1_KPS1_EviT_T0_PT6_S7_lSA_S7_lS8_PT7_S7_li.num_named_barrier, 0
	.set _ZL41rocblas_syrkx_herkx_small_restrict_kernelIi19rocblas_complex_numIdELi16ELb1ELb0ELc78ELc76EKPKS1_KPS1_EviT_T0_PT6_S7_lSA_S7_lS8_PT7_S7_li.private_seg_size, 0
	.set _ZL41rocblas_syrkx_herkx_small_restrict_kernelIi19rocblas_complex_numIdELi16ELb1ELb0ELc78ELc76EKPKS1_KPS1_EviT_T0_PT6_S7_lSA_S7_lS8_PT7_S7_li.uses_vcc, 1
	.set _ZL41rocblas_syrkx_herkx_small_restrict_kernelIi19rocblas_complex_numIdELi16ELb1ELb0ELc78ELc76EKPKS1_KPS1_EviT_T0_PT6_S7_lSA_S7_lS8_PT7_S7_li.uses_flat_scratch, 0
	.set _ZL41rocblas_syrkx_herkx_small_restrict_kernelIi19rocblas_complex_numIdELi16ELb1ELb0ELc78ELc76EKPKS1_KPS1_EviT_T0_PT6_S7_lSA_S7_lS8_PT7_S7_li.has_dyn_sized_stack, 0
	.set _ZL41rocblas_syrkx_herkx_small_restrict_kernelIi19rocblas_complex_numIdELi16ELb1ELb0ELc78ELc76EKPKS1_KPS1_EviT_T0_PT6_S7_lSA_S7_lS8_PT7_S7_li.has_recursion, 0
	.set _ZL41rocblas_syrkx_herkx_small_restrict_kernelIi19rocblas_complex_numIdELi16ELb1ELb0ELc78ELc76EKPKS1_KPS1_EviT_T0_PT6_S7_lSA_S7_lS8_PT7_S7_li.has_indirect_call, 0
	.section	.AMDGPU.csdata,"",@progbits
; Kernel info:
; codeLenInByte = 1620
; TotalNumSgprs: 26
; NumVgprs: 38
; ScratchSize: 0
; MemoryBound: 0
; FloatMode: 240
; IeeeMode: 1
; LDSByteSize: 8192 bytes/workgroup (compile time only)
; SGPRBlocks: 8
; VGPRBlocks: 9
; NumSGPRsForWavesPerEU: 65
; NumVGPRsForWavesPerEU: 38
; Occupancy: 6
; WaveLimiterHint : 1
; COMPUTE_PGM_RSRC2:SCRATCH_EN: 0
; COMPUTE_PGM_RSRC2:USER_SGPR: 6
; COMPUTE_PGM_RSRC2:TRAP_HANDLER: 0
; COMPUTE_PGM_RSRC2:TGID_X_EN: 1
; COMPUTE_PGM_RSRC2:TGID_Y_EN: 1
; COMPUTE_PGM_RSRC2:TGID_Z_EN: 1
; COMPUTE_PGM_RSRC2:TIDIG_COMP_CNT: 1
	.section	.text._ZL41rocblas_syrkx_herkx_small_restrict_kernelIi19rocblas_complex_numIdELi16ELb1ELb0ELc84ELc85EKPKS1_KPS1_EviT_T0_PT6_S7_lSA_S7_lS8_PT7_S7_li,"axG",@progbits,_ZL41rocblas_syrkx_herkx_small_restrict_kernelIi19rocblas_complex_numIdELi16ELb1ELb0ELc84ELc85EKPKS1_KPS1_EviT_T0_PT6_S7_lSA_S7_lS8_PT7_S7_li,comdat
	.globl	_ZL41rocblas_syrkx_herkx_small_restrict_kernelIi19rocblas_complex_numIdELi16ELb1ELb0ELc84ELc85EKPKS1_KPS1_EviT_T0_PT6_S7_lSA_S7_lS8_PT7_S7_li ; -- Begin function _ZL41rocblas_syrkx_herkx_small_restrict_kernelIi19rocblas_complex_numIdELi16ELb1ELb0ELc84ELc85EKPKS1_KPS1_EviT_T0_PT6_S7_lSA_S7_lS8_PT7_S7_li
	.p2align	8
	.type	_ZL41rocblas_syrkx_herkx_small_restrict_kernelIi19rocblas_complex_numIdELi16ELb1ELb0ELc84ELc85EKPKS1_KPS1_EviT_T0_PT6_S7_lSA_S7_lS8_PT7_S7_li,@function
_ZL41rocblas_syrkx_herkx_small_restrict_kernelIi19rocblas_complex_numIdELi16ELb1ELb0ELc84ELc85EKPKS1_KPS1_EviT_T0_PT6_S7_lSA_S7_lS8_PT7_S7_li: ; @_ZL41rocblas_syrkx_herkx_small_restrict_kernelIi19rocblas_complex_numIdELi16ELb1ELb0ELc84ELc85EKPKS1_KPS1_EviT_T0_PT6_S7_lSA_S7_lS8_PT7_S7_li
; %bb.0:
	s_load_dwordx2 s[12:13], s[4:5], 0x18
	s_load_dwordx2 s[10:11], s[4:5], 0x58
	s_load_dword s16, s[4:5], 0x4
	s_load_dwordx4 s[0:3], s[4:5], 0x8
	s_mov_b32 s9, 0
	s_lshl_b64 s[14:15], s[8:9], 3
	s_waitcnt lgkmcnt(0)
	s_add_u32 s10, s10, s14
	s_addc_u32 s11, s11, s15
	s_load_dwordx2 s[10:11], s[10:11], 0x0
	v_lshl_add_u32 v2, s6, 4, v0
	s_cmp_lt_i32 s16, 1
	v_lshl_add_u32 v9, s7, 4, v1
	s_cbranch_scc1 .LBB734_6
; %bb.1:
	s_load_dwordx2 s[6:7], s[4:5], 0x30
	s_load_dword s8, s[4:5], 0x20
	s_load_dword s17, s[4:5], 0x38
	v_lshlrev_b32_e32 v5, 8, v1
	v_lshlrev_b32_e32 v10, 4, v0
	s_waitcnt lgkmcnt(0)
	s_add_u32 s6, s6, s14
	s_addc_u32 s7, s7, s15
	s_add_u32 s12, s12, s14
	s_addc_u32 s13, s13, s15
	v_mad_i64_i32 v[3:4], s[14:15], s17, v9, 0
	s_load_dwordx2 s[6:7], s[6:7], 0x0
	v_add_u32_e32 v11, v10, v5
	v_add_u32_e32 v12, 0x1000, v5
	v_lshlrev_b64 v[3:4], 4, v[3:4]
	v_mad_i64_i32 v[5:6], s[14:15], s8, v2, 0
	v_add_co_u32_e32 v0, vcc, v3, v10
	s_load_dwordx2 s[12:13], s[12:13], 0x0
	v_addc_co_u32_e32 v4, vcc, 0, v4, vcc
	s_waitcnt lgkmcnt(0)
	v_mov_b32_e32 v7, s7
	v_add_co_u32_e32 v3, vcc, s6, v0
	v_lshlrev_b64 v[5:6], 4, v[5:6]
	v_addc_co_u32_e32 v4, vcc, v7, v4, vcc
	v_lshlrev_b32_e32 v0, 4, v1
	v_add_co_u32_e32 v0, vcc, v5, v0
	v_addc_co_u32_e32 v1, vcc, 0, v6, vcc
	v_mov_b32_e32 v14, s13
	v_mov_b32_e32 v7, 0
	;; [unrolled: 1-line block ×3, first 2 shown]
	v_add_co_u32_e32 v0, vcc, s12, v0
	v_add_u32_e32 v13, v12, v10
	v_mov_b32_e32 v8, 0
	v_mov_b32_e32 v6, 0
	v_addc_co_u32_e32 v1, vcc, v14, v1, vcc
.LBB734_2:                              ; =>This Inner Loop Header: Depth=1
	flat_load_dwordx4 v[14:17], v[0:1]
	s_add_i32 s9, s9, 16
	s_cmp_lt_i32 s9, s16
	s_waitcnt vmcnt(0) lgkmcnt(0)
	ds_write2_b64 v11, v[14:15], v[16:17] offset1:1
	flat_load_dwordx4 v[14:17], v[3:4]
	v_add_co_u32_e32 v3, vcc, 0x100, v3
	v_addc_co_u32_e32 v4, vcc, 0, v4, vcc
	v_add_co_u32_e32 v0, vcc, 0x100, v0
	v_addc_co_u32_e32 v1, vcc, 0, v1, vcc
	s_waitcnt vmcnt(0) lgkmcnt(0)
	ds_write2_b64 v13, v[14:15], v[16:17] offset1:1
	s_waitcnt lgkmcnt(0)
	s_barrier
	ds_read_b128 v[14:17], v12
	ds_read_b128 v[18:21], v12 offset:16
	ds_read_b128 v[22:25], v12 offset:32
	;; [unrolled: 1-line block ×3, first 2 shown]
	ds_read_b128 v[30:33], v10
	s_waitcnt lgkmcnt(0)
	v_mul_f64 v[34:35], v[16:17], v[32:33]
	v_fma_f64 v[34:35], v[14:15], v[30:31], -v[34:35]
	v_mul_f64 v[14:15], v[14:15], v[32:33]
	v_fma_f64 v[14:15], v[16:17], v[30:31], v[14:15]
	v_add_f64 v[16:17], v[5:6], v[34:35]
	v_add_f64 v[14:15], v[7:8], v[14:15]
	ds_read_b128 v[5:8], v10 offset:256
	s_waitcnt lgkmcnt(0)
	v_mul_f64 v[30:31], v[20:21], v[7:8]
	v_mul_f64 v[7:8], v[18:19], v[7:8]
	v_fma_f64 v[30:31], v[18:19], v[5:6], -v[30:31]
	v_fma_f64 v[5:6], v[20:21], v[5:6], v[7:8]
	v_add_f64 v[16:17], v[16:17], v[30:31]
	v_add_f64 v[14:15], v[14:15], v[5:6]
	ds_read_b128 v[5:8], v10 offset:512
	s_waitcnt lgkmcnt(0)
	v_mul_f64 v[18:19], v[24:25], v[7:8]
	v_mul_f64 v[7:8], v[22:23], v[7:8]
	v_fma_f64 v[18:19], v[22:23], v[5:6], -v[18:19]
	;; [unrolled: 8-line block ×3, first 2 shown]
	v_fma_f64 v[5:6], v[28:29], v[5:6], v[7:8]
	v_add_f64 v[18:19], v[16:17], v[18:19]
	v_add_f64 v[20:21], v[14:15], v[5:6]
	ds_read_b128 v[5:8], v12 offset:64
	ds_read_b128 v[14:17], v10 offset:1024
	s_waitcnt lgkmcnt(0)
	v_mul_f64 v[22:23], v[7:8], v[16:17]
	v_fma_f64 v[22:23], v[5:6], v[14:15], -v[22:23]
	v_mul_f64 v[5:6], v[5:6], v[16:17]
	v_add_f64 v[18:19], v[18:19], v[22:23]
	v_fma_f64 v[5:6], v[7:8], v[14:15], v[5:6]
	v_add_f64 v[20:21], v[20:21], v[5:6]
	ds_read_b128 v[5:8], v12 offset:80
	ds_read_b128 v[14:17], v10 offset:1280
	s_waitcnt lgkmcnt(0)
	v_mul_f64 v[22:23], v[7:8], v[16:17]
	v_fma_f64 v[22:23], v[5:6], v[14:15], -v[22:23]
	v_mul_f64 v[5:6], v[5:6], v[16:17]
	v_add_f64 v[18:19], v[18:19], v[22:23]
	v_fma_f64 v[5:6], v[7:8], v[14:15], v[5:6]
	;; [unrolled: 9-line block ×11, first 2 shown]
	v_add_f64 v[20:21], v[20:21], v[5:6]
	ds_read_b128 v[5:8], v12 offset:240
	ds_read_b128 v[14:17], v10 offset:3840
	s_waitcnt lgkmcnt(0)
	s_barrier
	v_mul_f64 v[22:23], v[7:8], v[16:17]
	v_fma_f64 v[22:23], v[5:6], v[14:15], -v[22:23]
	v_mul_f64 v[5:6], v[5:6], v[16:17]
	v_fma_f64 v[7:8], v[7:8], v[14:15], v[5:6]
	v_add_f64 v[5:6], v[18:19], v[22:23]
	v_add_f64 v[7:8], v[20:21], v[7:8]
	s_cbranch_scc1 .LBB734_2
; %bb.3:
	v_cmp_le_i32_e32 vcc, v2, v9
	s_and_saveexec_b64 s[6:7], vcc
	s_cbranch_execz .LBB734_5
.LBB734_4:
	s_load_dword s4, s[4:5], 0x60
	v_mul_f64 v[0:1], s[2:3], v[7:8]
	v_mul_f64 v[10:11], s[0:1], v[7:8]
	v_ashrrev_i32_e32 v3, 31, v2
	s_waitcnt lgkmcnt(0)
	v_mov_b32_e32 v4, s11
	v_mad_i64_i32 v[12:13], s[4:5], s4, v9, 0
	v_fma_f64 v[7:8], s[0:1], v[5:6], -v[0:1]
	v_fma_f64 v[9:10], s[2:3], v[5:6], v[10:11]
	v_lshlrev_b64 v[0:1], 4, v[12:13]
	v_add_co_u32_e32 v5, vcc, s10, v0
	v_addc_co_u32_e32 v4, vcc, v4, v1, vcc
	v_lshlrev_b64 v[0:1], 4, v[2:3]
	v_add_co_u32_e32 v0, vcc, v5, v0
	v_addc_co_u32_e32 v1, vcc, v4, v1, vcc
	flat_store_dwordx4 v[0:1], v[7:10]
.LBB734_5:
	s_endpgm
.LBB734_6:
	v_mov_b32_e32 v7, 0
	v_mov_b32_e32 v5, 0
	;; [unrolled: 1-line block ×4, first 2 shown]
	v_cmp_le_i32_e32 vcc, v2, v9
	s_and_saveexec_b64 s[6:7], vcc
	s_cbranch_execnz .LBB734_4
	s_branch .LBB734_5
	.section	.rodata,"a",@progbits
	.p2align	6, 0x0
	.amdhsa_kernel _ZL41rocblas_syrkx_herkx_small_restrict_kernelIi19rocblas_complex_numIdELi16ELb1ELb0ELc84ELc85EKPKS1_KPS1_EviT_T0_PT6_S7_lSA_S7_lS8_PT7_S7_li
		.amdhsa_group_segment_fixed_size 8192
		.amdhsa_private_segment_fixed_size 0
		.amdhsa_kernarg_size 116
		.amdhsa_user_sgpr_count 6
		.amdhsa_user_sgpr_private_segment_buffer 1
		.amdhsa_user_sgpr_dispatch_ptr 0
		.amdhsa_user_sgpr_queue_ptr 0
		.amdhsa_user_sgpr_kernarg_segment_ptr 1
		.amdhsa_user_sgpr_dispatch_id 0
		.amdhsa_user_sgpr_flat_scratch_init 0
		.amdhsa_user_sgpr_private_segment_size 0
		.amdhsa_uses_dynamic_stack 0
		.amdhsa_system_sgpr_private_segment_wavefront_offset 0
		.amdhsa_system_sgpr_workgroup_id_x 1
		.amdhsa_system_sgpr_workgroup_id_y 1
		.amdhsa_system_sgpr_workgroup_id_z 1
		.amdhsa_system_sgpr_workgroup_info 0
		.amdhsa_system_vgpr_workitem_id 1
		.amdhsa_next_free_vgpr 36
		.amdhsa_next_free_sgpr 61
		.amdhsa_reserve_vcc 1
		.amdhsa_reserve_flat_scratch 0
		.amdhsa_float_round_mode_32 0
		.amdhsa_float_round_mode_16_64 0
		.amdhsa_float_denorm_mode_32 3
		.amdhsa_float_denorm_mode_16_64 3
		.amdhsa_dx10_clamp 1
		.amdhsa_ieee_mode 1
		.amdhsa_fp16_overflow 0
		.amdhsa_exception_fp_ieee_invalid_op 0
		.amdhsa_exception_fp_denorm_src 0
		.amdhsa_exception_fp_ieee_div_zero 0
		.amdhsa_exception_fp_ieee_overflow 0
		.amdhsa_exception_fp_ieee_underflow 0
		.amdhsa_exception_fp_ieee_inexact 0
		.amdhsa_exception_int_div_zero 0
	.end_amdhsa_kernel
	.section	.text._ZL41rocblas_syrkx_herkx_small_restrict_kernelIi19rocblas_complex_numIdELi16ELb1ELb0ELc84ELc85EKPKS1_KPS1_EviT_T0_PT6_S7_lSA_S7_lS8_PT7_S7_li,"axG",@progbits,_ZL41rocblas_syrkx_herkx_small_restrict_kernelIi19rocblas_complex_numIdELi16ELb1ELb0ELc84ELc85EKPKS1_KPS1_EviT_T0_PT6_S7_lSA_S7_lS8_PT7_S7_li,comdat
.Lfunc_end734:
	.size	_ZL41rocblas_syrkx_herkx_small_restrict_kernelIi19rocblas_complex_numIdELi16ELb1ELb0ELc84ELc85EKPKS1_KPS1_EviT_T0_PT6_S7_lSA_S7_lS8_PT7_S7_li, .Lfunc_end734-_ZL41rocblas_syrkx_herkx_small_restrict_kernelIi19rocblas_complex_numIdELi16ELb1ELb0ELc84ELc85EKPKS1_KPS1_EviT_T0_PT6_S7_lSA_S7_lS8_PT7_S7_li
                                        ; -- End function
	.set _ZL41rocblas_syrkx_herkx_small_restrict_kernelIi19rocblas_complex_numIdELi16ELb1ELb0ELc84ELc85EKPKS1_KPS1_EviT_T0_PT6_S7_lSA_S7_lS8_PT7_S7_li.num_vgpr, 36
	.set _ZL41rocblas_syrkx_herkx_small_restrict_kernelIi19rocblas_complex_numIdELi16ELb1ELb0ELc84ELc85EKPKS1_KPS1_EviT_T0_PT6_S7_lSA_S7_lS8_PT7_S7_li.num_agpr, 0
	.set _ZL41rocblas_syrkx_herkx_small_restrict_kernelIi19rocblas_complex_numIdELi16ELb1ELb0ELc84ELc85EKPKS1_KPS1_EviT_T0_PT6_S7_lSA_S7_lS8_PT7_S7_li.numbered_sgpr, 18
	.set _ZL41rocblas_syrkx_herkx_small_restrict_kernelIi19rocblas_complex_numIdELi16ELb1ELb0ELc84ELc85EKPKS1_KPS1_EviT_T0_PT6_S7_lSA_S7_lS8_PT7_S7_li.num_named_barrier, 0
	.set _ZL41rocblas_syrkx_herkx_small_restrict_kernelIi19rocblas_complex_numIdELi16ELb1ELb0ELc84ELc85EKPKS1_KPS1_EviT_T0_PT6_S7_lSA_S7_lS8_PT7_S7_li.private_seg_size, 0
	.set _ZL41rocblas_syrkx_herkx_small_restrict_kernelIi19rocblas_complex_numIdELi16ELb1ELb0ELc84ELc85EKPKS1_KPS1_EviT_T0_PT6_S7_lSA_S7_lS8_PT7_S7_li.uses_vcc, 1
	.set _ZL41rocblas_syrkx_herkx_small_restrict_kernelIi19rocblas_complex_numIdELi16ELb1ELb0ELc84ELc85EKPKS1_KPS1_EviT_T0_PT6_S7_lSA_S7_lS8_PT7_S7_li.uses_flat_scratch, 0
	.set _ZL41rocblas_syrkx_herkx_small_restrict_kernelIi19rocblas_complex_numIdELi16ELb1ELb0ELc84ELc85EKPKS1_KPS1_EviT_T0_PT6_S7_lSA_S7_lS8_PT7_S7_li.has_dyn_sized_stack, 0
	.set _ZL41rocblas_syrkx_herkx_small_restrict_kernelIi19rocblas_complex_numIdELi16ELb1ELb0ELc84ELc85EKPKS1_KPS1_EviT_T0_PT6_S7_lSA_S7_lS8_PT7_S7_li.has_recursion, 0
	.set _ZL41rocblas_syrkx_herkx_small_restrict_kernelIi19rocblas_complex_numIdELi16ELb1ELb0ELc84ELc85EKPKS1_KPS1_EviT_T0_PT6_S7_lSA_S7_lS8_PT7_S7_li.has_indirect_call, 0
	.section	.AMDGPU.csdata,"",@progbits
; Kernel info:
; codeLenInByte = 1588
; TotalNumSgprs: 22
; NumVgprs: 36
; ScratchSize: 0
; MemoryBound: 0
; FloatMode: 240
; IeeeMode: 1
; LDSByteSize: 8192 bytes/workgroup (compile time only)
; SGPRBlocks: 8
; VGPRBlocks: 8
; NumSGPRsForWavesPerEU: 65
; NumVGPRsForWavesPerEU: 36
; Occupancy: 7
; WaveLimiterHint : 1
; COMPUTE_PGM_RSRC2:SCRATCH_EN: 0
; COMPUTE_PGM_RSRC2:USER_SGPR: 6
; COMPUTE_PGM_RSRC2:TRAP_HANDLER: 0
; COMPUTE_PGM_RSRC2:TGID_X_EN: 1
; COMPUTE_PGM_RSRC2:TGID_Y_EN: 1
; COMPUTE_PGM_RSRC2:TGID_Z_EN: 1
; COMPUTE_PGM_RSRC2:TIDIG_COMP_CNT: 1
	.section	.text._ZL41rocblas_syrkx_herkx_small_restrict_kernelIi19rocblas_complex_numIdELi16ELb1ELb0ELc67ELc85EKPKS1_KPS1_EviT_T0_PT6_S7_lSA_S7_lS8_PT7_S7_li,"axG",@progbits,_ZL41rocblas_syrkx_herkx_small_restrict_kernelIi19rocblas_complex_numIdELi16ELb1ELb0ELc67ELc85EKPKS1_KPS1_EviT_T0_PT6_S7_lSA_S7_lS8_PT7_S7_li,comdat
	.globl	_ZL41rocblas_syrkx_herkx_small_restrict_kernelIi19rocblas_complex_numIdELi16ELb1ELb0ELc67ELc85EKPKS1_KPS1_EviT_T0_PT6_S7_lSA_S7_lS8_PT7_S7_li ; -- Begin function _ZL41rocblas_syrkx_herkx_small_restrict_kernelIi19rocblas_complex_numIdELi16ELb1ELb0ELc67ELc85EKPKS1_KPS1_EviT_T0_PT6_S7_lSA_S7_lS8_PT7_S7_li
	.p2align	8
	.type	_ZL41rocblas_syrkx_herkx_small_restrict_kernelIi19rocblas_complex_numIdELi16ELb1ELb0ELc67ELc85EKPKS1_KPS1_EviT_T0_PT6_S7_lSA_S7_lS8_PT7_S7_li,@function
_ZL41rocblas_syrkx_herkx_small_restrict_kernelIi19rocblas_complex_numIdELi16ELb1ELb0ELc67ELc85EKPKS1_KPS1_EviT_T0_PT6_S7_lSA_S7_lS8_PT7_S7_li: ; @_ZL41rocblas_syrkx_herkx_small_restrict_kernelIi19rocblas_complex_numIdELi16ELb1ELb0ELc67ELc85EKPKS1_KPS1_EviT_T0_PT6_S7_lSA_S7_lS8_PT7_S7_li
; %bb.0:
	s_load_dwordx2 s[12:13], s[4:5], 0x18
	s_load_dwordx2 s[10:11], s[4:5], 0x58
	s_load_dword s16, s[4:5], 0x4
	s_load_dwordx4 s[0:3], s[4:5], 0x8
	s_mov_b32 s9, 0
	s_lshl_b64 s[14:15], s[8:9], 3
	s_waitcnt lgkmcnt(0)
	s_add_u32 s10, s10, s14
	s_addc_u32 s11, s11, s15
	s_load_dwordx2 s[10:11], s[10:11], 0x0
	v_lshl_add_u32 v2, s6, 4, v0
	s_cmp_lt_i32 s16, 1
	v_lshl_add_u32 v9, s7, 4, v1
	s_cbranch_scc1 .LBB735_6
; %bb.1:
	s_load_dwordx2 s[6:7], s[4:5], 0x30
	s_load_dword s8, s[4:5], 0x20
	s_load_dword s17, s[4:5], 0x38
	v_lshlrev_b32_e32 v5, 8, v1
	v_lshlrev_b32_e32 v10, 4, v0
	s_waitcnt lgkmcnt(0)
	s_add_u32 s6, s6, s14
	s_addc_u32 s7, s7, s15
	s_add_u32 s12, s12, s14
	s_addc_u32 s13, s13, s15
	v_mad_i64_i32 v[3:4], s[14:15], s17, v9, 0
	s_load_dwordx2 s[6:7], s[6:7], 0x0
	v_add_u32_e32 v11, v10, v5
	v_add_u32_e32 v12, 0x1000, v5
	v_lshlrev_b64 v[3:4], 4, v[3:4]
	v_mad_i64_i32 v[5:6], s[14:15], s8, v2, 0
	v_add_co_u32_e32 v0, vcc, v3, v10
	s_load_dwordx2 s[12:13], s[12:13], 0x0
	v_addc_co_u32_e32 v4, vcc, 0, v4, vcc
	s_waitcnt lgkmcnt(0)
	v_mov_b32_e32 v7, s7
	v_add_co_u32_e32 v3, vcc, s6, v0
	v_lshlrev_b64 v[5:6], 4, v[5:6]
	v_addc_co_u32_e32 v4, vcc, v7, v4, vcc
	v_lshlrev_b32_e32 v0, 4, v1
	v_add_co_u32_e32 v0, vcc, v5, v0
	v_addc_co_u32_e32 v1, vcc, 0, v6, vcc
	v_mov_b32_e32 v14, s13
	v_mov_b32_e32 v7, 0
	;; [unrolled: 1-line block ×3, first 2 shown]
	v_add_co_u32_e32 v0, vcc, s12, v0
	v_add_u32_e32 v13, v12, v10
	v_mov_b32_e32 v8, 0
	v_mov_b32_e32 v6, 0
	v_addc_co_u32_e32 v1, vcc, v14, v1, vcc
.LBB735_2:                              ; =>This Inner Loop Header: Depth=1
	flat_load_dwordx4 v[14:17], v[0:1]
	s_add_i32 s9, s9, 16
	s_cmp_lt_i32 s9, s16
	s_waitcnt vmcnt(0) lgkmcnt(0)
	ds_write_b128 v11, v[14:17]
	flat_load_dwordx4 v[14:17], v[3:4]
	v_add_co_u32_e32 v3, vcc, 0x100, v3
	v_addc_co_u32_e32 v4, vcc, 0, v4, vcc
	v_add_co_u32_e32 v0, vcc, 0x100, v0
	v_addc_co_u32_e32 v1, vcc, 0, v1, vcc
	s_waitcnt vmcnt(0) lgkmcnt(0)
	ds_write2_b64 v13, v[14:15], v[16:17] offset1:1
	s_waitcnt lgkmcnt(0)
	s_barrier
	ds_read_b128 v[14:17], v12
	ds_read_b128 v[18:21], v12 offset:16
	ds_read_b128 v[22:25], v12 offset:32
	;; [unrolled: 1-line block ×3, first 2 shown]
	ds_read_b128 v[30:33], v10
	s_waitcnt lgkmcnt(0)
	v_mul_f64 v[34:35], v[16:17], v[32:33]
	v_fma_f64 v[34:35], v[14:15], v[30:31], -v[34:35]
	v_mul_f64 v[14:15], v[14:15], v[32:33]
	v_fma_f64 v[14:15], v[16:17], v[30:31], v[14:15]
	v_add_f64 v[16:17], v[5:6], v[34:35]
	v_add_f64 v[14:15], v[7:8], v[14:15]
	ds_read_b128 v[5:8], v10 offset:256
	s_waitcnt lgkmcnt(0)
	v_mul_f64 v[30:31], v[20:21], v[7:8]
	v_mul_f64 v[7:8], v[18:19], v[7:8]
	v_fma_f64 v[30:31], v[18:19], v[5:6], -v[30:31]
	v_fma_f64 v[5:6], v[20:21], v[5:6], v[7:8]
	v_add_f64 v[16:17], v[16:17], v[30:31]
	v_add_f64 v[14:15], v[14:15], v[5:6]
	ds_read_b128 v[5:8], v10 offset:512
	s_waitcnt lgkmcnt(0)
	v_mul_f64 v[18:19], v[24:25], v[7:8]
	v_mul_f64 v[7:8], v[22:23], v[7:8]
	v_fma_f64 v[18:19], v[22:23], v[5:6], -v[18:19]
	;; [unrolled: 8-line block ×3, first 2 shown]
	v_fma_f64 v[5:6], v[28:29], v[5:6], v[7:8]
	v_add_f64 v[18:19], v[16:17], v[18:19]
	v_add_f64 v[20:21], v[14:15], v[5:6]
	ds_read_b128 v[5:8], v12 offset:64
	ds_read_b128 v[14:17], v10 offset:1024
	s_waitcnt lgkmcnt(0)
	v_mul_f64 v[22:23], v[7:8], v[16:17]
	v_fma_f64 v[22:23], v[5:6], v[14:15], -v[22:23]
	v_mul_f64 v[5:6], v[5:6], v[16:17]
	v_add_f64 v[18:19], v[18:19], v[22:23]
	v_fma_f64 v[5:6], v[7:8], v[14:15], v[5:6]
	v_add_f64 v[20:21], v[20:21], v[5:6]
	ds_read_b128 v[5:8], v12 offset:80
	ds_read_b128 v[14:17], v10 offset:1280
	s_waitcnt lgkmcnt(0)
	v_mul_f64 v[22:23], v[7:8], v[16:17]
	v_fma_f64 v[22:23], v[5:6], v[14:15], -v[22:23]
	v_mul_f64 v[5:6], v[5:6], v[16:17]
	v_add_f64 v[18:19], v[18:19], v[22:23]
	v_fma_f64 v[5:6], v[7:8], v[14:15], v[5:6]
	;; [unrolled: 9-line block ×11, first 2 shown]
	v_add_f64 v[20:21], v[20:21], v[5:6]
	ds_read_b128 v[5:8], v12 offset:240
	ds_read_b128 v[14:17], v10 offset:3840
	s_waitcnt lgkmcnt(0)
	s_barrier
	v_mul_f64 v[22:23], v[7:8], v[16:17]
	v_fma_f64 v[22:23], v[5:6], v[14:15], -v[22:23]
	v_mul_f64 v[5:6], v[5:6], v[16:17]
	v_fma_f64 v[7:8], v[7:8], v[14:15], v[5:6]
	v_add_f64 v[5:6], v[18:19], v[22:23]
	v_add_f64 v[7:8], v[20:21], v[7:8]
	s_cbranch_scc1 .LBB735_2
; %bb.3:
	v_cmp_le_i32_e32 vcc, v2, v9
	s_and_saveexec_b64 s[6:7], vcc
	s_cbranch_execz .LBB735_5
.LBB735_4:
	s_load_dword s4, s[4:5], 0x60
	v_mul_f64 v[0:1], s[2:3], v[7:8]
	v_mul_f64 v[10:11], s[0:1], v[7:8]
	v_ashrrev_i32_e32 v3, 31, v2
	s_waitcnt lgkmcnt(0)
	v_mov_b32_e32 v4, s11
	v_mad_i64_i32 v[12:13], s[4:5], s4, v9, 0
	v_fma_f64 v[7:8], s[0:1], v[5:6], -v[0:1]
	v_fma_f64 v[9:10], s[2:3], v[5:6], v[10:11]
	v_lshlrev_b64 v[0:1], 4, v[12:13]
	v_add_co_u32_e32 v5, vcc, s10, v0
	v_addc_co_u32_e32 v4, vcc, v4, v1, vcc
	v_lshlrev_b64 v[0:1], 4, v[2:3]
	v_add_co_u32_e32 v0, vcc, v5, v0
	v_addc_co_u32_e32 v1, vcc, v4, v1, vcc
	flat_store_dwordx4 v[0:1], v[7:10]
.LBB735_5:
	s_endpgm
.LBB735_6:
	v_mov_b32_e32 v7, 0
	v_mov_b32_e32 v5, 0
	;; [unrolled: 1-line block ×4, first 2 shown]
	v_cmp_le_i32_e32 vcc, v2, v9
	s_and_saveexec_b64 s[6:7], vcc
	s_cbranch_execnz .LBB735_4
	s_branch .LBB735_5
	.section	.rodata,"a",@progbits
	.p2align	6, 0x0
	.amdhsa_kernel _ZL41rocblas_syrkx_herkx_small_restrict_kernelIi19rocblas_complex_numIdELi16ELb1ELb0ELc67ELc85EKPKS1_KPS1_EviT_T0_PT6_S7_lSA_S7_lS8_PT7_S7_li
		.amdhsa_group_segment_fixed_size 8192
		.amdhsa_private_segment_fixed_size 0
		.amdhsa_kernarg_size 116
		.amdhsa_user_sgpr_count 6
		.amdhsa_user_sgpr_private_segment_buffer 1
		.amdhsa_user_sgpr_dispatch_ptr 0
		.amdhsa_user_sgpr_queue_ptr 0
		.amdhsa_user_sgpr_kernarg_segment_ptr 1
		.amdhsa_user_sgpr_dispatch_id 0
		.amdhsa_user_sgpr_flat_scratch_init 0
		.amdhsa_user_sgpr_private_segment_size 0
		.amdhsa_uses_dynamic_stack 0
		.amdhsa_system_sgpr_private_segment_wavefront_offset 0
		.amdhsa_system_sgpr_workgroup_id_x 1
		.amdhsa_system_sgpr_workgroup_id_y 1
		.amdhsa_system_sgpr_workgroup_id_z 1
		.amdhsa_system_sgpr_workgroup_info 0
		.amdhsa_system_vgpr_workitem_id 1
		.amdhsa_next_free_vgpr 36
		.amdhsa_next_free_sgpr 61
		.amdhsa_reserve_vcc 1
		.amdhsa_reserve_flat_scratch 0
		.amdhsa_float_round_mode_32 0
		.amdhsa_float_round_mode_16_64 0
		.amdhsa_float_denorm_mode_32 3
		.amdhsa_float_denorm_mode_16_64 3
		.amdhsa_dx10_clamp 1
		.amdhsa_ieee_mode 1
		.amdhsa_fp16_overflow 0
		.amdhsa_exception_fp_ieee_invalid_op 0
		.amdhsa_exception_fp_denorm_src 0
		.amdhsa_exception_fp_ieee_div_zero 0
		.amdhsa_exception_fp_ieee_overflow 0
		.amdhsa_exception_fp_ieee_underflow 0
		.amdhsa_exception_fp_ieee_inexact 0
		.amdhsa_exception_int_div_zero 0
	.end_amdhsa_kernel
	.section	.text._ZL41rocblas_syrkx_herkx_small_restrict_kernelIi19rocblas_complex_numIdELi16ELb1ELb0ELc67ELc85EKPKS1_KPS1_EviT_T0_PT6_S7_lSA_S7_lS8_PT7_S7_li,"axG",@progbits,_ZL41rocblas_syrkx_herkx_small_restrict_kernelIi19rocblas_complex_numIdELi16ELb1ELb0ELc67ELc85EKPKS1_KPS1_EviT_T0_PT6_S7_lSA_S7_lS8_PT7_S7_li,comdat
.Lfunc_end735:
	.size	_ZL41rocblas_syrkx_herkx_small_restrict_kernelIi19rocblas_complex_numIdELi16ELb1ELb0ELc67ELc85EKPKS1_KPS1_EviT_T0_PT6_S7_lSA_S7_lS8_PT7_S7_li, .Lfunc_end735-_ZL41rocblas_syrkx_herkx_small_restrict_kernelIi19rocblas_complex_numIdELi16ELb1ELb0ELc67ELc85EKPKS1_KPS1_EviT_T0_PT6_S7_lSA_S7_lS8_PT7_S7_li
                                        ; -- End function
	.set _ZL41rocblas_syrkx_herkx_small_restrict_kernelIi19rocblas_complex_numIdELi16ELb1ELb0ELc67ELc85EKPKS1_KPS1_EviT_T0_PT6_S7_lSA_S7_lS8_PT7_S7_li.num_vgpr, 36
	.set _ZL41rocblas_syrkx_herkx_small_restrict_kernelIi19rocblas_complex_numIdELi16ELb1ELb0ELc67ELc85EKPKS1_KPS1_EviT_T0_PT6_S7_lSA_S7_lS8_PT7_S7_li.num_agpr, 0
	.set _ZL41rocblas_syrkx_herkx_small_restrict_kernelIi19rocblas_complex_numIdELi16ELb1ELb0ELc67ELc85EKPKS1_KPS1_EviT_T0_PT6_S7_lSA_S7_lS8_PT7_S7_li.numbered_sgpr, 18
	.set _ZL41rocblas_syrkx_herkx_small_restrict_kernelIi19rocblas_complex_numIdELi16ELb1ELb0ELc67ELc85EKPKS1_KPS1_EviT_T0_PT6_S7_lSA_S7_lS8_PT7_S7_li.num_named_barrier, 0
	.set _ZL41rocblas_syrkx_herkx_small_restrict_kernelIi19rocblas_complex_numIdELi16ELb1ELb0ELc67ELc85EKPKS1_KPS1_EviT_T0_PT6_S7_lSA_S7_lS8_PT7_S7_li.private_seg_size, 0
	.set _ZL41rocblas_syrkx_herkx_small_restrict_kernelIi19rocblas_complex_numIdELi16ELb1ELb0ELc67ELc85EKPKS1_KPS1_EviT_T0_PT6_S7_lSA_S7_lS8_PT7_S7_li.uses_vcc, 1
	.set _ZL41rocblas_syrkx_herkx_small_restrict_kernelIi19rocblas_complex_numIdELi16ELb1ELb0ELc67ELc85EKPKS1_KPS1_EviT_T0_PT6_S7_lSA_S7_lS8_PT7_S7_li.uses_flat_scratch, 0
	.set _ZL41rocblas_syrkx_herkx_small_restrict_kernelIi19rocblas_complex_numIdELi16ELb1ELb0ELc67ELc85EKPKS1_KPS1_EviT_T0_PT6_S7_lSA_S7_lS8_PT7_S7_li.has_dyn_sized_stack, 0
	.set _ZL41rocblas_syrkx_herkx_small_restrict_kernelIi19rocblas_complex_numIdELi16ELb1ELb0ELc67ELc85EKPKS1_KPS1_EviT_T0_PT6_S7_lSA_S7_lS8_PT7_S7_li.has_recursion, 0
	.set _ZL41rocblas_syrkx_herkx_small_restrict_kernelIi19rocblas_complex_numIdELi16ELb1ELb0ELc67ELc85EKPKS1_KPS1_EviT_T0_PT6_S7_lSA_S7_lS8_PT7_S7_li.has_indirect_call, 0
	.section	.AMDGPU.csdata,"",@progbits
; Kernel info:
; codeLenInByte = 1588
; TotalNumSgprs: 22
; NumVgprs: 36
; ScratchSize: 0
; MemoryBound: 0
; FloatMode: 240
; IeeeMode: 1
; LDSByteSize: 8192 bytes/workgroup (compile time only)
; SGPRBlocks: 8
; VGPRBlocks: 8
; NumSGPRsForWavesPerEU: 65
; NumVGPRsForWavesPerEU: 36
; Occupancy: 7
; WaveLimiterHint : 1
; COMPUTE_PGM_RSRC2:SCRATCH_EN: 0
; COMPUTE_PGM_RSRC2:USER_SGPR: 6
; COMPUTE_PGM_RSRC2:TRAP_HANDLER: 0
; COMPUTE_PGM_RSRC2:TGID_X_EN: 1
; COMPUTE_PGM_RSRC2:TGID_Y_EN: 1
; COMPUTE_PGM_RSRC2:TGID_Z_EN: 1
; COMPUTE_PGM_RSRC2:TIDIG_COMP_CNT: 1
	.section	.text._ZL41rocblas_syrkx_herkx_small_restrict_kernelIi19rocblas_complex_numIdELi16ELb1ELb0ELc78ELc85EKPKS1_KPS1_EviT_T0_PT6_S7_lSA_S7_lS8_PT7_S7_li,"axG",@progbits,_ZL41rocblas_syrkx_herkx_small_restrict_kernelIi19rocblas_complex_numIdELi16ELb1ELb0ELc78ELc85EKPKS1_KPS1_EviT_T0_PT6_S7_lSA_S7_lS8_PT7_S7_li,comdat
	.globl	_ZL41rocblas_syrkx_herkx_small_restrict_kernelIi19rocblas_complex_numIdELi16ELb1ELb0ELc78ELc85EKPKS1_KPS1_EviT_T0_PT6_S7_lSA_S7_lS8_PT7_S7_li ; -- Begin function _ZL41rocblas_syrkx_herkx_small_restrict_kernelIi19rocblas_complex_numIdELi16ELb1ELb0ELc78ELc85EKPKS1_KPS1_EviT_T0_PT6_S7_lSA_S7_lS8_PT7_S7_li
	.p2align	8
	.type	_ZL41rocblas_syrkx_herkx_small_restrict_kernelIi19rocblas_complex_numIdELi16ELb1ELb0ELc78ELc85EKPKS1_KPS1_EviT_T0_PT6_S7_lSA_S7_lS8_PT7_S7_li,@function
_ZL41rocblas_syrkx_herkx_small_restrict_kernelIi19rocblas_complex_numIdELi16ELb1ELb0ELc78ELc85EKPKS1_KPS1_EviT_T0_PT6_S7_lSA_S7_lS8_PT7_S7_li: ; @_ZL41rocblas_syrkx_herkx_small_restrict_kernelIi19rocblas_complex_numIdELi16ELb1ELb0ELc78ELc85EKPKS1_KPS1_EviT_T0_PT6_S7_lSA_S7_lS8_PT7_S7_li
; %bb.0:
	s_load_dwordx2 s[12:13], s[4:5], 0x18
	s_load_dwordx2 s[10:11], s[4:5], 0x58
	s_load_dword s16, s[4:5], 0x4
	s_load_dwordx4 s[0:3], s[4:5], 0x8
	s_mov_b32 s9, 0
	s_lshl_b64 s[14:15], s[8:9], 3
	s_waitcnt lgkmcnt(0)
	s_add_u32 s10, s10, s14
	s_addc_u32 s11, s11, s15
	s_load_dwordx2 s[10:11], s[10:11], 0x0
	v_lshl_add_u32 v2, s6, 4, v0
	v_lshl_add_u32 v4, s7, 4, v1
	s_cmp_lt_i32 s16, 1
	v_ashrrev_i32_e32 v3, 31, v2
	s_cbranch_scc1 .LBB736_6
; %bb.1:
	s_load_dword s18, s[4:5], 0x20
	s_load_dword s6, s[4:5], 0x38
	s_load_dwordx2 s[20:21], s[4:5], 0x30
	v_lshlrev_b32_e32 v8, 8, v1
	v_lshlrev_b32_e32 v11, 4, v0
	s_waitcnt lgkmcnt(0)
	s_ashr_i32 s19, s18, 31
	s_ashr_i32 s7, s6, 31
	s_add_u32 s20, s20, s14
	s_addc_u32 s21, s21, s15
	s_add_u32 s12, s12, s14
	s_addc_u32 s13, s13, s15
	v_mad_i64_i32 v[6:7], s[14:15], s6, v0, 0
	v_ashrrev_i32_e32 v5, 31, v4
	s_load_dwordx2 s[20:21], s[20:21], 0x0
	v_add_u32_e32 v12, v11, v8
	v_add_u32_e32 v13, 0x1000, v8
	v_lshlrev_b64 v[6:7], 4, v[6:7]
	v_lshlrev_b64 v[8:9], 4, v[4:5]
	s_load_dwordx2 s[12:13], s[12:13], 0x0
	v_add_co_u32_e32 v0, vcc, v6, v8
	v_mad_i64_i32 v[5:6], s[14:15], s18, v1, 0
	v_addc_co_u32_e32 v7, vcc, v7, v9, vcc
	s_waitcnt lgkmcnt(0)
	v_mov_b32_e32 v8, s21
	v_add_co_u32_e32 v0, vcc, s20, v0
	v_addc_co_u32_e32 v1, vcc, v8, v7, vcc
	v_lshlrev_b64 v[5:6], 4, v[5:6]
	v_lshlrev_b64 v[7:8], 4, v[2:3]
	s_lshl_b64 s[6:7], s[6:7], 8
	v_add_co_u32_e32 v5, vcc, v5, v7
	v_addc_co_u32_e32 v6, vcc, v6, v8, vcc
	v_mov_b32_e32 v7, s13
	v_add_co_u32_e32 v5, vcc, s12, v5
	v_addc_co_u32_e32 v6, vcc, v7, v6, vcc
	s_lshl_b64 s[12:13], s[18:19], 8
	v_mov_b32_e32 v9, 0
	v_mov_b32_e32 v7, 0
	;; [unrolled: 1-line block ×6, first 2 shown]
.LBB736_2:                              ; =>This Inner Loop Header: Depth=1
	flat_load_dwordx4 v[16:19], v[5:6]
	v_add_u32_e32 v20, v13, v11
	s_add_i32 s9, s9, 16
	s_cmp_lt_i32 s9, s16
	s_waitcnt vmcnt(0) lgkmcnt(0)
	ds_write2_b64 v12, v[16:17], v[18:19] offset1:1
	flat_load_dwordx4 v[16:19], v[0:1]
	v_add_co_u32_e32 v0, vcc, s6, v0
	v_addc_co_u32_e32 v1, vcc, v1, v14, vcc
	v_add_co_u32_e32 v5, vcc, s12, v5
	v_addc_co_u32_e32 v6, vcc, v6, v15, vcc
	s_waitcnt vmcnt(0) lgkmcnt(0)
	ds_write_b128 v20, v[16:19]
	s_waitcnt lgkmcnt(0)
	s_barrier
	ds_read_b128 v[16:19], v13
	ds_read_b128 v[20:23], v13 offset:16
	ds_read_b128 v[24:27], v13 offset:32
	;; [unrolled: 1-line block ×3, first 2 shown]
	ds_read_b128 v[32:35], v11
	s_waitcnt lgkmcnt(0)
	v_mul_f64 v[36:37], v[18:19], v[34:35]
	v_fma_f64 v[36:37], v[16:17], v[32:33], -v[36:37]
	v_mul_f64 v[16:17], v[16:17], v[34:35]
	v_fma_f64 v[16:17], v[18:19], v[32:33], v[16:17]
	v_add_f64 v[18:19], v[7:8], v[36:37]
	v_add_f64 v[16:17], v[9:10], v[16:17]
	ds_read_b128 v[7:10], v11 offset:256
	s_waitcnt lgkmcnt(0)
	v_mul_f64 v[32:33], v[22:23], v[9:10]
	v_mul_f64 v[9:10], v[20:21], v[9:10]
	v_fma_f64 v[32:33], v[20:21], v[7:8], -v[32:33]
	v_fma_f64 v[7:8], v[22:23], v[7:8], v[9:10]
	v_add_f64 v[18:19], v[18:19], v[32:33]
	v_add_f64 v[16:17], v[16:17], v[7:8]
	ds_read_b128 v[7:10], v11 offset:512
	s_waitcnt lgkmcnt(0)
	v_mul_f64 v[20:21], v[26:27], v[9:10]
	v_mul_f64 v[9:10], v[24:25], v[9:10]
	v_fma_f64 v[20:21], v[24:25], v[7:8], -v[20:21]
	;; [unrolled: 8-line block ×3, first 2 shown]
	v_fma_f64 v[7:8], v[30:31], v[7:8], v[9:10]
	v_add_f64 v[20:21], v[18:19], v[20:21]
	v_add_f64 v[22:23], v[16:17], v[7:8]
	ds_read_b128 v[7:10], v13 offset:64
	ds_read_b128 v[16:19], v11 offset:1024
	s_waitcnt lgkmcnt(0)
	v_mul_f64 v[24:25], v[9:10], v[18:19]
	v_fma_f64 v[24:25], v[7:8], v[16:17], -v[24:25]
	v_mul_f64 v[7:8], v[7:8], v[18:19]
	v_add_f64 v[20:21], v[20:21], v[24:25]
	v_fma_f64 v[7:8], v[9:10], v[16:17], v[7:8]
	v_add_f64 v[22:23], v[22:23], v[7:8]
	ds_read_b128 v[7:10], v13 offset:80
	ds_read_b128 v[16:19], v11 offset:1280
	s_waitcnt lgkmcnt(0)
	v_mul_f64 v[24:25], v[9:10], v[18:19]
	v_fma_f64 v[24:25], v[7:8], v[16:17], -v[24:25]
	v_mul_f64 v[7:8], v[7:8], v[18:19]
	v_add_f64 v[20:21], v[20:21], v[24:25]
	v_fma_f64 v[7:8], v[9:10], v[16:17], v[7:8]
	;; [unrolled: 9-line block ×11, first 2 shown]
	v_add_f64 v[22:23], v[22:23], v[7:8]
	ds_read_b128 v[7:10], v13 offset:240
	ds_read_b128 v[16:19], v11 offset:3840
	s_waitcnt lgkmcnt(0)
	s_barrier
	v_mul_f64 v[24:25], v[9:10], v[18:19]
	v_fma_f64 v[24:25], v[7:8], v[16:17], -v[24:25]
	v_mul_f64 v[7:8], v[7:8], v[18:19]
	v_fma_f64 v[9:10], v[9:10], v[16:17], v[7:8]
	v_add_f64 v[7:8], v[20:21], v[24:25]
	v_add_f64 v[9:10], v[22:23], v[9:10]
	s_cbranch_scc1 .LBB736_2
; %bb.3:
	v_cmp_le_i32_e32 vcc, v2, v4
	s_and_saveexec_b64 s[6:7], vcc
	s_cbranch_execz .LBB736_5
.LBB736_4:
	s_load_dword s4, s[4:5], 0x60
	v_mul_f64 v[0:1], s[2:3], v[9:10]
	v_mul_f64 v[9:10], s[0:1], v[9:10]
	s_waitcnt lgkmcnt(0)
	v_mov_b32_e32 v13, s11
	v_mad_i64_i32 v[11:12], s[4:5], s4, v4, 0
	v_fma_f64 v[4:5], s[0:1], v[7:8], -v[0:1]
	v_fma_f64 v[6:7], s[2:3], v[7:8], v[9:10]
	v_lshlrev_b64 v[0:1], 4, v[11:12]
	v_add_co_u32_e32 v8, vcc, s10, v0
	v_addc_co_u32_e32 v9, vcc, v13, v1, vcc
	v_lshlrev_b64 v[0:1], 4, v[2:3]
	v_add_co_u32_e32 v0, vcc, v8, v0
	v_addc_co_u32_e32 v1, vcc, v9, v1, vcc
	flat_store_dwordx4 v[0:1], v[4:7]
.LBB736_5:
	s_endpgm
.LBB736_6:
	v_mov_b32_e32 v9, 0
	v_mov_b32_e32 v7, 0
	;; [unrolled: 1-line block ×4, first 2 shown]
	v_cmp_le_i32_e32 vcc, v2, v4
	s_and_saveexec_b64 s[6:7], vcc
	s_cbranch_execnz .LBB736_4
	s_branch .LBB736_5
	.section	.rodata,"a",@progbits
	.p2align	6, 0x0
	.amdhsa_kernel _ZL41rocblas_syrkx_herkx_small_restrict_kernelIi19rocblas_complex_numIdELi16ELb1ELb0ELc78ELc85EKPKS1_KPS1_EviT_T0_PT6_S7_lSA_S7_lS8_PT7_S7_li
		.amdhsa_group_segment_fixed_size 8192
		.amdhsa_private_segment_fixed_size 0
		.amdhsa_kernarg_size 116
		.amdhsa_user_sgpr_count 6
		.amdhsa_user_sgpr_private_segment_buffer 1
		.amdhsa_user_sgpr_dispatch_ptr 0
		.amdhsa_user_sgpr_queue_ptr 0
		.amdhsa_user_sgpr_kernarg_segment_ptr 1
		.amdhsa_user_sgpr_dispatch_id 0
		.amdhsa_user_sgpr_flat_scratch_init 0
		.amdhsa_user_sgpr_private_segment_size 0
		.amdhsa_uses_dynamic_stack 0
		.amdhsa_system_sgpr_private_segment_wavefront_offset 0
		.amdhsa_system_sgpr_workgroup_id_x 1
		.amdhsa_system_sgpr_workgroup_id_y 1
		.amdhsa_system_sgpr_workgroup_id_z 1
		.amdhsa_system_sgpr_workgroup_info 0
		.amdhsa_system_vgpr_workitem_id 1
		.amdhsa_next_free_vgpr 38
		.amdhsa_next_free_sgpr 61
		.amdhsa_reserve_vcc 1
		.amdhsa_reserve_flat_scratch 0
		.amdhsa_float_round_mode_32 0
		.amdhsa_float_round_mode_16_64 0
		.amdhsa_float_denorm_mode_32 3
		.amdhsa_float_denorm_mode_16_64 3
		.amdhsa_dx10_clamp 1
		.amdhsa_ieee_mode 1
		.amdhsa_fp16_overflow 0
		.amdhsa_exception_fp_ieee_invalid_op 0
		.amdhsa_exception_fp_denorm_src 0
		.amdhsa_exception_fp_ieee_div_zero 0
		.amdhsa_exception_fp_ieee_overflow 0
		.amdhsa_exception_fp_ieee_underflow 0
		.amdhsa_exception_fp_ieee_inexact 0
		.amdhsa_exception_int_div_zero 0
	.end_amdhsa_kernel
	.section	.text._ZL41rocblas_syrkx_herkx_small_restrict_kernelIi19rocblas_complex_numIdELi16ELb1ELb0ELc78ELc85EKPKS1_KPS1_EviT_T0_PT6_S7_lSA_S7_lS8_PT7_S7_li,"axG",@progbits,_ZL41rocblas_syrkx_herkx_small_restrict_kernelIi19rocblas_complex_numIdELi16ELb1ELb0ELc78ELc85EKPKS1_KPS1_EviT_T0_PT6_S7_lSA_S7_lS8_PT7_S7_li,comdat
.Lfunc_end736:
	.size	_ZL41rocblas_syrkx_herkx_small_restrict_kernelIi19rocblas_complex_numIdELi16ELb1ELb0ELc78ELc85EKPKS1_KPS1_EviT_T0_PT6_S7_lSA_S7_lS8_PT7_S7_li, .Lfunc_end736-_ZL41rocblas_syrkx_herkx_small_restrict_kernelIi19rocblas_complex_numIdELi16ELb1ELb0ELc78ELc85EKPKS1_KPS1_EviT_T0_PT6_S7_lSA_S7_lS8_PT7_S7_li
                                        ; -- End function
	.set _ZL41rocblas_syrkx_herkx_small_restrict_kernelIi19rocblas_complex_numIdELi16ELb1ELb0ELc78ELc85EKPKS1_KPS1_EviT_T0_PT6_S7_lSA_S7_lS8_PT7_S7_li.num_vgpr, 38
	.set _ZL41rocblas_syrkx_herkx_small_restrict_kernelIi19rocblas_complex_numIdELi16ELb1ELb0ELc78ELc85EKPKS1_KPS1_EviT_T0_PT6_S7_lSA_S7_lS8_PT7_S7_li.num_agpr, 0
	.set _ZL41rocblas_syrkx_herkx_small_restrict_kernelIi19rocblas_complex_numIdELi16ELb1ELb0ELc78ELc85EKPKS1_KPS1_EviT_T0_PT6_S7_lSA_S7_lS8_PT7_S7_li.numbered_sgpr, 22
	.set _ZL41rocblas_syrkx_herkx_small_restrict_kernelIi19rocblas_complex_numIdELi16ELb1ELb0ELc78ELc85EKPKS1_KPS1_EviT_T0_PT6_S7_lSA_S7_lS8_PT7_S7_li.num_named_barrier, 0
	.set _ZL41rocblas_syrkx_herkx_small_restrict_kernelIi19rocblas_complex_numIdELi16ELb1ELb0ELc78ELc85EKPKS1_KPS1_EviT_T0_PT6_S7_lSA_S7_lS8_PT7_S7_li.private_seg_size, 0
	.set _ZL41rocblas_syrkx_herkx_small_restrict_kernelIi19rocblas_complex_numIdELi16ELb1ELb0ELc78ELc85EKPKS1_KPS1_EviT_T0_PT6_S7_lSA_S7_lS8_PT7_S7_li.uses_vcc, 1
	.set _ZL41rocblas_syrkx_herkx_small_restrict_kernelIi19rocblas_complex_numIdELi16ELb1ELb0ELc78ELc85EKPKS1_KPS1_EviT_T0_PT6_S7_lSA_S7_lS8_PT7_S7_li.uses_flat_scratch, 0
	.set _ZL41rocblas_syrkx_herkx_small_restrict_kernelIi19rocblas_complex_numIdELi16ELb1ELb0ELc78ELc85EKPKS1_KPS1_EviT_T0_PT6_S7_lSA_S7_lS8_PT7_S7_li.has_dyn_sized_stack, 0
	.set _ZL41rocblas_syrkx_herkx_small_restrict_kernelIi19rocblas_complex_numIdELi16ELb1ELb0ELc78ELc85EKPKS1_KPS1_EviT_T0_PT6_S7_lSA_S7_lS8_PT7_S7_li.has_recursion, 0
	.set _ZL41rocblas_syrkx_herkx_small_restrict_kernelIi19rocblas_complex_numIdELi16ELb1ELb0ELc78ELc85EKPKS1_KPS1_EviT_T0_PT6_S7_lSA_S7_lS8_PT7_S7_li.has_indirect_call, 0
	.section	.AMDGPU.csdata,"",@progbits
; Kernel info:
; codeLenInByte = 1620
; TotalNumSgprs: 26
; NumVgprs: 38
; ScratchSize: 0
; MemoryBound: 0
; FloatMode: 240
; IeeeMode: 1
; LDSByteSize: 8192 bytes/workgroup (compile time only)
; SGPRBlocks: 8
; VGPRBlocks: 9
; NumSGPRsForWavesPerEU: 65
; NumVGPRsForWavesPerEU: 38
; Occupancy: 6
; WaveLimiterHint : 1
; COMPUTE_PGM_RSRC2:SCRATCH_EN: 0
; COMPUTE_PGM_RSRC2:USER_SGPR: 6
; COMPUTE_PGM_RSRC2:TRAP_HANDLER: 0
; COMPUTE_PGM_RSRC2:TGID_X_EN: 1
; COMPUTE_PGM_RSRC2:TGID_Y_EN: 1
; COMPUTE_PGM_RSRC2:TGID_Z_EN: 1
; COMPUTE_PGM_RSRC2:TIDIG_COMP_CNT: 1
	.section	.text._ZL41rocblas_syrkx_herkx_small_restrict_kernelIi19rocblas_complex_numIdELi16ELb0ELb0ELc84ELc76EKPKS1_KPS1_EviT_T0_PT6_S7_lSA_S7_lS8_PT7_S7_li,"axG",@progbits,_ZL41rocblas_syrkx_herkx_small_restrict_kernelIi19rocblas_complex_numIdELi16ELb0ELb0ELc84ELc76EKPKS1_KPS1_EviT_T0_PT6_S7_lSA_S7_lS8_PT7_S7_li,comdat
	.globl	_ZL41rocblas_syrkx_herkx_small_restrict_kernelIi19rocblas_complex_numIdELi16ELb0ELb0ELc84ELc76EKPKS1_KPS1_EviT_T0_PT6_S7_lSA_S7_lS8_PT7_S7_li ; -- Begin function _ZL41rocblas_syrkx_herkx_small_restrict_kernelIi19rocblas_complex_numIdELi16ELb0ELb0ELc84ELc76EKPKS1_KPS1_EviT_T0_PT6_S7_lSA_S7_lS8_PT7_S7_li
	.p2align	8
	.type	_ZL41rocblas_syrkx_herkx_small_restrict_kernelIi19rocblas_complex_numIdELi16ELb0ELb0ELc84ELc76EKPKS1_KPS1_EviT_T0_PT6_S7_lSA_S7_lS8_PT7_S7_li,@function
_ZL41rocblas_syrkx_herkx_small_restrict_kernelIi19rocblas_complex_numIdELi16ELb0ELb0ELc84ELc76EKPKS1_KPS1_EviT_T0_PT6_S7_lSA_S7_lS8_PT7_S7_li: ; @_ZL41rocblas_syrkx_herkx_small_restrict_kernelIi19rocblas_complex_numIdELi16ELb0ELb0ELc84ELc76EKPKS1_KPS1_EviT_T0_PT6_S7_lSA_S7_lS8_PT7_S7_li
; %bb.0:
	s_load_dword s20, s[4:5], 0x4
	s_load_dwordx4 s[0:3], s[4:5], 0x8
	s_load_dwordx2 s[10:11], s[4:5], 0x58
	s_load_dwordx2 s[16:17], s[4:5], 0x18
	s_load_dwordx4 s[12:15], s[4:5], 0x48
	s_mov_b32 s9, 0
	s_lshl_b64 s[18:19], s[8:9], 3
	s_waitcnt lgkmcnt(0)
	s_add_u32 s10, s10, s18
	s_addc_u32 s11, s11, s19
	s_load_dwordx2 s[10:11], s[10:11], 0x0
	v_lshl_add_u32 v2, s6, 4, v0
	s_cmp_lt_i32 s20, 1
	v_lshl_add_u32 v9, s7, 4, v1
	s_cbranch_scc1 .LBB737_6
; %bb.1:
	s_load_dwordx2 s[6:7], s[4:5], 0x30
	s_load_dword s8, s[4:5], 0x20
	s_load_dword s21, s[4:5], 0x38
	v_lshlrev_b32_e32 v5, 8, v1
	v_lshlrev_b32_e32 v10, 4, v0
	s_waitcnt lgkmcnt(0)
	s_add_u32 s6, s6, s18
	s_addc_u32 s7, s7, s19
	s_add_u32 s16, s16, s18
	s_addc_u32 s17, s17, s19
	v_mad_i64_i32 v[3:4], s[18:19], s21, v9, 0
	s_load_dwordx2 s[6:7], s[6:7], 0x0
	v_add_u32_e32 v11, v10, v5
	v_add_u32_e32 v12, 0x1000, v5
	v_lshlrev_b64 v[3:4], 4, v[3:4]
	v_mad_i64_i32 v[5:6], s[18:19], s8, v2, 0
	v_add_co_u32_e32 v0, vcc, v3, v10
	s_load_dwordx2 s[16:17], s[16:17], 0x0
	v_addc_co_u32_e32 v4, vcc, 0, v4, vcc
	s_waitcnt lgkmcnt(0)
	v_mov_b32_e32 v7, s7
	v_add_co_u32_e32 v3, vcc, s6, v0
	v_lshlrev_b64 v[5:6], 4, v[5:6]
	v_addc_co_u32_e32 v4, vcc, v7, v4, vcc
	v_lshlrev_b32_e32 v0, 4, v1
	v_add_co_u32_e32 v0, vcc, v5, v0
	v_addc_co_u32_e32 v1, vcc, 0, v6, vcc
	v_mov_b32_e32 v14, s17
	v_mov_b32_e32 v7, 0
	;; [unrolled: 1-line block ×3, first 2 shown]
	v_add_co_u32_e32 v0, vcc, s16, v0
	v_add_u32_e32 v13, v12, v10
	v_mov_b32_e32 v8, 0
	v_mov_b32_e32 v6, 0
	v_addc_co_u32_e32 v1, vcc, v14, v1, vcc
.LBB737_2:                              ; =>This Inner Loop Header: Depth=1
	flat_load_dwordx4 v[14:17], v[0:1]
	s_add_i32 s9, s9, 16
	s_cmp_lt_i32 s9, s20
	s_waitcnt vmcnt(0) lgkmcnt(0)
	ds_write2_b64 v11, v[14:15], v[16:17] offset1:1
	flat_load_dwordx4 v[14:17], v[3:4]
	v_add_co_u32_e32 v3, vcc, 0x100, v3
	v_addc_co_u32_e32 v4, vcc, 0, v4, vcc
	v_add_co_u32_e32 v0, vcc, 0x100, v0
	v_addc_co_u32_e32 v1, vcc, 0, v1, vcc
	s_waitcnt vmcnt(0) lgkmcnt(0)
	ds_write2_b64 v13, v[14:15], v[16:17] offset1:1
	s_waitcnt lgkmcnt(0)
	s_barrier
	ds_read_b128 v[14:17], v12
	ds_read_b128 v[18:21], v12 offset:16
	ds_read_b128 v[22:25], v12 offset:32
	;; [unrolled: 1-line block ×3, first 2 shown]
	ds_read_b128 v[30:33], v10
	s_waitcnt lgkmcnt(0)
	v_mul_f64 v[34:35], v[16:17], v[32:33]
	v_fma_f64 v[34:35], v[14:15], v[30:31], -v[34:35]
	v_mul_f64 v[14:15], v[14:15], v[32:33]
	v_fma_f64 v[14:15], v[16:17], v[30:31], v[14:15]
	v_add_f64 v[16:17], v[5:6], v[34:35]
	v_add_f64 v[14:15], v[7:8], v[14:15]
	ds_read_b128 v[5:8], v10 offset:256
	s_waitcnt lgkmcnt(0)
	v_mul_f64 v[30:31], v[20:21], v[7:8]
	v_mul_f64 v[7:8], v[18:19], v[7:8]
	v_fma_f64 v[30:31], v[18:19], v[5:6], -v[30:31]
	v_fma_f64 v[5:6], v[20:21], v[5:6], v[7:8]
	v_add_f64 v[16:17], v[16:17], v[30:31]
	v_add_f64 v[14:15], v[14:15], v[5:6]
	ds_read_b128 v[5:8], v10 offset:512
	s_waitcnt lgkmcnt(0)
	v_mul_f64 v[18:19], v[24:25], v[7:8]
	v_mul_f64 v[7:8], v[22:23], v[7:8]
	v_fma_f64 v[18:19], v[22:23], v[5:6], -v[18:19]
	;; [unrolled: 8-line block ×3, first 2 shown]
	v_fma_f64 v[5:6], v[28:29], v[5:6], v[7:8]
	v_add_f64 v[18:19], v[16:17], v[18:19]
	v_add_f64 v[20:21], v[14:15], v[5:6]
	ds_read_b128 v[5:8], v12 offset:64
	ds_read_b128 v[14:17], v10 offset:1024
	s_waitcnt lgkmcnt(0)
	v_mul_f64 v[22:23], v[7:8], v[16:17]
	v_fma_f64 v[22:23], v[5:6], v[14:15], -v[22:23]
	v_mul_f64 v[5:6], v[5:6], v[16:17]
	v_add_f64 v[18:19], v[18:19], v[22:23]
	v_fma_f64 v[5:6], v[7:8], v[14:15], v[5:6]
	v_add_f64 v[20:21], v[20:21], v[5:6]
	ds_read_b128 v[5:8], v12 offset:80
	ds_read_b128 v[14:17], v10 offset:1280
	s_waitcnt lgkmcnt(0)
	v_mul_f64 v[22:23], v[7:8], v[16:17]
	v_fma_f64 v[22:23], v[5:6], v[14:15], -v[22:23]
	v_mul_f64 v[5:6], v[5:6], v[16:17]
	v_add_f64 v[18:19], v[18:19], v[22:23]
	v_fma_f64 v[5:6], v[7:8], v[14:15], v[5:6]
	;; [unrolled: 9-line block ×11, first 2 shown]
	v_add_f64 v[20:21], v[20:21], v[5:6]
	ds_read_b128 v[5:8], v12 offset:240
	ds_read_b128 v[14:17], v10 offset:3840
	s_waitcnt lgkmcnt(0)
	s_barrier
	v_mul_f64 v[22:23], v[7:8], v[16:17]
	v_fma_f64 v[22:23], v[5:6], v[14:15], -v[22:23]
	v_mul_f64 v[5:6], v[5:6], v[16:17]
	v_fma_f64 v[7:8], v[7:8], v[14:15], v[5:6]
	v_add_f64 v[5:6], v[18:19], v[22:23]
	v_add_f64 v[7:8], v[20:21], v[7:8]
	s_cbranch_scc1 .LBB737_2
; %bb.3:
	v_cmp_le_i32_e32 vcc, v9, v2
	s_and_saveexec_b64 s[6:7], vcc
	s_cbranch_execz .LBB737_5
.LBB737_4:
	s_load_dword s4, s[4:5], 0x60
	v_ashrrev_i32_e32 v3, 31, v2
	s_waitcnt lgkmcnt(0)
	v_mov_b32_e32 v4, s11
	v_lshlrev_b64 v[2:3], 4, v[2:3]
	v_mul_f64 v[11:12], s[2:3], v[7:8]
	v_mad_i64_i32 v[0:1], s[4:5], s4, v9, 0
	v_mul_f64 v[7:8], s[0:1], v[7:8]
	v_lshlrev_b64 v[0:1], 4, v[0:1]
	v_add_co_u32_e32 v0, vcc, s10, v0
	v_addc_co_u32_e32 v1, vcc, v4, v1, vcc
	v_add_co_u32_e32 v9, vcc, v0, v2
	v_addc_co_u32_e32 v10, vcc, v1, v3, vcc
	flat_load_dwordx4 v[0:3], v[9:10]
	v_fma_f64 v[11:12], s[0:1], v[5:6], -v[11:12]
	v_fma_f64 v[4:5], s[2:3], v[5:6], v[7:8]
	s_waitcnt vmcnt(0) lgkmcnt(0)
	v_mul_f64 v[13:14], s[14:15], v[2:3]
	v_mul_f64 v[2:3], s[12:13], v[2:3]
	v_fma_f64 v[6:7], s[12:13], v[0:1], -v[13:14]
	v_fma_f64 v[2:3], s[14:15], v[0:1], v[2:3]
	v_add_f64 v[0:1], v[11:12], v[6:7]
	v_add_f64 v[2:3], v[4:5], v[2:3]
	flat_store_dwordx4 v[9:10], v[0:3]
.LBB737_5:
	s_endpgm
.LBB737_6:
	v_mov_b32_e32 v7, 0
	v_mov_b32_e32 v5, 0
	;; [unrolled: 1-line block ×4, first 2 shown]
	v_cmp_le_i32_e32 vcc, v9, v2
	s_and_saveexec_b64 s[6:7], vcc
	s_cbranch_execnz .LBB737_4
	s_branch .LBB737_5
	.section	.rodata,"a",@progbits
	.p2align	6, 0x0
	.amdhsa_kernel _ZL41rocblas_syrkx_herkx_small_restrict_kernelIi19rocblas_complex_numIdELi16ELb0ELb0ELc84ELc76EKPKS1_KPS1_EviT_T0_PT6_S7_lSA_S7_lS8_PT7_S7_li
		.amdhsa_group_segment_fixed_size 8192
		.amdhsa_private_segment_fixed_size 0
		.amdhsa_kernarg_size 116
		.amdhsa_user_sgpr_count 6
		.amdhsa_user_sgpr_private_segment_buffer 1
		.amdhsa_user_sgpr_dispatch_ptr 0
		.amdhsa_user_sgpr_queue_ptr 0
		.amdhsa_user_sgpr_kernarg_segment_ptr 1
		.amdhsa_user_sgpr_dispatch_id 0
		.amdhsa_user_sgpr_flat_scratch_init 0
		.amdhsa_user_sgpr_private_segment_size 0
		.amdhsa_uses_dynamic_stack 0
		.amdhsa_system_sgpr_private_segment_wavefront_offset 0
		.amdhsa_system_sgpr_workgroup_id_x 1
		.amdhsa_system_sgpr_workgroup_id_y 1
		.amdhsa_system_sgpr_workgroup_id_z 1
		.amdhsa_system_sgpr_workgroup_info 0
		.amdhsa_system_vgpr_workitem_id 1
		.amdhsa_next_free_vgpr 36
		.amdhsa_next_free_sgpr 61
		.amdhsa_reserve_vcc 1
		.amdhsa_reserve_flat_scratch 0
		.amdhsa_float_round_mode_32 0
		.amdhsa_float_round_mode_16_64 0
		.amdhsa_float_denorm_mode_32 3
		.amdhsa_float_denorm_mode_16_64 3
		.amdhsa_dx10_clamp 1
		.amdhsa_ieee_mode 1
		.amdhsa_fp16_overflow 0
		.amdhsa_exception_fp_ieee_invalid_op 0
		.amdhsa_exception_fp_denorm_src 0
		.amdhsa_exception_fp_ieee_div_zero 0
		.amdhsa_exception_fp_ieee_overflow 0
		.amdhsa_exception_fp_ieee_underflow 0
		.amdhsa_exception_fp_ieee_inexact 0
		.amdhsa_exception_int_div_zero 0
	.end_amdhsa_kernel
	.section	.text._ZL41rocblas_syrkx_herkx_small_restrict_kernelIi19rocblas_complex_numIdELi16ELb0ELb0ELc84ELc76EKPKS1_KPS1_EviT_T0_PT6_S7_lSA_S7_lS8_PT7_S7_li,"axG",@progbits,_ZL41rocblas_syrkx_herkx_small_restrict_kernelIi19rocblas_complex_numIdELi16ELb0ELb0ELc84ELc76EKPKS1_KPS1_EviT_T0_PT6_S7_lSA_S7_lS8_PT7_S7_li,comdat
.Lfunc_end737:
	.size	_ZL41rocblas_syrkx_herkx_small_restrict_kernelIi19rocblas_complex_numIdELi16ELb0ELb0ELc84ELc76EKPKS1_KPS1_EviT_T0_PT6_S7_lSA_S7_lS8_PT7_S7_li, .Lfunc_end737-_ZL41rocblas_syrkx_herkx_small_restrict_kernelIi19rocblas_complex_numIdELi16ELb0ELb0ELc84ELc76EKPKS1_KPS1_EviT_T0_PT6_S7_lSA_S7_lS8_PT7_S7_li
                                        ; -- End function
	.set _ZL41rocblas_syrkx_herkx_small_restrict_kernelIi19rocblas_complex_numIdELi16ELb0ELb0ELc84ELc76EKPKS1_KPS1_EviT_T0_PT6_S7_lSA_S7_lS8_PT7_S7_li.num_vgpr, 36
	.set _ZL41rocblas_syrkx_herkx_small_restrict_kernelIi19rocblas_complex_numIdELi16ELb0ELb0ELc84ELc76EKPKS1_KPS1_EviT_T0_PT6_S7_lSA_S7_lS8_PT7_S7_li.num_agpr, 0
	.set _ZL41rocblas_syrkx_herkx_small_restrict_kernelIi19rocblas_complex_numIdELi16ELb0ELb0ELc84ELc76EKPKS1_KPS1_EviT_T0_PT6_S7_lSA_S7_lS8_PT7_S7_li.numbered_sgpr, 22
	.set _ZL41rocblas_syrkx_herkx_small_restrict_kernelIi19rocblas_complex_numIdELi16ELb0ELb0ELc84ELc76EKPKS1_KPS1_EviT_T0_PT6_S7_lSA_S7_lS8_PT7_S7_li.num_named_barrier, 0
	.set _ZL41rocblas_syrkx_herkx_small_restrict_kernelIi19rocblas_complex_numIdELi16ELb0ELb0ELc84ELc76EKPKS1_KPS1_EviT_T0_PT6_S7_lSA_S7_lS8_PT7_S7_li.private_seg_size, 0
	.set _ZL41rocblas_syrkx_herkx_small_restrict_kernelIi19rocblas_complex_numIdELi16ELb0ELb0ELc84ELc76EKPKS1_KPS1_EviT_T0_PT6_S7_lSA_S7_lS8_PT7_S7_li.uses_vcc, 1
	.set _ZL41rocblas_syrkx_herkx_small_restrict_kernelIi19rocblas_complex_numIdELi16ELb0ELb0ELc84ELc76EKPKS1_KPS1_EviT_T0_PT6_S7_lSA_S7_lS8_PT7_S7_li.uses_flat_scratch, 0
	.set _ZL41rocblas_syrkx_herkx_small_restrict_kernelIi19rocblas_complex_numIdELi16ELb0ELb0ELc84ELc76EKPKS1_KPS1_EviT_T0_PT6_S7_lSA_S7_lS8_PT7_S7_li.has_dyn_sized_stack, 0
	.set _ZL41rocblas_syrkx_herkx_small_restrict_kernelIi19rocblas_complex_numIdELi16ELb0ELb0ELc84ELc76EKPKS1_KPS1_EviT_T0_PT6_S7_lSA_S7_lS8_PT7_S7_li.has_recursion, 0
	.set _ZL41rocblas_syrkx_herkx_small_restrict_kernelIi19rocblas_complex_numIdELi16ELb0ELb0ELc84ELc76EKPKS1_KPS1_EviT_T0_PT6_S7_lSA_S7_lS8_PT7_S7_li.has_indirect_call, 0
	.section	.AMDGPU.csdata,"",@progbits
; Kernel info:
; codeLenInByte = 1656
; TotalNumSgprs: 26
; NumVgprs: 36
; ScratchSize: 0
; MemoryBound: 0
; FloatMode: 240
; IeeeMode: 1
; LDSByteSize: 8192 bytes/workgroup (compile time only)
; SGPRBlocks: 8
; VGPRBlocks: 8
; NumSGPRsForWavesPerEU: 65
; NumVGPRsForWavesPerEU: 36
; Occupancy: 7
; WaveLimiterHint : 1
; COMPUTE_PGM_RSRC2:SCRATCH_EN: 0
; COMPUTE_PGM_RSRC2:USER_SGPR: 6
; COMPUTE_PGM_RSRC2:TRAP_HANDLER: 0
; COMPUTE_PGM_RSRC2:TGID_X_EN: 1
; COMPUTE_PGM_RSRC2:TGID_Y_EN: 1
; COMPUTE_PGM_RSRC2:TGID_Z_EN: 1
; COMPUTE_PGM_RSRC2:TIDIG_COMP_CNT: 1
	.section	.text._ZL41rocblas_syrkx_herkx_small_restrict_kernelIi19rocblas_complex_numIdELi16ELb0ELb0ELc67ELc76EKPKS1_KPS1_EviT_T0_PT6_S7_lSA_S7_lS8_PT7_S7_li,"axG",@progbits,_ZL41rocblas_syrkx_herkx_small_restrict_kernelIi19rocblas_complex_numIdELi16ELb0ELb0ELc67ELc76EKPKS1_KPS1_EviT_T0_PT6_S7_lSA_S7_lS8_PT7_S7_li,comdat
	.globl	_ZL41rocblas_syrkx_herkx_small_restrict_kernelIi19rocblas_complex_numIdELi16ELb0ELb0ELc67ELc76EKPKS1_KPS1_EviT_T0_PT6_S7_lSA_S7_lS8_PT7_S7_li ; -- Begin function _ZL41rocblas_syrkx_herkx_small_restrict_kernelIi19rocblas_complex_numIdELi16ELb0ELb0ELc67ELc76EKPKS1_KPS1_EviT_T0_PT6_S7_lSA_S7_lS8_PT7_S7_li
	.p2align	8
	.type	_ZL41rocblas_syrkx_herkx_small_restrict_kernelIi19rocblas_complex_numIdELi16ELb0ELb0ELc67ELc76EKPKS1_KPS1_EviT_T0_PT6_S7_lSA_S7_lS8_PT7_S7_li,@function
_ZL41rocblas_syrkx_herkx_small_restrict_kernelIi19rocblas_complex_numIdELi16ELb0ELb0ELc67ELc76EKPKS1_KPS1_EviT_T0_PT6_S7_lSA_S7_lS8_PT7_S7_li: ; @_ZL41rocblas_syrkx_herkx_small_restrict_kernelIi19rocblas_complex_numIdELi16ELb0ELb0ELc67ELc76EKPKS1_KPS1_EviT_T0_PT6_S7_lSA_S7_lS8_PT7_S7_li
; %bb.0:
	s_load_dword s20, s[4:5], 0x4
	s_load_dwordx4 s[0:3], s[4:5], 0x8
	s_load_dwordx2 s[10:11], s[4:5], 0x58
	s_load_dwordx2 s[16:17], s[4:5], 0x18
	s_load_dwordx4 s[12:15], s[4:5], 0x48
	s_mov_b32 s9, 0
	s_lshl_b64 s[18:19], s[8:9], 3
	s_waitcnt lgkmcnt(0)
	s_add_u32 s10, s10, s18
	s_addc_u32 s11, s11, s19
	s_load_dwordx2 s[10:11], s[10:11], 0x0
	v_lshl_add_u32 v2, s6, 4, v0
	s_cmp_lt_i32 s20, 1
	v_lshl_add_u32 v9, s7, 4, v1
	s_cbranch_scc1 .LBB738_6
; %bb.1:
	s_load_dwordx2 s[6:7], s[4:5], 0x30
	s_load_dword s8, s[4:5], 0x20
	s_load_dword s21, s[4:5], 0x38
	v_lshlrev_b32_e32 v5, 8, v1
	v_lshlrev_b32_e32 v10, 4, v0
	s_waitcnt lgkmcnt(0)
	s_add_u32 s6, s6, s18
	s_addc_u32 s7, s7, s19
	s_add_u32 s16, s16, s18
	s_addc_u32 s17, s17, s19
	v_mad_i64_i32 v[3:4], s[18:19], s21, v9, 0
	s_load_dwordx2 s[6:7], s[6:7], 0x0
	v_add_u32_e32 v11, v10, v5
	v_add_u32_e32 v12, 0x1000, v5
	v_lshlrev_b64 v[3:4], 4, v[3:4]
	v_mad_i64_i32 v[5:6], s[18:19], s8, v2, 0
	v_add_co_u32_e32 v0, vcc, v3, v10
	s_load_dwordx2 s[16:17], s[16:17], 0x0
	v_addc_co_u32_e32 v4, vcc, 0, v4, vcc
	s_waitcnt lgkmcnt(0)
	v_mov_b32_e32 v7, s7
	v_add_co_u32_e32 v3, vcc, s6, v0
	v_lshlrev_b64 v[5:6], 4, v[5:6]
	v_addc_co_u32_e32 v4, vcc, v7, v4, vcc
	v_lshlrev_b32_e32 v0, 4, v1
	v_add_co_u32_e32 v0, vcc, v5, v0
	v_addc_co_u32_e32 v1, vcc, 0, v6, vcc
	v_mov_b32_e32 v14, s17
	v_mov_b32_e32 v7, 0
	v_mov_b32_e32 v5, 0
	v_add_co_u32_e32 v0, vcc, s16, v0
	v_add_u32_e32 v13, v12, v10
	v_mov_b32_e32 v8, 0
	v_mov_b32_e32 v6, 0
	v_addc_co_u32_e32 v1, vcc, v14, v1, vcc
.LBB738_2:                              ; =>This Inner Loop Header: Depth=1
	flat_load_dwordx4 v[14:17], v[0:1]
	s_add_i32 s9, s9, 16
	s_cmp_lt_i32 s9, s20
	s_waitcnt vmcnt(0) lgkmcnt(0)
	ds_write_b128 v11, v[14:17]
	flat_load_dwordx4 v[14:17], v[3:4]
	v_add_co_u32_e32 v3, vcc, 0x100, v3
	v_addc_co_u32_e32 v4, vcc, 0, v4, vcc
	v_add_co_u32_e32 v0, vcc, 0x100, v0
	v_addc_co_u32_e32 v1, vcc, 0, v1, vcc
	s_waitcnt vmcnt(0) lgkmcnt(0)
	ds_write2_b64 v13, v[14:15], v[16:17] offset1:1
	s_waitcnt lgkmcnt(0)
	s_barrier
	ds_read_b128 v[14:17], v12
	ds_read_b128 v[18:21], v12 offset:16
	ds_read_b128 v[22:25], v12 offset:32
	;; [unrolled: 1-line block ×3, first 2 shown]
	ds_read_b128 v[30:33], v10
	s_waitcnt lgkmcnt(0)
	v_mul_f64 v[34:35], v[16:17], v[32:33]
	v_fma_f64 v[34:35], v[14:15], v[30:31], -v[34:35]
	v_mul_f64 v[14:15], v[14:15], v[32:33]
	v_fma_f64 v[14:15], v[16:17], v[30:31], v[14:15]
	v_add_f64 v[16:17], v[5:6], v[34:35]
	v_add_f64 v[14:15], v[7:8], v[14:15]
	ds_read_b128 v[5:8], v10 offset:256
	s_waitcnt lgkmcnt(0)
	v_mul_f64 v[30:31], v[20:21], v[7:8]
	v_mul_f64 v[7:8], v[18:19], v[7:8]
	v_fma_f64 v[30:31], v[18:19], v[5:6], -v[30:31]
	v_fma_f64 v[5:6], v[20:21], v[5:6], v[7:8]
	v_add_f64 v[16:17], v[16:17], v[30:31]
	v_add_f64 v[14:15], v[14:15], v[5:6]
	ds_read_b128 v[5:8], v10 offset:512
	s_waitcnt lgkmcnt(0)
	v_mul_f64 v[18:19], v[24:25], v[7:8]
	v_mul_f64 v[7:8], v[22:23], v[7:8]
	v_fma_f64 v[18:19], v[22:23], v[5:6], -v[18:19]
	;; [unrolled: 8-line block ×3, first 2 shown]
	v_fma_f64 v[5:6], v[28:29], v[5:6], v[7:8]
	v_add_f64 v[18:19], v[16:17], v[18:19]
	v_add_f64 v[20:21], v[14:15], v[5:6]
	ds_read_b128 v[5:8], v12 offset:64
	ds_read_b128 v[14:17], v10 offset:1024
	s_waitcnt lgkmcnt(0)
	v_mul_f64 v[22:23], v[7:8], v[16:17]
	v_fma_f64 v[22:23], v[5:6], v[14:15], -v[22:23]
	v_mul_f64 v[5:6], v[5:6], v[16:17]
	v_add_f64 v[18:19], v[18:19], v[22:23]
	v_fma_f64 v[5:6], v[7:8], v[14:15], v[5:6]
	v_add_f64 v[20:21], v[20:21], v[5:6]
	ds_read_b128 v[5:8], v12 offset:80
	ds_read_b128 v[14:17], v10 offset:1280
	s_waitcnt lgkmcnt(0)
	v_mul_f64 v[22:23], v[7:8], v[16:17]
	v_fma_f64 v[22:23], v[5:6], v[14:15], -v[22:23]
	v_mul_f64 v[5:6], v[5:6], v[16:17]
	v_add_f64 v[18:19], v[18:19], v[22:23]
	v_fma_f64 v[5:6], v[7:8], v[14:15], v[5:6]
	;; [unrolled: 9-line block ×11, first 2 shown]
	v_add_f64 v[20:21], v[20:21], v[5:6]
	ds_read_b128 v[5:8], v12 offset:240
	ds_read_b128 v[14:17], v10 offset:3840
	s_waitcnt lgkmcnt(0)
	s_barrier
	v_mul_f64 v[22:23], v[7:8], v[16:17]
	v_fma_f64 v[22:23], v[5:6], v[14:15], -v[22:23]
	v_mul_f64 v[5:6], v[5:6], v[16:17]
	v_fma_f64 v[7:8], v[7:8], v[14:15], v[5:6]
	v_add_f64 v[5:6], v[18:19], v[22:23]
	v_add_f64 v[7:8], v[20:21], v[7:8]
	s_cbranch_scc1 .LBB738_2
; %bb.3:
	v_cmp_le_i32_e32 vcc, v9, v2
	s_and_saveexec_b64 s[6:7], vcc
	s_cbranch_execz .LBB738_5
.LBB738_4:
	s_load_dword s4, s[4:5], 0x60
	v_ashrrev_i32_e32 v3, 31, v2
	s_waitcnt lgkmcnt(0)
	v_mov_b32_e32 v4, s11
	v_lshlrev_b64 v[2:3], 4, v[2:3]
	v_mul_f64 v[11:12], s[2:3], v[7:8]
	v_mad_i64_i32 v[0:1], s[4:5], s4, v9, 0
	v_mul_f64 v[7:8], s[0:1], v[7:8]
	v_lshlrev_b64 v[0:1], 4, v[0:1]
	v_add_co_u32_e32 v0, vcc, s10, v0
	v_addc_co_u32_e32 v1, vcc, v4, v1, vcc
	v_add_co_u32_e32 v9, vcc, v0, v2
	v_addc_co_u32_e32 v10, vcc, v1, v3, vcc
	flat_load_dwordx4 v[0:3], v[9:10]
	v_fma_f64 v[11:12], s[0:1], v[5:6], -v[11:12]
	v_fma_f64 v[4:5], s[2:3], v[5:6], v[7:8]
	s_waitcnt vmcnt(0) lgkmcnt(0)
	v_mul_f64 v[13:14], s[14:15], v[2:3]
	v_mul_f64 v[2:3], s[12:13], v[2:3]
	v_fma_f64 v[6:7], s[12:13], v[0:1], -v[13:14]
	v_fma_f64 v[2:3], s[14:15], v[0:1], v[2:3]
	v_add_f64 v[0:1], v[11:12], v[6:7]
	v_add_f64 v[2:3], v[4:5], v[2:3]
	flat_store_dwordx4 v[9:10], v[0:3]
.LBB738_5:
	s_endpgm
.LBB738_6:
	v_mov_b32_e32 v7, 0
	v_mov_b32_e32 v5, 0
	;; [unrolled: 1-line block ×4, first 2 shown]
	v_cmp_le_i32_e32 vcc, v9, v2
	s_and_saveexec_b64 s[6:7], vcc
	s_cbranch_execnz .LBB738_4
	s_branch .LBB738_5
	.section	.rodata,"a",@progbits
	.p2align	6, 0x0
	.amdhsa_kernel _ZL41rocblas_syrkx_herkx_small_restrict_kernelIi19rocblas_complex_numIdELi16ELb0ELb0ELc67ELc76EKPKS1_KPS1_EviT_T0_PT6_S7_lSA_S7_lS8_PT7_S7_li
		.amdhsa_group_segment_fixed_size 8192
		.amdhsa_private_segment_fixed_size 0
		.amdhsa_kernarg_size 116
		.amdhsa_user_sgpr_count 6
		.amdhsa_user_sgpr_private_segment_buffer 1
		.amdhsa_user_sgpr_dispatch_ptr 0
		.amdhsa_user_sgpr_queue_ptr 0
		.amdhsa_user_sgpr_kernarg_segment_ptr 1
		.amdhsa_user_sgpr_dispatch_id 0
		.amdhsa_user_sgpr_flat_scratch_init 0
		.amdhsa_user_sgpr_private_segment_size 0
		.amdhsa_uses_dynamic_stack 0
		.amdhsa_system_sgpr_private_segment_wavefront_offset 0
		.amdhsa_system_sgpr_workgroup_id_x 1
		.amdhsa_system_sgpr_workgroup_id_y 1
		.amdhsa_system_sgpr_workgroup_id_z 1
		.amdhsa_system_sgpr_workgroup_info 0
		.amdhsa_system_vgpr_workitem_id 1
		.amdhsa_next_free_vgpr 36
		.amdhsa_next_free_sgpr 61
		.amdhsa_reserve_vcc 1
		.amdhsa_reserve_flat_scratch 0
		.amdhsa_float_round_mode_32 0
		.amdhsa_float_round_mode_16_64 0
		.amdhsa_float_denorm_mode_32 3
		.amdhsa_float_denorm_mode_16_64 3
		.amdhsa_dx10_clamp 1
		.amdhsa_ieee_mode 1
		.amdhsa_fp16_overflow 0
		.amdhsa_exception_fp_ieee_invalid_op 0
		.amdhsa_exception_fp_denorm_src 0
		.amdhsa_exception_fp_ieee_div_zero 0
		.amdhsa_exception_fp_ieee_overflow 0
		.amdhsa_exception_fp_ieee_underflow 0
		.amdhsa_exception_fp_ieee_inexact 0
		.amdhsa_exception_int_div_zero 0
	.end_amdhsa_kernel
	.section	.text._ZL41rocblas_syrkx_herkx_small_restrict_kernelIi19rocblas_complex_numIdELi16ELb0ELb0ELc67ELc76EKPKS1_KPS1_EviT_T0_PT6_S7_lSA_S7_lS8_PT7_S7_li,"axG",@progbits,_ZL41rocblas_syrkx_herkx_small_restrict_kernelIi19rocblas_complex_numIdELi16ELb0ELb0ELc67ELc76EKPKS1_KPS1_EviT_T0_PT6_S7_lSA_S7_lS8_PT7_S7_li,comdat
.Lfunc_end738:
	.size	_ZL41rocblas_syrkx_herkx_small_restrict_kernelIi19rocblas_complex_numIdELi16ELb0ELb0ELc67ELc76EKPKS1_KPS1_EviT_T0_PT6_S7_lSA_S7_lS8_PT7_S7_li, .Lfunc_end738-_ZL41rocblas_syrkx_herkx_small_restrict_kernelIi19rocblas_complex_numIdELi16ELb0ELb0ELc67ELc76EKPKS1_KPS1_EviT_T0_PT6_S7_lSA_S7_lS8_PT7_S7_li
                                        ; -- End function
	.set _ZL41rocblas_syrkx_herkx_small_restrict_kernelIi19rocblas_complex_numIdELi16ELb0ELb0ELc67ELc76EKPKS1_KPS1_EviT_T0_PT6_S7_lSA_S7_lS8_PT7_S7_li.num_vgpr, 36
	.set _ZL41rocblas_syrkx_herkx_small_restrict_kernelIi19rocblas_complex_numIdELi16ELb0ELb0ELc67ELc76EKPKS1_KPS1_EviT_T0_PT6_S7_lSA_S7_lS8_PT7_S7_li.num_agpr, 0
	.set _ZL41rocblas_syrkx_herkx_small_restrict_kernelIi19rocblas_complex_numIdELi16ELb0ELb0ELc67ELc76EKPKS1_KPS1_EviT_T0_PT6_S7_lSA_S7_lS8_PT7_S7_li.numbered_sgpr, 22
	.set _ZL41rocblas_syrkx_herkx_small_restrict_kernelIi19rocblas_complex_numIdELi16ELb0ELb0ELc67ELc76EKPKS1_KPS1_EviT_T0_PT6_S7_lSA_S7_lS8_PT7_S7_li.num_named_barrier, 0
	.set _ZL41rocblas_syrkx_herkx_small_restrict_kernelIi19rocblas_complex_numIdELi16ELb0ELb0ELc67ELc76EKPKS1_KPS1_EviT_T0_PT6_S7_lSA_S7_lS8_PT7_S7_li.private_seg_size, 0
	.set _ZL41rocblas_syrkx_herkx_small_restrict_kernelIi19rocblas_complex_numIdELi16ELb0ELb0ELc67ELc76EKPKS1_KPS1_EviT_T0_PT6_S7_lSA_S7_lS8_PT7_S7_li.uses_vcc, 1
	.set _ZL41rocblas_syrkx_herkx_small_restrict_kernelIi19rocblas_complex_numIdELi16ELb0ELb0ELc67ELc76EKPKS1_KPS1_EviT_T0_PT6_S7_lSA_S7_lS8_PT7_S7_li.uses_flat_scratch, 0
	.set _ZL41rocblas_syrkx_herkx_small_restrict_kernelIi19rocblas_complex_numIdELi16ELb0ELb0ELc67ELc76EKPKS1_KPS1_EviT_T0_PT6_S7_lSA_S7_lS8_PT7_S7_li.has_dyn_sized_stack, 0
	.set _ZL41rocblas_syrkx_herkx_small_restrict_kernelIi19rocblas_complex_numIdELi16ELb0ELb0ELc67ELc76EKPKS1_KPS1_EviT_T0_PT6_S7_lSA_S7_lS8_PT7_S7_li.has_recursion, 0
	.set _ZL41rocblas_syrkx_herkx_small_restrict_kernelIi19rocblas_complex_numIdELi16ELb0ELb0ELc67ELc76EKPKS1_KPS1_EviT_T0_PT6_S7_lSA_S7_lS8_PT7_S7_li.has_indirect_call, 0
	.section	.AMDGPU.csdata,"",@progbits
; Kernel info:
; codeLenInByte = 1656
; TotalNumSgprs: 26
; NumVgprs: 36
; ScratchSize: 0
; MemoryBound: 0
; FloatMode: 240
; IeeeMode: 1
; LDSByteSize: 8192 bytes/workgroup (compile time only)
; SGPRBlocks: 8
; VGPRBlocks: 8
; NumSGPRsForWavesPerEU: 65
; NumVGPRsForWavesPerEU: 36
; Occupancy: 7
; WaveLimiterHint : 1
; COMPUTE_PGM_RSRC2:SCRATCH_EN: 0
; COMPUTE_PGM_RSRC2:USER_SGPR: 6
; COMPUTE_PGM_RSRC2:TRAP_HANDLER: 0
; COMPUTE_PGM_RSRC2:TGID_X_EN: 1
; COMPUTE_PGM_RSRC2:TGID_Y_EN: 1
; COMPUTE_PGM_RSRC2:TGID_Z_EN: 1
; COMPUTE_PGM_RSRC2:TIDIG_COMP_CNT: 1
	.section	.text._ZL41rocblas_syrkx_herkx_small_restrict_kernelIi19rocblas_complex_numIdELi16ELb0ELb0ELc78ELc76EKPKS1_KPS1_EviT_T0_PT6_S7_lSA_S7_lS8_PT7_S7_li,"axG",@progbits,_ZL41rocblas_syrkx_herkx_small_restrict_kernelIi19rocblas_complex_numIdELi16ELb0ELb0ELc78ELc76EKPKS1_KPS1_EviT_T0_PT6_S7_lSA_S7_lS8_PT7_S7_li,comdat
	.globl	_ZL41rocblas_syrkx_herkx_small_restrict_kernelIi19rocblas_complex_numIdELi16ELb0ELb0ELc78ELc76EKPKS1_KPS1_EviT_T0_PT6_S7_lSA_S7_lS8_PT7_S7_li ; -- Begin function _ZL41rocblas_syrkx_herkx_small_restrict_kernelIi19rocblas_complex_numIdELi16ELb0ELb0ELc78ELc76EKPKS1_KPS1_EviT_T0_PT6_S7_lSA_S7_lS8_PT7_S7_li
	.p2align	8
	.type	_ZL41rocblas_syrkx_herkx_small_restrict_kernelIi19rocblas_complex_numIdELi16ELb0ELb0ELc78ELc76EKPKS1_KPS1_EviT_T0_PT6_S7_lSA_S7_lS8_PT7_S7_li,@function
_ZL41rocblas_syrkx_herkx_small_restrict_kernelIi19rocblas_complex_numIdELi16ELb0ELb0ELc78ELc76EKPKS1_KPS1_EviT_T0_PT6_S7_lSA_S7_lS8_PT7_S7_li: ; @_ZL41rocblas_syrkx_herkx_small_restrict_kernelIi19rocblas_complex_numIdELi16ELb0ELb0ELc78ELc76EKPKS1_KPS1_EviT_T0_PT6_S7_lSA_S7_lS8_PT7_S7_li
; %bb.0:
	s_load_dword s20, s[4:5], 0x4
	s_load_dwordx4 s[0:3], s[4:5], 0x8
	s_load_dwordx2 s[10:11], s[4:5], 0x58
	s_load_dwordx2 s[16:17], s[4:5], 0x18
	s_load_dwordx4 s[12:15], s[4:5], 0x48
	s_mov_b32 s9, 0
	s_lshl_b64 s[18:19], s[8:9], 3
	s_waitcnt lgkmcnt(0)
	s_add_u32 s10, s10, s18
	s_addc_u32 s11, s11, s19
	s_load_dwordx2 s[10:11], s[10:11], 0x0
	v_lshl_add_u32 v2, s6, 4, v0
	v_lshl_add_u32 v4, s7, 4, v1
	s_cmp_lt_i32 s20, 1
	v_ashrrev_i32_e32 v3, 31, v2
	s_cbranch_scc1 .LBB739_6
; %bb.1:
	s_load_dword s22, s[4:5], 0x20
	s_load_dword s6, s[4:5], 0x38
	s_load_dwordx2 s[24:25], s[4:5], 0x30
	v_lshlrev_b32_e32 v8, 8, v1
	v_lshlrev_b32_e32 v11, 4, v0
	s_waitcnt lgkmcnt(0)
	s_ashr_i32 s23, s22, 31
	s_ashr_i32 s7, s6, 31
	s_add_u32 s24, s24, s18
	s_addc_u32 s25, s25, s19
	s_add_u32 s16, s16, s18
	s_addc_u32 s17, s17, s19
	v_mad_i64_i32 v[6:7], s[18:19], s6, v0, 0
	v_ashrrev_i32_e32 v5, 31, v4
	s_load_dwordx2 s[24:25], s[24:25], 0x0
	v_add_u32_e32 v12, v11, v8
	v_add_u32_e32 v13, 0x1000, v8
	v_lshlrev_b64 v[6:7], 4, v[6:7]
	v_lshlrev_b64 v[8:9], 4, v[4:5]
	s_load_dwordx2 s[16:17], s[16:17], 0x0
	v_add_co_u32_e32 v0, vcc, v6, v8
	v_mad_i64_i32 v[5:6], s[18:19], s22, v1, 0
	v_addc_co_u32_e32 v7, vcc, v7, v9, vcc
	s_waitcnt lgkmcnt(0)
	v_mov_b32_e32 v8, s25
	v_add_co_u32_e32 v0, vcc, s24, v0
	v_addc_co_u32_e32 v1, vcc, v8, v7, vcc
	v_lshlrev_b64 v[5:6], 4, v[5:6]
	v_lshlrev_b64 v[7:8], 4, v[2:3]
	s_lshl_b64 s[6:7], s[6:7], 8
	v_add_co_u32_e32 v5, vcc, v5, v7
	v_addc_co_u32_e32 v6, vcc, v6, v8, vcc
	v_mov_b32_e32 v7, s17
	v_add_co_u32_e32 v5, vcc, s16, v5
	v_addc_co_u32_e32 v6, vcc, v7, v6, vcc
	s_lshl_b64 s[16:17], s[22:23], 8
	v_mov_b32_e32 v7, 0
	v_mov_b32_e32 v9, 0
	;; [unrolled: 1-line block ×6, first 2 shown]
.LBB739_2:                              ; =>This Inner Loop Header: Depth=1
	flat_load_dwordx4 v[16:19], v[5:6]
	v_add_u32_e32 v20, v13, v11
	s_add_i32 s9, s9, 16
	s_cmp_lt_i32 s9, s20
	s_waitcnt vmcnt(0) lgkmcnt(0)
	ds_write2_b64 v12, v[16:17], v[18:19] offset1:1
	flat_load_dwordx4 v[16:19], v[0:1]
	v_add_co_u32_e32 v0, vcc, s6, v0
	v_addc_co_u32_e32 v1, vcc, v1, v14, vcc
	v_add_co_u32_e32 v5, vcc, s16, v5
	v_addc_co_u32_e32 v6, vcc, v6, v15, vcc
	s_waitcnt vmcnt(0) lgkmcnt(0)
	ds_write_b128 v20, v[16:19]
	s_waitcnt lgkmcnt(0)
	s_barrier
	ds_read_b128 v[16:19], v13
	ds_read_b128 v[20:23], v13 offset:16
	ds_read_b128 v[24:27], v13 offset:32
	;; [unrolled: 1-line block ×3, first 2 shown]
	ds_read_b128 v[32:35], v11
	s_waitcnt lgkmcnt(0)
	v_mul_f64 v[36:37], v[18:19], v[34:35]
	v_fma_f64 v[36:37], v[16:17], v[32:33], -v[36:37]
	v_mul_f64 v[16:17], v[16:17], v[34:35]
	v_fma_f64 v[16:17], v[18:19], v[32:33], v[16:17]
	v_add_f64 v[18:19], v[9:10], v[36:37]
	v_add_f64 v[16:17], v[7:8], v[16:17]
	ds_read_b128 v[7:10], v11 offset:256
	s_waitcnt lgkmcnt(0)
	v_mul_f64 v[32:33], v[22:23], v[9:10]
	v_mul_f64 v[9:10], v[20:21], v[9:10]
	v_fma_f64 v[32:33], v[20:21], v[7:8], -v[32:33]
	v_fma_f64 v[7:8], v[22:23], v[7:8], v[9:10]
	v_add_f64 v[18:19], v[18:19], v[32:33]
	v_add_f64 v[16:17], v[16:17], v[7:8]
	ds_read_b128 v[7:10], v11 offset:512
	s_waitcnt lgkmcnt(0)
	v_mul_f64 v[20:21], v[26:27], v[9:10]
	v_mul_f64 v[9:10], v[24:25], v[9:10]
	v_fma_f64 v[20:21], v[24:25], v[7:8], -v[20:21]
	;; [unrolled: 8-line block ×3, first 2 shown]
	v_fma_f64 v[7:8], v[30:31], v[7:8], v[9:10]
	v_add_f64 v[20:21], v[18:19], v[20:21]
	v_add_f64 v[22:23], v[16:17], v[7:8]
	ds_read_b128 v[7:10], v13 offset:64
	ds_read_b128 v[16:19], v11 offset:1024
	s_waitcnt lgkmcnt(0)
	v_mul_f64 v[24:25], v[9:10], v[18:19]
	v_fma_f64 v[24:25], v[7:8], v[16:17], -v[24:25]
	v_mul_f64 v[7:8], v[7:8], v[18:19]
	v_add_f64 v[20:21], v[20:21], v[24:25]
	v_fma_f64 v[7:8], v[9:10], v[16:17], v[7:8]
	v_add_f64 v[22:23], v[22:23], v[7:8]
	ds_read_b128 v[7:10], v13 offset:80
	ds_read_b128 v[16:19], v11 offset:1280
	s_waitcnt lgkmcnt(0)
	v_mul_f64 v[24:25], v[9:10], v[18:19]
	v_fma_f64 v[24:25], v[7:8], v[16:17], -v[24:25]
	v_mul_f64 v[7:8], v[7:8], v[18:19]
	v_add_f64 v[20:21], v[20:21], v[24:25]
	v_fma_f64 v[7:8], v[9:10], v[16:17], v[7:8]
	;; [unrolled: 9-line block ×11, first 2 shown]
	v_add_f64 v[22:23], v[22:23], v[7:8]
	ds_read_b128 v[7:10], v13 offset:240
	ds_read_b128 v[16:19], v11 offset:3840
	s_waitcnt lgkmcnt(0)
	s_barrier
	v_mul_f64 v[24:25], v[9:10], v[18:19]
	v_fma_f64 v[24:25], v[7:8], v[16:17], -v[24:25]
	v_mul_f64 v[7:8], v[7:8], v[18:19]
	v_fma_f64 v[7:8], v[9:10], v[16:17], v[7:8]
	v_add_f64 v[9:10], v[20:21], v[24:25]
	v_add_f64 v[7:8], v[22:23], v[7:8]
	s_cbranch_scc1 .LBB739_2
; %bb.3:
	v_cmp_le_i32_e32 vcc, v4, v2
	s_and_saveexec_b64 s[6:7], vcc
	s_cbranch_execz .LBB739_5
.LBB739_4:
	s_load_dword s4, s[4:5], 0x60
	v_lshlrev_b64 v[2:3], 4, v[2:3]
	v_mul_f64 v[11:12], s[2:3], v[7:8]
	v_mul_f64 v[6:7], s[0:1], v[7:8]
	s_waitcnt lgkmcnt(0)
	v_mad_i64_i32 v[0:1], s[4:5], s4, v4, 0
	v_mov_b32_e32 v4, s11
	v_lshlrev_b64 v[0:1], 4, v[0:1]
	v_fma_f64 v[11:12], s[0:1], v[9:10], -v[11:12]
	v_add_co_u32_e32 v0, vcc, s10, v0
	v_addc_co_u32_e32 v1, vcc, v4, v1, vcc
	v_add_co_u32_e32 v4, vcc, v0, v2
	v_addc_co_u32_e32 v5, vcc, v1, v3, vcc
	flat_load_dwordx4 v[0:3], v[4:5]
	v_fma_f64 v[6:7], s[2:3], v[9:10], v[6:7]
	s_waitcnt vmcnt(0) lgkmcnt(0)
	v_mul_f64 v[13:14], s[14:15], v[2:3]
	v_mul_f64 v[2:3], s[12:13], v[2:3]
	v_fma_f64 v[8:9], s[12:13], v[0:1], -v[13:14]
	v_fma_f64 v[2:3], s[14:15], v[0:1], v[2:3]
	v_add_f64 v[0:1], v[11:12], v[8:9]
	v_add_f64 v[2:3], v[6:7], v[2:3]
	flat_store_dwordx4 v[4:5], v[0:3]
.LBB739_5:
	s_endpgm
.LBB739_6:
	v_mov_b32_e32 v7, 0
	v_mov_b32_e32 v9, 0
	;; [unrolled: 1-line block ×4, first 2 shown]
	v_cmp_le_i32_e32 vcc, v4, v2
	s_and_saveexec_b64 s[6:7], vcc
	s_cbranch_execnz .LBB739_4
	s_branch .LBB739_5
	.section	.rodata,"a",@progbits
	.p2align	6, 0x0
	.amdhsa_kernel _ZL41rocblas_syrkx_herkx_small_restrict_kernelIi19rocblas_complex_numIdELi16ELb0ELb0ELc78ELc76EKPKS1_KPS1_EviT_T0_PT6_S7_lSA_S7_lS8_PT7_S7_li
		.amdhsa_group_segment_fixed_size 8192
		.amdhsa_private_segment_fixed_size 0
		.amdhsa_kernarg_size 116
		.amdhsa_user_sgpr_count 6
		.amdhsa_user_sgpr_private_segment_buffer 1
		.amdhsa_user_sgpr_dispatch_ptr 0
		.amdhsa_user_sgpr_queue_ptr 0
		.amdhsa_user_sgpr_kernarg_segment_ptr 1
		.amdhsa_user_sgpr_dispatch_id 0
		.amdhsa_user_sgpr_flat_scratch_init 0
		.amdhsa_user_sgpr_private_segment_size 0
		.amdhsa_uses_dynamic_stack 0
		.amdhsa_system_sgpr_private_segment_wavefront_offset 0
		.amdhsa_system_sgpr_workgroup_id_x 1
		.amdhsa_system_sgpr_workgroup_id_y 1
		.amdhsa_system_sgpr_workgroup_id_z 1
		.amdhsa_system_sgpr_workgroup_info 0
		.amdhsa_system_vgpr_workitem_id 1
		.amdhsa_next_free_vgpr 38
		.amdhsa_next_free_sgpr 61
		.amdhsa_reserve_vcc 1
		.amdhsa_reserve_flat_scratch 0
		.amdhsa_float_round_mode_32 0
		.amdhsa_float_round_mode_16_64 0
		.amdhsa_float_denorm_mode_32 3
		.amdhsa_float_denorm_mode_16_64 3
		.amdhsa_dx10_clamp 1
		.amdhsa_ieee_mode 1
		.amdhsa_fp16_overflow 0
		.amdhsa_exception_fp_ieee_invalid_op 0
		.amdhsa_exception_fp_denorm_src 0
		.amdhsa_exception_fp_ieee_div_zero 0
		.amdhsa_exception_fp_ieee_overflow 0
		.amdhsa_exception_fp_ieee_underflow 0
		.amdhsa_exception_fp_ieee_inexact 0
		.amdhsa_exception_int_div_zero 0
	.end_amdhsa_kernel
	.section	.text._ZL41rocblas_syrkx_herkx_small_restrict_kernelIi19rocblas_complex_numIdELi16ELb0ELb0ELc78ELc76EKPKS1_KPS1_EviT_T0_PT6_S7_lSA_S7_lS8_PT7_S7_li,"axG",@progbits,_ZL41rocblas_syrkx_herkx_small_restrict_kernelIi19rocblas_complex_numIdELi16ELb0ELb0ELc78ELc76EKPKS1_KPS1_EviT_T0_PT6_S7_lSA_S7_lS8_PT7_S7_li,comdat
.Lfunc_end739:
	.size	_ZL41rocblas_syrkx_herkx_small_restrict_kernelIi19rocblas_complex_numIdELi16ELb0ELb0ELc78ELc76EKPKS1_KPS1_EviT_T0_PT6_S7_lSA_S7_lS8_PT7_S7_li, .Lfunc_end739-_ZL41rocblas_syrkx_herkx_small_restrict_kernelIi19rocblas_complex_numIdELi16ELb0ELb0ELc78ELc76EKPKS1_KPS1_EviT_T0_PT6_S7_lSA_S7_lS8_PT7_S7_li
                                        ; -- End function
	.set _ZL41rocblas_syrkx_herkx_small_restrict_kernelIi19rocblas_complex_numIdELi16ELb0ELb0ELc78ELc76EKPKS1_KPS1_EviT_T0_PT6_S7_lSA_S7_lS8_PT7_S7_li.num_vgpr, 38
	.set _ZL41rocblas_syrkx_herkx_small_restrict_kernelIi19rocblas_complex_numIdELi16ELb0ELb0ELc78ELc76EKPKS1_KPS1_EviT_T0_PT6_S7_lSA_S7_lS8_PT7_S7_li.num_agpr, 0
	.set _ZL41rocblas_syrkx_herkx_small_restrict_kernelIi19rocblas_complex_numIdELi16ELb0ELb0ELc78ELc76EKPKS1_KPS1_EviT_T0_PT6_S7_lSA_S7_lS8_PT7_S7_li.numbered_sgpr, 26
	.set _ZL41rocblas_syrkx_herkx_small_restrict_kernelIi19rocblas_complex_numIdELi16ELb0ELb0ELc78ELc76EKPKS1_KPS1_EviT_T0_PT6_S7_lSA_S7_lS8_PT7_S7_li.num_named_barrier, 0
	.set _ZL41rocblas_syrkx_herkx_small_restrict_kernelIi19rocblas_complex_numIdELi16ELb0ELb0ELc78ELc76EKPKS1_KPS1_EviT_T0_PT6_S7_lSA_S7_lS8_PT7_S7_li.private_seg_size, 0
	.set _ZL41rocblas_syrkx_herkx_small_restrict_kernelIi19rocblas_complex_numIdELi16ELb0ELb0ELc78ELc76EKPKS1_KPS1_EviT_T0_PT6_S7_lSA_S7_lS8_PT7_S7_li.uses_vcc, 1
	.set _ZL41rocblas_syrkx_herkx_small_restrict_kernelIi19rocblas_complex_numIdELi16ELb0ELb0ELc78ELc76EKPKS1_KPS1_EviT_T0_PT6_S7_lSA_S7_lS8_PT7_S7_li.uses_flat_scratch, 0
	.set _ZL41rocblas_syrkx_herkx_small_restrict_kernelIi19rocblas_complex_numIdELi16ELb0ELb0ELc78ELc76EKPKS1_KPS1_EviT_T0_PT6_S7_lSA_S7_lS8_PT7_S7_li.has_dyn_sized_stack, 0
	.set _ZL41rocblas_syrkx_herkx_small_restrict_kernelIi19rocblas_complex_numIdELi16ELb0ELb0ELc78ELc76EKPKS1_KPS1_EviT_T0_PT6_S7_lSA_S7_lS8_PT7_S7_li.has_recursion, 0
	.set _ZL41rocblas_syrkx_herkx_small_restrict_kernelIi19rocblas_complex_numIdELi16ELb0ELb0ELc78ELc76EKPKS1_KPS1_EviT_T0_PT6_S7_lSA_S7_lS8_PT7_S7_li.has_indirect_call, 0
	.section	.AMDGPU.csdata,"",@progbits
; Kernel info:
; codeLenInByte = 1688
; TotalNumSgprs: 30
; NumVgprs: 38
; ScratchSize: 0
; MemoryBound: 0
; FloatMode: 240
; IeeeMode: 1
; LDSByteSize: 8192 bytes/workgroup (compile time only)
; SGPRBlocks: 8
; VGPRBlocks: 9
; NumSGPRsForWavesPerEU: 65
; NumVGPRsForWavesPerEU: 38
; Occupancy: 6
; WaveLimiterHint : 1
; COMPUTE_PGM_RSRC2:SCRATCH_EN: 0
; COMPUTE_PGM_RSRC2:USER_SGPR: 6
; COMPUTE_PGM_RSRC2:TRAP_HANDLER: 0
; COMPUTE_PGM_RSRC2:TGID_X_EN: 1
; COMPUTE_PGM_RSRC2:TGID_Y_EN: 1
; COMPUTE_PGM_RSRC2:TGID_Z_EN: 1
; COMPUTE_PGM_RSRC2:TIDIG_COMP_CNT: 1
	.section	.text._ZL41rocblas_syrkx_herkx_small_restrict_kernelIi19rocblas_complex_numIdELi16ELb0ELb0ELc84ELc85EKPKS1_KPS1_EviT_T0_PT6_S7_lSA_S7_lS8_PT7_S7_li,"axG",@progbits,_ZL41rocblas_syrkx_herkx_small_restrict_kernelIi19rocblas_complex_numIdELi16ELb0ELb0ELc84ELc85EKPKS1_KPS1_EviT_T0_PT6_S7_lSA_S7_lS8_PT7_S7_li,comdat
	.globl	_ZL41rocblas_syrkx_herkx_small_restrict_kernelIi19rocblas_complex_numIdELi16ELb0ELb0ELc84ELc85EKPKS1_KPS1_EviT_T0_PT6_S7_lSA_S7_lS8_PT7_S7_li ; -- Begin function _ZL41rocblas_syrkx_herkx_small_restrict_kernelIi19rocblas_complex_numIdELi16ELb0ELb0ELc84ELc85EKPKS1_KPS1_EviT_T0_PT6_S7_lSA_S7_lS8_PT7_S7_li
	.p2align	8
	.type	_ZL41rocblas_syrkx_herkx_small_restrict_kernelIi19rocblas_complex_numIdELi16ELb0ELb0ELc84ELc85EKPKS1_KPS1_EviT_T0_PT6_S7_lSA_S7_lS8_PT7_S7_li,@function
_ZL41rocblas_syrkx_herkx_small_restrict_kernelIi19rocblas_complex_numIdELi16ELb0ELb0ELc84ELc85EKPKS1_KPS1_EviT_T0_PT6_S7_lSA_S7_lS8_PT7_S7_li: ; @_ZL41rocblas_syrkx_herkx_small_restrict_kernelIi19rocblas_complex_numIdELi16ELb0ELb0ELc84ELc85EKPKS1_KPS1_EviT_T0_PT6_S7_lSA_S7_lS8_PT7_S7_li
; %bb.0:
	s_load_dword s20, s[4:5], 0x4
	s_load_dwordx4 s[0:3], s[4:5], 0x8
	s_load_dwordx2 s[10:11], s[4:5], 0x58
	s_load_dwordx2 s[16:17], s[4:5], 0x18
	s_load_dwordx4 s[12:15], s[4:5], 0x48
	s_mov_b32 s9, 0
	s_lshl_b64 s[18:19], s[8:9], 3
	s_waitcnt lgkmcnt(0)
	s_add_u32 s10, s10, s18
	s_addc_u32 s11, s11, s19
	s_load_dwordx2 s[10:11], s[10:11], 0x0
	v_lshl_add_u32 v2, s6, 4, v0
	s_cmp_lt_i32 s20, 1
	v_lshl_add_u32 v9, s7, 4, v1
	s_cbranch_scc1 .LBB740_6
; %bb.1:
	s_load_dwordx2 s[6:7], s[4:5], 0x30
	s_load_dword s8, s[4:5], 0x20
	s_load_dword s21, s[4:5], 0x38
	v_lshlrev_b32_e32 v5, 8, v1
	v_lshlrev_b32_e32 v10, 4, v0
	s_waitcnt lgkmcnt(0)
	s_add_u32 s6, s6, s18
	s_addc_u32 s7, s7, s19
	s_add_u32 s16, s16, s18
	s_addc_u32 s17, s17, s19
	v_mad_i64_i32 v[3:4], s[18:19], s21, v9, 0
	s_load_dwordx2 s[6:7], s[6:7], 0x0
	v_add_u32_e32 v11, v10, v5
	v_add_u32_e32 v12, 0x1000, v5
	v_lshlrev_b64 v[3:4], 4, v[3:4]
	v_mad_i64_i32 v[5:6], s[18:19], s8, v2, 0
	v_add_co_u32_e32 v0, vcc, v3, v10
	s_load_dwordx2 s[16:17], s[16:17], 0x0
	v_addc_co_u32_e32 v4, vcc, 0, v4, vcc
	s_waitcnt lgkmcnt(0)
	v_mov_b32_e32 v7, s7
	v_add_co_u32_e32 v3, vcc, s6, v0
	v_lshlrev_b64 v[5:6], 4, v[5:6]
	v_addc_co_u32_e32 v4, vcc, v7, v4, vcc
	v_lshlrev_b32_e32 v0, 4, v1
	v_add_co_u32_e32 v0, vcc, v5, v0
	v_addc_co_u32_e32 v1, vcc, 0, v6, vcc
	v_mov_b32_e32 v14, s17
	v_mov_b32_e32 v7, 0
	;; [unrolled: 1-line block ×3, first 2 shown]
	v_add_co_u32_e32 v0, vcc, s16, v0
	v_add_u32_e32 v13, v12, v10
	v_mov_b32_e32 v8, 0
	v_mov_b32_e32 v6, 0
	v_addc_co_u32_e32 v1, vcc, v14, v1, vcc
.LBB740_2:                              ; =>This Inner Loop Header: Depth=1
	flat_load_dwordx4 v[14:17], v[0:1]
	s_add_i32 s9, s9, 16
	s_cmp_lt_i32 s9, s20
	s_waitcnt vmcnt(0) lgkmcnt(0)
	ds_write2_b64 v11, v[14:15], v[16:17] offset1:1
	flat_load_dwordx4 v[14:17], v[3:4]
	v_add_co_u32_e32 v3, vcc, 0x100, v3
	v_addc_co_u32_e32 v4, vcc, 0, v4, vcc
	v_add_co_u32_e32 v0, vcc, 0x100, v0
	v_addc_co_u32_e32 v1, vcc, 0, v1, vcc
	s_waitcnt vmcnt(0) lgkmcnt(0)
	ds_write2_b64 v13, v[14:15], v[16:17] offset1:1
	s_waitcnt lgkmcnt(0)
	s_barrier
	ds_read_b128 v[14:17], v12
	ds_read_b128 v[18:21], v12 offset:16
	ds_read_b128 v[22:25], v12 offset:32
	;; [unrolled: 1-line block ×3, first 2 shown]
	ds_read_b128 v[30:33], v10
	s_waitcnt lgkmcnt(0)
	v_mul_f64 v[34:35], v[16:17], v[32:33]
	v_fma_f64 v[34:35], v[14:15], v[30:31], -v[34:35]
	v_mul_f64 v[14:15], v[14:15], v[32:33]
	v_fma_f64 v[14:15], v[16:17], v[30:31], v[14:15]
	v_add_f64 v[16:17], v[5:6], v[34:35]
	v_add_f64 v[14:15], v[7:8], v[14:15]
	ds_read_b128 v[5:8], v10 offset:256
	s_waitcnt lgkmcnt(0)
	v_mul_f64 v[30:31], v[20:21], v[7:8]
	v_mul_f64 v[7:8], v[18:19], v[7:8]
	v_fma_f64 v[30:31], v[18:19], v[5:6], -v[30:31]
	v_fma_f64 v[5:6], v[20:21], v[5:6], v[7:8]
	v_add_f64 v[16:17], v[16:17], v[30:31]
	v_add_f64 v[14:15], v[14:15], v[5:6]
	ds_read_b128 v[5:8], v10 offset:512
	s_waitcnt lgkmcnt(0)
	v_mul_f64 v[18:19], v[24:25], v[7:8]
	v_mul_f64 v[7:8], v[22:23], v[7:8]
	v_fma_f64 v[18:19], v[22:23], v[5:6], -v[18:19]
	;; [unrolled: 8-line block ×3, first 2 shown]
	v_fma_f64 v[5:6], v[28:29], v[5:6], v[7:8]
	v_add_f64 v[18:19], v[16:17], v[18:19]
	v_add_f64 v[20:21], v[14:15], v[5:6]
	ds_read_b128 v[5:8], v12 offset:64
	ds_read_b128 v[14:17], v10 offset:1024
	s_waitcnt lgkmcnt(0)
	v_mul_f64 v[22:23], v[7:8], v[16:17]
	v_fma_f64 v[22:23], v[5:6], v[14:15], -v[22:23]
	v_mul_f64 v[5:6], v[5:6], v[16:17]
	v_add_f64 v[18:19], v[18:19], v[22:23]
	v_fma_f64 v[5:6], v[7:8], v[14:15], v[5:6]
	v_add_f64 v[20:21], v[20:21], v[5:6]
	ds_read_b128 v[5:8], v12 offset:80
	ds_read_b128 v[14:17], v10 offset:1280
	s_waitcnt lgkmcnt(0)
	v_mul_f64 v[22:23], v[7:8], v[16:17]
	v_fma_f64 v[22:23], v[5:6], v[14:15], -v[22:23]
	v_mul_f64 v[5:6], v[5:6], v[16:17]
	v_add_f64 v[18:19], v[18:19], v[22:23]
	v_fma_f64 v[5:6], v[7:8], v[14:15], v[5:6]
	;; [unrolled: 9-line block ×11, first 2 shown]
	v_add_f64 v[20:21], v[20:21], v[5:6]
	ds_read_b128 v[5:8], v12 offset:240
	ds_read_b128 v[14:17], v10 offset:3840
	s_waitcnt lgkmcnt(0)
	s_barrier
	v_mul_f64 v[22:23], v[7:8], v[16:17]
	v_fma_f64 v[22:23], v[5:6], v[14:15], -v[22:23]
	v_mul_f64 v[5:6], v[5:6], v[16:17]
	v_fma_f64 v[7:8], v[7:8], v[14:15], v[5:6]
	v_add_f64 v[5:6], v[18:19], v[22:23]
	v_add_f64 v[7:8], v[20:21], v[7:8]
	s_cbranch_scc1 .LBB740_2
; %bb.3:
	v_cmp_le_i32_e32 vcc, v2, v9
	s_and_saveexec_b64 s[6:7], vcc
	s_cbranch_execz .LBB740_5
.LBB740_4:
	s_load_dword s4, s[4:5], 0x60
	v_ashrrev_i32_e32 v3, 31, v2
	s_waitcnt lgkmcnt(0)
	v_mov_b32_e32 v4, s11
	v_lshlrev_b64 v[2:3], 4, v[2:3]
	v_mul_f64 v[11:12], s[2:3], v[7:8]
	v_mad_i64_i32 v[0:1], s[4:5], s4, v9, 0
	v_mul_f64 v[7:8], s[0:1], v[7:8]
	v_lshlrev_b64 v[0:1], 4, v[0:1]
	v_add_co_u32_e32 v0, vcc, s10, v0
	v_addc_co_u32_e32 v1, vcc, v4, v1, vcc
	v_add_co_u32_e32 v9, vcc, v0, v2
	v_addc_co_u32_e32 v10, vcc, v1, v3, vcc
	flat_load_dwordx4 v[0:3], v[9:10]
	v_fma_f64 v[11:12], s[0:1], v[5:6], -v[11:12]
	v_fma_f64 v[4:5], s[2:3], v[5:6], v[7:8]
	s_waitcnt vmcnt(0) lgkmcnt(0)
	v_mul_f64 v[13:14], s[14:15], v[2:3]
	v_mul_f64 v[2:3], s[12:13], v[2:3]
	v_fma_f64 v[6:7], s[12:13], v[0:1], -v[13:14]
	v_fma_f64 v[2:3], s[14:15], v[0:1], v[2:3]
	v_add_f64 v[0:1], v[11:12], v[6:7]
	v_add_f64 v[2:3], v[4:5], v[2:3]
	flat_store_dwordx4 v[9:10], v[0:3]
.LBB740_5:
	s_endpgm
.LBB740_6:
	v_mov_b32_e32 v7, 0
	v_mov_b32_e32 v5, 0
	;; [unrolled: 1-line block ×4, first 2 shown]
	v_cmp_le_i32_e32 vcc, v2, v9
	s_and_saveexec_b64 s[6:7], vcc
	s_cbranch_execnz .LBB740_4
	s_branch .LBB740_5
	.section	.rodata,"a",@progbits
	.p2align	6, 0x0
	.amdhsa_kernel _ZL41rocblas_syrkx_herkx_small_restrict_kernelIi19rocblas_complex_numIdELi16ELb0ELb0ELc84ELc85EKPKS1_KPS1_EviT_T0_PT6_S7_lSA_S7_lS8_PT7_S7_li
		.amdhsa_group_segment_fixed_size 8192
		.amdhsa_private_segment_fixed_size 0
		.amdhsa_kernarg_size 116
		.amdhsa_user_sgpr_count 6
		.amdhsa_user_sgpr_private_segment_buffer 1
		.amdhsa_user_sgpr_dispatch_ptr 0
		.amdhsa_user_sgpr_queue_ptr 0
		.amdhsa_user_sgpr_kernarg_segment_ptr 1
		.amdhsa_user_sgpr_dispatch_id 0
		.amdhsa_user_sgpr_flat_scratch_init 0
		.amdhsa_user_sgpr_private_segment_size 0
		.amdhsa_uses_dynamic_stack 0
		.amdhsa_system_sgpr_private_segment_wavefront_offset 0
		.amdhsa_system_sgpr_workgroup_id_x 1
		.amdhsa_system_sgpr_workgroup_id_y 1
		.amdhsa_system_sgpr_workgroup_id_z 1
		.amdhsa_system_sgpr_workgroup_info 0
		.amdhsa_system_vgpr_workitem_id 1
		.amdhsa_next_free_vgpr 36
		.amdhsa_next_free_sgpr 61
		.amdhsa_reserve_vcc 1
		.amdhsa_reserve_flat_scratch 0
		.amdhsa_float_round_mode_32 0
		.amdhsa_float_round_mode_16_64 0
		.amdhsa_float_denorm_mode_32 3
		.amdhsa_float_denorm_mode_16_64 3
		.amdhsa_dx10_clamp 1
		.amdhsa_ieee_mode 1
		.amdhsa_fp16_overflow 0
		.amdhsa_exception_fp_ieee_invalid_op 0
		.amdhsa_exception_fp_denorm_src 0
		.amdhsa_exception_fp_ieee_div_zero 0
		.amdhsa_exception_fp_ieee_overflow 0
		.amdhsa_exception_fp_ieee_underflow 0
		.amdhsa_exception_fp_ieee_inexact 0
		.amdhsa_exception_int_div_zero 0
	.end_amdhsa_kernel
	.section	.text._ZL41rocblas_syrkx_herkx_small_restrict_kernelIi19rocblas_complex_numIdELi16ELb0ELb0ELc84ELc85EKPKS1_KPS1_EviT_T0_PT6_S7_lSA_S7_lS8_PT7_S7_li,"axG",@progbits,_ZL41rocblas_syrkx_herkx_small_restrict_kernelIi19rocblas_complex_numIdELi16ELb0ELb0ELc84ELc85EKPKS1_KPS1_EviT_T0_PT6_S7_lSA_S7_lS8_PT7_S7_li,comdat
.Lfunc_end740:
	.size	_ZL41rocblas_syrkx_herkx_small_restrict_kernelIi19rocblas_complex_numIdELi16ELb0ELb0ELc84ELc85EKPKS1_KPS1_EviT_T0_PT6_S7_lSA_S7_lS8_PT7_S7_li, .Lfunc_end740-_ZL41rocblas_syrkx_herkx_small_restrict_kernelIi19rocblas_complex_numIdELi16ELb0ELb0ELc84ELc85EKPKS1_KPS1_EviT_T0_PT6_S7_lSA_S7_lS8_PT7_S7_li
                                        ; -- End function
	.set _ZL41rocblas_syrkx_herkx_small_restrict_kernelIi19rocblas_complex_numIdELi16ELb0ELb0ELc84ELc85EKPKS1_KPS1_EviT_T0_PT6_S7_lSA_S7_lS8_PT7_S7_li.num_vgpr, 36
	.set _ZL41rocblas_syrkx_herkx_small_restrict_kernelIi19rocblas_complex_numIdELi16ELb0ELb0ELc84ELc85EKPKS1_KPS1_EviT_T0_PT6_S7_lSA_S7_lS8_PT7_S7_li.num_agpr, 0
	.set _ZL41rocblas_syrkx_herkx_small_restrict_kernelIi19rocblas_complex_numIdELi16ELb0ELb0ELc84ELc85EKPKS1_KPS1_EviT_T0_PT6_S7_lSA_S7_lS8_PT7_S7_li.numbered_sgpr, 22
	.set _ZL41rocblas_syrkx_herkx_small_restrict_kernelIi19rocblas_complex_numIdELi16ELb0ELb0ELc84ELc85EKPKS1_KPS1_EviT_T0_PT6_S7_lSA_S7_lS8_PT7_S7_li.num_named_barrier, 0
	.set _ZL41rocblas_syrkx_herkx_small_restrict_kernelIi19rocblas_complex_numIdELi16ELb0ELb0ELc84ELc85EKPKS1_KPS1_EviT_T0_PT6_S7_lSA_S7_lS8_PT7_S7_li.private_seg_size, 0
	.set _ZL41rocblas_syrkx_herkx_small_restrict_kernelIi19rocblas_complex_numIdELi16ELb0ELb0ELc84ELc85EKPKS1_KPS1_EviT_T0_PT6_S7_lSA_S7_lS8_PT7_S7_li.uses_vcc, 1
	.set _ZL41rocblas_syrkx_herkx_small_restrict_kernelIi19rocblas_complex_numIdELi16ELb0ELb0ELc84ELc85EKPKS1_KPS1_EviT_T0_PT6_S7_lSA_S7_lS8_PT7_S7_li.uses_flat_scratch, 0
	.set _ZL41rocblas_syrkx_herkx_small_restrict_kernelIi19rocblas_complex_numIdELi16ELb0ELb0ELc84ELc85EKPKS1_KPS1_EviT_T0_PT6_S7_lSA_S7_lS8_PT7_S7_li.has_dyn_sized_stack, 0
	.set _ZL41rocblas_syrkx_herkx_small_restrict_kernelIi19rocblas_complex_numIdELi16ELb0ELb0ELc84ELc85EKPKS1_KPS1_EviT_T0_PT6_S7_lSA_S7_lS8_PT7_S7_li.has_recursion, 0
	.set _ZL41rocblas_syrkx_herkx_small_restrict_kernelIi19rocblas_complex_numIdELi16ELb0ELb0ELc84ELc85EKPKS1_KPS1_EviT_T0_PT6_S7_lSA_S7_lS8_PT7_S7_li.has_indirect_call, 0
	.section	.AMDGPU.csdata,"",@progbits
; Kernel info:
; codeLenInByte = 1656
; TotalNumSgprs: 26
; NumVgprs: 36
; ScratchSize: 0
; MemoryBound: 0
; FloatMode: 240
; IeeeMode: 1
; LDSByteSize: 8192 bytes/workgroup (compile time only)
; SGPRBlocks: 8
; VGPRBlocks: 8
; NumSGPRsForWavesPerEU: 65
; NumVGPRsForWavesPerEU: 36
; Occupancy: 7
; WaveLimiterHint : 1
; COMPUTE_PGM_RSRC2:SCRATCH_EN: 0
; COMPUTE_PGM_RSRC2:USER_SGPR: 6
; COMPUTE_PGM_RSRC2:TRAP_HANDLER: 0
; COMPUTE_PGM_RSRC2:TGID_X_EN: 1
; COMPUTE_PGM_RSRC2:TGID_Y_EN: 1
; COMPUTE_PGM_RSRC2:TGID_Z_EN: 1
; COMPUTE_PGM_RSRC2:TIDIG_COMP_CNT: 1
	.section	.text._ZL41rocblas_syrkx_herkx_small_restrict_kernelIi19rocblas_complex_numIdELi16ELb0ELb0ELc67ELc85EKPKS1_KPS1_EviT_T0_PT6_S7_lSA_S7_lS8_PT7_S7_li,"axG",@progbits,_ZL41rocblas_syrkx_herkx_small_restrict_kernelIi19rocblas_complex_numIdELi16ELb0ELb0ELc67ELc85EKPKS1_KPS1_EviT_T0_PT6_S7_lSA_S7_lS8_PT7_S7_li,comdat
	.globl	_ZL41rocblas_syrkx_herkx_small_restrict_kernelIi19rocblas_complex_numIdELi16ELb0ELb0ELc67ELc85EKPKS1_KPS1_EviT_T0_PT6_S7_lSA_S7_lS8_PT7_S7_li ; -- Begin function _ZL41rocblas_syrkx_herkx_small_restrict_kernelIi19rocblas_complex_numIdELi16ELb0ELb0ELc67ELc85EKPKS1_KPS1_EviT_T0_PT6_S7_lSA_S7_lS8_PT7_S7_li
	.p2align	8
	.type	_ZL41rocblas_syrkx_herkx_small_restrict_kernelIi19rocblas_complex_numIdELi16ELb0ELb0ELc67ELc85EKPKS1_KPS1_EviT_T0_PT6_S7_lSA_S7_lS8_PT7_S7_li,@function
_ZL41rocblas_syrkx_herkx_small_restrict_kernelIi19rocblas_complex_numIdELi16ELb0ELb0ELc67ELc85EKPKS1_KPS1_EviT_T0_PT6_S7_lSA_S7_lS8_PT7_S7_li: ; @_ZL41rocblas_syrkx_herkx_small_restrict_kernelIi19rocblas_complex_numIdELi16ELb0ELb0ELc67ELc85EKPKS1_KPS1_EviT_T0_PT6_S7_lSA_S7_lS8_PT7_S7_li
; %bb.0:
	s_load_dword s20, s[4:5], 0x4
	s_load_dwordx4 s[0:3], s[4:5], 0x8
	s_load_dwordx2 s[10:11], s[4:5], 0x58
	s_load_dwordx2 s[16:17], s[4:5], 0x18
	s_load_dwordx4 s[12:15], s[4:5], 0x48
	s_mov_b32 s9, 0
	s_lshl_b64 s[18:19], s[8:9], 3
	s_waitcnt lgkmcnt(0)
	s_add_u32 s10, s10, s18
	s_addc_u32 s11, s11, s19
	s_load_dwordx2 s[10:11], s[10:11], 0x0
	v_lshl_add_u32 v2, s6, 4, v0
	s_cmp_lt_i32 s20, 1
	v_lshl_add_u32 v9, s7, 4, v1
	s_cbranch_scc1 .LBB741_6
; %bb.1:
	s_load_dwordx2 s[6:7], s[4:5], 0x30
	s_load_dword s8, s[4:5], 0x20
	s_load_dword s21, s[4:5], 0x38
	v_lshlrev_b32_e32 v5, 8, v1
	v_lshlrev_b32_e32 v10, 4, v0
	s_waitcnt lgkmcnt(0)
	s_add_u32 s6, s6, s18
	s_addc_u32 s7, s7, s19
	s_add_u32 s16, s16, s18
	s_addc_u32 s17, s17, s19
	v_mad_i64_i32 v[3:4], s[18:19], s21, v9, 0
	s_load_dwordx2 s[6:7], s[6:7], 0x0
	v_add_u32_e32 v11, v10, v5
	v_add_u32_e32 v12, 0x1000, v5
	v_lshlrev_b64 v[3:4], 4, v[3:4]
	v_mad_i64_i32 v[5:6], s[18:19], s8, v2, 0
	v_add_co_u32_e32 v0, vcc, v3, v10
	s_load_dwordx2 s[16:17], s[16:17], 0x0
	v_addc_co_u32_e32 v4, vcc, 0, v4, vcc
	s_waitcnt lgkmcnt(0)
	v_mov_b32_e32 v7, s7
	v_add_co_u32_e32 v3, vcc, s6, v0
	v_lshlrev_b64 v[5:6], 4, v[5:6]
	v_addc_co_u32_e32 v4, vcc, v7, v4, vcc
	v_lshlrev_b32_e32 v0, 4, v1
	v_add_co_u32_e32 v0, vcc, v5, v0
	v_addc_co_u32_e32 v1, vcc, 0, v6, vcc
	v_mov_b32_e32 v14, s17
	v_mov_b32_e32 v7, 0
	;; [unrolled: 1-line block ×3, first 2 shown]
	v_add_co_u32_e32 v0, vcc, s16, v0
	v_add_u32_e32 v13, v12, v10
	v_mov_b32_e32 v8, 0
	v_mov_b32_e32 v6, 0
	v_addc_co_u32_e32 v1, vcc, v14, v1, vcc
.LBB741_2:                              ; =>This Inner Loop Header: Depth=1
	flat_load_dwordx4 v[14:17], v[0:1]
	s_add_i32 s9, s9, 16
	s_cmp_lt_i32 s9, s20
	s_waitcnt vmcnt(0) lgkmcnt(0)
	ds_write_b128 v11, v[14:17]
	flat_load_dwordx4 v[14:17], v[3:4]
	v_add_co_u32_e32 v3, vcc, 0x100, v3
	v_addc_co_u32_e32 v4, vcc, 0, v4, vcc
	v_add_co_u32_e32 v0, vcc, 0x100, v0
	v_addc_co_u32_e32 v1, vcc, 0, v1, vcc
	s_waitcnt vmcnt(0) lgkmcnt(0)
	ds_write2_b64 v13, v[14:15], v[16:17] offset1:1
	s_waitcnt lgkmcnt(0)
	s_barrier
	ds_read_b128 v[14:17], v12
	ds_read_b128 v[18:21], v12 offset:16
	ds_read_b128 v[22:25], v12 offset:32
	;; [unrolled: 1-line block ×3, first 2 shown]
	ds_read_b128 v[30:33], v10
	s_waitcnt lgkmcnt(0)
	v_mul_f64 v[34:35], v[16:17], v[32:33]
	v_fma_f64 v[34:35], v[14:15], v[30:31], -v[34:35]
	v_mul_f64 v[14:15], v[14:15], v[32:33]
	v_fma_f64 v[14:15], v[16:17], v[30:31], v[14:15]
	v_add_f64 v[16:17], v[5:6], v[34:35]
	v_add_f64 v[14:15], v[7:8], v[14:15]
	ds_read_b128 v[5:8], v10 offset:256
	s_waitcnt lgkmcnt(0)
	v_mul_f64 v[30:31], v[20:21], v[7:8]
	v_mul_f64 v[7:8], v[18:19], v[7:8]
	v_fma_f64 v[30:31], v[18:19], v[5:6], -v[30:31]
	v_fma_f64 v[5:6], v[20:21], v[5:6], v[7:8]
	v_add_f64 v[16:17], v[16:17], v[30:31]
	v_add_f64 v[14:15], v[14:15], v[5:6]
	ds_read_b128 v[5:8], v10 offset:512
	s_waitcnt lgkmcnt(0)
	v_mul_f64 v[18:19], v[24:25], v[7:8]
	v_mul_f64 v[7:8], v[22:23], v[7:8]
	v_fma_f64 v[18:19], v[22:23], v[5:6], -v[18:19]
	;; [unrolled: 8-line block ×3, first 2 shown]
	v_fma_f64 v[5:6], v[28:29], v[5:6], v[7:8]
	v_add_f64 v[18:19], v[16:17], v[18:19]
	v_add_f64 v[20:21], v[14:15], v[5:6]
	ds_read_b128 v[5:8], v12 offset:64
	ds_read_b128 v[14:17], v10 offset:1024
	s_waitcnt lgkmcnt(0)
	v_mul_f64 v[22:23], v[7:8], v[16:17]
	v_fma_f64 v[22:23], v[5:6], v[14:15], -v[22:23]
	v_mul_f64 v[5:6], v[5:6], v[16:17]
	v_add_f64 v[18:19], v[18:19], v[22:23]
	v_fma_f64 v[5:6], v[7:8], v[14:15], v[5:6]
	v_add_f64 v[20:21], v[20:21], v[5:6]
	ds_read_b128 v[5:8], v12 offset:80
	ds_read_b128 v[14:17], v10 offset:1280
	s_waitcnt lgkmcnt(0)
	v_mul_f64 v[22:23], v[7:8], v[16:17]
	v_fma_f64 v[22:23], v[5:6], v[14:15], -v[22:23]
	v_mul_f64 v[5:6], v[5:6], v[16:17]
	v_add_f64 v[18:19], v[18:19], v[22:23]
	v_fma_f64 v[5:6], v[7:8], v[14:15], v[5:6]
	;; [unrolled: 9-line block ×11, first 2 shown]
	v_add_f64 v[20:21], v[20:21], v[5:6]
	ds_read_b128 v[5:8], v12 offset:240
	ds_read_b128 v[14:17], v10 offset:3840
	s_waitcnt lgkmcnt(0)
	s_barrier
	v_mul_f64 v[22:23], v[7:8], v[16:17]
	v_fma_f64 v[22:23], v[5:6], v[14:15], -v[22:23]
	v_mul_f64 v[5:6], v[5:6], v[16:17]
	v_fma_f64 v[7:8], v[7:8], v[14:15], v[5:6]
	v_add_f64 v[5:6], v[18:19], v[22:23]
	v_add_f64 v[7:8], v[20:21], v[7:8]
	s_cbranch_scc1 .LBB741_2
; %bb.3:
	v_cmp_le_i32_e32 vcc, v2, v9
	s_and_saveexec_b64 s[6:7], vcc
	s_cbranch_execz .LBB741_5
.LBB741_4:
	s_load_dword s4, s[4:5], 0x60
	v_ashrrev_i32_e32 v3, 31, v2
	s_waitcnt lgkmcnt(0)
	v_mov_b32_e32 v4, s11
	v_lshlrev_b64 v[2:3], 4, v[2:3]
	v_mul_f64 v[11:12], s[2:3], v[7:8]
	v_mad_i64_i32 v[0:1], s[4:5], s4, v9, 0
	v_mul_f64 v[7:8], s[0:1], v[7:8]
	v_lshlrev_b64 v[0:1], 4, v[0:1]
	v_add_co_u32_e32 v0, vcc, s10, v0
	v_addc_co_u32_e32 v1, vcc, v4, v1, vcc
	v_add_co_u32_e32 v9, vcc, v0, v2
	v_addc_co_u32_e32 v10, vcc, v1, v3, vcc
	flat_load_dwordx4 v[0:3], v[9:10]
	v_fma_f64 v[11:12], s[0:1], v[5:6], -v[11:12]
	v_fma_f64 v[4:5], s[2:3], v[5:6], v[7:8]
	s_waitcnt vmcnt(0) lgkmcnt(0)
	v_mul_f64 v[13:14], s[14:15], v[2:3]
	v_mul_f64 v[2:3], s[12:13], v[2:3]
	v_fma_f64 v[6:7], s[12:13], v[0:1], -v[13:14]
	v_fma_f64 v[2:3], s[14:15], v[0:1], v[2:3]
	v_add_f64 v[0:1], v[11:12], v[6:7]
	v_add_f64 v[2:3], v[4:5], v[2:3]
	flat_store_dwordx4 v[9:10], v[0:3]
.LBB741_5:
	s_endpgm
.LBB741_6:
	v_mov_b32_e32 v7, 0
	v_mov_b32_e32 v5, 0
	;; [unrolled: 1-line block ×4, first 2 shown]
	v_cmp_le_i32_e32 vcc, v2, v9
	s_and_saveexec_b64 s[6:7], vcc
	s_cbranch_execnz .LBB741_4
	s_branch .LBB741_5
	.section	.rodata,"a",@progbits
	.p2align	6, 0x0
	.amdhsa_kernel _ZL41rocblas_syrkx_herkx_small_restrict_kernelIi19rocblas_complex_numIdELi16ELb0ELb0ELc67ELc85EKPKS1_KPS1_EviT_T0_PT6_S7_lSA_S7_lS8_PT7_S7_li
		.amdhsa_group_segment_fixed_size 8192
		.amdhsa_private_segment_fixed_size 0
		.amdhsa_kernarg_size 116
		.amdhsa_user_sgpr_count 6
		.amdhsa_user_sgpr_private_segment_buffer 1
		.amdhsa_user_sgpr_dispatch_ptr 0
		.amdhsa_user_sgpr_queue_ptr 0
		.amdhsa_user_sgpr_kernarg_segment_ptr 1
		.amdhsa_user_sgpr_dispatch_id 0
		.amdhsa_user_sgpr_flat_scratch_init 0
		.amdhsa_user_sgpr_private_segment_size 0
		.amdhsa_uses_dynamic_stack 0
		.amdhsa_system_sgpr_private_segment_wavefront_offset 0
		.amdhsa_system_sgpr_workgroup_id_x 1
		.amdhsa_system_sgpr_workgroup_id_y 1
		.amdhsa_system_sgpr_workgroup_id_z 1
		.amdhsa_system_sgpr_workgroup_info 0
		.amdhsa_system_vgpr_workitem_id 1
		.amdhsa_next_free_vgpr 36
		.amdhsa_next_free_sgpr 61
		.amdhsa_reserve_vcc 1
		.amdhsa_reserve_flat_scratch 0
		.amdhsa_float_round_mode_32 0
		.amdhsa_float_round_mode_16_64 0
		.amdhsa_float_denorm_mode_32 3
		.amdhsa_float_denorm_mode_16_64 3
		.amdhsa_dx10_clamp 1
		.amdhsa_ieee_mode 1
		.amdhsa_fp16_overflow 0
		.amdhsa_exception_fp_ieee_invalid_op 0
		.amdhsa_exception_fp_denorm_src 0
		.amdhsa_exception_fp_ieee_div_zero 0
		.amdhsa_exception_fp_ieee_overflow 0
		.amdhsa_exception_fp_ieee_underflow 0
		.amdhsa_exception_fp_ieee_inexact 0
		.amdhsa_exception_int_div_zero 0
	.end_amdhsa_kernel
	.section	.text._ZL41rocblas_syrkx_herkx_small_restrict_kernelIi19rocblas_complex_numIdELi16ELb0ELb0ELc67ELc85EKPKS1_KPS1_EviT_T0_PT6_S7_lSA_S7_lS8_PT7_S7_li,"axG",@progbits,_ZL41rocblas_syrkx_herkx_small_restrict_kernelIi19rocblas_complex_numIdELi16ELb0ELb0ELc67ELc85EKPKS1_KPS1_EviT_T0_PT6_S7_lSA_S7_lS8_PT7_S7_li,comdat
.Lfunc_end741:
	.size	_ZL41rocblas_syrkx_herkx_small_restrict_kernelIi19rocblas_complex_numIdELi16ELb0ELb0ELc67ELc85EKPKS1_KPS1_EviT_T0_PT6_S7_lSA_S7_lS8_PT7_S7_li, .Lfunc_end741-_ZL41rocblas_syrkx_herkx_small_restrict_kernelIi19rocblas_complex_numIdELi16ELb0ELb0ELc67ELc85EKPKS1_KPS1_EviT_T0_PT6_S7_lSA_S7_lS8_PT7_S7_li
                                        ; -- End function
	.set _ZL41rocblas_syrkx_herkx_small_restrict_kernelIi19rocblas_complex_numIdELi16ELb0ELb0ELc67ELc85EKPKS1_KPS1_EviT_T0_PT6_S7_lSA_S7_lS8_PT7_S7_li.num_vgpr, 36
	.set _ZL41rocblas_syrkx_herkx_small_restrict_kernelIi19rocblas_complex_numIdELi16ELb0ELb0ELc67ELc85EKPKS1_KPS1_EviT_T0_PT6_S7_lSA_S7_lS8_PT7_S7_li.num_agpr, 0
	.set _ZL41rocblas_syrkx_herkx_small_restrict_kernelIi19rocblas_complex_numIdELi16ELb0ELb0ELc67ELc85EKPKS1_KPS1_EviT_T0_PT6_S7_lSA_S7_lS8_PT7_S7_li.numbered_sgpr, 22
	.set _ZL41rocblas_syrkx_herkx_small_restrict_kernelIi19rocblas_complex_numIdELi16ELb0ELb0ELc67ELc85EKPKS1_KPS1_EviT_T0_PT6_S7_lSA_S7_lS8_PT7_S7_li.num_named_barrier, 0
	.set _ZL41rocblas_syrkx_herkx_small_restrict_kernelIi19rocblas_complex_numIdELi16ELb0ELb0ELc67ELc85EKPKS1_KPS1_EviT_T0_PT6_S7_lSA_S7_lS8_PT7_S7_li.private_seg_size, 0
	.set _ZL41rocblas_syrkx_herkx_small_restrict_kernelIi19rocblas_complex_numIdELi16ELb0ELb0ELc67ELc85EKPKS1_KPS1_EviT_T0_PT6_S7_lSA_S7_lS8_PT7_S7_li.uses_vcc, 1
	.set _ZL41rocblas_syrkx_herkx_small_restrict_kernelIi19rocblas_complex_numIdELi16ELb0ELb0ELc67ELc85EKPKS1_KPS1_EviT_T0_PT6_S7_lSA_S7_lS8_PT7_S7_li.uses_flat_scratch, 0
	.set _ZL41rocblas_syrkx_herkx_small_restrict_kernelIi19rocblas_complex_numIdELi16ELb0ELb0ELc67ELc85EKPKS1_KPS1_EviT_T0_PT6_S7_lSA_S7_lS8_PT7_S7_li.has_dyn_sized_stack, 0
	.set _ZL41rocblas_syrkx_herkx_small_restrict_kernelIi19rocblas_complex_numIdELi16ELb0ELb0ELc67ELc85EKPKS1_KPS1_EviT_T0_PT6_S7_lSA_S7_lS8_PT7_S7_li.has_recursion, 0
	.set _ZL41rocblas_syrkx_herkx_small_restrict_kernelIi19rocblas_complex_numIdELi16ELb0ELb0ELc67ELc85EKPKS1_KPS1_EviT_T0_PT6_S7_lSA_S7_lS8_PT7_S7_li.has_indirect_call, 0
	.section	.AMDGPU.csdata,"",@progbits
; Kernel info:
; codeLenInByte = 1656
; TotalNumSgprs: 26
; NumVgprs: 36
; ScratchSize: 0
; MemoryBound: 0
; FloatMode: 240
; IeeeMode: 1
; LDSByteSize: 8192 bytes/workgroup (compile time only)
; SGPRBlocks: 8
; VGPRBlocks: 8
; NumSGPRsForWavesPerEU: 65
; NumVGPRsForWavesPerEU: 36
; Occupancy: 7
; WaveLimiterHint : 1
; COMPUTE_PGM_RSRC2:SCRATCH_EN: 0
; COMPUTE_PGM_RSRC2:USER_SGPR: 6
; COMPUTE_PGM_RSRC2:TRAP_HANDLER: 0
; COMPUTE_PGM_RSRC2:TGID_X_EN: 1
; COMPUTE_PGM_RSRC2:TGID_Y_EN: 1
; COMPUTE_PGM_RSRC2:TGID_Z_EN: 1
; COMPUTE_PGM_RSRC2:TIDIG_COMP_CNT: 1
	.section	.text._ZL41rocblas_syrkx_herkx_small_restrict_kernelIi19rocblas_complex_numIdELi16ELb0ELb0ELc78ELc85EKPKS1_KPS1_EviT_T0_PT6_S7_lSA_S7_lS8_PT7_S7_li,"axG",@progbits,_ZL41rocblas_syrkx_herkx_small_restrict_kernelIi19rocblas_complex_numIdELi16ELb0ELb0ELc78ELc85EKPKS1_KPS1_EviT_T0_PT6_S7_lSA_S7_lS8_PT7_S7_li,comdat
	.globl	_ZL41rocblas_syrkx_herkx_small_restrict_kernelIi19rocblas_complex_numIdELi16ELb0ELb0ELc78ELc85EKPKS1_KPS1_EviT_T0_PT6_S7_lSA_S7_lS8_PT7_S7_li ; -- Begin function _ZL41rocblas_syrkx_herkx_small_restrict_kernelIi19rocblas_complex_numIdELi16ELb0ELb0ELc78ELc85EKPKS1_KPS1_EviT_T0_PT6_S7_lSA_S7_lS8_PT7_S7_li
	.p2align	8
	.type	_ZL41rocblas_syrkx_herkx_small_restrict_kernelIi19rocblas_complex_numIdELi16ELb0ELb0ELc78ELc85EKPKS1_KPS1_EviT_T0_PT6_S7_lSA_S7_lS8_PT7_S7_li,@function
_ZL41rocblas_syrkx_herkx_small_restrict_kernelIi19rocblas_complex_numIdELi16ELb0ELb0ELc78ELc85EKPKS1_KPS1_EviT_T0_PT6_S7_lSA_S7_lS8_PT7_S7_li: ; @_ZL41rocblas_syrkx_herkx_small_restrict_kernelIi19rocblas_complex_numIdELi16ELb0ELb0ELc78ELc85EKPKS1_KPS1_EviT_T0_PT6_S7_lSA_S7_lS8_PT7_S7_li
; %bb.0:
	s_load_dword s20, s[4:5], 0x4
	s_load_dwordx4 s[0:3], s[4:5], 0x8
	s_load_dwordx2 s[10:11], s[4:5], 0x58
	s_load_dwordx2 s[16:17], s[4:5], 0x18
	s_load_dwordx4 s[12:15], s[4:5], 0x48
	s_mov_b32 s9, 0
	s_lshl_b64 s[18:19], s[8:9], 3
	s_waitcnt lgkmcnt(0)
	s_add_u32 s10, s10, s18
	s_addc_u32 s11, s11, s19
	s_load_dwordx2 s[10:11], s[10:11], 0x0
	v_lshl_add_u32 v2, s6, 4, v0
	v_lshl_add_u32 v4, s7, 4, v1
	s_cmp_lt_i32 s20, 1
	v_ashrrev_i32_e32 v3, 31, v2
	s_cbranch_scc1 .LBB742_6
; %bb.1:
	s_load_dword s22, s[4:5], 0x20
	s_load_dword s6, s[4:5], 0x38
	s_load_dwordx2 s[24:25], s[4:5], 0x30
	v_lshlrev_b32_e32 v8, 8, v1
	v_lshlrev_b32_e32 v11, 4, v0
	s_waitcnt lgkmcnt(0)
	s_ashr_i32 s23, s22, 31
	s_ashr_i32 s7, s6, 31
	s_add_u32 s24, s24, s18
	s_addc_u32 s25, s25, s19
	s_add_u32 s16, s16, s18
	s_addc_u32 s17, s17, s19
	v_mad_i64_i32 v[6:7], s[18:19], s6, v0, 0
	v_ashrrev_i32_e32 v5, 31, v4
	s_load_dwordx2 s[24:25], s[24:25], 0x0
	v_add_u32_e32 v12, v11, v8
	v_add_u32_e32 v13, 0x1000, v8
	v_lshlrev_b64 v[6:7], 4, v[6:7]
	v_lshlrev_b64 v[8:9], 4, v[4:5]
	s_load_dwordx2 s[16:17], s[16:17], 0x0
	v_add_co_u32_e32 v0, vcc, v6, v8
	v_mad_i64_i32 v[5:6], s[18:19], s22, v1, 0
	v_addc_co_u32_e32 v7, vcc, v7, v9, vcc
	s_waitcnt lgkmcnt(0)
	v_mov_b32_e32 v8, s25
	v_add_co_u32_e32 v0, vcc, s24, v0
	v_addc_co_u32_e32 v1, vcc, v8, v7, vcc
	v_lshlrev_b64 v[5:6], 4, v[5:6]
	v_lshlrev_b64 v[7:8], 4, v[2:3]
	s_lshl_b64 s[6:7], s[6:7], 8
	v_add_co_u32_e32 v5, vcc, v5, v7
	v_addc_co_u32_e32 v6, vcc, v6, v8, vcc
	v_mov_b32_e32 v7, s17
	v_add_co_u32_e32 v5, vcc, s16, v5
	v_addc_co_u32_e32 v6, vcc, v7, v6, vcc
	s_lshl_b64 s[16:17], s[22:23], 8
	v_mov_b32_e32 v7, 0
	v_mov_b32_e32 v9, 0
	;; [unrolled: 1-line block ×6, first 2 shown]
.LBB742_2:                              ; =>This Inner Loop Header: Depth=1
	flat_load_dwordx4 v[16:19], v[5:6]
	v_add_u32_e32 v20, v13, v11
	s_add_i32 s9, s9, 16
	s_cmp_lt_i32 s9, s20
	s_waitcnt vmcnt(0) lgkmcnt(0)
	ds_write2_b64 v12, v[16:17], v[18:19] offset1:1
	flat_load_dwordx4 v[16:19], v[0:1]
	v_add_co_u32_e32 v0, vcc, s6, v0
	v_addc_co_u32_e32 v1, vcc, v1, v14, vcc
	v_add_co_u32_e32 v5, vcc, s16, v5
	v_addc_co_u32_e32 v6, vcc, v6, v15, vcc
	s_waitcnt vmcnt(0) lgkmcnt(0)
	ds_write_b128 v20, v[16:19]
	s_waitcnt lgkmcnt(0)
	s_barrier
	ds_read_b128 v[16:19], v13
	ds_read_b128 v[20:23], v13 offset:16
	ds_read_b128 v[24:27], v13 offset:32
	;; [unrolled: 1-line block ×3, first 2 shown]
	ds_read_b128 v[32:35], v11
	s_waitcnt lgkmcnt(0)
	v_mul_f64 v[36:37], v[18:19], v[34:35]
	v_fma_f64 v[36:37], v[16:17], v[32:33], -v[36:37]
	v_mul_f64 v[16:17], v[16:17], v[34:35]
	v_fma_f64 v[16:17], v[18:19], v[32:33], v[16:17]
	v_add_f64 v[18:19], v[9:10], v[36:37]
	v_add_f64 v[16:17], v[7:8], v[16:17]
	ds_read_b128 v[7:10], v11 offset:256
	s_waitcnt lgkmcnt(0)
	v_mul_f64 v[32:33], v[22:23], v[9:10]
	v_mul_f64 v[9:10], v[20:21], v[9:10]
	v_fma_f64 v[32:33], v[20:21], v[7:8], -v[32:33]
	v_fma_f64 v[7:8], v[22:23], v[7:8], v[9:10]
	v_add_f64 v[18:19], v[18:19], v[32:33]
	v_add_f64 v[16:17], v[16:17], v[7:8]
	ds_read_b128 v[7:10], v11 offset:512
	s_waitcnt lgkmcnt(0)
	v_mul_f64 v[20:21], v[26:27], v[9:10]
	v_mul_f64 v[9:10], v[24:25], v[9:10]
	v_fma_f64 v[20:21], v[24:25], v[7:8], -v[20:21]
	;; [unrolled: 8-line block ×3, first 2 shown]
	v_fma_f64 v[7:8], v[30:31], v[7:8], v[9:10]
	v_add_f64 v[20:21], v[18:19], v[20:21]
	v_add_f64 v[22:23], v[16:17], v[7:8]
	ds_read_b128 v[7:10], v13 offset:64
	ds_read_b128 v[16:19], v11 offset:1024
	s_waitcnt lgkmcnt(0)
	v_mul_f64 v[24:25], v[9:10], v[18:19]
	v_fma_f64 v[24:25], v[7:8], v[16:17], -v[24:25]
	v_mul_f64 v[7:8], v[7:8], v[18:19]
	v_add_f64 v[20:21], v[20:21], v[24:25]
	v_fma_f64 v[7:8], v[9:10], v[16:17], v[7:8]
	v_add_f64 v[22:23], v[22:23], v[7:8]
	ds_read_b128 v[7:10], v13 offset:80
	ds_read_b128 v[16:19], v11 offset:1280
	s_waitcnt lgkmcnt(0)
	v_mul_f64 v[24:25], v[9:10], v[18:19]
	v_fma_f64 v[24:25], v[7:8], v[16:17], -v[24:25]
	v_mul_f64 v[7:8], v[7:8], v[18:19]
	v_add_f64 v[20:21], v[20:21], v[24:25]
	v_fma_f64 v[7:8], v[9:10], v[16:17], v[7:8]
	;; [unrolled: 9-line block ×11, first 2 shown]
	v_add_f64 v[22:23], v[22:23], v[7:8]
	ds_read_b128 v[7:10], v13 offset:240
	ds_read_b128 v[16:19], v11 offset:3840
	s_waitcnt lgkmcnt(0)
	s_barrier
	v_mul_f64 v[24:25], v[9:10], v[18:19]
	v_fma_f64 v[24:25], v[7:8], v[16:17], -v[24:25]
	v_mul_f64 v[7:8], v[7:8], v[18:19]
	v_fma_f64 v[7:8], v[9:10], v[16:17], v[7:8]
	v_add_f64 v[9:10], v[20:21], v[24:25]
	v_add_f64 v[7:8], v[22:23], v[7:8]
	s_cbranch_scc1 .LBB742_2
; %bb.3:
	v_cmp_le_i32_e32 vcc, v2, v4
	s_and_saveexec_b64 s[6:7], vcc
	s_cbranch_execz .LBB742_5
.LBB742_4:
	s_load_dword s4, s[4:5], 0x60
	v_lshlrev_b64 v[2:3], 4, v[2:3]
	v_mul_f64 v[11:12], s[2:3], v[7:8]
	v_mul_f64 v[6:7], s[0:1], v[7:8]
	s_waitcnt lgkmcnt(0)
	v_mad_i64_i32 v[0:1], s[4:5], s4, v4, 0
	v_mov_b32_e32 v4, s11
	v_lshlrev_b64 v[0:1], 4, v[0:1]
	v_fma_f64 v[11:12], s[0:1], v[9:10], -v[11:12]
	v_add_co_u32_e32 v0, vcc, s10, v0
	v_addc_co_u32_e32 v1, vcc, v4, v1, vcc
	v_add_co_u32_e32 v4, vcc, v0, v2
	v_addc_co_u32_e32 v5, vcc, v1, v3, vcc
	flat_load_dwordx4 v[0:3], v[4:5]
	v_fma_f64 v[6:7], s[2:3], v[9:10], v[6:7]
	s_waitcnt vmcnt(0) lgkmcnt(0)
	v_mul_f64 v[13:14], s[14:15], v[2:3]
	v_mul_f64 v[2:3], s[12:13], v[2:3]
	v_fma_f64 v[8:9], s[12:13], v[0:1], -v[13:14]
	v_fma_f64 v[2:3], s[14:15], v[0:1], v[2:3]
	v_add_f64 v[0:1], v[11:12], v[8:9]
	v_add_f64 v[2:3], v[6:7], v[2:3]
	flat_store_dwordx4 v[4:5], v[0:3]
.LBB742_5:
	s_endpgm
.LBB742_6:
	v_mov_b32_e32 v7, 0
	v_mov_b32_e32 v9, 0
	v_mov_b32_e32 v8, 0
	v_mov_b32_e32 v10, 0
	v_cmp_le_i32_e32 vcc, v2, v4
	s_and_saveexec_b64 s[6:7], vcc
	s_cbranch_execnz .LBB742_4
	s_branch .LBB742_5
	.section	.rodata,"a",@progbits
	.p2align	6, 0x0
	.amdhsa_kernel _ZL41rocblas_syrkx_herkx_small_restrict_kernelIi19rocblas_complex_numIdELi16ELb0ELb0ELc78ELc85EKPKS1_KPS1_EviT_T0_PT6_S7_lSA_S7_lS8_PT7_S7_li
		.amdhsa_group_segment_fixed_size 8192
		.amdhsa_private_segment_fixed_size 0
		.amdhsa_kernarg_size 116
		.amdhsa_user_sgpr_count 6
		.amdhsa_user_sgpr_private_segment_buffer 1
		.amdhsa_user_sgpr_dispatch_ptr 0
		.amdhsa_user_sgpr_queue_ptr 0
		.amdhsa_user_sgpr_kernarg_segment_ptr 1
		.amdhsa_user_sgpr_dispatch_id 0
		.amdhsa_user_sgpr_flat_scratch_init 0
		.amdhsa_user_sgpr_private_segment_size 0
		.amdhsa_uses_dynamic_stack 0
		.amdhsa_system_sgpr_private_segment_wavefront_offset 0
		.amdhsa_system_sgpr_workgroup_id_x 1
		.amdhsa_system_sgpr_workgroup_id_y 1
		.amdhsa_system_sgpr_workgroup_id_z 1
		.amdhsa_system_sgpr_workgroup_info 0
		.amdhsa_system_vgpr_workitem_id 1
		.amdhsa_next_free_vgpr 38
		.amdhsa_next_free_sgpr 61
		.amdhsa_reserve_vcc 1
		.amdhsa_reserve_flat_scratch 0
		.amdhsa_float_round_mode_32 0
		.amdhsa_float_round_mode_16_64 0
		.amdhsa_float_denorm_mode_32 3
		.amdhsa_float_denorm_mode_16_64 3
		.amdhsa_dx10_clamp 1
		.amdhsa_ieee_mode 1
		.amdhsa_fp16_overflow 0
		.amdhsa_exception_fp_ieee_invalid_op 0
		.amdhsa_exception_fp_denorm_src 0
		.amdhsa_exception_fp_ieee_div_zero 0
		.amdhsa_exception_fp_ieee_overflow 0
		.amdhsa_exception_fp_ieee_underflow 0
		.amdhsa_exception_fp_ieee_inexact 0
		.amdhsa_exception_int_div_zero 0
	.end_amdhsa_kernel
	.section	.text._ZL41rocblas_syrkx_herkx_small_restrict_kernelIi19rocblas_complex_numIdELi16ELb0ELb0ELc78ELc85EKPKS1_KPS1_EviT_T0_PT6_S7_lSA_S7_lS8_PT7_S7_li,"axG",@progbits,_ZL41rocblas_syrkx_herkx_small_restrict_kernelIi19rocblas_complex_numIdELi16ELb0ELb0ELc78ELc85EKPKS1_KPS1_EviT_T0_PT6_S7_lSA_S7_lS8_PT7_S7_li,comdat
.Lfunc_end742:
	.size	_ZL41rocblas_syrkx_herkx_small_restrict_kernelIi19rocblas_complex_numIdELi16ELb0ELb0ELc78ELc85EKPKS1_KPS1_EviT_T0_PT6_S7_lSA_S7_lS8_PT7_S7_li, .Lfunc_end742-_ZL41rocblas_syrkx_herkx_small_restrict_kernelIi19rocblas_complex_numIdELi16ELb0ELb0ELc78ELc85EKPKS1_KPS1_EviT_T0_PT6_S7_lSA_S7_lS8_PT7_S7_li
                                        ; -- End function
	.set _ZL41rocblas_syrkx_herkx_small_restrict_kernelIi19rocblas_complex_numIdELi16ELb0ELb0ELc78ELc85EKPKS1_KPS1_EviT_T0_PT6_S7_lSA_S7_lS8_PT7_S7_li.num_vgpr, 38
	.set _ZL41rocblas_syrkx_herkx_small_restrict_kernelIi19rocblas_complex_numIdELi16ELb0ELb0ELc78ELc85EKPKS1_KPS1_EviT_T0_PT6_S7_lSA_S7_lS8_PT7_S7_li.num_agpr, 0
	.set _ZL41rocblas_syrkx_herkx_small_restrict_kernelIi19rocblas_complex_numIdELi16ELb0ELb0ELc78ELc85EKPKS1_KPS1_EviT_T0_PT6_S7_lSA_S7_lS8_PT7_S7_li.numbered_sgpr, 26
	.set _ZL41rocblas_syrkx_herkx_small_restrict_kernelIi19rocblas_complex_numIdELi16ELb0ELb0ELc78ELc85EKPKS1_KPS1_EviT_T0_PT6_S7_lSA_S7_lS8_PT7_S7_li.num_named_barrier, 0
	.set _ZL41rocblas_syrkx_herkx_small_restrict_kernelIi19rocblas_complex_numIdELi16ELb0ELb0ELc78ELc85EKPKS1_KPS1_EviT_T0_PT6_S7_lSA_S7_lS8_PT7_S7_li.private_seg_size, 0
	.set _ZL41rocblas_syrkx_herkx_small_restrict_kernelIi19rocblas_complex_numIdELi16ELb0ELb0ELc78ELc85EKPKS1_KPS1_EviT_T0_PT6_S7_lSA_S7_lS8_PT7_S7_li.uses_vcc, 1
	.set _ZL41rocblas_syrkx_herkx_small_restrict_kernelIi19rocblas_complex_numIdELi16ELb0ELb0ELc78ELc85EKPKS1_KPS1_EviT_T0_PT6_S7_lSA_S7_lS8_PT7_S7_li.uses_flat_scratch, 0
	.set _ZL41rocblas_syrkx_herkx_small_restrict_kernelIi19rocblas_complex_numIdELi16ELb0ELb0ELc78ELc85EKPKS1_KPS1_EviT_T0_PT6_S7_lSA_S7_lS8_PT7_S7_li.has_dyn_sized_stack, 0
	.set _ZL41rocblas_syrkx_herkx_small_restrict_kernelIi19rocblas_complex_numIdELi16ELb0ELb0ELc78ELc85EKPKS1_KPS1_EviT_T0_PT6_S7_lSA_S7_lS8_PT7_S7_li.has_recursion, 0
	.set _ZL41rocblas_syrkx_herkx_small_restrict_kernelIi19rocblas_complex_numIdELi16ELb0ELb0ELc78ELc85EKPKS1_KPS1_EviT_T0_PT6_S7_lSA_S7_lS8_PT7_S7_li.has_indirect_call, 0
	.section	.AMDGPU.csdata,"",@progbits
; Kernel info:
; codeLenInByte = 1688
; TotalNumSgprs: 30
; NumVgprs: 38
; ScratchSize: 0
; MemoryBound: 0
; FloatMode: 240
; IeeeMode: 1
; LDSByteSize: 8192 bytes/workgroup (compile time only)
; SGPRBlocks: 8
; VGPRBlocks: 9
; NumSGPRsForWavesPerEU: 65
; NumVGPRsForWavesPerEU: 38
; Occupancy: 6
; WaveLimiterHint : 1
; COMPUTE_PGM_RSRC2:SCRATCH_EN: 0
; COMPUTE_PGM_RSRC2:USER_SGPR: 6
; COMPUTE_PGM_RSRC2:TRAP_HANDLER: 0
; COMPUTE_PGM_RSRC2:TGID_X_EN: 1
; COMPUTE_PGM_RSRC2:TGID_Y_EN: 1
; COMPUTE_PGM_RSRC2:TGID_Z_EN: 1
; COMPUTE_PGM_RSRC2:TIDIG_COMP_CNT: 1
	.section	.text._ZL32rocblas_syrkx_herkx_small_kernelIi19rocblas_complex_numIdELi16ELb1ELb0ELc84ELc76EKPKS1_KPS1_EviT_T0_PT6_S7_lSA_S7_lS8_PT7_S7_li,"axG",@progbits,_ZL32rocblas_syrkx_herkx_small_kernelIi19rocblas_complex_numIdELi16ELb1ELb0ELc84ELc76EKPKS1_KPS1_EviT_T0_PT6_S7_lSA_S7_lS8_PT7_S7_li,comdat
	.globl	_ZL32rocblas_syrkx_herkx_small_kernelIi19rocblas_complex_numIdELi16ELb1ELb0ELc84ELc76EKPKS1_KPS1_EviT_T0_PT6_S7_lSA_S7_lS8_PT7_S7_li ; -- Begin function _ZL32rocblas_syrkx_herkx_small_kernelIi19rocblas_complex_numIdELi16ELb1ELb0ELc84ELc76EKPKS1_KPS1_EviT_T0_PT6_S7_lSA_S7_lS8_PT7_S7_li
	.p2align	8
	.type	_ZL32rocblas_syrkx_herkx_small_kernelIi19rocblas_complex_numIdELi16ELb1ELb0ELc84ELc76EKPKS1_KPS1_EviT_T0_PT6_S7_lSA_S7_lS8_PT7_S7_li,@function
_ZL32rocblas_syrkx_herkx_small_kernelIi19rocblas_complex_numIdELi16ELb1ELb0ELc84ELc76EKPKS1_KPS1_EviT_T0_PT6_S7_lSA_S7_lS8_PT7_S7_li: ; @_ZL32rocblas_syrkx_herkx_small_kernelIi19rocblas_complex_numIdELi16ELb1ELb0ELc84ELc76EKPKS1_KPS1_EviT_T0_PT6_S7_lSA_S7_lS8_PT7_S7_li
; %bb.0:
	s_load_dwordx2 s[0:1], s[4:5], 0x18
	s_load_dwordx2 s[10:11], s[4:5], 0x58
	;; [unrolled: 1-line block ×3, first 2 shown]
	s_load_dwordx4 s[12:15], s[4:5], 0x8
	s_mov_b32 s9, 0
	s_lshl_b64 s[2:3], s[8:9], 3
	s_waitcnt lgkmcnt(0)
	s_add_u32 s10, s10, s2
	s_addc_u32 s11, s11, s3
	s_load_dwordx2 s[10:11], s[10:11], 0x0
	v_lshl_add_u32 v6, s6, 4, v0
	v_lshl_add_u32 v15, s7, 4, v1
	s_cmp_lt_i32 s17, 1
	v_cmp_gt_i32_e32 vcc, s16, v6
	s_cbranch_scc1 .LBB743_11
; %bb.1:
	s_load_dwordx2 s[6:7], s[4:5], 0x30
	s_load_dword s8, s[4:5], 0x20
	s_load_dword s20, s[4:5], 0x38
	v_lshlrev_b32_e32 v4, 8, v1
	v_lshlrev_b32_e32 v16, 4, v0
	s_waitcnt lgkmcnt(0)
	s_add_u32 s6, s6, s2
	s_addc_u32 s7, s7, s3
	s_add_u32 s0, s0, s2
	s_addc_u32 s1, s1, s3
	s_load_dwordx2 s[18:19], s[0:1], 0x0
	v_mad_i64_i32 v[2:3], s[0:1], s20, v15, 0
	s_load_dwordx2 s[6:7], s[6:7], 0x0
	v_add_u32_e32 v17, v16, v4
	v_lshlrev_b64 v[2:3], 4, v[2:3]
	v_add_u32_e32 v18, 0x1000, v4
	v_add_co_u32_e64 v4, s[2:3], v2, v16
	v_addc_co_u32_e64 v5, s[2:3], 0, v3, s[2:3]
	v_mad_i64_i32 v[2:3], s[2:3], s8, v6, 0
	s_waitcnt lgkmcnt(0)
	v_mov_b32_e32 v8, s7
	v_add_co_u32_e64 v7, s[2:3], s6, v4
	v_lshlrev_b64 v[2:3], 4, v[2:3]
	v_addc_co_u32_e64 v8, s[2:3], v8, v5, s[2:3]
	v_lshlrev_b32_e32 v4, 4, v1
	v_add_co_u32_e64 v2, s[2:3], v2, v4
	v_addc_co_u32_e64 v3, s[2:3], 0, v3, s[2:3]
	v_mov_b32_e32 v4, s19
	v_add_co_u32_e64 v9, s[2:3], s18, v2
	v_cmp_gt_i32_e64 s[0:1], s16, v15
	v_addc_co_u32_e64 v10, s[2:3], v4, v3, s[2:3]
	v_mov_b32_e32 v13, 0
	v_mov_b32_e32 v11, 0
	v_add_u32_e32 v19, v18, v16
	v_mov_b32_e32 v14, 0
	s_xor_b64 s[2:3], vcc, -1
	s_xor_b64 s[0:1], s[0:1], -1
	v_mov_b32_e32 v12, 0
	v_mov_b32_e32 v2, 0
	s_branch .LBB743_3
.LBB743_2:                              ;   in Loop: Header=BB743_3 Depth=1
	s_or_b64 exec, exec, s[6:7]
	s_waitcnt lgkmcnt(0)
	s_barrier
	ds_read_b128 v[20:23], v16
	ds_read_b128 v[24:27], v18
	ds_read_b128 v[28:31], v18 offset:16
	ds_read_b128 v[32:35], v16 offset:256
	;; [unrolled: 1-line block ×4, first 2 shown]
	s_waitcnt lgkmcnt(4)
	v_mul_f64 v[3:4], v[26:27], v[22:23]
	v_mul_f64 v[22:23], v[24:25], v[22:23]
	s_waitcnt lgkmcnt(2)
	v_mul_f64 v[44:45], v[30:31], v[34:35]
	v_mul_f64 v[34:35], v[28:29], v[34:35]
	s_waitcnt lgkmcnt(0)
	v_mul_f64 v[48:49], v[38:39], v[42:43]
	v_add_co_u32_e32 v7, vcc, 0x100, v7
	v_addc_co_u32_e32 v8, vcc, 0, v8, vcc
	v_fma_f64 v[3:4], v[24:25], v[20:21], -v[3:4]
	v_fma_f64 v[46:47], v[26:27], v[20:21], v[22:23]
	v_fma_f64 v[28:29], v[28:29], v[32:33], -v[44:45]
	v_fma_f64 v[30:31], v[30:31], v[32:33], v[34:35]
	v_mul_f64 v[32:33], v[36:37], v[42:43]
	ds_read_b128 v[20:23], v18 offset:48
	ds_read_b128 v[24:27], v16 offset:768
	v_fma_f64 v[36:37], v[36:37], v[40:41], -v[48:49]
	s_add_i32 s9, s9, 16
	v_add_f64 v[3:4], v[11:12], v[3:4]
	v_add_f64 v[34:35], v[13:14], v[46:47]
	s_waitcnt lgkmcnt(0)
	v_mul_f64 v[42:43], v[22:23], v[26:27]
	v_mul_f64 v[44:45], v[20:21], v[26:27]
	v_fma_f64 v[38:39], v[38:39], v[40:41], v[32:33]
	ds_read_b128 v[11:14], v18 offset:64
	v_add_co_u32_e32 v9, vcc, 0x100, v9
	v_add_f64 v[3:4], v[3:4], v[28:29]
	v_add_f64 v[34:35], v[34:35], v[30:31]
	ds_read_b128 v[26:29], v16 offset:1024
	v_fma_f64 v[40:41], v[20:21], v[24:25], -v[42:43]
	v_fma_f64 v[24:25], v[22:23], v[24:25], v[44:45]
	ds_read_b128 v[20:23], v18 offset:80
	ds_read_b128 v[30:33], v16 offset:1280
	s_cmp_ge_i32 s9, s17
	s_waitcnt lgkmcnt(2)
	v_mul_f64 v[42:43], v[13:14], v[28:29]
	v_mul_f64 v[28:29], v[11:12], v[28:29]
	v_add_f64 v[3:4], v[3:4], v[36:37]
	v_add_f64 v[38:39], v[34:35], v[38:39]
	s_waitcnt lgkmcnt(0)
	v_mul_f64 v[44:45], v[22:23], v[32:33]
	v_mul_f64 v[32:33], v[20:21], v[32:33]
	ds_read_b128 v[34:37], v18 offset:96
	v_addc_co_u32_e32 v10, vcc, 0, v10, vcc
	v_fma_f64 v[42:43], v[11:12], v[26:27], -v[42:43]
	v_fma_f64 v[28:29], v[13:14], v[26:27], v[28:29]
	v_add_f64 v[3:4], v[3:4], v[40:41]
	v_add_f64 v[46:47], v[38:39], v[24:25]
	ds_read_b128 v[11:14], v16 offset:1536
	v_fma_f64 v[44:45], v[20:21], v[30:31], -v[44:45]
	v_fma_f64 v[30:31], v[22:23], v[30:31], v[32:33]
	ds_read_b128 v[24:27], v18 offset:112
	ds_read_b128 v[38:41], v16 offset:1792
	;; [unrolled: 1-line block ×3, first 2 shown]
	s_waitcnt lgkmcnt(3)
	v_mul_f64 v[48:49], v[36:37], v[13:14]
	v_mul_f64 v[13:14], v[34:35], v[13:14]
	v_add_f64 v[3:4], v[3:4], v[42:43]
	v_add_f64 v[28:29], v[46:47], v[28:29]
	s_waitcnt lgkmcnt(1)
	v_mul_f64 v[32:33], v[26:27], v[40:41]
	v_mul_f64 v[40:41], v[24:25], v[40:41]
	v_fma_f64 v[34:35], v[34:35], v[11:12], -v[48:49]
	v_fma_f64 v[36:37], v[36:37], v[11:12], v[13:14]
	v_add_f64 v[3:4], v[3:4], v[44:45]
	v_add_f64 v[42:43], v[28:29], v[30:31]
	ds_read_b128 v[11:14], v16 offset:2048
	v_fma_f64 v[44:45], v[24:25], v[38:39], -v[32:33]
	v_fma_f64 v[38:39], v[26:27], v[38:39], v[40:41]
	ds_read_b128 v[24:27], v18 offset:144
	ds_read_b128 v[28:31], v16 offset:2304
	s_waitcnt lgkmcnt(2)
	v_mul_f64 v[40:41], v[22:23], v[13:14]
	v_mul_f64 v[13:14], v[20:21], v[13:14]
	v_add_f64 v[3:4], v[3:4], v[34:35]
	v_add_f64 v[36:37], v[42:43], v[36:37]
	s_waitcnt lgkmcnt(0)
	v_mul_f64 v[42:43], v[26:27], v[30:31]
	v_mul_f64 v[30:31], v[24:25], v[30:31]
	ds_read_b128 v[32:35], v18 offset:160
	v_fma_f64 v[40:41], v[20:21], v[11:12], -v[40:41]
	v_fma_f64 v[46:47], v[22:23], v[11:12], v[13:14]
	v_add_f64 v[3:4], v[3:4], v[44:45]
	v_add_f64 v[44:45], v[36:37], v[38:39]
	ds_read_b128 v[11:14], v16 offset:2560
	v_fma_f64 v[42:43], v[24:25], v[28:29], -v[42:43]
	v_fma_f64 v[28:29], v[26:27], v[28:29], v[30:31]
	ds_read_b128 v[20:23], v18 offset:176
	ds_read_b128 v[36:39], v16 offset:2816
	;; [unrolled: 1-line block ×3, first 2 shown]
	s_waitcnt lgkmcnt(3)
	v_mul_f64 v[48:49], v[34:35], v[13:14]
	v_mul_f64 v[13:14], v[32:33], v[13:14]
	v_add_f64 v[3:4], v[3:4], v[40:41]
	v_add_f64 v[30:31], v[44:45], v[46:47]
	s_waitcnt lgkmcnt(1)
	v_mul_f64 v[40:41], v[22:23], v[38:39]
	v_mul_f64 v[38:39], v[20:21], v[38:39]
	v_fma_f64 v[32:33], v[32:33], v[11:12], -v[48:49]
	v_fma_f64 v[34:35], v[34:35], v[11:12], v[13:14]
	v_add_f64 v[3:4], v[3:4], v[42:43]
	v_add_f64 v[42:43], v[30:31], v[28:29]
	ds_read_b128 v[11:14], v16 offset:3072
	v_fma_f64 v[40:41], v[20:21], v[36:37], -v[40:41]
	v_fma_f64 v[36:37], v[22:23], v[36:37], v[38:39]
	ds_read_b128 v[20:23], v18 offset:208
	ds_read_b128 v[28:31], v16 offset:3328
	s_waitcnt lgkmcnt(2)
	v_mul_f64 v[38:39], v[26:27], v[13:14]
	v_mul_f64 v[13:14], v[24:25], v[13:14]
	v_add_f64 v[3:4], v[3:4], v[32:33]
	v_add_f64 v[42:43], v[42:43], v[34:35]
	s_waitcnt lgkmcnt(0)
	v_mul_f64 v[44:45], v[22:23], v[30:31]
	v_mul_f64 v[30:31], v[20:21], v[30:31]
	ds_read_b128 v[32:35], v18 offset:224
	v_fma_f64 v[46:47], v[24:25], v[11:12], -v[38:39]
	v_fma_f64 v[48:49], v[26:27], v[11:12], v[13:14]
	v_add_f64 v[3:4], v[3:4], v[40:41]
	v_add_f64 v[40:41], v[42:43], v[36:37]
	ds_read_b128 v[11:14], v16 offset:3584
	v_fma_f64 v[20:21], v[20:21], v[28:29], -v[44:45]
	v_fma_f64 v[22:23], v[22:23], v[28:29], v[30:31]
	ds_read_b128 v[24:27], v18 offset:240
	ds_read_b128 v[36:39], v16 offset:3840
	s_waitcnt lgkmcnt(0)
	v_mul_f64 v[42:43], v[34:35], v[13:14]
	v_mul_f64 v[13:14], v[32:33], v[13:14]
	v_add_f64 v[3:4], v[3:4], v[46:47]
	v_add_f64 v[28:29], v[40:41], v[48:49]
	v_mul_f64 v[30:31], v[26:27], v[38:39]
	v_mul_f64 v[38:39], v[24:25], v[38:39]
	s_barrier
	v_fma_f64 v[32:33], v[32:33], v[11:12], -v[42:43]
	v_fma_f64 v[11:12], v[34:35], v[11:12], v[13:14]
	v_add_f64 v[3:4], v[3:4], v[20:21]
	v_add_f64 v[13:14], v[28:29], v[22:23]
	v_fma_f64 v[20:21], v[24:25], v[36:37], -v[30:31]
	v_fma_f64 v[22:23], v[26:27], v[36:37], v[38:39]
	v_add_f64 v[3:4], v[3:4], v[32:33]
	v_add_f64 v[13:14], v[13:14], v[11:12]
	;; [unrolled: 1-line block ×4, first 2 shown]
	s_cbranch_scc1 .LBB743_12
.LBB743_3:                              ; =>This Inner Loop Header: Depth=1
	v_add_u32_e32 v3, s9, v1
	v_cmp_le_i32_e32 vcc, s17, v3
	s_or_b64 s[6:7], s[2:3], vcc
	s_and_saveexec_b64 s[18:19], s[6:7]
	s_xor_b64 s[6:7], exec, s[18:19]
; %bb.4:                                ;   in Loop: Header=BB743_3 Depth=1
	v_mov_b32_e32 v3, v2
	v_mov_b32_e32 v4, v2
	v_mov_b32_e32 v5, v2
	ds_write_b128 v17, v[2:5]
; %bb.5:                                ;   in Loop: Header=BB743_3 Depth=1
	s_andn2_saveexec_b64 s[6:7], s[6:7]
	s_cbranch_execz .LBB743_7
; %bb.6:                                ;   in Loop: Header=BB743_3 Depth=1
	flat_load_dwordx4 v[20:23], v[9:10]
	s_waitcnt vmcnt(0) lgkmcnt(0)
	ds_write2_b64 v17, v[20:21], v[22:23] offset1:1
.LBB743_7:                              ;   in Loop: Header=BB743_3 Depth=1
	s_or_b64 exec, exec, s[6:7]
	v_add_u32_e32 v3, s9, v0
	v_cmp_le_i32_e32 vcc, s17, v3
	s_or_b64 s[6:7], s[0:1], vcc
	s_and_saveexec_b64 s[18:19], s[6:7]
	s_xor_b64 s[6:7], exec, s[18:19]
; %bb.8:                                ;   in Loop: Header=BB743_3 Depth=1
	v_mov_b32_e32 v3, v2
	v_mov_b32_e32 v4, v2
	;; [unrolled: 1-line block ×3, first 2 shown]
	ds_write_b128 v19, v[2:5]
; %bb.9:                                ;   in Loop: Header=BB743_3 Depth=1
	s_andn2_saveexec_b64 s[6:7], s[6:7]
	s_cbranch_execz .LBB743_2
; %bb.10:                               ;   in Loop: Header=BB743_3 Depth=1
	flat_load_dwordx4 v[20:23], v[7:8]
	s_waitcnt vmcnt(0) lgkmcnt(0)
	ds_write2_b64 v19, v[20:21], v[22:23] offset1:1
	s_branch .LBB743_2
.LBB743_11:
	v_mov_b32_e32 v13, 0
	v_mov_b32_e32 v11, 0
	;; [unrolled: 1-line block ×4, first 2 shown]
.LBB743_12:
	v_cmp_le_i32_e32 vcc, v15, v6
	v_cmp_gt_i32_e64 s[0:1], s16, v6
	s_and_b64 s[0:1], vcc, s[0:1]
	s_and_saveexec_b64 s[2:3], s[0:1]
	s_cbranch_execz .LBB743_14
; %bb.13:
	s_load_dword s0, s[4:5], 0x60
	v_mul_f64 v[0:1], s[14:15], v[13:14]
	v_mul_f64 v[2:3], s[12:13], v[13:14]
	v_ashrrev_i32_e32 v7, 31, v6
	s_waitcnt lgkmcnt(0)
	v_mov_b32_e32 v8, s11
	v_mad_i64_i32 v[4:5], s[0:1], s0, v15, 0
	v_fma_f64 v[0:1], s[12:13], v[11:12], -v[0:1]
	v_fma_f64 v[2:3], s[14:15], v[11:12], v[2:3]
	v_lshlrev_b64 v[4:5], 4, v[4:5]
	v_add_co_u32_e32 v9, vcc, s10, v4
	v_addc_co_u32_e32 v8, vcc, v8, v5, vcc
	v_lshlrev_b64 v[4:5], 4, v[6:7]
	v_add_co_u32_e32 v4, vcc, v9, v4
	v_addc_co_u32_e32 v5, vcc, v8, v5, vcc
	flat_store_dwordx4 v[4:5], v[0:3]
.LBB743_14:
	s_endpgm
	.section	.rodata,"a",@progbits
	.p2align	6, 0x0
	.amdhsa_kernel _ZL32rocblas_syrkx_herkx_small_kernelIi19rocblas_complex_numIdELi16ELb1ELb0ELc84ELc76EKPKS1_KPS1_EviT_T0_PT6_S7_lSA_S7_lS8_PT7_S7_li
		.amdhsa_group_segment_fixed_size 8192
		.amdhsa_private_segment_fixed_size 0
		.amdhsa_kernarg_size 116
		.amdhsa_user_sgpr_count 6
		.amdhsa_user_sgpr_private_segment_buffer 1
		.amdhsa_user_sgpr_dispatch_ptr 0
		.amdhsa_user_sgpr_queue_ptr 0
		.amdhsa_user_sgpr_kernarg_segment_ptr 1
		.amdhsa_user_sgpr_dispatch_id 0
		.amdhsa_user_sgpr_flat_scratch_init 0
		.amdhsa_user_sgpr_private_segment_size 0
		.amdhsa_uses_dynamic_stack 0
		.amdhsa_system_sgpr_private_segment_wavefront_offset 0
		.amdhsa_system_sgpr_workgroup_id_x 1
		.amdhsa_system_sgpr_workgroup_id_y 1
		.amdhsa_system_sgpr_workgroup_id_z 1
		.amdhsa_system_sgpr_workgroup_info 0
		.amdhsa_system_vgpr_workitem_id 1
		.amdhsa_next_free_vgpr 50
		.amdhsa_next_free_sgpr 61
		.amdhsa_reserve_vcc 1
		.amdhsa_reserve_flat_scratch 0
		.amdhsa_float_round_mode_32 0
		.amdhsa_float_round_mode_16_64 0
		.amdhsa_float_denorm_mode_32 3
		.amdhsa_float_denorm_mode_16_64 3
		.amdhsa_dx10_clamp 1
		.amdhsa_ieee_mode 1
		.amdhsa_fp16_overflow 0
		.amdhsa_exception_fp_ieee_invalid_op 0
		.amdhsa_exception_fp_denorm_src 0
		.amdhsa_exception_fp_ieee_div_zero 0
		.amdhsa_exception_fp_ieee_overflow 0
		.amdhsa_exception_fp_ieee_underflow 0
		.amdhsa_exception_fp_ieee_inexact 0
		.amdhsa_exception_int_div_zero 0
	.end_amdhsa_kernel
	.section	.text._ZL32rocblas_syrkx_herkx_small_kernelIi19rocblas_complex_numIdELi16ELb1ELb0ELc84ELc76EKPKS1_KPS1_EviT_T0_PT6_S7_lSA_S7_lS8_PT7_S7_li,"axG",@progbits,_ZL32rocblas_syrkx_herkx_small_kernelIi19rocblas_complex_numIdELi16ELb1ELb0ELc84ELc76EKPKS1_KPS1_EviT_T0_PT6_S7_lSA_S7_lS8_PT7_S7_li,comdat
.Lfunc_end743:
	.size	_ZL32rocblas_syrkx_herkx_small_kernelIi19rocblas_complex_numIdELi16ELb1ELb0ELc84ELc76EKPKS1_KPS1_EviT_T0_PT6_S7_lSA_S7_lS8_PT7_S7_li, .Lfunc_end743-_ZL32rocblas_syrkx_herkx_small_kernelIi19rocblas_complex_numIdELi16ELb1ELb0ELc84ELc76EKPKS1_KPS1_EviT_T0_PT6_S7_lSA_S7_lS8_PT7_S7_li
                                        ; -- End function
	.set _ZL32rocblas_syrkx_herkx_small_kernelIi19rocblas_complex_numIdELi16ELb1ELb0ELc84ELc76EKPKS1_KPS1_EviT_T0_PT6_S7_lSA_S7_lS8_PT7_S7_li.num_vgpr, 50
	.set _ZL32rocblas_syrkx_herkx_small_kernelIi19rocblas_complex_numIdELi16ELb1ELb0ELc84ELc76EKPKS1_KPS1_EviT_T0_PT6_S7_lSA_S7_lS8_PT7_S7_li.num_agpr, 0
	.set _ZL32rocblas_syrkx_herkx_small_kernelIi19rocblas_complex_numIdELi16ELb1ELb0ELc84ELc76EKPKS1_KPS1_EviT_T0_PT6_S7_lSA_S7_lS8_PT7_S7_li.numbered_sgpr, 21
	.set _ZL32rocblas_syrkx_herkx_small_kernelIi19rocblas_complex_numIdELi16ELb1ELb0ELc84ELc76EKPKS1_KPS1_EviT_T0_PT6_S7_lSA_S7_lS8_PT7_S7_li.num_named_barrier, 0
	.set _ZL32rocblas_syrkx_herkx_small_kernelIi19rocblas_complex_numIdELi16ELb1ELb0ELc84ELc76EKPKS1_KPS1_EviT_T0_PT6_S7_lSA_S7_lS8_PT7_S7_li.private_seg_size, 0
	.set _ZL32rocblas_syrkx_herkx_small_kernelIi19rocblas_complex_numIdELi16ELb1ELb0ELc84ELc76EKPKS1_KPS1_EviT_T0_PT6_S7_lSA_S7_lS8_PT7_S7_li.uses_vcc, 1
	.set _ZL32rocblas_syrkx_herkx_small_kernelIi19rocblas_complex_numIdELi16ELb1ELb0ELc84ELc76EKPKS1_KPS1_EviT_T0_PT6_S7_lSA_S7_lS8_PT7_S7_li.uses_flat_scratch, 0
	.set _ZL32rocblas_syrkx_herkx_small_kernelIi19rocblas_complex_numIdELi16ELb1ELb0ELc84ELc76EKPKS1_KPS1_EviT_T0_PT6_S7_lSA_S7_lS8_PT7_S7_li.has_dyn_sized_stack, 0
	.set _ZL32rocblas_syrkx_herkx_small_kernelIi19rocblas_complex_numIdELi16ELb1ELb0ELc84ELc76EKPKS1_KPS1_EviT_T0_PT6_S7_lSA_S7_lS8_PT7_S7_li.has_recursion, 0
	.set _ZL32rocblas_syrkx_herkx_small_kernelIi19rocblas_complex_numIdELi16ELb1ELb0ELc84ELc76EKPKS1_KPS1_EviT_T0_PT6_S7_lSA_S7_lS8_PT7_S7_li.has_indirect_call, 0
	.section	.AMDGPU.csdata,"",@progbits
; Kernel info:
; codeLenInByte = 1748
; TotalNumSgprs: 25
; NumVgprs: 50
; ScratchSize: 0
; MemoryBound: 0
; FloatMode: 240
; IeeeMode: 1
; LDSByteSize: 8192 bytes/workgroup (compile time only)
; SGPRBlocks: 8
; VGPRBlocks: 12
; NumSGPRsForWavesPerEU: 65
; NumVGPRsForWavesPerEU: 50
; Occupancy: 4
; WaveLimiterHint : 1
; COMPUTE_PGM_RSRC2:SCRATCH_EN: 0
; COMPUTE_PGM_RSRC2:USER_SGPR: 6
; COMPUTE_PGM_RSRC2:TRAP_HANDLER: 0
; COMPUTE_PGM_RSRC2:TGID_X_EN: 1
; COMPUTE_PGM_RSRC2:TGID_Y_EN: 1
; COMPUTE_PGM_RSRC2:TGID_Z_EN: 1
; COMPUTE_PGM_RSRC2:TIDIG_COMP_CNT: 1
	.section	.text._ZL32rocblas_syrkx_herkx_small_kernelIi19rocblas_complex_numIdELi16ELb1ELb0ELc67ELc76EKPKS1_KPS1_EviT_T0_PT6_S7_lSA_S7_lS8_PT7_S7_li,"axG",@progbits,_ZL32rocblas_syrkx_herkx_small_kernelIi19rocblas_complex_numIdELi16ELb1ELb0ELc67ELc76EKPKS1_KPS1_EviT_T0_PT6_S7_lSA_S7_lS8_PT7_S7_li,comdat
	.globl	_ZL32rocblas_syrkx_herkx_small_kernelIi19rocblas_complex_numIdELi16ELb1ELb0ELc67ELc76EKPKS1_KPS1_EviT_T0_PT6_S7_lSA_S7_lS8_PT7_S7_li ; -- Begin function _ZL32rocblas_syrkx_herkx_small_kernelIi19rocblas_complex_numIdELi16ELb1ELb0ELc67ELc76EKPKS1_KPS1_EviT_T0_PT6_S7_lSA_S7_lS8_PT7_S7_li
	.p2align	8
	.type	_ZL32rocblas_syrkx_herkx_small_kernelIi19rocblas_complex_numIdELi16ELb1ELb0ELc67ELc76EKPKS1_KPS1_EviT_T0_PT6_S7_lSA_S7_lS8_PT7_S7_li,@function
_ZL32rocblas_syrkx_herkx_small_kernelIi19rocblas_complex_numIdELi16ELb1ELb0ELc67ELc76EKPKS1_KPS1_EviT_T0_PT6_S7_lSA_S7_lS8_PT7_S7_li: ; @_ZL32rocblas_syrkx_herkx_small_kernelIi19rocblas_complex_numIdELi16ELb1ELb0ELc67ELc76EKPKS1_KPS1_EviT_T0_PT6_S7_lSA_S7_lS8_PT7_S7_li
; %bb.0:
	s_load_dwordx2 s[2:3], s[4:5], 0x18
	s_load_dwordx2 s[0:1], s[4:5], 0x58
	s_load_dwordx2 s[16:17], s[4:5], 0x0
	s_load_dwordx4 s[12:15], s[4:5], 0x8
	s_mov_b32 s9, 0
	s_lshl_b64 s[18:19], s[8:9], 3
	s_waitcnt lgkmcnt(0)
	s_add_u32 s0, s0, s18
	s_addc_u32 s1, s1, s19
	s_load_dwordx2 s[10:11], s[0:1], 0x0
	v_lshl_add_u32 v7, s6, 4, v0
	v_lshl_add_u32 v16, s7, 4, v1
	s_cmp_lt_i32 s17, 1
	v_cmp_gt_i32_e64 s[0:1], s16, v7
	s_cbranch_scc1 .LBB744_9
; %bb.1:
	s_load_dwordx2 s[6:7], s[4:5], 0x30
	s_load_dword s8, s[4:5], 0x20
	s_load_dword s20, s[4:5], 0x38
	v_lshlrev_b32_e32 v4, 8, v1
	v_lshlrev_b32_e32 v17, 4, v0
	s_waitcnt lgkmcnt(0)
	s_add_u32 s6, s6, s18
	s_addc_u32 s7, s7, s19
	s_add_u32 s2, s2, s18
	s_addc_u32 s3, s3, s19
	s_load_dwordx2 s[18:19], s[2:3], 0x0
	v_mad_i64_i32 v[2:3], s[2:3], s20, v16, 0
	s_load_dwordx2 s[6:7], s[6:7], 0x0
	v_add_u32_e32 v18, v17, v4
	v_lshlrev_b64 v[2:3], 4, v[2:3]
	v_add_u32_e32 v19, 0x1000, v4
	v_add_co_u32_e64 v4, s[2:3], v2, v17
	v_addc_co_u32_e64 v5, s[2:3], 0, v3, s[2:3]
	v_mad_i64_i32 v[2:3], s[2:3], s8, v7, 0
	s_waitcnt lgkmcnt(0)
	v_mov_b32_e32 v6, s7
	v_add_co_u32_e64 v8, s[2:3], s6, v4
	v_lshlrev_b64 v[2:3], 4, v[2:3]
	v_addc_co_u32_e64 v9, s[2:3], v6, v5, s[2:3]
	v_lshlrev_b32_e32 v4, 4, v1
	v_add_co_u32_e64 v2, s[2:3], v2, v4
	v_addc_co_u32_e64 v3, s[2:3], 0, v3, s[2:3]
	v_mov_b32_e32 v4, s19
	v_add_co_u32_e64 v10, s[2:3], s18, v2
	v_cmp_gt_i32_e32 vcc, s16, v16
	v_addc_co_u32_e64 v11, s[2:3], v4, v3, s[2:3]
	v_mov_b32_e32 v14, 0
	v_mov_b32_e32 v12, 0
	v_add_u32_e32 v20, v19, v17
	v_mov_b32_e32 v15, 0
	s_xor_b64 s[2:3], vcc, -1
	v_mov_b32_e32 v13, 0
	v_mov_b32_e32 v2, 0
	s_branch .LBB744_3
.LBB744_2:                              ;   in Loop: Header=BB744_3 Depth=1
	s_or_b64 exec, exec, s[6:7]
	s_waitcnt lgkmcnt(0)
	s_barrier
	ds_read_b128 v[3:6], v17
	ds_read_b128 v[21:24], v19
	ds_read_b128 v[25:28], v19 offset:16
	ds_read_b128 v[29:32], v17 offset:256
	;; [unrolled: 1-line block ×4, first 2 shown]
	s_waitcnt lgkmcnt(4)
	v_mul_f64 v[41:42], v[23:24], v[5:6]
	v_mul_f64 v[5:6], v[21:22], v[5:6]
	s_waitcnt lgkmcnt(2)
	v_mul_f64 v[43:44], v[27:28], v[31:32]
	v_mul_f64 v[31:32], v[25:26], v[31:32]
	s_waitcnt lgkmcnt(0)
	v_mul_f64 v[47:48], v[35:36], v[39:40]
	v_add_co_u32_e32 v8, vcc, 0x100, v8
	v_addc_co_u32_e32 v9, vcc, 0, v9, vcc
	v_fma_f64 v[41:42], v[21:22], v[3:4], -v[41:42]
	v_fma_f64 v[45:46], v[23:24], v[3:4], v[5:6]
	v_fma_f64 v[25:26], v[25:26], v[29:30], -v[43:44]
	v_fma_f64 v[27:28], v[27:28], v[29:30], v[31:32]
	v_mul_f64 v[29:30], v[33:34], v[39:40]
	ds_read_b128 v[3:6], v19 offset:48
	ds_read_b128 v[21:24], v17 offset:768
	v_fma_f64 v[33:34], v[33:34], v[37:38], -v[47:48]
	s_add_i32 s9, s9, 16
	v_add_f64 v[31:32], v[12:13], v[41:42]
	v_add_f64 v[39:40], v[14:15], v[45:46]
	s_waitcnt lgkmcnt(0)
	v_mul_f64 v[41:42], v[5:6], v[23:24]
	v_mul_f64 v[43:44], v[3:4], v[23:24]
	v_fma_f64 v[35:36], v[35:36], v[37:38], v[29:30]
	ds_read_b128 v[12:15], v19 offset:64
	v_add_co_u32_e32 v10, vcc, 0x100, v10
	v_add_f64 v[31:32], v[31:32], v[25:26]
	v_add_f64 v[37:38], v[39:40], v[27:28]
	ds_read_b128 v[23:26], v17 offset:1024
	v_fma_f64 v[39:40], v[3:4], v[21:22], -v[41:42]
	v_fma_f64 v[21:22], v[5:6], v[21:22], v[43:44]
	ds_read_b128 v[3:6], v19 offset:80
	ds_read_b128 v[27:30], v17 offset:1280
	s_cmp_ge_i32 s9, s17
	s_waitcnt lgkmcnt(2)
	v_mul_f64 v[41:42], v[14:15], v[25:26]
	v_mul_f64 v[25:26], v[12:13], v[25:26]
	v_add_f64 v[43:44], v[31:32], v[33:34]
	v_add_f64 v[35:36], v[37:38], v[35:36]
	s_waitcnt lgkmcnt(0)
	v_mul_f64 v[45:46], v[5:6], v[29:30]
	v_mul_f64 v[29:30], v[3:4], v[29:30]
	ds_read_b128 v[31:34], v19 offset:96
	v_addc_co_u32_e32 v11, vcc, 0, v11, vcc
	v_fma_f64 v[41:42], v[12:13], v[23:24], -v[41:42]
	v_fma_f64 v[25:26], v[14:15], v[23:24], v[25:26]
	v_add_f64 v[39:40], v[43:44], v[39:40]
	v_add_f64 v[43:44], v[35:36], v[21:22]
	ds_read_b128 v[12:15], v17 offset:1536
	v_fma_f64 v[45:46], v[3:4], v[27:28], -v[45:46]
	v_fma_f64 v[27:28], v[5:6], v[27:28], v[29:30]
	ds_read_b128 v[21:24], v19 offset:112
	ds_read_b128 v[35:38], v17 offset:1792
	ds_read_b128 v[3:6], v19 offset:128
	s_waitcnt lgkmcnt(3)
	v_mul_f64 v[47:48], v[33:34], v[14:15]
	v_mul_f64 v[14:15], v[31:32], v[14:15]
	v_add_f64 v[29:30], v[39:40], v[41:42]
	v_add_f64 v[25:26], v[43:44], v[25:26]
	s_waitcnt lgkmcnt(1)
	v_mul_f64 v[39:40], v[23:24], v[37:38]
	v_mul_f64 v[37:38], v[21:22], v[37:38]
	v_fma_f64 v[31:32], v[31:32], v[12:13], -v[47:48]
	v_fma_f64 v[33:34], v[33:34], v[12:13], v[14:15]
	v_add_f64 v[29:30], v[29:30], v[45:46]
	v_add_f64 v[41:42], v[25:26], v[27:28]
	ds_read_b128 v[12:15], v17 offset:2048
	v_fma_f64 v[39:40], v[21:22], v[35:36], -v[39:40]
	v_fma_f64 v[35:36], v[23:24], v[35:36], v[37:38]
	ds_read_b128 v[21:24], v19 offset:144
	ds_read_b128 v[25:28], v17 offset:2304
	s_waitcnt lgkmcnt(2)
	v_mul_f64 v[37:38], v[5:6], v[14:15]
	v_mul_f64 v[14:15], v[3:4], v[14:15]
	v_add_f64 v[43:44], v[29:30], v[31:32]
	v_add_f64 v[33:34], v[41:42], v[33:34]
	s_waitcnt lgkmcnt(0)
	v_mul_f64 v[41:42], v[23:24], v[27:28]
	v_mul_f64 v[27:28], v[21:22], v[27:28]
	ds_read_b128 v[29:32], v19 offset:160
	v_fma_f64 v[37:38], v[3:4], v[12:13], -v[37:38]
	v_fma_f64 v[45:46], v[5:6], v[12:13], v[14:15]
	v_add_f64 v[39:40], v[43:44], v[39:40]
	v_add_f64 v[43:44], v[33:34], v[35:36]
	ds_read_b128 v[3:6], v17 offset:2560
	v_fma_f64 v[41:42], v[21:22], v[25:26], -v[41:42]
	v_fma_f64 v[25:26], v[23:24], v[25:26], v[27:28]
	ds_read_b128 v[12:15], v19 offset:176
	ds_read_b128 v[33:36], v17 offset:2816
	;; [unrolled: 1-line block ×3, first 2 shown]
	s_waitcnt lgkmcnt(3)
	v_mul_f64 v[47:48], v[31:32], v[5:6]
	v_mul_f64 v[5:6], v[29:30], v[5:6]
	v_add_f64 v[27:28], v[39:40], v[37:38]
	v_add_f64 v[37:38], v[43:44], v[45:46]
	s_waitcnt lgkmcnt(1)
	v_mul_f64 v[39:40], v[14:15], v[35:36]
	v_mul_f64 v[35:36], v[12:13], v[35:36]
	v_fma_f64 v[29:30], v[29:30], v[3:4], -v[47:48]
	v_fma_f64 v[31:32], v[31:32], v[3:4], v[5:6]
	v_add_f64 v[41:42], v[27:28], v[41:42]
	v_add_f64 v[37:38], v[37:38], v[25:26]
	ds_read_b128 v[3:6], v17 offset:3072
	v_fma_f64 v[39:40], v[12:13], v[33:34], -v[39:40]
	v_fma_f64 v[33:34], v[14:15], v[33:34], v[35:36]
	ds_read_b128 v[12:15], v19 offset:208
	ds_read_b128 v[25:28], v17 offset:3328
	s_waitcnt lgkmcnt(2)
	v_mul_f64 v[35:36], v[23:24], v[5:6]
	v_mul_f64 v[5:6], v[21:22], v[5:6]
	v_add_f64 v[41:42], v[41:42], v[29:30]
	v_add_f64 v[37:38], v[37:38], v[31:32]
	s_waitcnt lgkmcnt(0)
	v_mul_f64 v[43:44], v[14:15], v[27:28]
	v_mul_f64 v[27:28], v[12:13], v[27:28]
	ds_read_b128 v[29:32], v19 offset:224
	v_fma_f64 v[45:46], v[21:22], v[3:4], -v[35:36]
	v_fma_f64 v[47:48], v[23:24], v[3:4], v[5:6]
	v_add_f64 v[39:40], v[41:42], v[39:40]
	v_add_f64 v[37:38], v[37:38], v[33:34]
	ds_read_b128 v[3:6], v17 offset:3584
	v_fma_f64 v[12:13], v[12:13], v[25:26], -v[43:44]
	v_fma_f64 v[14:15], v[14:15], v[25:26], v[27:28]
	ds_read_b128 v[21:24], v19 offset:240
	ds_read_b128 v[33:36], v17 offset:3840
	s_waitcnt lgkmcnt(0)
	v_mul_f64 v[41:42], v[31:32], v[5:6]
	v_mul_f64 v[5:6], v[29:30], v[5:6]
	v_add_f64 v[25:26], v[39:40], v[45:46]
	v_add_f64 v[27:28], v[37:38], v[47:48]
	v_mul_f64 v[37:38], v[23:24], v[35:36]
	v_mul_f64 v[35:36], v[21:22], v[35:36]
	s_barrier
	v_fma_f64 v[29:30], v[29:30], v[3:4], -v[41:42]
	v_fma_f64 v[3:4], v[31:32], v[3:4], v[5:6]
	v_add_f64 v[5:6], v[25:26], v[12:13]
	v_add_f64 v[12:13], v[27:28], v[14:15]
	v_fma_f64 v[14:15], v[21:22], v[33:34], -v[37:38]
	v_fma_f64 v[21:22], v[23:24], v[33:34], v[35:36]
	v_add_f64 v[5:6], v[5:6], v[29:30]
	v_add_f64 v[3:4], v[12:13], v[3:4]
	;; [unrolled: 1-line block ×4, first 2 shown]
	s_cbranch_scc1 .LBB744_10
.LBB744_3:                              ; =>This Inner Loop Header: Depth=1
	v_add_u32_e32 v3, s9, v1
	v_cmp_gt_i32_e32 vcc, s17, v3
	v_mov_b32_e32 v3, 0
	v_mov_b32_e32 v5, 0
	;; [unrolled: 1-line block ×4, first 2 shown]
	s_and_b64 s[18:19], s[0:1], vcc
	s_and_saveexec_b64 s[6:7], s[18:19]
	s_cbranch_execz .LBB744_5
; %bb.4:                                ;   in Loop: Header=BB744_3 Depth=1
	flat_load_dwordx4 v[3:6], v[10:11]
.LBB744_5:                              ;   in Loop: Header=BB744_3 Depth=1
	s_or_b64 exec, exec, s[6:7]
	s_waitcnt vmcnt(0) lgkmcnt(0)
	ds_write_b128 v18, v[3:6]
	v_add_u32_e32 v3, s9, v0
	v_cmp_le_i32_e32 vcc, s17, v3
	s_or_b64 s[6:7], s[2:3], vcc
	s_and_saveexec_b64 s[18:19], s[6:7]
	s_xor_b64 s[6:7], exec, s[18:19]
; %bb.6:                                ;   in Loop: Header=BB744_3 Depth=1
	v_mov_b32_e32 v3, v2
	v_mov_b32_e32 v4, v2
	;; [unrolled: 1-line block ×3, first 2 shown]
	ds_write_b128 v20, v[2:5]
; %bb.7:                                ;   in Loop: Header=BB744_3 Depth=1
	s_andn2_saveexec_b64 s[6:7], s[6:7]
	s_cbranch_execz .LBB744_2
; %bb.8:                                ;   in Loop: Header=BB744_3 Depth=1
	flat_load_dwordx4 v[3:6], v[8:9]
	s_waitcnt vmcnt(0) lgkmcnt(0)
	ds_write2_b64 v20, v[3:4], v[5:6] offset1:1
	s_branch .LBB744_2
.LBB744_9:
	v_mov_b32_e32 v14, 0
	v_mov_b32_e32 v12, 0
	;; [unrolled: 1-line block ×4, first 2 shown]
.LBB744_10:
	v_cmp_le_i32_e32 vcc, v16, v7
	v_cmp_gt_i32_e64 s[0:1], s16, v7
	s_and_b64 s[0:1], vcc, s[0:1]
	s_and_saveexec_b64 s[2:3], s[0:1]
	s_cbranch_execz .LBB744_12
; %bb.11:
	s_load_dword s0, s[4:5], 0x60
	v_mul_f64 v[0:1], s[14:15], v[14:15]
	v_mul_f64 v[2:3], s[12:13], v[14:15]
	v_ashrrev_i32_e32 v8, 31, v7
	s_waitcnt lgkmcnt(0)
	v_mov_b32_e32 v6, s11
	v_mad_i64_i32 v[4:5], s[0:1], s0, v16, 0
	v_fma_f64 v[0:1], s[12:13], v[12:13], -v[0:1]
	v_fma_f64 v[2:3], s[14:15], v[12:13], v[2:3]
	v_lshlrev_b64 v[4:5], 4, v[4:5]
	v_add_co_u32_e32 v9, vcc, s10, v4
	v_addc_co_u32_e32 v6, vcc, v6, v5, vcc
	v_lshlrev_b64 v[4:5], 4, v[7:8]
	v_add_co_u32_e32 v4, vcc, v9, v4
	v_addc_co_u32_e32 v5, vcc, v6, v5, vcc
	flat_store_dwordx4 v[4:5], v[0:3]
.LBB744_12:
	s_endpgm
	.section	.rodata,"a",@progbits
	.p2align	6, 0x0
	.amdhsa_kernel _ZL32rocblas_syrkx_herkx_small_kernelIi19rocblas_complex_numIdELi16ELb1ELb0ELc67ELc76EKPKS1_KPS1_EviT_T0_PT6_S7_lSA_S7_lS8_PT7_S7_li
		.amdhsa_group_segment_fixed_size 8192
		.amdhsa_private_segment_fixed_size 0
		.amdhsa_kernarg_size 116
		.amdhsa_user_sgpr_count 6
		.amdhsa_user_sgpr_private_segment_buffer 1
		.amdhsa_user_sgpr_dispatch_ptr 0
		.amdhsa_user_sgpr_queue_ptr 0
		.amdhsa_user_sgpr_kernarg_segment_ptr 1
		.amdhsa_user_sgpr_dispatch_id 0
		.amdhsa_user_sgpr_flat_scratch_init 0
		.amdhsa_user_sgpr_private_segment_size 0
		.amdhsa_uses_dynamic_stack 0
		.amdhsa_system_sgpr_private_segment_wavefront_offset 0
		.amdhsa_system_sgpr_workgroup_id_x 1
		.amdhsa_system_sgpr_workgroup_id_y 1
		.amdhsa_system_sgpr_workgroup_id_z 1
		.amdhsa_system_sgpr_workgroup_info 0
		.amdhsa_system_vgpr_workitem_id 1
		.amdhsa_next_free_vgpr 49
		.amdhsa_next_free_sgpr 61
		.amdhsa_reserve_vcc 1
		.amdhsa_reserve_flat_scratch 0
		.amdhsa_float_round_mode_32 0
		.amdhsa_float_round_mode_16_64 0
		.amdhsa_float_denorm_mode_32 3
		.amdhsa_float_denorm_mode_16_64 3
		.amdhsa_dx10_clamp 1
		.amdhsa_ieee_mode 1
		.amdhsa_fp16_overflow 0
		.amdhsa_exception_fp_ieee_invalid_op 0
		.amdhsa_exception_fp_denorm_src 0
		.amdhsa_exception_fp_ieee_div_zero 0
		.amdhsa_exception_fp_ieee_overflow 0
		.amdhsa_exception_fp_ieee_underflow 0
		.amdhsa_exception_fp_ieee_inexact 0
		.amdhsa_exception_int_div_zero 0
	.end_amdhsa_kernel
	.section	.text._ZL32rocblas_syrkx_herkx_small_kernelIi19rocblas_complex_numIdELi16ELb1ELb0ELc67ELc76EKPKS1_KPS1_EviT_T0_PT6_S7_lSA_S7_lS8_PT7_S7_li,"axG",@progbits,_ZL32rocblas_syrkx_herkx_small_kernelIi19rocblas_complex_numIdELi16ELb1ELb0ELc67ELc76EKPKS1_KPS1_EviT_T0_PT6_S7_lSA_S7_lS8_PT7_S7_li,comdat
.Lfunc_end744:
	.size	_ZL32rocblas_syrkx_herkx_small_kernelIi19rocblas_complex_numIdELi16ELb1ELb0ELc67ELc76EKPKS1_KPS1_EviT_T0_PT6_S7_lSA_S7_lS8_PT7_S7_li, .Lfunc_end744-_ZL32rocblas_syrkx_herkx_small_kernelIi19rocblas_complex_numIdELi16ELb1ELb0ELc67ELc76EKPKS1_KPS1_EviT_T0_PT6_S7_lSA_S7_lS8_PT7_S7_li
                                        ; -- End function
	.set _ZL32rocblas_syrkx_herkx_small_kernelIi19rocblas_complex_numIdELi16ELb1ELb0ELc67ELc76EKPKS1_KPS1_EviT_T0_PT6_S7_lSA_S7_lS8_PT7_S7_li.num_vgpr, 49
	.set _ZL32rocblas_syrkx_herkx_small_kernelIi19rocblas_complex_numIdELi16ELb1ELb0ELc67ELc76EKPKS1_KPS1_EviT_T0_PT6_S7_lSA_S7_lS8_PT7_S7_li.num_agpr, 0
	.set _ZL32rocblas_syrkx_herkx_small_kernelIi19rocblas_complex_numIdELi16ELb1ELb0ELc67ELc76EKPKS1_KPS1_EviT_T0_PT6_S7_lSA_S7_lS8_PT7_S7_li.numbered_sgpr, 21
	.set _ZL32rocblas_syrkx_herkx_small_kernelIi19rocblas_complex_numIdELi16ELb1ELb0ELc67ELc76EKPKS1_KPS1_EviT_T0_PT6_S7_lSA_S7_lS8_PT7_S7_li.num_named_barrier, 0
	.set _ZL32rocblas_syrkx_herkx_small_kernelIi19rocblas_complex_numIdELi16ELb1ELb0ELc67ELc76EKPKS1_KPS1_EviT_T0_PT6_S7_lSA_S7_lS8_PT7_S7_li.private_seg_size, 0
	.set _ZL32rocblas_syrkx_herkx_small_kernelIi19rocblas_complex_numIdELi16ELb1ELb0ELc67ELc76EKPKS1_KPS1_EviT_T0_PT6_S7_lSA_S7_lS8_PT7_S7_li.uses_vcc, 1
	.set _ZL32rocblas_syrkx_herkx_small_kernelIi19rocblas_complex_numIdELi16ELb1ELb0ELc67ELc76EKPKS1_KPS1_EviT_T0_PT6_S7_lSA_S7_lS8_PT7_S7_li.uses_flat_scratch, 0
	.set _ZL32rocblas_syrkx_herkx_small_kernelIi19rocblas_complex_numIdELi16ELb1ELb0ELc67ELc76EKPKS1_KPS1_EviT_T0_PT6_S7_lSA_S7_lS8_PT7_S7_li.has_dyn_sized_stack, 0
	.set _ZL32rocblas_syrkx_herkx_small_kernelIi19rocblas_complex_numIdELi16ELb1ELb0ELc67ELc76EKPKS1_KPS1_EviT_T0_PT6_S7_lSA_S7_lS8_PT7_S7_li.has_recursion, 0
	.set _ZL32rocblas_syrkx_herkx_small_kernelIi19rocblas_complex_numIdELi16ELb1ELb0ELc67ELc76EKPKS1_KPS1_EviT_T0_PT6_S7_lSA_S7_lS8_PT7_S7_li.has_indirect_call, 0
	.section	.AMDGPU.csdata,"",@progbits
; Kernel info:
; codeLenInByte = 1732
; TotalNumSgprs: 25
; NumVgprs: 49
; ScratchSize: 0
; MemoryBound: 1
; FloatMode: 240
; IeeeMode: 1
; LDSByteSize: 8192 bytes/workgroup (compile time only)
; SGPRBlocks: 8
; VGPRBlocks: 12
; NumSGPRsForWavesPerEU: 65
; NumVGPRsForWavesPerEU: 49
; Occupancy: 4
; WaveLimiterHint : 1
; COMPUTE_PGM_RSRC2:SCRATCH_EN: 0
; COMPUTE_PGM_RSRC2:USER_SGPR: 6
; COMPUTE_PGM_RSRC2:TRAP_HANDLER: 0
; COMPUTE_PGM_RSRC2:TGID_X_EN: 1
; COMPUTE_PGM_RSRC2:TGID_Y_EN: 1
; COMPUTE_PGM_RSRC2:TGID_Z_EN: 1
; COMPUTE_PGM_RSRC2:TIDIG_COMP_CNT: 1
	.section	.text._ZL32rocblas_syrkx_herkx_small_kernelIi19rocblas_complex_numIdELi16ELb1ELb0ELc78ELc76EKPKS1_KPS1_EviT_T0_PT6_S7_lSA_S7_lS8_PT7_S7_li,"axG",@progbits,_ZL32rocblas_syrkx_herkx_small_kernelIi19rocblas_complex_numIdELi16ELb1ELb0ELc78ELc76EKPKS1_KPS1_EviT_T0_PT6_S7_lSA_S7_lS8_PT7_S7_li,comdat
	.globl	_ZL32rocblas_syrkx_herkx_small_kernelIi19rocblas_complex_numIdELi16ELb1ELb0ELc78ELc76EKPKS1_KPS1_EviT_T0_PT6_S7_lSA_S7_lS8_PT7_S7_li ; -- Begin function _ZL32rocblas_syrkx_herkx_small_kernelIi19rocblas_complex_numIdELi16ELb1ELb0ELc78ELc76EKPKS1_KPS1_EviT_T0_PT6_S7_lSA_S7_lS8_PT7_S7_li
	.p2align	8
	.type	_ZL32rocblas_syrkx_herkx_small_kernelIi19rocblas_complex_numIdELi16ELb1ELb0ELc78ELc76EKPKS1_KPS1_EviT_T0_PT6_S7_lSA_S7_lS8_PT7_S7_li,@function
_ZL32rocblas_syrkx_herkx_small_kernelIi19rocblas_complex_numIdELi16ELb1ELb0ELc78ELc76EKPKS1_KPS1_EviT_T0_PT6_S7_lSA_S7_lS8_PT7_S7_li: ; @_ZL32rocblas_syrkx_herkx_small_kernelIi19rocblas_complex_numIdELi16ELb1ELb0ELc78ELc76EKPKS1_KPS1_EviT_T0_PT6_S7_lSA_S7_lS8_PT7_S7_li
; %bb.0:
	s_load_dwordx2 s[2:3], s[4:5], 0x18
	s_load_dwordx2 s[0:1], s[4:5], 0x58
	;; [unrolled: 1-line block ×3, first 2 shown]
	s_load_dwordx4 s[12:15], s[4:5], 0x8
	s_mov_b32 s9, 0
	s_lshl_b64 s[18:19], s[8:9], 3
	s_waitcnt lgkmcnt(0)
	s_add_u32 s0, s0, s18
	s_addc_u32 s1, s1, s19
	s_load_dwordx2 s[10:11], s[0:1], 0x0
	v_lshl_add_u32 v7, s6, 4, v0
	v_lshl_add_u32 v9, s7, 4, v1
	s_cmp_lt_i32 s17, 1
	v_cmp_gt_i32_e64 s[0:1], s16, v7
	v_ashrrev_i32_e32 v8, 31, v7
	s_cbranch_scc1 .LBB745_9
; %bb.1:
	s_load_dword s20, s[4:5], 0x20
	s_load_dword s6, s[4:5], 0x38
	s_load_dwordx2 s[22:23], s[4:5], 0x30
	v_lshlrev_b32_e32 v4, 8, v1
	v_lshlrev_b32_e32 v18, 4, v0
	s_waitcnt lgkmcnt(0)
	s_ashr_i32 s21, s20, 31
	s_ashr_i32 s7, s6, 31
	s_add_u32 s22, s22, s18
	s_addc_u32 s23, s23, s19
	s_add_u32 s2, s2, s18
	s_addc_u32 s3, s3, s19
	s_load_dwordx2 s[18:19], s[2:3], 0x0
	v_mad_i64_i32 v[2:3], s[2:3], s6, v0, 0
	v_ashrrev_i32_e32 v10, 31, v9
	v_add_u32_e32 v19, v18, v4
	v_add_u32_e32 v20, 0x1000, v4
	v_lshlrev_b64 v[2:3], 4, v[2:3]
	v_lshlrev_b64 v[4:5], 4, v[9:10]
	s_load_dwordx2 s[22:23], s[22:23], 0x0
	v_add_co_u32_e64 v4, s[2:3], v2, v4
	v_addc_co_u32_e64 v5, s[2:3], v3, v5, s[2:3]
	v_mad_i64_i32 v[2:3], s[2:3], s20, v1, 0
	s_waitcnt lgkmcnt(0)
	v_mov_b32_e32 v6, s23
	v_add_co_u32_e64 v10, s[2:3], s22, v4
	v_addc_co_u32_e64 v11, s[2:3], v6, v5, s[2:3]
	v_lshlrev_b64 v[2:3], 4, v[2:3]
	v_lshlrev_b64 v[4:5], 4, v[7:8]
	s_lshl_b64 s[6:7], s[6:7], 8
	v_add_co_u32_e64 v2, s[2:3], v2, v4
	v_addc_co_u32_e64 v3, s[2:3], v3, v5, s[2:3]
	v_mov_b32_e32 v4, s19
	v_add_co_u32_e64 v12, s[2:3], s18, v2
	v_addc_co_u32_e64 v13, s[2:3], v4, v3, s[2:3]
	s_lshl_b64 s[2:3], s[20:21], 8
	v_mov_b32_e32 v14, 0
	v_mov_b32_e32 v16, 0
	v_cmp_gt_i32_e32 vcc, s16, v9
	v_add_u32_e32 v21, v20, v18
	v_mov_b32_e32 v15, 0
	s_xor_b64 s[18:19], s[0:1], -1
	v_mov_b32_e32 v22, s7
	v_mov_b32_e32 v23, s3
	;; [unrolled: 1-line block ×4, first 2 shown]
	s_branch .LBB745_3
.LBB745_2:                              ;   in Loop: Header=BB745_3 Depth=1
	s_or_b64 exec, exec, s[0:1]
	s_waitcnt vmcnt(0) lgkmcnt(0)
	ds_write_b128 v21, v[3:6]
	s_waitcnt lgkmcnt(0)
	s_barrier
	ds_read_b128 v[3:6], v18
	ds_read_b128 v[24:27], v20
	ds_read_b128 v[28:31], v20 offset:16
	ds_read_b128 v[32:35], v18 offset:256
	v_add_co_u32_e64 v10, s[0:1], s6, v10
	s_waitcnt lgkmcnt(2)
	v_mul_f64 v[36:37], v[26:27], v[5:6]
	v_mul_f64 v[5:6], v[24:25], v[5:6]
	s_waitcnt lgkmcnt(0)
	v_mul_f64 v[38:39], v[30:31], v[34:35]
	v_mul_f64 v[40:41], v[28:29], v[34:35]
	v_addc_co_u32_e64 v11, s[0:1], v11, v22, s[0:1]
	s_add_i32 s9, s9, 16
	v_add_co_u32_e64 v12, s[0:1], s2, v12
	v_fma_f64 v[42:43], v[24:25], v[3:4], -v[36:37]
	v_fma_f64 v[44:45], v[26:27], v[3:4], v[5:6]
	ds_read_b128 v[3:6], v18 offset:512
	ds_read_b128 v[24:27], v20 offset:32
	;; [unrolled: 1-line block ×3, first 2 shown]
	v_fma_f64 v[38:39], v[28:29], v[32:33], -v[38:39]
	v_fma_f64 v[32:33], v[30:31], v[32:33], v[40:41]
	ds_read_b128 v[28:31], v18 offset:768
	s_waitcnt lgkmcnt(2)
	v_mul_f64 v[40:41], v[26:27], v[5:6]
	v_mul_f64 v[5:6], v[24:25], v[5:6]
	v_add_f64 v[16:17], v[16:17], v[42:43]
	v_add_f64 v[14:15], v[14:15], v[44:45]
	s_waitcnt lgkmcnt(0)
	v_mul_f64 v[42:43], v[36:37], v[30:31]
	v_mul_f64 v[30:31], v[34:35], v[30:31]
	s_cmp_ge_i32 s9, s17
	v_addc_co_u32_e64 v13, s[0:1], v13, v23, s[0:1]
	v_fma_f64 v[40:41], v[24:25], v[3:4], -v[40:41]
	v_fma_f64 v[44:45], v[26:27], v[3:4], v[5:6]
	v_add_f64 v[38:39], v[16:17], v[38:39]
	v_add_f64 v[32:33], v[14:15], v[32:33]
	ds_read_b128 v[3:6], v20 offset:64
	ds_read_b128 v[14:17], v18 offset:1024
	v_fma_f64 v[34:35], v[34:35], v[28:29], -v[42:43]
	v_fma_f64 v[36:37], v[36:37], v[28:29], v[30:31]
	ds_read_b128 v[24:27], v20 offset:80
	ds_read_b128 v[28:31], v18 offset:1280
	s_waitcnt lgkmcnt(2)
	v_mul_f64 v[42:43], v[5:6], v[16:17]
	v_mul_f64 v[16:17], v[3:4], v[16:17]
	v_add_f64 v[38:39], v[38:39], v[40:41]
	v_add_f64 v[32:33], v[32:33], v[44:45]
	s_waitcnt lgkmcnt(0)
	v_mul_f64 v[40:41], v[26:27], v[30:31]
	v_mul_f64 v[30:31], v[24:25], v[30:31]
	v_fma_f64 v[42:43], v[3:4], v[14:15], -v[42:43]
	v_fma_f64 v[44:45], v[5:6], v[14:15], v[16:17]
	v_add_f64 v[34:35], v[38:39], v[34:35]
	v_add_f64 v[32:33], v[32:33], v[36:37]
	ds_read_b128 v[3:6], v20 offset:96
	ds_read_b128 v[14:17], v18 offset:1536
	v_fma_f64 v[36:37], v[24:25], v[28:29], -v[40:41]
	v_fma_f64 v[38:39], v[26:27], v[28:29], v[30:31]
	ds_read_b128 v[24:27], v20 offset:112
	ds_read_b128 v[28:31], v18 offset:1792
	s_waitcnt lgkmcnt(2)
	v_mul_f64 v[40:41], v[5:6], v[16:17]
	v_mul_f64 v[16:17], v[3:4], v[16:17]
	v_add_f64 v[34:35], v[34:35], v[42:43]
	v_add_f64 v[32:33], v[32:33], v[44:45]
	s_waitcnt lgkmcnt(0)
	v_mul_f64 v[42:43], v[26:27], v[30:31]
	v_mul_f64 v[30:31], v[24:25], v[30:31]
	;; [unrolled: 18-line block ×5, first 2 shown]
	v_fma_f64 v[42:43], v[3:4], v[14:15], -v[42:43]
	v_fma_f64 v[44:45], v[5:6], v[14:15], v[16:17]
	v_add_f64 v[34:35], v[34:35], v[36:37]
	v_add_f64 v[32:33], v[32:33], v[38:39]
	ds_read_b128 v[3:6], v20 offset:224
	ds_read_b128 v[14:17], v18 offset:3584
	v_fma_f64 v[36:37], v[24:25], v[28:29], -v[40:41]
	v_fma_f64 v[38:39], v[26:27], v[28:29], v[30:31]
	ds_read_b128 v[24:27], v20 offset:240
	ds_read_b128 v[28:31], v18 offset:3840
	s_waitcnt lgkmcnt(0)
	v_mul_f64 v[40:41], v[5:6], v[16:17]
	v_mul_f64 v[16:17], v[3:4], v[16:17]
	v_add_f64 v[34:35], v[34:35], v[42:43]
	v_add_f64 v[32:33], v[32:33], v[44:45]
	v_mul_f64 v[42:43], v[26:27], v[30:31]
	v_mul_f64 v[30:31], v[24:25], v[30:31]
	s_barrier
	v_fma_f64 v[3:4], v[3:4], v[14:15], -v[40:41]
	v_fma_f64 v[5:6], v[5:6], v[14:15], v[16:17]
	v_add_f64 v[14:15], v[34:35], v[36:37]
	v_add_f64 v[16:17], v[32:33], v[38:39]
	v_fma_f64 v[24:25], v[24:25], v[28:29], -v[42:43]
	v_fma_f64 v[26:27], v[26:27], v[28:29], v[30:31]
	v_add_f64 v[3:4], v[14:15], v[3:4]
	v_add_f64 v[5:6], v[16:17], v[5:6]
	;; [unrolled: 1-line block ×4, first 2 shown]
	s_cbranch_scc1 .LBB745_10
.LBB745_3:                              ; =>This Inner Loop Header: Depth=1
	v_add_u32_e32 v3, s9, v1
	v_cmp_le_i32_e64 s[0:1], s17, v3
	s_or_b64 s[0:1], s[18:19], s[0:1]
	s_and_saveexec_b64 s[20:21], s[0:1]
	s_xor_b64 s[0:1], exec, s[20:21]
; %bb.4:                                ;   in Loop: Header=BB745_3 Depth=1
	v_mov_b32_e32 v3, v2
	v_mov_b32_e32 v4, v2
	;; [unrolled: 1-line block ×3, first 2 shown]
	ds_write_b128 v19, v[2:5]
; %bb.5:                                ;   in Loop: Header=BB745_3 Depth=1
	s_andn2_saveexec_b64 s[0:1], s[0:1]
	s_cbranch_execz .LBB745_7
; %bb.6:                                ;   in Loop: Header=BB745_3 Depth=1
	flat_load_dwordx4 v[3:6], v[12:13]
	s_waitcnt vmcnt(0) lgkmcnt(0)
	ds_write2_b64 v19, v[3:4], v[5:6] offset1:1
.LBB745_7:                              ;   in Loop: Header=BB745_3 Depth=1
	s_or_b64 exec, exec, s[0:1]
	v_add_u32_e32 v3, s9, v0
	v_cmp_gt_i32_e64 s[0:1], s17, v3
	v_mov_b32_e32 v3, 0
	v_mov_b32_e32 v5, 0
	;; [unrolled: 1-line block ×4, first 2 shown]
	s_and_b64 s[20:21], vcc, s[0:1]
	s_and_saveexec_b64 s[0:1], s[20:21]
	s_cbranch_execz .LBB745_2
; %bb.8:                                ;   in Loop: Header=BB745_3 Depth=1
	flat_load_dwordx4 v[3:6], v[10:11]
	s_branch .LBB745_2
.LBB745_9:
	v_mov_b32_e32 v14, 0
	v_mov_b32_e32 v16, 0
	v_mov_b32_e32 v15, 0
	v_mov_b32_e32 v17, 0
.LBB745_10:
	v_cmp_le_i32_e32 vcc, v9, v7
	v_cmp_gt_i32_e64 s[0:1], s16, v7
	s_and_b64 s[0:1], vcc, s[0:1]
	s_and_saveexec_b64 s[2:3], s[0:1]
	s_cbranch_execz .LBB745_12
; %bb.11:
	s_load_dword s0, s[4:5], 0x60
	v_mul_f64 v[0:1], s[14:15], v[14:15]
	v_mul_f64 v[2:3], s[12:13], v[14:15]
	s_waitcnt lgkmcnt(0)
	v_mov_b32_e32 v6, s11
	v_mad_i64_i32 v[4:5], s[0:1], s0, v9, 0
	v_fma_f64 v[0:1], s[12:13], v[16:17], -v[0:1]
	v_fma_f64 v[2:3], s[14:15], v[16:17], v[2:3]
	v_lshlrev_b64 v[4:5], 4, v[4:5]
	v_add_co_u32_e32 v9, vcc, s10, v4
	v_addc_co_u32_e32 v6, vcc, v6, v5, vcc
	v_lshlrev_b64 v[4:5], 4, v[7:8]
	v_add_co_u32_e32 v4, vcc, v9, v4
	v_addc_co_u32_e32 v5, vcc, v6, v5, vcc
	flat_store_dwordx4 v[4:5], v[0:3]
.LBB745_12:
	s_endpgm
	.section	.rodata,"a",@progbits
	.p2align	6, 0x0
	.amdhsa_kernel _ZL32rocblas_syrkx_herkx_small_kernelIi19rocblas_complex_numIdELi16ELb1ELb0ELc78ELc76EKPKS1_KPS1_EviT_T0_PT6_S7_lSA_S7_lS8_PT7_S7_li
		.amdhsa_group_segment_fixed_size 8192
		.amdhsa_private_segment_fixed_size 0
		.amdhsa_kernarg_size 116
		.amdhsa_user_sgpr_count 6
		.amdhsa_user_sgpr_private_segment_buffer 1
		.amdhsa_user_sgpr_dispatch_ptr 0
		.amdhsa_user_sgpr_queue_ptr 0
		.amdhsa_user_sgpr_kernarg_segment_ptr 1
		.amdhsa_user_sgpr_dispatch_id 0
		.amdhsa_user_sgpr_flat_scratch_init 0
		.amdhsa_user_sgpr_private_segment_size 0
		.amdhsa_uses_dynamic_stack 0
		.amdhsa_system_sgpr_private_segment_wavefront_offset 0
		.amdhsa_system_sgpr_workgroup_id_x 1
		.amdhsa_system_sgpr_workgroup_id_y 1
		.amdhsa_system_sgpr_workgroup_id_z 1
		.amdhsa_system_sgpr_workgroup_info 0
		.amdhsa_system_vgpr_workitem_id 1
		.amdhsa_next_free_vgpr 46
		.amdhsa_next_free_sgpr 61
		.amdhsa_reserve_vcc 1
		.amdhsa_reserve_flat_scratch 0
		.amdhsa_float_round_mode_32 0
		.amdhsa_float_round_mode_16_64 0
		.amdhsa_float_denorm_mode_32 3
		.amdhsa_float_denorm_mode_16_64 3
		.amdhsa_dx10_clamp 1
		.amdhsa_ieee_mode 1
		.amdhsa_fp16_overflow 0
		.amdhsa_exception_fp_ieee_invalid_op 0
		.amdhsa_exception_fp_denorm_src 0
		.amdhsa_exception_fp_ieee_div_zero 0
		.amdhsa_exception_fp_ieee_overflow 0
		.amdhsa_exception_fp_ieee_underflow 0
		.amdhsa_exception_fp_ieee_inexact 0
		.amdhsa_exception_int_div_zero 0
	.end_amdhsa_kernel
	.section	.text._ZL32rocblas_syrkx_herkx_small_kernelIi19rocblas_complex_numIdELi16ELb1ELb0ELc78ELc76EKPKS1_KPS1_EviT_T0_PT6_S7_lSA_S7_lS8_PT7_S7_li,"axG",@progbits,_ZL32rocblas_syrkx_herkx_small_kernelIi19rocblas_complex_numIdELi16ELb1ELb0ELc78ELc76EKPKS1_KPS1_EviT_T0_PT6_S7_lSA_S7_lS8_PT7_S7_li,comdat
.Lfunc_end745:
	.size	_ZL32rocblas_syrkx_herkx_small_kernelIi19rocblas_complex_numIdELi16ELb1ELb0ELc78ELc76EKPKS1_KPS1_EviT_T0_PT6_S7_lSA_S7_lS8_PT7_S7_li, .Lfunc_end745-_ZL32rocblas_syrkx_herkx_small_kernelIi19rocblas_complex_numIdELi16ELb1ELb0ELc78ELc76EKPKS1_KPS1_EviT_T0_PT6_S7_lSA_S7_lS8_PT7_S7_li
                                        ; -- End function
	.set _ZL32rocblas_syrkx_herkx_small_kernelIi19rocblas_complex_numIdELi16ELb1ELb0ELc78ELc76EKPKS1_KPS1_EviT_T0_PT6_S7_lSA_S7_lS8_PT7_S7_li.num_vgpr, 46
	.set _ZL32rocblas_syrkx_herkx_small_kernelIi19rocblas_complex_numIdELi16ELb1ELb0ELc78ELc76EKPKS1_KPS1_EviT_T0_PT6_S7_lSA_S7_lS8_PT7_S7_li.num_agpr, 0
	.set _ZL32rocblas_syrkx_herkx_small_kernelIi19rocblas_complex_numIdELi16ELb1ELb0ELc78ELc76EKPKS1_KPS1_EviT_T0_PT6_S7_lSA_S7_lS8_PT7_S7_li.numbered_sgpr, 24
	.set _ZL32rocblas_syrkx_herkx_small_kernelIi19rocblas_complex_numIdELi16ELb1ELb0ELc78ELc76EKPKS1_KPS1_EviT_T0_PT6_S7_lSA_S7_lS8_PT7_S7_li.num_named_barrier, 0
	.set _ZL32rocblas_syrkx_herkx_small_kernelIi19rocblas_complex_numIdELi16ELb1ELb0ELc78ELc76EKPKS1_KPS1_EviT_T0_PT6_S7_lSA_S7_lS8_PT7_S7_li.private_seg_size, 0
	.set _ZL32rocblas_syrkx_herkx_small_kernelIi19rocblas_complex_numIdELi16ELb1ELb0ELc78ELc76EKPKS1_KPS1_EviT_T0_PT6_S7_lSA_S7_lS8_PT7_S7_li.uses_vcc, 1
	.set _ZL32rocblas_syrkx_herkx_small_kernelIi19rocblas_complex_numIdELi16ELb1ELb0ELc78ELc76EKPKS1_KPS1_EviT_T0_PT6_S7_lSA_S7_lS8_PT7_S7_li.uses_flat_scratch, 0
	.set _ZL32rocblas_syrkx_herkx_small_kernelIi19rocblas_complex_numIdELi16ELb1ELb0ELc78ELc76EKPKS1_KPS1_EviT_T0_PT6_S7_lSA_S7_lS8_PT7_S7_li.has_dyn_sized_stack, 0
	.set _ZL32rocblas_syrkx_herkx_small_kernelIi19rocblas_complex_numIdELi16ELb1ELb0ELc78ELc76EKPKS1_KPS1_EviT_T0_PT6_S7_lSA_S7_lS8_PT7_S7_li.has_recursion, 0
	.set _ZL32rocblas_syrkx_herkx_small_kernelIi19rocblas_complex_numIdELi16ELb1ELb0ELc78ELc76EKPKS1_KPS1_EviT_T0_PT6_S7_lSA_S7_lS8_PT7_S7_li.has_indirect_call, 0
	.section	.AMDGPU.csdata,"",@progbits
; Kernel info:
; codeLenInByte = 1788
; TotalNumSgprs: 28
; NumVgprs: 46
; ScratchSize: 0
; MemoryBound: 1
; FloatMode: 240
; IeeeMode: 1
; LDSByteSize: 8192 bytes/workgroup (compile time only)
; SGPRBlocks: 8
; VGPRBlocks: 11
; NumSGPRsForWavesPerEU: 65
; NumVGPRsForWavesPerEU: 46
; Occupancy: 5
; WaveLimiterHint : 1
; COMPUTE_PGM_RSRC2:SCRATCH_EN: 0
; COMPUTE_PGM_RSRC2:USER_SGPR: 6
; COMPUTE_PGM_RSRC2:TRAP_HANDLER: 0
; COMPUTE_PGM_RSRC2:TGID_X_EN: 1
; COMPUTE_PGM_RSRC2:TGID_Y_EN: 1
; COMPUTE_PGM_RSRC2:TGID_Z_EN: 1
; COMPUTE_PGM_RSRC2:TIDIG_COMP_CNT: 1
	.section	.text._ZL32rocblas_syrkx_herkx_small_kernelIi19rocblas_complex_numIdELi16ELb1ELb0ELc84ELc85EKPKS1_KPS1_EviT_T0_PT6_S7_lSA_S7_lS8_PT7_S7_li,"axG",@progbits,_ZL32rocblas_syrkx_herkx_small_kernelIi19rocblas_complex_numIdELi16ELb1ELb0ELc84ELc85EKPKS1_KPS1_EviT_T0_PT6_S7_lSA_S7_lS8_PT7_S7_li,comdat
	.globl	_ZL32rocblas_syrkx_herkx_small_kernelIi19rocblas_complex_numIdELi16ELb1ELb0ELc84ELc85EKPKS1_KPS1_EviT_T0_PT6_S7_lSA_S7_lS8_PT7_S7_li ; -- Begin function _ZL32rocblas_syrkx_herkx_small_kernelIi19rocblas_complex_numIdELi16ELb1ELb0ELc84ELc85EKPKS1_KPS1_EviT_T0_PT6_S7_lSA_S7_lS8_PT7_S7_li
	.p2align	8
	.type	_ZL32rocblas_syrkx_herkx_small_kernelIi19rocblas_complex_numIdELi16ELb1ELb0ELc84ELc85EKPKS1_KPS1_EviT_T0_PT6_S7_lSA_S7_lS8_PT7_S7_li,@function
_ZL32rocblas_syrkx_herkx_small_kernelIi19rocblas_complex_numIdELi16ELb1ELb0ELc84ELc85EKPKS1_KPS1_EviT_T0_PT6_S7_lSA_S7_lS8_PT7_S7_li: ; @_ZL32rocblas_syrkx_herkx_small_kernelIi19rocblas_complex_numIdELi16ELb1ELb0ELc84ELc85EKPKS1_KPS1_EviT_T0_PT6_S7_lSA_S7_lS8_PT7_S7_li
; %bb.0:
	s_load_dwordx2 s[2:3], s[4:5], 0x18
	s_load_dwordx2 s[0:1], s[4:5], 0x58
	;; [unrolled: 1-line block ×3, first 2 shown]
	s_load_dwordx4 s[12:15], s[4:5], 0x8
	s_mov_b32 s9, 0
	s_lshl_b64 s[18:19], s[8:9], 3
	s_waitcnt lgkmcnt(0)
	s_add_u32 s0, s0, s18
	s_addc_u32 s1, s1, s19
	s_load_dwordx2 s[10:11], s[0:1], 0x0
	v_lshl_add_u32 v15, s7, 4, v1
	v_lshl_add_u32 v6, s6, 4, v0
	s_cmp_lt_i32 s17, 1
	v_cmp_gt_i32_e32 vcc, s16, v15
	s_cbranch_scc1 .LBB746_11
; %bb.1:
	s_load_dwordx2 s[6:7], s[4:5], 0x30
	s_load_dword s8, s[4:5], 0x20
	s_load_dword s20, s[4:5], 0x38
	v_lshlrev_b32_e32 v4, 8, v1
	v_lshlrev_b32_e32 v16, 4, v0
	s_waitcnt lgkmcnt(0)
	s_add_u32 s6, s6, s18
	s_addc_u32 s7, s7, s19
	s_add_u32 s2, s2, s18
	s_addc_u32 s3, s3, s19
	s_load_dwordx2 s[18:19], s[2:3], 0x0
	v_mad_i64_i32 v[2:3], s[2:3], s20, v15, 0
	s_load_dwordx2 s[6:7], s[6:7], 0x0
	v_add_u32_e32 v17, v16, v4
	v_lshlrev_b64 v[2:3], 4, v[2:3]
	v_add_u32_e32 v18, 0x1000, v4
	v_add_co_u32_e64 v4, s[2:3], v2, v16
	v_addc_co_u32_e64 v5, s[2:3], 0, v3, s[2:3]
	v_mad_i64_i32 v[2:3], s[2:3], s8, v6, 0
	s_waitcnt lgkmcnt(0)
	v_mov_b32_e32 v8, s7
	v_add_co_u32_e64 v7, s[2:3], s6, v4
	v_lshlrev_b64 v[2:3], 4, v[2:3]
	v_addc_co_u32_e64 v8, s[2:3], v8, v5, s[2:3]
	v_lshlrev_b32_e32 v4, 4, v1
	v_add_co_u32_e64 v2, s[2:3], v2, v4
	v_addc_co_u32_e64 v3, s[2:3], 0, v3, s[2:3]
	v_mov_b32_e32 v4, s19
	v_add_co_u32_e64 v9, s[2:3], s18, v2
	v_cmp_gt_i32_e64 s[0:1], s16, v6
	v_addc_co_u32_e64 v10, s[2:3], v4, v3, s[2:3]
	v_mov_b32_e32 v13, 0
	v_mov_b32_e32 v11, 0
	v_add_u32_e32 v19, v18, v16
	v_mov_b32_e32 v14, 0
	s_xor_b64 s[0:1], s[0:1], -1
	s_xor_b64 s[2:3], vcc, -1
	v_mov_b32_e32 v12, 0
	v_mov_b32_e32 v2, 0
	s_branch .LBB746_3
.LBB746_2:                              ;   in Loop: Header=BB746_3 Depth=1
	s_or_b64 exec, exec, s[6:7]
	s_waitcnt lgkmcnt(0)
	s_barrier
	ds_read_b128 v[20:23], v16
	ds_read_b128 v[24:27], v18
	ds_read_b128 v[28:31], v18 offset:16
	ds_read_b128 v[32:35], v16 offset:256
	;; [unrolled: 1-line block ×4, first 2 shown]
	s_waitcnt lgkmcnt(4)
	v_mul_f64 v[3:4], v[26:27], v[22:23]
	v_mul_f64 v[22:23], v[24:25], v[22:23]
	s_waitcnt lgkmcnt(2)
	v_mul_f64 v[44:45], v[30:31], v[34:35]
	v_mul_f64 v[34:35], v[28:29], v[34:35]
	s_waitcnt lgkmcnt(0)
	v_mul_f64 v[48:49], v[38:39], v[42:43]
	v_add_co_u32_e32 v7, vcc, 0x100, v7
	v_addc_co_u32_e32 v8, vcc, 0, v8, vcc
	v_fma_f64 v[3:4], v[24:25], v[20:21], -v[3:4]
	v_fma_f64 v[46:47], v[26:27], v[20:21], v[22:23]
	v_fma_f64 v[28:29], v[28:29], v[32:33], -v[44:45]
	v_fma_f64 v[30:31], v[30:31], v[32:33], v[34:35]
	v_mul_f64 v[32:33], v[36:37], v[42:43]
	ds_read_b128 v[20:23], v18 offset:48
	ds_read_b128 v[24:27], v16 offset:768
	v_fma_f64 v[36:37], v[36:37], v[40:41], -v[48:49]
	s_add_i32 s9, s9, 16
	v_add_f64 v[3:4], v[11:12], v[3:4]
	v_add_f64 v[34:35], v[13:14], v[46:47]
	s_waitcnt lgkmcnt(0)
	v_mul_f64 v[42:43], v[22:23], v[26:27]
	v_mul_f64 v[44:45], v[20:21], v[26:27]
	v_fma_f64 v[38:39], v[38:39], v[40:41], v[32:33]
	ds_read_b128 v[11:14], v18 offset:64
	v_add_co_u32_e32 v9, vcc, 0x100, v9
	v_add_f64 v[3:4], v[3:4], v[28:29]
	v_add_f64 v[34:35], v[34:35], v[30:31]
	ds_read_b128 v[26:29], v16 offset:1024
	v_fma_f64 v[40:41], v[20:21], v[24:25], -v[42:43]
	v_fma_f64 v[24:25], v[22:23], v[24:25], v[44:45]
	ds_read_b128 v[20:23], v18 offset:80
	ds_read_b128 v[30:33], v16 offset:1280
	s_cmp_ge_i32 s9, s17
	s_waitcnt lgkmcnt(2)
	v_mul_f64 v[42:43], v[13:14], v[28:29]
	v_mul_f64 v[28:29], v[11:12], v[28:29]
	v_add_f64 v[3:4], v[3:4], v[36:37]
	v_add_f64 v[38:39], v[34:35], v[38:39]
	s_waitcnt lgkmcnt(0)
	v_mul_f64 v[44:45], v[22:23], v[32:33]
	v_mul_f64 v[32:33], v[20:21], v[32:33]
	ds_read_b128 v[34:37], v18 offset:96
	v_addc_co_u32_e32 v10, vcc, 0, v10, vcc
	v_fma_f64 v[42:43], v[11:12], v[26:27], -v[42:43]
	v_fma_f64 v[28:29], v[13:14], v[26:27], v[28:29]
	v_add_f64 v[3:4], v[3:4], v[40:41]
	v_add_f64 v[46:47], v[38:39], v[24:25]
	ds_read_b128 v[11:14], v16 offset:1536
	v_fma_f64 v[44:45], v[20:21], v[30:31], -v[44:45]
	v_fma_f64 v[30:31], v[22:23], v[30:31], v[32:33]
	ds_read_b128 v[24:27], v18 offset:112
	ds_read_b128 v[38:41], v16 offset:1792
	;; [unrolled: 1-line block ×3, first 2 shown]
	s_waitcnt lgkmcnt(3)
	v_mul_f64 v[48:49], v[36:37], v[13:14]
	v_mul_f64 v[13:14], v[34:35], v[13:14]
	v_add_f64 v[3:4], v[3:4], v[42:43]
	v_add_f64 v[28:29], v[46:47], v[28:29]
	s_waitcnt lgkmcnt(1)
	v_mul_f64 v[32:33], v[26:27], v[40:41]
	v_mul_f64 v[40:41], v[24:25], v[40:41]
	v_fma_f64 v[34:35], v[34:35], v[11:12], -v[48:49]
	v_fma_f64 v[36:37], v[36:37], v[11:12], v[13:14]
	v_add_f64 v[3:4], v[3:4], v[44:45]
	v_add_f64 v[42:43], v[28:29], v[30:31]
	ds_read_b128 v[11:14], v16 offset:2048
	v_fma_f64 v[44:45], v[24:25], v[38:39], -v[32:33]
	v_fma_f64 v[38:39], v[26:27], v[38:39], v[40:41]
	ds_read_b128 v[24:27], v18 offset:144
	ds_read_b128 v[28:31], v16 offset:2304
	s_waitcnt lgkmcnt(2)
	v_mul_f64 v[40:41], v[22:23], v[13:14]
	v_mul_f64 v[13:14], v[20:21], v[13:14]
	v_add_f64 v[3:4], v[3:4], v[34:35]
	v_add_f64 v[36:37], v[42:43], v[36:37]
	s_waitcnt lgkmcnt(0)
	v_mul_f64 v[42:43], v[26:27], v[30:31]
	v_mul_f64 v[30:31], v[24:25], v[30:31]
	ds_read_b128 v[32:35], v18 offset:160
	v_fma_f64 v[40:41], v[20:21], v[11:12], -v[40:41]
	v_fma_f64 v[46:47], v[22:23], v[11:12], v[13:14]
	v_add_f64 v[3:4], v[3:4], v[44:45]
	v_add_f64 v[44:45], v[36:37], v[38:39]
	ds_read_b128 v[11:14], v16 offset:2560
	v_fma_f64 v[42:43], v[24:25], v[28:29], -v[42:43]
	v_fma_f64 v[28:29], v[26:27], v[28:29], v[30:31]
	ds_read_b128 v[20:23], v18 offset:176
	ds_read_b128 v[36:39], v16 offset:2816
	;; [unrolled: 1-line block ×3, first 2 shown]
	s_waitcnt lgkmcnt(3)
	v_mul_f64 v[48:49], v[34:35], v[13:14]
	v_mul_f64 v[13:14], v[32:33], v[13:14]
	v_add_f64 v[3:4], v[3:4], v[40:41]
	v_add_f64 v[30:31], v[44:45], v[46:47]
	s_waitcnt lgkmcnt(1)
	v_mul_f64 v[40:41], v[22:23], v[38:39]
	v_mul_f64 v[38:39], v[20:21], v[38:39]
	v_fma_f64 v[32:33], v[32:33], v[11:12], -v[48:49]
	v_fma_f64 v[34:35], v[34:35], v[11:12], v[13:14]
	v_add_f64 v[3:4], v[3:4], v[42:43]
	v_add_f64 v[42:43], v[30:31], v[28:29]
	ds_read_b128 v[11:14], v16 offset:3072
	v_fma_f64 v[40:41], v[20:21], v[36:37], -v[40:41]
	v_fma_f64 v[36:37], v[22:23], v[36:37], v[38:39]
	ds_read_b128 v[20:23], v18 offset:208
	ds_read_b128 v[28:31], v16 offset:3328
	s_waitcnt lgkmcnt(2)
	v_mul_f64 v[38:39], v[26:27], v[13:14]
	v_mul_f64 v[13:14], v[24:25], v[13:14]
	v_add_f64 v[3:4], v[3:4], v[32:33]
	v_add_f64 v[42:43], v[42:43], v[34:35]
	s_waitcnt lgkmcnt(0)
	v_mul_f64 v[44:45], v[22:23], v[30:31]
	v_mul_f64 v[30:31], v[20:21], v[30:31]
	ds_read_b128 v[32:35], v18 offset:224
	v_fma_f64 v[46:47], v[24:25], v[11:12], -v[38:39]
	v_fma_f64 v[48:49], v[26:27], v[11:12], v[13:14]
	v_add_f64 v[3:4], v[3:4], v[40:41]
	v_add_f64 v[40:41], v[42:43], v[36:37]
	ds_read_b128 v[11:14], v16 offset:3584
	v_fma_f64 v[20:21], v[20:21], v[28:29], -v[44:45]
	v_fma_f64 v[22:23], v[22:23], v[28:29], v[30:31]
	ds_read_b128 v[24:27], v18 offset:240
	ds_read_b128 v[36:39], v16 offset:3840
	s_waitcnt lgkmcnt(0)
	v_mul_f64 v[42:43], v[34:35], v[13:14]
	v_mul_f64 v[13:14], v[32:33], v[13:14]
	v_add_f64 v[3:4], v[3:4], v[46:47]
	v_add_f64 v[28:29], v[40:41], v[48:49]
	v_mul_f64 v[30:31], v[26:27], v[38:39]
	v_mul_f64 v[38:39], v[24:25], v[38:39]
	s_barrier
	v_fma_f64 v[32:33], v[32:33], v[11:12], -v[42:43]
	v_fma_f64 v[11:12], v[34:35], v[11:12], v[13:14]
	v_add_f64 v[3:4], v[3:4], v[20:21]
	v_add_f64 v[13:14], v[28:29], v[22:23]
	v_fma_f64 v[20:21], v[24:25], v[36:37], -v[30:31]
	v_fma_f64 v[22:23], v[26:27], v[36:37], v[38:39]
	v_add_f64 v[3:4], v[3:4], v[32:33]
	v_add_f64 v[13:14], v[13:14], v[11:12]
	;; [unrolled: 1-line block ×4, first 2 shown]
	s_cbranch_scc1 .LBB746_12
.LBB746_3:                              ; =>This Inner Loop Header: Depth=1
	v_add_u32_e32 v3, s9, v1
	v_cmp_le_i32_e32 vcc, s17, v3
	s_or_b64 s[6:7], s[0:1], vcc
	s_and_saveexec_b64 s[18:19], s[6:7]
	s_xor_b64 s[6:7], exec, s[18:19]
; %bb.4:                                ;   in Loop: Header=BB746_3 Depth=1
	v_mov_b32_e32 v3, v2
	v_mov_b32_e32 v4, v2
	;; [unrolled: 1-line block ×3, first 2 shown]
	ds_write_b128 v17, v[2:5]
; %bb.5:                                ;   in Loop: Header=BB746_3 Depth=1
	s_andn2_saveexec_b64 s[6:7], s[6:7]
	s_cbranch_execz .LBB746_7
; %bb.6:                                ;   in Loop: Header=BB746_3 Depth=1
	flat_load_dwordx4 v[20:23], v[9:10]
	s_waitcnt vmcnt(0) lgkmcnt(0)
	ds_write2_b64 v17, v[20:21], v[22:23] offset1:1
.LBB746_7:                              ;   in Loop: Header=BB746_3 Depth=1
	s_or_b64 exec, exec, s[6:7]
	v_add_u32_e32 v3, s9, v0
	v_cmp_le_i32_e32 vcc, s17, v3
	s_or_b64 s[6:7], s[2:3], vcc
	s_and_saveexec_b64 s[18:19], s[6:7]
	s_xor_b64 s[6:7], exec, s[18:19]
; %bb.8:                                ;   in Loop: Header=BB746_3 Depth=1
	v_mov_b32_e32 v3, v2
	v_mov_b32_e32 v4, v2
	;; [unrolled: 1-line block ×3, first 2 shown]
	ds_write_b128 v19, v[2:5]
; %bb.9:                                ;   in Loop: Header=BB746_3 Depth=1
	s_andn2_saveexec_b64 s[6:7], s[6:7]
	s_cbranch_execz .LBB746_2
; %bb.10:                               ;   in Loop: Header=BB746_3 Depth=1
	flat_load_dwordx4 v[20:23], v[7:8]
	s_waitcnt vmcnt(0) lgkmcnt(0)
	ds_write2_b64 v19, v[20:21], v[22:23] offset1:1
	s_branch .LBB746_2
.LBB746_11:
	v_mov_b32_e32 v13, 0
	v_mov_b32_e32 v11, 0
	;; [unrolled: 1-line block ×4, first 2 shown]
.LBB746_12:
	v_cmp_le_i32_e32 vcc, v6, v15
	v_cmp_gt_i32_e64 s[0:1], s16, v15
	s_and_b64 s[0:1], vcc, s[0:1]
	s_and_saveexec_b64 s[2:3], s[0:1]
	s_cbranch_execz .LBB746_14
; %bb.13:
	s_load_dword s0, s[4:5], 0x60
	v_mul_f64 v[0:1], s[14:15], v[13:14]
	v_mul_f64 v[2:3], s[12:13], v[13:14]
	v_ashrrev_i32_e32 v7, 31, v6
	s_waitcnt lgkmcnt(0)
	v_mov_b32_e32 v8, s11
	v_mad_i64_i32 v[4:5], s[0:1], s0, v15, 0
	v_fma_f64 v[0:1], s[12:13], v[11:12], -v[0:1]
	v_fma_f64 v[2:3], s[14:15], v[11:12], v[2:3]
	v_lshlrev_b64 v[4:5], 4, v[4:5]
	v_add_co_u32_e32 v9, vcc, s10, v4
	v_addc_co_u32_e32 v8, vcc, v8, v5, vcc
	v_lshlrev_b64 v[4:5], 4, v[6:7]
	v_add_co_u32_e32 v4, vcc, v9, v4
	v_addc_co_u32_e32 v5, vcc, v8, v5, vcc
	flat_store_dwordx4 v[4:5], v[0:3]
.LBB746_14:
	s_endpgm
	.section	.rodata,"a",@progbits
	.p2align	6, 0x0
	.amdhsa_kernel _ZL32rocblas_syrkx_herkx_small_kernelIi19rocblas_complex_numIdELi16ELb1ELb0ELc84ELc85EKPKS1_KPS1_EviT_T0_PT6_S7_lSA_S7_lS8_PT7_S7_li
		.amdhsa_group_segment_fixed_size 8192
		.amdhsa_private_segment_fixed_size 0
		.amdhsa_kernarg_size 116
		.amdhsa_user_sgpr_count 6
		.amdhsa_user_sgpr_private_segment_buffer 1
		.amdhsa_user_sgpr_dispatch_ptr 0
		.amdhsa_user_sgpr_queue_ptr 0
		.amdhsa_user_sgpr_kernarg_segment_ptr 1
		.amdhsa_user_sgpr_dispatch_id 0
		.amdhsa_user_sgpr_flat_scratch_init 0
		.amdhsa_user_sgpr_private_segment_size 0
		.amdhsa_uses_dynamic_stack 0
		.amdhsa_system_sgpr_private_segment_wavefront_offset 0
		.amdhsa_system_sgpr_workgroup_id_x 1
		.amdhsa_system_sgpr_workgroup_id_y 1
		.amdhsa_system_sgpr_workgroup_id_z 1
		.amdhsa_system_sgpr_workgroup_info 0
		.amdhsa_system_vgpr_workitem_id 1
		.amdhsa_next_free_vgpr 50
		.amdhsa_next_free_sgpr 61
		.amdhsa_reserve_vcc 1
		.amdhsa_reserve_flat_scratch 0
		.amdhsa_float_round_mode_32 0
		.amdhsa_float_round_mode_16_64 0
		.amdhsa_float_denorm_mode_32 3
		.amdhsa_float_denorm_mode_16_64 3
		.amdhsa_dx10_clamp 1
		.amdhsa_ieee_mode 1
		.amdhsa_fp16_overflow 0
		.amdhsa_exception_fp_ieee_invalid_op 0
		.amdhsa_exception_fp_denorm_src 0
		.amdhsa_exception_fp_ieee_div_zero 0
		.amdhsa_exception_fp_ieee_overflow 0
		.amdhsa_exception_fp_ieee_underflow 0
		.amdhsa_exception_fp_ieee_inexact 0
		.amdhsa_exception_int_div_zero 0
	.end_amdhsa_kernel
	.section	.text._ZL32rocblas_syrkx_herkx_small_kernelIi19rocblas_complex_numIdELi16ELb1ELb0ELc84ELc85EKPKS1_KPS1_EviT_T0_PT6_S7_lSA_S7_lS8_PT7_S7_li,"axG",@progbits,_ZL32rocblas_syrkx_herkx_small_kernelIi19rocblas_complex_numIdELi16ELb1ELb0ELc84ELc85EKPKS1_KPS1_EviT_T0_PT6_S7_lSA_S7_lS8_PT7_S7_li,comdat
.Lfunc_end746:
	.size	_ZL32rocblas_syrkx_herkx_small_kernelIi19rocblas_complex_numIdELi16ELb1ELb0ELc84ELc85EKPKS1_KPS1_EviT_T0_PT6_S7_lSA_S7_lS8_PT7_S7_li, .Lfunc_end746-_ZL32rocblas_syrkx_herkx_small_kernelIi19rocblas_complex_numIdELi16ELb1ELb0ELc84ELc85EKPKS1_KPS1_EviT_T0_PT6_S7_lSA_S7_lS8_PT7_S7_li
                                        ; -- End function
	.set _ZL32rocblas_syrkx_herkx_small_kernelIi19rocblas_complex_numIdELi16ELb1ELb0ELc84ELc85EKPKS1_KPS1_EviT_T0_PT6_S7_lSA_S7_lS8_PT7_S7_li.num_vgpr, 50
	.set _ZL32rocblas_syrkx_herkx_small_kernelIi19rocblas_complex_numIdELi16ELb1ELb0ELc84ELc85EKPKS1_KPS1_EviT_T0_PT6_S7_lSA_S7_lS8_PT7_S7_li.num_agpr, 0
	.set _ZL32rocblas_syrkx_herkx_small_kernelIi19rocblas_complex_numIdELi16ELb1ELb0ELc84ELc85EKPKS1_KPS1_EviT_T0_PT6_S7_lSA_S7_lS8_PT7_S7_li.numbered_sgpr, 21
	.set _ZL32rocblas_syrkx_herkx_small_kernelIi19rocblas_complex_numIdELi16ELb1ELb0ELc84ELc85EKPKS1_KPS1_EviT_T0_PT6_S7_lSA_S7_lS8_PT7_S7_li.num_named_barrier, 0
	.set _ZL32rocblas_syrkx_herkx_small_kernelIi19rocblas_complex_numIdELi16ELb1ELb0ELc84ELc85EKPKS1_KPS1_EviT_T0_PT6_S7_lSA_S7_lS8_PT7_S7_li.private_seg_size, 0
	.set _ZL32rocblas_syrkx_herkx_small_kernelIi19rocblas_complex_numIdELi16ELb1ELb0ELc84ELc85EKPKS1_KPS1_EviT_T0_PT6_S7_lSA_S7_lS8_PT7_S7_li.uses_vcc, 1
	.set _ZL32rocblas_syrkx_herkx_small_kernelIi19rocblas_complex_numIdELi16ELb1ELb0ELc84ELc85EKPKS1_KPS1_EviT_T0_PT6_S7_lSA_S7_lS8_PT7_S7_li.uses_flat_scratch, 0
	.set _ZL32rocblas_syrkx_herkx_small_kernelIi19rocblas_complex_numIdELi16ELb1ELb0ELc84ELc85EKPKS1_KPS1_EviT_T0_PT6_S7_lSA_S7_lS8_PT7_S7_li.has_dyn_sized_stack, 0
	.set _ZL32rocblas_syrkx_herkx_small_kernelIi19rocblas_complex_numIdELi16ELb1ELb0ELc84ELc85EKPKS1_KPS1_EviT_T0_PT6_S7_lSA_S7_lS8_PT7_S7_li.has_recursion, 0
	.set _ZL32rocblas_syrkx_herkx_small_kernelIi19rocblas_complex_numIdELi16ELb1ELb0ELc84ELc85EKPKS1_KPS1_EviT_T0_PT6_S7_lSA_S7_lS8_PT7_S7_li.has_indirect_call, 0
	.section	.AMDGPU.csdata,"",@progbits
; Kernel info:
; codeLenInByte = 1748
; TotalNumSgprs: 25
; NumVgprs: 50
; ScratchSize: 0
; MemoryBound: 0
; FloatMode: 240
; IeeeMode: 1
; LDSByteSize: 8192 bytes/workgroup (compile time only)
; SGPRBlocks: 8
; VGPRBlocks: 12
; NumSGPRsForWavesPerEU: 65
; NumVGPRsForWavesPerEU: 50
; Occupancy: 4
; WaveLimiterHint : 1
; COMPUTE_PGM_RSRC2:SCRATCH_EN: 0
; COMPUTE_PGM_RSRC2:USER_SGPR: 6
; COMPUTE_PGM_RSRC2:TRAP_HANDLER: 0
; COMPUTE_PGM_RSRC2:TGID_X_EN: 1
; COMPUTE_PGM_RSRC2:TGID_Y_EN: 1
; COMPUTE_PGM_RSRC2:TGID_Z_EN: 1
; COMPUTE_PGM_RSRC2:TIDIG_COMP_CNT: 1
	.section	.text._ZL32rocblas_syrkx_herkx_small_kernelIi19rocblas_complex_numIdELi16ELb1ELb0ELc67ELc85EKPKS1_KPS1_EviT_T0_PT6_S7_lSA_S7_lS8_PT7_S7_li,"axG",@progbits,_ZL32rocblas_syrkx_herkx_small_kernelIi19rocblas_complex_numIdELi16ELb1ELb0ELc67ELc85EKPKS1_KPS1_EviT_T0_PT6_S7_lSA_S7_lS8_PT7_S7_li,comdat
	.globl	_ZL32rocblas_syrkx_herkx_small_kernelIi19rocblas_complex_numIdELi16ELb1ELb0ELc67ELc85EKPKS1_KPS1_EviT_T0_PT6_S7_lSA_S7_lS8_PT7_S7_li ; -- Begin function _ZL32rocblas_syrkx_herkx_small_kernelIi19rocblas_complex_numIdELi16ELb1ELb0ELc67ELc85EKPKS1_KPS1_EviT_T0_PT6_S7_lSA_S7_lS8_PT7_S7_li
	.p2align	8
	.type	_ZL32rocblas_syrkx_herkx_small_kernelIi19rocblas_complex_numIdELi16ELb1ELb0ELc67ELc85EKPKS1_KPS1_EviT_T0_PT6_S7_lSA_S7_lS8_PT7_S7_li,@function
_ZL32rocblas_syrkx_herkx_small_kernelIi19rocblas_complex_numIdELi16ELb1ELb0ELc67ELc85EKPKS1_KPS1_EviT_T0_PT6_S7_lSA_S7_lS8_PT7_S7_li: ; @_ZL32rocblas_syrkx_herkx_small_kernelIi19rocblas_complex_numIdELi16ELb1ELb0ELc67ELc85EKPKS1_KPS1_EviT_T0_PT6_S7_lSA_S7_lS8_PT7_S7_li
; %bb.0:
	s_load_dwordx2 s[2:3], s[4:5], 0x18
	s_load_dwordx2 s[0:1], s[4:5], 0x58
	;; [unrolled: 1-line block ×3, first 2 shown]
	s_load_dwordx4 s[12:15], s[4:5], 0x8
	s_mov_b32 s9, 0
	s_lshl_b64 s[18:19], s[8:9], 3
	s_waitcnt lgkmcnt(0)
	s_add_u32 s0, s0, s18
	s_addc_u32 s1, s1, s19
	s_load_dwordx2 s[10:11], s[0:1], 0x0
	v_lshl_add_u32 v16, s7, 4, v1
	v_lshl_add_u32 v7, s6, 4, v0
	s_cmp_lt_i32 s17, 1
	v_cmp_gt_i32_e32 vcc, s16, v16
	s_cbranch_scc1 .LBB747_9
; %bb.1:
	s_load_dwordx2 s[6:7], s[4:5], 0x30
	s_load_dword s8, s[4:5], 0x20
	s_load_dword s20, s[4:5], 0x38
	v_lshlrev_b32_e32 v4, 8, v1
	v_lshlrev_b32_e32 v17, 4, v0
	s_waitcnt lgkmcnt(0)
	s_add_u32 s6, s6, s18
	s_addc_u32 s7, s7, s19
	s_add_u32 s2, s2, s18
	s_addc_u32 s3, s3, s19
	s_load_dwordx2 s[18:19], s[2:3], 0x0
	v_mad_i64_i32 v[2:3], s[2:3], s20, v16, 0
	s_load_dwordx2 s[6:7], s[6:7], 0x0
	v_add_u32_e32 v18, v17, v4
	v_lshlrev_b64 v[2:3], 4, v[2:3]
	v_add_u32_e32 v19, 0x1000, v4
	v_add_co_u32_e64 v4, s[2:3], v2, v17
	v_addc_co_u32_e64 v5, s[2:3], 0, v3, s[2:3]
	v_mad_i64_i32 v[2:3], s[2:3], s8, v7, 0
	s_waitcnt lgkmcnt(0)
	v_mov_b32_e32 v6, s7
	v_add_co_u32_e64 v8, s[2:3], s6, v4
	v_lshlrev_b64 v[2:3], 4, v[2:3]
	v_addc_co_u32_e64 v9, s[2:3], v6, v5, s[2:3]
	v_lshlrev_b32_e32 v4, 4, v1
	v_add_co_u32_e64 v2, s[2:3], v2, v4
	v_addc_co_u32_e64 v3, s[2:3], 0, v3, s[2:3]
	v_mov_b32_e32 v4, s19
	v_add_co_u32_e64 v10, s[2:3], s18, v2
	v_addc_co_u32_e64 v11, s[2:3], v4, v3, s[2:3]
	v_mov_b32_e32 v14, 0
	v_mov_b32_e32 v12, 0
	v_cmp_gt_i32_e64 s[0:1], s16, v7
	v_add_u32_e32 v20, v19, v17
	v_mov_b32_e32 v15, 0
	s_xor_b64 s[2:3], vcc, -1
	v_mov_b32_e32 v13, 0
	v_mov_b32_e32 v2, 0
	s_branch .LBB747_3
.LBB747_2:                              ;   in Loop: Header=BB747_3 Depth=1
	s_or_b64 exec, exec, s[6:7]
	s_waitcnt lgkmcnt(0)
	s_barrier
	ds_read_b128 v[3:6], v17
	ds_read_b128 v[21:24], v19
	ds_read_b128 v[25:28], v19 offset:16
	ds_read_b128 v[29:32], v17 offset:256
	;; [unrolled: 1-line block ×4, first 2 shown]
	s_waitcnt lgkmcnt(4)
	v_mul_f64 v[41:42], v[23:24], v[5:6]
	v_mul_f64 v[5:6], v[21:22], v[5:6]
	s_waitcnt lgkmcnt(2)
	v_mul_f64 v[43:44], v[27:28], v[31:32]
	v_mul_f64 v[31:32], v[25:26], v[31:32]
	s_waitcnt lgkmcnt(0)
	v_mul_f64 v[47:48], v[35:36], v[39:40]
	v_add_co_u32_e32 v8, vcc, 0x100, v8
	v_addc_co_u32_e32 v9, vcc, 0, v9, vcc
	v_fma_f64 v[41:42], v[21:22], v[3:4], -v[41:42]
	v_fma_f64 v[45:46], v[23:24], v[3:4], v[5:6]
	v_fma_f64 v[25:26], v[25:26], v[29:30], -v[43:44]
	v_fma_f64 v[27:28], v[27:28], v[29:30], v[31:32]
	v_mul_f64 v[29:30], v[33:34], v[39:40]
	ds_read_b128 v[3:6], v19 offset:48
	ds_read_b128 v[21:24], v17 offset:768
	v_fma_f64 v[33:34], v[33:34], v[37:38], -v[47:48]
	s_add_i32 s9, s9, 16
	v_add_f64 v[31:32], v[12:13], v[41:42]
	v_add_f64 v[39:40], v[14:15], v[45:46]
	s_waitcnt lgkmcnt(0)
	v_mul_f64 v[41:42], v[5:6], v[23:24]
	v_mul_f64 v[43:44], v[3:4], v[23:24]
	v_fma_f64 v[35:36], v[35:36], v[37:38], v[29:30]
	ds_read_b128 v[12:15], v19 offset:64
	v_add_co_u32_e32 v10, vcc, 0x100, v10
	v_add_f64 v[31:32], v[31:32], v[25:26]
	v_add_f64 v[37:38], v[39:40], v[27:28]
	ds_read_b128 v[23:26], v17 offset:1024
	v_fma_f64 v[39:40], v[3:4], v[21:22], -v[41:42]
	v_fma_f64 v[21:22], v[5:6], v[21:22], v[43:44]
	ds_read_b128 v[3:6], v19 offset:80
	ds_read_b128 v[27:30], v17 offset:1280
	s_cmp_ge_i32 s9, s17
	s_waitcnt lgkmcnt(2)
	v_mul_f64 v[41:42], v[14:15], v[25:26]
	v_mul_f64 v[25:26], v[12:13], v[25:26]
	v_add_f64 v[43:44], v[31:32], v[33:34]
	v_add_f64 v[35:36], v[37:38], v[35:36]
	s_waitcnt lgkmcnt(0)
	v_mul_f64 v[45:46], v[5:6], v[29:30]
	v_mul_f64 v[29:30], v[3:4], v[29:30]
	ds_read_b128 v[31:34], v19 offset:96
	v_addc_co_u32_e32 v11, vcc, 0, v11, vcc
	v_fma_f64 v[41:42], v[12:13], v[23:24], -v[41:42]
	v_fma_f64 v[25:26], v[14:15], v[23:24], v[25:26]
	v_add_f64 v[39:40], v[43:44], v[39:40]
	v_add_f64 v[43:44], v[35:36], v[21:22]
	ds_read_b128 v[12:15], v17 offset:1536
	v_fma_f64 v[45:46], v[3:4], v[27:28], -v[45:46]
	v_fma_f64 v[27:28], v[5:6], v[27:28], v[29:30]
	ds_read_b128 v[21:24], v19 offset:112
	ds_read_b128 v[35:38], v17 offset:1792
	;; [unrolled: 1-line block ×3, first 2 shown]
	s_waitcnt lgkmcnt(3)
	v_mul_f64 v[47:48], v[33:34], v[14:15]
	v_mul_f64 v[14:15], v[31:32], v[14:15]
	v_add_f64 v[29:30], v[39:40], v[41:42]
	v_add_f64 v[25:26], v[43:44], v[25:26]
	s_waitcnt lgkmcnt(1)
	v_mul_f64 v[39:40], v[23:24], v[37:38]
	v_mul_f64 v[37:38], v[21:22], v[37:38]
	v_fma_f64 v[31:32], v[31:32], v[12:13], -v[47:48]
	v_fma_f64 v[33:34], v[33:34], v[12:13], v[14:15]
	v_add_f64 v[29:30], v[29:30], v[45:46]
	v_add_f64 v[41:42], v[25:26], v[27:28]
	ds_read_b128 v[12:15], v17 offset:2048
	v_fma_f64 v[39:40], v[21:22], v[35:36], -v[39:40]
	v_fma_f64 v[35:36], v[23:24], v[35:36], v[37:38]
	ds_read_b128 v[21:24], v19 offset:144
	ds_read_b128 v[25:28], v17 offset:2304
	s_waitcnt lgkmcnt(2)
	v_mul_f64 v[37:38], v[5:6], v[14:15]
	v_mul_f64 v[14:15], v[3:4], v[14:15]
	v_add_f64 v[43:44], v[29:30], v[31:32]
	v_add_f64 v[33:34], v[41:42], v[33:34]
	s_waitcnt lgkmcnt(0)
	v_mul_f64 v[41:42], v[23:24], v[27:28]
	v_mul_f64 v[27:28], v[21:22], v[27:28]
	ds_read_b128 v[29:32], v19 offset:160
	v_fma_f64 v[37:38], v[3:4], v[12:13], -v[37:38]
	v_fma_f64 v[45:46], v[5:6], v[12:13], v[14:15]
	v_add_f64 v[39:40], v[43:44], v[39:40]
	v_add_f64 v[43:44], v[33:34], v[35:36]
	ds_read_b128 v[3:6], v17 offset:2560
	v_fma_f64 v[41:42], v[21:22], v[25:26], -v[41:42]
	v_fma_f64 v[25:26], v[23:24], v[25:26], v[27:28]
	ds_read_b128 v[12:15], v19 offset:176
	ds_read_b128 v[33:36], v17 offset:2816
	;; [unrolled: 1-line block ×3, first 2 shown]
	s_waitcnt lgkmcnt(3)
	v_mul_f64 v[47:48], v[31:32], v[5:6]
	v_mul_f64 v[5:6], v[29:30], v[5:6]
	v_add_f64 v[27:28], v[39:40], v[37:38]
	v_add_f64 v[37:38], v[43:44], v[45:46]
	s_waitcnt lgkmcnt(1)
	v_mul_f64 v[39:40], v[14:15], v[35:36]
	v_mul_f64 v[35:36], v[12:13], v[35:36]
	v_fma_f64 v[29:30], v[29:30], v[3:4], -v[47:48]
	v_fma_f64 v[31:32], v[31:32], v[3:4], v[5:6]
	v_add_f64 v[41:42], v[27:28], v[41:42]
	v_add_f64 v[37:38], v[37:38], v[25:26]
	ds_read_b128 v[3:6], v17 offset:3072
	v_fma_f64 v[39:40], v[12:13], v[33:34], -v[39:40]
	v_fma_f64 v[33:34], v[14:15], v[33:34], v[35:36]
	ds_read_b128 v[12:15], v19 offset:208
	ds_read_b128 v[25:28], v17 offset:3328
	s_waitcnt lgkmcnt(2)
	v_mul_f64 v[35:36], v[23:24], v[5:6]
	v_mul_f64 v[5:6], v[21:22], v[5:6]
	v_add_f64 v[41:42], v[41:42], v[29:30]
	v_add_f64 v[37:38], v[37:38], v[31:32]
	s_waitcnt lgkmcnt(0)
	v_mul_f64 v[43:44], v[14:15], v[27:28]
	v_mul_f64 v[27:28], v[12:13], v[27:28]
	ds_read_b128 v[29:32], v19 offset:224
	v_fma_f64 v[45:46], v[21:22], v[3:4], -v[35:36]
	v_fma_f64 v[47:48], v[23:24], v[3:4], v[5:6]
	v_add_f64 v[39:40], v[41:42], v[39:40]
	v_add_f64 v[37:38], v[37:38], v[33:34]
	ds_read_b128 v[3:6], v17 offset:3584
	v_fma_f64 v[12:13], v[12:13], v[25:26], -v[43:44]
	v_fma_f64 v[14:15], v[14:15], v[25:26], v[27:28]
	ds_read_b128 v[21:24], v19 offset:240
	ds_read_b128 v[33:36], v17 offset:3840
	s_waitcnt lgkmcnt(0)
	v_mul_f64 v[41:42], v[31:32], v[5:6]
	v_mul_f64 v[5:6], v[29:30], v[5:6]
	v_add_f64 v[25:26], v[39:40], v[45:46]
	v_add_f64 v[27:28], v[37:38], v[47:48]
	v_mul_f64 v[37:38], v[23:24], v[35:36]
	v_mul_f64 v[35:36], v[21:22], v[35:36]
	s_barrier
	v_fma_f64 v[29:30], v[29:30], v[3:4], -v[41:42]
	v_fma_f64 v[3:4], v[31:32], v[3:4], v[5:6]
	v_add_f64 v[5:6], v[25:26], v[12:13]
	v_add_f64 v[12:13], v[27:28], v[14:15]
	v_fma_f64 v[14:15], v[21:22], v[33:34], -v[37:38]
	v_fma_f64 v[21:22], v[23:24], v[33:34], v[35:36]
	v_add_f64 v[5:6], v[5:6], v[29:30]
	v_add_f64 v[3:4], v[12:13], v[3:4]
	;; [unrolled: 1-line block ×4, first 2 shown]
	s_cbranch_scc1 .LBB747_10
.LBB747_3:                              ; =>This Inner Loop Header: Depth=1
	v_add_u32_e32 v3, s9, v1
	v_cmp_gt_i32_e32 vcc, s17, v3
	v_mov_b32_e32 v3, 0
	v_mov_b32_e32 v5, 0
	;; [unrolled: 1-line block ×4, first 2 shown]
	s_and_b64 s[18:19], s[0:1], vcc
	s_and_saveexec_b64 s[6:7], s[18:19]
	s_cbranch_execz .LBB747_5
; %bb.4:                                ;   in Loop: Header=BB747_3 Depth=1
	flat_load_dwordx4 v[3:6], v[10:11]
.LBB747_5:                              ;   in Loop: Header=BB747_3 Depth=1
	s_or_b64 exec, exec, s[6:7]
	s_waitcnt vmcnt(0) lgkmcnt(0)
	ds_write_b128 v18, v[3:6]
	v_add_u32_e32 v3, s9, v0
	v_cmp_le_i32_e32 vcc, s17, v3
	s_or_b64 s[6:7], s[2:3], vcc
	s_and_saveexec_b64 s[18:19], s[6:7]
	s_xor_b64 s[6:7], exec, s[18:19]
; %bb.6:                                ;   in Loop: Header=BB747_3 Depth=1
	v_mov_b32_e32 v3, v2
	v_mov_b32_e32 v4, v2
	;; [unrolled: 1-line block ×3, first 2 shown]
	ds_write_b128 v20, v[2:5]
; %bb.7:                                ;   in Loop: Header=BB747_3 Depth=1
	s_andn2_saveexec_b64 s[6:7], s[6:7]
	s_cbranch_execz .LBB747_2
; %bb.8:                                ;   in Loop: Header=BB747_3 Depth=1
	flat_load_dwordx4 v[3:6], v[8:9]
	s_waitcnt vmcnt(0) lgkmcnt(0)
	ds_write2_b64 v20, v[3:4], v[5:6] offset1:1
	s_branch .LBB747_2
.LBB747_9:
	v_mov_b32_e32 v14, 0
	v_mov_b32_e32 v12, 0
	;; [unrolled: 1-line block ×4, first 2 shown]
.LBB747_10:
	v_cmp_le_i32_e32 vcc, v7, v16
	v_cmp_gt_i32_e64 s[0:1], s16, v16
	s_and_b64 s[0:1], vcc, s[0:1]
	s_and_saveexec_b64 s[2:3], s[0:1]
	s_cbranch_execz .LBB747_12
; %bb.11:
	s_load_dword s0, s[4:5], 0x60
	v_mul_f64 v[0:1], s[14:15], v[14:15]
	v_mul_f64 v[2:3], s[12:13], v[14:15]
	v_ashrrev_i32_e32 v8, 31, v7
	s_waitcnt lgkmcnt(0)
	v_mov_b32_e32 v6, s11
	v_mad_i64_i32 v[4:5], s[0:1], s0, v16, 0
	v_fma_f64 v[0:1], s[12:13], v[12:13], -v[0:1]
	v_fma_f64 v[2:3], s[14:15], v[12:13], v[2:3]
	v_lshlrev_b64 v[4:5], 4, v[4:5]
	v_add_co_u32_e32 v9, vcc, s10, v4
	v_addc_co_u32_e32 v6, vcc, v6, v5, vcc
	v_lshlrev_b64 v[4:5], 4, v[7:8]
	v_add_co_u32_e32 v4, vcc, v9, v4
	v_addc_co_u32_e32 v5, vcc, v6, v5, vcc
	flat_store_dwordx4 v[4:5], v[0:3]
.LBB747_12:
	s_endpgm
	.section	.rodata,"a",@progbits
	.p2align	6, 0x0
	.amdhsa_kernel _ZL32rocblas_syrkx_herkx_small_kernelIi19rocblas_complex_numIdELi16ELb1ELb0ELc67ELc85EKPKS1_KPS1_EviT_T0_PT6_S7_lSA_S7_lS8_PT7_S7_li
		.amdhsa_group_segment_fixed_size 8192
		.amdhsa_private_segment_fixed_size 0
		.amdhsa_kernarg_size 116
		.amdhsa_user_sgpr_count 6
		.amdhsa_user_sgpr_private_segment_buffer 1
		.amdhsa_user_sgpr_dispatch_ptr 0
		.amdhsa_user_sgpr_queue_ptr 0
		.amdhsa_user_sgpr_kernarg_segment_ptr 1
		.amdhsa_user_sgpr_dispatch_id 0
		.amdhsa_user_sgpr_flat_scratch_init 0
		.amdhsa_user_sgpr_private_segment_size 0
		.amdhsa_uses_dynamic_stack 0
		.amdhsa_system_sgpr_private_segment_wavefront_offset 0
		.amdhsa_system_sgpr_workgroup_id_x 1
		.amdhsa_system_sgpr_workgroup_id_y 1
		.amdhsa_system_sgpr_workgroup_id_z 1
		.amdhsa_system_sgpr_workgroup_info 0
		.amdhsa_system_vgpr_workitem_id 1
		.amdhsa_next_free_vgpr 49
		.amdhsa_next_free_sgpr 61
		.amdhsa_reserve_vcc 1
		.amdhsa_reserve_flat_scratch 0
		.amdhsa_float_round_mode_32 0
		.amdhsa_float_round_mode_16_64 0
		.amdhsa_float_denorm_mode_32 3
		.amdhsa_float_denorm_mode_16_64 3
		.amdhsa_dx10_clamp 1
		.amdhsa_ieee_mode 1
		.amdhsa_fp16_overflow 0
		.amdhsa_exception_fp_ieee_invalid_op 0
		.amdhsa_exception_fp_denorm_src 0
		.amdhsa_exception_fp_ieee_div_zero 0
		.amdhsa_exception_fp_ieee_overflow 0
		.amdhsa_exception_fp_ieee_underflow 0
		.amdhsa_exception_fp_ieee_inexact 0
		.amdhsa_exception_int_div_zero 0
	.end_amdhsa_kernel
	.section	.text._ZL32rocblas_syrkx_herkx_small_kernelIi19rocblas_complex_numIdELi16ELb1ELb0ELc67ELc85EKPKS1_KPS1_EviT_T0_PT6_S7_lSA_S7_lS8_PT7_S7_li,"axG",@progbits,_ZL32rocblas_syrkx_herkx_small_kernelIi19rocblas_complex_numIdELi16ELb1ELb0ELc67ELc85EKPKS1_KPS1_EviT_T0_PT6_S7_lSA_S7_lS8_PT7_S7_li,comdat
.Lfunc_end747:
	.size	_ZL32rocblas_syrkx_herkx_small_kernelIi19rocblas_complex_numIdELi16ELb1ELb0ELc67ELc85EKPKS1_KPS1_EviT_T0_PT6_S7_lSA_S7_lS8_PT7_S7_li, .Lfunc_end747-_ZL32rocblas_syrkx_herkx_small_kernelIi19rocblas_complex_numIdELi16ELb1ELb0ELc67ELc85EKPKS1_KPS1_EviT_T0_PT6_S7_lSA_S7_lS8_PT7_S7_li
                                        ; -- End function
	.set _ZL32rocblas_syrkx_herkx_small_kernelIi19rocblas_complex_numIdELi16ELb1ELb0ELc67ELc85EKPKS1_KPS1_EviT_T0_PT6_S7_lSA_S7_lS8_PT7_S7_li.num_vgpr, 49
	.set _ZL32rocblas_syrkx_herkx_small_kernelIi19rocblas_complex_numIdELi16ELb1ELb0ELc67ELc85EKPKS1_KPS1_EviT_T0_PT6_S7_lSA_S7_lS8_PT7_S7_li.num_agpr, 0
	.set _ZL32rocblas_syrkx_herkx_small_kernelIi19rocblas_complex_numIdELi16ELb1ELb0ELc67ELc85EKPKS1_KPS1_EviT_T0_PT6_S7_lSA_S7_lS8_PT7_S7_li.numbered_sgpr, 21
	.set _ZL32rocblas_syrkx_herkx_small_kernelIi19rocblas_complex_numIdELi16ELb1ELb0ELc67ELc85EKPKS1_KPS1_EviT_T0_PT6_S7_lSA_S7_lS8_PT7_S7_li.num_named_barrier, 0
	.set _ZL32rocblas_syrkx_herkx_small_kernelIi19rocblas_complex_numIdELi16ELb1ELb0ELc67ELc85EKPKS1_KPS1_EviT_T0_PT6_S7_lSA_S7_lS8_PT7_S7_li.private_seg_size, 0
	.set _ZL32rocblas_syrkx_herkx_small_kernelIi19rocblas_complex_numIdELi16ELb1ELb0ELc67ELc85EKPKS1_KPS1_EviT_T0_PT6_S7_lSA_S7_lS8_PT7_S7_li.uses_vcc, 1
	.set _ZL32rocblas_syrkx_herkx_small_kernelIi19rocblas_complex_numIdELi16ELb1ELb0ELc67ELc85EKPKS1_KPS1_EviT_T0_PT6_S7_lSA_S7_lS8_PT7_S7_li.uses_flat_scratch, 0
	.set _ZL32rocblas_syrkx_herkx_small_kernelIi19rocblas_complex_numIdELi16ELb1ELb0ELc67ELc85EKPKS1_KPS1_EviT_T0_PT6_S7_lSA_S7_lS8_PT7_S7_li.has_dyn_sized_stack, 0
	.set _ZL32rocblas_syrkx_herkx_small_kernelIi19rocblas_complex_numIdELi16ELb1ELb0ELc67ELc85EKPKS1_KPS1_EviT_T0_PT6_S7_lSA_S7_lS8_PT7_S7_li.has_recursion, 0
	.set _ZL32rocblas_syrkx_herkx_small_kernelIi19rocblas_complex_numIdELi16ELb1ELb0ELc67ELc85EKPKS1_KPS1_EviT_T0_PT6_S7_lSA_S7_lS8_PT7_S7_li.has_indirect_call, 0
	.section	.AMDGPU.csdata,"",@progbits
; Kernel info:
; codeLenInByte = 1732
; TotalNumSgprs: 25
; NumVgprs: 49
; ScratchSize: 0
; MemoryBound: 1
; FloatMode: 240
; IeeeMode: 1
; LDSByteSize: 8192 bytes/workgroup (compile time only)
; SGPRBlocks: 8
; VGPRBlocks: 12
; NumSGPRsForWavesPerEU: 65
; NumVGPRsForWavesPerEU: 49
; Occupancy: 4
; WaveLimiterHint : 1
; COMPUTE_PGM_RSRC2:SCRATCH_EN: 0
; COMPUTE_PGM_RSRC2:USER_SGPR: 6
; COMPUTE_PGM_RSRC2:TRAP_HANDLER: 0
; COMPUTE_PGM_RSRC2:TGID_X_EN: 1
; COMPUTE_PGM_RSRC2:TGID_Y_EN: 1
; COMPUTE_PGM_RSRC2:TGID_Z_EN: 1
; COMPUTE_PGM_RSRC2:TIDIG_COMP_CNT: 1
	.section	.text._ZL32rocblas_syrkx_herkx_small_kernelIi19rocblas_complex_numIdELi16ELb1ELb0ELc78ELc85EKPKS1_KPS1_EviT_T0_PT6_S7_lSA_S7_lS8_PT7_S7_li,"axG",@progbits,_ZL32rocblas_syrkx_herkx_small_kernelIi19rocblas_complex_numIdELi16ELb1ELb0ELc78ELc85EKPKS1_KPS1_EviT_T0_PT6_S7_lSA_S7_lS8_PT7_S7_li,comdat
	.globl	_ZL32rocblas_syrkx_herkx_small_kernelIi19rocblas_complex_numIdELi16ELb1ELb0ELc78ELc85EKPKS1_KPS1_EviT_T0_PT6_S7_lSA_S7_lS8_PT7_S7_li ; -- Begin function _ZL32rocblas_syrkx_herkx_small_kernelIi19rocblas_complex_numIdELi16ELb1ELb0ELc78ELc85EKPKS1_KPS1_EviT_T0_PT6_S7_lSA_S7_lS8_PT7_S7_li
	.p2align	8
	.type	_ZL32rocblas_syrkx_herkx_small_kernelIi19rocblas_complex_numIdELi16ELb1ELb0ELc78ELc85EKPKS1_KPS1_EviT_T0_PT6_S7_lSA_S7_lS8_PT7_S7_li,@function
_ZL32rocblas_syrkx_herkx_small_kernelIi19rocblas_complex_numIdELi16ELb1ELb0ELc78ELc85EKPKS1_KPS1_EviT_T0_PT6_S7_lSA_S7_lS8_PT7_S7_li: ; @_ZL32rocblas_syrkx_herkx_small_kernelIi19rocblas_complex_numIdELi16ELb1ELb0ELc78ELc85EKPKS1_KPS1_EviT_T0_PT6_S7_lSA_S7_lS8_PT7_S7_li
; %bb.0:
	s_load_dwordx2 s[0:1], s[4:5], 0x18
	s_load_dwordx2 s[10:11], s[4:5], 0x58
	;; [unrolled: 1-line block ×3, first 2 shown]
	s_load_dwordx4 s[12:15], s[4:5], 0x8
	s_mov_b32 s9, 0
	s_lshl_b64 s[2:3], s[8:9], 3
	s_waitcnt lgkmcnt(0)
	s_add_u32 s10, s10, s2
	s_addc_u32 s11, s11, s3
	s_load_dwordx2 s[10:11], s[10:11], 0x0
	v_lshl_add_u32 v7, s6, 4, v0
	v_lshl_add_u32 v9, s7, 4, v1
	s_cmp_lt_i32 s17, 1
	v_ashrrev_i32_e32 v8, 31, v7
	v_cmp_gt_i32_e32 vcc, s16, v9
	s_cbranch_scc1 .LBB748_9
; %bb.1:
	s_load_dword s18, s[4:5], 0x20
	s_load_dword s6, s[4:5], 0x38
	s_load_dwordx2 s[20:21], s[4:5], 0x30
	v_lshlrev_b32_e32 v4, 8, v1
	v_lshlrev_b32_e32 v18, 4, v0
	s_waitcnt lgkmcnt(0)
	s_ashr_i32 s19, s18, 31
	s_ashr_i32 s7, s6, 31
	s_add_u32 s20, s20, s2
	s_addc_u32 s21, s21, s3
	s_add_u32 s0, s0, s2
	s_addc_u32 s1, s1, s3
	v_mad_i64_i32 v[2:3], s[2:3], s6, v0, 0
	v_ashrrev_i32_e32 v10, 31, v9
	v_add_u32_e32 v19, v18, v4
	v_add_u32_e32 v20, 0x1000, v4
	v_lshlrev_b64 v[2:3], 4, v[2:3]
	v_lshlrev_b64 v[4:5], 4, v[9:10]
	s_load_dwordx2 s[20:21], s[20:21], 0x0
	v_add_co_u32_e64 v4, s[2:3], v2, v4
	v_addc_co_u32_e64 v5, s[2:3], v3, v5, s[2:3]
	v_mad_i64_i32 v[2:3], s[2:3], s18, v1, 0
	s_load_dwordx2 s[22:23], s[0:1], 0x0
	s_waitcnt lgkmcnt(0)
	v_mov_b32_e32 v6, s21
	v_add_co_u32_e64 v10, s[2:3], s20, v4
	v_addc_co_u32_e64 v11, s[2:3], v6, v5, s[2:3]
	v_lshlrev_b64 v[2:3], 4, v[2:3]
	v_lshlrev_b64 v[4:5], 4, v[7:8]
	v_cmp_gt_i32_e64 s[0:1], s16, v7
	v_add_co_u32_e64 v2, s[2:3], v2, v4
	v_addc_co_u32_e64 v3, s[2:3], v3, v5, s[2:3]
	v_mov_b32_e32 v4, s23
	v_add_co_u32_e64 v12, s[2:3], s22, v2
	v_addc_co_u32_e64 v13, s[2:3], v4, v3, s[2:3]
	s_lshl_b64 s[6:7], s[6:7], 8
	s_lshl_b64 s[2:3], s[18:19], 8
	v_mov_b32_e32 v14, 0
	v_mov_b32_e32 v16, 0
	v_add_u32_e32 v21, v20, v18
	v_mov_b32_e32 v15, 0
	s_xor_b64 s[18:19], s[0:1], -1
	v_mov_b32_e32 v22, s7
	v_mov_b32_e32 v23, s3
	;; [unrolled: 1-line block ×4, first 2 shown]
	s_branch .LBB748_3
.LBB748_2:                              ;   in Loop: Header=BB748_3 Depth=1
	s_or_b64 exec, exec, s[0:1]
	s_waitcnt vmcnt(0) lgkmcnt(0)
	ds_write_b128 v21, v[3:6]
	s_waitcnt lgkmcnt(0)
	s_barrier
	ds_read_b128 v[3:6], v18
	ds_read_b128 v[24:27], v20
	ds_read_b128 v[28:31], v20 offset:16
	ds_read_b128 v[32:35], v18 offset:256
	v_add_co_u32_e64 v10, s[0:1], s6, v10
	s_waitcnt lgkmcnt(2)
	v_mul_f64 v[36:37], v[26:27], v[5:6]
	v_mul_f64 v[5:6], v[24:25], v[5:6]
	s_waitcnt lgkmcnt(0)
	v_mul_f64 v[38:39], v[30:31], v[34:35]
	v_mul_f64 v[40:41], v[28:29], v[34:35]
	v_addc_co_u32_e64 v11, s[0:1], v11, v22, s[0:1]
	s_add_i32 s9, s9, 16
	v_add_co_u32_e64 v12, s[0:1], s2, v12
	v_fma_f64 v[42:43], v[24:25], v[3:4], -v[36:37]
	v_fma_f64 v[44:45], v[26:27], v[3:4], v[5:6]
	ds_read_b128 v[3:6], v18 offset:512
	ds_read_b128 v[24:27], v20 offset:32
	;; [unrolled: 1-line block ×3, first 2 shown]
	v_fma_f64 v[38:39], v[28:29], v[32:33], -v[38:39]
	v_fma_f64 v[32:33], v[30:31], v[32:33], v[40:41]
	ds_read_b128 v[28:31], v18 offset:768
	s_waitcnt lgkmcnt(2)
	v_mul_f64 v[40:41], v[26:27], v[5:6]
	v_mul_f64 v[5:6], v[24:25], v[5:6]
	v_add_f64 v[16:17], v[16:17], v[42:43]
	v_add_f64 v[14:15], v[14:15], v[44:45]
	s_waitcnt lgkmcnt(0)
	v_mul_f64 v[42:43], v[36:37], v[30:31]
	v_mul_f64 v[30:31], v[34:35], v[30:31]
	s_cmp_ge_i32 s9, s17
	v_addc_co_u32_e64 v13, s[0:1], v13, v23, s[0:1]
	v_fma_f64 v[40:41], v[24:25], v[3:4], -v[40:41]
	v_fma_f64 v[44:45], v[26:27], v[3:4], v[5:6]
	v_add_f64 v[38:39], v[16:17], v[38:39]
	v_add_f64 v[32:33], v[14:15], v[32:33]
	ds_read_b128 v[3:6], v20 offset:64
	ds_read_b128 v[14:17], v18 offset:1024
	v_fma_f64 v[34:35], v[34:35], v[28:29], -v[42:43]
	v_fma_f64 v[36:37], v[36:37], v[28:29], v[30:31]
	ds_read_b128 v[24:27], v20 offset:80
	ds_read_b128 v[28:31], v18 offset:1280
	s_waitcnt lgkmcnt(2)
	v_mul_f64 v[42:43], v[5:6], v[16:17]
	v_mul_f64 v[16:17], v[3:4], v[16:17]
	v_add_f64 v[38:39], v[38:39], v[40:41]
	v_add_f64 v[32:33], v[32:33], v[44:45]
	s_waitcnt lgkmcnt(0)
	v_mul_f64 v[40:41], v[26:27], v[30:31]
	v_mul_f64 v[30:31], v[24:25], v[30:31]
	v_fma_f64 v[42:43], v[3:4], v[14:15], -v[42:43]
	v_fma_f64 v[44:45], v[5:6], v[14:15], v[16:17]
	v_add_f64 v[34:35], v[38:39], v[34:35]
	v_add_f64 v[32:33], v[32:33], v[36:37]
	ds_read_b128 v[3:6], v20 offset:96
	ds_read_b128 v[14:17], v18 offset:1536
	v_fma_f64 v[36:37], v[24:25], v[28:29], -v[40:41]
	v_fma_f64 v[38:39], v[26:27], v[28:29], v[30:31]
	ds_read_b128 v[24:27], v20 offset:112
	ds_read_b128 v[28:31], v18 offset:1792
	s_waitcnt lgkmcnt(2)
	v_mul_f64 v[40:41], v[5:6], v[16:17]
	v_mul_f64 v[16:17], v[3:4], v[16:17]
	v_add_f64 v[34:35], v[34:35], v[42:43]
	v_add_f64 v[32:33], v[32:33], v[44:45]
	s_waitcnt lgkmcnt(0)
	v_mul_f64 v[42:43], v[26:27], v[30:31]
	v_mul_f64 v[30:31], v[24:25], v[30:31]
	;; [unrolled: 18-line block ×5, first 2 shown]
	v_fma_f64 v[42:43], v[3:4], v[14:15], -v[42:43]
	v_fma_f64 v[44:45], v[5:6], v[14:15], v[16:17]
	v_add_f64 v[34:35], v[34:35], v[36:37]
	v_add_f64 v[32:33], v[32:33], v[38:39]
	ds_read_b128 v[3:6], v20 offset:224
	ds_read_b128 v[14:17], v18 offset:3584
	v_fma_f64 v[36:37], v[24:25], v[28:29], -v[40:41]
	v_fma_f64 v[38:39], v[26:27], v[28:29], v[30:31]
	ds_read_b128 v[24:27], v20 offset:240
	ds_read_b128 v[28:31], v18 offset:3840
	s_waitcnt lgkmcnt(0)
	v_mul_f64 v[40:41], v[5:6], v[16:17]
	v_mul_f64 v[16:17], v[3:4], v[16:17]
	v_add_f64 v[34:35], v[34:35], v[42:43]
	v_add_f64 v[32:33], v[32:33], v[44:45]
	v_mul_f64 v[42:43], v[26:27], v[30:31]
	v_mul_f64 v[30:31], v[24:25], v[30:31]
	s_barrier
	v_fma_f64 v[3:4], v[3:4], v[14:15], -v[40:41]
	v_fma_f64 v[5:6], v[5:6], v[14:15], v[16:17]
	v_add_f64 v[14:15], v[34:35], v[36:37]
	v_add_f64 v[16:17], v[32:33], v[38:39]
	v_fma_f64 v[24:25], v[24:25], v[28:29], -v[42:43]
	v_fma_f64 v[26:27], v[26:27], v[28:29], v[30:31]
	v_add_f64 v[3:4], v[14:15], v[3:4]
	v_add_f64 v[5:6], v[16:17], v[5:6]
	;; [unrolled: 1-line block ×4, first 2 shown]
	s_cbranch_scc1 .LBB748_10
.LBB748_3:                              ; =>This Inner Loop Header: Depth=1
	v_add_u32_e32 v3, s9, v1
	v_cmp_le_i32_e64 s[0:1], s17, v3
	s_or_b64 s[0:1], s[18:19], s[0:1]
	s_and_saveexec_b64 s[20:21], s[0:1]
	s_xor_b64 s[0:1], exec, s[20:21]
; %bb.4:                                ;   in Loop: Header=BB748_3 Depth=1
	v_mov_b32_e32 v3, v2
	v_mov_b32_e32 v4, v2
	;; [unrolled: 1-line block ×3, first 2 shown]
	ds_write_b128 v19, v[2:5]
; %bb.5:                                ;   in Loop: Header=BB748_3 Depth=1
	s_andn2_saveexec_b64 s[0:1], s[0:1]
	s_cbranch_execz .LBB748_7
; %bb.6:                                ;   in Loop: Header=BB748_3 Depth=1
	flat_load_dwordx4 v[3:6], v[12:13]
	s_waitcnt vmcnt(0) lgkmcnt(0)
	ds_write2_b64 v19, v[3:4], v[5:6] offset1:1
.LBB748_7:                              ;   in Loop: Header=BB748_3 Depth=1
	s_or_b64 exec, exec, s[0:1]
	v_add_u32_e32 v3, s9, v0
	v_cmp_gt_i32_e64 s[0:1], s17, v3
	v_mov_b32_e32 v3, 0
	v_mov_b32_e32 v5, 0
	;; [unrolled: 1-line block ×4, first 2 shown]
	s_and_b64 s[20:21], vcc, s[0:1]
	s_and_saveexec_b64 s[0:1], s[20:21]
	s_cbranch_execz .LBB748_2
; %bb.8:                                ;   in Loop: Header=BB748_3 Depth=1
	flat_load_dwordx4 v[3:6], v[10:11]
	s_branch .LBB748_2
.LBB748_9:
	v_mov_b32_e32 v14, 0
	v_mov_b32_e32 v16, 0
	;; [unrolled: 1-line block ×4, first 2 shown]
.LBB748_10:
	v_cmp_le_i32_e32 vcc, v7, v9
	v_cmp_gt_i32_e64 s[0:1], s16, v9
	s_and_b64 s[0:1], vcc, s[0:1]
	s_and_saveexec_b64 s[2:3], s[0:1]
	s_cbranch_execz .LBB748_12
; %bb.11:
	s_load_dword s0, s[4:5], 0x60
	v_mul_f64 v[0:1], s[14:15], v[14:15]
	v_mul_f64 v[2:3], s[12:13], v[14:15]
	s_waitcnt lgkmcnt(0)
	v_mov_b32_e32 v6, s11
	v_mad_i64_i32 v[4:5], s[0:1], s0, v9, 0
	v_fma_f64 v[0:1], s[12:13], v[16:17], -v[0:1]
	v_fma_f64 v[2:3], s[14:15], v[16:17], v[2:3]
	v_lshlrev_b64 v[4:5], 4, v[4:5]
	v_add_co_u32_e32 v9, vcc, s10, v4
	v_addc_co_u32_e32 v6, vcc, v6, v5, vcc
	v_lshlrev_b64 v[4:5], 4, v[7:8]
	v_add_co_u32_e32 v4, vcc, v9, v4
	v_addc_co_u32_e32 v5, vcc, v6, v5, vcc
	flat_store_dwordx4 v[4:5], v[0:3]
.LBB748_12:
	s_endpgm
	.section	.rodata,"a",@progbits
	.p2align	6, 0x0
	.amdhsa_kernel _ZL32rocblas_syrkx_herkx_small_kernelIi19rocblas_complex_numIdELi16ELb1ELb0ELc78ELc85EKPKS1_KPS1_EviT_T0_PT6_S7_lSA_S7_lS8_PT7_S7_li
		.amdhsa_group_segment_fixed_size 8192
		.amdhsa_private_segment_fixed_size 0
		.amdhsa_kernarg_size 116
		.amdhsa_user_sgpr_count 6
		.amdhsa_user_sgpr_private_segment_buffer 1
		.amdhsa_user_sgpr_dispatch_ptr 0
		.amdhsa_user_sgpr_queue_ptr 0
		.amdhsa_user_sgpr_kernarg_segment_ptr 1
		.amdhsa_user_sgpr_dispatch_id 0
		.amdhsa_user_sgpr_flat_scratch_init 0
		.amdhsa_user_sgpr_private_segment_size 0
		.amdhsa_uses_dynamic_stack 0
		.amdhsa_system_sgpr_private_segment_wavefront_offset 0
		.amdhsa_system_sgpr_workgroup_id_x 1
		.amdhsa_system_sgpr_workgroup_id_y 1
		.amdhsa_system_sgpr_workgroup_id_z 1
		.amdhsa_system_sgpr_workgroup_info 0
		.amdhsa_system_vgpr_workitem_id 1
		.amdhsa_next_free_vgpr 46
		.amdhsa_next_free_sgpr 61
		.amdhsa_reserve_vcc 1
		.amdhsa_reserve_flat_scratch 0
		.amdhsa_float_round_mode_32 0
		.amdhsa_float_round_mode_16_64 0
		.amdhsa_float_denorm_mode_32 3
		.amdhsa_float_denorm_mode_16_64 3
		.amdhsa_dx10_clamp 1
		.amdhsa_ieee_mode 1
		.amdhsa_fp16_overflow 0
		.amdhsa_exception_fp_ieee_invalid_op 0
		.amdhsa_exception_fp_denorm_src 0
		.amdhsa_exception_fp_ieee_div_zero 0
		.amdhsa_exception_fp_ieee_overflow 0
		.amdhsa_exception_fp_ieee_underflow 0
		.amdhsa_exception_fp_ieee_inexact 0
		.amdhsa_exception_int_div_zero 0
	.end_amdhsa_kernel
	.section	.text._ZL32rocblas_syrkx_herkx_small_kernelIi19rocblas_complex_numIdELi16ELb1ELb0ELc78ELc85EKPKS1_KPS1_EviT_T0_PT6_S7_lSA_S7_lS8_PT7_S7_li,"axG",@progbits,_ZL32rocblas_syrkx_herkx_small_kernelIi19rocblas_complex_numIdELi16ELb1ELb0ELc78ELc85EKPKS1_KPS1_EviT_T0_PT6_S7_lSA_S7_lS8_PT7_S7_li,comdat
.Lfunc_end748:
	.size	_ZL32rocblas_syrkx_herkx_small_kernelIi19rocblas_complex_numIdELi16ELb1ELb0ELc78ELc85EKPKS1_KPS1_EviT_T0_PT6_S7_lSA_S7_lS8_PT7_S7_li, .Lfunc_end748-_ZL32rocblas_syrkx_herkx_small_kernelIi19rocblas_complex_numIdELi16ELb1ELb0ELc78ELc85EKPKS1_KPS1_EviT_T0_PT6_S7_lSA_S7_lS8_PT7_S7_li
                                        ; -- End function
	.set _ZL32rocblas_syrkx_herkx_small_kernelIi19rocblas_complex_numIdELi16ELb1ELb0ELc78ELc85EKPKS1_KPS1_EviT_T0_PT6_S7_lSA_S7_lS8_PT7_S7_li.num_vgpr, 46
	.set _ZL32rocblas_syrkx_herkx_small_kernelIi19rocblas_complex_numIdELi16ELb1ELb0ELc78ELc85EKPKS1_KPS1_EviT_T0_PT6_S7_lSA_S7_lS8_PT7_S7_li.num_agpr, 0
	.set _ZL32rocblas_syrkx_herkx_small_kernelIi19rocblas_complex_numIdELi16ELb1ELb0ELc78ELc85EKPKS1_KPS1_EviT_T0_PT6_S7_lSA_S7_lS8_PT7_S7_li.numbered_sgpr, 24
	.set _ZL32rocblas_syrkx_herkx_small_kernelIi19rocblas_complex_numIdELi16ELb1ELb0ELc78ELc85EKPKS1_KPS1_EviT_T0_PT6_S7_lSA_S7_lS8_PT7_S7_li.num_named_barrier, 0
	.set _ZL32rocblas_syrkx_herkx_small_kernelIi19rocblas_complex_numIdELi16ELb1ELb0ELc78ELc85EKPKS1_KPS1_EviT_T0_PT6_S7_lSA_S7_lS8_PT7_S7_li.private_seg_size, 0
	.set _ZL32rocblas_syrkx_herkx_small_kernelIi19rocblas_complex_numIdELi16ELb1ELb0ELc78ELc85EKPKS1_KPS1_EviT_T0_PT6_S7_lSA_S7_lS8_PT7_S7_li.uses_vcc, 1
	.set _ZL32rocblas_syrkx_herkx_small_kernelIi19rocblas_complex_numIdELi16ELb1ELb0ELc78ELc85EKPKS1_KPS1_EviT_T0_PT6_S7_lSA_S7_lS8_PT7_S7_li.uses_flat_scratch, 0
	.set _ZL32rocblas_syrkx_herkx_small_kernelIi19rocblas_complex_numIdELi16ELb1ELb0ELc78ELc85EKPKS1_KPS1_EviT_T0_PT6_S7_lSA_S7_lS8_PT7_S7_li.has_dyn_sized_stack, 0
	.set _ZL32rocblas_syrkx_herkx_small_kernelIi19rocblas_complex_numIdELi16ELb1ELb0ELc78ELc85EKPKS1_KPS1_EviT_T0_PT6_S7_lSA_S7_lS8_PT7_S7_li.has_recursion, 0
	.set _ZL32rocblas_syrkx_herkx_small_kernelIi19rocblas_complex_numIdELi16ELb1ELb0ELc78ELc85EKPKS1_KPS1_EviT_T0_PT6_S7_lSA_S7_lS8_PT7_S7_li.has_indirect_call, 0
	.section	.AMDGPU.csdata,"",@progbits
; Kernel info:
; codeLenInByte = 1788
; TotalNumSgprs: 28
; NumVgprs: 46
; ScratchSize: 0
; MemoryBound: 1
; FloatMode: 240
; IeeeMode: 1
; LDSByteSize: 8192 bytes/workgroup (compile time only)
; SGPRBlocks: 8
; VGPRBlocks: 11
; NumSGPRsForWavesPerEU: 65
; NumVGPRsForWavesPerEU: 46
; Occupancy: 5
; WaveLimiterHint : 1
; COMPUTE_PGM_RSRC2:SCRATCH_EN: 0
; COMPUTE_PGM_RSRC2:USER_SGPR: 6
; COMPUTE_PGM_RSRC2:TRAP_HANDLER: 0
; COMPUTE_PGM_RSRC2:TGID_X_EN: 1
; COMPUTE_PGM_RSRC2:TGID_Y_EN: 1
; COMPUTE_PGM_RSRC2:TGID_Z_EN: 1
; COMPUTE_PGM_RSRC2:TIDIG_COMP_CNT: 1
	.section	.text._ZL32rocblas_syrkx_herkx_small_kernelIi19rocblas_complex_numIdELi16ELb0ELb0ELc84ELc76EKPKS1_KPS1_EviT_T0_PT6_S7_lSA_S7_lS8_PT7_S7_li,"axG",@progbits,_ZL32rocblas_syrkx_herkx_small_kernelIi19rocblas_complex_numIdELi16ELb0ELb0ELc84ELc76EKPKS1_KPS1_EviT_T0_PT6_S7_lSA_S7_lS8_PT7_S7_li,comdat
	.globl	_ZL32rocblas_syrkx_herkx_small_kernelIi19rocblas_complex_numIdELi16ELb0ELb0ELc84ELc76EKPKS1_KPS1_EviT_T0_PT6_S7_lSA_S7_lS8_PT7_S7_li ; -- Begin function _ZL32rocblas_syrkx_herkx_small_kernelIi19rocblas_complex_numIdELi16ELb0ELb0ELc84ELc76EKPKS1_KPS1_EviT_T0_PT6_S7_lSA_S7_lS8_PT7_S7_li
	.p2align	8
	.type	_ZL32rocblas_syrkx_herkx_small_kernelIi19rocblas_complex_numIdELi16ELb0ELb0ELc84ELc76EKPKS1_KPS1_EviT_T0_PT6_S7_lSA_S7_lS8_PT7_S7_li,@function
_ZL32rocblas_syrkx_herkx_small_kernelIi19rocblas_complex_numIdELi16ELb0ELb0ELc84ELc76EKPKS1_KPS1_EviT_T0_PT6_S7_lSA_S7_lS8_PT7_S7_li: ; @_ZL32rocblas_syrkx_herkx_small_kernelIi19rocblas_complex_numIdELi16ELb0ELb0ELc84ELc76EKPKS1_KPS1_EviT_T0_PT6_S7_lSA_S7_lS8_PT7_S7_li
; %bb.0:
	s_load_dwordx2 s[20:21], s[4:5], 0x0
	s_load_dwordx4 s[12:15], s[4:5], 0x8
	s_load_dwordx2 s[10:11], s[4:5], 0x58
	s_load_dwordx2 s[0:1], s[4:5], 0x18
	s_load_dwordx4 s[16:19], s[4:5], 0x48
	s_mov_b32 s9, 0
	s_lshl_b64 s[2:3], s[8:9], 3
	s_waitcnt lgkmcnt(0)
	s_add_u32 s10, s10, s2
	s_addc_u32 s11, s11, s3
	s_load_dwordx2 s[10:11], s[10:11], 0x0
	v_lshl_add_u32 v6, s6, 4, v0
	v_lshl_add_u32 v15, s7, 4, v1
	s_cmp_lt_i32 s21, 1
	v_cmp_gt_i32_e32 vcc, s20, v6
	s_cbranch_scc1 .LBB749_11
; %bb.1:
	s_load_dwordx2 s[6:7], s[4:5], 0x30
	s_load_dword s8, s[4:5], 0x20
	s_load_dword s24, s[4:5], 0x38
	v_lshlrev_b32_e32 v4, 8, v1
	v_lshlrev_b32_e32 v16, 4, v0
	s_waitcnt lgkmcnt(0)
	s_add_u32 s6, s6, s2
	s_addc_u32 s7, s7, s3
	s_add_u32 s0, s0, s2
	s_addc_u32 s1, s1, s3
	s_load_dwordx2 s[22:23], s[0:1], 0x0
	v_mad_i64_i32 v[2:3], s[0:1], s24, v15, 0
	s_load_dwordx2 s[6:7], s[6:7], 0x0
	v_add_u32_e32 v17, v16, v4
	v_lshlrev_b64 v[2:3], 4, v[2:3]
	v_add_u32_e32 v18, 0x1000, v4
	v_add_co_u32_e64 v4, s[2:3], v2, v16
	v_addc_co_u32_e64 v5, s[2:3], 0, v3, s[2:3]
	v_mad_i64_i32 v[2:3], s[2:3], s8, v6, 0
	s_waitcnt lgkmcnt(0)
	v_mov_b32_e32 v8, s7
	v_add_co_u32_e64 v7, s[2:3], s6, v4
	v_lshlrev_b64 v[2:3], 4, v[2:3]
	v_addc_co_u32_e64 v8, s[2:3], v8, v5, s[2:3]
	v_lshlrev_b32_e32 v4, 4, v1
	v_add_co_u32_e64 v2, s[2:3], v2, v4
	v_addc_co_u32_e64 v3, s[2:3], 0, v3, s[2:3]
	v_mov_b32_e32 v4, s23
	v_add_co_u32_e64 v9, s[2:3], s22, v2
	v_cmp_gt_i32_e64 s[0:1], s20, v15
	v_addc_co_u32_e64 v10, s[2:3], v4, v3, s[2:3]
	v_mov_b32_e32 v11, 0
	v_mov_b32_e32 v13, 0
	v_add_u32_e32 v19, v18, v16
	v_mov_b32_e32 v12, 0
	s_xor_b64 s[2:3], vcc, -1
	s_xor_b64 s[0:1], s[0:1], -1
	v_mov_b32_e32 v14, 0
	v_mov_b32_e32 v2, 0
	s_branch .LBB749_3
.LBB749_2:                              ;   in Loop: Header=BB749_3 Depth=1
	s_or_b64 exec, exec, s[6:7]
	s_waitcnt lgkmcnt(0)
	s_barrier
	ds_read_b128 v[20:23], v16
	ds_read_b128 v[24:27], v18
	ds_read_b128 v[28:31], v18 offset:16
	ds_read_b128 v[32:35], v16 offset:256
	ds_read_b128 v[36:39], v18 offset:32
	ds_read_b128 v[40:43], v16 offset:512
	s_waitcnt lgkmcnt(4)
	v_mul_f64 v[3:4], v[26:27], v[22:23]
	v_mul_f64 v[22:23], v[24:25], v[22:23]
	s_waitcnt lgkmcnt(2)
	v_mul_f64 v[44:45], v[30:31], v[34:35]
	v_mul_f64 v[34:35], v[28:29], v[34:35]
	s_waitcnt lgkmcnt(0)
	v_mul_f64 v[48:49], v[38:39], v[42:43]
	v_add_co_u32_e32 v7, vcc, 0x100, v7
	v_addc_co_u32_e32 v8, vcc, 0, v8, vcc
	v_fma_f64 v[3:4], v[24:25], v[20:21], -v[3:4]
	v_fma_f64 v[46:47], v[26:27], v[20:21], v[22:23]
	v_fma_f64 v[28:29], v[28:29], v[32:33], -v[44:45]
	v_fma_f64 v[30:31], v[30:31], v[32:33], v[34:35]
	v_mul_f64 v[32:33], v[36:37], v[42:43]
	ds_read_b128 v[20:23], v18 offset:48
	ds_read_b128 v[24:27], v16 offset:768
	v_fma_f64 v[36:37], v[36:37], v[40:41], -v[48:49]
	s_add_i32 s9, s9, 16
	v_add_f64 v[3:4], v[13:14], v[3:4]
	v_add_f64 v[34:35], v[11:12], v[46:47]
	s_waitcnt lgkmcnt(0)
	v_mul_f64 v[42:43], v[22:23], v[26:27]
	v_mul_f64 v[44:45], v[20:21], v[26:27]
	v_fma_f64 v[38:39], v[38:39], v[40:41], v[32:33]
	ds_read_b128 v[11:14], v18 offset:64
	v_add_co_u32_e32 v9, vcc, 0x100, v9
	v_add_f64 v[3:4], v[3:4], v[28:29]
	v_add_f64 v[34:35], v[34:35], v[30:31]
	ds_read_b128 v[26:29], v16 offset:1024
	v_fma_f64 v[40:41], v[20:21], v[24:25], -v[42:43]
	v_fma_f64 v[24:25], v[22:23], v[24:25], v[44:45]
	ds_read_b128 v[20:23], v18 offset:80
	ds_read_b128 v[30:33], v16 offset:1280
	s_cmp_ge_i32 s9, s21
	s_waitcnt lgkmcnt(2)
	v_mul_f64 v[42:43], v[13:14], v[28:29]
	v_mul_f64 v[28:29], v[11:12], v[28:29]
	v_add_f64 v[3:4], v[3:4], v[36:37]
	v_add_f64 v[38:39], v[34:35], v[38:39]
	s_waitcnt lgkmcnt(0)
	v_mul_f64 v[44:45], v[22:23], v[32:33]
	v_mul_f64 v[32:33], v[20:21], v[32:33]
	ds_read_b128 v[34:37], v18 offset:96
	v_addc_co_u32_e32 v10, vcc, 0, v10, vcc
	v_fma_f64 v[42:43], v[11:12], v[26:27], -v[42:43]
	v_fma_f64 v[28:29], v[13:14], v[26:27], v[28:29]
	v_add_f64 v[3:4], v[3:4], v[40:41]
	v_add_f64 v[46:47], v[38:39], v[24:25]
	ds_read_b128 v[11:14], v16 offset:1536
	v_fma_f64 v[44:45], v[20:21], v[30:31], -v[44:45]
	v_fma_f64 v[30:31], v[22:23], v[30:31], v[32:33]
	ds_read_b128 v[24:27], v18 offset:112
	ds_read_b128 v[38:41], v16 offset:1792
	;; [unrolled: 1-line block ×3, first 2 shown]
	s_waitcnt lgkmcnt(3)
	v_mul_f64 v[48:49], v[36:37], v[13:14]
	v_mul_f64 v[13:14], v[34:35], v[13:14]
	v_add_f64 v[3:4], v[3:4], v[42:43]
	v_add_f64 v[28:29], v[46:47], v[28:29]
	s_waitcnt lgkmcnt(1)
	v_mul_f64 v[32:33], v[26:27], v[40:41]
	v_mul_f64 v[40:41], v[24:25], v[40:41]
	v_fma_f64 v[34:35], v[34:35], v[11:12], -v[48:49]
	v_fma_f64 v[36:37], v[36:37], v[11:12], v[13:14]
	v_add_f64 v[3:4], v[3:4], v[44:45]
	v_add_f64 v[42:43], v[28:29], v[30:31]
	ds_read_b128 v[11:14], v16 offset:2048
	v_fma_f64 v[44:45], v[24:25], v[38:39], -v[32:33]
	v_fma_f64 v[38:39], v[26:27], v[38:39], v[40:41]
	ds_read_b128 v[24:27], v18 offset:144
	ds_read_b128 v[28:31], v16 offset:2304
	s_waitcnt lgkmcnt(2)
	v_mul_f64 v[40:41], v[22:23], v[13:14]
	v_mul_f64 v[13:14], v[20:21], v[13:14]
	v_add_f64 v[3:4], v[3:4], v[34:35]
	v_add_f64 v[36:37], v[42:43], v[36:37]
	s_waitcnt lgkmcnt(0)
	v_mul_f64 v[42:43], v[26:27], v[30:31]
	v_mul_f64 v[30:31], v[24:25], v[30:31]
	ds_read_b128 v[32:35], v18 offset:160
	v_fma_f64 v[40:41], v[20:21], v[11:12], -v[40:41]
	v_fma_f64 v[46:47], v[22:23], v[11:12], v[13:14]
	v_add_f64 v[3:4], v[3:4], v[44:45]
	v_add_f64 v[44:45], v[36:37], v[38:39]
	ds_read_b128 v[11:14], v16 offset:2560
	v_fma_f64 v[42:43], v[24:25], v[28:29], -v[42:43]
	v_fma_f64 v[28:29], v[26:27], v[28:29], v[30:31]
	ds_read_b128 v[20:23], v18 offset:176
	ds_read_b128 v[36:39], v16 offset:2816
	;; [unrolled: 1-line block ×3, first 2 shown]
	s_waitcnt lgkmcnt(3)
	v_mul_f64 v[48:49], v[34:35], v[13:14]
	v_mul_f64 v[13:14], v[32:33], v[13:14]
	v_add_f64 v[3:4], v[3:4], v[40:41]
	v_add_f64 v[30:31], v[44:45], v[46:47]
	s_waitcnt lgkmcnt(1)
	v_mul_f64 v[40:41], v[22:23], v[38:39]
	v_mul_f64 v[38:39], v[20:21], v[38:39]
	v_fma_f64 v[32:33], v[32:33], v[11:12], -v[48:49]
	v_fma_f64 v[34:35], v[34:35], v[11:12], v[13:14]
	v_add_f64 v[3:4], v[3:4], v[42:43]
	v_add_f64 v[42:43], v[30:31], v[28:29]
	ds_read_b128 v[11:14], v16 offset:3072
	v_fma_f64 v[40:41], v[20:21], v[36:37], -v[40:41]
	v_fma_f64 v[36:37], v[22:23], v[36:37], v[38:39]
	ds_read_b128 v[20:23], v18 offset:208
	ds_read_b128 v[28:31], v16 offset:3328
	s_waitcnt lgkmcnt(2)
	v_mul_f64 v[38:39], v[26:27], v[13:14]
	v_mul_f64 v[13:14], v[24:25], v[13:14]
	v_add_f64 v[3:4], v[3:4], v[32:33]
	v_add_f64 v[42:43], v[42:43], v[34:35]
	s_waitcnt lgkmcnt(0)
	v_mul_f64 v[44:45], v[22:23], v[30:31]
	v_mul_f64 v[30:31], v[20:21], v[30:31]
	ds_read_b128 v[32:35], v18 offset:224
	v_fma_f64 v[46:47], v[24:25], v[11:12], -v[38:39]
	v_fma_f64 v[48:49], v[26:27], v[11:12], v[13:14]
	v_add_f64 v[3:4], v[3:4], v[40:41]
	v_add_f64 v[40:41], v[42:43], v[36:37]
	ds_read_b128 v[11:14], v16 offset:3584
	v_fma_f64 v[20:21], v[20:21], v[28:29], -v[44:45]
	v_fma_f64 v[22:23], v[22:23], v[28:29], v[30:31]
	ds_read_b128 v[24:27], v18 offset:240
	ds_read_b128 v[36:39], v16 offset:3840
	s_waitcnt lgkmcnt(0)
	v_mul_f64 v[42:43], v[34:35], v[13:14]
	v_mul_f64 v[13:14], v[32:33], v[13:14]
	v_add_f64 v[3:4], v[3:4], v[46:47]
	v_add_f64 v[28:29], v[40:41], v[48:49]
	v_mul_f64 v[30:31], v[26:27], v[38:39]
	v_mul_f64 v[38:39], v[24:25], v[38:39]
	s_barrier
	v_fma_f64 v[32:33], v[32:33], v[11:12], -v[42:43]
	v_fma_f64 v[11:12], v[34:35], v[11:12], v[13:14]
	v_add_f64 v[3:4], v[3:4], v[20:21]
	v_add_f64 v[13:14], v[28:29], v[22:23]
	v_fma_f64 v[20:21], v[24:25], v[36:37], -v[30:31]
	v_fma_f64 v[22:23], v[26:27], v[36:37], v[38:39]
	v_add_f64 v[3:4], v[3:4], v[32:33]
	v_add_f64 v[11:12], v[13:14], v[11:12]
	v_add_f64 v[13:14], v[3:4], v[20:21]
	v_add_f64 v[11:12], v[11:12], v[22:23]
	s_cbranch_scc1 .LBB749_12
.LBB749_3:                              ; =>This Inner Loop Header: Depth=1
	v_add_u32_e32 v3, s9, v1
	v_cmp_le_i32_e32 vcc, s21, v3
	s_or_b64 s[6:7], s[2:3], vcc
	s_and_saveexec_b64 s[22:23], s[6:7]
	s_xor_b64 s[6:7], exec, s[22:23]
; %bb.4:                                ;   in Loop: Header=BB749_3 Depth=1
	v_mov_b32_e32 v3, v2
	v_mov_b32_e32 v4, v2
	;; [unrolled: 1-line block ×3, first 2 shown]
	ds_write_b128 v17, v[2:5]
; %bb.5:                                ;   in Loop: Header=BB749_3 Depth=1
	s_andn2_saveexec_b64 s[6:7], s[6:7]
	s_cbranch_execz .LBB749_7
; %bb.6:                                ;   in Loop: Header=BB749_3 Depth=1
	flat_load_dwordx4 v[20:23], v[9:10]
	s_waitcnt vmcnt(0) lgkmcnt(0)
	ds_write2_b64 v17, v[20:21], v[22:23] offset1:1
.LBB749_7:                              ;   in Loop: Header=BB749_3 Depth=1
	s_or_b64 exec, exec, s[6:7]
	v_add_u32_e32 v3, s9, v0
	v_cmp_le_i32_e32 vcc, s21, v3
	s_or_b64 s[6:7], s[0:1], vcc
	s_and_saveexec_b64 s[22:23], s[6:7]
	s_xor_b64 s[6:7], exec, s[22:23]
; %bb.8:                                ;   in Loop: Header=BB749_3 Depth=1
	v_mov_b32_e32 v3, v2
	v_mov_b32_e32 v4, v2
	v_mov_b32_e32 v5, v2
	ds_write_b128 v19, v[2:5]
; %bb.9:                                ;   in Loop: Header=BB749_3 Depth=1
	s_andn2_saveexec_b64 s[6:7], s[6:7]
	s_cbranch_execz .LBB749_2
; %bb.10:                               ;   in Loop: Header=BB749_3 Depth=1
	flat_load_dwordx4 v[20:23], v[7:8]
	s_waitcnt vmcnt(0) lgkmcnt(0)
	ds_write2_b64 v19, v[20:21], v[22:23] offset1:1
	s_branch .LBB749_2
.LBB749_11:
	v_mov_b32_e32 v11, 0
	v_mov_b32_e32 v13, 0
	;; [unrolled: 1-line block ×4, first 2 shown]
.LBB749_12:
	v_cmp_le_i32_e32 vcc, v15, v6
	v_cmp_gt_i32_e64 s[0:1], s20, v6
	s_and_b64 s[0:1], vcc, s[0:1]
	s_and_saveexec_b64 s[2:3], s[0:1]
	s_cbranch_execz .LBB749_14
; %bb.13:
	s_load_dword s0, s[4:5], 0x60
	v_ashrrev_i32_e32 v7, 31, v6
	s_waitcnt lgkmcnt(0)
	v_mov_b32_e32 v4, s11
	v_lshlrev_b64 v[2:3], 4, v[6:7]
	v_mul_f64 v[6:7], s[14:15], v[11:12]
	v_mad_i64_i32 v[0:1], s[0:1], s0, v15, 0
	v_mul_f64 v[8:9], s[12:13], v[11:12]
	v_lshlrev_b64 v[0:1], 4, v[0:1]
	v_add_co_u32_e32 v0, vcc, s10, v0
	v_addc_co_u32_e32 v1, vcc, v4, v1, vcc
	v_add_co_u32_e32 v4, vcc, v0, v2
	v_addc_co_u32_e32 v5, vcc, v1, v3, vcc
	flat_load_dwordx4 v[0:3], v[4:5]
	v_fma_f64 v[6:7], s[12:13], v[13:14], -v[6:7]
	v_fma_f64 v[8:9], s[14:15], v[13:14], v[8:9]
	s_waitcnt vmcnt(0) lgkmcnt(0)
	v_mul_f64 v[10:11], s[18:19], v[2:3]
	v_mul_f64 v[2:3], s[16:17], v[2:3]
	v_fma_f64 v[10:11], s[16:17], v[0:1], -v[10:11]
	v_fma_f64 v[2:3], s[18:19], v[0:1], v[2:3]
	v_add_f64 v[0:1], v[6:7], v[10:11]
	v_add_f64 v[2:3], v[8:9], v[2:3]
	flat_store_dwordx4 v[4:5], v[0:3]
.LBB749_14:
	s_endpgm
	.section	.rodata,"a",@progbits
	.p2align	6, 0x0
	.amdhsa_kernel _ZL32rocblas_syrkx_herkx_small_kernelIi19rocblas_complex_numIdELi16ELb0ELb0ELc84ELc76EKPKS1_KPS1_EviT_T0_PT6_S7_lSA_S7_lS8_PT7_S7_li
		.amdhsa_group_segment_fixed_size 8192
		.amdhsa_private_segment_fixed_size 0
		.amdhsa_kernarg_size 116
		.amdhsa_user_sgpr_count 6
		.amdhsa_user_sgpr_private_segment_buffer 1
		.amdhsa_user_sgpr_dispatch_ptr 0
		.amdhsa_user_sgpr_queue_ptr 0
		.amdhsa_user_sgpr_kernarg_segment_ptr 1
		.amdhsa_user_sgpr_dispatch_id 0
		.amdhsa_user_sgpr_flat_scratch_init 0
		.amdhsa_user_sgpr_private_segment_size 0
		.amdhsa_uses_dynamic_stack 0
		.amdhsa_system_sgpr_private_segment_wavefront_offset 0
		.amdhsa_system_sgpr_workgroup_id_x 1
		.amdhsa_system_sgpr_workgroup_id_y 1
		.amdhsa_system_sgpr_workgroup_id_z 1
		.amdhsa_system_sgpr_workgroup_info 0
		.amdhsa_system_vgpr_workitem_id 1
		.amdhsa_next_free_vgpr 50
		.amdhsa_next_free_sgpr 61
		.amdhsa_reserve_vcc 1
		.amdhsa_reserve_flat_scratch 0
		.amdhsa_float_round_mode_32 0
		.amdhsa_float_round_mode_16_64 0
		.amdhsa_float_denorm_mode_32 3
		.amdhsa_float_denorm_mode_16_64 3
		.amdhsa_dx10_clamp 1
		.amdhsa_ieee_mode 1
		.amdhsa_fp16_overflow 0
		.amdhsa_exception_fp_ieee_invalid_op 0
		.amdhsa_exception_fp_denorm_src 0
		.amdhsa_exception_fp_ieee_div_zero 0
		.amdhsa_exception_fp_ieee_overflow 0
		.amdhsa_exception_fp_ieee_underflow 0
		.amdhsa_exception_fp_ieee_inexact 0
		.amdhsa_exception_int_div_zero 0
	.end_amdhsa_kernel
	.section	.text._ZL32rocblas_syrkx_herkx_small_kernelIi19rocblas_complex_numIdELi16ELb0ELb0ELc84ELc76EKPKS1_KPS1_EviT_T0_PT6_S7_lSA_S7_lS8_PT7_S7_li,"axG",@progbits,_ZL32rocblas_syrkx_herkx_small_kernelIi19rocblas_complex_numIdELi16ELb0ELb0ELc84ELc76EKPKS1_KPS1_EviT_T0_PT6_S7_lSA_S7_lS8_PT7_S7_li,comdat
.Lfunc_end749:
	.size	_ZL32rocblas_syrkx_herkx_small_kernelIi19rocblas_complex_numIdELi16ELb0ELb0ELc84ELc76EKPKS1_KPS1_EviT_T0_PT6_S7_lSA_S7_lS8_PT7_S7_li, .Lfunc_end749-_ZL32rocblas_syrkx_herkx_small_kernelIi19rocblas_complex_numIdELi16ELb0ELb0ELc84ELc76EKPKS1_KPS1_EviT_T0_PT6_S7_lSA_S7_lS8_PT7_S7_li
                                        ; -- End function
	.set _ZL32rocblas_syrkx_herkx_small_kernelIi19rocblas_complex_numIdELi16ELb0ELb0ELc84ELc76EKPKS1_KPS1_EviT_T0_PT6_S7_lSA_S7_lS8_PT7_S7_li.num_vgpr, 50
	.set _ZL32rocblas_syrkx_herkx_small_kernelIi19rocblas_complex_numIdELi16ELb0ELb0ELc84ELc76EKPKS1_KPS1_EviT_T0_PT6_S7_lSA_S7_lS8_PT7_S7_li.num_agpr, 0
	.set _ZL32rocblas_syrkx_herkx_small_kernelIi19rocblas_complex_numIdELi16ELb0ELb0ELc84ELc76EKPKS1_KPS1_EviT_T0_PT6_S7_lSA_S7_lS8_PT7_S7_li.numbered_sgpr, 25
	.set _ZL32rocblas_syrkx_herkx_small_kernelIi19rocblas_complex_numIdELi16ELb0ELb0ELc84ELc76EKPKS1_KPS1_EviT_T0_PT6_S7_lSA_S7_lS8_PT7_S7_li.num_named_barrier, 0
	.set _ZL32rocblas_syrkx_herkx_small_kernelIi19rocblas_complex_numIdELi16ELb0ELb0ELc84ELc76EKPKS1_KPS1_EviT_T0_PT6_S7_lSA_S7_lS8_PT7_S7_li.private_seg_size, 0
	.set _ZL32rocblas_syrkx_herkx_small_kernelIi19rocblas_complex_numIdELi16ELb0ELb0ELc84ELc76EKPKS1_KPS1_EviT_T0_PT6_S7_lSA_S7_lS8_PT7_S7_li.uses_vcc, 1
	.set _ZL32rocblas_syrkx_herkx_small_kernelIi19rocblas_complex_numIdELi16ELb0ELb0ELc84ELc76EKPKS1_KPS1_EviT_T0_PT6_S7_lSA_S7_lS8_PT7_S7_li.uses_flat_scratch, 0
	.set _ZL32rocblas_syrkx_herkx_small_kernelIi19rocblas_complex_numIdELi16ELb0ELb0ELc84ELc76EKPKS1_KPS1_EviT_T0_PT6_S7_lSA_S7_lS8_PT7_S7_li.has_dyn_sized_stack, 0
	.set _ZL32rocblas_syrkx_herkx_small_kernelIi19rocblas_complex_numIdELi16ELb0ELb0ELc84ELc76EKPKS1_KPS1_EviT_T0_PT6_S7_lSA_S7_lS8_PT7_S7_li.has_recursion, 0
	.set _ZL32rocblas_syrkx_herkx_small_kernelIi19rocblas_complex_numIdELi16ELb0ELb0ELc84ELc76EKPKS1_KPS1_EviT_T0_PT6_S7_lSA_S7_lS8_PT7_S7_li.has_indirect_call, 0
	.section	.AMDGPU.csdata,"",@progbits
; Kernel info:
; codeLenInByte = 1816
; TotalNumSgprs: 29
; NumVgprs: 50
; ScratchSize: 0
; MemoryBound: 0
; FloatMode: 240
; IeeeMode: 1
; LDSByteSize: 8192 bytes/workgroup (compile time only)
; SGPRBlocks: 8
; VGPRBlocks: 12
; NumSGPRsForWavesPerEU: 65
; NumVGPRsForWavesPerEU: 50
; Occupancy: 4
; WaveLimiterHint : 1
; COMPUTE_PGM_RSRC2:SCRATCH_EN: 0
; COMPUTE_PGM_RSRC2:USER_SGPR: 6
; COMPUTE_PGM_RSRC2:TRAP_HANDLER: 0
; COMPUTE_PGM_RSRC2:TGID_X_EN: 1
; COMPUTE_PGM_RSRC2:TGID_Y_EN: 1
; COMPUTE_PGM_RSRC2:TGID_Z_EN: 1
; COMPUTE_PGM_RSRC2:TIDIG_COMP_CNT: 1
	.section	.text._ZL32rocblas_syrkx_herkx_small_kernelIi19rocblas_complex_numIdELi16ELb0ELb0ELc67ELc76EKPKS1_KPS1_EviT_T0_PT6_S7_lSA_S7_lS8_PT7_S7_li,"axG",@progbits,_ZL32rocblas_syrkx_herkx_small_kernelIi19rocblas_complex_numIdELi16ELb0ELb0ELc67ELc76EKPKS1_KPS1_EviT_T0_PT6_S7_lSA_S7_lS8_PT7_S7_li,comdat
	.globl	_ZL32rocblas_syrkx_herkx_small_kernelIi19rocblas_complex_numIdELi16ELb0ELb0ELc67ELc76EKPKS1_KPS1_EviT_T0_PT6_S7_lSA_S7_lS8_PT7_S7_li ; -- Begin function _ZL32rocblas_syrkx_herkx_small_kernelIi19rocblas_complex_numIdELi16ELb0ELb0ELc67ELc76EKPKS1_KPS1_EviT_T0_PT6_S7_lSA_S7_lS8_PT7_S7_li
	.p2align	8
	.type	_ZL32rocblas_syrkx_herkx_small_kernelIi19rocblas_complex_numIdELi16ELb0ELb0ELc67ELc76EKPKS1_KPS1_EviT_T0_PT6_S7_lSA_S7_lS8_PT7_S7_li,@function
_ZL32rocblas_syrkx_herkx_small_kernelIi19rocblas_complex_numIdELi16ELb0ELb0ELc67ELc76EKPKS1_KPS1_EviT_T0_PT6_S7_lSA_S7_lS8_PT7_S7_li: ; @_ZL32rocblas_syrkx_herkx_small_kernelIi19rocblas_complex_numIdELi16ELb0ELb0ELc67ELc76EKPKS1_KPS1_EviT_T0_PT6_S7_lSA_S7_lS8_PT7_S7_li
; %bb.0:
	s_load_dwordx2 s[20:21], s[4:5], 0x0
	s_load_dwordx4 s[12:15], s[4:5], 0x8
	s_load_dwordx2 s[0:1], s[4:5], 0x58
	s_load_dwordx2 s[2:3], s[4:5], 0x18
	s_load_dwordx4 s[16:19], s[4:5], 0x48
	s_mov_b32 s9, 0
	s_lshl_b64 s[22:23], s[8:9], 3
	s_waitcnt lgkmcnt(0)
	s_add_u32 s0, s0, s22
	s_addc_u32 s1, s1, s23
	s_load_dwordx2 s[10:11], s[0:1], 0x0
	v_lshl_add_u32 v7, s6, 4, v0
	v_lshl_add_u32 v16, s7, 4, v1
	s_cmp_lt_i32 s21, 1
	v_cmp_gt_i32_e64 s[0:1], s20, v7
	s_cbranch_scc1 .LBB750_9
; %bb.1:
	s_load_dwordx2 s[6:7], s[4:5], 0x30
	s_load_dword s8, s[4:5], 0x20
	s_load_dword s24, s[4:5], 0x38
	v_lshlrev_b32_e32 v4, 8, v1
	v_lshlrev_b32_e32 v17, 4, v0
	s_waitcnt lgkmcnt(0)
	s_add_u32 s6, s6, s22
	s_addc_u32 s7, s7, s23
	s_add_u32 s2, s2, s22
	s_addc_u32 s3, s3, s23
	s_load_dwordx2 s[22:23], s[2:3], 0x0
	v_mad_i64_i32 v[2:3], s[2:3], s24, v16, 0
	s_load_dwordx2 s[6:7], s[6:7], 0x0
	v_add_u32_e32 v18, v17, v4
	v_lshlrev_b64 v[2:3], 4, v[2:3]
	v_add_u32_e32 v19, 0x1000, v4
	v_add_co_u32_e64 v4, s[2:3], v2, v17
	v_addc_co_u32_e64 v5, s[2:3], 0, v3, s[2:3]
	v_mad_i64_i32 v[2:3], s[2:3], s8, v7, 0
	s_waitcnt lgkmcnt(0)
	v_mov_b32_e32 v6, s7
	v_add_co_u32_e64 v8, s[2:3], s6, v4
	v_lshlrev_b64 v[2:3], 4, v[2:3]
	v_addc_co_u32_e64 v9, s[2:3], v6, v5, s[2:3]
	v_lshlrev_b32_e32 v4, 4, v1
	v_add_co_u32_e64 v2, s[2:3], v2, v4
	v_addc_co_u32_e64 v3, s[2:3], 0, v3, s[2:3]
	v_mov_b32_e32 v4, s23
	v_add_co_u32_e64 v10, s[2:3], s22, v2
	v_cmp_gt_i32_e32 vcc, s20, v16
	v_addc_co_u32_e64 v11, s[2:3], v4, v3, s[2:3]
	v_mov_b32_e32 v12, 0
	v_mov_b32_e32 v14, 0
	v_add_u32_e32 v20, v19, v17
	v_mov_b32_e32 v13, 0
	s_xor_b64 s[2:3], vcc, -1
	v_mov_b32_e32 v15, 0
	v_mov_b32_e32 v2, 0
	s_branch .LBB750_3
.LBB750_2:                              ;   in Loop: Header=BB750_3 Depth=1
	s_or_b64 exec, exec, s[6:7]
	s_waitcnt lgkmcnt(0)
	s_barrier
	ds_read_b128 v[3:6], v17
	ds_read_b128 v[21:24], v19
	ds_read_b128 v[25:28], v19 offset:16
	ds_read_b128 v[29:32], v17 offset:256
	;; [unrolled: 1-line block ×4, first 2 shown]
	s_waitcnt lgkmcnt(4)
	v_mul_f64 v[41:42], v[23:24], v[5:6]
	v_mul_f64 v[5:6], v[21:22], v[5:6]
	s_waitcnt lgkmcnt(2)
	v_mul_f64 v[43:44], v[27:28], v[31:32]
	v_mul_f64 v[31:32], v[25:26], v[31:32]
	s_waitcnt lgkmcnt(0)
	v_mul_f64 v[47:48], v[35:36], v[39:40]
	v_add_co_u32_e32 v8, vcc, 0x100, v8
	v_addc_co_u32_e32 v9, vcc, 0, v9, vcc
	v_fma_f64 v[41:42], v[21:22], v[3:4], -v[41:42]
	v_fma_f64 v[45:46], v[23:24], v[3:4], v[5:6]
	v_fma_f64 v[25:26], v[25:26], v[29:30], -v[43:44]
	v_fma_f64 v[27:28], v[27:28], v[29:30], v[31:32]
	v_mul_f64 v[29:30], v[33:34], v[39:40]
	ds_read_b128 v[3:6], v19 offset:48
	ds_read_b128 v[21:24], v17 offset:768
	v_fma_f64 v[33:34], v[33:34], v[37:38], -v[47:48]
	s_add_i32 s9, s9, 16
	v_add_f64 v[31:32], v[14:15], v[41:42]
	v_add_f64 v[39:40], v[12:13], v[45:46]
	s_waitcnt lgkmcnt(0)
	v_mul_f64 v[41:42], v[5:6], v[23:24]
	v_mul_f64 v[43:44], v[3:4], v[23:24]
	v_fma_f64 v[35:36], v[35:36], v[37:38], v[29:30]
	ds_read_b128 v[12:15], v19 offset:64
	v_add_co_u32_e32 v10, vcc, 0x100, v10
	v_add_f64 v[31:32], v[31:32], v[25:26]
	v_add_f64 v[37:38], v[39:40], v[27:28]
	ds_read_b128 v[23:26], v17 offset:1024
	v_fma_f64 v[39:40], v[3:4], v[21:22], -v[41:42]
	v_fma_f64 v[21:22], v[5:6], v[21:22], v[43:44]
	ds_read_b128 v[3:6], v19 offset:80
	ds_read_b128 v[27:30], v17 offset:1280
	s_cmp_ge_i32 s9, s21
	s_waitcnt lgkmcnt(2)
	v_mul_f64 v[41:42], v[14:15], v[25:26]
	v_mul_f64 v[25:26], v[12:13], v[25:26]
	v_add_f64 v[43:44], v[31:32], v[33:34]
	v_add_f64 v[35:36], v[37:38], v[35:36]
	s_waitcnt lgkmcnt(0)
	v_mul_f64 v[45:46], v[5:6], v[29:30]
	v_mul_f64 v[29:30], v[3:4], v[29:30]
	ds_read_b128 v[31:34], v19 offset:96
	v_addc_co_u32_e32 v11, vcc, 0, v11, vcc
	v_fma_f64 v[41:42], v[12:13], v[23:24], -v[41:42]
	v_fma_f64 v[25:26], v[14:15], v[23:24], v[25:26]
	v_add_f64 v[39:40], v[43:44], v[39:40]
	v_add_f64 v[43:44], v[35:36], v[21:22]
	ds_read_b128 v[12:15], v17 offset:1536
	v_fma_f64 v[45:46], v[3:4], v[27:28], -v[45:46]
	v_fma_f64 v[27:28], v[5:6], v[27:28], v[29:30]
	ds_read_b128 v[21:24], v19 offset:112
	ds_read_b128 v[35:38], v17 offset:1792
	ds_read_b128 v[3:6], v19 offset:128
	s_waitcnt lgkmcnt(3)
	v_mul_f64 v[47:48], v[33:34], v[14:15]
	v_mul_f64 v[14:15], v[31:32], v[14:15]
	v_add_f64 v[29:30], v[39:40], v[41:42]
	v_add_f64 v[25:26], v[43:44], v[25:26]
	s_waitcnt lgkmcnt(1)
	v_mul_f64 v[39:40], v[23:24], v[37:38]
	v_mul_f64 v[37:38], v[21:22], v[37:38]
	v_fma_f64 v[31:32], v[31:32], v[12:13], -v[47:48]
	v_fma_f64 v[33:34], v[33:34], v[12:13], v[14:15]
	v_add_f64 v[29:30], v[29:30], v[45:46]
	v_add_f64 v[41:42], v[25:26], v[27:28]
	ds_read_b128 v[12:15], v17 offset:2048
	v_fma_f64 v[39:40], v[21:22], v[35:36], -v[39:40]
	v_fma_f64 v[35:36], v[23:24], v[35:36], v[37:38]
	ds_read_b128 v[21:24], v19 offset:144
	ds_read_b128 v[25:28], v17 offset:2304
	s_waitcnt lgkmcnt(2)
	v_mul_f64 v[37:38], v[5:6], v[14:15]
	v_mul_f64 v[14:15], v[3:4], v[14:15]
	v_add_f64 v[43:44], v[29:30], v[31:32]
	v_add_f64 v[33:34], v[41:42], v[33:34]
	s_waitcnt lgkmcnt(0)
	v_mul_f64 v[41:42], v[23:24], v[27:28]
	v_mul_f64 v[27:28], v[21:22], v[27:28]
	ds_read_b128 v[29:32], v19 offset:160
	v_fma_f64 v[37:38], v[3:4], v[12:13], -v[37:38]
	v_fma_f64 v[45:46], v[5:6], v[12:13], v[14:15]
	v_add_f64 v[39:40], v[43:44], v[39:40]
	v_add_f64 v[43:44], v[33:34], v[35:36]
	ds_read_b128 v[3:6], v17 offset:2560
	v_fma_f64 v[41:42], v[21:22], v[25:26], -v[41:42]
	v_fma_f64 v[25:26], v[23:24], v[25:26], v[27:28]
	ds_read_b128 v[12:15], v19 offset:176
	ds_read_b128 v[33:36], v17 offset:2816
	;; [unrolled: 1-line block ×3, first 2 shown]
	s_waitcnt lgkmcnt(3)
	v_mul_f64 v[47:48], v[31:32], v[5:6]
	v_mul_f64 v[5:6], v[29:30], v[5:6]
	v_add_f64 v[27:28], v[39:40], v[37:38]
	v_add_f64 v[37:38], v[43:44], v[45:46]
	s_waitcnt lgkmcnt(1)
	v_mul_f64 v[39:40], v[14:15], v[35:36]
	v_mul_f64 v[35:36], v[12:13], v[35:36]
	v_fma_f64 v[29:30], v[29:30], v[3:4], -v[47:48]
	v_fma_f64 v[31:32], v[31:32], v[3:4], v[5:6]
	v_add_f64 v[41:42], v[27:28], v[41:42]
	v_add_f64 v[37:38], v[37:38], v[25:26]
	ds_read_b128 v[3:6], v17 offset:3072
	v_fma_f64 v[39:40], v[12:13], v[33:34], -v[39:40]
	v_fma_f64 v[33:34], v[14:15], v[33:34], v[35:36]
	ds_read_b128 v[12:15], v19 offset:208
	ds_read_b128 v[25:28], v17 offset:3328
	s_waitcnt lgkmcnt(2)
	v_mul_f64 v[35:36], v[23:24], v[5:6]
	v_mul_f64 v[5:6], v[21:22], v[5:6]
	v_add_f64 v[41:42], v[41:42], v[29:30]
	v_add_f64 v[37:38], v[37:38], v[31:32]
	s_waitcnt lgkmcnt(0)
	v_mul_f64 v[43:44], v[14:15], v[27:28]
	v_mul_f64 v[27:28], v[12:13], v[27:28]
	ds_read_b128 v[29:32], v19 offset:224
	v_fma_f64 v[45:46], v[21:22], v[3:4], -v[35:36]
	v_fma_f64 v[47:48], v[23:24], v[3:4], v[5:6]
	v_add_f64 v[39:40], v[41:42], v[39:40]
	v_add_f64 v[37:38], v[37:38], v[33:34]
	ds_read_b128 v[3:6], v17 offset:3584
	v_fma_f64 v[12:13], v[12:13], v[25:26], -v[43:44]
	v_fma_f64 v[14:15], v[14:15], v[25:26], v[27:28]
	ds_read_b128 v[21:24], v19 offset:240
	ds_read_b128 v[33:36], v17 offset:3840
	s_waitcnt lgkmcnt(0)
	v_mul_f64 v[41:42], v[31:32], v[5:6]
	v_mul_f64 v[5:6], v[29:30], v[5:6]
	v_add_f64 v[25:26], v[39:40], v[45:46]
	v_add_f64 v[27:28], v[37:38], v[47:48]
	v_mul_f64 v[37:38], v[23:24], v[35:36]
	v_mul_f64 v[35:36], v[21:22], v[35:36]
	s_barrier
	v_fma_f64 v[29:30], v[29:30], v[3:4], -v[41:42]
	v_fma_f64 v[3:4], v[31:32], v[3:4], v[5:6]
	v_add_f64 v[5:6], v[25:26], v[12:13]
	v_add_f64 v[12:13], v[27:28], v[14:15]
	v_fma_f64 v[14:15], v[21:22], v[33:34], -v[37:38]
	v_fma_f64 v[21:22], v[23:24], v[33:34], v[35:36]
	v_add_f64 v[5:6], v[5:6], v[29:30]
	v_add_f64 v[3:4], v[12:13], v[3:4]
	;; [unrolled: 1-line block ×4, first 2 shown]
	s_cbranch_scc1 .LBB750_10
.LBB750_3:                              ; =>This Inner Loop Header: Depth=1
	v_add_u32_e32 v3, s9, v1
	v_cmp_gt_i32_e32 vcc, s21, v3
	v_mov_b32_e32 v3, 0
	v_mov_b32_e32 v5, 0
	v_mov_b32_e32 v4, 0
	v_mov_b32_e32 v6, 0
	s_and_b64 s[22:23], s[0:1], vcc
	s_and_saveexec_b64 s[6:7], s[22:23]
	s_cbranch_execz .LBB750_5
; %bb.4:                                ;   in Loop: Header=BB750_3 Depth=1
	flat_load_dwordx4 v[3:6], v[10:11]
.LBB750_5:                              ;   in Loop: Header=BB750_3 Depth=1
	s_or_b64 exec, exec, s[6:7]
	s_waitcnt vmcnt(0) lgkmcnt(0)
	ds_write_b128 v18, v[3:6]
	v_add_u32_e32 v3, s9, v0
	v_cmp_le_i32_e32 vcc, s21, v3
	s_or_b64 s[6:7], s[2:3], vcc
	s_and_saveexec_b64 s[22:23], s[6:7]
	s_xor_b64 s[6:7], exec, s[22:23]
; %bb.6:                                ;   in Loop: Header=BB750_3 Depth=1
	v_mov_b32_e32 v3, v2
	v_mov_b32_e32 v4, v2
	;; [unrolled: 1-line block ×3, first 2 shown]
	ds_write_b128 v20, v[2:5]
; %bb.7:                                ;   in Loop: Header=BB750_3 Depth=1
	s_andn2_saveexec_b64 s[6:7], s[6:7]
	s_cbranch_execz .LBB750_2
; %bb.8:                                ;   in Loop: Header=BB750_3 Depth=1
	flat_load_dwordx4 v[3:6], v[8:9]
	s_waitcnt vmcnt(0) lgkmcnt(0)
	ds_write2_b64 v20, v[3:4], v[5:6] offset1:1
	s_branch .LBB750_2
.LBB750_9:
	v_mov_b32_e32 v12, 0
	v_mov_b32_e32 v14, 0
	;; [unrolled: 1-line block ×4, first 2 shown]
.LBB750_10:
	v_cmp_le_i32_e32 vcc, v16, v7
	v_cmp_gt_i32_e64 s[0:1], s20, v7
	s_and_b64 s[0:1], vcc, s[0:1]
	s_and_saveexec_b64 s[2:3], s[0:1]
	s_cbranch_execz .LBB750_12
; %bb.11:
	s_load_dword s0, s[4:5], 0x60
	v_ashrrev_i32_e32 v8, 31, v7
	s_waitcnt lgkmcnt(0)
	v_mov_b32_e32 v4, s11
	v_lshlrev_b64 v[2:3], 4, v[7:8]
	v_mul_f64 v[6:7], s[14:15], v[12:13]
	v_mad_i64_i32 v[0:1], s[0:1], s0, v16, 0
	v_mul_f64 v[8:9], s[12:13], v[12:13]
	v_lshlrev_b64 v[0:1], 4, v[0:1]
	v_add_co_u32_e32 v0, vcc, s10, v0
	v_addc_co_u32_e32 v1, vcc, v4, v1, vcc
	v_add_co_u32_e32 v4, vcc, v0, v2
	v_addc_co_u32_e32 v5, vcc, v1, v3, vcc
	flat_load_dwordx4 v[0:3], v[4:5]
	v_fma_f64 v[6:7], s[12:13], v[14:15], -v[6:7]
	v_fma_f64 v[8:9], s[14:15], v[14:15], v[8:9]
	s_waitcnt vmcnt(0) lgkmcnt(0)
	v_mul_f64 v[10:11], s[18:19], v[2:3]
	v_mul_f64 v[2:3], s[16:17], v[2:3]
	v_fma_f64 v[10:11], s[16:17], v[0:1], -v[10:11]
	v_fma_f64 v[2:3], s[18:19], v[0:1], v[2:3]
	v_add_f64 v[0:1], v[6:7], v[10:11]
	v_add_f64 v[2:3], v[8:9], v[2:3]
	flat_store_dwordx4 v[4:5], v[0:3]
.LBB750_12:
	s_endpgm
	.section	.rodata,"a",@progbits
	.p2align	6, 0x0
	.amdhsa_kernel _ZL32rocblas_syrkx_herkx_small_kernelIi19rocblas_complex_numIdELi16ELb0ELb0ELc67ELc76EKPKS1_KPS1_EviT_T0_PT6_S7_lSA_S7_lS8_PT7_S7_li
		.amdhsa_group_segment_fixed_size 8192
		.amdhsa_private_segment_fixed_size 0
		.amdhsa_kernarg_size 116
		.amdhsa_user_sgpr_count 6
		.amdhsa_user_sgpr_private_segment_buffer 1
		.amdhsa_user_sgpr_dispatch_ptr 0
		.amdhsa_user_sgpr_queue_ptr 0
		.amdhsa_user_sgpr_kernarg_segment_ptr 1
		.amdhsa_user_sgpr_dispatch_id 0
		.amdhsa_user_sgpr_flat_scratch_init 0
		.amdhsa_user_sgpr_private_segment_size 0
		.amdhsa_uses_dynamic_stack 0
		.amdhsa_system_sgpr_private_segment_wavefront_offset 0
		.amdhsa_system_sgpr_workgroup_id_x 1
		.amdhsa_system_sgpr_workgroup_id_y 1
		.amdhsa_system_sgpr_workgroup_id_z 1
		.amdhsa_system_sgpr_workgroup_info 0
		.amdhsa_system_vgpr_workitem_id 1
		.amdhsa_next_free_vgpr 49
		.amdhsa_next_free_sgpr 61
		.amdhsa_reserve_vcc 1
		.amdhsa_reserve_flat_scratch 0
		.amdhsa_float_round_mode_32 0
		.amdhsa_float_round_mode_16_64 0
		.amdhsa_float_denorm_mode_32 3
		.amdhsa_float_denorm_mode_16_64 3
		.amdhsa_dx10_clamp 1
		.amdhsa_ieee_mode 1
		.amdhsa_fp16_overflow 0
		.amdhsa_exception_fp_ieee_invalid_op 0
		.amdhsa_exception_fp_denorm_src 0
		.amdhsa_exception_fp_ieee_div_zero 0
		.amdhsa_exception_fp_ieee_overflow 0
		.amdhsa_exception_fp_ieee_underflow 0
		.amdhsa_exception_fp_ieee_inexact 0
		.amdhsa_exception_int_div_zero 0
	.end_amdhsa_kernel
	.section	.text._ZL32rocblas_syrkx_herkx_small_kernelIi19rocblas_complex_numIdELi16ELb0ELb0ELc67ELc76EKPKS1_KPS1_EviT_T0_PT6_S7_lSA_S7_lS8_PT7_S7_li,"axG",@progbits,_ZL32rocblas_syrkx_herkx_small_kernelIi19rocblas_complex_numIdELi16ELb0ELb0ELc67ELc76EKPKS1_KPS1_EviT_T0_PT6_S7_lSA_S7_lS8_PT7_S7_li,comdat
.Lfunc_end750:
	.size	_ZL32rocblas_syrkx_herkx_small_kernelIi19rocblas_complex_numIdELi16ELb0ELb0ELc67ELc76EKPKS1_KPS1_EviT_T0_PT6_S7_lSA_S7_lS8_PT7_S7_li, .Lfunc_end750-_ZL32rocblas_syrkx_herkx_small_kernelIi19rocblas_complex_numIdELi16ELb0ELb0ELc67ELc76EKPKS1_KPS1_EviT_T0_PT6_S7_lSA_S7_lS8_PT7_S7_li
                                        ; -- End function
	.set _ZL32rocblas_syrkx_herkx_small_kernelIi19rocblas_complex_numIdELi16ELb0ELb0ELc67ELc76EKPKS1_KPS1_EviT_T0_PT6_S7_lSA_S7_lS8_PT7_S7_li.num_vgpr, 49
	.set _ZL32rocblas_syrkx_herkx_small_kernelIi19rocblas_complex_numIdELi16ELb0ELb0ELc67ELc76EKPKS1_KPS1_EviT_T0_PT6_S7_lSA_S7_lS8_PT7_S7_li.num_agpr, 0
	.set _ZL32rocblas_syrkx_herkx_small_kernelIi19rocblas_complex_numIdELi16ELb0ELb0ELc67ELc76EKPKS1_KPS1_EviT_T0_PT6_S7_lSA_S7_lS8_PT7_S7_li.numbered_sgpr, 25
	.set _ZL32rocblas_syrkx_herkx_small_kernelIi19rocblas_complex_numIdELi16ELb0ELb0ELc67ELc76EKPKS1_KPS1_EviT_T0_PT6_S7_lSA_S7_lS8_PT7_S7_li.num_named_barrier, 0
	.set _ZL32rocblas_syrkx_herkx_small_kernelIi19rocblas_complex_numIdELi16ELb0ELb0ELc67ELc76EKPKS1_KPS1_EviT_T0_PT6_S7_lSA_S7_lS8_PT7_S7_li.private_seg_size, 0
	.set _ZL32rocblas_syrkx_herkx_small_kernelIi19rocblas_complex_numIdELi16ELb0ELb0ELc67ELc76EKPKS1_KPS1_EviT_T0_PT6_S7_lSA_S7_lS8_PT7_S7_li.uses_vcc, 1
	.set _ZL32rocblas_syrkx_herkx_small_kernelIi19rocblas_complex_numIdELi16ELb0ELb0ELc67ELc76EKPKS1_KPS1_EviT_T0_PT6_S7_lSA_S7_lS8_PT7_S7_li.uses_flat_scratch, 0
	.set _ZL32rocblas_syrkx_herkx_small_kernelIi19rocblas_complex_numIdELi16ELb0ELb0ELc67ELc76EKPKS1_KPS1_EviT_T0_PT6_S7_lSA_S7_lS8_PT7_S7_li.has_dyn_sized_stack, 0
	.set _ZL32rocblas_syrkx_herkx_small_kernelIi19rocblas_complex_numIdELi16ELb0ELb0ELc67ELc76EKPKS1_KPS1_EviT_T0_PT6_S7_lSA_S7_lS8_PT7_S7_li.has_recursion, 0
	.set _ZL32rocblas_syrkx_herkx_small_kernelIi19rocblas_complex_numIdELi16ELb0ELb0ELc67ELc76EKPKS1_KPS1_EviT_T0_PT6_S7_lSA_S7_lS8_PT7_S7_li.has_indirect_call, 0
	.section	.AMDGPU.csdata,"",@progbits
; Kernel info:
; codeLenInByte = 1800
; TotalNumSgprs: 29
; NumVgprs: 49
; ScratchSize: 0
; MemoryBound: 1
; FloatMode: 240
; IeeeMode: 1
; LDSByteSize: 8192 bytes/workgroup (compile time only)
; SGPRBlocks: 8
; VGPRBlocks: 12
; NumSGPRsForWavesPerEU: 65
; NumVGPRsForWavesPerEU: 49
; Occupancy: 4
; WaveLimiterHint : 1
; COMPUTE_PGM_RSRC2:SCRATCH_EN: 0
; COMPUTE_PGM_RSRC2:USER_SGPR: 6
; COMPUTE_PGM_RSRC2:TRAP_HANDLER: 0
; COMPUTE_PGM_RSRC2:TGID_X_EN: 1
; COMPUTE_PGM_RSRC2:TGID_Y_EN: 1
; COMPUTE_PGM_RSRC2:TGID_Z_EN: 1
; COMPUTE_PGM_RSRC2:TIDIG_COMP_CNT: 1
	.section	.text._ZL32rocblas_syrkx_herkx_small_kernelIi19rocblas_complex_numIdELi16ELb0ELb0ELc78ELc76EKPKS1_KPS1_EviT_T0_PT6_S7_lSA_S7_lS8_PT7_S7_li,"axG",@progbits,_ZL32rocblas_syrkx_herkx_small_kernelIi19rocblas_complex_numIdELi16ELb0ELb0ELc78ELc76EKPKS1_KPS1_EviT_T0_PT6_S7_lSA_S7_lS8_PT7_S7_li,comdat
	.globl	_ZL32rocblas_syrkx_herkx_small_kernelIi19rocblas_complex_numIdELi16ELb0ELb0ELc78ELc76EKPKS1_KPS1_EviT_T0_PT6_S7_lSA_S7_lS8_PT7_S7_li ; -- Begin function _ZL32rocblas_syrkx_herkx_small_kernelIi19rocblas_complex_numIdELi16ELb0ELb0ELc78ELc76EKPKS1_KPS1_EviT_T0_PT6_S7_lSA_S7_lS8_PT7_S7_li
	.p2align	8
	.type	_ZL32rocblas_syrkx_herkx_small_kernelIi19rocblas_complex_numIdELi16ELb0ELb0ELc78ELc76EKPKS1_KPS1_EviT_T0_PT6_S7_lSA_S7_lS8_PT7_S7_li,@function
_ZL32rocblas_syrkx_herkx_small_kernelIi19rocblas_complex_numIdELi16ELb0ELb0ELc78ELc76EKPKS1_KPS1_EviT_T0_PT6_S7_lSA_S7_lS8_PT7_S7_li: ; @_ZL32rocblas_syrkx_herkx_small_kernelIi19rocblas_complex_numIdELi16ELb0ELb0ELc78ELc76EKPKS1_KPS1_EviT_T0_PT6_S7_lSA_S7_lS8_PT7_S7_li
; %bb.0:
	s_load_dwordx2 s[20:21], s[4:5], 0x0
	s_load_dwordx4 s[12:15], s[4:5], 0x8
	s_load_dwordx2 s[0:1], s[4:5], 0x58
	s_load_dwordx2 s[2:3], s[4:5], 0x18
	s_load_dwordx4 s[16:19], s[4:5], 0x48
	s_mov_b32 s9, 0
	s_lshl_b64 s[22:23], s[8:9], 3
	s_waitcnt lgkmcnt(0)
	s_add_u32 s0, s0, s22
	s_addc_u32 s1, s1, s23
	s_load_dwordx2 s[10:11], s[0:1], 0x0
	v_lshl_add_u32 v7, s6, 4, v0
	v_lshl_add_u32 v9, s7, 4, v1
	s_cmp_lt_i32 s21, 1
	v_cmp_gt_i32_e64 s[0:1], s20, v7
	v_ashrrev_i32_e32 v8, 31, v7
	s_cbranch_scc1 .LBB751_9
; %bb.1:
	s_load_dword s24, s[4:5], 0x20
	s_load_dword s6, s[4:5], 0x38
	s_load_dwordx2 s[26:27], s[4:5], 0x30
	v_lshlrev_b32_e32 v4, 8, v1
	v_lshlrev_b32_e32 v18, 4, v0
	s_waitcnt lgkmcnt(0)
	s_ashr_i32 s25, s24, 31
	s_ashr_i32 s7, s6, 31
	s_add_u32 s26, s26, s22
	s_addc_u32 s27, s27, s23
	s_add_u32 s2, s2, s22
	s_addc_u32 s3, s3, s23
	s_load_dwordx2 s[22:23], s[2:3], 0x0
	v_mad_i64_i32 v[2:3], s[2:3], s6, v0, 0
	v_ashrrev_i32_e32 v10, 31, v9
	v_add_u32_e32 v19, v18, v4
	v_add_u32_e32 v20, 0x1000, v4
	v_lshlrev_b64 v[2:3], 4, v[2:3]
	v_lshlrev_b64 v[4:5], 4, v[9:10]
	s_load_dwordx2 s[26:27], s[26:27], 0x0
	v_add_co_u32_e64 v4, s[2:3], v2, v4
	v_addc_co_u32_e64 v5, s[2:3], v3, v5, s[2:3]
	v_mad_i64_i32 v[2:3], s[2:3], s24, v1, 0
	s_waitcnt lgkmcnt(0)
	v_mov_b32_e32 v6, s27
	v_add_co_u32_e64 v10, s[2:3], s26, v4
	v_addc_co_u32_e64 v11, s[2:3], v6, v5, s[2:3]
	v_lshlrev_b64 v[2:3], 4, v[2:3]
	v_lshlrev_b64 v[4:5], 4, v[7:8]
	s_lshl_b64 s[6:7], s[6:7], 8
	v_add_co_u32_e64 v2, s[2:3], v2, v4
	v_addc_co_u32_e64 v3, s[2:3], v3, v5, s[2:3]
	v_mov_b32_e32 v4, s23
	v_add_co_u32_e64 v12, s[2:3], s22, v2
	v_addc_co_u32_e64 v13, s[2:3], v4, v3, s[2:3]
	s_lshl_b64 s[2:3], s[24:25], 8
	v_mov_b32_e32 v14, 0
	v_mov_b32_e32 v16, 0
	v_cmp_gt_i32_e32 vcc, s20, v9
	v_add_u32_e32 v21, v20, v18
	v_mov_b32_e32 v15, 0
	s_xor_b64 s[22:23], s[0:1], -1
	v_mov_b32_e32 v22, s7
	v_mov_b32_e32 v23, s3
	;; [unrolled: 1-line block ×4, first 2 shown]
	s_branch .LBB751_3
.LBB751_2:                              ;   in Loop: Header=BB751_3 Depth=1
	s_or_b64 exec, exec, s[0:1]
	s_waitcnt vmcnt(0) lgkmcnt(0)
	ds_write_b128 v21, v[3:6]
	s_waitcnt lgkmcnt(0)
	s_barrier
	ds_read_b128 v[3:6], v18
	ds_read_b128 v[24:27], v20
	ds_read_b128 v[28:31], v20 offset:16
	ds_read_b128 v[32:35], v18 offset:256
	v_add_co_u32_e64 v10, s[0:1], s6, v10
	s_waitcnt lgkmcnt(2)
	v_mul_f64 v[36:37], v[26:27], v[5:6]
	v_mul_f64 v[5:6], v[24:25], v[5:6]
	s_waitcnt lgkmcnt(0)
	v_mul_f64 v[38:39], v[30:31], v[34:35]
	v_mul_f64 v[40:41], v[28:29], v[34:35]
	v_addc_co_u32_e64 v11, s[0:1], v11, v22, s[0:1]
	s_add_i32 s9, s9, 16
	v_add_co_u32_e64 v12, s[0:1], s2, v12
	v_fma_f64 v[42:43], v[24:25], v[3:4], -v[36:37]
	v_fma_f64 v[44:45], v[26:27], v[3:4], v[5:6]
	ds_read_b128 v[3:6], v18 offset:512
	ds_read_b128 v[24:27], v20 offset:32
	ds_read_b128 v[34:37], v20 offset:48
	v_fma_f64 v[38:39], v[28:29], v[32:33], -v[38:39]
	v_fma_f64 v[32:33], v[30:31], v[32:33], v[40:41]
	ds_read_b128 v[28:31], v18 offset:768
	s_waitcnt lgkmcnt(2)
	v_mul_f64 v[40:41], v[26:27], v[5:6]
	v_mul_f64 v[5:6], v[24:25], v[5:6]
	v_add_f64 v[16:17], v[16:17], v[42:43]
	v_add_f64 v[14:15], v[14:15], v[44:45]
	s_waitcnt lgkmcnt(0)
	v_mul_f64 v[42:43], v[36:37], v[30:31]
	v_mul_f64 v[30:31], v[34:35], v[30:31]
	s_cmp_ge_i32 s9, s21
	v_addc_co_u32_e64 v13, s[0:1], v13, v23, s[0:1]
	v_fma_f64 v[40:41], v[24:25], v[3:4], -v[40:41]
	v_fma_f64 v[44:45], v[26:27], v[3:4], v[5:6]
	v_add_f64 v[38:39], v[16:17], v[38:39]
	v_add_f64 v[32:33], v[14:15], v[32:33]
	ds_read_b128 v[3:6], v20 offset:64
	ds_read_b128 v[14:17], v18 offset:1024
	v_fma_f64 v[34:35], v[34:35], v[28:29], -v[42:43]
	v_fma_f64 v[36:37], v[36:37], v[28:29], v[30:31]
	ds_read_b128 v[24:27], v20 offset:80
	ds_read_b128 v[28:31], v18 offset:1280
	s_waitcnt lgkmcnt(2)
	v_mul_f64 v[42:43], v[5:6], v[16:17]
	v_mul_f64 v[16:17], v[3:4], v[16:17]
	v_add_f64 v[38:39], v[38:39], v[40:41]
	v_add_f64 v[32:33], v[32:33], v[44:45]
	s_waitcnt lgkmcnt(0)
	v_mul_f64 v[40:41], v[26:27], v[30:31]
	v_mul_f64 v[30:31], v[24:25], v[30:31]
	v_fma_f64 v[42:43], v[3:4], v[14:15], -v[42:43]
	v_fma_f64 v[44:45], v[5:6], v[14:15], v[16:17]
	v_add_f64 v[34:35], v[38:39], v[34:35]
	v_add_f64 v[32:33], v[32:33], v[36:37]
	ds_read_b128 v[3:6], v20 offset:96
	ds_read_b128 v[14:17], v18 offset:1536
	v_fma_f64 v[36:37], v[24:25], v[28:29], -v[40:41]
	v_fma_f64 v[38:39], v[26:27], v[28:29], v[30:31]
	ds_read_b128 v[24:27], v20 offset:112
	ds_read_b128 v[28:31], v18 offset:1792
	s_waitcnt lgkmcnt(2)
	v_mul_f64 v[40:41], v[5:6], v[16:17]
	v_mul_f64 v[16:17], v[3:4], v[16:17]
	v_add_f64 v[34:35], v[34:35], v[42:43]
	v_add_f64 v[32:33], v[32:33], v[44:45]
	s_waitcnt lgkmcnt(0)
	v_mul_f64 v[42:43], v[26:27], v[30:31]
	v_mul_f64 v[30:31], v[24:25], v[30:31]
	;; [unrolled: 18-line block ×5, first 2 shown]
	v_fma_f64 v[42:43], v[3:4], v[14:15], -v[42:43]
	v_fma_f64 v[44:45], v[5:6], v[14:15], v[16:17]
	v_add_f64 v[34:35], v[34:35], v[36:37]
	v_add_f64 v[32:33], v[32:33], v[38:39]
	ds_read_b128 v[3:6], v20 offset:224
	ds_read_b128 v[14:17], v18 offset:3584
	v_fma_f64 v[36:37], v[24:25], v[28:29], -v[40:41]
	v_fma_f64 v[38:39], v[26:27], v[28:29], v[30:31]
	ds_read_b128 v[24:27], v20 offset:240
	ds_read_b128 v[28:31], v18 offset:3840
	s_waitcnt lgkmcnt(0)
	v_mul_f64 v[40:41], v[5:6], v[16:17]
	v_mul_f64 v[16:17], v[3:4], v[16:17]
	v_add_f64 v[34:35], v[34:35], v[42:43]
	v_add_f64 v[32:33], v[32:33], v[44:45]
	v_mul_f64 v[42:43], v[26:27], v[30:31]
	v_mul_f64 v[30:31], v[24:25], v[30:31]
	s_barrier
	v_fma_f64 v[3:4], v[3:4], v[14:15], -v[40:41]
	v_fma_f64 v[5:6], v[5:6], v[14:15], v[16:17]
	v_add_f64 v[14:15], v[34:35], v[36:37]
	v_add_f64 v[16:17], v[32:33], v[38:39]
	v_fma_f64 v[24:25], v[24:25], v[28:29], -v[42:43]
	v_fma_f64 v[26:27], v[26:27], v[28:29], v[30:31]
	v_add_f64 v[3:4], v[14:15], v[3:4]
	v_add_f64 v[5:6], v[16:17], v[5:6]
	v_add_f64 v[16:17], v[3:4], v[24:25]
	v_add_f64 v[14:15], v[5:6], v[26:27]
	s_cbranch_scc1 .LBB751_10
.LBB751_3:                              ; =>This Inner Loop Header: Depth=1
	v_add_u32_e32 v3, s9, v1
	v_cmp_le_i32_e64 s[0:1], s21, v3
	s_or_b64 s[0:1], s[22:23], s[0:1]
	s_and_saveexec_b64 s[24:25], s[0:1]
	s_xor_b64 s[0:1], exec, s[24:25]
; %bb.4:                                ;   in Loop: Header=BB751_3 Depth=1
	v_mov_b32_e32 v3, v2
	v_mov_b32_e32 v4, v2
	;; [unrolled: 1-line block ×3, first 2 shown]
	ds_write_b128 v19, v[2:5]
; %bb.5:                                ;   in Loop: Header=BB751_3 Depth=1
	s_andn2_saveexec_b64 s[0:1], s[0:1]
	s_cbranch_execz .LBB751_7
; %bb.6:                                ;   in Loop: Header=BB751_3 Depth=1
	flat_load_dwordx4 v[3:6], v[12:13]
	s_waitcnt vmcnt(0) lgkmcnt(0)
	ds_write2_b64 v19, v[3:4], v[5:6] offset1:1
.LBB751_7:                              ;   in Loop: Header=BB751_3 Depth=1
	s_or_b64 exec, exec, s[0:1]
	v_add_u32_e32 v3, s9, v0
	v_cmp_gt_i32_e64 s[0:1], s21, v3
	v_mov_b32_e32 v3, 0
	v_mov_b32_e32 v5, 0
	;; [unrolled: 1-line block ×4, first 2 shown]
	s_and_b64 s[24:25], vcc, s[0:1]
	s_and_saveexec_b64 s[0:1], s[24:25]
	s_cbranch_execz .LBB751_2
; %bb.8:                                ;   in Loop: Header=BB751_3 Depth=1
	flat_load_dwordx4 v[3:6], v[10:11]
	s_branch .LBB751_2
.LBB751_9:
	v_mov_b32_e32 v14, 0
	v_mov_b32_e32 v16, 0
	;; [unrolled: 1-line block ×4, first 2 shown]
.LBB751_10:
	v_cmp_le_i32_e32 vcc, v9, v7
	v_cmp_gt_i32_e64 s[0:1], s20, v7
	s_and_b64 s[0:1], vcc, s[0:1]
	s_and_saveexec_b64 s[2:3], s[0:1]
	s_cbranch_execz .LBB751_12
; %bb.11:
	s_load_dword s0, s[4:5], 0x60
	s_waitcnt lgkmcnt(0)
	v_mov_b32_e32 v4, s11
	v_lshlrev_b64 v[2:3], 4, v[7:8]
	v_mul_f64 v[6:7], s[14:15], v[14:15]
	v_mad_i64_i32 v[0:1], s[0:1], s0, v9, 0
	v_mul_f64 v[8:9], s[12:13], v[14:15]
	v_lshlrev_b64 v[0:1], 4, v[0:1]
	v_fma_f64 v[6:7], s[12:13], v[16:17], -v[6:7]
	v_add_co_u32_e32 v0, vcc, s10, v0
	v_addc_co_u32_e32 v1, vcc, v4, v1, vcc
	v_add_co_u32_e32 v4, vcc, v0, v2
	v_addc_co_u32_e32 v5, vcc, v1, v3, vcc
	flat_load_dwordx4 v[0:3], v[4:5]
	v_fma_f64 v[8:9], s[14:15], v[16:17], v[8:9]
	s_waitcnt vmcnt(0) lgkmcnt(0)
	v_mul_f64 v[10:11], s[18:19], v[2:3]
	v_mul_f64 v[2:3], s[16:17], v[2:3]
	v_fma_f64 v[10:11], s[16:17], v[0:1], -v[10:11]
	v_fma_f64 v[2:3], s[18:19], v[0:1], v[2:3]
	v_add_f64 v[0:1], v[6:7], v[10:11]
	v_add_f64 v[2:3], v[8:9], v[2:3]
	flat_store_dwordx4 v[4:5], v[0:3]
.LBB751_12:
	s_endpgm
	.section	.rodata,"a",@progbits
	.p2align	6, 0x0
	.amdhsa_kernel _ZL32rocblas_syrkx_herkx_small_kernelIi19rocblas_complex_numIdELi16ELb0ELb0ELc78ELc76EKPKS1_KPS1_EviT_T0_PT6_S7_lSA_S7_lS8_PT7_S7_li
		.amdhsa_group_segment_fixed_size 8192
		.amdhsa_private_segment_fixed_size 0
		.amdhsa_kernarg_size 116
		.amdhsa_user_sgpr_count 6
		.amdhsa_user_sgpr_private_segment_buffer 1
		.amdhsa_user_sgpr_dispatch_ptr 0
		.amdhsa_user_sgpr_queue_ptr 0
		.amdhsa_user_sgpr_kernarg_segment_ptr 1
		.amdhsa_user_sgpr_dispatch_id 0
		.amdhsa_user_sgpr_flat_scratch_init 0
		.amdhsa_user_sgpr_private_segment_size 0
		.amdhsa_uses_dynamic_stack 0
		.amdhsa_system_sgpr_private_segment_wavefront_offset 0
		.amdhsa_system_sgpr_workgroup_id_x 1
		.amdhsa_system_sgpr_workgroup_id_y 1
		.amdhsa_system_sgpr_workgroup_id_z 1
		.amdhsa_system_sgpr_workgroup_info 0
		.amdhsa_system_vgpr_workitem_id 1
		.amdhsa_next_free_vgpr 46
		.amdhsa_next_free_sgpr 61
		.amdhsa_reserve_vcc 1
		.amdhsa_reserve_flat_scratch 0
		.amdhsa_float_round_mode_32 0
		.amdhsa_float_round_mode_16_64 0
		.amdhsa_float_denorm_mode_32 3
		.amdhsa_float_denorm_mode_16_64 3
		.amdhsa_dx10_clamp 1
		.amdhsa_ieee_mode 1
		.amdhsa_fp16_overflow 0
		.amdhsa_exception_fp_ieee_invalid_op 0
		.amdhsa_exception_fp_denorm_src 0
		.amdhsa_exception_fp_ieee_div_zero 0
		.amdhsa_exception_fp_ieee_overflow 0
		.amdhsa_exception_fp_ieee_underflow 0
		.amdhsa_exception_fp_ieee_inexact 0
		.amdhsa_exception_int_div_zero 0
	.end_amdhsa_kernel
	.section	.text._ZL32rocblas_syrkx_herkx_small_kernelIi19rocblas_complex_numIdELi16ELb0ELb0ELc78ELc76EKPKS1_KPS1_EviT_T0_PT6_S7_lSA_S7_lS8_PT7_S7_li,"axG",@progbits,_ZL32rocblas_syrkx_herkx_small_kernelIi19rocblas_complex_numIdELi16ELb0ELb0ELc78ELc76EKPKS1_KPS1_EviT_T0_PT6_S7_lSA_S7_lS8_PT7_S7_li,comdat
.Lfunc_end751:
	.size	_ZL32rocblas_syrkx_herkx_small_kernelIi19rocblas_complex_numIdELi16ELb0ELb0ELc78ELc76EKPKS1_KPS1_EviT_T0_PT6_S7_lSA_S7_lS8_PT7_S7_li, .Lfunc_end751-_ZL32rocblas_syrkx_herkx_small_kernelIi19rocblas_complex_numIdELi16ELb0ELb0ELc78ELc76EKPKS1_KPS1_EviT_T0_PT6_S7_lSA_S7_lS8_PT7_S7_li
                                        ; -- End function
	.set _ZL32rocblas_syrkx_herkx_small_kernelIi19rocblas_complex_numIdELi16ELb0ELb0ELc78ELc76EKPKS1_KPS1_EviT_T0_PT6_S7_lSA_S7_lS8_PT7_S7_li.num_vgpr, 46
	.set _ZL32rocblas_syrkx_herkx_small_kernelIi19rocblas_complex_numIdELi16ELb0ELb0ELc78ELc76EKPKS1_KPS1_EviT_T0_PT6_S7_lSA_S7_lS8_PT7_S7_li.num_agpr, 0
	.set _ZL32rocblas_syrkx_herkx_small_kernelIi19rocblas_complex_numIdELi16ELb0ELb0ELc78ELc76EKPKS1_KPS1_EviT_T0_PT6_S7_lSA_S7_lS8_PT7_S7_li.numbered_sgpr, 28
	.set _ZL32rocblas_syrkx_herkx_small_kernelIi19rocblas_complex_numIdELi16ELb0ELb0ELc78ELc76EKPKS1_KPS1_EviT_T0_PT6_S7_lSA_S7_lS8_PT7_S7_li.num_named_barrier, 0
	.set _ZL32rocblas_syrkx_herkx_small_kernelIi19rocblas_complex_numIdELi16ELb0ELb0ELc78ELc76EKPKS1_KPS1_EviT_T0_PT6_S7_lSA_S7_lS8_PT7_S7_li.private_seg_size, 0
	.set _ZL32rocblas_syrkx_herkx_small_kernelIi19rocblas_complex_numIdELi16ELb0ELb0ELc78ELc76EKPKS1_KPS1_EviT_T0_PT6_S7_lSA_S7_lS8_PT7_S7_li.uses_vcc, 1
	.set _ZL32rocblas_syrkx_herkx_small_kernelIi19rocblas_complex_numIdELi16ELb0ELb0ELc78ELc76EKPKS1_KPS1_EviT_T0_PT6_S7_lSA_S7_lS8_PT7_S7_li.uses_flat_scratch, 0
	.set _ZL32rocblas_syrkx_herkx_small_kernelIi19rocblas_complex_numIdELi16ELb0ELb0ELc78ELc76EKPKS1_KPS1_EviT_T0_PT6_S7_lSA_S7_lS8_PT7_S7_li.has_dyn_sized_stack, 0
	.set _ZL32rocblas_syrkx_herkx_small_kernelIi19rocblas_complex_numIdELi16ELb0ELb0ELc78ELc76EKPKS1_KPS1_EviT_T0_PT6_S7_lSA_S7_lS8_PT7_S7_li.has_recursion, 0
	.set _ZL32rocblas_syrkx_herkx_small_kernelIi19rocblas_complex_numIdELi16ELb0ELb0ELc78ELc76EKPKS1_KPS1_EviT_T0_PT6_S7_lSA_S7_lS8_PT7_S7_li.has_indirect_call, 0
	.section	.AMDGPU.csdata,"",@progbits
; Kernel info:
; codeLenInByte = 1856
; TotalNumSgprs: 32
; NumVgprs: 46
; ScratchSize: 0
; MemoryBound: 1
; FloatMode: 240
; IeeeMode: 1
; LDSByteSize: 8192 bytes/workgroup (compile time only)
; SGPRBlocks: 8
; VGPRBlocks: 11
; NumSGPRsForWavesPerEU: 65
; NumVGPRsForWavesPerEU: 46
; Occupancy: 5
; WaveLimiterHint : 1
; COMPUTE_PGM_RSRC2:SCRATCH_EN: 0
; COMPUTE_PGM_RSRC2:USER_SGPR: 6
; COMPUTE_PGM_RSRC2:TRAP_HANDLER: 0
; COMPUTE_PGM_RSRC2:TGID_X_EN: 1
; COMPUTE_PGM_RSRC2:TGID_Y_EN: 1
; COMPUTE_PGM_RSRC2:TGID_Z_EN: 1
; COMPUTE_PGM_RSRC2:TIDIG_COMP_CNT: 1
	.section	.text._ZL32rocblas_syrkx_herkx_small_kernelIi19rocblas_complex_numIdELi16ELb0ELb0ELc84ELc85EKPKS1_KPS1_EviT_T0_PT6_S7_lSA_S7_lS8_PT7_S7_li,"axG",@progbits,_ZL32rocblas_syrkx_herkx_small_kernelIi19rocblas_complex_numIdELi16ELb0ELb0ELc84ELc85EKPKS1_KPS1_EviT_T0_PT6_S7_lSA_S7_lS8_PT7_S7_li,comdat
	.globl	_ZL32rocblas_syrkx_herkx_small_kernelIi19rocblas_complex_numIdELi16ELb0ELb0ELc84ELc85EKPKS1_KPS1_EviT_T0_PT6_S7_lSA_S7_lS8_PT7_S7_li ; -- Begin function _ZL32rocblas_syrkx_herkx_small_kernelIi19rocblas_complex_numIdELi16ELb0ELb0ELc84ELc85EKPKS1_KPS1_EviT_T0_PT6_S7_lSA_S7_lS8_PT7_S7_li
	.p2align	8
	.type	_ZL32rocblas_syrkx_herkx_small_kernelIi19rocblas_complex_numIdELi16ELb0ELb0ELc84ELc85EKPKS1_KPS1_EviT_T0_PT6_S7_lSA_S7_lS8_PT7_S7_li,@function
_ZL32rocblas_syrkx_herkx_small_kernelIi19rocblas_complex_numIdELi16ELb0ELb0ELc84ELc85EKPKS1_KPS1_EviT_T0_PT6_S7_lSA_S7_lS8_PT7_S7_li: ; @_ZL32rocblas_syrkx_herkx_small_kernelIi19rocblas_complex_numIdELi16ELb0ELb0ELc84ELc85EKPKS1_KPS1_EviT_T0_PT6_S7_lSA_S7_lS8_PT7_S7_li
; %bb.0:
	s_load_dwordx2 s[20:21], s[4:5], 0x0
	s_load_dwordx4 s[12:15], s[4:5], 0x8
	s_load_dwordx2 s[0:1], s[4:5], 0x58
	s_load_dwordx2 s[2:3], s[4:5], 0x18
	s_load_dwordx4 s[16:19], s[4:5], 0x48
	s_mov_b32 s9, 0
	s_lshl_b64 s[22:23], s[8:9], 3
	s_waitcnt lgkmcnt(0)
	s_add_u32 s0, s0, s22
	s_addc_u32 s1, s1, s23
	s_load_dwordx2 s[10:11], s[0:1], 0x0
	v_lshl_add_u32 v15, s7, 4, v1
	v_lshl_add_u32 v6, s6, 4, v0
	s_cmp_lt_i32 s21, 1
	v_cmp_gt_i32_e32 vcc, s20, v15
	s_cbranch_scc1 .LBB752_11
; %bb.1:
	s_load_dwordx2 s[6:7], s[4:5], 0x30
	s_load_dword s8, s[4:5], 0x20
	s_load_dword s24, s[4:5], 0x38
	v_lshlrev_b32_e32 v4, 8, v1
	v_lshlrev_b32_e32 v16, 4, v0
	s_waitcnt lgkmcnt(0)
	s_add_u32 s6, s6, s22
	s_addc_u32 s7, s7, s23
	s_add_u32 s2, s2, s22
	s_addc_u32 s3, s3, s23
	s_load_dwordx2 s[22:23], s[2:3], 0x0
	v_mad_i64_i32 v[2:3], s[2:3], s24, v15, 0
	s_load_dwordx2 s[6:7], s[6:7], 0x0
	v_add_u32_e32 v17, v16, v4
	v_lshlrev_b64 v[2:3], 4, v[2:3]
	v_add_u32_e32 v18, 0x1000, v4
	v_add_co_u32_e64 v4, s[2:3], v2, v16
	v_addc_co_u32_e64 v5, s[2:3], 0, v3, s[2:3]
	v_mad_i64_i32 v[2:3], s[2:3], s8, v6, 0
	s_waitcnt lgkmcnt(0)
	v_mov_b32_e32 v8, s7
	v_add_co_u32_e64 v7, s[2:3], s6, v4
	v_lshlrev_b64 v[2:3], 4, v[2:3]
	v_addc_co_u32_e64 v8, s[2:3], v8, v5, s[2:3]
	v_lshlrev_b32_e32 v4, 4, v1
	v_add_co_u32_e64 v2, s[2:3], v2, v4
	v_addc_co_u32_e64 v3, s[2:3], 0, v3, s[2:3]
	v_mov_b32_e32 v4, s23
	v_add_co_u32_e64 v9, s[2:3], s22, v2
	v_cmp_gt_i32_e64 s[0:1], s20, v6
	v_addc_co_u32_e64 v10, s[2:3], v4, v3, s[2:3]
	v_mov_b32_e32 v11, 0
	v_mov_b32_e32 v13, 0
	v_add_u32_e32 v19, v18, v16
	v_mov_b32_e32 v12, 0
	s_xor_b64 s[0:1], s[0:1], -1
	s_xor_b64 s[2:3], vcc, -1
	v_mov_b32_e32 v14, 0
	v_mov_b32_e32 v2, 0
	s_branch .LBB752_3
.LBB752_2:                              ;   in Loop: Header=BB752_3 Depth=1
	s_or_b64 exec, exec, s[6:7]
	s_waitcnt lgkmcnt(0)
	s_barrier
	ds_read_b128 v[20:23], v16
	ds_read_b128 v[24:27], v18
	ds_read_b128 v[28:31], v18 offset:16
	ds_read_b128 v[32:35], v16 offset:256
	;; [unrolled: 1-line block ×4, first 2 shown]
	s_waitcnt lgkmcnt(4)
	v_mul_f64 v[3:4], v[26:27], v[22:23]
	v_mul_f64 v[22:23], v[24:25], v[22:23]
	s_waitcnt lgkmcnt(2)
	v_mul_f64 v[44:45], v[30:31], v[34:35]
	v_mul_f64 v[34:35], v[28:29], v[34:35]
	s_waitcnt lgkmcnt(0)
	v_mul_f64 v[48:49], v[38:39], v[42:43]
	v_add_co_u32_e32 v7, vcc, 0x100, v7
	v_addc_co_u32_e32 v8, vcc, 0, v8, vcc
	v_fma_f64 v[3:4], v[24:25], v[20:21], -v[3:4]
	v_fma_f64 v[46:47], v[26:27], v[20:21], v[22:23]
	v_fma_f64 v[28:29], v[28:29], v[32:33], -v[44:45]
	v_fma_f64 v[30:31], v[30:31], v[32:33], v[34:35]
	v_mul_f64 v[32:33], v[36:37], v[42:43]
	ds_read_b128 v[20:23], v18 offset:48
	ds_read_b128 v[24:27], v16 offset:768
	v_fma_f64 v[36:37], v[36:37], v[40:41], -v[48:49]
	s_add_i32 s9, s9, 16
	v_add_f64 v[3:4], v[13:14], v[3:4]
	v_add_f64 v[34:35], v[11:12], v[46:47]
	s_waitcnt lgkmcnt(0)
	v_mul_f64 v[42:43], v[22:23], v[26:27]
	v_mul_f64 v[44:45], v[20:21], v[26:27]
	v_fma_f64 v[38:39], v[38:39], v[40:41], v[32:33]
	ds_read_b128 v[11:14], v18 offset:64
	v_add_co_u32_e32 v9, vcc, 0x100, v9
	v_add_f64 v[3:4], v[3:4], v[28:29]
	v_add_f64 v[34:35], v[34:35], v[30:31]
	ds_read_b128 v[26:29], v16 offset:1024
	v_fma_f64 v[40:41], v[20:21], v[24:25], -v[42:43]
	v_fma_f64 v[24:25], v[22:23], v[24:25], v[44:45]
	ds_read_b128 v[20:23], v18 offset:80
	ds_read_b128 v[30:33], v16 offset:1280
	s_cmp_ge_i32 s9, s21
	s_waitcnt lgkmcnt(2)
	v_mul_f64 v[42:43], v[13:14], v[28:29]
	v_mul_f64 v[28:29], v[11:12], v[28:29]
	v_add_f64 v[3:4], v[3:4], v[36:37]
	v_add_f64 v[38:39], v[34:35], v[38:39]
	s_waitcnt lgkmcnt(0)
	v_mul_f64 v[44:45], v[22:23], v[32:33]
	v_mul_f64 v[32:33], v[20:21], v[32:33]
	ds_read_b128 v[34:37], v18 offset:96
	v_addc_co_u32_e32 v10, vcc, 0, v10, vcc
	v_fma_f64 v[42:43], v[11:12], v[26:27], -v[42:43]
	v_fma_f64 v[28:29], v[13:14], v[26:27], v[28:29]
	v_add_f64 v[3:4], v[3:4], v[40:41]
	v_add_f64 v[46:47], v[38:39], v[24:25]
	ds_read_b128 v[11:14], v16 offset:1536
	v_fma_f64 v[44:45], v[20:21], v[30:31], -v[44:45]
	v_fma_f64 v[30:31], v[22:23], v[30:31], v[32:33]
	ds_read_b128 v[24:27], v18 offset:112
	ds_read_b128 v[38:41], v16 offset:1792
	;; [unrolled: 1-line block ×3, first 2 shown]
	s_waitcnt lgkmcnt(3)
	v_mul_f64 v[48:49], v[36:37], v[13:14]
	v_mul_f64 v[13:14], v[34:35], v[13:14]
	v_add_f64 v[3:4], v[3:4], v[42:43]
	v_add_f64 v[28:29], v[46:47], v[28:29]
	s_waitcnt lgkmcnt(1)
	v_mul_f64 v[32:33], v[26:27], v[40:41]
	v_mul_f64 v[40:41], v[24:25], v[40:41]
	v_fma_f64 v[34:35], v[34:35], v[11:12], -v[48:49]
	v_fma_f64 v[36:37], v[36:37], v[11:12], v[13:14]
	v_add_f64 v[3:4], v[3:4], v[44:45]
	v_add_f64 v[42:43], v[28:29], v[30:31]
	ds_read_b128 v[11:14], v16 offset:2048
	v_fma_f64 v[44:45], v[24:25], v[38:39], -v[32:33]
	v_fma_f64 v[38:39], v[26:27], v[38:39], v[40:41]
	ds_read_b128 v[24:27], v18 offset:144
	ds_read_b128 v[28:31], v16 offset:2304
	s_waitcnt lgkmcnt(2)
	v_mul_f64 v[40:41], v[22:23], v[13:14]
	v_mul_f64 v[13:14], v[20:21], v[13:14]
	v_add_f64 v[3:4], v[3:4], v[34:35]
	v_add_f64 v[36:37], v[42:43], v[36:37]
	s_waitcnt lgkmcnt(0)
	v_mul_f64 v[42:43], v[26:27], v[30:31]
	v_mul_f64 v[30:31], v[24:25], v[30:31]
	ds_read_b128 v[32:35], v18 offset:160
	v_fma_f64 v[40:41], v[20:21], v[11:12], -v[40:41]
	v_fma_f64 v[46:47], v[22:23], v[11:12], v[13:14]
	v_add_f64 v[3:4], v[3:4], v[44:45]
	v_add_f64 v[44:45], v[36:37], v[38:39]
	ds_read_b128 v[11:14], v16 offset:2560
	v_fma_f64 v[42:43], v[24:25], v[28:29], -v[42:43]
	v_fma_f64 v[28:29], v[26:27], v[28:29], v[30:31]
	ds_read_b128 v[20:23], v18 offset:176
	ds_read_b128 v[36:39], v16 offset:2816
	;; [unrolled: 1-line block ×3, first 2 shown]
	s_waitcnt lgkmcnt(3)
	v_mul_f64 v[48:49], v[34:35], v[13:14]
	v_mul_f64 v[13:14], v[32:33], v[13:14]
	v_add_f64 v[3:4], v[3:4], v[40:41]
	v_add_f64 v[30:31], v[44:45], v[46:47]
	s_waitcnt lgkmcnt(1)
	v_mul_f64 v[40:41], v[22:23], v[38:39]
	v_mul_f64 v[38:39], v[20:21], v[38:39]
	v_fma_f64 v[32:33], v[32:33], v[11:12], -v[48:49]
	v_fma_f64 v[34:35], v[34:35], v[11:12], v[13:14]
	v_add_f64 v[3:4], v[3:4], v[42:43]
	v_add_f64 v[42:43], v[30:31], v[28:29]
	ds_read_b128 v[11:14], v16 offset:3072
	v_fma_f64 v[40:41], v[20:21], v[36:37], -v[40:41]
	v_fma_f64 v[36:37], v[22:23], v[36:37], v[38:39]
	ds_read_b128 v[20:23], v18 offset:208
	ds_read_b128 v[28:31], v16 offset:3328
	s_waitcnt lgkmcnt(2)
	v_mul_f64 v[38:39], v[26:27], v[13:14]
	v_mul_f64 v[13:14], v[24:25], v[13:14]
	v_add_f64 v[3:4], v[3:4], v[32:33]
	v_add_f64 v[42:43], v[42:43], v[34:35]
	s_waitcnt lgkmcnt(0)
	v_mul_f64 v[44:45], v[22:23], v[30:31]
	v_mul_f64 v[30:31], v[20:21], v[30:31]
	ds_read_b128 v[32:35], v18 offset:224
	v_fma_f64 v[46:47], v[24:25], v[11:12], -v[38:39]
	v_fma_f64 v[48:49], v[26:27], v[11:12], v[13:14]
	v_add_f64 v[3:4], v[3:4], v[40:41]
	v_add_f64 v[40:41], v[42:43], v[36:37]
	ds_read_b128 v[11:14], v16 offset:3584
	v_fma_f64 v[20:21], v[20:21], v[28:29], -v[44:45]
	v_fma_f64 v[22:23], v[22:23], v[28:29], v[30:31]
	ds_read_b128 v[24:27], v18 offset:240
	ds_read_b128 v[36:39], v16 offset:3840
	s_waitcnt lgkmcnt(0)
	v_mul_f64 v[42:43], v[34:35], v[13:14]
	v_mul_f64 v[13:14], v[32:33], v[13:14]
	v_add_f64 v[3:4], v[3:4], v[46:47]
	v_add_f64 v[28:29], v[40:41], v[48:49]
	v_mul_f64 v[30:31], v[26:27], v[38:39]
	v_mul_f64 v[38:39], v[24:25], v[38:39]
	s_barrier
	v_fma_f64 v[32:33], v[32:33], v[11:12], -v[42:43]
	v_fma_f64 v[11:12], v[34:35], v[11:12], v[13:14]
	v_add_f64 v[3:4], v[3:4], v[20:21]
	v_add_f64 v[13:14], v[28:29], v[22:23]
	v_fma_f64 v[20:21], v[24:25], v[36:37], -v[30:31]
	v_fma_f64 v[22:23], v[26:27], v[36:37], v[38:39]
	v_add_f64 v[3:4], v[3:4], v[32:33]
	v_add_f64 v[11:12], v[13:14], v[11:12]
	;; [unrolled: 1-line block ×4, first 2 shown]
	s_cbranch_scc1 .LBB752_12
.LBB752_3:                              ; =>This Inner Loop Header: Depth=1
	v_add_u32_e32 v3, s9, v1
	v_cmp_le_i32_e32 vcc, s21, v3
	s_or_b64 s[6:7], s[0:1], vcc
	s_and_saveexec_b64 s[22:23], s[6:7]
	s_xor_b64 s[6:7], exec, s[22:23]
; %bb.4:                                ;   in Loop: Header=BB752_3 Depth=1
	v_mov_b32_e32 v3, v2
	v_mov_b32_e32 v4, v2
	;; [unrolled: 1-line block ×3, first 2 shown]
	ds_write_b128 v17, v[2:5]
; %bb.5:                                ;   in Loop: Header=BB752_3 Depth=1
	s_andn2_saveexec_b64 s[6:7], s[6:7]
	s_cbranch_execz .LBB752_7
; %bb.6:                                ;   in Loop: Header=BB752_3 Depth=1
	flat_load_dwordx4 v[20:23], v[9:10]
	s_waitcnt vmcnt(0) lgkmcnt(0)
	ds_write2_b64 v17, v[20:21], v[22:23] offset1:1
.LBB752_7:                              ;   in Loop: Header=BB752_3 Depth=1
	s_or_b64 exec, exec, s[6:7]
	v_add_u32_e32 v3, s9, v0
	v_cmp_le_i32_e32 vcc, s21, v3
	s_or_b64 s[6:7], s[2:3], vcc
	s_and_saveexec_b64 s[22:23], s[6:7]
	s_xor_b64 s[6:7], exec, s[22:23]
; %bb.8:                                ;   in Loop: Header=BB752_3 Depth=1
	v_mov_b32_e32 v3, v2
	v_mov_b32_e32 v4, v2
	;; [unrolled: 1-line block ×3, first 2 shown]
	ds_write_b128 v19, v[2:5]
; %bb.9:                                ;   in Loop: Header=BB752_3 Depth=1
	s_andn2_saveexec_b64 s[6:7], s[6:7]
	s_cbranch_execz .LBB752_2
; %bb.10:                               ;   in Loop: Header=BB752_3 Depth=1
	flat_load_dwordx4 v[20:23], v[7:8]
	s_waitcnt vmcnt(0) lgkmcnt(0)
	ds_write2_b64 v19, v[20:21], v[22:23] offset1:1
	s_branch .LBB752_2
.LBB752_11:
	v_mov_b32_e32 v11, 0
	v_mov_b32_e32 v13, 0
	;; [unrolled: 1-line block ×4, first 2 shown]
.LBB752_12:
	v_cmp_le_i32_e32 vcc, v6, v15
	v_cmp_gt_i32_e64 s[0:1], s20, v15
	s_and_b64 s[0:1], vcc, s[0:1]
	s_and_saveexec_b64 s[2:3], s[0:1]
	s_cbranch_execz .LBB752_14
; %bb.13:
	s_load_dword s0, s[4:5], 0x60
	v_ashrrev_i32_e32 v7, 31, v6
	s_waitcnt lgkmcnt(0)
	v_mov_b32_e32 v4, s11
	v_lshlrev_b64 v[2:3], 4, v[6:7]
	v_mul_f64 v[6:7], s[14:15], v[11:12]
	v_mad_i64_i32 v[0:1], s[0:1], s0, v15, 0
	v_mul_f64 v[8:9], s[12:13], v[11:12]
	v_lshlrev_b64 v[0:1], 4, v[0:1]
	v_add_co_u32_e32 v0, vcc, s10, v0
	v_addc_co_u32_e32 v1, vcc, v4, v1, vcc
	v_add_co_u32_e32 v4, vcc, v0, v2
	v_addc_co_u32_e32 v5, vcc, v1, v3, vcc
	flat_load_dwordx4 v[0:3], v[4:5]
	v_fma_f64 v[6:7], s[12:13], v[13:14], -v[6:7]
	v_fma_f64 v[8:9], s[14:15], v[13:14], v[8:9]
	s_waitcnt vmcnt(0) lgkmcnt(0)
	v_mul_f64 v[10:11], s[18:19], v[2:3]
	v_mul_f64 v[2:3], s[16:17], v[2:3]
	v_fma_f64 v[10:11], s[16:17], v[0:1], -v[10:11]
	v_fma_f64 v[2:3], s[18:19], v[0:1], v[2:3]
	v_add_f64 v[0:1], v[6:7], v[10:11]
	v_add_f64 v[2:3], v[8:9], v[2:3]
	flat_store_dwordx4 v[4:5], v[0:3]
.LBB752_14:
	s_endpgm
	.section	.rodata,"a",@progbits
	.p2align	6, 0x0
	.amdhsa_kernel _ZL32rocblas_syrkx_herkx_small_kernelIi19rocblas_complex_numIdELi16ELb0ELb0ELc84ELc85EKPKS1_KPS1_EviT_T0_PT6_S7_lSA_S7_lS8_PT7_S7_li
		.amdhsa_group_segment_fixed_size 8192
		.amdhsa_private_segment_fixed_size 0
		.amdhsa_kernarg_size 116
		.amdhsa_user_sgpr_count 6
		.amdhsa_user_sgpr_private_segment_buffer 1
		.amdhsa_user_sgpr_dispatch_ptr 0
		.amdhsa_user_sgpr_queue_ptr 0
		.amdhsa_user_sgpr_kernarg_segment_ptr 1
		.amdhsa_user_sgpr_dispatch_id 0
		.amdhsa_user_sgpr_flat_scratch_init 0
		.amdhsa_user_sgpr_private_segment_size 0
		.amdhsa_uses_dynamic_stack 0
		.amdhsa_system_sgpr_private_segment_wavefront_offset 0
		.amdhsa_system_sgpr_workgroup_id_x 1
		.amdhsa_system_sgpr_workgroup_id_y 1
		.amdhsa_system_sgpr_workgroup_id_z 1
		.amdhsa_system_sgpr_workgroup_info 0
		.amdhsa_system_vgpr_workitem_id 1
		.amdhsa_next_free_vgpr 50
		.amdhsa_next_free_sgpr 61
		.amdhsa_reserve_vcc 1
		.amdhsa_reserve_flat_scratch 0
		.amdhsa_float_round_mode_32 0
		.amdhsa_float_round_mode_16_64 0
		.amdhsa_float_denorm_mode_32 3
		.amdhsa_float_denorm_mode_16_64 3
		.amdhsa_dx10_clamp 1
		.amdhsa_ieee_mode 1
		.amdhsa_fp16_overflow 0
		.amdhsa_exception_fp_ieee_invalid_op 0
		.amdhsa_exception_fp_denorm_src 0
		.amdhsa_exception_fp_ieee_div_zero 0
		.amdhsa_exception_fp_ieee_overflow 0
		.amdhsa_exception_fp_ieee_underflow 0
		.amdhsa_exception_fp_ieee_inexact 0
		.amdhsa_exception_int_div_zero 0
	.end_amdhsa_kernel
	.section	.text._ZL32rocblas_syrkx_herkx_small_kernelIi19rocblas_complex_numIdELi16ELb0ELb0ELc84ELc85EKPKS1_KPS1_EviT_T0_PT6_S7_lSA_S7_lS8_PT7_S7_li,"axG",@progbits,_ZL32rocblas_syrkx_herkx_small_kernelIi19rocblas_complex_numIdELi16ELb0ELb0ELc84ELc85EKPKS1_KPS1_EviT_T0_PT6_S7_lSA_S7_lS8_PT7_S7_li,comdat
.Lfunc_end752:
	.size	_ZL32rocblas_syrkx_herkx_small_kernelIi19rocblas_complex_numIdELi16ELb0ELb0ELc84ELc85EKPKS1_KPS1_EviT_T0_PT6_S7_lSA_S7_lS8_PT7_S7_li, .Lfunc_end752-_ZL32rocblas_syrkx_herkx_small_kernelIi19rocblas_complex_numIdELi16ELb0ELb0ELc84ELc85EKPKS1_KPS1_EviT_T0_PT6_S7_lSA_S7_lS8_PT7_S7_li
                                        ; -- End function
	.set _ZL32rocblas_syrkx_herkx_small_kernelIi19rocblas_complex_numIdELi16ELb0ELb0ELc84ELc85EKPKS1_KPS1_EviT_T0_PT6_S7_lSA_S7_lS8_PT7_S7_li.num_vgpr, 50
	.set _ZL32rocblas_syrkx_herkx_small_kernelIi19rocblas_complex_numIdELi16ELb0ELb0ELc84ELc85EKPKS1_KPS1_EviT_T0_PT6_S7_lSA_S7_lS8_PT7_S7_li.num_agpr, 0
	.set _ZL32rocblas_syrkx_herkx_small_kernelIi19rocblas_complex_numIdELi16ELb0ELb0ELc84ELc85EKPKS1_KPS1_EviT_T0_PT6_S7_lSA_S7_lS8_PT7_S7_li.numbered_sgpr, 25
	.set _ZL32rocblas_syrkx_herkx_small_kernelIi19rocblas_complex_numIdELi16ELb0ELb0ELc84ELc85EKPKS1_KPS1_EviT_T0_PT6_S7_lSA_S7_lS8_PT7_S7_li.num_named_barrier, 0
	.set _ZL32rocblas_syrkx_herkx_small_kernelIi19rocblas_complex_numIdELi16ELb0ELb0ELc84ELc85EKPKS1_KPS1_EviT_T0_PT6_S7_lSA_S7_lS8_PT7_S7_li.private_seg_size, 0
	.set _ZL32rocblas_syrkx_herkx_small_kernelIi19rocblas_complex_numIdELi16ELb0ELb0ELc84ELc85EKPKS1_KPS1_EviT_T0_PT6_S7_lSA_S7_lS8_PT7_S7_li.uses_vcc, 1
	.set _ZL32rocblas_syrkx_herkx_small_kernelIi19rocblas_complex_numIdELi16ELb0ELb0ELc84ELc85EKPKS1_KPS1_EviT_T0_PT6_S7_lSA_S7_lS8_PT7_S7_li.uses_flat_scratch, 0
	.set _ZL32rocblas_syrkx_herkx_small_kernelIi19rocblas_complex_numIdELi16ELb0ELb0ELc84ELc85EKPKS1_KPS1_EviT_T0_PT6_S7_lSA_S7_lS8_PT7_S7_li.has_dyn_sized_stack, 0
	.set _ZL32rocblas_syrkx_herkx_small_kernelIi19rocblas_complex_numIdELi16ELb0ELb0ELc84ELc85EKPKS1_KPS1_EviT_T0_PT6_S7_lSA_S7_lS8_PT7_S7_li.has_recursion, 0
	.set _ZL32rocblas_syrkx_herkx_small_kernelIi19rocblas_complex_numIdELi16ELb0ELb0ELc84ELc85EKPKS1_KPS1_EviT_T0_PT6_S7_lSA_S7_lS8_PT7_S7_li.has_indirect_call, 0
	.section	.AMDGPU.csdata,"",@progbits
; Kernel info:
; codeLenInByte = 1816
; TotalNumSgprs: 29
; NumVgprs: 50
; ScratchSize: 0
; MemoryBound: 0
; FloatMode: 240
; IeeeMode: 1
; LDSByteSize: 8192 bytes/workgroup (compile time only)
; SGPRBlocks: 8
; VGPRBlocks: 12
; NumSGPRsForWavesPerEU: 65
; NumVGPRsForWavesPerEU: 50
; Occupancy: 4
; WaveLimiterHint : 1
; COMPUTE_PGM_RSRC2:SCRATCH_EN: 0
; COMPUTE_PGM_RSRC2:USER_SGPR: 6
; COMPUTE_PGM_RSRC2:TRAP_HANDLER: 0
; COMPUTE_PGM_RSRC2:TGID_X_EN: 1
; COMPUTE_PGM_RSRC2:TGID_Y_EN: 1
; COMPUTE_PGM_RSRC2:TGID_Z_EN: 1
; COMPUTE_PGM_RSRC2:TIDIG_COMP_CNT: 1
	.section	.text._ZL32rocblas_syrkx_herkx_small_kernelIi19rocblas_complex_numIdELi16ELb0ELb0ELc67ELc85EKPKS1_KPS1_EviT_T0_PT6_S7_lSA_S7_lS8_PT7_S7_li,"axG",@progbits,_ZL32rocblas_syrkx_herkx_small_kernelIi19rocblas_complex_numIdELi16ELb0ELb0ELc67ELc85EKPKS1_KPS1_EviT_T0_PT6_S7_lSA_S7_lS8_PT7_S7_li,comdat
	.globl	_ZL32rocblas_syrkx_herkx_small_kernelIi19rocblas_complex_numIdELi16ELb0ELb0ELc67ELc85EKPKS1_KPS1_EviT_T0_PT6_S7_lSA_S7_lS8_PT7_S7_li ; -- Begin function _ZL32rocblas_syrkx_herkx_small_kernelIi19rocblas_complex_numIdELi16ELb0ELb0ELc67ELc85EKPKS1_KPS1_EviT_T0_PT6_S7_lSA_S7_lS8_PT7_S7_li
	.p2align	8
	.type	_ZL32rocblas_syrkx_herkx_small_kernelIi19rocblas_complex_numIdELi16ELb0ELb0ELc67ELc85EKPKS1_KPS1_EviT_T0_PT6_S7_lSA_S7_lS8_PT7_S7_li,@function
_ZL32rocblas_syrkx_herkx_small_kernelIi19rocblas_complex_numIdELi16ELb0ELb0ELc67ELc85EKPKS1_KPS1_EviT_T0_PT6_S7_lSA_S7_lS8_PT7_S7_li: ; @_ZL32rocblas_syrkx_herkx_small_kernelIi19rocblas_complex_numIdELi16ELb0ELb0ELc67ELc85EKPKS1_KPS1_EviT_T0_PT6_S7_lSA_S7_lS8_PT7_S7_li
; %bb.0:
	s_load_dwordx2 s[20:21], s[4:5], 0x0
	s_load_dwordx4 s[12:15], s[4:5], 0x8
	s_load_dwordx2 s[0:1], s[4:5], 0x58
	s_load_dwordx2 s[2:3], s[4:5], 0x18
	s_load_dwordx4 s[16:19], s[4:5], 0x48
	s_mov_b32 s9, 0
	s_lshl_b64 s[22:23], s[8:9], 3
	s_waitcnt lgkmcnt(0)
	s_add_u32 s0, s0, s22
	s_addc_u32 s1, s1, s23
	s_load_dwordx2 s[10:11], s[0:1], 0x0
	v_lshl_add_u32 v16, s7, 4, v1
	v_lshl_add_u32 v7, s6, 4, v0
	s_cmp_lt_i32 s21, 1
	v_cmp_gt_i32_e32 vcc, s20, v16
	s_cbranch_scc1 .LBB753_9
; %bb.1:
	s_load_dwordx2 s[6:7], s[4:5], 0x30
	s_load_dword s8, s[4:5], 0x20
	s_load_dword s24, s[4:5], 0x38
	v_lshlrev_b32_e32 v4, 8, v1
	v_lshlrev_b32_e32 v17, 4, v0
	s_waitcnt lgkmcnt(0)
	s_add_u32 s6, s6, s22
	s_addc_u32 s7, s7, s23
	s_add_u32 s2, s2, s22
	s_addc_u32 s3, s3, s23
	s_load_dwordx2 s[22:23], s[2:3], 0x0
	v_mad_i64_i32 v[2:3], s[2:3], s24, v16, 0
	s_load_dwordx2 s[6:7], s[6:7], 0x0
	v_add_u32_e32 v18, v17, v4
	v_lshlrev_b64 v[2:3], 4, v[2:3]
	v_add_u32_e32 v19, 0x1000, v4
	v_add_co_u32_e64 v4, s[2:3], v2, v17
	v_addc_co_u32_e64 v5, s[2:3], 0, v3, s[2:3]
	v_mad_i64_i32 v[2:3], s[2:3], s8, v7, 0
	s_waitcnt lgkmcnt(0)
	v_mov_b32_e32 v6, s7
	v_add_co_u32_e64 v8, s[2:3], s6, v4
	v_lshlrev_b64 v[2:3], 4, v[2:3]
	v_addc_co_u32_e64 v9, s[2:3], v6, v5, s[2:3]
	v_lshlrev_b32_e32 v4, 4, v1
	v_add_co_u32_e64 v2, s[2:3], v2, v4
	v_addc_co_u32_e64 v3, s[2:3], 0, v3, s[2:3]
	v_mov_b32_e32 v4, s23
	v_add_co_u32_e64 v10, s[2:3], s22, v2
	v_addc_co_u32_e64 v11, s[2:3], v4, v3, s[2:3]
	v_mov_b32_e32 v12, 0
	v_mov_b32_e32 v14, 0
	v_cmp_gt_i32_e64 s[0:1], s20, v7
	v_add_u32_e32 v20, v19, v17
	v_mov_b32_e32 v13, 0
	s_xor_b64 s[2:3], vcc, -1
	v_mov_b32_e32 v15, 0
	v_mov_b32_e32 v2, 0
	s_branch .LBB753_3
.LBB753_2:                              ;   in Loop: Header=BB753_3 Depth=1
	s_or_b64 exec, exec, s[6:7]
	s_waitcnt lgkmcnt(0)
	s_barrier
	ds_read_b128 v[3:6], v17
	ds_read_b128 v[21:24], v19
	ds_read_b128 v[25:28], v19 offset:16
	ds_read_b128 v[29:32], v17 offset:256
	;; [unrolled: 1-line block ×4, first 2 shown]
	s_waitcnt lgkmcnt(4)
	v_mul_f64 v[41:42], v[23:24], v[5:6]
	v_mul_f64 v[5:6], v[21:22], v[5:6]
	s_waitcnt lgkmcnt(2)
	v_mul_f64 v[43:44], v[27:28], v[31:32]
	v_mul_f64 v[31:32], v[25:26], v[31:32]
	s_waitcnt lgkmcnt(0)
	v_mul_f64 v[47:48], v[35:36], v[39:40]
	v_add_co_u32_e32 v8, vcc, 0x100, v8
	v_addc_co_u32_e32 v9, vcc, 0, v9, vcc
	v_fma_f64 v[41:42], v[21:22], v[3:4], -v[41:42]
	v_fma_f64 v[45:46], v[23:24], v[3:4], v[5:6]
	v_fma_f64 v[25:26], v[25:26], v[29:30], -v[43:44]
	v_fma_f64 v[27:28], v[27:28], v[29:30], v[31:32]
	v_mul_f64 v[29:30], v[33:34], v[39:40]
	ds_read_b128 v[3:6], v19 offset:48
	ds_read_b128 v[21:24], v17 offset:768
	v_fma_f64 v[33:34], v[33:34], v[37:38], -v[47:48]
	s_add_i32 s9, s9, 16
	v_add_f64 v[31:32], v[14:15], v[41:42]
	v_add_f64 v[39:40], v[12:13], v[45:46]
	s_waitcnt lgkmcnt(0)
	v_mul_f64 v[41:42], v[5:6], v[23:24]
	v_mul_f64 v[43:44], v[3:4], v[23:24]
	v_fma_f64 v[35:36], v[35:36], v[37:38], v[29:30]
	ds_read_b128 v[12:15], v19 offset:64
	v_add_co_u32_e32 v10, vcc, 0x100, v10
	v_add_f64 v[31:32], v[31:32], v[25:26]
	v_add_f64 v[37:38], v[39:40], v[27:28]
	ds_read_b128 v[23:26], v17 offset:1024
	v_fma_f64 v[39:40], v[3:4], v[21:22], -v[41:42]
	v_fma_f64 v[21:22], v[5:6], v[21:22], v[43:44]
	ds_read_b128 v[3:6], v19 offset:80
	ds_read_b128 v[27:30], v17 offset:1280
	s_cmp_ge_i32 s9, s21
	s_waitcnt lgkmcnt(2)
	v_mul_f64 v[41:42], v[14:15], v[25:26]
	v_mul_f64 v[25:26], v[12:13], v[25:26]
	v_add_f64 v[43:44], v[31:32], v[33:34]
	v_add_f64 v[35:36], v[37:38], v[35:36]
	s_waitcnt lgkmcnt(0)
	v_mul_f64 v[45:46], v[5:6], v[29:30]
	v_mul_f64 v[29:30], v[3:4], v[29:30]
	ds_read_b128 v[31:34], v19 offset:96
	v_addc_co_u32_e32 v11, vcc, 0, v11, vcc
	v_fma_f64 v[41:42], v[12:13], v[23:24], -v[41:42]
	v_fma_f64 v[25:26], v[14:15], v[23:24], v[25:26]
	v_add_f64 v[39:40], v[43:44], v[39:40]
	v_add_f64 v[43:44], v[35:36], v[21:22]
	ds_read_b128 v[12:15], v17 offset:1536
	v_fma_f64 v[45:46], v[3:4], v[27:28], -v[45:46]
	v_fma_f64 v[27:28], v[5:6], v[27:28], v[29:30]
	ds_read_b128 v[21:24], v19 offset:112
	ds_read_b128 v[35:38], v17 offset:1792
	;; [unrolled: 1-line block ×3, first 2 shown]
	s_waitcnt lgkmcnt(3)
	v_mul_f64 v[47:48], v[33:34], v[14:15]
	v_mul_f64 v[14:15], v[31:32], v[14:15]
	v_add_f64 v[29:30], v[39:40], v[41:42]
	v_add_f64 v[25:26], v[43:44], v[25:26]
	s_waitcnt lgkmcnt(1)
	v_mul_f64 v[39:40], v[23:24], v[37:38]
	v_mul_f64 v[37:38], v[21:22], v[37:38]
	v_fma_f64 v[31:32], v[31:32], v[12:13], -v[47:48]
	v_fma_f64 v[33:34], v[33:34], v[12:13], v[14:15]
	v_add_f64 v[29:30], v[29:30], v[45:46]
	v_add_f64 v[41:42], v[25:26], v[27:28]
	ds_read_b128 v[12:15], v17 offset:2048
	v_fma_f64 v[39:40], v[21:22], v[35:36], -v[39:40]
	v_fma_f64 v[35:36], v[23:24], v[35:36], v[37:38]
	ds_read_b128 v[21:24], v19 offset:144
	ds_read_b128 v[25:28], v17 offset:2304
	s_waitcnt lgkmcnt(2)
	v_mul_f64 v[37:38], v[5:6], v[14:15]
	v_mul_f64 v[14:15], v[3:4], v[14:15]
	v_add_f64 v[43:44], v[29:30], v[31:32]
	v_add_f64 v[33:34], v[41:42], v[33:34]
	s_waitcnt lgkmcnt(0)
	v_mul_f64 v[41:42], v[23:24], v[27:28]
	v_mul_f64 v[27:28], v[21:22], v[27:28]
	ds_read_b128 v[29:32], v19 offset:160
	v_fma_f64 v[37:38], v[3:4], v[12:13], -v[37:38]
	v_fma_f64 v[45:46], v[5:6], v[12:13], v[14:15]
	v_add_f64 v[39:40], v[43:44], v[39:40]
	v_add_f64 v[43:44], v[33:34], v[35:36]
	ds_read_b128 v[3:6], v17 offset:2560
	v_fma_f64 v[41:42], v[21:22], v[25:26], -v[41:42]
	v_fma_f64 v[25:26], v[23:24], v[25:26], v[27:28]
	ds_read_b128 v[12:15], v19 offset:176
	ds_read_b128 v[33:36], v17 offset:2816
	;; [unrolled: 1-line block ×3, first 2 shown]
	s_waitcnt lgkmcnt(3)
	v_mul_f64 v[47:48], v[31:32], v[5:6]
	v_mul_f64 v[5:6], v[29:30], v[5:6]
	v_add_f64 v[27:28], v[39:40], v[37:38]
	v_add_f64 v[37:38], v[43:44], v[45:46]
	s_waitcnt lgkmcnt(1)
	v_mul_f64 v[39:40], v[14:15], v[35:36]
	v_mul_f64 v[35:36], v[12:13], v[35:36]
	v_fma_f64 v[29:30], v[29:30], v[3:4], -v[47:48]
	v_fma_f64 v[31:32], v[31:32], v[3:4], v[5:6]
	v_add_f64 v[41:42], v[27:28], v[41:42]
	v_add_f64 v[37:38], v[37:38], v[25:26]
	ds_read_b128 v[3:6], v17 offset:3072
	v_fma_f64 v[39:40], v[12:13], v[33:34], -v[39:40]
	v_fma_f64 v[33:34], v[14:15], v[33:34], v[35:36]
	ds_read_b128 v[12:15], v19 offset:208
	ds_read_b128 v[25:28], v17 offset:3328
	s_waitcnt lgkmcnt(2)
	v_mul_f64 v[35:36], v[23:24], v[5:6]
	v_mul_f64 v[5:6], v[21:22], v[5:6]
	v_add_f64 v[41:42], v[41:42], v[29:30]
	v_add_f64 v[37:38], v[37:38], v[31:32]
	s_waitcnt lgkmcnt(0)
	v_mul_f64 v[43:44], v[14:15], v[27:28]
	v_mul_f64 v[27:28], v[12:13], v[27:28]
	ds_read_b128 v[29:32], v19 offset:224
	v_fma_f64 v[45:46], v[21:22], v[3:4], -v[35:36]
	v_fma_f64 v[47:48], v[23:24], v[3:4], v[5:6]
	v_add_f64 v[39:40], v[41:42], v[39:40]
	v_add_f64 v[37:38], v[37:38], v[33:34]
	ds_read_b128 v[3:6], v17 offset:3584
	v_fma_f64 v[12:13], v[12:13], v[25:26], -v[43:44]
	v_fma_f64 v[14:15], v[14:15], v[25:26], v[27:28]
	ds_read_b128 v[21:24], v19 offset:240
	ds_read_b128 v[33:36], v17 offset:3840
	s_waitcnt lgkmcnt(0)
	v_mul_f64 v[41:42], v[31:32], v[5:6]
	v_mul_f64 v[5:6], v[29:30], v[5:6]
	v_add_f64 v[25:26], v[39:40], v[45:46]
	v_add_f64 v[27:28], v[37:38], v[47:48]
	v_mul_f64 v[37:38], v[23:24], v[35:36]
	v_mul_f64 v[35:36], v[21:22], v[35:36]
	s_barrier
	v_fma_f64 v[29:30], v[29:30], v[3:4], -v[41:42]
	v_fma_f64 v[3:4], v[31:32], v[3:4], v[5:6]
	v_add_f64 v[5:6], v[25:26], v[12:13]
	v_add_f64 v[12:13], v[27:28], v[14:15]
	v_fma_f64 v[14:15], v[21:22], v[33:34], -v[37:38]
	v_fma_f64 v[21:22], v[23:24], v[33:34], v[35:36]
	v_add_f64 v[5:6], v[5:6], v[29:30]
	v_add_f64 v[3:4], v[12:13], v[3:4]
	;; [unrolled: 1-line block ×4, first 2 shown]
	s_cbranch_scc1 .LBB753_10
.LBB753_3:                              ; =>This Inner Loop Header: Depth=1
	v_add_u32_e32 v3, s9, v1
	v_cmp_gt_i32_e32 vcc, s21, v3
	v_mov_b32_e32 v3, 0
	v_mov_b32_e32 v5, 0
	;; [unrolled: 1-line block ×4, first 2 shown]
	s_and_b64 s[22:23], s[0:1], vcc
	s_and_saveexec_b64 s[6:7], s[22:23]
	s_cbranch_execz .LBB753_5
; %bb.4:                                ;   in Loop: Header=BB753_3 Depth=1
	flat_load_dwordx4 v[3:6], v[10:11]
.LBB753_5:                              ;   in Loop: Header=BB753_3 Depth=1
	s_or_b64 exec, exec, s[6:7]
	s_waitcnt vmcnt(0) lgkmcnt(0)
	ds_write_b128 v18, v[3:6]
	v_add_u32_e32 v3, s9, v0
	v_cmp_le_i32_e32 vcc, s21, v3
	s_or_b64 s[6:7], s[2:3], vcc
	s_and_saveexec_b64 s[22:23], s[6:7]
	s_xor_b64 s[6:7], exec, s[22:23]
; %bb.6:                                ;   in Loop: Header=BB753_3 Depth=1
	v_mov_b32_e32 v3, v2
	v_mov_b32_e32 v4, v2
	;; [unrolled: 1-line block ×3, first 2 shown]
	ds_write_b128 v20, v[2:5]
; %bb.7:                                ;   in Loop: Header=BB753_3 Depth=1
	s_andn2_saveexec_b64 s[6:7], s[6:7]
	s_cbranch_execz .LBB753_2
; %bb.8:                                ;   in Loop: Header=BB753_3 Depth=1
	flat_load_dwordx4 v[3:6], v[8:9]
	s_waitcnt vmcnt(0) lgkmcnt(0)
	ds_write2_b64 v20, v[3:4], v[5:6] offset1:1
	s_branch .LBB753_2
.LBB753_9:
	v_mov_b32_e32 v12, 0
	v_mov_b32_e32 v14, 0
	;; [unrolled: 1-line block ×4, first 2 shown]
.LBB753_10:
	v_cmp_le_i32_e32 vcc, v7, v16
	v_cmp_gt_i32_e64 s[0:1], s20, v16
	s_and_b64 s[0:1], vcc, s[0:1]
	s_and_saveexec_b64 s[2:3], s[0:1]
	s_cbranch_execz .LBB753_12
; %bb.11:
	s_load_dword s0, s[4:5], 0x60
	v_ashrrev_i32_e32 v8, 31, v7
	s_waitcnt lgkmcnt(0)
	v_mov_b32_e32 v4, s11
	v_lshlrev_b64 v[2:3], 4, v[7:8]
	v_mul_f64 v[6:7], s[14:15], v[12:13]
	v_mad_i64_i32 v[0:1], s[0:1], s0, v16, 0
	v_mul_f64 v[8:9], s[12:13], v[12:13]
	v_lshlrev_b64 v[0:1], 4, v[0:1]
	v_add_co_u32_e32 v0, vcc, s10, v0
	v_addc_co_u32_e32 v1, vcc, v4, v1, vcc
	v_add_co_u32_e32 v4, vcc, v0, v2
	v_addc_co_u32_e32 v5, vcc, v1, v3, vcc
	flat_load_dwordx4 v[0:3], v[4:5]
	v_fma_f64 v[6:7], s[12:13], v[14:15], -v[6:7]
	v_fma_f64 v[8:9], s[14:15], v[14:15], v[8:9]
	s_waitcnt vmcnt(0) lgkmcnt(0)
	v_mul_f64 v[10:11], s[18:19], v[2:3]
	v_mul_f64 v[2:3], s[16:17], v[2:3]
	v_fma_f64 v[10:11], s[16:17], v[0:1], -v[10:11]
	v_fma_f64 v[2:3], s[18:19], v[0:1], v[2:3]
	v_add_f64 v[0:1], v[6:7], v[10:11]
	v_add_f64 v[2:3], v[8:9], v[2:3]
	flat_store_dwordx4 v[4:5], v[0:3]
.LBB753_12:
	s_endpgm
	.section	.rodata,"a",@progbits
	.p2align	6, 0x0
	.amdhsa_kernel _ZL32rocblas_syrkx_herkx_small_kernelIi19rocblas_complex_numIdELi16ELb0ELb0ELc67ELc85EKPKS1_KPS1_EviT_T0_PT6_S7_lSA_S7_lS8_PT7_S7_li
		.amdhsa_group_segment_fixed_size 8192
		.amdhsa_private_segment_fixed_size 0
		.amdhsa_kernarg_size 116
		.amdhsa_user_sgpr_count 6
		.amdhsa_user_sgpr_private_segment_buffer 1
		.amdhsa_user_sgpr_dispatch_ptr 0
		.amdhsa_user_sgpr_queue_ptr 0
		.amdhsa_user_sgpr_kernarg_segment_ptr 1
		.amdhsa_user_sgpr_dispatch_id 0
		.amdhsa_user_sgpr_flat_scratch_init 0
		.amdhsa_user_sgpr_private_segment_size 0
		.amdhsa_uses_dynamic_stack 0
		.amdhsa_system_sgpr_private_segment_wavefront_offset 0
		.amdhsa_system_sgpr_workgroup_id_x 1
		.amdhsa_system_sgpr_workgroup_id_y 1
		.amdhsa_system_sgpr_workgroup_id_z 1
		.amdhsa_system_sgpr_workgroup_info 0
		.amdhsa_system_vgpr_workitem_id 1
		.amdhsa_next_free_vgpr 49
		.amdhsa_next_free_sgpr 61
		.amdhsa_reserve_vcc 1
		.amdhsa_reserve_flat_scratch 0
		.amdhsa_float_round_mode_32 0
		.amdhsa_float_round_mode_16_64 0
		.amdhsa_float_denorm_mode_32 3
		.amdhsa_float_denorm_mode_16_64 3
		.amdhsa_dx10_clamp 1
		.amdhsa_ieee_mode 1
		.amdhsa_fp16_overflow 0
		.amdhsa_exception_fp_ieee_invalid_op 0
		.amdhsa_exception_fp_denorm_src 0
		.amdhsa_exception_fp_ieee_div_zero 0
		.amdhsa_exception_fp_ieee_overflow 0
		.amdhsa_exception_fp_ieee_underflow 0
		.amdhsa_exception_fp_ieee_inexact 0
		.amdhsa_exception_int_div_zero 0
	.end_amdhsa_kernel
	.section	.text._ZL32rocblas_syrkx_herkx_small_kernelIi19rocblas_complex_numIdELi16ELb0ELb0ELc67ELc85EKPKS1_KPS1_EviT_T0_PT6_S7_lSA_S7_lS8_PT7_S7_li,"axG",@progbits,_ZL32rocblas_syrkx_herkx_small_kernelIi19rocblas_complex_numIdELi16ELb0ELb0ELc67ELc85EKPKS1_KPS1_EviT_T0_PT6_S7_lSA_S7_lS8_PT7_S7_li,comdat
.Lfunc_end753:
	.size	_ZL32rocblas_syrkx_herkx_small_kernelIi19rocblas_complex_numIdELi16ELb0ELb0ELc67ELc85EKPKS1_KPS1_EviT_T0_PT6_S7_lSA_S7_lS8_PT7_S7_li, .Lfunc_end753-_ZL32rocblas_syrkx_herkx_small_kernelIi19rocblas_complex_numIdELi16ELb0ELb0ELc67ELc85EKPKS1_KPS1_EviT_T0_PT6_S7_lSA_S7_lS8_PT7_S7_li
                                        ; -- End function
	.set _ZL32rocblas_syrkx_herkx_small_kernelIi19rocblas_complex_numIdELi16ELb0ELb0ELc67ELc85EKPKS1_KPS1_EviT_T0_PT6_S7_lSA_S7_lS8_PT7_S7_li.num_vgpr, 49
	.set _ZL32rocblas_syrkx_herkx_small_kernelIi19rocblas_complex_numIdELi16ELb0ELb0ELc67ELc85EKPKS1_KPS1_EviT_T0_PT6_S7_lSA_S7_lS8_PT7_S7_li.num_agpr, 0
	.set _ZL32rocblas_syrkx_herkx_small_kernelIi19rocblas_complex_numIdELi16ELb0ELb0ELc67ELc85EKPKS1_KPS1_EviT_T0_PT6_S7_lSA_S7_lS8_PT7_S7_li.numbered_sgpr, 25
	.set _ZL32rocblas_syrkx_herkx_small_kernelIi19rocblas_complex_numIdELi16ELb0ELb0ELc67ELc85EKPKS1_KPS1_EviT_T0_PT6_S7_lSA_S7_lS8_PT7_S7_li.num_named_barrier, 0
	.set _ZL32rocblas_syrkx_herkx_small_kernelIi19rocblas_complex_numIdELi16ELb0ELb0ELc67ELc85EKPKS1_KPS1_EviT_T0_PT6_S7_lSA_S7_lS8_PT7_S7_li.private_seg_size, 0
	.set _ZL32rocblas_syrkx_herkx_small_kernelIi19rocblas_complex_numIdELi16ELb0ELb0ELc67ELc85EKPKS1_KPS1_EviT_T0_PT6_S7_lSA_S7_lS8_PT7_S7_li.uses_vcc, 1
	.set _ZL32rocblas_syrkx_herkx_small_kernelIi19rocblas_complex_numIdELi16ELb0ELb0ELc67ELc85EKPKS1_KPS1_EviT_T0_PT6_S7_lSA_S7_lS8_PT7_S7_li.uses_flat_scratch, 0
	.set _ZL32rocblas_syrkx_herkx_small_kernelIi19rocblas_complex_numIdELi16ELb0ELb0ELc67ELc85EKPKS1_KPS1_EviT_T0_PT6_S7_lSA_S7_lS8_PT7_S7_li.has_dyn_sized_stack, 0
	.set _ZL32rocblas_syrkx_herkx_small_kernelIi19rocblas_complex_numIdELi16ELb0ELb0ELc67ELc85EKPKS1_KPS1_EviT_T0_PT6_S7_lSA_S7_lS8_PT7_S7_li.has_recursion, 0
	.set _ZL32rocblas_syrkx_herkx_small_kernelIi19rocblas_complex_numIdELi16ELb0ELb0ELc67ELc85EKPKS1_KPS1_EviT_T0_PT6_S7_lSA_S7_lS8_PT7_S7_li.has_indirect_call, 0
	.section	.AMDGPU.csdata,"",@progbits
; Kernel info:
; codeLenInByte = 1800
; TotalNumSgprs: 29
; NumVgprs: 49
; ScratchSize: 0
; MemoryBound: 1
; FloatMode: 240
; IeeeMode: 1
; LDSByteSize: 8192 bytes/workgroup (compile time only)
; SGPRBlocks: 8
; VGPRBlocks: 12
; NumSGPRsForWavesPerEU: 65
; NumVGPRsForWavesPerEU: 49
; Occupancy: 4
; WaveLimiterHint : 1
; COMPUTE_PGM_RSRC2:SCRATCH_EN: 0
; COMPUTE_PGM_RSRC2:USER_SGPR: 6
; COMPUTE_PGM_RSRC2:TRAP_HANDLER: 0
; COMPUTE_PGM_RSRC2:TGID_X_EN: 1
; COMPUTE_PGM_RSRC2:TGID_Y_EN: 1
; COMPUTE_PGM_RSRC2:TGID_Z_EN: 1
; COMPUTE_PGM_RSRC2:TIDIG_COMP_CNT: 1
	.section	.text._ZL32rocblas_syrkx_herkx_small_kernelIi19rocblas_complex_numIdELi16ELb0ELb0ELc78ELc85EKPKS1_KPS1_EviT_T0_PT6_S7_lSA_S7_lS8_PT7_S7_li,"axG",@progbits,_ZL32rocblas_syrkx_herkx_small_kernelIi19rocblas_complex_numIdELi16ELb0ELb0ELc78ELc85EKPKS1_KPS1_EviT_T0_PT6_S7_lSA_S7_lS8_PT7_S7_li,comdat
	.globl	_ZL32rocblas_syrkx_herkx_small_kernelIi19rocblas_complex_numIdELi16ELb0ELb0ELc78ELc85EKPKS1_KPS1_EviT_T0_PT6_S7_lSA_S7_lS8_PT7_S7_li ; -- Begin function _ZL32rocblas_syrkx_herkx_small_kernelIi19rocblas_complex_numIdELi16ELb0ELb0ELc78ELc85EKPKS1_KPS1_EviT_T0_PT6_S7_lSA_S7_lS8_PT7_S7_li
	.p2align	8
	.type	_ZL32rocblas_syrkx_herkx_small_kernelIi19rocblas_complex_numIdELi16ELb0ELb0ELc78ELc85EKPKS1_KPS1_EviT_T0_PT6_S7_lSA_S7_lS8_PT7_S7_li,@function
_ZL32rocblas_syrkx_herkx_small_kernelIi19rocblas_complex_numIdELi16ELb0ELb0ELc78ELc85EKPKS1_KPS1_EviT_T0_PT6_S7_lSA_S7_lS8_PT7_S7_li: ; @_ZL32rocblas_syrkx_herkx_small_kernelIi19rocblas_complex_numIdELi16ELb0ELb0ELc78ELc85EKPKS1_KPS1_EviT_T0_PT6_S7_lSA_S7_lS8_PT7_S7_li
; %bb.0:
	s_load_dwordx2 s[20:21], s[4:5], 0x0
	s_load_dwordx4 s[12:15], s[4:5], 0x8
	s_load_dwordx2 s[10:11], s[4:5], 0x58
	s_load_dwordx2 s[0:1], s[4:5], 0x18
	s_load_dwordx4 s[16:19], s[4:5], 0x48
	s_mov_b32 s9, 0
	s_lshl_b64 s[2:3], s[8:9], 3
	s_waitcnt lgkmcnt(0)
	s_add_u32 s10, s10, s2
	s_addc_u32 s11, s11, s3
	s_load_dwordx2 s[10:11], s[10:11], 0x0
	v_lshl_add_u32 v7, s6, 4, v0
	v_lshl_add_u32 v9, s7, 4, v1
	s_cmp_lt_i32 s21, 1
	v_ashrrev_i32_e32 v8, 31, v7
	v_cmp_gt_i32_e32 vcc, s20, v9
	s_cbranch_scc1 .LBB754_9
; %bb.1:
	s_load_dword s22, s[4:5], 0x20
	s_load_dword s6, s[4:5], 0x38
	s_load_dwordx2 s[24:25], s[4:5], 0x30
	v_lshlrev_b32_e32 v4, 8, v1
	v_lshlrev_b32_e32 v18, 4, v0
	s_waitcnt lgkmcnt(0)
	s_ashr_i32 s23, s22, 31
	s_ashr_i32 s7, s6, 31
	s_add_u32 s24, s24, s2
	s_addc_u32 s25, s25, s3
	s_add_u32 s0, s0, s2
	s_addc_u32 s1, s1, s3
	v_mad_i64_i32 v[2:3], s[2:3], s6, v0, 0
	v_ashrrev_i32_e32 v10, 31, v9
	v_add_u32_e32 v19, v18, v4
	v_add_u32_e32 v20, 0x1000, v4
	v_lshlrev_b64 v[2:3], 4, v[2:3]
	v_lshlrev_b64 v[4:5], 4, v[9:10]
	s_load_dwordx2 s[24:25], s[24:25], 0x0
	v_add_co_u32_e64 v4, s[2:3], v2, v4
	v_addc_co_u32_e64 v5, s[2:3], v3, v5, s[2:3]
	v_mad_i64_i32 v[2:3], s[2:3], s22, v1, 0
	s_load_dwordx2 s[26:27], s[0:1], 0x0
	s_waitcnt lgkmcnt(0)
	v_mov_b32_e32 v6, s25
	v_add_co_u32_e64 v10, s[2:3], s24, v4
	v_addc_co_u32_e64 v11, s[2:3], v6, v5, s[2:3]
	v_lshlrev_b64 v[2:3], 4, v[2:3]
	v_lshlrev_b64 v[4:5], 4, v[7:8]
	v_cmp_gt_i32_e64 s[0:1], s20, v7
	v_add_co_u32_e64 v2, s[2:3], v2, v4
	v_addc_co_u32_e64 v3, s[2:3], v3, v5, s[2:3]
	v_mov_b32_e32 v4, s27
	v_add_co_u32_e64 v12, s[2:3], s26, v2
	v_addc_co_u32_e64 v13, s[2:3], v4, v3, s[2:3]
	s_lshl_b64 s[6:7], s[6:7], 8
	s_lshl_b64 s[2:3], s[22:23], 8
	v_mov_b32_e32 v14, 0
	v_mov_b32_e32 v16, 0
	v_add_u32_e32 v21, v20, v18
	v_mov_b32_e32 v15, 0
	s_xor_b64 s[22:23], s[0:1], -1
	v_mov_b32_e32 v22, s7
	v_mov_b32_e32 v23, s3
	;; [unrolled: 1-line block ×4, first 2 shown]
	s_branch .LBB754_3
.LBB754_2:                              ;   in Loop: Header=BB754_3 Depth=1
	s_or_b64 exec, exec, s[0:1]
	s_waitcnt vmcnt(0) lgkmcnt(0)
	ds_write_b128 v21, v[3:6]
	s_waitcnt lgkmcnt(0)
	s_barrier
	ds_read_b128 v[3:6], v18
	ds_read_b128 v[24:27], v20
	ds_read_b128 v[28:31], v20 offset:16
	ds_read_b128 v[32:35], v18 offset:256
	v_add_co_u32_e64 v10, s[0:1], s6, v10
	s_waitcnt lgkmcnt(2)
	v_mul_f64 v[36:37], v[26:27], v[5:6]
	v_mul_f64 v[5:6], v[24:25], v[5:6]
	s_waitcnt lgkmcnt(0)
	v_mul_f64 v[38:39], v[30:31], v[34:35]
	v_mul_f64 v[40:41], v[28:29], v[34:35]
	v_addc_co_u32_e64 v11, s[0:1], v11, v22, s[0:1]
	s_add_i32 s9, s9, 16
	v_add_co_u32_e64 v12, s[0:1], s2, v12
	v_fma_f64 v[42:43], v[24:25], v[3:4], -v[36:37]
	v_fma_f64 v[44:45], v[26:27], v[3:4], v[5:6]
	ds_read_b128 v[3:6], v18 offset:512
	ds_read_b128 v[24:27], v20 offset:32
	;; [unrolled: 1-line block ×3, first 2 shown]
	v_fma_f64 v[38:39], v[28:29], v[32:33], -v[38:39]
	v_fma_f64 v[32:33], v[30:31], v[32:33], v[40:41]
	ds_read_b128 v[28:31], v18 offset:768
	s_waitcnt lgkmcnt(2)
	v_mul_f64 v[40:41], v[26:27], v[5:6]
	v_mul_f64 v[5:6], v[24:25], v[5:6]
	v_add_f64 v[16:17], v[16:17], v[42:43]
	v_add_f64 v[14:15], v[14:15], v[44:45]
	s_waitcnt lgkmcnt(0)
	v_mul_f64 v[42:43], v[36:37], v[30:31]
	v_mul_f64 v[30:31], v[34:35], v[30:31]
	s_cmp_ge_i32 s9, s21
	v_addc_co_u32_e64 v13, s[0:1], v13, v23, s[0:1]
	v_fma_f64 v[40:41], v[24:25], v[3:4], -v[40:41]
	v_fma_f64 v[44:45], v[26:27], v[3:4], v[5:6]
	v_add_f64 v[38:39], v[16:17], v[38:39]
	v_add_f64 v[32:33], v[14:15], v[32:33]
	ds_read_b128 v[3:6], v20 offset:64
	ds_read_b128 v[14:17], v18 offset:1024
	v_fma_f64 v[34:35], v[34:35], v[28:29], -v[42:43]
	v_fma_f64 v[36:37], v[36:37], v[28:29], v[30:31]
	ds_read_b128 v[24:27], v20 offset:80
	ds_read_b128 v[28:31], v18 offset:1280
	s_waitcnt lgkmcnt(2)
	v_mul_f64 v[42:43], v[5:6], v[16:17]
	v_mul_f64 v[16:17], v[3:4], v[16:17]
	v_add_f64 v[38:39], v[38:39], v[40:41]
	v_add_f64 v[32:33], v[32:33], v[44:45]
	s_waitcnt lgkmcnt(0)
	v_mul_f64 v[40:41], v[26:27], v[30:31]
	v_mul_f64 v[30:31], v[24:25], v[30:31]
	v_fma_f64 v[42:43], v[3:4], v[14:15], -v[42:43]
	v_fma_f64 v[44:45], v[5:6], v[14:15], v[16:17]
	v_add_f64 v[34:35], v[38:39], v[34:35]
	v_add_f64 v[32:33], v[32:33], v[36:37]
	ds_read_b128 v[3:6], v20 offset:96
	ds_read_b128 v[14:17], v18 offset:1536
	v_fma_f64 v[36:37], v[24:25], v[28:29], -v[40:41]
	v_fma_f64 v[38:39], v[26:27], v[28:29], v[30:31]
	ds_read_b128 v[24:27], v20 offset:112
	ds_read_b128 v[28:31], v18 offset:1792
	s_waitcnt lgkmcnt(2)
	v_mul_f64 v[40:41], v[5:6], v[16:17]
	v_mul_f64 v[16:17], v[3:4], v[16:17]
	v_add_f64 v[34:35], v[34:35], v[42:43]
	v_add_f64 v[32:33], v[32:33], v[44:45]
	s_waitcnt lgkmcnt(0)
	v_mul_f64 v[42:43], v[26:27], v[30:31]
	v_mul_f64 v[30:31], v[24:25], v[30:31]
	;; [unrolled: 18-line block ×5, first 2 shown]
	v_fma_f64 v[42:43], v[3:4], v[14:15], -v[42:43]
	v_fma_f64 v[44:45], v[5:6], v[14:15], v[16:17]
	v_add_f64 v[34:35], v[34:35], v[36:37]
	v_add_f64 v[32:33], v[32:33], v[38:39]
	ds_read_b128 v[3:6], v20 offset:224
	ds_read_b128 v[14:17], v18 offset:3584
	v_fma_f64 v[36:37], v[24:25], v[28:29], -v[40:41]
	v_fma_f64 v[38:39], v[26:27], v[28:29], v[30:31]
	ds_read_b128 v[24:27], v20 offset:240
	ds_read_b128 v[28:31], v18 offset:3840
	s_waitcnt lgkmcnt(0)
	v_mul_f64 v[40:41], v[5:6], v[16:17]
	v_mul_f64 v[16:17], v[3:4], v[16:17]
	v_add_f64 v[34:35], v[34:35], v[42:43]
	v_add_f64 v[32:33], v[32:33], v[44:45]
	v_mul_f64 v[42:43], v[26:27], v[30:31]
	v_mul_f64 v[30:31], v[24:25], v[30:31]
	s_barrier
	v_fma_f64 v[3:4], v[3:4], v[14:15], -v[40:41]
	v_fma_f64 v[5:6], v[5:6], v[14:15], v[16:17]
	v_add_f64 v[14:15], v[34:35], v[36:37]
	v_add_f64 v[16:17], v[32:33], v[38:39]
	v_fma_f64 v[24:25], v[24:25], v[28:29], -v[42:43]
	v_fma_f64 v[26:27], v[26:27], v[28:29], v[30:31]
	v_add_f64 v[3:4], v[14:15], v[3:4]
	v_add_f64 v[5:6], v[16:17], v[5:6]
	;; [unrolled: 1-line block ×4, first 2 shown]
	s_cbranch_scc1 .LBB754_10
.LBB754_3:                              ; =>This Inner Loop Header: Depth=1
	v_add_u32_e32 v3, s9, v1
	v_cmp_le_i32_e64 s[0:1], s21, v3
	s_or_b64 s[0:1], s[22:23], s[0:1]
	s_and_saveexec_b64 s[24:25], s[0:1]
	s_xor_b64 s[0:1], exec, s[24:25]
; %bb.4:                                ;   in Loop: Header=BB754_3 Depth=1
	v_mov_b32_e32 v3, v2
	v_mov_b32_e32 v4, v2
	;; [unrolled: 1-line block ×3, first 2 shown]
	ds_write_b128 v19, v[2:5]
; %bb.5:                                ;   in Loop: Header=BB754_3 Depth=1
	s_andn2_saveexec_b64 s[0:1], s[0:1]
	s_cbranch_execz .LBB754_7
; %bb.6:                                ;   in Loop: Header=BB754_3 Depth=1
	flat_load_dwordx4 v[3:6], v[12:13]
	s_waitcnt vmcnt(0) lgkmcnt(0)
	ds_write2_b64 v19, v[3:4], v[5:6] offset1:1
.LBB754_7:                              ;   in Loop: Header=BB754_3 Depth=1
	s_or_b64 exec, exec, s[0:1]
	v_add_u32_e32 v3, s9, v0
	v_cmp_gt_i32_e64 s[0:1], s21, v3
	v_mov_b32_e32 v3, 0
	v_mov_b32_e32 v5, 0
	;; [unrolled: 1-line block ×4, first 2 shown]
	s_and_b64 s[24:25], vcc, s[0:1]
	s_and_saveexec_b64 s[0:1], s[24:25]
	s_cbranch_execz .LBB754_2
; %bb.8:                                ;   in Loop: Header=BB754_3 Depth=1
	flat_load_dwordx4 v[3:6], v[10:11]
	s_branch .LBB754_2
.LBB754_9:
	v_mov_b32_e32 v14, 0
	v_mov_b32_e32 v16, 0
	;; [unrolled: 1-line block ×4, first 2 shown]
.LBB754_10:
	v_cmp_le_i32_e32 vcc, v7, v9
	v_cmp_gt_i32_e64 s[0:1], s20, v9
	s_and_b64 s[0:1], vcc, s[0:1]
	s_and_saveexec_b64 s[2:3], s[0:1]
	s_cbranch_execz .LBB754_12
; %bb.11:
	s_load_dword s0, s[4:5], 0x60
	s_waitcnt lgkmcnt(0)
	v_mov_b32_e32 v4, s11
	v_lshlrev_b64 v[2:3], 4, v[7:8]
	v_mul_f64 v[6:7], s[14:15], v[14:15]
	v_mad_i64_i32 v[0:1], s[0:1], s0, v9, 0
	v_mul_f64 v[8:9], s[12:13], v[14:15]
	v_lshlrev_b64 v[0:1], 4, v[0:1]
	v_fma_f64 v[6:7], s[12:13], v[16:17], -v[6:7]
	v_add_co_u32_e32 v0, vcc, s10, v0
	v_addc_co_u32_e32 v1, vcc, v4, v1, vcc
	v_add_co_u32_e32 v4, vcc, v0, v2
	v_addc_co_u32_e32 v5, vcc, v1, v3, vcc
	flat_load_dwordx4 v[0:3], v[4:5]
	v_fma_f64 v[8:9], s[14:15], v[16:17], v[8:9]
	s_waitcnt vmcnt(0) lgkmcnt(0)
	v_mul_f64 v[10:11], s[18:19], v[2:3]
	v_mul_f64 v[2:3], s[16:17], v[2:3]
	v_fma_f64 v[10:11], s[16:17], v[0:1], -v[10:11]
	v_fma_f64 v[2:3], s[18:19], v[0:1], v[2:3]
	v_add_f64 v[0:1], v[6:7], v[10:11]
	v_add_f64 v[2:3], v[8:9], v[2:3]
	flat_store_dwordx4 v[4:5], v[0:3]
.LBB754_12:
	s_endpgm
	.section	.rodata,"a",@progbits
	.p2align	6, 0x0
	.amdhsa_kernel _ZL32rocblas_syrkx_herkx_small_kernelIi19rocblas_complex_numIdELi16ELb0ELb0ELc78ELc85EKPKS1_KPS1_EviT_T0_PT6_S7_lSA_S7_lS8_PT7_S7_li
		.amdhsa_group_segment_fixed_size 8192
		.amdhsa_private_segment_fixed_size 0
		.amdhsa_kernarg_size 116
		.amdhsa_user_sgpr_count 6
		.amdhsa_user_sgpr_private_segment_buffer 1
		.amdhsa_user_sgpr_dispatch_ptr 0
		.amdhsa_user_sgpr_queue_ptr 0
		.amdhsa_user_sgpr_kernarg_segment_ptr 1
		.amdhsa_user_sgpr_dispatch_id 0
		.amdhsa_user_sgpr_flat_scratch_init 0
		.amdhsa_user_sgpr_private_segment_size 0
		.amdhsa_uses_dynamic_stack 0
		.amdhsa_system_sgpr_private_segment_wavefront_offset 0
		.amdhsa_system_sgpr_workgroup_id_x 1
		.amdhsa_system_sgpr_workgroup_id_y 1
		.amdhsa_system_sgpr_workgroup_id_z 1
		.amdhsa_system_sgpr_workgroup_info 0
		.amdhsa_system_vgpr_workitem_id 1
		.amdhsa_next_free_vgpr 46
		.amdhsa_next_free_sgpr 61
		.amdhsa_reserve_vcc 1
		.amdhsa_reserve_flat_scratch 0
		.amdhsa_float_round_mode_32 0
		.amdhsa_float_round_mode_16_64 0
		.amdhsa_float_denorm_mode_32 3
		.amdhsa_float_denorm_mode_16_64 3
		.amdhsa_dx10_clamp 1
		.amdhsa_ieee_mode 1
		.amdhsa_fp16_overflow 0
		.amdhsa_exception_fp_ieee_invalid_op 0
		.amdhsa_exception_fp_denorm_src 0
		.amdhsa_exception_fp_ieee_div_zero 0
		.amdhsa_exception_fp_ieee_overflow 0
		.amdhsa_exception_fp_ieee_underflow 0
		.amdhsa_exception_fp_ieee_inexact 0
		.amdhsa_exception_int_div_zero 0
	.end_amdhsa_kernel
	.section	.text._ZL32rocblas_syrkx_herkx_small_kernelIi19rocblas_complex_numIdELi16ELb0ELb0ELc78ELc85EKPKS1_KPS1_EviT_T0_PT6_S7_lSA_S7_lS8_PT7_S7_li,"axG",@progbits,_ZL32rocblas_syrkx_herkx_small_kernelIi19rocblas_complex_numIdELi16ELb0ELb0ELc78ELc85EKPKS1_KPS1_EviT_T0_PT6_S7_lSA_S7_lS8_PT7_S7_li,comdat
.Lfunc_end754:
	.size	_ZL32rocblas_syrkx_herkx_small_kernelIi19rocblas_complex_numIdELi16ELb0ELb0ELc78ELc85EKPKS1_KPS1_EviT_T0_PT6_S7_lSA_S7_lS8_PT7_S7_li, .Lfunc_end754-_ZL32rocblas_syrkx_herkx_small_kernelIi19rocblas_complex_numIdELi16ELb0ELb0ELc78ELc85EKPKS1_KPS1_EviT_T0_PT6_S7_lSA_S7_lS8_PT7_S7_li
                                        ; -- End function
	.set _ZL32rocblas_syrkx_herkx_small_kernelIi19rocblas_complex_numIdELi16ELb0ELb0ELc78ELc85EKPKS1_KPS1_EviT_T0_PT6_S7_lSA_S7_lS8_PT7_S7_li.num_vgpr, 46
	.set _ZL32rocblas_syrkx_herkx_small_kernelIi19rocblas_complex_numIdELi16ELb0ELb0ELc78ELc85EKPKS1_KPS1_EviT_T0_PT6_S7_lSA_S7_lS8_PT7_S7_li.num_agpr, 0
	.set _ZL32rocblas_syrkx_herkx_small_kernelIi19rocblas_complex_numIdELi16ELb0ELb0ELc78ELc85EKPKS1_KPS1_EviT_T0_PT6_S7_lSA_S7_lS8_PT7_S7_li.numbered_sgpr, 28
	.set _ZL32rocblas_syrkx_herkx_small_kernelIi19rocblas_complex_numIdELi16ELb0ELb0ELc78ELc85EKPKS1_KPS1_EviT_T0_PT6_S7_lSA_S7_lS8_PT7_S7_li.num_named_barrier, 0
	.set _ZL32rocblas_syrkx_herkx_small_kernelIi19rocblas_complex_numIdELi16ELb0ELb0ELc78ELc85EKPKS1_KPS1_EviT_T0_PT6_S7_lSA_S7_lS8_PT7_S7_li.private_seg_size, 0
	.set _ZL32rocblas_syrkx_herkx_small_kernelIi19rocblas_complex_numIdELi16ELb0ELb0ELc78ELc85EKPKS1_KPS1_EviT_T0_PT6_S7_lSA_S7_lS8_PT7_S7_li.uses_vcc, 1
	.set _ZL32rocblas_syrkx_herkx_small_kernelIi19rocblas_complex_numIdELi16ELb0ELb0ELc78ELc85EKPKS1_KPS1_EviT_T0_PT6_S7_lSA_S7_lS8_PT7_S7_li.uses_flat_scratch, 0
	.set _ZL32rocblas_syrkx_herkx_small_kernelIi19rocblas_complex_numIdELi16ELb0ELb0ELc78ELc85EKPKS1_KPS1_EviT_T0_PT6_S7_lSA_S7_lS8_PT7_S7_li.has_dyn_sized_stack, 0
	.set _ZL32rocblas_syrkx_herkx_small_kernelIi19rocblas_complex_numIdELi16ELb0ELb0ELc78ELc85EKPKS1_KPS1_EviT_T0_PT6_S7_lSA_S7_lS8_PT7_S7_li.has_recursion, 0
	.set _ZL32rocblas_syrkx_herkx_small_kernelIi19rocblas_complex_numIdELi16ELb0ELb0ELc78ELc85EKPKS1_KPS1_EviT_T0_PT6_S7_lSA_S7_lS8_PT7_S7_li.has_indirect_call, 0
	.section	.AMDGPU.csdata,"",@progbits
; Kernel info:
; codeLenInByte = 1856
; TotalNumSgprs: 32
; NumVgprs: 46
; ScratchSize: 0
; MemoryBound: 1
; FloatMode: 240
; IeeeMode: 1
; LDSByteSize: 8192 bytes/workgroup (compile time only)
; SGPRBlocks: 8
; VGPRBlocks: 11
; NumSGPRsForWavesPerEU: 65
; NumVGPRsForWavesPerEU: 46
; Occupancy: 5
; WaveLimiterHint : 1
; COMPUTE_PGM_RSRC2:SCRATCH_EN: 0
; COMPUTE_PGM_RSRC2:USER_SGPR: 6
; COMPUTE_PGM_RSRC2:TRAP_HANDLER: 0
; COMPUTE_PGM_RSRC2:TGID_X_EN: 1
; COMPUTE_PGM_RSRC2:TGID_Y_EN: 1
; COMPUTE_PGM_RSRC2:TGID_Z_EN: 1
; COMPUTE_PGM_RSRC2:TIDIG_COMP_CNT: 1
	.section	.text._ZL34rocblas_syrkx_herkx_general_kernelIi19rocblas_complex_numIdELi16ELi32ELi8ELb1ELb0ELc84ELc76EKPKS1_KPS1_EviT_T0_PT8_S7_lSA_S7_lS8_PT9_S7_li,"axG",@progbits,_ZL34rocblas_syrkx_herkx_general_kernelIi19rocblas_complex_numIdELi16ELi32ELi8ELb1ELb0ELc84ELc76EKPKS1_KPS1_EviT_T0_PT8_S7_lSA_S7_lS8_PT9_S7_li,comdat
	.globl	_ZL34rocblas_syrkx_herkx_general_kernelIi19rocblas_complex_numIdELi16ELi32ELi8ELb1ELb0ELc84ELc76EKPKS1_KPS1_EviT_T0_PT8_S7_lSA_S7_lS8_PT9_S7_li ; -- Begin function _ZL34rocblas_syrkx_herkx_general_kernelIi19rocblas_complex_numIdELi16ELi32ELi8ELb1ELb0ELc84ELc76EKPKS1_KPS1_EviT_T0_PT8_S7_lSA_S7_lS8_PT9_S7_li
	.p2align	8
	.type	_ZL34rocblas_syrkx_herkx_general_kernelIi19rocblas_complex_numIdELi16ELi32ELi8ELb1ELb0ELc84ELc76EKPKS1_KPS1_EviT_T0_PT8_S7_lSA_S7_lS8_PT9_S7_li,@function
_ZL34rocblas_syrkx_herkx_general_kernelIi19rocblas_complex_numIdELi16ELi32ELi8ELb1ELb0ELc84ELc76EKPKS1_KPS1_EviT_T0_PT8_S7_lSA_S7_lS8_PT9_S7_li: ; @_ZL34rocblas_syrkx_herkx_general_kernelIi19rocblas_complex_numIdELi16ELi32ELi8ELb1ELb0ELc84ELc76EKPKS1_KPS1_EviT_T0_PT8_S7_lSA_S7_lS8_PT9_S7_li
; %bb.0:
	s_load_dwordx2 s[0:1], s[4:5], 0x18
	s_load_dwordx2 s[10:11], s[4:5], 0x58
	;; [unrolled: 1-line block ×3, first 2 shown]
	s_load_dwordx4 s[12:15], s[4:5], 0x8
	s_mov_b32 s9, 0
	s_lshl_b64 s[2:3], s[8:9], 3
	s_waitcnt lgkmcnt(0)
	s_add_u32 s10, s10, s2
	s_addc_u32 s11, s11, s3
	s_load_dwordx2 s[10:11], s[10:11], 0x0
	s_lshl_b32 s8, s6, 5
	s_lshl_b32 s18, s7, 5
	s_cmp_lt_i32 s17, 1
	s_cbranch_scc1 .LBB755_11
; %bb.1:
	s_load_dword s19, s[4:5], 0x20
	s_load_dwordx2 s[6:7], s[4:5], 0x30
	s_load_dword s22, s[4:5], 0x38
	v_lshl_add_u32 v2, v1, 4, v0
	v_lshrrev_b32_e32 v27, 5, v2
	v_lshrrev_b32_e32 v3, 3, v2
	v_and_b32_e32 v2, 31, v2
	v_or_b32_e32 v5, s8, v2
	v_and_b32_e32 v26, 7, v0
	s_waitcnt lgkmcnt(0)
	s_add_u32 s6, s6, s2
	v_cmp_gt_i32_e32 vcc, s16, v5
	v_lshlrev_b32_e32 v5, 4, v2
	s_addc_u32 s7, s7, s3
	v_lshl_or_b32 v28, v27, 9, v5
	v_lshlrev_b32_e32 v5, 4, v26
	v_add_u32_e32 v4, s18, v3
	s_add_u32 s0, s0, s2
	v_lshl_or_b32 v3, v3, 7, v5
	v_add_u32_e32 v2, s8, v2
	s_addc_u32 s1, s1, s3
	v_add_u32_e32 v29, 0x1000, v3
	v_mad_i64_i32 v[2:3], s[2:3], s19, v2, 0
	v_mov_b32_e32 v6, 0x1000
	v_lshl_add_u32 v31, v1, 7, v6
	v_lshlrev_b64 v[2:3], 4, v[2:3]
	v_lshlrev_b32_e32 v6, 4, v27
	s_load_dwordx2 s[20:21], s[0:1], 0x0
	v_add_co_u32_e64 v6, s[2:3], v2, v6
	v_addc_co_u32_e64 v7, s[2:3], 0, v3, s[2:3]
	v_mad_i64_i32 v[2:3], s[2:3], s22, v4, 0
	s_load_dwordx2 s[6:7], s[6:7], 0x0
	s_waitcnt lgkmcnt(0)
	v_mov_b32_e32 v8, s21
	v_add_co_u32_e64 v6, s[2:3], s20, v6
	v_lshlrev_b64 v[2:3], 4, v[2:3]
	v_addc_co_u32_e64 v7, s[2:3], v8, v7, s[2:3]
	v_add_co_u32_e64 v2, s[2:3], v2, v5
	v_addc_co_u32_e64 v3, s[2:3], 0, v3, s[2:3]
	v_cmp_gt_i32_e64 s[0:1], s16, v4
	v_mov_b32_e32 v4, s7
	v_add_co_u32_e64 v8, s[2:3], s6, v2
	v_addc_co_u32_e64 v9, s[2:3], v4, v3, s[2:3]
	v_mov_b32_e32 v22, 0
	v_mov_b32_e32 v24, 0
	;; [unrolled: 1-line block ×8, first 2 shown]
	v_lshlrev_b32_e32 v30, 4, v0
	v_mov_b32_e32 v23, 0
	s_xor_b64 s[2:3], vcc, -1
	s_xor_b64 s[0:1], s[0:1], -1
	v_mov_b32_e32 v25, 0
	v_mov_b32_e32 v21, 0
	;; [unrolled: 1-line block ×8, first 2 shown]
	s_branch .LBB755_3
.LBB755_2:                              ;   in Loop: Header=BB755_3 Depth=1
	s_or_b64 exec, exec, s[6:7]
	s_waitcnt lgkmcnt(0)
	s_barrier
	ds_read_b128 v[32:35], v31
	ds_read_b128 v[36:39], v31 offset:16
	ds_read_b128 v[40:43], v31 offset:32
	;; [unrolled: 1-line block ×3, first 2 shown]
	ds_read_b128 v[48:51], v30
	v_add_co_u32_e32 v6, vcc, 0x80, v6
	v_addc_co_u32_e32 v7, vcc, 0, v7, vcc
	s_waitcnt lgkmcnt(0)
	v_mul_f64 v[3:4], v[34:35], v[50:51]
	v_mul_f64 v[52:53], v[32:33], v[50:51]
	s_add_i32 s9, s9, 8
	v_add_co_u32_e32 v8, vcc, 0x80, v8
	v_addc_co_u32_e32 v9, vcc, 0, v9, vcc
	s_cmp_ge_i32 s9, s17
	v_fma_f64 v[3:4], v[32:33], v[48:49], -v[3:4]
	v_fma_f64 v[52:53], v[34:35], v[48:49], v[52:53]
	v_add_f64 v[3:4], v[14:15], v[3:4]
	v_add_f64 v[14:15], v[52:53], v[18:19]
	ds_read_b128 v[52:55], v30 offset:256
	s_waitcnt lgkmcnt(0)
	v_mul_f64 v[18:19], v[34:35], v[54:55]
	v_fma_f64 v[18:19], v[32:33], v[52:53], -v[18:19]
	v_mul_f64 v[32:33], v[32:33], v[54:55]
	v_add_f64 v[18:19], v[10:11], v[18:19]
	v_fma_f64 v[32:33], v[34:35], v[52:53], v[32:33]
	v_add_f64 v[32:33], v[32:33], v[12:13]
	ds_read_b128 v[10:13], v31 offset:2048
	s_waitcnt lgkmcnt(0)
	v_mul_f64 v[34:35], v[12:13], v[50:51]
	v_mul_f64 v[50:51], v[10:11], v[50:51]
	v_fma_f64 v[34:35], v[10:11], v[48:49], -v[34:35]
	v_fma_f64 v[48:49], v[12:13], v[48:49], v[50:51]
	v_add_f64 v[34:35], v[16:17], v[34:35]
	v_mul_f64 v[16:17], v[12:13], v[54:55]
	v_add_f64 v[48:49], v[48:49], v[20:21]
	v_fma_f64 v[16:17], v[10:11], v[52:53], -v[16:17]
	v_mul_f64 v[10:11], v[10:11], v[54:55]
	v_add_f64 v[24:25], v[24:25], v[16:17]
	v_fma_f64 v[10:11], v[12:13], v[52:53], v[10:11]
	v_add_f64 v[22:23], v[10:11], v[22:23]
	ds_read_b128 v[10:13], v30 offset:512
	s_waitcnt lgkmcnt(0)
	v_mul_f64 v[16:17], v[38:39], v[12:13]
	v_mul_f64 v[20:21], v[36:37], v[12:13]
	v_fma_f64 v[16:17], v[36:37], v[10:11], -v[16:17]
	v_fma_f64 v[20:21], v[38:39], v[10:11], v[20:21]
	v_add_f64 v[3:4], v[3:4], v[16:17]
	v_add_f64 v[50:51], v[20:21], v[14:15]
	ds_read_b128 v[14:17], v30 offset:768
	s_waitcnt lgkmcnt(0)
	v_mul_f64 v[20:21], v[38:39], v[16:17]
	v_fma_f64 v[20:21], v[36:37], v[14:15], -v[20:21]
	v_mul_f64 v[36:37], v[36:37], v[16:17]
	v_fma_f64 v[36:37], v[38:39], v[14:15], v[36:37]
	v_add_f64 v[38:39], v[18:19], v[20:21]
	ds_read_b128 v[18:21], v31 offset:2064
	v_add_f64 v[32:33], v[36:37], v[32:33]
	s_waitcnt lgkmcnt(0)
	v_mul_f64 v[36:37], v[20:21], v[12:13]
	v_mul_f64 v[12:13], v[18:19], v[12:13]
	v_fma_f64 v[36:37], v[18:19], v[10:11], -v[36:37]
	v_fma_f64 v[10:11], v[20:21], v[10:11], v[12:13]
	v_mul_f64 v[12:13], v[18:19], v[16:17]
	v_add_f64 v[34:35], v[34:35], v[36:37]
	v_add_f64 v[36:37], v[10:11], v[48:49]
	v_mul_f64 v[10:11], v[20:21], v[16:17]
	v_fma_f64 v[12:13], v[20:21], v[14:15], v[12:13]
	v_fma_f64 v[10:11], v[18:19], v[14:15], -v[10:11]
	v_add_f64 v[22:23], v[12:13], v[22:23]
	v_add_f64 v[24:25], v[24:25], v[10:11]
	ds_read_b128 v[10:13], v30 offset:1024
	s_waitcnt lgkmcnt(0)
	v_mul_f64 v[14:15], v[42:43], v[12:13]
	v_mul_f64 v[16:17], v[40:41], v[12:13]
	v_fma_f64 v[14:15], v[40:41], v[10:11], -v[14:15]
	v_fma_f64 v[16:17], v[42:43], v[10:11], v[16:17]
	v_add_f64 v[3:4], v[3:4], v[14:15]
	v_add_f64 v[48:49], v[16:17], v[50:51]
	ds_read_b128 v[14:17], v30 offset:1280
	s_waitcnt lgkmcnt(0)
	v_mul_f64 v[18:19], v[42:43], v[16:17]
	v_mul_f64 v[20:21], v[40:41], v[16:17]
	v_fma_f64 v[18:19], v[40:41], v[14:15], -v[18:19]
	v_fma_f64 v[20:21], v[42:43], v[14:15], v[20:21]
	v_add_f64 v[38:39], v[38:39], v[18:19]
	v_add_f64 v[32:33], v[20:21], v[32:33]
	ds_read_b128 v[18:21], v31 offset:2080
	s_waitcnt lgkmcnt(0)
	v_mul_f64 v[40:41], v[20:21], v[12:13]
	v_mul_f64 v[12:13], v[18:19], v[12:13]
	v_fma_f64 v[40:41], v[18:19], v[10:11], -v[40:41]
	v_fma_f64 v[10:11], v[20:21], v[10:11], v[12:13]
	v_mul_f64 v[12:13], v[18:19], v[16:17]
	v_add_f64 v[34:35], v[34:35], v[40:41]
	v_add_f64 v[36:37], v[10:11], v[36:37]
	v_mul_f64 v[10:11], v[20:21], v[16:17]
	v_fma_f64 v[12:13], v[20:21], v[14:15], v[12:13]
	v_fma_f64 v[10:11], v[18:19], v[14:15], -v[10:11]
	v_add_f64 v[22:23], v[12:13], v[22:23]
	v_add_f64 v[24:25], v[24:25], v[10:11]
	ds_read_b128 v[10:13], v30 offset:1536
	s_waitcnt lgkmcnt(0)
	v_mul_f64 v[14:15], v[46:47], v[12:13]
	v_mul_f64 v[16:17], v[44:45], v[12:13]
	v_fma_f64 v[14:15], v[44:45], v[10:11], -v[14:15]
	v_fma_f64 v[16:17], v[46:47], v[10:11], v[16:17]
	v_add_f64 v[3:4], v[3:4], v[14:15]
	v_add_f64 v[40:41], v[16:17], v[48:49]
	ds_read_b128 v[14:17], v30 offset:1792
	s_waitcnt lgkmcnt(0)
	v_mul_f64 v[18:19], v[46:47], v[16:17]
	v_mul_f64 v[20:21], v[44:45], v[16:17]
	v_fma_f64 v[18:19], v[44:45], v[14:15], -v[18:19]
	v_fma_f64 v[20:21], v[46:47], v[14:15], v[20:21]
	v_add_f64 v[38:39], v[38:39], v[18:19]
	v_add_f64 v[32:33], v[20:21], v[32:33]
	ds_read_b128 v[18:21], v31 offset:2096
	s_waitcnt lgkmcnt(0)
	v_mul_f64 v[42:43], v[20:21], v[12:13]
	v_mul_f64 v[12:13], v[18:19], v[12:13]
	v_fma_f64 v[42:43], v[18:19], v[10:11], -v[42:43]
	v_fma_f64 v[10:11], v[20:21], v[10:11], v[12:13]
	v_mul_f64 v[12:13], v[18:19], v[16:17]
	v_add_f64 v[34:35], v[34:35], v[42:43]
	v_add_f64 v[36:37], v[10:11], v[36:37]
	v_mul_f64 v[10:11], v[20:21], v[16:17]
	v_fma_f64 v[12:13], v[20:21], v[14:15], v[12:13]
	v_fma_f64 v[10:11], v[18:19], v[14:15], -v[10:11]
	v_add_f64 v[22:23], v[12:13], v[22:23]
	v_add_f64 v[24:25], v[24:25], v[10:11]
	ds_read_b128 v[10:13], v31 offset:64
	ds_read_b128 v[14:17], v30 offset:2048
	s_waitcnt lgkmcnt(0)
	v_mul_f64 v[18:19], v[12:13], v[16:17]
	v_mul_f64 v[20:21], v[10:11], v[16:17]
	v_fma_f64 v[18:19], v[10:11], v[14:15], -v[18:19]
	v_fma_f64 v[20:21], v[12:13], v[14:15], v[20:21]
	v_add_f64 v[3:4], v[3:4], v[18:19]
	v_add_f64 v[40:41], v[20:21], v[40:41]
	ds_read_b128 v[18:21], v30 offset:2304
	s_waitcnt lgkmcnt(0)
	v_mul_f64 v[42:43], v[12:13], v[20:21]
	v_fma_f64 v[42:43], v[10:11], v[18:19], -v[42:43]
	v_mul_f64 v[10:11], v[10:11], v[20:21]
	v_add_f64 v[38:39], v[38:39], v[42:43]
	v_fma_f64 v[10:11], v[12:13], v[18:19], v[10:11]
	v_add_f64 v[32:33], v[10:11], v[32:33]
	ds_read_b128 v[10:13], v31 offset:2112
	s_waitcnt lgkmcnt(0)
	v_mul_f64 v[42:43], v[12:13], v[16:17]
	v_mul_f64 v[16:17], v[10:11], v[16:17]
	v_fma_f64 v[42:43], v[10:11], v[14:15], -v[42:43]
	v_fma_f64 v[14:15], v[12:13], v[14:15], v[16:17]
	v_add_f64 v[34:35], v[34:35], v[42:43]
	v_add_f64 v[36:37], v[14:15], v[36:37]
	v_mul_f64 v[14:15], v[12:13], v[20:21]
	v_fma_f64 v[14:15], v[10:11], v[18:19], -v[14:15]
	v_mul_f64 v[10:11], v[10:11], v[20:21]
	v_add_f64 v[24:25], v[24:25], v[14:15]
	v_fma_f64 v[10:11], v[12:13], v[18:19], v[10:11]
	v_add_f64 v[22:23], v[10:11], v[22:23]
	ds_read_b128 v[10:13], v31 offset:80
	ds_read_b128 v[14:17], v30 offset:2560
	s_waitcnt lgkmcnt(0)
	v_mul_f64 v[18:19], v[12:13], v[16:17]
	v_mul_f64 v[20:21], v[10:11], v[16:17]
	v_fma_f64 v[18:19], v[10:11], v[14:15], -v[18:19]
	v_fma_f64 v[20:21], v[12:13], v[14:15], v[20:21]
	v_add_f64 v[3:4], v[3:4], v[18:19]
	v_add_f64 v[40:41], v[20:21], v[40:41]
	ds_read_b128 v[18:21], v30 offset:2816
	s_waitcnt lgkmcnt(0)
	v_mul_f64 v[42:43], v[12:13], v[20:21]
	v_fma_f64 v[42:43], v[10:11], v[18:19], -v[42:43]
	v_mul_f64 v[10:11], v[10:11], v[20:21]
	v_add_f64 v[38:39], v[38:39], v[42:43]
	v_fma_f64 v[10:11], v[12:13], v[18:19], v[10:11]
	v_add_f64 v[32:33], v[10:11], v[32:33]
	ds_read_b128 v[10:13], v31 offset:2128
	s_waitcnt lgkmcnt(0)
	v_mul_f64 v[42:43], v[12:13], v[16:17]
	v_mul_f64 v[16:17], v[10:11], v[16:17]
	v_fma_f64 v[42:43], v[10:11], v[14:15], -v[42:43]
	v_fma_f64 v[14:15], v[12:13], v[14:15], v[16:17]
	v_add_f64 v[34:35], v[34:35], v[42:43]
	v_add_f64 v[36:37], v[14:15], v[36:37]
	v_mul_f64 v[14:15], v[12:13], v[20:21]
	v_fma_f64 v[14:15], v[10:11], v[18:19], -v[14:15]
	v_mul_f64 v[10:11], v[10:11], v[20:21]
	v_add_f64 v[24:25], v[24:25], v[14:15]
	v_fma_f64 v[10:11], v[12:13], v[18:19], v[10:11]
	;; [unrolled: 31-line block ×3, first 2 shown]
	v_add_f64 v[46:47], v[10:11], v[22:23]
	ds_read_b128 v[10:13], v31 offset:112
	ds_read_b128 v[20:23], v30 offset:3584
	;; [unrolled: 1-line block ×3, first 2 shown]
	s_waitcnt lgkmcnt(1)
	v_mul_f64 v[14:15], v[12:13], v[22:23]
	v_mul_f64 v[18:19], v[10:11], v[22:23]
	v_fma_f64 v[14:15], v[10:11], v[20:21], -v[14:15]
	v_fma_f64 v[18:19], v[12:13], v[20:21], v[18:19]
	v_add_f64 v[14:15], v[3:4], v[14:15]
	s_waitcnt lgkmcnt(0)
	v_mul_f64 v[3:4], v[12:13], v[34:35]
	v_add_f64 v[18:19], v[18:19], v[40:41]
	v_fma_f64 v[3:4], v[10:11], v[32:33], -v[3:4]
	v_mul_f64 v[10:11], v[10:11], v[34:35]
	v_fma_f64 v[12:13], v[12:13], v[32:33], v[10:11]
	v_add_f64 v[10:11], v[38:39], v[3:4]
	ds_read_b128 v[36:39], v31 offset:2160
	s_waitcnt lgkmcnt(0)
	s_barrier
	v_mul_f64 v[3:4], v[38:39], v[22:23]
	v_mul_f64 v[22:23], v[36:37], v[22:23]
	v_add_f64 v[12:13], v[12:13], v[42:43]
	v_fma_f64 v[3:4], v[36:37], v[20:21], -v[3:4]
	v_fma_f64 v[20:21], v[38:39], v[20:21], v[22:23]
	v_mul_f64 v[22:23], v[36:37], v[34:35]
	v_add_f64 v[16:17], v[16:17], v[3:4]
	v_mul_f64 v[3:4], v[38:39], v[34:35]
	v_fma_f64 v[22:23], v[38:39], v[32:33], v[22:23]
	v_add_f64 v[20:21], v[20:21], v[44:45]
	v_fma_f64 v[3:4], v[36:37], v[32:33], -v[3:4]
	v_add_f64 v[22:23], v[22:23], v[46:47]
	v_add_f64 v[24:25], v[24:25], v[3:4]
	s_cbranch_scc1 .LBB755_12
.LBB755_3:                              ; =>This Inner Loop Header: Depth=1
	v_add_u32_e32 v3, s9, v27
	v_cmp_le_i32_e32 vcc, s17, v3
	s_or_b64 s[6:7], s[2:3], vcc
	s_and_saveexec_b64 s[20:21], s[6:7]
	s_xor_b64 s[6:7], exec, s[20:21]
; %bb.4:                                ;   in Loop: Header=BB755_3 Depth=1
	v_mov_b32_e32 v3, v2
	v_mov_b32_e32 v4, v2
	;; [unrolled: 1-line block ×3, first 2 shown]
	ds_write_b128 v28, v[2:5]
; %bb.5:                                ;   in Loop: Header=BB755_3 Depth=1
	s_andn2_saveexec_b64 s[6:7], s[6:7]
	s_cbranch_execz .LBB755_7
; %bb.6:                                ;   in Loop: Header=BB755_3 Depth=1
	flat_load_dwordx4 v[32:35], v[6:7]
	s_waitcnt vmcnt(0) lgkmcnt(0)
	ds_write2_b64 v28, v[32:33], v[34:35] offset1:1
.LBB755_7:                              ;   in Loop: Header=BB755_3 Depth=1
	s_or_b64 exec, exec, s[6:7]
	v_add_u32_e32 v3, s9, v26
	v_cmp_le_i32_e32 vcc, s17, v3
	s_or_b64 s[6:7], vcc, s[0:1]
	s_and_saveexec_b64 s[20:21], s[6:7]
	s_xor_b64 s[6:7], exec, s[20:21]
; %bb.8:                                ;   in Loop: Header=BB755_3 Depth=1
	v_mov_b32_e32 v3, v2
	v_mov_b32_e32 v4, v2
	;; [unrolled: 1-line block ×3, first 2 shown]
	ds_write_b128 v29, v[2:5]
; %bb.9:                                ;   in Loop: Header=BB755_3 Depth=1
	s_andn2_saveexec_b64 s[6:7], s[6:7]
	s_cbranch_execz .LBB755_2
; %bb.10:                               ;   in Loop: Header=BB755_3 Depth=1
	flat_load_dwordx4 v[32:35], v[8:9]
	s_waitcnt vmcnt(0) lgkmcnt(0)
	ds_write2_b64 v29, v[32:33], v[34:35] offset1:1
	s_branch .LBB755_2
.LBB755_11:
	v_mov_b32_e32 v14, 0
	v_mov_b32_e32 v18, 0
	;; [unrolled: 1-line block ×16, first 2 shown]
.LBB755_12:
	s_load_dword s6, s[4:5], 0x60
	v_add_u32_e32 v4, s18, v1
	s_waitcnt lgkmcnt(0)
	v_mov_b32_e32 v3, s11
	v_add_u32_e32 v0, s8, v0
	v_mad_i64_i32 v[1:2], s[0:1], v4, s6, 0
	v_cmp_le_i32_e64 s[0:1], v4, v0
	v_lshlrev_b64 v[1:2], 4, v[1:2]
	v_add_co_u32_e32 v5, vcc, s10, v1
	v_addc_co_u32_e32 v6, vcc, v3, v2, vcc
	v_cmp_gt_i32_e32 vcc, s16, v0
	s_and_b64 s[0:1], s[0:1], vcc
	s_and_saveexec_b64 s[2:3], s[0:1]
	s_cbranch_execz .LBB755_14
; %bb.13:
	v_mul_f64 v[1:2], s[14:15], v[18:19]
	v_mul_f64 v[7:8], s[12:13], v[18:19]
	v_fma_f64 v[26:27], s[12:13], v[14:15], -v[1:2]
	v_fma_f64 v[28:29], s[14:15], v[14:15], v[7:8]
	v_ashrrev_i32_e32 v1, 31, v0
	v_lshlrev_b64 v[1:2], 4, v[0:1]
	v_add_co_u32_e64 v1, s[0:1], v5, v1
	v_addc_co_u32_e64 v2, s[0:1], v6, v2, s[0:1]
	flat_store_dwordx4 v[1:2], v[26:29]
.LBB755_14:
	s_or_b64 exec, exec, s[2:3]
	v_add_u32_e32 v2, 16, v0
	v_cmp_le_i32_e64 s[2:3], v4, v2
	v_cmp_gt_i32_e64 s[0:1], s16, v2
	s_and_b64 s[2:3], s[2:3], s[0:1]
	s_and_saveexec_b64 s[4:5], s[2:3]
	s_cbranch_execz .LBB755_16
; %bb.15:
	v_mul_f64 v[7:8], s[14:15], v[12:13]
	v_mul_f64 v[12:13], s[12:13], v[12:13]
	v_ashrrev_i32_e32 v3, 31, v2
	v_fma_f64 v[7:8], s[12:13], v[10:11], -v[7:8]
	v_fma_f64 v[9:10], s[14:15], v[10:11], v[12:13]
	v_lshlrev_b64 v[11:12], 4, v[2:3]
	v_add_co_u32_e64 v5, s[2:3], v5, v11
	v_addc_co_u32_e64 v6, s[2:3], v6, v12, s[2:3]
	flat_store_dwordx4 v[5:6], v[7:10]
.LBB755_16:
	s_or_b64 exec, exec, s[4:5]
	v_add_u32_e32 v3, 16, v4
	v_mad_i64_i32 v[4:5], s[2:3], v3, s6, 0
	v_mov_b32_e32 v1, s11
	v_lshlrev_b64 v[4:5], 4, v[4:5]
	v_add_co_u32_e64 v4, s[2:3], s10, v4
	v_addc_co_u32_e64 v5, s[2:3], v1, v5, s[2:3]
	v_cmp_le_i32_e64 s[2:3], v3, v0
	s_and_b64 s[4:5], s[2:3], vcc
	s_and_saveexec_b64 s[2:3], s[4:5]
	s_cbranch_execz .LBB755_18
; %bb.17:
	v_mul_f64 v[6:7], s[14:15], v[20:21]
	v_mul_f64 v[8:9], s[12:13], v[20:21]
	v_ashrrev_i32_e32 v1, 31, v0
	v_lshlrev_b64 v[0:1], 4, v[0:1]
	v_add_co_u32_e32 v0, vcc, v4, v0
	v_addc_co_u32_e32 v1, vcc, v5, v1, vcc
	v_fma_f64 v[6:7], s[12:13], v[16:17], -v[6:7]
	v_fma_f64 v[8:9], s[14:15], v[16:17], v[8:9]
	flat_store_dwordx4 v[0:1], v[6:9]
.LBB755_18:
	s_or_b64 exec, exec, s[2:3]
	v_cmp_le_i32_e32 vcc, v3, v2
	s_and_b64 s[0:1], vcc, s[0:1]
	s_and_saveexec_b64 s[2:3], s[0:1]
	s_cbranch_execz .LBB755_20
; %bb.19:
	v_mul_f64 v[0:1], s[14:15], v[22:23]
	v_mul_f64 v[8:9], s[12:13], v[22:23]
	v_ashrrev_i32_e32 v3, 31, v2
	v_fma_f64 v[6:7], s[12:13], v[24:25], -v[0:1]
	v_fma_f64 v[8:9], s[14:15], v[24:25], v[8:9]
	v_lshlrev_b64 v[0:1], 4, v[2:3]
	v_add_co_u32_e32 v0, vcc, v4, v0
	v_addc_co_u32_e32 v1, vcc, v5, v1, vcc
	flat_store_dwordx4 v[0:1], v[6:9]
.LBB755_20:
	s_endpgm
	.section	.rodata,"a",@progbits
	.p2align	6, 0x0
	.amdhsa_kernel _ZL34rocblas_syrkx_herkx_general_kernelIi19rocblas_complex_numIdELi16ELi32ELi8ELb1ELb0ELc84ELc76EKPKS1_KPS1_EviT_T0_PT8_S7_lSA_S7_lS8_PT9_S7_li
		.amdhsa_group_segment_fixed_size 8192
		.amdhsa_private_segment_fixed_size 0
		.amdhsa_kernarg_size 116
		.amdhsa_user_sgpr_count 6
		.amdhsa_user_sgpr_private_segment_buffer 1
		.amdhsa_user_sgpr_dispatch_ptr 0
		.amdhsa_user_sgpr_queue_ptr 0
		.amdhsa_user_sgpr_kernarg_segment_ptr 1
		.amdhsa_user_sgpr_dispatch_id 0
		.amdhsa_user_sgpr_flat_scratch_init 0
		.amdhsa_user_sgpr_private_segment_size 0
		.amdhsa_uses_dynamic_stack 0
		.amdhsa_system_sgpr_private_segment_wavefront_offset 0
		.amdhsa_system_sgpr_workgroup_id_x 1
		.amdhsa_system_sgpr_workgroup_id_y 1
		.amdhsa_system_sgpr_workgroup_id_z 1
		.amdhsa_system_sgpr_workgroup_info 0
		.amdhsa_system_vgpr_workitem_id 1
		.amdhsa_next_free_vgpr 56
		.amdhsa_next_free_sgpr 61
		.amdhsa_reserve_vcc 1
		.amdhsa_reserve_flat_scratch 0
		.amdhsa_float_round_mode_32 0
		.amdhsa_float_round_mode_16_64 0
		.amdhsa_float_denorm_mode_32 3
		.amdhsa_float_denorm_mode_16_64 3
		.amdhsa_dx10_clamp 1
		.amdhsa_ieee_mode 1
		.amdhsa_fp16_overflow 0
		.amdhsa_exception_fp_ieee_invalid_op 0
		.amdhsa_exception_fp_denorm_src 0
		.amdhsa_exception_fp_ieee_div_zero 0
		.amdhsa_exception_fp_ieee_overflow 0
		.amdhsa_exception_fp_ieee_underflow 0
		.amdhsa_exception_fp_ieee_inexact 0
		.amdhsa_exception_int_div_zero 0
	.end_amdhsa_kernel
	.section	.text._ZL34rocblas_syrkx_herkx_general_kernelIi19rocblas_complex_numIdELi16ELi32ELi8ELb1ELb0ELc84ELc76EKPKS1_KPS1_EviT_T0_PT8_S7_lSA_S7_lS8_PT9_S7_li,"axG",@progbits,_ZL34rocblas_syrkx_herkx_general_kernelIi19rocblas_complex_numIdELi16ELi32ELi8ELb1ELb0ELc84ELc76EKPKS1_KPS1_EviT_T0_PT8_S7_lSA_S7_lS8_PT9_S7_li,comdat
.Lfunc_end755:
	.size	_ZL34rocblas_syrkx_herkx_general_kernelIi19rocblas_complex_numIdELi16ELi32ELi8ELb1ELb0ELc84ELc76EKPKS1_KPS1_EviT_T0_PT8_S7_lSA_S7_lS8_PT9_S7_li, .Lfunc_end755-_ZL34rocblas_syrkx_herkx_general_kernelIi19rocblas_complex_numIdELi16ELi32ELi8ELb1ELb0ELc84ELc76EKPKS1_KPS1_EviT_T0_PT8_S7_lSA_S7_lS8_PT9_S7_li
                                        ; -- End function
	.set _ZL34rocblas_syrkx_herkx_general_kernelIi19rocblas_complex_numIdELi16ELi32ELi8ELb1ELb0ELc84ELc76EKPKS1_KPS1_EviT_T0_PT8_S7_lSA_S7_lS8_PT9_S7_li.num_vgpr, 56
	.set _ZL34rocblas_syrkx_herkx_general_kernelIi19rocblas_complex_numIdELi16ELi32ELi8ELb1ELb0ELc84ELc76EKPKS1_KPS1_EviT_T0_PT8_S7_lSA_S7_lS8_PT9_S7_li.num_agpr, 0
	.set _ZL34rocblas_syrkx_herkx_general_kernelIi19rocblas_complex_numIdELi16ELi32ELi8ELb1ELb0ELc84ELc76EKPKS1_KPS1_EviT_T0_PT8_S7_lSA_S7_lS8_PT9_S7_li.numbered_sgpr, 23
	.set _ZL34rocblas_syrkx_herkx_general_kernelIi19rocblas_complex_numIdELi16ELi32ELi8ELb1ELb0ELc84ELc76EKPKS1_KPS1_EviT_T0_PT8_S7_lSA_S7_lS8_PT9_S7_li.num_named_barrier, 0
	.set _ZL34rocblas_syrkx_herkx_general_kernelIi19rocblas_complex_numIdELi16ELi32ELi8ELb1ELb0ELc84ELc76EKPKS1_KPS1_EviT_T0_PT8_S7_lSA_S7_lS8_PT9_S7_li.private_seg_size, 0
	.set _ZL34rocblas_syrkx_herkx_general_kernelIi19rocblas_complex_numIdELi16ELi32ELi8ELb1ELb0ELc84ELc76EKPKS1_KPS1_EviT_T0_PT8_S7_lSA_S7_lS8_PT9_S7_li.uses_vcc, 1
	.set _ZL34rocblas_syrkx_herkx_general_kernelIi19rocblas_complex_numIdELi16ELi32ELi8ELb1ELb0ELc84ELc76EKPKS1_KPS1_EviT_T0_PT8_S7_lSA_S7_lS8_PT9_S7_li.uses_flat_scratch, 0
	.set _ZL34rocblas_syrkx_herkx_general_kernelIi19rocblas_complex_numIdELi16ELi32ELi8ELb1ELb0ELc84ELc76EKPKS1_KPS1_EviT_T0_PT8_S7_lSA_S7_lS8_PT9_S7_li.has_dyn_sized_stack, 0
	.set _ZL34rocblas_syrkx_herkx_general_kernelIi19rocblas_complex_numIdELi16ELi32ELi8ELb1ELb0ELc84ELc76EKPKS1_KPS1_EviT_T0_PT8_S7_lSA_S7_lS8_PT9_S7_li.has_recursion, 0
	.set _ZL34rocblas_syrkx_herkx_general_kernelIi19rocblas_complex_numIdELi16ELi32ELi8ELb1ELb0ELc84ELc76EKPKS1_KPS1_EviT_T0_PT8_S7_lSA_S7_lS8_PT9_S7_li.has_indirect_call, 0
	.section	.AMDGPU.csdata,"",@progbits
; Kernel info:
; codeLenInByte = 3028
; TotalNumSgprs: 27
; NumVgprs: 56
; ScratchSize: 0
; MemoryBound: 0
; FloatMode: 240
; IeeeMode: 1
; LDSByteSize: 8192 bytes/workgroup (compile time only)
; SGPRBlocks: 8
; VGPRBlocks: 13
; NumSGPRsForWavesPerEU: 65
; NumVGPRsForWavesPerEU: 56
; Occupancy: 4
; WaveLimiterHint : 1
; COMPUTE_PGM_RSRC2:SCRATCH_EN: 0
; COMPUTE_PGM_RSRC2:USER_SGPR: 6
; COMPUTE_PGM_RSRC2:TRAP_HANDLER: 0
; COMPUTE_PGM_RSRC2:TGID_X_EN: 1
; COMPUTE_PGM_RSRC2:TGID_Y_EN: 1
; COMPUTE_PGM_RSRC2:TGID_Z_EN: 1
; COMPUTE_PGM_RSRC2:TIDIG_COMP_CNT: 1
	.section	.text._ZL34rocblas_syrkx_herkx_general_kernelIi19rocblas_complex_numIdELi16ELi32ELi8ELb1ELb0ELc67ELc76EKPKS1_KPS1_EviT_T0_PT8_S7_lSA_S7_lS8_PT9_S7_li,"axG",@progbits,_ZL34rocblas_syrkx_herkx_general_kernelIi19rocblas_complex_numIdELi16ELi32ELi8ELb1ELb0ELc67ELc76EKPKS1_KPS1_EviT_T0_PT8_S7_lSA_S7_lS8_PT9_S7_li,comdat
	.globl	_ZL34rocblas_syrkx_herkx_general_kernelIi19rocblas_complex_numIdELi16ELi32ELi8ELb1ELb0ELc67ELc76EKPKS1_KPS1_EviT_T0_PT8_S7_lSA_S7_lS8_PT9_S7_li ; -- Begin function _ZL34rocblas_syrkx_herkx_general_kernelIi19rocblas_complex_numIdELi16ELi32ELi8ELb1ELb0ELc67ELc76EKPKS1_KPS1_EviT_T0_PT8_S7_lSA_S7_lS8_PT9_S7_li
	.p2align	8
	.type	_ZL34rocblas_syrkx_herkx_general_kernelIi19rocblas_complex_numIdELi16ELi32ELi8ELb1ELb0ELc67ELc76EKPKS1_KPS1_EviT_T0_PT8_S7_lSA_S7_lS8_PT9_S7_li,@function
_ZL34rocblas_syrkx_herkx_general_kernelIi19rocblas_complex_numIdELi16ELi32ELi8ELb1ELb0ELc67ELc76EKPKS1_KPS1_EviT_T0_PT8_S7_lSA_S7_lS8_PT9_S7_li: ; @_ZL34rocblas_syrkx_herkx_general_kernelIi19rocblas_complex_numIdELi16ELi32ELi8ELb1ELb0ELc67ELc76EKPKS1_KPS1_EviT_T0_PT8_S7_lSA_S7_lS8_PT9_S7_li
; %bb.0:
	s_load_dwordx2 s[0:1], s[4:5], 0x18
	s_load_dwordx2 s[10:11], s[4:5], 0x58
	;; [unrolled: 1-line block ×3, first 2 shown]
	s_load_dwordx4 s[12:15], s[4:5], 0x8
	s_mov_b32 s9, 0
	s_lshl_b64 s[2:3], s[8:9], 3
	s_waitcnt lgkmcnt(0)
	s_add_u32 s10, s10, s2
	s_addc_u32 s11, s11, s3
	s_load_dwordx2 s[10:11], s[10:11], 0x0
	s_lshl_b32 s8, s6, 5
	s_lshl_b32 s18, s7, 5
	s_cmp_lt_i32 s17, 1
	s_cbranch_scc1 .LBB756_9
; %bb.1:
	s_load_dword s19, s[4:5], 0x20
	s_load_dwordx2 s[6:7], s[4:5], 0x30
	s_load_dword s22, s[4:5], 0x38
	v_lshl_add_u32 v2, v1, 4, v0
	v_lshrrev_b32_e32 v28, 5, v2
	v_lshrrev_b32_e32 v3, 3, v2
	s_waitcnt lgkmcnt(0)
	s_add_u32 s6, s6, s2
	s_addc_u32 s7, s7, s3
	v_and_b32_e32 v2, 31, v2
	s_add_u32 s0, s0, s2
	v_or_b32_e32 v5, s8, v2
	s_addc_u32 s1, s1, s3
	v_and_b32_e32 v27, 7, v0
	s_load_dwordx2 s[20:21], s[0:1], 0x0
	v_cmp_gt_i32_e64 s[0:1], s16, v5
	v_lshlrev_b32_e32 v5, 4, v2
	v_lshl_or_b32 v29, v28, 9, v5
	v_lshlrev_b32_e32 v5, 4, v27
	v_add_u32_e32 v4, s18, v3
	v_lshl_or_b32 v3, v3, 7, v5
	v_add_u32_e32 v2, s8, v2
	v_add_u32_e32 v30, 0x1000, v3
	v_mad_i64_i32 v[2:3], s[2:3], s19, v2, 0
	v_mov_b32_e32 v6, 0x1000
	v_lshl_add_u32 v32, v1, 7, v6
	v_lshlrev_b64 v[2:3], 4, v[2:3]
	v_lshlrev_b32_e32 v6, 4, v28
	v_add_co_u32_e64 v6, s[2:3], v2, v6
	v_addc_co_u32_e64 v8, s[2:3], 0, v3, s[2:3]
	v_mad_i64_i32 v[2:3], s[2:3], s22, v4, 0
	s_load_dwordx2 s[6:7], s[6:7], 0x0
	s_waitcnt lgkmcnt(0)
	v_mov_b32_e32 v9, s21
	v_add_co_u32_e64 v7, s[2:3], s20, v6
	v_lshlrev_b64 v[2:3], 4, v[2:3]
	v_addc_co_u32_e64 v8, s[2:3], v9, v8, s[2:3]
	v_add_co_u32_e64 v2, s[2:3], v2, v5
	v_addc_co_u32_e64 v3, s[2:3], 0, v3, s[2:3]
	v_cmp_gt_i32_e32 vcc, s16, v4
	v_mov_b32_e32 v4, s7
	v_add_co_u32_e64 v9, s[2:3], s6, v2
	v_addc_co_u32_e64 v10, s[2:3], v4, v3, s[2:3]
	v_mov_b32_e32 v23, 0
	v_mov_b32_e32 v25, 0
	;; [unrolled: 1-line block ×8, first 2 shown]
	v_lshlrev_b32_e32 v31, 4, v0
	v_mov_b32_e32 v24, 0
	s_xor_b64 s[2:3], vcc, -1
	v_mov_b32_e32 v26, 0
	v_mov_b32_e32 v22, 0
	;; [unrolled: 1-line block ×8, first 2 shown]
	s_branch .LBB756_3
.LBB756_2:                              ;   in Loop: Header=BB756_3 Depth=1
	s_or_b64 exec, exec, s[6:7]
	s_waitcnt lgkmcnt(0)
	s_barrier
	ds_read_b128 v[3:6], v32
	ds_read_b128 v[33:36], v32 offset:16
	ds_read_b128 v[37:40], v32 offset:32
	;; [unrolled: 1-line block ×3, first 2 shown]
	ds_read_b128 v[45:48], v31
	v_add_co_u32_e32 v7, vcc, 0x80, v7
	v_addc_co_u32_e32 v8, vcc, 0, v8, vcc
	s_waitcnt lgkmcnt(0)
	v_mul_f64 v[49:50], v[5:6], v[47:48]
	v_mul_f64 v[51:52], v[3:4], v[47:48]
	s_add_i32 s9, s9, 8
	v_add_co_u32_e32 v9, vcc, 0x80, v9
	v_addc_co_u32_e32 v10, vcc, 0, v10, vcc
	s_cmp_ge_i32 s9, s17
	v_fma_f64 v[49:50], v[3:4], v[45:46], -v[49:50]
	v_fma_f64 v[51:52], v[5:6], v[45:46], v[51:52]
	v_add_f64 v[15:16], v[15:16], v[49:50]
	v_add_f64 v[19:20], v[51:52], v[19:20]
	ds_read_b128 v[49:52], v31 offset:256
	s_waitcnt lgkmcnt(0)
	v_mul_f64 v[53:54], v[5:6], v[51:52]
	v_fma_f64 v[53:54], v[3:4], v[49:50], -v[53:54]
	v_mul_f64 v[3:4], v[3:4], v[51:52]
	v_add_f64 v[53:54], v[11:12], v[53:54]
	v_fma_f64 v[3:4], v[5:6], v[49:50], v[3:4]
	v_add_f64 v[55:56], v[3:4], v[13:14]
	ds_read_b128 v[3:6], v32 offset:2048
	s_waitcnt lgkmcnt(0)
	v_mul_f64 v[11:12], v[5:6], v[47:48]
	v_mul_f64 v[13:14], v[3:4], v[47:48]
	v_fma_f64 v[11:12], v[3:4], v[45:46], -v[11:12]
	v_fma_f64 v[13:14], v[5:6], v[45:46], v[13:14]
	v_add_f64 v[45:46], v[17:18], v[11:12]
	v_mul_f64 v[11:12], v[5:6], v[51:52]
	v_add_f64 v[21:22], v[13:14], v[21:22]
	v_fma_f64 v[11:12], v[3:4], v[49:50], -v[11:12]
	v_mul_f64 v[3:4], v[3:4], v[51:52]
	v_add_f64 v[25:26], v[25:26], v[11:12]
	v_fma_f64 v[3:4], v[5:6], v[49:50], v[3:4]
	v_add_f64 v[23:24], v[3:4], v[23:24]
	ds_read_b128 v[3:6], v31 offset:512
	s_waitcnt lgkmcnt(0)
	v_mul_f64 v[11:12], v[35:36], v[5:6]
	v_mul_f64 v[13:14], v[33:34], v[5:6]
	v_fma_f64 v[11:12], v[33:34], v[3:4], -v[11:12]
	v_fma_f64 v[13:14], v[35:36], v[3:4], v[13:14]
	v_add_f64 v[47:48], v[15:16], v[11:12]
	v_add_f64 v[19:20], v[13:14], v[19:20]
	ds_read_b128 v[11:14], v31 offset:768
	s_waitcnt lgkmcnt(0)
	v_mul_f64 v[15:16], v[35:36], v[13:14]
	v_mul_f64 v[17:18], v[33:34], v[13:14]
	v_fma_f64 v[15:16], v[33:34], v[11:12], -v[15:16]
	v_fma_f64 v[17:18], v[35:36], v[11:12], v[17:18]
	v_add_f64 v[33:34], v[53:54], v[15:16]
	v_add_f64 v[35:36], v[17:18], v[55:56]
	ds_read_b128 v[15:18], v32 offset:2064
	s_waitcnt lgkmcnt(0)
	v_mul_f64 v[49:50], v[17:18], v[5:6]
	v_mul_f64 v[5:6], v[15:16], v[5:6]
	v_fma_f64 v[49:50], v[15:16], v[3:4], -v[49:50]
	v_fma_f64 v[3:4], v[17:18], v[3:4], v[5:6]
	v_mul_f64 v[5:6], v[15:16], v[13:14]
	v_add_f64 v[45:46], v[45:46], v[49:50]
	v_add_f64 v[21:22], v[3:4], v[21:22]
	v_mul_f64 v[3:4], v[17:18], v[13:14]
	v_fma_f64 v[5:6], v[17:18], v[11:12], v[5:6]
	v_fma_f64 v[3:4], v[15:16], v[11:12], -v[3:4]
	v_add_f64 v[23:24], v[5:6], v[23:24]
	v_add_f64 v[25:26], v[25:26], v[3:4]
	ds_read_b128 v[3:6], v31 offset:1024
	s_waitcnt lgkmcnt(0)
	v_mul_f64 v[11:12], v[39:40], v[5:6]
	v_mul_f64 v[13:14], v[37:38], v[5:6]
	v_fma_f64 v[11:12], v[37:38], v[3:4], -v[11:12]
	v_fma_f64 v[13:14], v[39:40], v[3:4], v[13:14]
	v_add_f64 v[47:48], v[47:48], v[11:12]
	v_add_f64 v[19:20], v[13:14], v[19:20]
	ds_read_b128 v[11:14], v31 offset:1280
	s_waitcnt lgkmcnt(0)
	v_mul_f64 v[15:16], v[39:40], v[13:14]
	v_mul_f64 v[17:18], v[37:38], v[13:14]
	v_fma_f64 v[15:16], v[37:38], v[11:12], -v[15:16]
	v_fma_f64 v[17:18], v[39:40], v[11:12], v[17:18]
	v_add_f64 v[33:34], v[33:34], v[15:16]
	v_add_f64 v[35:36], v[17:18], v[35:36]
	ds_read_b128 v[15:18], v32 offset:2080
	s_waitcnt lgkmcnt(0)
	v_mul_f64 v[37:38], v[17:18], v[5:6]
	v_mul_f64 v[5:6], v[15:16], v[5:6]
	v_fma_f64 v[37:38], v[15:16], v[3:4], -v[37:38]
	v_fma_f64 v[3:4], v[17:18], v[3:4], v[5:6]
	v_mul_f64 v[5:6], v[15:16], v[13:14]
	v_add_f64 v[37:38], v[45:46], v[37:38]
	v_add_f64 v[21:22], v[3:4], v[21:22]
	v_mul_f64 v[3:4], v[17:18], v[13:14]
	v_fma_f64 v[5:6], v[17:18], v[11:12], v[5:6]
	v_fma_f64 v[3:4], v[15:16], v[11:12], -v[3:4]
	v_add_f64 v[23:24], v[5:6], v[23:24]
	;; [unrolled: 30-line block ×3, first 2 shown]
	v_add_f64 v[25:26], v[25:26], v[3:4]
	ds_read_b128 v[3:6], v32 offset:64
	ds_read_b128 v[11:14], v31 offset:2048
	s_waitcnt lgkmcnt(0)
	v_mul_f64 v[15:16], v[5:6], v[13:14]
	v_mul_f64 v[17:18], v[3:4], v[13:14]
	v_fma_f64 v[15:16], v[3:4], v[11:12], -v[15:16]
	v_fma_f64 v[17:18], v[5:6], v[11:12], v[17:18]
	v_add_f64 v[39:40], v[39:40], v[15:16]
	v_add_f64 v[19:20], v[17:18], v[19:20]
	ds_read_b128 v[15:18], v31 offset:2304
	s_waitcnt lgkmcnt(0)
	v_mul_f64 v[41:42], v[5:6], v[17:18]
	v_fma_f64 v[41:42], v[3:4], v[15:16], -v[41:42]
	v_mul_f64 v[3:4], v[3:4], v[17:18]
	v_add_f64 v[33:34], v[33:34], v[41:42]
	v_fma_f64 v[3:4], v[5:6], v[15:16], v[3:4]
	v_add_f64 v[35:36], v[3:4], v[35:36]
	ds_read_b128 v[3:6], v32 offset:2112
	s_waitcnt lgkmcnt(0)
	v_mul_f64 v[41:42], v[5:6], v[13:14]
	v_mul_f64 v[13:14], v[3:4], v[13:14]
	v_fma_f64 v[41:42], v[3:4], v[11:12], -v[41:42]
	v_fma_f64 v[11:12], v[5:6], v[11:12], v[13:14]
	v_add_f64 v[37:38], v[37:38], v[41:42]
	v_add_f64 v[21:22], v[11:12], v[21:22]
	v_mul_f64 v[11:12], v[5:6], v[17:18]
	v_fma_f64 v[11:12], v[3:4], v[15:16], -v[11:12]
	v_mul_f64 v[3:4], v[3:4], v[17:18]
	v_add_f64 v[25:26], v[25:26], v[11:12]
	v_fma_f64 v[3:4], v[5:6], v[15:16], v[3:4]
	v_add_f64 v[23:24], v[3:4], v[23:24]
	ds_read_b128 v[3:6], v32 offset:80
	ds_read_b128 v[11:14], v31 offset:2560
	s_waitcnt lgkmcnt(0)
	v_mul_f64 v[15:16], v[5:6], v[13:14]
	v_mul_f64 v[17:18], v[3:4], v[13:14]
	v_fma_f64 v[15:16], v[3:4], v[11:12], -v[15:16]
	v_fma_f64 v[17:18], v[5:6], v[11:12], v[17:18]
	v_add_f64 v[39:40], v[39:40], v[15:16]
	v_add_f64 v[19:20], v[17:18], v[19:20]
	ds_read_b128 v[15:18], v31 offset:2816
	s_waitcnt lgkmcnt(0)
	v_mul_f64 v[41:42], v[5:6], v[17:18]
	v_fma_f64 v[41:42], v[3:4], v[15:16], -v[41:42]
	v_mul_f64 v[3:4], v[3:4], v[17:18]
	v_add_f64 v[33:34], v[33:34], v[41:42]
	v_fma_f64 v[3:4], v[5:6], v[15:16], v[3:4]
	v_add_f64 v[35:36], v[3:4], v[35:36]
	ds_read_b128 v[3:6], v32 offset:2128
	s_waitcnt lgkmcnt(0)
	v_mul_f64 v[41:42], v[5:6], v[13:14]
	v_mul_f64 v[13:14], v[3:4], v[13:14]
	v_fma_f64 v[41:42], v[3:4], v[11:12], -v[41:42]
	v_fma_f64 v[11:12], v[5:6], v[11:12], v[13:14]
	v_add_f64 v[37:38], v[37:38], v[41:42]
	v_add_f64 v[21:22], v[11:12], v[21:22]
	v_mul_f64 v[11:12], v[5:6], v[17:18]
	v_fma_f64 v[11:12], v[3:4], v[15:16], -v[11:12]
	v_mul_f64 v[3:4], v[3:4], v[17:18]
	v_add_f64 v[25:26], v[25:26], v[11:12]
	v_fma_f64 v[3:4], v[5:6], v[15:16], v[3:4]
	;; [unrolled: 31-line block ×3, first 2 shown]
	v_add_f64 v[47:48], v[3:4], v[23:24]
	ds_read_b128 v[3:6], v32 offset:112
	ds_read_b128 v[21:24], v31 offset:3584
	;; [unrolled: 1-line block ×3, first 2 shown]
	s_waitcnt lgkmcnt(1)
	v_mul_f64 v[11:12], v[5:6], v[23:24]
	v_mul_f64 v[13:14], v[3:4], v[23:24]
	v_fma_f64 v[11:12], v[3:4], v[21:22], -v[11:12]
	v_fma_f64 v[13:14], v[5:6], v[21:22], v[13:14]
	v_add_f64 v[15:16], v[39:40], v[11:12]
	s_waitcnt lgkmcnt(0)
	v_mul_f64 v[11:12], v[5:6], v[35:36]
	v_add_f64 v[19:20], v[13:14], v[19:20]
	v_fma_f64 v[11:12], v[3:4], v[33:34], -v[11:12]
	v_mul_f64 v[3:4], v[3:4], v[35:36]
	v_add_f64 v[11:12], v[41:42], v[11:12]
	v_fma_f64 v[3:4], v[5:6], v[33:34], v[3:4]
	v_add_f64 v[13:14], v[3:4], v[43:44]
	ds_read_b128 v[3:6], v32 offset:2160
	s_waitcnt lgkmcnt(0)
	s_barrier
	v_mul_f64 v[17:18], v[5:6], v[23:24]
	v_mul_f64 v[23:24], v[3:4], v[23:24]
	v_fma_f64 v[17:18], v[3:4], v[21:22], -v[17:18]
	v_fma_f64 v[21:22], v[5:6], v[21:22], v[23:24]
	v_mul_f64 v[23:24], v[5:6], v[35:36]
	v_add_f64 v[17:18], v[37:38], v[17:18]
	v_add_f64 v[21:22], v[21:22], v[45:46]
	v_fma_f64 v[23:24], v[3:4], v[33:34], -v[23:24]
	v_mul_f64 v[3:4], v[3:4], v[35:36]
	v_add_f64 v[25:26], v[25:26], v[23:24]
	v_fma_f64 v[3:4], v[5:6], v[33:34], v[3:4]
	v_add_f64 v[23:24], v[3:4], v[47:48]
	s_cbranch_scc1 .LBB756_10
.LBB756_3:                              ; =>This Inner Loop Header: Depth=1
	v_add_u32_e32 v3, s9, v28
	v_cmp_gt_i32_e32 vcc, s17, v3
	v_mov_b32_e32 v3, 0
	v_mov_b32_e32 v5, 0
	;; [unrolled: 1-line block ×4, first 2 shown]
	s_and_b64 s[20:21], s[0:1], vcc
	s_and_saveexec_b64 s[6:7], s[20:21]
	s_cbranch_execz .LBB756_5
; %bb.4:                                ;   in Loop: Header=BB756_3 Depth=1
	flat_load_dwordx4 v[3:6], v[7:8]
.LBB756_5:                              ;   in Loop: Header=BB756_3 Depth=1
	s_or_b64 exec, exec, s[6:7]
	s_waitcnt vmcnt(0) lgkmcnt(0)
	ds_write_b128 v29, v[3:6]
	v_add_u32_e32 v3, s9, v27
	v_cmp_le_i32_e32 vcc, s17, v3
	s_or_b64 s[6:7], vcc, s[2:3]
	s_and_saveexec_b64 s[20:21], s[6:7]
	s_xor_b64 s[6:7], exec, s[20:21]
; %bb.6:                                ;   in Loop: Header=BB756_3 Depth=1
	v_mov_b32_e32 v3, v2
	v_mov_b32_e32 v4, v2
	;; [unrolled: 1-line block ×3, first 2 shown]
	ds_write_b128 v30, v[2:5]
; %bb.7:                                ;   in Loop: Header=BB756_3 Depth=1
	s_andn2_saveexec_b64 s[6:7], s[6:7]
	s_cbranch_execz .LBB756_2
; %bb.8:                                ;   in Loop: Header=BB756_3 Depth=1
	flat_load_dwordx4 v[3:6], v[9:10]
	s_waitcnt vmcnt(0) lgkmcnt(0)
	ds_write2_b64 v30, v[3:4], v[5:6] offset1:1
	s_branch .LBB756_2
.LBB756_9:
	v_mov_b32_e32 v15, 0
	v_mov_b32_e32 v19, 0
	;; [unrolled: 1-line block ×16, first 2 shown]
.LBB756_10:
	s_load_dword s6, s[4:5], 0x60
	v_add_u32_e32 v4, s18, v1
	s_waitcnt lgkmcnt(0)
	v_mov_b32_e32 v3, s11
	v_add_u32_e32 v0, s8, v0
	v_mad_i64_i32 v[1:2], s[0:1], v4, s6, 0
	v_cmp_le_i32_e64 s[0:1], v4, v0
	v_lshlrev_b64 v[1:2], 4, v[1:2]
	v_add_co_u32_e32 v5, vcc, s10, v1
	v_addc_co_u32_e32 v6, vcc, v3, v2, vcc
	v_cmp_gt_i32_e32 vcc, s16, v0
	s_and_b64 s[0:1], s[0:1], vcc
	s_and_saveexec_b64 s[2:3], s[0:1]
	s_cbranch_execz .LBB756_12
; %bb.11:
	v_mul_f64 v[1:2], s[14:15], v[19:20]
	v_mul_f64 v[9:10], s[12:13], v[19:20]
	v_fma_f64 v[7:8], s[12:13], v[15:16], -v[1:2]
	v_fma_f64 v[9:10], s[14:15], v[15:16], v[9:10]
	v_ashrrev_i32_e32 v1, 31, v0
	v_lshlrev_b64 v[1:2], 4, v[0:1]
	v_add_co_u32_e64 v1, s[0:1], v5, v1
	v_addc_co_u32_e64 v2, s[0:1], v6, v2, s[0:1]
	flat_store_dwordx4 v[1:2], v[7:10]
.LBB756_12:
	s_or_b64 exec, exec, s[2:3]
	v_add_u32_e32 v2, 16, v0
	v_cmp_le_i32_e64 s[2:3], v4, v2
	v_cmp_gt_i32_e64 s[0:1], s16, v2
	s_and_b64 s[2:3], s[2:3], s[0:1]
	s_and_saveexec_b64 s[4:5], s[2:3]
	s_cbranch_execz .LBB756_14
; %bb.13:
	v_mul_f64 v[7:8], s[14:15], v[13:14]
	v_mul_f64 v[9:10], s[12:13], v[13:14]
	v_ashrrev_i32_e32 v3, 31, v2
	v_fma_f64 v[7:8], s[12:13], v[11:12], -v[7:8]
	v_fma_f64 v[9:10], s[14:15], v[11:12], v[9:10]
	v_lshlrev_b64 v[11:12], 4, v[2:3]
	v_add_co_u32_e64 v5, s[2:3], v5, v11
	v_addc_co_u32_e64 v6, s[2:3], v6, v12, s[2:3]
	flat_store_dwordx4 v[5:6], v[7:10]
.LBB756_14:
	s_or_b64 exec, exec, s[4:5]
	v_add_u32_e32 v3, 16, v4
	v_mad_i64_i32 v[4:5], s[2:3], v3, s6, 0
	v_mov_b32_e32 v1, s11
	v_lshlrev_b64 v[4:5], 4, v[4:5]
	v_add_co_u32_e64 v4, s[2:3], s10, v4
	v_addc_co_u32_e64 v5, s[2:3], v1, v5, s[2:3]
	v_cmp_le_i32_e64 s[2:3], v3, v0
	s_and_b64 s[4:5], s[2:3], vcc
	s_and_saveexec_b64 s[2:3], s[4:5]
	s_cbranch_execz .LBB756_16
; %bb.15:
	v_mul_f64 v[6:7], s[14:15], v[21:22]
	v_mul_f64 v[8:9], s[12:13], v[21:22]
	v_ashrrev_i32_e32 v1, 31, v0
	v_lshlrev_b64 v[0:1], 4, v[0:1]
	v_add_co_u32_e32 v0, vcc, v4, v0
	v_addc_co_u32_e32 v1, vcc, v5, v1, vcc
	v_fma_f64 v[6:7], s[12:13], v[17:18], -v[6:7]
	v_fma_f64 v[8:9], s[14:15], v[17:18], v[8:9]
	flat_store_dwordx4 v[0:1], v[6:9]
.LBB756_16:
	s_or_b64 exec, exec, s[2:3]
	v_cmp_le_i32_e32 vcc, v3, v2
	s_and_b64 s[0:1], vcc, s[0:1]
	s_and_saveexec_b64 s[2:3], s[0:1]
	s_cbranch_execz .LBB756_18
; %bb.17:
	v_mul_f64 v[0:1], s[14:15], v[23:24]
	v_mul_f64 v[8:9], s[12:13], v[23:24]
	v_ashrrev_i32_e32 v3, 31, v2
	v_fma_f64 v[6:7], s[12:13], v[25:26], -v[0:1]
	v_fma_f64 v[8:9], s[14:15], v[25:26], v[8:9]
	v_lshlrev_b64 v[0:1], 4, v[2:3]
	v_add_co_u32_e32 v0, vcc, v4, v0
	v_addc_co_u32_e32 v1, vcc, v5, v1, vcc
	flat_store_dwordx4 v[0:1], v[6:9]
.LBB756_18:
	s_endpgm
	.section	.rodata,"a",@progbits
	.p2align	6, 0x0
	.amdhsa_kernel _ZL34rocblas_syrkx_herkx_general_kernelIi19rocblas_complex_numIdELi16ELi32ELi8ELb1ELb0ELc67ELc76EKPKS1_KPS1_EviT_T0_PT8_S7_lSA_S7_lS8_PT9_S7_li
		.amdhsa_group_segment_fixed_size 8192
		.amdhsa_private_segment_fixed_size 0
		.amdhsa_kernarg_size 116
		.amdhsa_user_sgpr_count 6
		.amdhsa_user_sgpr_private_segment_buffer 1
		.amdhsa_user_sgpr_dispatch_ptr 0
		.amdhsa_user_sgpr_queue_ptr 0
		.amdhsa_user_sgpr_kernarg_segment_ptr 1
		.amdhsa_user_sgpr_dispatch_id 0
		.amdhsa_user_sgpr_flat_scratch_init 0
		.amdhsa_user_sgpr_private_segment_size 0
		.amdhsa_uses_dynamic_stack 0
		.amdhsa_system_sgpr_private_segment_wavefront_offset 0
		.amdhsa_system_sgpr_workgroup_id_x 1
		.amdhsa_system_sgpr_workgroup_id_y 1
		.amdhsa_system_sgpr_workgroup_id_z 1
		.amdhsa_system_sgpr_workgroup_info 0
		.amdhsa_system_vgpr_workitem_id 1
		.amdhsa_next_free_vgpr 57
		.amdhsa_next_free_sgpr 61
		.amdhsa_reserve_vcc 1
		.amdhsa_reserve_flat_scratch 0
		.amdhsa_float_round_mode_32 0
		.amdhsa_float_round_mode_16_64 0
		.amdhsa_float_denorm_mode_32 3
		.amdhsa_float_denorm_mode_16_64 3
		.amdhsa_dx10_clamp 1
		.amdhsa_ieee_mode 1
		.amdhsa_fp16_overflow 0
		.amdhsa_exception_fp_ieee_invalid_op 0
		.amdhsa_exception_fp_denorm_src 0
		.amdhsa_exception_fp_ieee_div_zero 0
		.amdhsa_exception_fp_ieee_overflow 0
		.amdhsa_exception_fp_ieee_underflow 0
		.amdhsa_exception_fp_ieee_inexact 0
		.amdhsa_exception_int_div_zero 0
	.end_amdhsa_kernel
	.section	.text._ZL34rocblas_syrkx_herkx_general_kernelIi19rocblas_complex_numIdELi16ELi32ELi8ELb1ELb0ELc67ELc76EKPKS1_KPS1_EviT_T0_PT8_S7_lSA_S7_lS8_PT9_S7_li,"axG",@progbits,_ZL34rocblas_syrkx_herkx_general_kernelIi19rocblas_complex_numIdELi16ELi32ELi8ELb1ELb0ELc67ELc76EKPKS1_KPS1_EviT_T0_PT8_S7_lSA_S7_lS8_PT9_S7_li,comdat
.Lfunc_end756:
	.size	_ZL34rocblas_syrkx_herkx_general_kernelIi19rocblas_complex_numIdELi16ELi32ELi8ELb1ELb0ELc67ELc76EKPKS1_KPS1_EviT_T0_PT8_S7_lSA_S7_lS8_PT9_S7_li, .Lfunc_end756-_ZL34rocblas_syrkx_herkx_general_kernelIi19rocblas_complex_numIdELi16ELi32ELi8ELb1ELb0ELc67ELc76EKPKS1_KPS1_EviT_T0_PT8_S7_lSA_S7_lS8_PT9_S7_li
                                        ; -- End function
	.set _ZL34rocblas_syrkx_herkx_general_kernelIi19rocblas_complex_numIdELi16ELi32ELi8ELb1ELb0ELc67ELc76EKPKS1_KPS1_EviT_T0_PT8_S7_lSA_S7_lS8_PT9_S7_li.num_vgpr, 57
	.set _ZL34rocblas_syrkx_herkx_general_kernelIi19rocblas_complex_numIdELi16ELi32ELi8ELb1ELb0ELc67ELc76EKPKS1_KPS1_EviT_T0_PT8_S7_lSA_S7_lS8_PT9_S7_li.num_agpr, 0
	.set _ZL34rocblas_syrkx_herkx_general_kernelIi19rocblas_complex_numIdELi16ELi32ELi8ELb1ELb0ELc67ELc76EKPKS1_KPS1_EviT_T0_PT8_S7_lSA_S7_lS8_PT9_S7_li.numbered_sgpr, 23
	.set _ZL34rocblas_syrkx_herkx_general_kernelIi19rocblas_complex_numIdELi16ELi32ELi8ELb1ELb0ELc67ELc76EKPKS1_KPS1_EviT_T0_PT8_S7_lSA_S7_lS8_PT9_S7_li.num_named_barrier, 0
	.set _ZL34rocblas_syrkx_herkx_general_kernelIi19rocblas_complex_numIdELi16ELi32ELi8ELb1ELb0ELc67ELc76EKPKS1_KPS1_EviT_T0_PT8_S7_lSA_S7_lS8_PT9_S7_li.private_seg_size, 0
	.set _ZL34rocblas_syrkx_herkx_general_kernelIi19rocblas_complex_numIdELi16ELi32ELi8ELb1ELb0ELc67ELc76EKPKS1_KPS1_EviT_T0_PT8_S7_lSA_S7_lS8_PT9_S7_li.uses_vcc, 1
	.set _ZL34rocblas_syrkx_herkx_general_kernelIi19rocblas_complex_numIdELi16ELi32ELi8ELb1ELb0ELc67ELc76EKPKS1_KPS1_EviT_T0_PT8_S7_lSA_S7_lS8_PT9_S7_li.uses_flat_scratch, 0
	.set _ZL34rocblas_syrkx_herkx_general_kernelIi19rocblas_complex_numIdELi16ELi32ELi8ELb1ELb0ELc67ELc76EKPKS1_KPS1_EviT_T0_PT8_S7_lSA_S7_lS8_PT9_S7_li.has_dyn_sized_stack, 0
	.set _ZL34rocblas_syrkx_herkx_general_kernelIi19rocblas_complex_numIdELi16ELi32ELi8ELb1ELb0ELc67ELc76EKPKS1_KPS1_EviT_T0_PT8_S7_lSA_S7_lS8_PT9_S7_li.has_recursion, 0
	.set _ZL34rocblas_syrkx_herkx_general_kernelIi19rocblas_complex_numIdELi16ELi32ELi8ELb1ELb0ELc67ELc76EKPKS1_KPS1_EviT_T0_PT8_S7_lSA_S7_lS8_PT9_S7_li.has_indirect_call, 0
	.section	.AMDGPU.csdata,"",@progbits
; Kernel info:
; codeLenInByte = 3012
; TotalNumSgprs: 27
; NumVgprs: 57
; ScratchSize: 0
; MemoryBound: 1
; FloatMode: 240
; IeeeMode: 1
; LDSByteSize: 8192 bytes/workgroup (compile time only)
; SGPRBlocks: 8
; VGPRBlocks: 14
; NumSGPRsForWavesPerEU: 65
; NumVGPRsForWavesPerEU: 57
; Occupancy: 4
; WaveLimiterHint : 1
; COMPUTE_PGM_RSRC2:SCRATCH_EN: 0
; COMPUTE_PGM_RSRC2:USER_SGPR: 6
; COMPUTE_PGM_RSRC2:TRAP_HANDLER: 0
; COMPUTE_PGM_RSRC2:TGID_X_EN: 1
; COMPUTE_PGM_RSRC2:TGID_Y_EN: 1
; COMPUTE_PGM_RSRC2:TGID_Z_EN: 1
; COMPUTE_PGM_RSRC2:TIDIG_COMP_CNT: 1
	.section	.text._ZL34rocblas_syrkx_herkx_general_kernelIi19rocblas_complex_numIdELi16ELi32ELi8ELb1ELb0ELc78ELc76EKPKS1_KPS1_EviT_T0_PT8_S7_lSA_S7_lS8_PT9_S7_li,"axG",@progbits,_ZL34rocblas_syrkx_herkx_general_kernelIi19rocblas_complex_numIdELi16ELi32ELi8ELb1ELb0ELc78ELc76EKPKS1_KPS1_EviT_T0_PT8_S7_lSA_S7_lS8_PT9_S7_li,comdat
	.globl	_ZL34rocblas_syrkx_herkx_general_kernelIi19rocblas_complex_numIdELi16ELi32ELi8ELb1ELb0ELc78ELc76EKPKS1_KPS1_EviT_T0_PT8_S7_lSA_S7_lS8_PT9_S7_li ; -- Begin function _ZL34rocblas_syrkx_herkx_general_kernelIi19rocblas_complex_numIdELi16ELi32ELi8ELb1ELb0ELc78ELc76EKPKS1_KPS1_EviT_T0_PT8_S7_lSA_S7_lS8_PT9_S7_li
	.p2align	8
	.type	_ZL34rocblas_syrkx_herkx_general_kernelIi19rocblas_complex_numIdELi16ELi32ELi8ELb1ELb0ELc78ELc76EKPKS1_KPS1_EviT_T0_PT8_S7_lSA_S7_lS8_PT9_S7_li,@function
_ZL34rocblas_syrkx_herkx_general_kernelIi19rocblas_complex_numIdELi16ELi32ELi8ELb1ELb0ELc78ELc76EKPKS1_KPS1_EviT_T0_PT8_S7_lSA_S7_lS8_PT9_S7_li: ; @_ZL34rocblas_syrkx_herkx_general_kernelIi19rocblas_complex_numIdELi16ELi32ELi8ELb1ELb0ELc78ELc76EKPKS1_KPS1_EviT_T0_PT8_S7_lSA_S7_lS8_PT9_S7_li
; %bb.0:
	s_load_dwordx2 s[0:1], s[4:5], 0x18
	s_load_dwordx2 s[10:11], s[4:5], 0x58
	;; [unrolled: 1-line block ×3, first 2 shown]
	s_load_dwordx4 s[12:15], s[4:5], 0x8
	s_mov_b32 s9, 0
	s_lshl_b64 s[2:3], s[8:9], 3
	s_waitcnt lgkmcnt(0)
	s_add_u32 s10, s10, s2
	s_addc_u32 s11, s11, s3
	s_load_dwordx2 s[10:11], s[10:11], 0x0
	s_lshl_b32 s8, s6, 5
	s_lshl_b32 s20, s7, 5
	s_cmp_lt_i32 s17, 1
	s_cbranch_scc1 .LBB757_9
; %bb.1:
	s_load_dword s6, s[4:5], 0x20
	s_load_dword s18, s[4:5], 0x38
	s_load_dwordx2 s[22:23], s[4:5], 0x30
	v_lshl_add_u32 v3, v1, 4, v0
	v_and_b32_e32 v6, 31, v3
	s_waitcnt lgkmcnt(0)
	s_ashr_i32 s7, s6, 31
	s_ashr_i32 s19, s18, 31
	s_add_u32 s22, s22, s2
	s_addc_u32 s23, s23, s3
	s_add_u32 s0, s0, s2
	v_lshrrev_b32_e32 v28, 5, v3
	v_lshrrev_b32_e32 v4, 3, v3
	v_or_b32_e32 v3, s8, v6
	s_addc_u32 s1, s1, s3
	v_and_b32_e32 v27, 7, v0
	s_load_dwordx2 s[24:25], s[0:1], 0x0
	v_cmp_gt_i32_e64 s[0:1], s16, v3
	v_lshlrev_b32_e32 v3, 4, v6
	v_lshl_or_b32 v29, v28, 9, v3
	v_lshlrev_b32_e32 v3, 4, v27
	v_add_u32_e32 v2, s20, v4
	v_lshl_or_b32 v3, v4, 7, v3
	v_mad_i64_i32 v[4:5], s[2:3], v28, s6, 0
	v_mov_b32_e32 v7, 0x1000
	v_add_u32_e32 v6, s8, v6
	v_lshl_add_u32 v32, v1, 7, v7
	v_ashrrev_i32_e32 v7, 31, v6
	v_lshlrev_b64 v[4:5], 4, v[4:5]
	v_lshlrev_b64 v[6:7], 4, v[6:7]
	s_load_dwordx2 s[22:23], s[22:23], 0x0
	v_add_co_u32_e64 v6, s[2:3], v4, v6
	v_addc_co_u32_e64 v8, s[2:3], v5, v7, s[2:3]
	v_mad_i64_i32 v[4:5], s[2:3], s18, v27, 0
	v_add_u32_e32 v30, 0x1000, v3
	v_ashrrev_i32_e32 v3, 31, v2
	v_cmp_gt_i32_e32 vcc, s16, v2
	s_waitcnt lgkmcnt(0)
	v_mov_b32_e32 v9, s25
	v_add_co_u32_e64 v7, s[2:3], s24, v6
	v_lshlrev_b64 v[4:5], 4, v[4:5]
	v_lshlrev_b64 v[2:3], 4, v[2:3]
	v_addc_co_u32_e64 v8, s[2:3], v9, v8, s[2:3]
	v_add_co_u32_e64 v2, s[2:3], v4, v2
	v_addc_co_u32_e64 v3, s[2:3], v5, v3, s[2:3]
	v_mov_b32_e32 v4, s23
	v_add_co_u32_e64 v9, s[2:3], s22, v2
	v_addc_co_u32_e64 v10, s[2:3], v4, v3, s[2:3]
	s_lshl_b64 s[6:7], s[6:7], 7
	s_lshl_b64 s[2:3], s[18:19], 7
	v_mov_b32_e32 v23, 0
	v_mov_b32_e32 v25, 0
	;; [unrolled: 1-line block ×8, first 2 shown]
	v_lshlrev_b32_e32 v31, 4, v0
	v_mov_b32_e32 v24, 0
	s_xor_b64 s[18:19], s[0:1], -1
	v_mov_b32_e32 v33, s7
	v_mov_b32_e32 v34, s3
	;; [unrolled: 1-line block ×10, first 2 shown]
	s_branch .LBB757_3
.LBB757_2:                              ;   in Loop: Header=BB757_3 Depth=1
	s_or_b64 exec, exec, s[0:1]
	s_waitcnt vmcnt(0) lgkmcnt(0)
	ds_write_b128 v30, v[3:6]
	s_waitcnt lgkmcnt(0)
	s_barrier
	ds_read_b128 v[3:6], v32
	ds_read_b128 v[35:38], v32 offset:16
	ds_read_b128 v[39:42], v32 offset:32
	;; [unrolled: 1-line block ×3, first 2 shown]
	ds_read_b128 v[47:50], v31
	v_add_co_u32_e64 v7, s[0:1], s6, v7
	v_addc_co_u32_e64 v8, s[0:1], v8, v33, s[0:1]
	s_waitcnt lgkmcnt(0)
	v_mul_f64 v[51:52], v[5:6], v[49:50]
	v_mul_f64 v[53:54], v[3:4], v[49:50]
	s_add_i32 s9, s9, 8
	v_add_co_u32_e64 v9, s[0:1], s2, v9
	v_addc_co_u32_e64 v10, s[0:1], v10, v34, s[0:1]
	s_cmp_ge_i32 s9, s17
	v_fma_f64 v[51:52], v[3:4], v[47:48], -v[51:52]
	v_fma_f64 v[53:54], v[5:6], v[47:48], v[53:54]
	v_add_f64 v[51:52], v[15:16], v[51:52]
	v_add_f64 v[53:54], v[53:54], v[17:18]
	ds_read_b128 v[15:18], v31 offset:256
	s_waitcnt lgkmcnt(0)
	v_mul_f64 v[55:56], v[5:6], v[17:18]
	v_fma_f64 v[55:56], v[3:4], v[15:16], -v[55:56]
	v_mul_f64 v[3:4], v[3:4], v[17:18]
	v_add_f64 v[55:56], v[11:12], v[55:56]
	v_fma_f64 v[3:4], v[5:6], v[15:16], v[3:4]
	v_add_f64 v[57:58], v[3:4], v[13:14]
	ds_read_b128 v[3:6], v32 offset:2048
	s_waitcnt lgkmcnt(0)
	v_mul_f64 v[11:12], v[5:6], v[49:50]
	v_mul_f64 v[13:14], v[3:4], v[49:50]
	v_fma_f64 v[11:12], v[3:4], v[47:48], -v[11:12]
	v_fma_f64 v[13:14], v[5:6], v[47:48], v[13:14]
	v_add_f64 v[19:20], v[19:20], v[11:12]
	v_mul_f64 v[11:12], v[5:6], v[17:18]
	v_add_f64 v[21:22], v[13:14], v[21:22]
	v_fma_f64 v[11:12], v[3:4], v[15:16], -v[11:12]
	v_mul_f64 v[3:4], v[3:4], v[17:18]
	v_add_f64 v[25:26], v[25:26], v[11:12]
	v_fma_f64 v[3:4], v[5:6], v[15:16], v[3:4]
	v_add_f64 v[23:24], v[3:4], v[23:24]
	ds_read_b128 v[3:6], v31 offset:512
	s_waitcnt lgkmcnt(0)
	v_mul_f64 v[11:12], v[37:38], v[5:6]
	v_mul_f64 v[13:14], v[35:36], v[5:6]
	v_fma_f64 v[11:12], v[35:36], v[3:4], -v[11:12]
	v_fma_f64 v[13:14], v[37:38], v[3:4], v[13:14]
	v_add_f64 v[47:48], v[51:52], v[11:12]
	v_add_f64 v[49:50], v[13:14], v[53:54]
	ds_read_b128 v[11:14], v31 offset:768
	s_waitcnt lgkmcnt(0)
	v_mul_f64 v[15:16], v[37:38], v[13:14]
	v_mul_f64 v[17:18], v[35:36], v[13:14]
	v_fma_f64 v[15:16], v[35:36], v[11:12], -v[15:16]
	v_fma_f64 v[17:18], v[37:38], v[11:12], v[17:18]
	v_add_f64 v[35:36], v[55:56], v[15:16]
	v_add_f64 v[37:38], v[17:18], v[57:58]
	ds_read_b128 v[15:18], v32 offset:2064
	s_waitcnt lgkmcnt(0)
	v_mul_f64 v[51:52], v[17:18], v[5:6]
	v_mul_f64 v[5:6], v[15:16], v[5:6]
	v_fma_f64 v[51:52], v[15:16], v[3:4], -v[51:52]
	v_fma_f64 v[3:4], v[17:18], v[3:4], v[5:6]
	v_mul_f64 v[5:6], v[15:16], v[13:14]
	v_add_f64 v[19:20], v[19:20], v[51:52]
	v_add_f64 v[21:22], v[3:4], v[21:22]
	v_mul_f64 v[3:4], v[17:18], v[13:14]
	v_fma_f64 v[5:6], v[17:18], v[11:12], v[5:6]
	v_fma_f64 v[3:4], v[15:16], v[11:12], -v[3:4]
	v_add_f64 v[23:24], v[5:6], v[23:24]
	v_add_f64 v[25:26], v[25:26], v[3:4]
	ds_read_b128 v[3:6], v31 offset:1024
	s_waitcnt lgkmcnt(0)
	v_mul_f64 v[11:12], v[41:42], v[5:6]
	v_mul_f64 v[13:14], v[39:40], v[5:6]
	v_fma_f64 v[11:12], v[39:40], v[3:4], -v[11:12]
	v_fma_f64 v[13:14], v[41:42], v[3:4], v[13:14]
	v_add_f64 v[47:48], v[47:48], v[11:12]
	v_add_f64 v[49:50], v[13:14], v[49:50]
	ds_read_b128 v[11:14], v31 offset:1280
	s_waitcnt lgkmcnt(0)
	v_mul_f64 v[15:16], v[41:42], v[13:14]
	v_mul_f64 v[17:18], v[39:40], v[13:14]
	v_fma_f64 v[15:16], v[39:40], v[11:12], -v[15:16]
	v_fma_f64 v[17:18], v[41:42], v[11:12], v[17:18]
	v_add_f64 v[35:36], v[35:36], v[15:16]
	v_add_f64 v[37:38], v[17:18], v[37:38]
	ds_read_b128 v[15:18], v32 offset:2080
	s_waitcnt lgkmcnt(0)
	v_mul_f64 v[39:40], v[17:18], v[5:6]
	v_mul_f64 v[5:6], v[15:16], v[5:6]
	v_fma_f64 v[39:40], v[15:16], v[3:4], -v[39:40]
	v_fma_f64 v[3:4], v[17:18], v[3:4], v[5:6]
	v_mul_f64 v[5:6], v[15:16], v[13:14]
	v_add_f64 v[19:20], v[19:20], v[39:40]
	v_add_f64 v[21:22], v[3:4], v[21:22]
	v_mul_f64 v[3:4], v[17:18], v[13:14]
	v_fma_f64 v[5:6], v[17:18], v[11:12], v[5:6]
	v_fma_f64 v[3:4], v[15:16], v[11:12], -v[3:4]
	v_add_f64 v[23:24], v[5:6], v[23:24]
	;; [unrolled: 30-line block ×3, first 2 shown]
	v_add_f64 v[25:26], v[25:26], v[3:4]
	ds_read_b128 v[3:6], v32 offset:64
	ds_read_b128 v[11:14], v31 offset:2048
	s_waitcnt lgkmcnt(0)
	v_mul_f64 v[15:16], v[5:6], v[13:14]
	v_mul_f64 v[17:18], v[3:4], v[13:14]
	v_fma_f64 v[15:16], v[3:4], v[11:12], -v[15:16]
	v_fma_f64 v[17:18], v[5:6], v[11:12], v[17:18]
	v_add_f64 v[39:40], v[39:40], v[15:16]
	v_add_f64 v[41:42], v[17:18], v[41:42]
	ds_read_b128 v[15:18], v31 offset:2304
	s_waitcnt lgkmcnt(0)
	v_mul_f64 v[43:44], v[5:6], v[17:18]
	v_fma_f64 v[43:44], v[3:4], v[15:16], -v[43:44]
	v_mul_f64 v[3:4], v[3:4], v[17:18]
	v_add_f64 v[35:36], v[35:36], v[43:44]
	v_fma_f64 v[3:4], v[5:6], v[15:16], v[3:4]
	v_add_f64 v[37:38], v[3:4], v[37:38]
	ds_read_b128 v[3:6], v32 offset:2112
	s_waitcnt lgkmcnt(0)
	v_mul_f64 v[43:44], v[5:6], v[13:14]
	v_mul_f64 v[13:14], v[3:4], v[13:14]
	v_fma_f64 v[43:44], v[3:4], v[11:12], -v[43:44]
	v_fma_f64 v[11:12], v[5:6], v[11:12], v[13:14]
	v_add_f64 v[19:20], v[19:20], v[43:44]
	v_add_f64 v[21:22], v[11:12], v[21:22]
	v_mul_f64 v[11:12], v[5:6], v[17:18]
	v_fma_f64 v[11:12], v[3:4], v[15:16], -v[11:12]
	v_mul_f64 v[3:4], v[3:4], v[17:18]
	v_add_f64 v[25:26], v[25:26], v[11:12]
	v_fma_f64 v[3:4], v[5:6], v[15:16], v[3:4]
	v_add_f64 v[23:24], v[3:4], v[23:24]
	ds_read_b128 v[3:6], v32 offset:80
	ds_read_b128 v[11:14], v31 offset:2560
	s_waitcnt lgkmcnt(0)
	v_mul_f64 v[15:16], v[5:6], v[13:14]
	v_mul_f64 v[17:18], v[3:4], v[13:14]
	v_fma_f64 v[15:16], v[3:4], v[11:12], -v[15:16]
	v_fma_f64 v[17:18], v[5:6], v[11:12], v[17:18]
	v_add_f64 v[39:40], v[39:40], v[15:16]
	v_add_f64 v[41:42], v[17:18], v[41:42]
	ds_read_b128 v[15:18], v31 offset:2816
	s_waitcnt lgkmcnt(0)
	v_mul_f64 v[43:44], v[5:6], v[17:18]
	v_fma_f64 v[43:44], v[3:4], v[15:16], -v[43:44]
	v_mul_f64 v[3:4], v[3:4], v[17:18]
	v_add_f64 v[35:36], v[35:36], v[43:44]
	v_fma_f64 v[3:4], v[5:6], v[15:16], v[3:4]
	v_add_f64 v[37:38], v[3:4], v[37:38]
	ds_read_b128 v[3:6], v32 offset:2128
	s_waitcnt lgkmcnt(0)
	v_mul_f64 v[43:44], v[5:6], v[13:14]
	v_mul_f64 v[13:14], v[3:4], v[13:14]
	v_fma_f64 v[43:44], v[3:4], v[11:12], -v[43:44]
	v_fma_f64 v[11:12], v[5:6], v[11:12], v[13:14]
	v_add_f64 v[19:20], v[19:20], v[43:44]
	v_add_f64 v[21:22], v[11:12], v[21:22]
	v_mul_f64 v[11:12], v[5:6], v[17:18]
	v_fma_f64 v[11:12], v[3:4], v[15:16], -v[11:12]
	v_mul_f64 v[3:4], v[3:4], v[17:18]
	v_add_f64 v[25:26], v[25:26], v[11:12]
	v_fma_f64 v[3:4], v[5:6], v[15:16], v[3:4]
	v_add_f64 v[23:24], v[3:4], v[23:24]
	ds_read_b128 v[3:6], v32 offset:96
	ds_read_b128 v[11:14], v31 offset:3072
	s_waitcnt lgkmcnt(0)
	v_mul_f64 v[15:16], v[5:6], v[13:14]
	v_mul_f64 v[17:18], v[3:4], v[13:14]
	v_fma_f64 v[15:16], v[3:4], v[11:12], -v[15:16]
	v_fma_f64 v[17:18], v[5:6], v[11:12], v[17:18]
	v_add_f64 v[39:40], v[39:40], v[15:16]
	v_add_f64 v[41:42], v[17:18], v[41:42]
	ds_read_b128 v[15:18], v31 offset:3328
	s_waitcnt lgkmcnt(0)
	v_mul_f64 v[43:44], v[5:6], v[17:18]
	v_fma_f64 v[43:44], v[3:4], v[15:16], -v[43:44]
	v_mul_f64 v[3:4], v[3:4], v[17:18]
	v_add_f64 v[35:36], v[35:36], v[43:44]
	v_fma_f64 v[3:4], v[5:6], v[15:16], v[3:4]
	v_add_f64 v[37:38], v[3:4], v[37:38]
	ds_read_b128 v[3:6], v32 offset:2144
	s_waitcnt lgkmcnt(0)
	v_mul_f64 v[43:44], v[5:6], v[13:14]
	v_mul_f64 v[13:14], v[3:4], v[13:14]
	v_fma_f64 v[43:44], v[3:4], v[11:12], -v[43:44]
	v_fma_f64 v[11:12], v[5:6], v[11:12], v[13:14]
	v_add_f64 v[43:44], v[19:20], v[43:44]
	v_add_f64 v[45:46], v[11:12], v[21:22]
	v_mul_f64 v[11:12], v[5:6], v[17:18]
	v_fma_f64 v[11:12], v[3:4], v[15:16], -v[11:12]
	v_mul_f64 v[3:4], v[3:4], v[17:18]
	v_add_f64 v[47:48], v[25:26], v[11:12]
	v_fma_f64 v[3:4], v[5:6], v[15:16], v[3:4]
	v_add_f64 v[49:50], v[3:4], v[23:24]
	ds_read_b128 v[3:6], v32 offset:112
	ds_read_b128 v[19:22], v31 offset:3584
	ds_read_b128 v[23:26], v31 offset:3840
	s_waitcnt lgkmcnt(1)
	v_mul_f64 v[11:12], v[5:6], v[21:22]
	v_mul_f64 v[13:14], v[3:4], v[21:22]
	v_fma_f64 v[11:12], v[3:4], v[19:20], -v[11:12]
	v_fma_f64 v[13:14], v[5:6], v[19:20], v[13:14]
	v_add_f64 v[15:16], v[39:40], v[11:12]
	s_waitcnt lgkmcnt(0)
	v_mul_f64 v[11:12], v[5:6], v[25:26]
	v_add_f64 v[17:18], v[13:14], v[41:42]
	v_fma_f64 v[11:12], v[3:4], v[23:24], -v[11:12]
	v_mul_f64 v[3:4], v[3:4], v[25:26]
	v_add_f64 v[11:12], v[35:36], v[11:12]
	v_fma_f64 v[3:4], v[5:6], v[23:24], v[3:4]
	v_add_f64 v[13:14], v[3:4], v[37:38]
	ds_read_b128 v[3:6], v32 offset:2160
	s_waitcnt lgkmcnt(0)
	s_barrier
	v_mul_f64 v[35:36], v[5:6], v[21:22]
	v_mul_f64 v[21:22], v[3:4], v[21:22]
	v_fma_f64 v[35:36], v[3:4], v[19:20], -v[35:36]
	v_fma_f64 v[21:22], v[5:6], v[19:20], v[21:22]
	v_add_f64 v[19:20], v[43:44], v[35:36]
	v_mul_f64 v[35:36], v[5:6], v[25:26]
	v_add_f64 v[21:22], v[21:22], v[45:46]
	v_fma_f64 v[35:36], v[3:4], v[23:24], -v[35:36]
	v_mul_f64 v[3:4], v[3:4], v[25:26]
	v_add_f64 v[25:26], v[47:48], v[35:36]
	v_fma_f64 v[3:4], v[5:6], v[23:24], v[3:4]
	v_add_f64 v[23:24], v[3:4], v[49:50]
	s_cbranch_scc1 .LBB757_10
.LBB757_3:                              ; =>This Inner Loop Header: Depth=1
	v_add_u32_e32 v3, s9, v28
	v_cmp_le_i32_e64 s[0:1], s17, v3
	s_or_b64 s[0:1], s[18:19], s[0:1]
	s_and_saveexec_b64 s[22:23], s[0:1]
	s_xor_b64 s[0:1], exec, s[22:23]
; %bb.4:                                ;   in Loop: Header=BB757_3 Depth=1
	v_mov_b32_e32 v3, v2
	v_mov_b32_e32 v4, v2
	;; [unrolled: 1-line block ×3, first 2 shown]
	ds_write_b128 v29, v[2:5]
; %bb.5:                                ;   in Loop: Header=BB757_3 Depth=1
	s_andn2_saveexec_b64 s[0:1], s[0:1]
	s_cbranch_execz .LBB757_7
; %bb.6:                                ;   in Loop: Header=BB757_3 Depth=1
	flat_load_dwordx4 v[3:6], v[7:8]
	s_waitcnt vmcnt(0) lgkmcnt(0)
	ds_write2_b64 v29, v[3:4], v[5:6] offset1:1
.LBB757_7:                              ;   in Loop: Header=BB757_3 Depth=1
	s_or_b64 exec, exec, s[0:1]
	v_add_u32_e32 v3, s9, v27
	v_cmp_gt_i32_e64 s[0:1], s17, v3
	v_mov_b32_e32 v3, 0
	v_mov_b32_e32 v5, 0
	;; [unrolled: 1-line block ×4, first 2 shown]
	s_and_b64 s[22:23], s[0:1], vcc
	s_and_saveexec_b64 s[0:1], s[22:23]
	s_cbranch_execz .LBB757_2
; %bb.8:                                ;   in Loop: Header=BB757_3 Depth=1
	flat_load_dwordx4 v[3:6], v[9:10]
	s_branch .LBB757_2
.LBB757_9:
	v_mov_b32_e32 v15, 0
	v_mov_b32_e32 v17, 0
	v_mov_b32_e32 v11, 0
	v_mov_b32_e32 v13, 0
	v_mov_b32_e32 v19, 0
	v_mov_b32_e32 v21, 0
	v_mov_b32_e32 v25, 0
	v_mov_b32_e32 v23, 0
	v_mov_b32_e32 v16, 0
	v_mov_b32_e32 v18, 0
	v_mov_b32_e32 v12, 0
	v_mov_b32_e32 v14, 0
	v_mov_b32_e32 v20, 0
	v_mov_b32_e32 v22, 0
	v_mov_b32_e32 v26, 0
	v_mov_b32_e32 v24, 0
.LBB757_10:
	s_load_dword s6, s[4:5], 0x60
	v_add_u32_e32 v4, s20, v1
	s_waitcnt lgkmcnt(0)
	v_mov_b32_e32 v3, s11
	v_add_u32_e32 v0, s8, v0
	v_mad_i64_i32 v[1:2], s[0:1], v4, s6, 0
	v_cmp_le_i32_e64 s[0:1], v4, v0
	v_lshlrev_b64 v[1:2], 4, v[1:2]
	v_add_co_u32_e32 v5, vcc, s10, v1
	v_addc_co_u32_e32 v6, vcc, v3, v2, vcc
	v_cmp_gt_i32_e32 vcc, s16, v0
	s_and_b64 s[0:1], s[0:1], vcc
	s_and_saveexec_b64 s[2:3], s[0:1]
	s_cbranch_execz .LBB757_12
; %bb.11:
	v_mul_f64 v[1:2], s[14:15], v[17:18]
	v_mul_f64 v[9:10], s[12:13], v[17:18]
	v_fma_f64 v[7:8], s[12:13], v[15:16], -v[1:2]
	v_fma_f64 v[9:10], s[14:15], v[15:16], v[9:10]
	v_ashrrev_i32_e32 v1, 31, v0
	v_lshlrev_b64 v[1:2], 4, v[0:1]
	v_add_co_u32_e64 v1, s[0:1], v5, v1
	v_addc_co_u32_e64 v2, s[0:1], v6, v2, s[0:1]
	flat_store_dwordx4 v[1:2], v[7:10]
.LBB757_12:
	s_or_b64 exec, exec, s[2:3]
	v_add_u32_e32 v2, 16, v0
	v_cmp_le_i32_e64 s[2:3], v4, v2
	v_cmp_gt_i32_e64 s[0:1], s16, v2
	s_and_b64 s[2:3], s[2:3], s[0:1]
	s_and_saveexec_b64 s[4:5], s[2:3]
	s_cbranch_execz .LBB757_14
; %bb.13:
	v_mul_f64 v[7:8], s[14:15], v[13:14]
	v_mul_f64 v[9:10], s[12:13], v[13:14]
	v_ashrrev_i32_e32 v3, 31, v2
	v_fma_f64 v[7:8], s[12:13], v[11:12], -v[7:8]
	v_fma_f64 v[9:10], s[14:15], v[11:12], v[9:10]
	v_lshlrev_b64 v[11:12], 4, v[2:3]
	v_add_co_u32_e64 v5, s[2:3], v5, v11
	v_addc_co_u32_e64 v6, s[2:3], v6, v12, s[2:3]
	flat_store_dwordx4 v[5:6], v[7:10]
.LBB757_14:
	s_or_b64 exec, exec, s[4:5]
	v_add_u32_e32 v3, 16, v4
	v_mad_i64_i32 v[4:5], s[2:3], v3, s6, 0
	v_mov_b32_e32 v1, s11
	v_lshlrev_b64 v[4:5], 4, v[4:5]
	v_add_co_u32_e64 v4, s[2:3], s10, v4
	v_addc_co_u32_e64 v5, s[2:3], v1, v5, s[2:3]
	v_cmp_le_i32_e64 s[2:3], v3, v0
	s_and_b64 s[4:5], s[2:3], vcc
	s_and_saveexec_b64 s[2:3], s[4:5]
	s_cbranch_execz .LBB757_16
; %bb.15:
	v_mul_f64 v[6:7], s[14:15], v[21:22]
	v_mul_f64 v[8:9], s[12:13], v[21:22]
	v_ashrrev_i32_e32 v1, 31, v0
	v_lshlrev_b64 v[0:1], 4, v[0:1]
	v_add_co_u32_e32 v0, vcc, v4, v0
	v_addc_co_u32_e32 v1, vcc, v5, v1, vcc
	v_fma_f64 v[6:7], s[12:13], v[19:20], -v[6:7]
	v_fma_f64 v[8:9], s[14:15], v[19:20], v[8:9]
	flat_store_dwordx4 v[0:1], v[6:9]
.LBB757_16:
	s_or_b64 exec, exec, s[2:3]
	v_cmp_le_i32_e32 vcc, v3, v2
	s_and_b64 s[0:1], vcc, s[0:1]
	s_and_saveexec_b64 s[2:3], s[0:1]
	s_cbranch_execz .LBB757_18
; %bb.17:
	v_mul_f64 v[0:1], s[14:15], v[23:24]
	v_mul_f64 v[8:9], s[12:13], v[23:24]
	v_ashrrev_i32_e32 v3, 31, v2
	v_fma_f64 v[6:7], s[12:13], v[25:26], -v[0:1]
	v_fma_f64 v[8:9], s[14:15], v[25:26], v[8:9]
	v_lshlrev_b64 v[0:1], 4, v[2:3]
	v_add_co_u32_e32 v0, vcc, v4, v0
	v_addc_co_u32_e32 v1, vcc, v5, v1, vcc
	flat_store_dwordx4 v[0:1], v[6:9]
.LBB757_18:
	s_endpgm
	.section	.rodata,"a",@progbits
	.p2align	6, 0x0
	.amdhsa_kernel _ZL34rocblas_syrkx_herkx_general_kernelIi19rocblas_complex_numIdELi16ELi32ELi8ELb1ELb0ELc78ELc76EKPKS1_KPS1_EviT_T0_PT8_S7_lSA_S7_lS8_PT9_S7_li
		.amdhsa_group_segment_fixed_size 8192
		.amdhsa_private_segment_fixed_size 0
		.amdhsa_kernarg_size 116
		.amdhsa_user_sgpr_count 6
		.amdhsa_user_sgpr_private_segment_buffer 1
		.amdhsa_user_sgpr_dispatch_ptr 0
		.amdhsa_user_sgpr_queue_ptr 0
		.amdhsa_user_sgpr_kernarg_segment_ptr 1
		.amdhsa_user_sgpr_dispatch_id 0
		.amdhsa_user_sgpr_flat_scratch_init 0
		.amdhsa_user_sgpr_private_segment_size 0
		.amdhsa_uses_dynamic_stack 0
		.amdhsa_system_sgpr_private_segment_wavefront_offset 0
		.amdhsa_system_sgpr_workgroup_id_x 1
		.amdhsa_system_sgpr_workgroup_id_y 1
		.amdhsa_system_sgpr_workgroup_id_z 1
		.amdhsa_system_sgpr_workgroup_info 0
		.amdhsa_system_vgpr_workitem_id 1
		.amdhsa_next_free_vgpr 59
		.amdhsa_next_free_sgpr 61
		.amdhsa_reserve_vcc 1
		.amdhsa_reserve_flat_scratch 0
		.amdhsa_float_round_mode_32 0
		.amdhsa_float_round_mode_16_64 0
		.amdhsa_float_denorm_mode_32 3
		.amdhsa_float_denorm_mode_16_64 3
		.amdhsa_dx10_clamp 1
		.amdhsa_ieee_mode 1
		.amdhsa_fp16_overflow 0
		.amdhsa_exception_fp_ieee_invalid_op 0
		.amdhsa_exception_fp_denorm_src 0
		.amdhsa_exception_fp_ieee_div_zero 0
		.amdhsa_exception_fp_ieee_overflow 0
		.amdhsa_exception_fp_ieee_underflow 0
		.amdhsa_exception_fp_ieee_inexact 0
		.amdhsa_exception_int_div_zero 0
	.end_amdhsa_kernel
	.section	.text._ZL34rocblas_syrkx_herkx_general_kernelIi19rocblas_complex_numIdELi16ELi32ELi8ELb1ELb0ELc78ELc76EKPKS1_KPS1_EviT_T0_PT8_S7_lSA_S7_lS8_PT9_S7_li,"axG",@progbits,_ZL34rocblas_syrkx_herkx_general_kernelIi19rocblas_complex_numIdELi16ELi32ELi8ELb1ELb0ELc78ELc76EKPKS1_KPS1_EviT_T0_PT8_S7_lSA_S7_lS8_PT9_S7_li,comdat
.Lfunc_end757:
	.size	_ZL34rocblas_syrkx_herkx_general_kernelIi19rocblas_complex_numIdELi16ELi32ELi8ELb1ELb0ELc78ELc76EKPKS1_KPS1_EviT_T0_PT8_S7_lSA_S7_lS8_PT9_S7_li, .Lfunc_end757-_ZL34rocblas_syrkx_herkx_general_kernelIi19rocblas_complex_numIdELi16ELi32ELi8ELb1ELb0ELc78ELc76EKPKS1_KPS1_EviT_T0_PT8_S7_lSA_S7_lS8_PT9_S7_li
                                        ; -- End function
	.set _ZL34rocblas_syrkx_herkx_general_kernelIi19rocblas_complex_numIdELi16ELi32ELi8ELb1ELb0ELc78ELc76EKPKS1_KPS1_EviT_T0_PT8_S7_lSA_S7_lS8_PT9_S7_li.num_vgpr, 59
	.set _ZL34rocblas_syrkx_herkx_general_kernelIi19rocblas_complex_numIdELi16ELi32ELi8ELb1ELb0ELc78ELc76EKPKS1_KPS1_EviT_T0_PT8_S7_lSA_S7_lS8_PT9_S7_li.num_agpr, 0
	.set _ZL34rocblas_syrkx_herkx_general_kernelIi19rocblas_complex_numIdELi16ELi32ELi8ELb1ELb0ELc78ELc76EKPKS1_KPS1_EviT_T0_PT8_S7_lSA_S7_lS8_PT9_S7_li.numbered_sgpr, 26
	.set _ZL34rocblas_syrkx_herkx_general_kernelIi19rocblas_complex_numIdELi16ELi32ELi8ELb1ELb0ELc78ELc76EKPKS1_KPS1_EviT_T0_PT8_S7_lSA_S7_lS8_PT9_S7_li.num_named_barrier, 0
	.set _ZL34rocblas_syrkx_herkx_general_kernelIi19rocblas_complex_numIdELi16ELi32ELi8ELb1ELb0ELc78ELc76EKPKS1_KPS1_EviT_T0_PT8_S7_lSA_S7_lS8_PT9_S7_li.private_seg_size, 0
	.set _ZL34rocblas_syrkx_herkx_general_kernelIi19rocblas_complex_numIdELi16ELi32ELi8ELb1ELb0ELc78ELc76EKPKS1_KPS1_EviT_T0_PT8_S7_lSA_S7_lS8_PT9_S7_li.uses_vcc, 1
	.set _ZL34rocblas_syrkx_herkx_general_kernelIi19rocblas_complex_numIdELi16ELi32ELi8ELb1ELb0ELc78ELc76EKPKS1_KPS1_EviT_T0_PT8_S7_lSA_S7_lS8_PT9_S7_li.uses_flat_scratch, 0
	.set _ZL34rocblas_syrkx_herkx_general_kernelIi19rocblas_complex_numIdELi16ELi32ELi8ELb1ELb0ELc78ELc76EKPKS1_KPS1_EviT_T0_PT8_S7_lSA_S7_lS8_PT9_S7_li.has_dyn_sized_stack, 0
	.set _ZL34rocblas_syrkx_herkx_general_kernelIi19rocblas_complex_numIdELi16ELi32ELi8ELb1ELb0ELc78ELc76EKPKS1_KPS1_EviT_T0_PT8_S7_lSA_S7_lS8_PT9_S7_li.has_recursion, 0
	.set _ZL34rocblas_syrkx_herkx_general_kernelIi19rocblas_complex_numIdELi16ELi32ELi8ELb1ELb0ELc78ELc76EKPKS1_KPS1_EviT_T0_PT8_S7_lSA_S7_lS8_PT9_S7_li.has_indirect_call, 0
	.section	.AMDGPU.csdata,"",@progbits
; Kernel info:
; codeLenInByte = 3072
; TotalNumSgprs: 30
; NumVgprs: 59
; ScratchSize: 0
; MemoryBound: 1
; FloatMode: 240
; IeeeMode: 1
; LDSByteSize: 8192 bytes/workgroup (compile time only)
; SGPRBlocks: 8
; VGPRBlocks: 14
; NumSGPRsForWavesPerEU: 65
; NumVGPRsForWavesPerEU: 59
; Occupancy: 4
; WaveLimiterHint : 1
; COMPUTE_PGM_RSRC2:SCRATCH_EN: 0
; COMPUTE_PGM_RSRC2:USER_SGPR: 6
; COMPUTE_PGM_RSRC2:TRAP_HANDLER: 0
; COMPUTE_PGM_RSRC2:TGID_X_EN: 1
; COMPUTE_PGM_RSRC2:TGID_Y_EN: 1
; COMPUTE_PGM_RSRC2:TGID_Z_EN: 1
; COMPUTE_PGM_RSRC2:TIDIG_COMP_CNT: 1
	.section	.text._ZL34rocblas_syrkx_herkx_general_kernelIi19rocblas_complex_numIdELi16ELi32ELi8ELb1ELb0ELc84ELc85EKPKS1_KPS1_EviT_T0_PT8_S7_lSA_S7_lS8_PT9_S7_li,"axG",@progbits,_ZL34rocblas_syrkx_herkx_general_kernelIi19rocblas_complex_numIdELi16ELi32ELi8ELb1ELb0ELc84ELc85EKPKS1_KPS1_EviT_T0_PT8_S7_lSA_S7_lS8_PT9_S7_li,comdat
	.globl	_ZL34rocblas_syrkx_herkx_general_kernelIi19rocblas_complex_numIdELi16ELi32ELi8ELb1ELb0ELc84ELc85EKPKS1_KPS1_EviT_T0_PT8_S7_lSA_S7_lS8_PT9_S7_li ; -- Begin function _ZL34rocblas_syrkx_herkx_general_kernelIi19rocblas_complex_numIdELi16ELi32ELi8ELb1ELb0ELc84ELc85EKPKS1_KPS1_EviT_T0_PT8_S7_lSA_S7_lS8_PT9_S7_li
	.p2align	8
	.type	_ZL34rocblas_syrkx_herkx_general_kernelIi19rocblas_complex_numIdELi16ELi32ELi8ELb1ELb0ELc84ELc85EKPKS1_KPS1_EviT_T0_PT8_S7_lSA_S7_lS8_PT9_S7_li,@function
_ZL34rocblas_syrkx_herkx_general_kernelIi19rocblas_complex_numIdELi16ELi32ELi8ELb1ELb0ELc84ELc85EKPKS1_KPS1_EviT_T0_PT8_S7_lSA_S7_lS8_PT9_S7_li: ; @_ZL34rocblas_syrkx_herkx_general_kernelIi19rocblas_complex_numIdELi16ELi32ELi8ELb1ELb0ELc84ELc85EKPKS1_KPS1_EviT_T0_PT8_S7_lSA_S7_lS8_PT9_S7_li
; %bb.0:
	s_load_dwordx2 s[0:1], s[4:5], 0x18
	s_load_dwordx2 s[16:17], s[4:5], 0x58
	;; [unrolled: 1-line block ×3, first 2 shown]
	s_load_dwordx4 s[12:15], s[4:5], 0x8
	s_mov_b32 s9, 0
	s_lshl_b64 s[2:3], s[8:9], 3
	s_waitcnt lgkmcnt(0)
	s_add_u32 s16, s16, s2
	s_addc_u32 s17, s17, s3
	s_load_dwordx2 s[16:17], s[16:17], 0x0
	s_lshl_b32 s8, s6, 5
	s_lshl_b32 s18, s7, 5
	s_cmp_lt_i32 s11, 1
	s_cbranch_scc1 .LBB758_11
; %bb.1:
	s_load_dword s19, s[4:5], 0x20
	s_load_dwordx2 s[6:7], s[4:5], 0x30
	s_load_dword s22, s[4:5], 0x38
	v_lshl_add_u32 v2, v1, 4, v0
	v_lshrrev_b32_e32 v27, 5, v2
	v_lshrrev_b32_e32 v3, 3, v2
	v_and_b32_e32 v2, 31, v2
	v_or_b32_e32 v5, s8, v2
	v_and_b32_e32 v26, 7, v0
	s_waitcnt lgkmcnt(0)
	s_add_u32 s6, s6, s2
	v_cmp_gt_i32_e32 vcc, s10, v5
	v_lshlrev_b32_e32 v5, 4, v2
	s_addc_u32 s7, s7, s3
	v_lshl_or_b32 v28, v27, 9, v5
	v_lshlrev_b32_e32 v5, 4, v26
	v_add_u32_e32 v4, s18, v3
	s_add_u32 s0, s0, s2
	v_lshl_or_b32 v3, v3, 7, v5
	v_add_u32_e32 v2, s8, v2
	s_addc_u32 s1, s1, s3
	v_add_u32_e32 v29, 0x1000, v3
	v_mad_i64_i32 v[2:3], s[2:3], s19, v2, 0
	v_mov_b32_e32 v6, 0x1000
	v_lshl_add_u32 v31, v1, 7, v6
	v_lshlrev_b64 v[2:3], 4, v[2:3]
	v_lshlrev_b32_e32 v6, 4, v27
	s_load_dwordx2 s[20:21], s[0:1], 0x0
	v_add_co_u32_e64 v6, s[2:3], v2, v6
	v_addc_co_u32_e64 v7, s[2:3], 0, v3, s[2:3]
	v_mad_i64_i32 v[2:3], s[2:3], s22, v4, 0
	s_load_dwordx2 s[6:7], s[6:7], 0x0
	s_waitcnt lgkmcnt(0)
	v_mov_b32_e32 v8, s21
	v_add_co_u32_e64 v6, s[2:3], s20, v6
	v_lshlrev_b64 v[2:3], 4, v[2:3]
	v_addc_co_u32_e64 v7, s[2:3], v8, v7, s[2:3]
	v_add_co_u32_e64 v2, s[2:3], v2, v5
	v_addc_co_u32_e64 v3, s[2:3], 0, v3, s[2:3]
	v_cmp_gt_i32_e64 s[0:1], s10, v4
	v_mov_b32_e32 v4, s7
	v_add_co_u32_e64 v8, s[2:3], s6, v2
	v_addc_co_u32_e64 v9, s[2:3], v4, v3, s[2:3]
	v_mov_b32_e32 v22, 0
	v_mov_b32_e32 v24, 0
	;; [unrolled: 1-line block ×8, first 2 shown]
	v_lshlrev_b32_e32 v30, 4, v0
	v_mov_b32_e32 v23, 0
	s_xor_b64 s[2:3], vcc, -1
	s_xor_b64 s[0:1], s[0:1], -1
	v_mov_b32_e32 v25, 0
	v_mov_b32_e32 v19, 0
	;; [unrolled: 1-line block ×8, first 2 shown]
	s_branch .LBB758_3
.LBB758_2:                              ;   in Loop: Header=BB758_3 Depth=1
	s_or_b64 exec, exec, s[6:7]
	s_waitcnt lgkmcnt(0)
	s_barrier
	ds_read_b128 v[32:35], v31
	ds_read_b128 v[36:39], v31 offset:16
	ds_read_b128 v[40:43], v31 offset:32
	ds_read_b128 v[44:47], v31 offset:48
	ds_read_b128 v[48:51], v30
	v_add_co_u32_e32 v6, vcc, 0x80, v6
	v_addc_co_u32_e32 v7, vcc, 0, v7, vcc
	s_waitcnt lgkmcnt(0)
	v_mul_f64 v[3:4], v[34:35], v[50:51]
	v_mul_f64 v[52:53], v[32:33], v[50:51]
	s_add_i32 s9, s9, 8
	v_add_co_u32_e32 v8, vcc, 0x80, v8
	v_addc_co_u32_e32 v9, vcc, 0, v9, vcc
	s_cmp_ge_i32 s9, s11
	v_fma_f64 v[3:4], v[32:33], v[48:49], -v[3:4]
	v_fma_f64 v[52:53], v[34:35], v[48:49], v[52:53]
	v_add_f64 v[3:4], v[14:15], v[3:4]
	v_add_f64 v[14:15], v[52:53], v[20:21]
	ds_read_b128 v[52:55], v30 offset:256
	s_waitcnt lgkmcnt(0)
	v_mul_f64 v[20:21], v[34:35], v[54:55]
	v_fma_f64 v[20:21], v[32:33], v[52:53], -v[20:21]
	v_mul_f64 v[32:33], v[32:33], v[54:55]
	v_add_f64 v[20:21], v[10:11], v[20:21]
	v_fma_f64 v[32:33], v[34:35], v[52:53], v[32:33]
	v_add_f64 v[32:33], v[32:33], v[12:13]
	ds_read_b128 v[10:13], v31 offset:2048
	s_waitcnt lgkmcnt(0)
	v_mul_f64 v[34:35], v[12:13], v[50:51]
	v_mul_f64 v[50:51], v[10:11], v[50:51]
	v_fma_f64 v[34:35], v[10:11], v[48:49], -v[34:35]
	v_fma_f64 v[48:49], v[12:13], v[48:49], v[50:51]
	v_add_f64 v[34:35], v[16:17], v[34:35]
	v_mul_f64 v[16:17], v[12:13], v[54:55]
	v_add_f64 v[48:49], v[48:49], v[18:19]
	v_fma_f64 v[16:17], v[10:11], v[52:53], -v[16:17]
	v_mul_f64 v[10:11], v[10:11], v[54:55]
	v_add_f64 v[24:25], v[24:25], v[16:17]
	v_fma_f64 v[10:11], v[12:13], v[52:53], v[10:11]
	v_add_f64 v[22:23], v[10:11], v[22:23]
	ds_read_b128 v[10:13], v30 offset:512
	s_waitcnt lgkmcnt(0)
	v_mul_f64 v[16:17], v[38:39], v[12:13]
	v_mul_f64 v[18:19], v[36:37], v[12:13]
	v_fma_f64 v[16:17], v[36:37], v[10:11], -v[16:17]
	v_fma_f64 v[18:19], v[38:39], v[10:11], v[18:19]
	v_add_f64 v[3:4], v[3:4], v[16:17]
	v_add_f64 v[50:51], v[18:19], v[14:15]
	ds_read_b128 v[14:17], v30 offset:768
	s_waitcnt lgkmcnt(0)
	v_mul_f64 v[18:19], v[38:39], v[16:17]
	v_fma_f64 v[18:19], v[36:37], v[14:15], -v[18:19]
	v_mul_f64 v[36:37], v[36:37], v[16:17]
	v_fma_f64 v[36:37], v[38:39], v[14:15], v[36:37]
	v_add_f64 v[38:39], v[20:21], v[18:19]
	ds_read_b128 v[18:21], v31 offset:2064
	v_add_f64 v[32:33], v[36:37], v[32:33]
	s_waitcnt lgkmcnt(0)
	v_mul_f64 v[36:37], v[20:21], v[12:13]
	v_mul_f64 v[12:13], v[18:19], v[12:13]
	v_fma_f64 v[36:37], v[18:19], v[10:11], -v[36:37]
	v_fma_f64 v[10:11], v[20:21], v[10:11], v[12:13]
	v_mul_f64 v[12:13], v[18:19], v[16:17]
	v_add_f64 v[34:35], v[34:35], v[36:37]
	v_add_f64 v[36:37], v[10:11], v[48:49]
	v_mul_f64 v[10:11], v[20:21], v[16:17]
	v_fma_f64 v[12:13], v[20:21], v[14:15], v[12:13]
	v_fma_f64 v[10:11], v[18:19], v[14:15], -v[10:11]
	v_add_f64 v[22:23], v[12:13], v[22:23]
	v_add_f64 v[24:25], v[24:25], v[10:11]
	ds_read_b128 v[10:13], v30 offset:1024
	s_waitcnt lgkmcnt(0)
	v_mul_f64 v[14:15], v[42:43], v[12:13]
	v_mul_f64 v[16:17], v[40:41], v[12:13]
	v_fma_f64 v[14:15], v[40:41], v[10:11], -v[14:15]
	v_fma_f64 v[16:17], v[42:43], v[10:11], v[16:17]
	v_add_f64 v[3:4], v[3:4], v[14:15]
	v_add_f64 v[48:49], v[16:17], v[50:51]
	ds_read_b128 v[14:17], v30 offset:1280
	s_waitcnt lgkmcnt(0)
	v_mul_f64 v[18:19], v[42:43], v[16:17]
	v_mul_f64 v[20:21], v[40:41], v[16:17]
	v_fma_f64 v[18:19], v[40:41], v[14:15], -v[18:19]
	v_fma_f64 v[20:21], v[42:43], v[14:15], v[20:21]
	;; [unrolled: 8-line block ×3, first 2 shown]
	v_mul_f64 v[12:13], v[18:19], v[16:17]
	v_add_f64 v[34:35], v[34:35], v[40:41]
	v_add_f64 v[36:37], v[10:11], v[36:37]
	v_mul_f64 v[10:11], v[20:21], v[16:17]
	v_fma_f64 v[12:13], v[20:21], v[14:15], v[12:13]
	v_fma_f64 v[10:11], v[18:19], v[14:15], -v[10:11]
	v_add_f64 v[22:23], v[12:13], v[22:23]
	v_add_f64 v[24:25], v[24:25], v[10:11]
	ds_read_b128 v[10:13], v30 offset:1536
	s_waitcnt lgkmcnt(0)
	v_mul_f64 v[14:15], v[46:47], v[12:13]
	v_mul_f64 v[16:17], v[44:45], v[12:13]
	v_fma_f64 v[14:15], v[44:45], v[10:11], -v[14:15]
	v_fma_f64 v[16:17], v[46:47], v[10:11], v[16:17]
	v_add_f64 v[3:4], v[3:4], v[14:15]
	v_add_f64 v[40:41], v[16:17], v[48:49]
	ds_read_b128 v[14:17], v30 offset:1792
	s_waitcnt lgkmcnt(0)
	v_mul_f64 v[18:19], v[46:47], v[16:17]
	v_mul_f64 v[20:21], v[44:45], v[16:17]
	v_fma_f64 v[18:19], v[44:45], v[14:15], -v[18:19]
	v_fma_f64 v[20:21], v[46:47], v[14:15], v[20:21]
	;; [unrolled: 8-line block ×3, first 2 shown]
	v_mul_f64 v[12:13], v[18:19], v[16:17]
	v_add_f64 v[34:35], v[34:35], v[42:43]
	v_add_f64 v[36:37], v[10:11], v[36:37]
	v_mul_f64 v[10:11], v[20:21], v[16:17]
	v_fma_f64 v[12:13], v[20:21], v[14:15], v[12:13]
	v_fma_f64 v[10:11], v[18:19], v[14:15], -v[10:11]
	v_add_f64 v[22:23], v[12:13], v[22:23]
	v_add_f64 v[24:25], v[24:25], v[10:11]
	ds_read_b128 v[10:13], v31 offset:64
	ds_read_b128 v[14:17], v30 offset:2048
	s_waitcnt lgkmcnt(0)
	v_mul_f64 v[18:19], v[12:13], v[16:17]
	v_mul_f64 v[20:21], v[10:11], v[16:17]
	v_fma_f64 v[18:19], v[10:11], v[14:15], -v[18:19]
	v_fma_f64 v[20:21], v[12:13], v[14:15], v[20:21]
	v_add_f64 v[3:4], v[3:4], v[18:19]
	v_add_f64 v[40:41], v[20:21], v[40:41]
	ds_read_b128 v[18:21], v30 offset:2304
	s_waitcnt lgkmcnt(0)
	v_mul_f64 v[42:43], v[12:13], v[20:21]
	v_fma_f64 v[42:43], v[10:11], v[18:19], -v[42:43]
	v_mul_f64 v[10:11], v[10:11], v[20:21]
	v_add_f64 v[38:39], v[38:39], v[42:43]
	v_fma_f64 v[10:11], v[12:13], v[18:19], v[10:11]
	v_add_f64 v[32:33], v[10:11], v[32:33]
	ds_read_b128 v[10:13], v31 offset:2112
	s_waitcnt lgkmcnt(0)
	v_mul_f64 v[42:43], v[12:13], v[16:17]
	v_mul_f64 v[16:17], v[10:11], v[16:17]
	v_fma_f64 v[42:43], v[10:11], v[14:15], -v[42:43]
	v_fma_f64 v[14:15], v[12:13], v[14:15], v[16:17]
	v_add_f64 v[34:35], v[34:35], v[42:43]
	v_add_f64 v[36:37], v[14:15], v[36:37]
	v_mul_f64 v[14:15], v[12:13], v[20:21]
	v_fma_f64 v[14:15], v[10:11], v[18:19], -v[14:15]
	v_mul_f64 v[10:11], v[10:11], v[20:21]
	v_add_f64 v[24:25], v[24:25], v[14:15]
	v_fma_f64 v[10:11], v[12:13], v[18:19], v[10:11]
	v_add_f64 v[22:23], v[10:11], v[22:23]
	ds_read_b128 v[10:13], v31 offset:80
	ds_read_b128 v[14:17], v30 offset:2560
	s_waitcnt lgkmcnt(0)
	v_mul_f64 v[18:19], v[12:13], v[16:17]
	v_mul_f64 v[20:21], v[10:11], v[16:17]
	v_fma_f64 v[18:19], v[10:11], v[14:15], -v[18:19]
	v_fma_f64 v[20:21], v[12:13], v[14:15], v[20:21]
	v_add_f64 v[3:4], v[3:4], v[18:19]
	v_add_f64 v[40:41], v[20:21], v[40:41]
	ds_read_b128 v[18:21], v30 offset:2816
	s_waitcnt lgkmcnt(0)
	v_mul_f64 v[42:43], v[12:13], v[20:21]
	v_fma_f64 v[42:43], v[10:11], v[18:19], -v[42:43]
	v_mul_f64 v[10:11], v[10:11], v[20:21]
	v_add_f64 v[38:39], v[38:39], v[42:43]
	v_fma_f64 v[10:11], v[12:13], v[18:19], v[10:11]
	v_add_f64 v[32:33], v[10:11], v[32:33]
	ds_read_b128 v[10:13], v31 offset:2128
	s_waitcnt lgkmcnt(0)
	v_mul_f64 v[42:43], v[12:13], v[16:17]
	v_mul_f64 v[16:17], v[10:11], v[16:17]
	v_fma_f64 v[42:43], v[10:11], v[14:15], -v[42:43]
	v_fma_f64 v[14:15], v[12:13], v[14:15], v[16:17]
	v_add_f64 v[34:35], v[34:35], v[42:43]
	v_add_f64 v[36:37], v[14:15], v[36:37]
	v_mul_f64 v[14:15], v[12:13], v[20:21]
	v_fma_f64 v[14:15], v[10:11], v[18:19], -v[14:15]
	v_mul_f64 v[10:11], v[10:11], v[20:21]
	v_add_f64 v[24:25], v[24:25], v[14:15]
	v_fma_f64 v[10:11], v[12:13], v[18:19], v[10:11]
	;; [unrolled: 31-line block ×3, first 2 shown]
	v_add_f64 v[46:47], v[10:11], v[22:23]
	ds_read_b128 v[10:13], v31 offset:112
	ds_read_b128 v[16:19], v30 offset:3584
	;; [unrolled: 1-line block ×3, first 2 shown]
	s_waitcnt lgkmcnt(1)
	v_mul_f64 v[14:15], v[12:13], v[18:19]
	v_mul_f64 v[20:21], v[10:11], v[18:19]
	v_fma_f64 v[14:15], v[10:11], v[16:17], -v[14:15]
	v_fma_f64 v[20:21], v[12:13], v[16:17], v[20:21]
	v_add_f64 v[14:15], v[3:4], v[14:15]
	s_waitcnt lgkmcnt(0)
	v_mul_f64 v[3:4], v[12:13], v[24:25]
	v_add_f64 v[20:21], v[20:21], v[40:41]
	v_fma_f64 v[3:4], v[10:11], v[22:23], -v[3:4]
	v_mul_f64 v[10:11], v[10:11], v[24:25]
	v_fma_f64 v[12:13], v[12:13], v[22:23], v[10:11]
	v_add_f64 v[10:11], v[38:39], v[3:4]
	v_add_f64 v[12:13], v[12:13], v[32:33]
	ds_read_b128 v[32:35], v31 offset:2160
	s_waitcnt lgkmcnt(0)
	s_barrier
	v_mul_f64 v[3:4], v[34:35], v[18:19]
	v_mul_f64 v[18:19], v[32:33], v[18:19]
	v_fma_f64 v[3:4], v[32:33], v[16:17], -v[3:4]
	v_fma_f64 v[18:19], v[34:35], v[16:17], v[18:19]
	v_add_f64 v[16:17], v[42:43], v[3:4]
	v_mul_f64 v[3:4], v[34:35], v[24:25]
	v_mul_f64 v[24:25], v[32:33], v[24:25]
	v_add_f64 v[18:19], v[18:19], v[36:37]
	v_fma_f64 v[3:4], v[32:33], v[22:23], -v[3:4]
	v_fma_f64 v[22:23], v[34:35], v[22:23], v[24:25]
	v_add_f64 v[24:25], v[44:45], v[3:4]
	v_add_f64 v[22:23], v[22:23], v[46:47]
	s_cbranch_scc1 .LBB758_12
.LBB758_3:                              ; =>This Inner Loop Header: Depth=1
	v_add_u32_e32 v3, s9, v27
	v_cmp_le_i32_e32 vcc, s11, v3
	s_or_b64 s[6:7], s[2:3], vcc
	s_and_saveexec_b64 s[20:21], s[6:7]
	s_xor_b64 s[6:7], exec, s[20:21]
; %bb.4:                                ;   in Loop: Header=BB758_3 Depth=1
	v_mov_b32_e32 v3, v2
	v_mov_b32_e32 v4, v2
	;; [unrolled: 1-line block ×3, first 2 shown]
	ds_write_b128 v28, v[2:5]
; %bb.5:                                ;   in Loop: Header=BB758_3 Depth=1
	s_andn2_saveexec_b64 s[6:7], s[6:7]
	s_cbranch_execz .LBB758_7
; %bb.6:                                ;   in Loop: Header=BB758_3 Depth=1
	flat_load_dwordx4 v[32:35], v[6:7]
	s_waitcnt vmcnt(0) lgkmcnt(0)
	ds_write2_b64 v28, v[32:33], v[34:35] offset1:1
.LBB758_7:                              ;   in Loop: Header=BB758_3 Depth=1
	s_or_b64 exec, exec, s[6:7]
	v_add_u32_e32 v3, s9, v26
	v_cmp_le_i32_e32 vcc, s11, v3
	s_or_b64 s[6:7], vcc, s[0:1]
	s_and_saveexec_b64 s[20:21], s[6:7]
	s_xor_b64 s[6:7], exec, s[20:21]
; %bb.8:                                ;   in Loop: Header=BB758_3 Depth=1
	v_mov_b32_e32 v3, v2
	v_mov_b32_e32 v4, v2
	;; [unrolled: 1-line block ×3, first 2 shown]
	ds_write_b128 v29, v[2:5]
; %bb.9:                                ;   in Loop: Header=BB758_3 Depth=1
	s_andn2_saveexec_b64 s[6:7], s[6:7]
	s_cbranch_execz .LBB758_2
; %bb.10:                               ;   in Loop: Header=BB758_3 Depth=1
	flat_load_dwordx4 v[32:35], v[8:9]
	s_waitcnt vmcnt(0) lgkmcnt(0)
	ds_write2_b64 v29, v[32:33], v[34:35] offset1:1
	s_branch .LBB758_2
.LBB758_11:
	v_mov_b32_e32 v14, 0
	v_mov_b32_e32 v20, 0
	;; [unrolled: 1-line block ×16, first 2 shown]
.LBB758_12:
	s_load_dword s4, s[4:5], 0x60
	v_add_u32_e32 v4, s18, v1
	s_waitcnt lgkmcnt(0)
	v_mov_b32_e32 v3, s17
	v_add_u32_e32 v0, s8, v0
	v_cmp_gt_i32_e32 vcc, s10, v4
	v_mad_i64_i32 v[1:2], s[0:1], v4, s4, 0
	v_lshlrev_b64 v[1:2], 4, v[1:2]
	v_add_co_u32_e64 v5, s[0:1], s16, v1
	v_addc_co_u32_e64 v6, s[0:1], v3, v2, s[0:1]
	v_cmp_le_i32_e64 s[0:1], v0, v4
	s_and_b64 s[0:1], vcc, s[0:1]
	s_and_saveexec_b64 s[2:3], s[0:1]
	s_cbranch_execz .LBB758_14
; %bb.13:
	v_mul_f64 v[1:2], s[14:15], v[20:21]
	v_mul_f64 v[7:8], s[12:13], v[20:21]
	v_fma_f64 v[26:27], s[12:13], v[14:15], -v[1:2]
	v_fma_f64 v[28:29], s[14:15], v[14:15], v[7:8]
	v_ashrrev_i32_e32 v1, 31, v0
	v_lshlrev_b64 v[1:2], 4, v[0:1]
	v_add_co_u32_e64 v1, s[0:1], v5, v1
	v_addc_co_u32_e64 v2, s[0:1], v6, v2, s[0:1]
	flat_store_dwordx4 v[1:2], v[26:29]
.LBB758_14:
	s_or_b64 exec, exec, s[2:3]
	v_add_u32_e32 v2, 16, v0
	v_cmp_le_i32_e64 s[0:1], v2, v4
	s_and_b64 s[2:3], vcc, s[0:1]
	s_and_saveexec_b64 s[0:1], s[2:3]
	s_cbranch_execz .LBB758_16
; %bb.15:
	v_mul_f64 v[7:8], s[14:15], v[12:13]
	v_mul_f64 v[12:13], s[12:13], v[12:13]
	v_ashrrev_i32_e32 v3, 31, v2
	v_fma_f64 v[7:8], s[12:13], v[10:11], -v[7:8]
	v_fma_f64 v[9:10], s[14:15], v[10:11], v[12:13]
	v_lshlrev_b64 v[11:12], 4, v[2:3]
	v_add_co_u32_e32 v5, vcc, v5, v11
	v_addc_co_u32_e32 v6, vcc, v6, v12, vcc
	flat_store_dwordx4 v[5:6], v[7:10]
.LBB758_16:
	s_or_b64 exec, exec, s[0:1]
	v_add_u32_e32 v3, 16, v4
	v_mad_i64_i32 v[4:5], s[0:1], v3, s4, 0
	v_mov_b32_e32 v1, s17
	v_cmp_gt_i32_e32 vcc, s10, v3
	v_lshlrev_b64 v[4:5], 4, v[4:5]
	v_add_co_u32_e64 v4, s[0:1], s16, v4
	v_addc_co_u32_e64 v5, s[0:1], v1, v5, s[0:1]
	v_cmp_le_i32_e64 s[0:1], v0, v3
	s_and_b64 s[0:1], vcc, s[0:1]
	s_and_saveexec_b64 s[2:3], s[0:1]
	s_cbranch_execz .LBB758_18
; %bb.17:
	v_mul_f64 v[6:7], s[14:15], v[18:19]
	v_mul_f64 v[8:9], s[12:13], v[18:19]
	v_ashrrev_i32_e32 v1, 31, v0
	v_lshlrev_b64 v[0:1], 4, v[0:1]
	v_add_co_u32_e64 v0, s[0:1], v4, v0
	v_addc_co_u32_e64 v1, s[0:1], v5, v1, s[0:1]
	v_fma_f64 v[6:7], s[12:13], v[16:17], -v[6:7]
	v_fma_f64 v[8:9], s[14:15], v[16:17], v[8:9]
	flat_store_dwordx4 v[0:1], v[6:9]
.LBB758_18:
	s_or_b64 exec, exec, s[2:3]
	v_cmp_le_i32_e64 s[0:1], v2, v3
	s_and_b64 s[0:1], vcc, s[0:1]
	s_and_saveexec_b64 s[2:3], s[0:1]
	s_cbranch_execz .LBB758_20
; %bb.19:
	v_mul_f64 v[0:1], s[14:15], v[22:23]
	v_mul_f64 v[8:9], s[12:13], v[22:23]
	v_ashrrev_i32_e32 v3, 31, v2
	v_fma_f64 v[6:7], s[12:13], v[24:25], -v[0:1]
	v_fma_f64 v[8:9], s[14:15], v[24:25], v[8:9]
	v_lshlrev_b64 v[0:1], 4, v[2:3]
	v_add_co_u32_e32 v0, vcc, v4, v0
	v_addc_co_u32_e32 v1, vcc, v5, v1, vcc
	flat_store_dwordx4 v[0:1], v[6:9]
.LBB758_20:
	s_endpgm
	.section	.rodata,"a",@progbits
	.p2align	6, 0x0
	.amdhsa_kernel _ZL34rocblas_syrkx_herkx_general_kernelIi19rocblas_complex_numIdELi16ELi32ELi8ELb1ELb0ELc84ELc85EKPKS1_KPS1_EviT_T0_PT8_S7_lSA_S7_lS8_PT9_S7_li
		.amdhsa_group_segment_fixed_size 8192
		.amdhsa_private_segment_fixed_size 0
		.amdhsa_kernarg_size 116
		.amdhsa_user_sgpr_count 6
		.amdhsa_user_sgpr_private_segment_buffer 1
		.amdhsa_user_sgpr_dispatch_ptr 0
		.amdhsa_user_sgpr_queue_ptr 0
		.amdhsa_user_sgpr_kernarg_segment_ptr 1
		.amdhsa_user_sgpr_dispatch_id 0
		.amdhsa_user_sgpr_flat_scratch_init 0
		.amdhsa_user_sgpr_private_segment_size 0
		.amdhsa_uses_dynamic_stack 0
		.amdhsa_system_sgpr_private_segment_wavefront_offset 0
		.amdhsa_system_sgpr_workgroup_id_x 1
		.amdhsa_system_sgpr_workgroup_id_y 1
		.amdhsa_system_sgpr_workgroup_id_z 1
		.amdhsa_system_sgpr_workgroup_info 0
		.amdhsa_system_vgpr_workitem_id 1
		.amdhsa_next_free_vgpr 56
		.amdhsa_next_free_sgpr 61
		.amdhsa_reserve_vcc 1
		.amdhsa_reserve_flat_scratch 0
		.amdhsa_float_round_mode_32 0
		.amdhsa_float_round_mode_16_64 0
		.amdhsa_float_denorm_mode_32 3
		.amdhsa_float_denorm_mode_16_64 3
		.amdhsa_dx10_clamp 1
		.amdhsa_ieee_mode 1
		.amdhsa_fp16_overflow 0
		.amdhsa_exception_fp_ieee_invalid_op 0
		.amdhsa_exception_fp_denorm_src 0
		.amdhsa_exception_fp_ieee_div_zero 0
		.amdhsa_exception_fp_ieee_overflow 0
		.amdhsa_exception_fp_ieee_underflow 0
		.amdhsa_exception_fp_ieee_inexact 0
		.amdhsa_exception_int_div_zero 0
	.end_amdhsa_kernel
	.section	.text._ZL34rocblas_syrkx_herkx_general_kernelIi19rocblas_complex_numIdELi16ELi32ELi8ELb1ELb0ELc84ELc85EKPKS1_KPS1_EviT_T0_PT8_S7_lSA_S7_lS8_PT9_S7_li,"axG",@progbits,_ZL34rocblas_syrkx_herkx_general_kernelIi19rocblas_complex_numIdELi16ELi32ELi8ELb1ELb0ELc84ELc85EKPKS1_KPS1_EviT_T0_PT8_S7_lSA_S7_lS8_PT9_S7_li,comdat
.Lfunc_end758:
	.size	_ZL34rocblas_syrkx_herkx_general_kernelIi19rocblas_complex_numIdELi16ELi32ELi8ELb1ELb0ELc84ELc85EKPKS1_KPS1_EviT_T0_PT8_S7_lSA_S7_lS8_PT9_S7_li, .Lfunc_end758-_ZL34rocblas_syrkx_herkx_general_kernelIi19rocblas_complex_numIdELi16ELi32ELi8ELb1ELb0ELc84ELc85EKPKS1_KPS1_EviT_T0_PT8_S7_lSA_S7_lS8_PT9_S7_li
                                        ; -- End function
	.set _ZL34rocblas_syrkx_herkx_general_kernelIi19rocblas_complex_numIdELi16ELi32ELi8ELb1ELb0ELc84ELc85EKPKS1_KPS1_EviT_T0_PT8_S7_lSA_S7_lS8_PT9_S7_li.num_vgpr, 56
	.set _ZL34rocblas_syrkx_herkx_general_kernelIi19rocblas_complex_numIdELi16ELi32ELi8ELb1ELb0ELc84ELc85EKPKS1_KPS1_EviT_T0_PT8_S7_lSA_S7_lS8_PT9_S7_li.num_agpr, 0
	.set _ZL34rocblas_syrkx_herkx_general_kernelIi19rocblas_complex_numIdELi16ELi32ELi8ELb1ELb0ELc84ELc85EKPKS1_KPS1_EviT_T0_PT8_S7_lSA_S7_lS8_PT9_S7_li.numbered_sgpr, 23
	.set _ZL34rocblas_syrkx_herkx_general_kernelIi19rocblas_complex_numIdELi16ELi32ELi8ELb1ELb0ELc84ELc85EKPKS1_KPS1_EviT_T0_PT8_S7_lSA_S7_lS8_PT9_S7_li.num_named_barrier, 0
	.set _ZL34rocblas_syrkx_herkx_general_kernelIi19rocblas_complex_numIdELi16ELi32ELi8ELb1ELb0ELc84ELc85EKPKS1_KPS1_EviT_T0_PT8_S7_lSA_S7_lS8_PT9_S7_li.private_seg_size, 0
	.set _ZL34rocblas_syrkx_herkx_general_kernelIi19rocblas_complex_numIdELi16ELi32ELi8ELb1ELb0ELc84ELc85EKPKS1_KPS1_EviT_T0_PT8_S7_lSA_S7_lS8_PT9_S7_li.uses_vcc, 1
	.set _ZL34rocblas_syrkx_herkx_general_kernelIi19rocblas_complex_numIdELi16ELi32ELi8ELb1ELb0ELc84ELc85EKPKS1_KPS1_EviT_T0_PT8_S7_lSA_S7_lS8_PT9_S7_li.uses_flat_scratch, 0
	.set _ZL34rocblas_syrkx_herkx_general_kernelIi19rocblas_complex_numIdELi16ELi32ELi8ELb1ELb0ELc84ELc85EKPKS1_KPS1_EviT_T0_PT8_S7_lSA_S7_lS8_PT9_S7_li.has_dyn_sized_stack, 0
	.set _ZL34rocblas_syrkx_herkx_general_kernelIi19rocblas_complex_numIdELi16ELi32ELi8ELb1ELb0ELc84ELc85EKPKS1_KPS1_EviT_T0_PT8_S7_lSA_S7_lS8_PT9_S7_li.has_recursion, 0
	.set _ZL34rocblas_syrkx_herkx_general_kernelIi19rocblas_complex_numIdELi16ELi32ELi8ELb1ELb0ELc84ELc85EKPKS1_KPS1_EviT_T0_PT8_S7_lSA_S7_lS8_PT9_S7_li.has_indirect_call, 0
	.section	.AMDGPU.csdata,"",@progbits
; Kernel info:
; codeLenInByte = 3036
; TotalNumSgprs: 27
; NumVgprs: 56
; ScratchSize: 0
; MemoryBound: 0
; FloatMode: 240
; IeeeMode: 1
; LDSByteSize: 8192 bytes/workgroup (compile time only)
; SGPRBlocks: 8
; VGPRBlocks: 13
; NumSGPRsForWavesPerEU: 65
; NumVGPRsForWavesPerEU: 56
; Occupancy: 4
; WaveLimiterHint : 1
; COMPUTE_PGM_RSRC2:SCRATCH_EN: 0
; COMPUTE_PGM_RSRC2:USER_SGPR: 6
; COMPUTE_PGM_RSRC2:TRAP_HANDLER: 0
; COMPUTE_PGM_RSRC2:TGID_X_EN: 1
; COMPUTE_PGM_RSRC2:TGID_Y_EN: 1
; COMPUTE_PGM_RSRC2:TGID_Z_EN: 1
; COMPUTE_PGM_RSRC2:TIDIG_COMP_CNT: 1
	.section	.text._ZL34rocblas_syrkx_herkx_general_kernelIi19rocblas_complex_numIdELi16ELi32ELi8ELb1ELb0ELc67ELc85EKPKS1_KPS1_EviT_T0_PT8_S7_lSA_S7_lS8_PT9_S7_li,"axG",@progbits,_ZL34rocblas_syrkx_herkx_general_kernelIi19rocblas_complex_numIdELi16ELi32ELi8ELb1ELb0ELc67ELc85EKPKS1_KPS1_EviT_T0_PT8_S7_lSA_S7_lS8_PT9_S7_li,comdat
	.globl	_ZL34rocblas_syrkx_herkx_general_kernelIi19rocblas_complex_numIdELi16ELi32ELi8ELb1ELb0ELc67ELc85EKPKS1_KPS1_EviT_T0_PT8_S7_lSA_S7_lS8_PT9_S7_li ; -- Begin function _ZL34rocblas_syrkx_herkx_general_kernelIi19rocblas_complex_numIdELi16ELi32ELi8ELb1ELb0ELc67ELc85EKPKS1_KPS1_EviT_T0_PT8_S7_lSA_S7_lS8_PT9_S7_li
	.p2align	8
	.type	_ZL34rocblas_syrkx_herkx_general_kernelIi19rocblas_complex_numIdELi16ELi32ELi8ELb1ELb0ELc67ELc85EKPKS1_KPS1_EviT_T0_PT8_S7_lSA_S7_lS8_PT9_S7_li,@function
_ZL34rocblas_syrkx_herkx_general_kernelIi19rocblas_complex_numIdELi16ELi32ELi8ELb1ELb0ELc67ELc85EKPKS1_KPS1_EviT_T0_PT8_S7_lSA_S7_lS8_PT9_S7_li: ; @_ZL34rocblas_syrkx_herkx_general_kernelIi19rocblas_complex_numIdELi16ELi32ELi8ELb1ELb0ELc67ELc85EKPKS1_KPS1_EviT_T0_PT8_S7_lSA_S7_lS8_PT9_S7_li
; %bb.0:
	s_load_dwordx2 s[0:1], s[4:5], 0x18
	s_load_dwordx2 s[16:17], s[4:5], 0x58
	;; [unrolled: 1-line block ×3, first 2 shown]
	s_load_dwordx4 s[12:15], s[4:5], 0x8
	s_mov_b32 s9, 0
	s_lshl_b64 s[2:3], s[8:9], 3
	s_waitcnt lgkmcnt(0)
	s_add_u32 s16, s16, s2
	s_addc_u32 s17, s17, s3
	s_load_dwordx2 s[16:17], s[16:17], 0x0
	s_lshl_b32 s8, s6, 5
	s_lshl_b32 s18, s7, 5
	s_cmp_lt_i32 s11, 1
	s_cbranch_scc1 .LBB759_9
; %bb.1:
	s_load_dword s19, s[4:5], 0x20
	s_load_dwordx2 s[6:7], s[4:5], 0x30
	s_load_dword s22, s[4:5], 0x38
	v_lshl_add_u32 v2, v1, 4, v0
	v_lshrrev_b32_e32 v28, 5, v2
	v_lshrrev_b32_e32 v3, 3, v2
	s_waitcnt lgkmcnt(0)
	s_add_u32 s6, s6, s2
	s_addc_u32 s7, s7, s3
	v_and_b32_e32 v2, 31, v2
	s_add_u32 s0, s0, s2
	v_or_b32_e32 v5, s8, v2
	s_addc_u32 s1, s1, s3
	v_and_b32_e32 v27, 7, v0
	s_load_dwordx2 s[20:21], s[0:1], 0x0
	v_cmp_gt_i32_e64 s[0:1], s10, v5
	v_lshlrev_b32_e32 v5, 4, v2
	v_lshl_or_b32 v29, v28, 9, v5
	v_lshlrev_b32_e32 v5, 4, v27
	v_add_u32_e32 v4, s18, v3
	v_lshl_or_b32 v3, v3, 7, v5
	v_add_u32_e32 v2, s8, v2
	v_add_u32_e32 v30, 0x1000, v3
	v_mad_i64_i32 v[2:3], s[2:3], s19, v2, 0
	v_mov_b32_e32 v6, 0x1000
	v_lshl_add_u32 v32, v1, 7, v6
	v_lshlrev_b64 v[2:3], 4, v[2:3]
	v_lshlrev_b32_e32 v6, 4, v28
	v_add_co_u32_e64 v6, s[2:3], v2, v6
	v_addc_co_u32_e64 v8, s[2:3], 0, v3, s[2:3]
	v_mad_i64_i32 v[2:3], s[2:3], s22, v4, 0
	s_load_dwordx2 s[6:7], s[6:7], 0x0
	s_waitcnt lgkmcnt(0)
	v_mov_b32_e32 v9, s21
	v_add_co_u32_e64 v7, s[2:3], s20, v6
	v_lshlrev_b64 v[2:3], 4, v[2:3]
	v_addc_co_u32_e64 v8, s[2:3], v9, v8, s[2:3]
	v_add_co_u32_e64 v2, s[2:3], v2, v5
	v_addc_co_u32_e64 v3, s[2:3], 0, v3, s[2:3]
	v_cmp_gt_i32_e32 vcc, s10, v4
	v_mov_b32_e32 v4, s7
	v_add_co_u32_e64 v9, s[2:3], s6, v2
	v_addc_co_u32_e64 v10, s[2:3], v4, v3, s[2:3]
	v_mov_b32_e32 v23, 0
	v_mov_b32_e32 v25, 0
	;; [unrolled: 1-line block ×8, first 2 shown]
	v_lshlrev_b32_e32 v31, 4, v0
	v_mov_b32_e32 v24, 0
	s_xor_b64 s[2:3], vcc, -1
	v_mov_b32_e32 v26, 0
	v_mov_b32_e32 v20, 0
	v_mov_b32_e32 v18, 0
	v_mov_b32_e32 v14, 0
	v_mov_b32_e32 v12, 0
	v_mov_b32_e32 v22, 0
	v_mov_b32_e32 v16, 0
	v_mov_b32_e32 v2, 0
	s_branch .LBB759_3
.LBB759_2:                              ;   in Loop: Header=BB759_3 Depth=1
	s_or_b64 exec, exec, s[6:7]
	s_waitcnt lgkmcnt(0)
	s_barrier
	ds_read_b128 v[3:6], v32
	ds_read_b128 v[33:36], v32 offset:16
	ds_read_b128 v[37:40], v32 offset:32
	ds_read_b128 v[41:44], v32 offset:48
	ds_read_b128 v[45:48], v31
	v_add_co_u32_e32 v7, vcc, 0x80, v7
	v_addc_co_u32_e32 v8, vcc, 0, v8, vcc
	s_waitcnt lgkmcnt(0)
	v_mul_f64 v[49:50], v[5:6], v[47:48]
	v_mul_f64 v[51:52], v[3:4], v[47:48]
	s_add_i32 s9, s9, 8
	v_add_co_u32_e32 v9, vcc, 0x80, v9
	v_addc_co_u32_e32 v10, vcc, 0, v10, vcc
	s_cmp_ge_i32 s9, s11
	v_fma_f64 v[49:50], v[3:4], v[45:46], -v[49:50]
	v_fma_f64 v[51:52], v[5:6], v[45:46], v[51:52]
	v_add_f64 v[15:16], v[15:16], v[49:50]
	v_add_f64 v[21:22], v[51:52], v[21:22]
	ds_read_b128 v[49:52], v31 offset:256
	s_waitcnt lgkmcnt(0)
	v_mul_f64 v[53:54], v[5:6], v[51:52]
	v_fma_f64 v[53:54], v[3:4], v[49:50], -v[53:54]
	v_mul_f64 v[3:4], v[3:4], v[51:52]
	v_add_f64 v[53:54], v[11:12], v[53:54]
	v_fma_f64 v[3:4], v[5:6], v[49:50], v[3:4]
	v_add_f64 v[55:56], v[3:4], v[13:14]
	ds_read_b128 v[3:6], v32 offset:2048
	s_waitcnt lgkmcnt(0)
	v_mul_f64 v[11:12], v[5:6], v[47:48]
	v_mul_f64 v[13:14], v[3:4], v[47:48]
	v_fma_f64 v[11:12], v[3:4], v[45:46], -v[11:12]
	v_fma_f64 v[13:14], v[5:6], v[45:46], v[13:14]
	v_add_f64 v[45:46], v[17:18], v[11:12]
	v_mul_f64 v[11:12], v[5:6], v[51:52]
	v_add_f64 v[19:20], v[13:14], v[19:20]
	v_fma_f64 v[11:12], v[3:4], v[49:50], -v[11:12]
	v_mul_f64 v[3:4], v[3:4], v[51:52]
	v_add_f64 v[25:26], v[25:26], v[11:12]
	v_fma_f64 v[3:4], v[5:6], v[49:50], v[3:4]
	v_add_f64 v[23:24], v[3:4], v[23:24]
	ds_read_b128 v[3:6], v31 offset:512
	s_waitcnt lgkmcnt(0)
	v_mul_f64 v[11:12], v[35:36], v[5:6]
	v_mul_f64 v[13:14], v[33:34], v[5:6]
	v_fma_f64 v[11:12], v[33:34], v[3:4], -v[11:12]
	v_fma_f64 v[13:14], v[35:36], v[3:4], v[13:14]
	v_add_f64 v[47:48], v[15:16], v[11:12]
	v_add_f64 v[21:22], v[13:14], v[21:22]
	ds_read_b128 v[11:14], v31 offset:768
	s_waitcnt lgkmcnt(0)
	v_mul_f64 v[15:16], v[35:36], v[13:14]
	v_mul_f64 v[17:18], v[33:34], v[13:14]
	v_fma_f64 v[15:16], v[33:34], v[11:12], -v[15:16]
	v_fma_f64 v[17:18], v[35:36], v[11:12], v[17:18]
	v_add_f64 v[33:34], v[53:54], v[15:16]
	v_add_f64 v[35:36], v[17:18], v[55:56]
	ds_read_b128 v[15:18], v32 offset:2064
	s_waitcnt lgkmcnt(0)
	v_mul_f64 v[49:50], v[17:18], v[5:6]
	v_mul_f64 v[5:6], v[15:16], v[5:6]
	v_fma_f64 v[49:50], v[15:16], v[3:4], -v[49:50]
	v_fma_f64 v[3:4], v[17:18], v[3:4], v[5:6]
	v_mul_f64 v[5:6], v[15:16], v[13:14]
	v_add_f64 v[45:46], v[45:46], v[49:50]
	v_add_f64 v[19:20], v[3:4], v[19:20]
	v_mul_f64 v[3:4], v[17:18], v[13:14]
	v_fma_f64 v[5:6], v[17:18], v[11:12], v[5:6]
	v_fma_f64 v[3:4], v[15:16], v[11:12], -v[3:4]
	v_add_f64 v[23:24], v[5:6], v[23:24]
	v_add_f64 v[25:26], v[25:26], v[3:4]
	ds_read_b128 v[3:6], v31 offset:1024
	s_waitcnt lgkmcnt(0)
	v_mul_f64 v[11:12], v[39:40], v[5:6]
	v_mul_f64 v[13:14], v[37:38], v[5:6]
	v_fma_f64 v[11:12], v[37:38], v[3:4], -v[11:12]
	v_fma_f64 v[13:14], v[39:40], v[3:4], v[13:14]
	v_add_f64 v[47:48], v[47:48], v[11:12]
	v_add_f64 v[21:22], v[13:14], v[21:22]
	ds_read_b128 v[11:14], v31 offset:1280
	s_waitcnt lgkmcnt(0)
	v_mul_f64 v[15:16], v[39:40], v[13:14]
	v_mul_f64 v[17:18], v[37:38], v[13:14]
	v_fma_f64 v[15:16], v[37:38], v[11:12], -v[15:16]
	v_fma_f64 v[17:18], v[39:40], v[11:12], v[17:18]
	v_add_f64 v[33:34], v[33:34], v[15:16]
	v_add_f64 v[35:36], v[17:18], v[35:36]
	ds_read_b128 v[15:18], v32 offset:2080
	s_waitcnt lgkmcnt(0)
	v_mul_f64 v[37:38], v[17:18], v[5:6]
	v_mul_f64 v[5:6], v[15:16], v[5:6]
	v_fma_f64 v[37:38], v[15:16], v[3:4], -v[37:38]
	v_fma_f64 v[3:4], v[17:18], v[3:4], v[5:6]
	v_mul_f64 v[5:6], v[15:16], v[13:14]
	v_add_f64 v[37:38], v[45:46], v[37:38]
	v_add_f64 v[19:20], v[3:4], v[19:20]
	v_mul_f64 v[3:4], v[17:18], v[13:14]
	v_fma_f64 v[5:6], v[17:18], v[11:12], v[5:6]
	v_fma_f64 v[3:4], v[15:16], v[11:12], -v[3:4]
	v_add_f64 v[23:24], v[5:6], v[23:24]
	;; [unrolled: 30-line block ×3, first 2 shown]
	v_add_f64 v[25:26], v[25:26], v[3:4]
	ds_read_b128 v[3:6], v32 offset:64
	ds_read_b128 v[11:14], v31 offset:2048
	s_waitcnt lgkmcnt(0)
	v_mul_f64 v[15:16], v[5:6], v[13:14]
	v_mul_f64 v[17:18], v[3:4], v[13:14]
	v_fma_f64 v[15:16], v[3:4], v[11:12], -v[15:16]
	v_fma_f64 v[17:18], v[5:6], v[11:12], v[17:18]
	v_add_f64 v[39:40], v[39:40], v[15:16]
	v_add_f64 v[21:22], v[17:18], v[21:22]
	ds_read_b128 v[15:18], v31 offset:2304
	s_waitcnt lgkmcnt(0)
	v_mul_f64 v[41:42], v[5:6], v[17:18]
	v_fma_f64 v[41:42], v[3:4], v[15:16], -v[41:42]
	v_mul_f64 v[3:4], v[3:4], v[17:18]
	v_add_f64 v[33:34], v[33:34], v[41:42]
	v_fma_f64 v[3:4], v[5:6], v[15:16], v[3:4]
	v_add_f64 v[35:36], v[3:4], v[35:36]
	ds_read_b128 v[3:6], v32 offset:2112
	s_waitcnt lgkmcnt(0)
	v_mul_f64 v[41:42], v[5:6], v[13:14]
	v_mul_f64 v[13:14], v[3:4], v[13:14]
	v_fma_f64 v[41:42], v[3:4], v[11:12], -v[41:42]
	v_fma_f64 v[11:12], v[5:6], v[11:12], v[13:14]
	v_add_f64 v[37:38], v[37:38], v[41:42]
	v_add_f64 v[19:20], v[11:12], v[19:20]
	v_mul_f64 v[11:12], v[5:6], v[17:18]
	v_fma_f64 v[11:12], v[3:4], v[15:16], -v[11:12]
	v_mul_f64 v[3:4], v[3:4], v[17:18]
	v_add_f64 v[25:26], v[25:26], v[11:12]
	v_fma_f64 v[3:4], v[5:6], v[15:16], v[3:4]
	v_add_f64 v[23:24], v[3:4], v[23:24]
	ds_read_b128 v[3:6], v32 offset:80
	ds_read_b128 v[11:14], v31 offset:2560
	s_waitcnt lgkmcnt(0)
	v_mul_f64 v[15:16], v[5:6], v[13:14]
	v_mul_f64 v[17:18], v[3:4], v[13:14]
	v_fma_f64 v[15:16], v[3:4], v[11:12], -v[15:16]
	v_fma_f64 v[17:18], v[5:6], v[11:12], v[17:18]
	v_add_f64 v[39:40], v[39:40], v[15:16]
	v_add_f64 v[21:22], v[17:18], v[21:22]
	ds_read_b128 v[15:18], v31 offset:2816
	s_waitcnt lgkmcnt(0)
	v_mul_f64 v[41:42], v[5:6], v[17:18]
	v_fma_f64 v[41:42], v[3:4], v[15:16], -v[41:42]
	v_mul_f64 v[3:4], v[3:4], v[17:18]
	v_add_f64 v[33:34], v[33:34], v[41:42]
	v_fma_f64 v[3:4], v[5:6], v[15:16], v[3:4]
	v_add_f64 v[35:36], v[3:4], v[35:36]
	ds_read_b128 v[3:6], v32 offset:2128
	s_waitcnt lgkmcnt(0)
	v_mul_f64 v[41:42], v[5:6], v[13:14]
	v_mul_f64 v[13:14], v[3:4], v[13:14]
	v_fma_f64 v[41:42], v[3:4], v[11:12], -v[41:42]
	v_fma_f64 v[11:12], v[5:6], v[11:12], v[13:14]
	v_add_f64 v[37:38], v[37:38], v[41:42]
	v_add_f64 v[19:20], v[11:12], v[19:20]
	v_mul_f64 v[11:12], v[5:6], v[17:18]
	v_fma_f64 v[11:12], v[3:4], v[15:16], -v[11:12]
	v_mul_f64 v[3:4], v[3:4], v[17:18]
	v_add_f64 v[25:26], v[25:26], v[11:12]
	v_fma_f64 v[3:4], v[5:6], v[15:16], v[3:4]
	;; [unrolled: 31-line block ×3, first 2 shown]
	v_add_f64 v[45:46], v[3:4], v[23:24]
	ds_read_b128 v[3:6], v32 offset:112
	ds_read_b128 v[17:20], v31 offset:3584
	;; [unrolled: 1-line block ×3, first 2 shown]
	s_waitcnt lgkmcnt(1)
	v_mul_f64 v[11:12], v[5:6], v[19:20]
	v_mul_f64 v[13:14], v[3:4], v[19:20]
	v_fma_f64 v[11:12], v[3:4], v[17:18], -v[11:12]
	v_fma_f64 v[13:14], v[5:6], v[17:18], v[13:14]
	v_add_f64 v[15:16], v[39:40], v[11:12]
	s_waitcnt lgkmcnt(0)
	v_mul_f64 v[11:12], v[5:6], v[25:26]
	v_add_f64 v[21:22], v[13:14], v[21:22]
	v_fma_f64 v[11:12], v[3:4], v[23:24], -v[11:12]
	v_mul_f64 v[3:4], v[3:4], v[25:26]
	v_add_f64 v[11:12], v[33:34], v[11:12]
	v_fma_f64 v[3:4], v[5:6], v[23:24], v[3:4]
	v_add_f64 v[13:14], v[3:4], v[35:36]
	ds_read_b128 v[3:6], v32 offset:2160
	s_waitcnt lgkmcnt(0)
	s_barrier
	v_mul_f64 v[33:34], v[5:6], v[19:20]
	v_mul_f64 v[19:20], v[3:4], v[19:20]
	v_fma_f64 v[33:34], v[3:4], v[17:18], -v[33:34]
	v_fma_f64 v[19:20], v[5:6], v[17:18], v[19:20]
	v_add_f64 v[17:18], v[37:38], v[33:34]
	v_mul_f64 v[33:34], v[5:6], v[25:26]
	v_add_f64 v[19:20], v[19:20], v[41:42]
	v_fma_f64 v[33:34], v[3:4], v[23:24], -v[33:34]
	v_mul_f64 v[3:4], v[3:4], v[25:26]
	v_add_f64 v[25:26], v[43:44], v[33:34]
	v_fma_f64 v[3:4], v[5:6], v[23:24], v[3:4]
	v_add_f64 v[23:24], v[3:4], v[45:46]
	s_cbranch_scc1 .LBB759_10
.LBB759_3:                              ; =>This Inner Loop Header: Depth=1
	v_add_u32_e32 v3, s9, v28
	v_cmp_gt_i32_e32 vcc, s11, v3
	v_mov_b32_e32 v3, 0
	v_mov_b32_e32 v5, 0
	;; [unrolled: 1-line block ×4, first 2 shown]
	s_and_b64 s[20:21], s[0:1], vcc
	s_and_saveexec_b64 s[6:7], s[20:21]
	s_cbranch_execz .LBB759_5
; %bb.4:                                ;   in Loop: Header=BB759_3 Depth=1
	flat_load_dwordx4 v[3:6], v[7:8]
.LBB759_5:                              ;   in Loop: Header=BB759_3 Depth=1
	s_or_b64 exec, exec, s[6:7]
	s_waitcnt vmcnt(0) lgkmcnt(0)
	ds_write_b128 v29, v[3:6]
	v_add_u32_e32 v3, s9, v27
	v_cmp_le_i32_e32 vcc, s11, v3
	s_or_b64 s[6:7], vcc, s[2:3]
	s_and_saveexec_b64 s[20:21], s[6:7]
	s_xor_b64 s[6:7], exec, s[20:21]
; %bb.6:                                ;   in Loop: Header=BB759_3 Depth=1
	v_mov_b32_e32 v3, v2
	v_mov_b32_e32 v4, v2
	;; [unrolled: 1-line block ×3, first 2 shown]
	ds_write_b128 v30, v[2:5]
; %bb.7:                                ;   in Loop: Header=BB759_3 Depth=1
	s_andn2_saveexec_b64 s[6:7], s[6:7]
	s_cbranch_execz .LBB759_2
; %bb.8:                                ;   in Loop: Header=BB759_3 Depth=1
	flat_load_dwordx4 v[3:6], v[9:10]
	s_waitcnt vmcnt(0) lgkmcnt(0)
	ds_write2_b64 v30, v[3:4], v[5:6] offset1:1
	s_branch .LBB759_2
.LBB759_9:
	v_mov_b32_e32 v15, 0
	v_mov_b32_e32 v21, 0
	v_mov_b32_e32 v11, 0
	v_mov_b32_e32 v13, 0
	v_mov_b32_e32 v17, 0
	v_mov_b32_e32 v19, 0
	v_mov_b32_e32 v25, 0
	v_mov_b32_e32 v23, 0
	v_mov_b32_e32 v16, 0
	v_mov_b32_e32 v22, 0
	v_mov_b32_e32 v12, 0
	v_mov_b32_e32 v14, 0
	v_mov_b32_e32 v18, 0
	v_mov_b32_e32 v20, 0
	v_mov_b32_e32 v26, 0
	v_mov_b32_e32 v24, 0
.LBB759_10:
	s_load_dword s4, s[4:5], 0x60
	v_add_u32_e32 v4, s18, v1
	s_waitcnt lgkmcnt(0)
	v_mov_b32_e32 v3, s17
	v_add_u32_e32 v0, s8, v0
	v_cmp_gt_i32_e32 vcc, s10, v4
	v_mad_i64_i32 v[1:2], s[0:1], v4, s4, 0
	v_lshlrev_b64 v[1:2], 4, v[1:2]
	v_add_co_u32_e64 v5, s[0:1], s16, v1
	v_addc_co_u32_e64 v6, s[0:1], v3, v2, s[0:1]
	v_cmp_le_i32_e64 s[0:1], v0, v4
	s_and_b64 s[0:1], vcc, s[0:1]
	s_and_saveexec_b64 s[2:3], s[0:1]
	s_cbranch_execz .LBB759_12
; %bb.11:
	v_mul_f64 v[1:2], s[14:15], v[21:22]
	v_mul_f64 v[9:10], s[12:13], v[21:22]
	v_fma_f64 v[7:8], s[12:13], v[15:16], -v[1:2]
	v_fma_f64 v[9:10], s[14:15], v[15:16], v[9:10]
	v_ashrrev_i32_e32 v1, 31, v0
	v_lshlrev_b64 v[1:2], 4, v[0:1]
	v_add_co_u32_e64 v1, s[0:1], v5, v1
	v_addc_co_u32_e64 v2, s[0:1], v6, v2, s[0:1]
	flat_store_dwordx4 v[1:2], v[7:10]
.LBB759_12:
	s_or_b64 exec, exec, s[2:3]
	v_add_u32_e32 v2, 16, v0
	v_cmp_le_i32_e64 s[0:1], v2, v4
	s_and_b64 s[2:3], vcc, s[0:1]
	s_and_saveexec_b64 s[0:1], s[2:3]
	s_cbranch_execz .LBB759_14
; %bb.13:
	v_mul_f64 v[7:8], s[14:15], v[13:14]
	v_mul_f64 v[9:10], s[12:13], v[13:14]
	v_ashrrev_i32_e32 v3, 31, v2
	v_fma_f64 v[7:8], s[12:13], v[11:12], -v[7:8]
	v_fma_f64 v[9:10], s[14:15], v[11:12], v[9:10]
	v_lshlrev_b64 v[11:12], 4, v[2:3]
	v_add_co_u32_e32 v5, vcc, v5, v11
	v_addc_co_u32_e32 v6, vcc, v6, v12, vcc
	flat_store_dwordx4 v[5:6], v[7:10]
.LBB759_14:
	s_or_b64 exec, exec, s[0:1]
	v_add_u32_e32 v3, 16, v4
	v_mad_i64_i32 v[4:5], s[0:1], v3, s4, 0
	v_mov_b32_e32 v1, s17
	v_cmp_gt_i32_e32 vcc, s10, v3
	v_lshlrev_b64 v[4:5], 4, v[4:5]
	v_add_co_u32_e64 v4, s[0:1], s16, v4
	v_addc_co_u32_e64 v5, s[0:1], v1, v5, s[0:1]
	v_cmp_le_i32_e64 s[0:1], v0, v3
	s_and_b64 s[0:1], vcc, s[0:1]
	s_and_saveexec_b64 s[2:3], s[0:1]
	s_cbranch_execz .LBB759_16
; %bb.15:
	v_mul_f64 v[6:7], s[14:15], v[19:20]
	v_mul_f64 v[8:9], s[12:13], v[19:20]
	v_ashrrev_i32_e32 v1, 31, v0
	v_lshlrev_b64 v[0:1], 4, v[0:1]
	v_add_co_u32_e64 v0, s[0:1], v4, v0
	v_addc_co_u32_e64 v1, s[0:1], v5, v1, s[0:1]
	v_fma_f64 v[6:7], s[12:13], v[17:18], -v[6:7]
	v_fma_f64 v[8:9], s[14:15], v[17:18], v[8:9]
	flat_store_dwordx4 v[0:1], v[6:9]
.LBB759_16:
	s_or_b64 exec, exec, s[2:3]
	v_cmp_le_i32_e64 s[0:1], v2, v3
	s_and_b64 s[0:1], vcc, s[0:1]
	s_and_saveexec_b64 s[2:3], s[0:1]
	s_cbranch_execz .LBB759_18
; %bb.17:
	v_mul_f64 v[0:1], s[14:15], v[23:24]
	v_mul_f64 v[8:9], s[12:13], v[23:24]
	v_ashrrev_i32_e32 v3, 31, v2
	v_fma_f64 v[6:7], s[12:13], v[25:26], -v[0:1]
	v_fma_f64 v[8:9], s[14:15], v[25:26], v[8:9]
	v_lshlrev_b64 v[0:1], 4, v[2:3]
	v_add_co_u32_e32 v0, vcc, v4, v0
	v_addc_co_u32_e32 v1, vcc, v5, v1, vcc
	flat_store_dwordx4 v[0:1], v[6:9]
.LBB759_18:
	s_endpgm
	.section	.rodata,"a",@progbits
	.p2align	6, 0x0
	.amdhsa_kernel _ZL34rocblas_syrkx_herkx_general_kernelIi19rocblas_complex_numIdELi16ELi32ELi8ELb1ELb0ELc67ELc85EKPKS1_KPS1_EviT_T0_PT8_S7_lSA_S7_lS8_PT9_S7_li
		.amdhsa_group_segment_fixed_size 8192
		.amdhsa_private_segment_fixed_size 0
		.amdhsa_kernarg_size 116
		.amdhsa_user_sgpr_count 6
		.amdhsa_user_sgpr_private_segment_buffer 1
		.amdhsa_user_sgpr_dispatch_ptr 0
		.amdhsa_user_sgpr_queue_ptr 0
		.amdhsa_user_sgpr_kernarg_segment_ptr 1
		.amdhsa_user_sgpr_dispatch_id 0
		.amdhsa_user_sgpr_flat_scratch_init 0
		.amdhsa_user_sgpr_private_segment_size 0
		.amdhsa_uses_dynamic_stack 0
		.amdhsa_system_sgpr_private_segment_wavefront_offset 0
		.amdhsa_system_sgpr_workgroup_id_x 1
		.amdhsa_system_sgpr_workgroup_id_y 1
		.amdhsa_system_sgpr_workgroup_id_z 1
		.amdhsa_system_sgpr_workgroup_info 0
		.amdhsa_system_vgpr_workitem_id 1
		.amdhsa_next_free_vgpr 57
		.amdhsa_next_free_sgpr 61
		.amdhsa_reserve_vcc 1
		.amdhsa_reserve_flat_scratch 0
		.amdhsa_float_round_mode_32 0
		.amdhsa_float_round_mode_16_64 0
		.amdhsa_float_denorm_mode_32 3
		.amdhsa_float_denorm_mode_16_64 3
		.amdhsa_dx10_clamp 1
		.amdhsa_ieee_mode 1
		.amdhsa_fp16_overflow 0
		.amdhsa_exception_fp_ieee_invalid_op 0
		.amdhsa_exception_fp_denorm_src 0
		.amdhsa_exception_fp_ieee_div_zero 0
		.amdhsa_exception_fp_ieee_overflow 0
		.amdhsa_exception_fp_ieee_underflow 0
		.amdhsa_exception_fp_ieee_inexact 0
		.amdhsa_exception_int_div_zero 0
	.end_amdhsa_kernel
	.section	.text._ZL34rocblas_syrkx_herkx_general_kernelIi19rocblas_complex_numIdELi16ELi32ELi8ELb1ELb0ELc67ELc85EKPKS1_KPS1_EviT_T0_PT8_S7_lSA_S7_lS8_PT9_S7_li,"axG",@progbits,_ZL34rocblas_syrkx_herkx_general_kernelIi19rocblas_complex_numIdELi16ELi32ELi8ELb1ELb0ELc67ELc85EKPKS1_KPS1_EviT_T0_PT8_S7_lSA_S7_lS8_PT9_S7_li,comdat
.Lfunc_end759:
	.size	_ZL34rocblas_syrkx_herkx_general_kernelIi19rocblas_complex_numIdELi16ELi32ELi8ELb1ELb0ELc67ELc85EKPKS1_KPS1_EviT_T0_PT8_S7_lSA_S7_lS8_PT9_S7_li, .Lfunc_end759-_ZL34rocblas_syrkx_herkx_general_kernelIi19rocblas_complex_numIdELi16ELi32ELi8ELb1ELb0ELc67ELc85EKPKS1_KPS1_EviT_T0_PT8_S7_lSA_S7_lS8_PT9_S7_li
                                        ; -- End function
	.set _ZL34rocblas_syrkx_herkx_general_kernelIi19rocblas_complex_numIdELi16ELi32ELi8ELb1ELb0ELc67ELc85EKPKS1_KPS1_EviT_T0_PT8_S7_lSA_S7_lS8_PT9_S7_li.num_vgpr, 57
	.set _ZL34rocblas_syrkx_herkx_general_kernelIi19rocblas_complex_numIdELi16ELi32ELi8ELb1ELb0ELc67ELc85EKPKS1_KPS1_EviT_T0_PT8_S7_lSA_S7_lS8_PT9_S7_li.num_agpr, 0
	.set _ZL34rocblas_syrkx_herkx_general_kernelIi19rocblas_complex_numIdELi16ELi32ELi8ELb1ELb0ELc67ELc85EKPKS1_KPS1_EviT_T0_PT8_S7_lSA_S7_lS8_PT9_S7_li.numbered_sgpr, 23
	.set _ZL34rocblas_syrkx_herkx_general_kernelIi19rocblas_complex_numIdELi16ELi32ELi8ELb1ELb0ELc67ELc85EKPKS1_KPS1_EviT_T0_PT8_S7_lSA_S7_lS8_PT9_S7_li.num_named_barrier, 0
	.set _ZL34rocblas_syrkx_herkx_general_kernelIi19rocblas_complex_numIdELi16ELi32ELi8ELb1ELb0ELc67ELc85EKPKS1_KPS1_EviT_T0_PT8_S7_lSA_S7_lS8_PT9_S7_li.private_seg_size, 0
	.set _ZL34rocblas_syrkx_herkx_general_kernelIi19rocblas_complex_numIdELi16ELi32ELi8ELb1ELb0ELc67ELc85EKPKS1_KPS1_EviT_T0_PT8_S7_lSA_S7_lS8_PT9_S7_li.uses_vcc, 1
	.set _ZL34rocblas_syrkx_herkx_general_kernelIi19rocblas_complex_numIdELi16ELi32ELi8ELb1ELb0ELc67ELc85EKPKS1_KPS1_EviT_T0_PT8_S7_lSA_S7_lS8_PT9_S7_li.uses_flat_scratch, 0
	.set _ZL34rocblas_syrkx_herkx_general_kernelIi19rocblas_complex_numIdELi16ELi32ELi8ELb1ELb0ELc67ELc85EKPKS1_KPS1_EviT_T0_PT8_S7_lSA_S7_lS8_PT9_S7_li.has_dyn_sized_stack, 0
	.set _ZL34rocblas_syrkx_herkx_general_kernelIi19rocblas_complex_numIdELi16ELi32ELi8ELb1ELb0ELc67ELc85EKPKS1_KPS1_EviT_T0_PT8_S7_lSA_S7_lS8_PT9_S7_li.has_recursion, 0
	.set _ZL34rocblas_syrkx_herkx_general_kernelIi19rocblas_complex_numIdELi16ELi32ELi8ELb1ELb0ELc67ELc85EKPKS1_KPS1_EviT_T0_PT8_S7_lSA_S7_lS8_PT9_S7_li.has_indirect_call, 0
	.section	.AMDGPU.csdata,"",@progbits
; Kernel info:
; codeLenInByte = 3020
; TotalNumSgprs: 27
; NumVgprs: 57
; ScratchSize: 0
; MemoryBound: 1
; FloatMode: 240
; IeeeMode: 1
; LDSByteSize: 8192 bytes/workgroup (compile time only)
; SGPRBlocks: 8
; VGPRBlocks: 14
; NumSGPRsForWavesPerEU: 65
; NumVGPRsForWavesPerEU: 57
; Occupancy: 4
; WaveLimiterHint : 1
; COMPUTE_PGM_RSRC2:SCRATCH_EN: 0
; COMPUTE_PGM_RSRC2:USER_SGPR: 6
; COMPUTE_PGM_RSRC2:TRAP_HANDLER: 0
; COMPUTE_PGM_RSRC2:TGID_X_EN: 1
; COMPUTE_PGM_RSRC2:TGID_Y_EN: 1
; COMPUTE_PGM_RSRC2:TGID_Z_EN: 1
; COMPUTE_PGM_RSRC2:TIDIG_COMP_CNT: 1
	.section	.text._ZL34rocblas_syrkx_herkx_general_kernelIi19rocblas_complex_numIdELi16ELi32ELi8ELb1ELb0ELc78ELc85EKPKS1_KPS1_EviT_T0_PT8_S7_lSA_S7_lS8_PT9_S7_li,"axG",@progbits,_ZL34rocblas_syrkx_herkx_general_kernelIi19rocblas_complex_numIdELi16ELi32ELi8ELb1ELb0ELc78ELc85EKPKS1_KPS1_EviT_T0_PT8_S7_lSA_S7_lS8_PT9_S7_li,comdat
	.globl	_ZL34rocblas_syrkx_herkx_general_kernelIi19rocblas_complex_numIdELi16ELi32ELi8ELb1ELb0ELc78ELc85EKPKS1_KPS1_EviT_T0_PT8_S7_lSA_S7_lS8_PT9_S7_li ; -- Begin function _ZL34rocblas_syrkx_herkx_general_kernelIi19rocblas_complex_numIdELi16ELi32ELi8ELb1ELb0ELc78ELc85EKPKS1_KPS1_EviT_T0_PT8_S7_lSA_S7_lS8_PT9_S7_li
	.p2align	8
	.type	_ZL34rocblas_syrkx_herkx_general_kernelIi19rocblas_complex_numIdELi16ELi32ELi8ELb1ELb0ELc78ELc85EKPKS1_KPS1_EviT_T0_PT8_S7_lSA_S7_lS8_PT9_S7_li,@function
_ZL34rocblas_syrkx_herkx_general_kernelIi19rocblas_complex_numIdELi16ELi32ELi8ELb1ELb0ELc78ELc85EKPKS1_KPS1_EviT_T0_PT8_S7_lSA_S7_lS8_PT9_S7_li: ; @_ZL34rocblas_syrkx_herkx_general_kernelIi19rocblas_complex_numIdELi16ELi32ELi8ELb1ELb0ELc78ELc85EKPKS1_KPS1_EviT_T0_PT8_S7_lSA_S7_lS8_PT9_S7_li
; %bb.0:
	s_load_dwordx2 s[0:1], s[4:5], 0x18
	s_load_dwordx2 s[16:17], s[4:5], 0x58
	;; [unrolled: 1-line block ×3, first 2 shown]
	s_load_dwordx4 s[12:15], s[4:5], 0x8
	s_mov_b32 s9, 0
	s_lshl_b64 s[2:3], s[8:9], 3
	s_waitcnt lgkmcnt(0)
	s_add_u32 s16, s16, s2
	s_addc_u32 s17, s17, s3
	s_load_dwordx2 s[16:17], s[16:17], 0x0
	s_lshl_b32 s8, s6, 5
	s_lshl_b32 s20, s7, 5
	s_cmp_lt_i32 s11, 1
	s_cbranch_scc1 .LBB760_9
; %bb.1:
	s_load_dword s6, s[4:5], 0x20
	s_load_dword s18, s[4:5], 0x38
	s_load_dwordx2 s[22:23], s[4:5], 0x30
	v_lshl_add_u32 v3, v1, 4, v0
	v_and_b32_e32 v6, 31, v3
	s_waitcnt lgkmcnt(0)
	s_ashr_i32 s7, s6, 31
	s_ashr_i32 s19, s18, 31
	s_add_u32 s22, s22, s2
	s_addc_u32 s23, s23, s3
	s_add_u32 s0, s0, s2
	v_lshrrev_b32_e32 v28, 5, v3
	v_lshrrev_b32_e32 v4, 3, v3
	v_or_b32_e32 v3, s8, v6
	s_addc_u32 s1, s1, s3
	v_and_b32_e32 v27, 7, v0
	s_load_dwordx2 s[24:25], s[0:1], 0x0
	v_cmp_gt_i32_e64 s[0:1], s10, v3
	v_lshlrev_b32_e32 v3, 4, v6
	v_lshl_or_b32 v29, v28, 9, v3
	v_lshlrev_b32_e32 v3, 4, v27
	v_add_u32_e32 v2, s20, v4
	v_lshl_or_b32 v3, v4, 7, v3
	v_mad_i64_i32 v[4:5], s[2:3], v28, s6, 0
	v_mov_b32_e32 v7, 0x1000
	v_add_u32_e32 v6, s8, v6
	v_lshl_add_u32 v32, v1, 7, v7
	v_ashrrev_i32_e32 v7, 31, v6
	v_lshlrev_b64 v[4:5], 4, v[4:5]
	v_lshlrev_b64 v[6:7], 4, v[6:7]
	s_load_dwordx2 s[22:23], s[22:23], 0x0
	v_add_co_u32_e64 v6, s[2:3], v4, v6
	v_addc_co_u32_e64 v8, s[2:3], v5, v7, s[2:3]
	v_mad_i64_i32 v[4:5], s[2:3], s18, v27, 0
	v_add_u32_e32 v30, 0x1000, v3
	v_ashrrev_i32_e32 v3, 31, v2
	v_cmp_gt_i32_e32 vcc, s10, v2
	s_waitcnt lgkmcnt(0)
	v_mov_b32_e32 v9, s25
	v_add_co_u32_e64 v7, s[2:3], s24, v6
	v_lshlrev_b64 v[4:5], 4, v[4:5]
	v_lshlrev_b64 v[2:3], 4, v[2:3]
	v_addc_co_u32_e64 v8, s[2:3], v9, v8, s[2:3]
	v_add_co_u32_e64 v2, s[2:3], v4, v2
	v_addc_co_u32_e64 v3, s[2:3], v5, v3, s[2:3]
	v_mov_b32_e32 v4, s23
	v_add_co_u32_e64 v9, s[2:3], s22, v2
	v_addc_co_u32_e64 v10, s[2:3], v4, v3, s[2:3]
	s_lshl_b64 s[6:7], s[6:7], 7
	s_lshl_b64 s[2:3], s[18:19], 7
	v_mov_b32_e32 v23, 0
	v_mov_b32_e32 v25, 0
	;; [unrolled: 1-line block ×8, first 2 shown]
	v_lshlrev_b32_e32 v31, 4, v0
	v_mov_b32_e32 v24, 0
	s_xor_b64 s[18:19], s[0:1], -1
	v_mov_b32_e32 v33, s7
	v_mov_b32_e32 v34, s3
	;; [unrolled: 1-line block ×10, first 2 shown]
	s_branch .LBB760_3
.LBB760_2:                              ;   in Loop: Header=BB760_3 Depth=1
	s_or_b64 exec, exec, s[0:1]
	s_waitcnt vmcnt(0) lgkmcnt(0)
	ds_write_b128 v30, v[3:6]
	s_waitcnt lgkmcnt(0)
	s_barrier
	ds_read_b128 v[3:6], v32
	ds_read_b128 v[35:38], v32 offset:16
	ds_read_b128 v[39:42], v32 offset:32
	;; [unrolled: 1-line block ×3, first 2 shown]
	ds_read_b128 v[47:50], v31
	v_add_co_u32_e64 v7, s[0:1], s6, v7
	v_addc_co_u32_e64 v8, s[0:1], v8, v33, s[0:1]
	s_waitcnt lgkmcnt(0)
	v_mul_f64 v[51:52], v[5:6], v[49:50]
	v_mul_f64 v[53:54], v[3:4], v[49:50]
	s_add_i32 s9, s9, 8
	v_add_co_u32_e64 v9, s[0:1], s2, v9
	v_addc_co_u32_e64 v10, s[0:1], v10, v34, s[0:1]
	s_cmp_ge_i32 s9, s11
	v_fma_f64 v[51:52], v[3:4], v[47:48], -v[51:52]
	v_fma_f64 v[53:54], v[5:6], v[47:48], v[53:54]
	v_add_f64 v[51:52], v[15:16], v[51:52]
	v_add_f64 v[53:54], v[53:54], v[17:18]
	ds_read_b128 v[15:18], v31 offset:256
	s_waitcnt lgkmcnt(0)
	v_mul_f64 v[55:56], v[5:6], v[17:18]
	v_fma_f64 v[55:56], v[3:4], v[15:16], -v[55:56]
	v_mul_f64 v[3:4], v[3:4], v[17:18]
	v_add_f64 v[55:56], v[11:12], v[55:56]
	v_fma_f64 v[3:4], v[5:6], v[15:16], v[3:4]
	v_add_f64 v[57:58], v[3:4], v[13:14]
	ds_read_b128 v[3:6], v32 offset:2048
	s_waitcnt lgkmcnt(0)
	v_mul_f64 v[11:12], v[5:6], v[49:50]
	v_mul_f64 v[13:14], v[3:4], v[49:50]
	v_fma_f64 v[11:12], v[3:4], v[47:48], -v[11:12]
	v_fma_f64 v[13:14], v[5:6], v[47:48], v[13:14]
	v_add_f64 v[19:20], v[19:20], v[11:12]
	v_mul_f64 v[11:12], v[5:6], v[17:18]
	v_add_f64 v[21:22], v[13:14], v[21:22]
	v_fma_f64 v[11:12], v[3:4], v[15:16], -v[11:12]
	v_mul_f64 v[3:4], v[3:4], v[17:18]
	v_add_f64 v[25:26], v[25:26], v[11:12]
	v_fma_f64 v[3:4], v[5:6], v[15:16], v[3:4]
	v_add_f64 v[23:24], v[3:4], v[23:24]
	ds_read_b128 v[3:6], v31 offset:512
	s_waitcnt lgkmcnt(0)
	v_mul_f64 v[11:12], v[37:38], v[5:6]
	v_mul_f64 v[13:14], v[35:36], v[5:6]
	v_fma_f64 v[11:12], v[35:36], v[3:4], -v[11:12]
	v_fma_f64 v[13:14], v[37:38], v[3:4], v[13:14]
	v_add_f64 v[47:48], v[51:52], v[11:12]
	v_add_f64 v[49:50], v[13:14], v[53:54]
	ds_read_b128 v[11:14], v31 offset:768
	s_waitcnt lgkmcnt(0)
	v_mul_f64 v[15:16], v[37:38], v[13:14]
	v_mul_f64 v[17:18], v[35:36], v[13:14]
	v_fma_f64 v[15:16], v[35:36], v[11:12], -v[15:16]
	v_fma_f64 v[17:18], v[37:38], v[11:12], v[17:18]
	v_add_f64 v[35:36], v[55:56], v[15:16]
	v_add_f64 v[37:38], v[17:18], v[57:58]
	ds_read_b128 v[15:18], v32 offset:2064
	s_waitcnt lgkmcnt(0)
	v_mul_f64 v[51:52], v[17:18], v[5:6]
	v_mul_f64 v[5:6], v[15:16], v[5:6]
	v_fma_f64 v[51:52], v[15:16], v[3:4], -v[51:52]
	v_fma_f64 v[3:4], v[17:18], v[3:4], v[5:6]
	v_mul_f64 v[5:6], v[15:16], v[13:14]
	v_add_f64 v[19:20], v[19:20], v[51:52]
	v_add_f64 v[21:22], v[3:4], v[21:22]
	v_mul_f64 v[3:4], v[17:18], v[13:14]
	v_fma_f64 v[5:6], v[17:18], v[11:12], v[5:6]
	v_fma_f64 v[3:4], v[15:16], v[11:12], -v[3:4]
	v_add_f64 v[23:24], v[5:6], v[23:24]
	v_add_f64 v[25:26], v[25:26], v[3:4]
	ds_read_b128 v[3:6], v31 offset:1024
	s_waitcnt lgkmcnt(0)
	v_mul_f64 v[11:12], v[41:42], v[5:6]
	v_mul_f64 v[13:14], v[39:40], v[5:6]
	v_fma_f64 v[11:12], v[39:40], v[3:4], -v[11:12]
	v_fma_f64 v[13:14], v[41:42], v[3:4], v[13:14]
	v_add_f64 v[47:48], v[47:48], v[11:12]
	v_add_f64 v[49:50], v[13:14], v[49:50]
	ds_read_b128 v[11:14], v31 offset:1280
	s_waitcnt lgkmcnt(0)
	v_mul_f64 v[15:16], v[41:42], v[13:14]
	v_mul_f64 v[17:18], v[39:40], v[13:14]
	v_fma_f64 v[15:16], v[39:40], v[11:12], -v[15:16]
	v_fma_f64 v[17:18], v[41:42], v[11:12], v[17:18]
	v_add_f64 v[35:36], v[35:36], v[15:16]
	v_add_f64 v[37:38], v[17:18], v[37:38]
	ds_read_b128 v[15:18], v32 offset:2080
	s_waitcnt lgkmcnt(0)
	v_mul_f64 v[39:40], v[17:18], v[5:6]
	v_mul_f64 v[5:6], v[15:16], v[5:6]
	v_fma_f64 v[39:40], v[15:16], v[3:4], -v[39:40]
	v_fma_f64 v[3:4], v[17:18], v[3:4], v[5:6]
	v_mul_f64 v[5:6], v[15:16], v[13:14]
	v_add_f64 v[19:20], v[19:20], v[39:40]
	v_add_f64 v[21:22], v[3:4], v[21:22]
	v_mul_f64 v[3:4], v[17:18], v[13:14]
	v_fma_f64 v[5:6], v[17:18], v[11:12], v[5:6]
	v_fma_f64 v[3:4], v[15:16], v[11:12], -v[3:4]
	v_add_f64 v[23:24], v[5:6], v[23:24]
	;; [unrolled: 30-line block ×3, first 2 shown]
	v_add_f64 v[25:26], v[25:26], v[3:4]
	ds_read_b128 v[3:6], v32 offset:64
	ds_read_b128 v[11:14], v31 offset:2048
	s_waitcnt lgkmcnt(0)
	v_mul_f64 v[15:16], v[5:6], v[13:14]
	v_mul_f64 v[17:18], v[3:4], v[13:14]
	v_fma_f64 v[15:16], v[3:4], v[11:12], -v[15:16]
	v_fma_f64 v[17:18], v[5:6], v[11:12], v[17:18]
	v_add_f64 v[39:40], v[39:40], v[15:16]
	v_add_f64 v[41:42], v[17:18], v[41:42]
	ds_read_b128 v[15:18], v31 offset:2304
	s_waitcnt lgkmcnt(0)
	v_mul_f64 v[43:44], v[5:6], v[17:18]
	v_fma_f64 v[43:44], v[3:4], v[15:16], -v[43:44]
	v_mul_f64 v[3:4], v[3:4], v[17:18]
	v_add_f64 v[35:36], v[35:36], v[43:44]
	v_fma_f64 v[3:4], v[5:6], v[15:16], v[3:4]
	v_add_f64 v[37:38], v[3:4], v[37:38]
	ds_read_b128 v[3:6], v32 offset:2112
	s_waitcnt lgkmcnt(0)
	v_mul_f64 v[43:44], v[5:6], v[13:14]
	v_mul_f64 v[13:14], v[3:4], v[13:14]
	v_fma_f64 v[43:44], v[3:4], v[11:12], -v[43:44]
	v_fma_f64 v[11:12], v[5:6], v[11:12], v[13:14]
	v_add_f64 v[19:20], v[19:20], v[43:44]
	v_add_f64 v[21:22], v[11:12], v[21:22]
	v_mul_f64 v[11:12], v[5:6], v[17:18]
	v_fma_f64 v[11:12], v[3:4], v[15:16], -v[11:12]
	v_mul_f64 v[3:4], v[3:4], v[17:18]
	v_add_f64 v[25:26], v[25:26], v[11:12]
	v_fma_f64 v[3:4], v[5:6], v[15:16], v[3:4]
	v_add_f64 v[23:24], v[3:4], v[23:24]
	ds_read_b128 v[3:6], v32 offset:80
	ds_read_b128 v[11:14], v31 offset:2560
	s_waitcnt lgkmcnt(0)
	v_mul_f64 v[15:16], v[5:6], v[13:14]
	v_mul_f64 v[17:18], v[3:4], v[13:14]
	v_fma_f64 v[15:16], v[3:4], v[11:12], -v[15:16]
	v_fma_f64 v[17:18], v[5:6], v[11:12], v[17:18]
	v_add_f64 v[39:40], v[39:40], v[15:16]
	v_add_f64 v[41:42], v[17:18], v[41:42]
	ds_read_b128 v[15:18], v31 offset:2816
	s_waitcnt lgkmcnt(0)
	v_mul_f64 v[43:44], v[5:6], v[17:18]
	v_fma_f64 v[43:44], v[3:4], v[15:16], -v[43:44]
	v_mul_f64 v[3:4], v[3:4], v[17:18]
	v_add_f64 v[35:36], v[35:36], v[43:44]
	v_fma_f64 v[3:4], v[5:6], v[15:16], v[3:4]
	v_add_f64 v[37:38], v[3:4], v[37:38]
	ds_read_b128 v[3:6], v32 offset:2128
	s_waitcnt lgkmcnt(0)
	v_mul_f64 v[43:44], v[5:6], v[13:14]
	v_mul_f64 v[13:14], v[3:4], v[13:14]
	v_fma_f64 v[43:44], v[3:4], v[11:12], -v[43:44]
	v_fma_f64 v[11:12], v[5:6], v[11:12], v[13:14]
	v_add_f64 v[19:20], v[19:20], v[43:44]
	v_add_f64 v[21:22], v[11:12], v[21:22]
	v_mul_f64 v[11:12], v[5:6], v[17:18]
	v_fma_f64 v[11:12], v[3:4], v[15:16], -v[11:12]
	v_mul_f64 v[3:4], v[3:4], v[17:18]
	v_add_f64 v[25:26], v[25:26], v[11:12]
	v_fma_f64 v[3:4], v[5:6], v[15:16], v[3:4]
	;; [unrolled: 31-line block ×3, first 2 shown]
	v_add_f64 v[49:50], v[3:4], v[23:24]
	ds_read_b128 v[3:6], v32 offset:112
	ds_read_b128 v[19:22], v31 offset:3584
	;; [unrolled: 1-line block ×3, first 2 shown]
	s_waitcnt lgkmcnt(1)
	v_mul_f64 v[11:12], v[5:6], v[21:22]
	v_mul_f64 v[13:14], v[3:4], v[21:22]
	v_fma_f64 v[11:12], v[3:4], v[19:20], -v[11:12]
	v_fma_f64 v[13:14], v[5:6], v[19:20], v[13:14]
	v_add_f64 v[15:16], v[39:40], v[11:12]
	s_waitcnt lgkmcnt(0)
	v_mul_f64 v[11:12], v[5:6], v[25:26]
	v_add_f64 v[17:18], v[13:14], v[41:42]
	v_fma_f64 v[11:12], v[3:4], v[23:24], -v[11:12]
	v_mul_f64 v[3:4], v[3:4], v[25:26]
	v_add_f64 v[11:12], v[35:36], v[11:12]
	v_fma_f64 v[3:4], v[5:6], v[23:24], v[3:4]
	v_add_f64 v[13:14], v[3:4], v[37:38]
	ds_read_b128 v[3:6], v32 offset:2160
	s_waitcnt lgkmcnt(0)
	s_barrier
	v_mul_f64 v[35:36], v[5:6], v[21:22]
	v_mul_f64 v[21:22], v[3:4], v[21:22]
	v_fma_f64 v[35:36], v[3:4], v[19:20], -v[35:36]
	v_fma_f64 v[21:22], v[5:6], v[19:20], v[21:22]
	v_add_f64 v[19:20], v[43:44], v[35:36]
	v_mul_f64 v[35:36], v[5:6], v[25:26]
	v_add_f64 v[21:22], v[21:22], v[45:46]
	v_fma_f64 v[35:36], v[3:4], v[23:24], -v[35:36]
	v_mul_f64 v[3:4], v[3:4], v[25:26]
	v_add_f64 v[25:26], v[47:48], v[35:36]
	v_fma_f64 v[3:4], v[5:6], v[23:24], v[3:4]
	v_add_f64 v[23:24], v[3:4], v[49:50]
	s_cbranch_scc1 .LBB760_10
.LBB760_3:                              ; =>This Inner Loop Header: Depth=1
	v_add_u32_e32 v3, s9, v28
	v_cmp_le_i32_e64 s[0:1], s11, v3
	s_or_b64 s[0:1], s[18:19], s[0:1]
	s_and_saveexec_b64 s[22:23], s[0:1]
	s_xor_b64 s[0:1], exec, s[22:23]
; %bb.4:                                ;   in Loop: Header=BB760_3 Depth=1
	v_mov_b32_e32 v3, v2
	v_mov_b32_e32 v4, v2
	;; [unrolled: 1-line block ×3, first 2 shown]
	ds_write_b128 v29, v[2:5]
; %bb.5:                                ;   in Loop: Header=BB760_3 Depth=1
	s_andn2_saveexec_b64 s[0:1], s[0:1]
	s_cbranch_execz .LBB760_7
; %bb.6:                                ;   in Loop: Header=BB760_3 Depth=1
	flat_load_dwordx4 v[3:6], v[7:8]
	s_waitcnt vmcnt(0) lgkmcnt(0)
	ds_write2_b64 v29, v[3:4], v[5:6] offset1:1
.LBB760_7:                              ;   in Loop: Header=BB760_3 Depth=1
	s_or_b64 exec, exec, s[0:1]
	v_add_u32_e32 v3, s9, v27
	v_cmp_gt_i32_e64 s[0:1], s11, v3
	v_mov_b32_e32 v3, 0
	v_mov_b32_e32 v5, 0
	v_mov_b32_e32 v4, 0
	v_mov_b32_e32 v6, 0
	s_and_b64 s[22:23], s[0:1], vcc
	s_and_saveexec_b64 s[0:1], s[22:23]
	s_cbranch_execz .LBB760_2
; %bb.8:                                ;   in Loop: Header=BB760_3 Depth=1
	flat_load_dwordx4 v[3:6], v[9:10]
	s_branch .LBB760_2
.LBB760_9:
	v_mov_b32_e32 v15, 0
	v_mov_b32_e32 v17, 0
	;; [unrolled: 1-line block ×16, first 2 shown]
.LBB760_10:
	s_load_dword s4, s[4:5], 0x60
	v_add_u32_e32 v4, s20, v1
	s_waitcnt lgkmcnt(0)
	v_mov_b32_e32 v3, s17
	v_add_u32_e32 v0, s8, v0
	v_cmp_gt_i32_e32 vcc, s10, v4
	v_mad_i64_i32 v[1:2], s[0:1], v4, s4, 0
	v_lshlrev_b64 v[1:2], 4, v[1:2]
	v_add_co_u32_e64 v5, s[0:1], s16, v1
	v_addc_co_u32_e64 v6, s[0:1], v3, v2, s[0:1]
	v_cmp_le_i32_e64 s[0:1], v0, v4
	s_and_b64 s[0:1], vcc, s[0:1]
	s_and_saveexec_b64 s[2:3], s[0:1]
	s_cbranch_execz .LBB760_12
; %bb.11:
	v_mul_f64 v[1:2], s[14:15], v[17:18]
	v_mul_f64 v[9:10], s[12:13], v[17:18]
	v_fma_f64 v[7:8], s[12:13], v[15:16], -v[1:2]
	v_fma_f64 v[9:10], s[14:15], v[15:16], v[9:10]
	v_ashrrev_i32_e32 v1, 31, v0
	v_lshlrev_b64 v[1:2], 4, v[0:1]
	v_add_co_u32_e64 v1, s[0:1], v5, v1
	v_addc_co_u32_e64 v2, s[0:1], v6, v2, s[0:1]
	flat_store_dwordx4 v[1:2], v[7:10]
.LBB760_12:
	s_or_b64 exec, exec, s[2:3]
	v_add_u32_e32 v2, 16, v0
	v_cmp_le_i32_e64 s[0:1], v2, v4
	s_and_b64 s[2:3], vcc, s[0:1]
	s_and_saveexec_b64 s[0:1], s[2:3]
	s_cbranch_execz .LBB760_14
; %bb.13:
	v_mul_f64 v[7:8], s[14:15], v[13:14]
	v_mul_f64 v[9:10], s[12:13], v[13:14]
	v_ashrrev_i32_e32 v3, 31, v2
	v_fma_f64 v[7:8], s[12:13], v[11:12], -v[7:8]
	v_fma_f64 v[9:10], s[14:15], v[11:12], v[9:10]
	v_lshlrev_b64 v[11:12], 4, v[2:3]
	v_add_co_u32_e32 v5, vcc, v5, v11
	v_addc_co_u32_e32 v6, vcc, v6, v12, vcc
	flat_store_dwordx4 v[5:6], v[7:10]
.LBB760_14:
	s_or_b64 exec, exec, s[0:1]
	v_add_u32_e32 v3, 16, v4
	v_mad_i64_i32 v[4:5], s[0:1], v3, s4, 0
	v_mov_b32_e32 v1, s17
	v_cmp_gt_i32_e32 vcc, s10, v3
	v_lshlrev_b64 v[4:5], 4, v[4:5]
	v_add_co_u32_e64 v4, s[0:1], s16, v4
	v_addc_co_u32_e64 v5, s[0:1], v1, v5, s[0:1]
	v_cmp_le_i32_e64 s[0:1], v0, v3
	s_and_b64 s[0:1], vcc, s[0:1]
	s_and_saveexec_b64 s[2:3], s[0:1]
	s_cbranch_execz .LBB760_16
; %bb.15:
	v_mul_f64 v[6:7], s[14:15], v[21:22]
	v_mul_f64 v[8:9], s[12:13], v[21:22]
	v_ashrrev_i32_e32 v1, 31, v0
	v_lshlrev_b64 v[0:1], 4, v[0:1]
	v_add_co_u32_e64 v0, s[0:1], v4, v0
	v_addc_co_u32_e64 v1, s[0:1], v5, v1, s[0:1]
	v_fma_f64 v[6:7], s[12:13], v[19:20], -v[6:7]
	v_fma_f64 v[8:9], s[14:15], v[19:20], v[8:9]
	flat_store_dwordx4 v[0:1], v[6:9]
.LBB760_16:
	s_or_b64 exec, exec, s[2:3]
	v_cmp_le_i32_e64 s[0:1], v2, v3
	s_and_b64 s[0:1], vcc, s[0:1]
	s_and_saveexec_b64 s[2:3], s[0:1]
	s_cbranch_execz .LBB760_18
; %bb.17:
	v_mul_f64 v[0:1], s[14:15], v[23:24]
	v_mul_f64 v[8:9], s[12:13], v[23:24]
	v_ashrrev_i32_e32 v3, 31, v2
	v_fma_f64 v[6:7], s[12:13], v[25:26], -v[0:1]
	v_fma_f64 v[8:9], s[14:15], v[25:26], v[8:9]
	v_lshlrev_b64 v[0:1], 4, v[2:3]
	v_add_co_u32_e32 v0, vcc, v4, v0
	v_addc_co_u32_e32 v1, vcc, v5, v1, vcc
	flat_store_dwordx4 v[0:1], v[6:9]
.LBB760_18:
	s_endpgm
	.section	.rodata,"a",@progbits
	.p2align	6, 0x0
	.amdhsa_kernel _ZL34rocblas_syrkx_herkx_general_kernelIi19rocblas_complex_numIdELi16ELi32ELi8ELb1ELb0ELc78ELc85EKPKS1_KPS1_EviT_T0_PT8_S7_lSA_S7_lS8_PT9_S7_li
		.amdhsa_group_segment_fixed_size 8192
		.amdhsa_private_segment_fixed_size 0
		.amdhsa_kernarg_size 116
		.amdhsa_user_sgpr_count 6
		.amdhsa_user_sgpr_private_segment_buffer 1
		.amdhsa_user_sgpr_dispatch_ptr 0
		.amdhsa_user_sgpr_queue_ptr 0
		.amdhsa_user_sgpr_kernarg_segment_ptr 1
		.amdhsa_user_sgpr_dispatch_id 0
		.amdhsa_user_sgpr_flat_scratch_init 0
		.amdhsa_user_sgpr_private_segment_size 0
		.amdhsa_uses_dynamic_stack 0
		.amdhsa_system_sgpr_private_segment_wavefront_offset 0
		.amdhsa_system_sgpr_workgroup_id_x 1
		.amdhsa_system_sgpr_workgroup_id_y 1
		.amdhsa_system_sgpr_workgroup_id_z 1
		.amdhsa_system_sgpr_workgroup_info 0
		.amdhsa_system_vgpr_workitem_id 1
		.amdhsa_next_free_vgpr 59
		.amdhsa_next_free_sgpr 61
		.amdhsa_reserve_vcc 1
		.amdhsa_reserve_flat_scratch 0
		.amdhsa_float_round_mode_32 0
		.amdhsa_float_round_mode_16_64 0
		.amdhsa_float_denorm_mode_32 3
		.amdhsa_float_denorm_mode_16_64 3
		.amdhsa_dx10_clamp 1
		.amdhsa_ieee_mode 1
		.amdhsa_fp16_overflow 0
		.amdhsa_exception_fp_ieee_invalid_op 0
		.amdhsa_exception_fp_denorm_src 0
		.amdhsa_exception_fp_ieee_div_zero 0
		.amdhsa_exception_fp_ieee_overflow 0
		.amdhsa_exception_fp_ieee_underflow 0
		.amdhsa_exception_fp_ieee_inexact 0
		.amdhsa_exception_int_div_zero 0
	.end_amdhsa_kernel
	.section	.text._ZL34rocblas_syrkx_herkx_general_kernelIi19rocblas_complex_numIdELi16ELi32ELi8ELb1ELb0ELc78ELc85EKPKS1_KPS1_EviT_T0_PT8_S7_lSA_S7_lS8_PT9_S7_li,"axG",@progbits,_ZL34rocblas_syrkx_herkx_general_kernelIi19rocblas_complex_numIdELi16ELi32ELi8ELb1ELb0ELc78ELc85EKPKS1_KPS1_EviT_T0_PT8_S7_lSA_S7_lS8_PT9_S7_li,comdat
.Lfunc_end760:
	.size	_ZL34rocblas_syrkx_herkx_general_kernelIi19rocblas_complex_numIdELi16ELi32ELi8ELb1ELb0ELc78ELc85EKPKS1_KPS1_EviT_T0_PT8_S7_lSA_S7_lS8_PT9_S7_li, .Lfunc_end760-_ZL34rocblas_syrkx_herkx_general_kernelIi19rocblas_complex_numIdELi16ELi32ELi8ELb1ELb0ELc78ELc85EKPKS1_KPS1_EviT_T0_PT8_S7_lSA_S7_lS8_PT9_S7_li
                                        ; -- End function
	.set _ZL34rocblas_syrkx_herkx_general_kernelIi19rocblas_complex_numIdELi16ELi32ELi8ELb1ELb0ELc78ELc85EKPKS1_KPS1_EviT_T0_PT8_S7_lSA_S7_lS8_PT9_S7_li.num_vgpr, 59
	.set _ZL34rocblas_syrkx_herkx_general_kernelIi19rocblas_complex_numIdELi16ELi32ELi8ELb1ELb0ELc78ELc85EKPKS1_KPS1_EviT_T0_PT8_S7_lSA_S7_lS8_PT9_S7_li.num_agpr, 0
	.set _ZL34rocblas_syrkx_herkx_general_kernelIi19rocblas_complex_numIdELi16ELi32ELi8ELb1ELb0ELc78ELc85EKPKS1_KPS1_EviT_T0_PT8_S7_lSA_S7_lS8_PT9_S7_li.numbered_sgpr, 26
	.set _ZL34rocblas_syrkx_herkx_general_kernelIi19rocblas_complex_numIdELi16ELi32ELi8ELb1ELb0ELc78ELc85EKPKS1_KPS1_EviT_T0_PT8_S7_lSA_S7_lS8_PT9_S7_li.num_named_barrier, 0
	.set _ZL34rocblas_syrkx_herkx_general_kernelIi19rocblas_complex_numIdELi16ELi32ELi8ELb1ELb0ELc78ELc85EKPKS1_KPS1_EviT_T0_PT8_S7_lSA_S7_lS8_PT9_S7_li.private_seg_size, 0
	.set _ZL34rocblas_syrkx_herkx_general_kernelIi19rocblas_complex_numIdELi16ELi32ELi8ELb1ELb0ELc78ELc85EKPKS1_KPS1_EviT_T0_PT8_S7_lSA_S7_lS8_PT9_S7_li.uses_vcc, 1
	.set _ZL34rocblas_syrkx_herkx_general_kernelIi19rocblas_complex_numIdELi16ELi32ELi8ELb1ELb0ELc78ELc85EKPKS1_KPS1_EviT_T0_PT8_S7_lSA_S7_lS8_PT9_S7_li.uses_flat_scratch, 0
	.set _ZL34rocblas_syrkx_herkx_general_kernelIi19rocblas_complex_numIdELi16ELi32ELi8ELb1ELb0ELc78ELc85EKPKS1_KPS1_EviT_T0_PT8_S7_lSA_S7_lS8_PT9_S7_li.has_dyn_sized_stack, 0
	.set _ZL34rocblas_syrkx_herkx_general_kernelIi19rocblas_complex_numIdELi16ELi32ELi8ELb1ELb0ELc78ELc85EKPKS1_KPS1_EviT_T0_PT8_S7_lSA_S7_lS8_PT9_S7_li.has_recursion, 0
	.set _ZL34rocblas_syrkx_herkx_general_kernelIi19rocblas_complex_numIdELi16ELi32ELi8ELb1ELb0ELc78ELc85EKPKS1_KPS1_EviT_T0_PT8_S7_lSA_S7_lS8_PT9_S7_li.has_indirect_call, 0
	.section	.AMDGPU.csdata,"",@progbits
; Kernel info:
; codeLenInByte = 3080
; TotalNumSgprs: 30
; NumVgprs: 59
; ScratchSize: 0
; MemoryBound: 1
; FloatMode: 240
; IeeeMode: 1
; LDSByteSize: 8192 bytes/workgroup (compile time only)
; SGPRBlocks: 8
; VGPRBlocks: 14
; NumSGPRsForWavesPerEU: 65
; NumVGPRsForWavesPerEU: 59
; Occupancy: 4
; WaveLimiterHint : 1
; COMPUTE_PGM_RSRC2:SCRATCH_EN: 0
; COMPUTE_PGM_RSRC2:USER_SGPR: 6
; COMPUTE_PGM_RSRC2:TRAP_HANDLER: 0
; COMPUTE_PGM_RSRC2:TGID_X_EN: 1
; COMPUTE_PGM_RSRC2:TGID_Y_EN: 1
; COMPUTE_PGM_RSRC2:TGID_Z_EN: 1
; COMPUTE_PGM_RSRC2:TIDIG_COMP_CNT: 1
	.section	.text._ZL34rocblas_syrkx_herkx_general_kernelIi19rocblas_complex_numIdELi16ELi32ELi8ELb0ELb0ELc84ELc76EKPKS1_KPS1_EviT_T0_PT8_S7_lSA_S7_lS8_PT9_S7_li,"axG",@progbits,_ZL34rocblas_syrkx_herkx_general_kernelIi19rocblas_complex_numIdELi16ELi32ELi8ELb0ELb0ELc84ELc76EKPKS1_KPS1_EviT_T0_PT8_S7_lSA_S7_lS8_PT9_S7_li,comdat
	.globl	_ZL34rocblas_syrkx_herkx_general_kernelIi19rocblas_complex_numIdELi16ELi32ELi8ELb0ELb0ELc84ELc76EKPKS1_KPS1_EviT_T0_PT8_S7_lSA_S7_lS8_PT9_S7_li ; -- Begin function _ZL34rocblas_syrkx_herkx_general_kernelIi19rocblas_complex_numIdELi16ELi32ELi8ELb0ELb0ELc84ELc76EKPKS1_KPS1_EviT_T0_PT8_S7_lSA_S7_lS8_PT9_S7_li
	.p2align	8
	.type	_ZL34rocblas_syrkx_herkx_general_kernelIi19rocblas_complex_numIdELi16ELi32ELi8ELb0ELb0ELc84ELc76EKPKS1_KPS1_EviT_T0_PT8_S7_lSA_S7_lS8_PT9_S7_li,@function
_ZL34rocblas_syrkx_herkx_general_kernelIi19rocblas_complex_numIdELi16ELi32ELi8ELb0ELb0ELc84ELc76EKPKS1_KPS1_EviT_T0_PT8_S7_lSA_S7_lS8_PT9_S7_li: ; @_ZL34rocblas_syrkx_herkx_general_kernelIi19rocblas_complex_numIdELi16ELi32ELi8ELb0ELb0ELc84ELc76EKPKS1_KPS1_EviT_T0_PT8_S7_lSA_S7_lS8_PT9_S7_li
; %bb.0:
	s_load_dwordx2 s[20:21], s[4:5], 0x0
	s_load_dwordx4 s[12:15], s[4:5], 0x8
	s_load_dwordx2 s[10:11], s[4:5], 0x58
	s_load_dwordx2 s[0:1], s[4:5], 0x18
	s_load_dwordx4 s[16:19], s[4:5], 0x48
	s_mov_b32 s9, 0
	s_lshl_b64 s[2:3], s[8:9], 3
	s_waitcnt lgkmcnt(0)
	s_add_u32 s10, s10, s2
	s_addc_u32 s11, s11, s3
	s_load_dwordx2 s[10:11], s[10:11], 0x0
	s_lshl_b32 s8, s6, 5
	s_lshl_b32 s22, s7, 5
	s_cmp_lt_i32 s21, 1
	s_cbranch_scc1 .LBB761_11
; %bb.1:
	s_load_dword s23, s[4:5], 0x20
	s_load_dwordx2 s[6:7], s[4:5], 0x30
	s_load_dword s26, s[4:5], 0x38
	v_lshl_add_u32 v2, v1, 4, v0
	v_lshrrev_b32_e32 v27, 5, v2
	v_lshrrev_b32_e32 v3, 3, v2
	v_and_b32_e32 v2, 31, v2
	v_or_b32_e32 v5, s8, v2
	v_and_b32_e32 v26, 7, v0
	s_waitcnt lgkmcnt(0)
	s_add_u32 s6, s6, s2
	v_cmp_gt_i32_e32 vcc, s20, v5
	v_lshlrev_b32_e32 v5, 4, v2
	s_addc_u32 s7, s7, s3
	v_lshl_or_b32 v28, v27, 9, v5
	v_lshlrev_b32_e32 v5, 4, v26
	v_add_u32_e32 v4, s22, v3
	s_add_u32 s0, s0, s2
	v_lshl_or_b32 v3, v3, 7, v5
	v_add_u32_e32 v2, s8, v2
	s_addc_u32 s1, s1, s3
	v_add_u32_e32 v29, 0x1000, v3
	v_mad_i64_i32 v[2:3], s[2:3], s23, v2, 0
	v_mov_b32_e32 v6, 0x1000
	v_lshl_add_u32 v31, v1, 7, v6
	v_lshlrev_b64 v[2:3], 4, v[2:3]
	v_lshlrev_b32_e32 v6, 4, v27
	s_load_dwordx2 s[24:25], s[0:1], 0x0
	v_add_co_u32_e64 v6, s[2:3], v2, v6
	v_addc_co_u32_e64 v7, s[2:3], 0, v3, s[2:3]
	v_mad_i64_i32 v[2:3], s[2:3], s26, v4, 0
	s_load_dwordx2 s[6:7], s[6:7], 0x0
	s_waitcnt lgkmcnt(0)
	v_mov_b32_e32 v8, s25
	v_add_co_u32_e64 v6, s[2:3], s24, v6
	v_lshlrev_b64 v[2:3], 4, v[2:3]
	v_addc_co_u32_e64 v7, s[2:3], v8, v7, s[2:3]
	v_add_co_u32_e64 v2, s[2:3], v2, v5
	v_addc_co_u32_e64 v3, s[2:3], 0, v3, s[2:3]
	v_cmp_gt_i32_e64 s[0:1], s20, v4
	v_mov_b32_e32 v4, s7
	v_add_co_u32_e64 v8, s[2:3], s6, v2
	v_addc_co_u32_e64 v9, s[2:3], v4, v3, s[2:3]
	v_mov_b32_e32 v24, 0
	v_mov_b32_e32 v22, 0
	;; [unrolled: 1-line block ×8, first 2 shown]
	v_lshlrev_b32_e32 v30, 4, v0
	v_mov_b32_e32 v25, 0
	s_xor_b64 s[2:3], vcc, -1
	s_xor_b64 s[0:1], s[0:1], -1
	v_mov_b32_e32 v23, 0
	v_mov_b32_e32 v17, 0
	v_mov_b32_e32 v15, 0
	v_mov_b32_e32 v13, 0
	v_mov_b32_e32 v11, 0
	v_mov_b32_e32 v21, 0
	v_mov_b32_e32 v19, 0
	v_mov_b32_e32 v2, 0
	s_branch .LBB761_3
.LBB761_2:                              ;   in Loop: Header=BB761_3 Depth=1
	s_or_b64 exec, exec, s[6:7]
	s_waitcnt lgkmcnt(0)
	s_barrier
	ds_read_b128 v[32:35], v31
	ds_read_b128 v[36:39], v31 offset:16
	ds_read_b128 v[40:43], v31 offset:32
	;; [unrolled: 1-line block ×3, first 2 shown]
	ds_read_b128 v[48:51], v30
	v_add_co_u32_e32 v6, vcc, 0x80, v6
	v_addc_co_u32_e32 v7, vcc, 0, v7, vcc
	s_waitcnt lgkmcnt(0)
	v_mul_f64 v[3:4], v[34:35], v[50:51]
	v_mul_f64 v[52:53], v[32:33], v[50:51]
	s_add_i32 s9, s9, 8
	v_add_co_u32_e32 v8, vcc, 0x80, v8
	v_addc_co_u32_e32 v9, vcc, 0, v9, vcc
	s_cmp_ge_i32 s9, s21
	v_fma_f64 v[3:4], v[32:33], v[48:49], -v[3:4]
	v_fma_f64 v[52:53], v[34:35], v[48:49], v[52:53]
	v_add_f64 v[3:4], v[18:19], v[3:4]
	v_add_f64 v[52:53], v[52:53], v[20:21]
	ds_read_b128 v[18:21], v30 offset:256
	s_waitcnt lgkmcnt(0)
	v_mul_f64 v[54:55], v[34:35], v[20:21]
	v_fma_f64 v[54:55], v[32:33], v[18:19], -v[54:55]
	v_mul_f64 v[32:33], v[32:33], v[20:21]
	v_fma_f64 v[32:33], v[34:35], v[18:19], v[32:33]
	v_add_f64 v[34:35], v[10:11], v[54:55]
	v_add_f64 v[32:33], v[32:33], v[12:13]
	ds_read_b128 v[10:13], v31 offset:2048
	s_waitcnt lgkmcnt(0)
	v_mul_f64 v[54:55], v[12:13], v[50:51]
	v_mul_f64 v[50:51], v[10:11], v[50:51]
	v_fma_f64 v[54:55], v[10:11], v[48:49], -v[54:55]
	v_fma_f64 v[48:49], v[12:13], v[48:49], v[50:51]
	v_add_f64 v[50:51], v[14:15], v[54:55]
	v_mul_f64 v[14:15], v[12:13], v[20:21]
	v_add_f64 v[48:49], v[48:49], v[16:17]
	v_fma_f64 v[14:15], v[10:11], v[18:19], -v[14:15]
	v_mul_f64 v[10:11], v[10:11], v[20:21]
	v_add_f64 v[22:23], v[22:23], v[14:15]
	v_fma_f64 v[10:11], v[12:13], v[18:19], v[10:11]
	v_add_f64 v[24:25], v[10:11], v[24:25]
	ds_read_b128 v[10:13], v30 offset:512
	s_waitcnt lgkmcnt(0)
	v_mul_f64 v[14:15], v[38:39], v[12:13]
	v_mul_f64 v[16:17], v[36:37], v[12:13]
	v_fma_f64 v[14:15], v[36:37], v[10:11], -v[14:15]
	v_fma_f64 v[16:17], v[38:39], v[10:11], v[16:17]
	v_add_f64 v[3:4], v[3:4], v[14:15]
	v_add_f64 v[52:53], v[16:17], v[52:53]
	ds_read_b128 v[14:17], v30 offset:768
	s_waitcnt lgkmcnt(0)
	v_mul_f64 v[18:19], v[38:39], v[16:17]
	v_mul_f64 v[20:21], v[36:37], v[16:17]
	v_fma_f64 v[18:19], v[36:37], v[14:15], -v[18:19]
	v_fma_f64 v[20:21], v[38:39], v[14:15], v[20:21]
	v_add_f64 v[34:35], v[34:35], v[18:19]
	v_add_f64 v[32:33], v[20:21], v[32:33]
	ds_read_b128 v[18:21], v31 offset:2064
	s_waitcnt lgkmcnt(0)
	v_mul_f64 v[36:37], v[20:21], v[12:13]
	v_mul_f64 v[12:13], v[18:19], v[12:13]
	v_fma_f64 v[36:37], v[18:19], v[10:11], -v[36:37]
	v_fma_f64 v[10:11], v[20:21], v[10:11], v[12:13]
	v_mul_f64 v[12:13], v[18:19], v[16:17]
	v_add_f64 v[36:37], v[50:51], v[36:37]
	v_add_f64 v[38:39], v[10:11], v[48:49]
	v_mul_f64 v[10:11], v[20:21], v[16:17]
	v_fma_f64 v[12:13], v[20:21], v[14:15], v[12:13]
	v_fma_f64 v[10:11], v[18:19], v[14:15], -v[10:11]
	v_add_f64 v[24:25], v[12:13], v[24:25]
	v_add_f64 v[22:23], v[22:23], v[10:11]
	ds_read_b128 v[10:13], v30 offset:1024
	s_waitcnt lgkmcnt(0)
	v_mul_f64 v[14:15], v[42:43], v[12:13]
	v_mul_f64 v[16:17], v[40:41], v[12:13]
	v_fma_f64 v[14:15], v[40:41], v[10:11], -v[14:15]
	v_fma_f64 v[16:17], v[42:43], v[10:11], v[16:17]
	v_add_f64 v[3:4], v[3:4], v[14:15]
	v_add_f64 v[48:49], v[16:17], v[52:53]
	ds_read_b128 v[14:17], v30 offset:1280
	s_waitcnt lgkmcnt(0)
	v_mul_f64 v[18:19], v[42:43], v[16:17]
	v_mul_f64 v[20:21], v[40:41], v[16:17]
	v_fma_f64 v[18:19], v[40:41], v[14:15], -v[18:19]
	v_fma_f64 v[20:21], v[42:43], v[14:15], v[20:21]
	v_add_f64 v[34:35], v[34:35], v[18:19]
	v_add_f64 v[32:33], v[20:21], v[32:33]
	ds_read_b128 v[18:21], v31 offset:2080
	s_waitcnt lgkmcnt(0)
	v_mul_f64 v[40:41], v[20:21], v[12:13]
	v_mul_f64 v[12:13], v[18:19], v[12:13]
	v_fma_f64 v[40:41], v[18:19], v[10:11], -v[40:41]
	v_fma_f64 v[10:11], v[20:21], v[10:11], v[12:13]
	v_mul_f64 v[12:13], v[18:19], v[16:17]
	v_add_f64 v[36:37], v[36:37], v[40:41]
	v_add_f64 v[38:39], v[10:11], v[38:39]
	v_mul_f64 v[10:11], v[20:21], v[16:17]
	v_fma_f64 v[12:13], v[20:21], v[14:15], v[12:13]
	v_fma_f64 v[10:11], v[18:19], v[14:15], -v[10:11]
	v_add_f64 v[24:25], v[12:13], v[24:25]
	;; [unrolled: 30-line block ×3, first 2 shown]
	v_add_f64 v[22:23], v[22:23], v[10:11]
	ds_read_b128 v[10:13], v31 offset:64
	ds_read_b128 v[14:17], v30 offset:2048
	s_waitcnt lgkmcnt(0)
	v_mul_f64 v[18:19], v[12:13], v[16:17]
	v_mul_f64 v[20:21], v[10:11], v[16:17]
	v_fma_f64 v[18:19], v[10:11], v[14:15], -v[18:19]
	v_fma_f64 v[20:21], v[12:13], v[14:15], v[20:21]
	v_add_f64 v[3:4], v[3:4], v[18:19]
	v_add_f64 v[40:41], v[20:21], v[40:41]
	ds_read_b128 v[18:21], v30 offset:2304
	s_waitcnt lgkmcnt(0)
	v_mul_f64 v[42:43], v[12:13], v[20:21]
	v_fma_f64 v[42:43], v[10:11], v[18:19], -v[42:43]
	v_mul_f64 v[10:11], v[10:11], v[20:21]
	v_add_f64 v[34:35], v[34:35], v[42:43]
	v_fma_f64 v[10:11], v[12:13], v[18:19], v[10:11]
	v_add_f64 v[32:33], v[10:11], v[32:33]
	ds_read_b128 v[10:13], v31 offset:2112
	s_waitcnt lgkmcnt(0)
	v_mul_f64 v[42:43], v[12:13], v[16:17]
	v_mul_f64 v[16:17], v[10:11], v[16:17]
	v_fma_f64 v[42:43], v[10:11], v[14:15], -v[42:43]
	v_fma_f64 v[14:15], v[12:13], v[14:15], v[16:17]
	v_add_f64 v[36:37], v[36:37], v[42:43]
	v_add_f64 v[38:39], v[14:15], v[38:39]
	v_mul_f64 v[14:15], v[12:13], v[20:21]
	v_fma_f64 v[14:15], v[10:11], v[18:19], -v[14:15]
	v_mul_f64 v[10:11], v[10:11], v[20:21]
	v_add_f64 v[22:23], v[22:23], v[14:15]
	v_fma_f64 v[10:11], v[12:13], v[18:19], v[10:11]
	v_add_f64 v[24:25], v[10:11], v[24:25]
	ds_read_b128 v[10:13], v31 offset:80
	ds_read_b128 v[14:17], v30 offset:2560
	s_waitcnt lgkmcnt(0)
	v_mul_f64 v[18:19], v[12:13], v[16:17]
	v_mul_f64 v[20:21], v[10:11], v[16:17]
	v_fma_f64 v[18:19], v[10:11], v[14:15], -v[18:19]
	v_fma_f64 v[20:21], v[12:13], v[14:15], v[20:21]
	v_add_f64 v[3:4], v[3:4], v[18:19]
	v_add_f64 v[40:41], v[20:21], v[40:41]
	ds_read_b128 v[18:21], v30 offset:2816
	s_waitcnt lgkmcnt(0)
	v_mul_f64 v[42:43], v[12:13], v[20:21]
	v_fma_f64 v[42:43], v[10:11], v[18:19], -v[42:43]
	v_mul_f64 v[10:11], v[10:11], v[20:21]
	v_add_f64 v[34:35], v[34:35], v[42:43]
	v_fma_f64 v[10:11], v[12:13], v[18:19], v[10:11]
	v_add_f64 v[32:33], v[10:11], v[32:33]
	ds_read_b128 v[10:13], v31 offset:2128
	s_waitcnt lgkmcnt(0)
	v_mul_f64 v[42:43], v[12:13], v[16:17]
	v_mul_f64 v[16:17], v[10:11], v[16:17]
	v_fma_f64 v[42:43], v[10:11], v[14:15], -v[42:43]
	v_fma_f64 v[14:15], v[12:13], v[14:15], v[16:17]
	v_add_f64 v[36:37], v[36:37], v[42:43]
	v_add_f64 v[38:39], v[14:15], v[38:39]
	v_mul_f64 v[14:15], v[12:13], v[20:21]
	v_fma_f64 v[14:15], v[10:11], v[18:19], -v[14:15]
	v_mul_f64 v[10:11], v[10:11], v[20:21]
	v_add_f64 v[22:23], v[22:23], v[14:15]
	v_fma_f64 v[10:11], v[12:13], v[18:19], v[10:11]
	;; [unrolled: 31-line block ×3, first 2 shown]
	v_add_f64 v[44:45], v[10:11], v[24:25]
	ds_read_b128 v[10:13], v31 offset:112
	ds_read_b128 v[14:17], v30 offset:3584
	;; [unrolled: 1-line block ×3, first 2 shown]
	s_waitcnt lgkmcnt(1)
	v_mul_f64 v[18:19], v[12:13], v[16:17]
	v_mul_f64 v[20:21], v[10:11], v[16:17]
	v_fma_f64 v[18:19], v[10:11], v[14:15], -v[18:19]
	v_fma_f64 v[20:21], v[12:13], v[14:15], v[20:21]
	v_add_f64 v[18:19], v[3:4], v[18:19]
	s_waitcnt lgkmcnt(0)
	v_mul_f64 v[3:4], v[12:13], v[24:25]
	v_add_f64 v[20:21], v[20:21], v[40:41]
	v_fma_f64 v[3:4], v[10:11], v[22:23], -v[3:4]
	v_mul_f64 v[10:11], v[10:11], v[24:25]
	v_fma_f64 v[12:13], v[12:13], v[22:23], v[10:11]
	v_add_f64 v[10:11], v[34:35], v[3:4]
	v_add_f64 v[12:13], v[12:13], v[32:33]
	ds_read_b128 v[32:35], v31 offset:2160
	s_waitcnt lgkmcnt(0)
	s_barrier
	v_mul_f64 v[3:4], v[34:35], v[16:17]
	v_mul_f64 v[16:17], v[32:33], v[16:17]
	v_fma_f64 v[3:4], v[32:33], v[14:15], -v[3:4]
	v_fma_f64 v[16:17], v[34:35], v[14:15], v[16:17]
	v_add_f64 v[14:15], v[36:37], v[3:4]
	v_mul_f64 v[3:4], v[34:35], v[24:25]
	v_mul_f64 v[24:25], v[32:33], v[24:25]
	v_add_f64 v[16:17], v[16:17], v[38:39]
	v_fma_f64 v[3:4], v[32:33], v[22:23], -v[3:4]
	v_fma_f64 v[24:25], v[34:35], v[22:23], v[24:25]
	v_add_f64 v[22:23], v[42:43], v[3:4]
	v_add_f64 v[24:25], v[24:25], v[44:45]
	s_cbranch_scc1 .LBB761_12
.LBB761_3:                              ; =>This Inner Loop Header: Depth=1
	v_add_u32_e32 v3, s9, v27
	v_cmp_le_i32_e32 vcc, s21, v3
	s_or_b64 s[6:7], s[2:3], vcc
	s_and_saveexec_b64 s[24:25], s[6:7]
	s_xor_b64 s[6:7], exec, s[24:25]
; %bb.4:                                ;   in Loop: Header=BB761_3 Depth=1
	v_mov_b32_e32 v3, v2
	v_mov_b32_e32 v4, v2
	;; [unrolled: 1-line block ×3, first 2 shown]
	ds_write_b128 v28, v[2:5]
; %bb.5:                                ;   in Loop: Header=BB761_3 Depth=1
	s_andn2_saveexec_b64 s[6:7], s[6:7]
	s_cbranch_execz .LBB761_7
; %bb.6:                                ;   in Loop: Header=BB761_3 Depth=1
	flat_load_dwordx4 v[32:35], v[6:7]
	s_waitcnt vmcnt(0) lgkmcnt(0)
	ds_write2_b64 v28, v[32:33], v[34:35] offset1:1
.LBB761_7:                              ;   in Loop: Header=BB761_3 Depth=1
	s_or_b64 exec, exec, s[6:7]
	v_add_u32_e32 v3, s9, v26
	v_cmp_le_i32_e32 vcc, s21, v3
	s_or_b64 s[6:7], vcc, s[0:1]
	s_and_saveexec_b64 s[24:25], s[6:7]
	s_xor_b64 s[6:7], exec, s[24:25]
; %bb.8:                                ;   in Loop: Header=BB761_3 Depth=1
	v_mov_b32_e32 v3, v2
	v_mov_b32_e32 v4, v2
	;; [unrolled: 1-line block ×3, first 2 shown]
	ds_write_b128 v29, v[2:5]
; %bb.9:                                ;   in Loop: Header=BB761_3 Depth=1
	s_andn2_saveexec_b64 s[6:7], s[6:7]
	s_cbranch_execz .LBB761_2
; %bb.10:                               ;   in Loop: Header=BB761_3 Depth=1
	flat_load_dwordx4 v[32:35], v[8:9]
	s_waitcnt vmcnt(0) lgkmcnt(0)
	ds_write2_b64 v29, v[32:33], v[34:35] offset1:1
	s_branch .LBB761_2
.LBB761_11:
	v_mov_b32_e32 v18, 0
	v_mov_b32_e32 v20, 0
	;; [unrolled: 1-line block ×16, first 2 shown]
.LBB761_12:
	s_load_dword s6, s[4:5], 0x60
	v_add_u32_e32 v4, s22, v1
	s_waitcnt lgkmcnt(0)
	v_mov_b32_e32 v3, s11
	v_add_u32_e32 v0, s8, v0
	v_mad_i64_i32 v[1:2], s[0:1], v4, s6, 0
	v_cmp_le_i32_e64 s[0:1], v4, v0
	v_lshlrev_b64 v[1:2], 4, v[1:2]
	v_add_co_u32_e32 v5, vcc, s10, v1
	v_addc_co_u32_e32 v6, vcc, v3, v2, vcc
	v_cmp_gt_i32_e32 vcc, s20, v0
	s_and_b64 s[0:1], s[0:1], vcc
	s_and_saveexec_b64 s[2:3], s[0:1]
	s_cbranch_execz .LBB761_14
; %bb.13:
	v_ashrrev_i32_e32 v1, 31, v0
	v_lshlrev_b64 v[1:2], 4, v[0:1]
	v_mul_f64 v[7:8], s[14:15], v[20:21]
	v_add_co_u32_e64 v1, s[0:1], v5, v1
	v_addc_co_u32_e64 v2, s[0:1], v6, v2, s[0:1]
	flat_load_dwordx4 v[26:29], v[1:2]
	v_mul_f64 v[20:21], s[12:13], v[20:21]
	v_fma_f64 v[7:8], s[12:13], v[18:19], -v[7:8]
	v_fma_f64 v[20:21], s[14:15], v[18:19], v[20:21]
	s_waitcnt vmcnt(0) lgkmcnt(0)
	v_mul_f64 v[30:31], s[18:19], v[28:29]
	v_mul_f64 v[28:29], s[16:17], v[28:29]
	v_fma_f64 v[18:19], s[16:17], v[26:27], -v[30:31]
	v_fma_f64 v[26:27], s[18:19], v[26:27], v[28:29]
	v_add_f64 v[18:19], v[7:8], v[18:19]
	v_add_f64 v[20:21], v[20:21], v[26:27]
	flat_store_dwordx4 v[1:2], v[18:21]
.LBB761_14:
	s_or_b64 exec, exec, s[2:3]
	v_add_u32_e32 v2, 16, v0
	v_cmp_le_i32_e64 s[2:3], v4, v2
	v_cmp_gt_i32_e64 s[0:1], s20, v2
	s_and_b64 s[2:3], s[2:3], s[0:1]
	s_and_saveexec_b64 s[4:5], s[2:3]
	s_cbranch_execz .LBB761_16
; %bb.15:
	v_ashrrev_i32_e32 v3, 31, v2
	v_lshlrev_b64 v[7:8], 4, v[2:3]
	v_mul_f64 v[20:21], s[14:15], v[12:13]
	v_add_co_u32_e64 v18, s[2:3], v5, v7
	v_addc_co_u32_e64 v19, s[2:3], v6, v8, s[2:3]
	flat_load_dwordx4 v[5:8], v[18:19]
	v_mul_f64 v[12:13], s[12:13], v[12:13]
	v_fma_f64 v[20:21], s[12:13], v[10:11], -v[20:21]
	v_fma_f64 v[9:10], s[14:15], v[10:11], v[12:13]
	s_waitcnt vmcnt(0) lgkmcnt(0)
	v_mul_f64 v[26:27], s[18:19], v[7:8]
	v_mul_f64 v[7:8], s[16:17], v[7:8]
	v_fma_f64 v[11:12], s[16:17], v[5:6], -v[26:27]
	v_fma_f64 v[7:8], s[18:19], v[5:6], v[7:8]
	v_add_f64 v[5:6], v[20:21], v[11:12]
	v_add_f64 v[7:8], v[9:10], v[7:8]
	flat_store_dwordx4 v[18:19], v[5:8]
.LBB761_16:
	s_or_b64 exec, exec, s[4:5]
	v_add_u32_e32 v3, 16, v4
	v_mad_i64_i32 v[4:5], s[2:3], v3, s6, 0
	v_mov_b32_e32 v1, s11
	v_lshlrev_b64 v[4:5], 4, v[4:5]
	v_add_co_u32_e64 v4, s[2:3], s10, v4
	v_addc_co_u32_e64 v5, s[2:3], v1, v5, s[2:3]
	v_cmp_le_i32_e64 s[2:3], v3, v0
	s_and_b64 s[4:5], s[2:3], vcc
	s_and_saveexec_b64 s[2:3], s[4:5]
	s_cbranch_execz .LBB761_18
; %bb.17:
	v_ashrrev_i32_e32 v1, 31, v0
	v_lshlrev_b64 v[0:1], 4, v[0:1]
	v_mul_f64 v[10:11], s[14:15], v[16:17]
	v_add_co_u32_e32 v0, vcc, v4, v0
	v_addc_co_u32_e32 v1, vcc, v5, v1, vcc
	flat_load_dwordx4 v[6:9], v[0:1]
	v_mul_f64 v[12:13], s[12:13], v[16:17]
	v_fma_f64 v[10:11], s[12:13], v[14:15], -v[10:11]
	v_fma_f64 v[12:13], s[14:15], v[14:15], v[12:13]
	s_waitcnt vmcnt(0) lgkmcnt(0)
	v_mul_f64 v[16:17], s[18:19], v[8:9]
	v_mul_f64 v[8:9], s[16:17], v[8:9]
	v_fma_f64 v[14:15], s[16:17], v[6:7], -v[16:17]
	v_fma_f64 v[8:9], s[18:19], v[6:7], v[8:9]
	v_add_f64 v[6:7], v[10:11], v[14:15]
	v_add_f64 v[8:9], v[12:13], v[8:9]
	flat_store_dwordx4 v[0:1], v[6:9]
.LBB761_18:
	s_or_b64 exec, exec, s[2:3]
	v_cmp_le_i32_e32 vcc, v3, v2
	s_and_b64 s[0:1], vcc, s[0:1]
	s_and_saveexec_b64 s[2:3], s[0:1]
	s_cbranch_execz .LBB761_20
; %bb.19:
	v_ashrrev_i32_e32 v3, 31, v2
	v_lshlrev_b64 v[0:1], 4, v[2:3]
	v_mul_f64 v[6:7], s[14:15], v[24:25]
	v_add_co_u32_e32 v4, vcc, v4, v0
	v_addc_co_u32_e32 v5, vcc, v5, v1, vcc
	flat_load_dwordx4 v[0:3], v[4:5]
	v_mul_f64 v[8:9], s[12:13], v[24:25]
	v_fma_f64 v[6:7], s[12:13], v[22:23], -v[6:7]
	v_fma_f64 v[8:9], s[14:15], v[22:23], v[8:9]
	s_waitcnt vmcnt(0) lgkmcnt(0)
	v_mul_f64 v[10:11], s[18:19], v[2:3]
	v_mul_f64 v[2:3], s[16:17], v[2:3]
	v_fma_f64 v[10:11], s[16:17], v[0:1], -v[10:11]
	v_fma_f64 v[2:3], s[18:19], v[0:1], v[2:3]
	v_add_f64 v[0:1], v[6:7], v[10:11]
	v_add_f64 v[2:3], v[8:9], v[2:3]
	flat_store_dwordx4 v[4:5], v[0:3]
.LBB761_20:
	s_endpgm
	.section	.rodata,"a",@progbits
	.p2align	6, 0x0
	.amdhsa_kernel _ZL34rocblas_syrkx_herkx_general_kernelIi19rocblas_complex_numIdELi16ELi32ELi8ELb0ELb0ELc84ELc76EKPKS1_KPS1_EviT_T0_PT8_S7_lSA_S7_lS8_PT9_S7_li
		.amdhsa_group_segment_fixed_size 8192
		.amdhsa_private_segment_fixed_size 0
		.amdhsa_kernarg_size 116
		.amdhsa_user_sgpr_count 6
		.amdhsa_user_sgpr_private_segment_buffer 1
		.amdhsa_user_sgpr_dispatch_ptr 0
		.amdhsa_user_sgpr_queue_ptr 0
		.amdhsa_user_sgpr_kernarg_segment_ptr 1
		.amdhsa_user_sgpr_dispatch_id 0
		.amdhsa_user_sgpr_flat_scratch_init 0
		.amdhsa_user_sgpr_private_segment_size 0
		.amdhsa_uses_dynamic_stack 0
		.amdhsa_system_sgpr_private_segment_wavefront_offset 0
		.amdhsa_system_sgpr_workgroup_id_x 1
		.amdhsa_system_sgpr_workgroup_id_y 1
		.amdhsa_system_sgpr_workgroup_id_z 1
		.amdhsa_system_sgpr_workgroup_info 0
		.amdhsa_system_vgpr_workitem_id 1
		.amdhsa_next_free_vgpr 56
		.amdhsa_next_free_sgpr 61
		.amdhsa_reserve_vcc 1
		.amdhsa_reserve_flat_scratch 0
		.amdhsa_float_round_mode_32 0
		.amdhsa_float_round_mode_16_64 0
		.amdhsa_float_denorm_mode_32 3
		.amdhsa_float_denorm_mode_16_64 3
		.amdhsa_dx10_clamp 1
		.amdhsa_ieee_mode 1
		.amdhsa_fp16_overflow 0
		.amdhsa_exception_fp_ieee_invalid_op 0
		.amdhsa_exception_fp_denorm_src 0
		.amdhsa_exception_fp_ieee_div_zero 0
		.amdhsa_exception_fp_ieee_overflow 0
		.amdhsa_exception_fp_ieee_underflow 0
		.amdhsa_exception_fp_ieee_inexact 0
		.amdhsa_exception_int_div_zero 0
	.end_amdhsa_kernel
	.section	.text._ZL34rocblas_syrkx_herkx_general_kernelIi19rocblas_complex_numIdELi16ELi32ELi8ELb0ELb0ELc84ELc76EKPKS1_KPS1_EviT_T0_PT8_S7_lSA_S7_lS8_PT9_S7_li,"axG",@progbits,_ZL34rocblas_syrkx_herkx_general_kernelIi19rocblas_complex_numIdELi16ELi32ELi8ELb0ELb0ELc84ELc76EKPKS1_KPS1_EviT_T0_PT8_S7_lSA_S7_lS8_PT9_S7_li,comdat
.Lfunc_end761:
	.size	_ZL34rocblas_syrkx_herkx_general_kernelIi19rocblas_complex_numIdELi16ELi32ELi8ELb0ELb0ELc84ELc76EKPKS1_KPS1_EviT_T0_PT8_S7_lSA_S7_lS8_PT9_S7_li, .Lfunc_end761-_ZL34rocblas_syrkx_herkx_general_kernelIi19rocblas_complex_numIdELi16ELi32ELi8ELb0ELb0ELc84ELc76EKPKS1_KPS1_EviT_T0_PT8_S7_lSA_S7_lS8_PT9_S7_li
                                        ; -- End function
	.set _ZL34rocblas_syrkx_herkx_general_kernelIi19rocblas_complex_numIdELi16ELi32ELi8ELb0ELb0ELc84ELc76EKPKS1_KPS1_EviT_T0_PT8_S7_lSA_S7_lS8_PT9_S7_li.num_vgpr, 56
	.set _ZL34rocblas_syrkx_herkx_general_kernelIi19rocblas_complex_numIdELi16ELi32ELi8ELb0ELb0ELc84ELc76EKPKS1_KPS1_EviT_T0_PT8_S7_lSA_S7_lS8_PT9_S7_li.num_agpr, 0
	.set _ZL34rocblas_syrkx_herkx_general_kernelIi19rocblas_complex_numIdELi16ELi32ELi8ELb0ELb0ELc84ELc76EKPKS1_KPS1_EviT_T0_PT8_S7_lSA_S7_lS8_PT9_S7_li.numbered_sgpr, 27
	.set _ZL34rocblas_syrkx_herkx_general_kernelIi19rocblas_complex_numIdELi16ELi32ELi8ELb0ELb0ELc84ELc76EKPKS1_KPS1_EviT_T0_PT8_S7_lSA_S7_lS8_PT9_S7_li.num_named_barrier, 0
	.set _ZL34rocblas_syrkx_herkx_general_kernelIi19rocblas_complex_numIdELi16ELi32ELi8ELb0ELb0ELc84ELc76EKPKS1_KPS1_EviT_T0_PT8_S7_lSA_S7_lS8_PT9_S7_li.private_seg_size, 0
	.set _ZL34rocblas_syrkx_herkx_general_kernelIi19rocblas_complex_numIdELi16ELi32ELi8ELb0ELb0ELc84ELc76EKPKS1_KPS1_EviT_T0_PT8_S7_lSA_S7_lS8_PT9_S7_li.uses_vcc, 1
	.set _ZL34rocblas_syrkx_herkx_general_kernelIi19rocblas_complex_numIdELi16ELi32ELi8ELb0ELb0ELc84ELc76EKPKS1_KPS1_EviT_T0_PT8_S7_lSA_S7_lS8_PT9_S7_li.uses_flat_scratch, 0
	.set _ZL34rocblas_syrkx_herkx_general_kernelIi19rocblas_complex_numIdELi16ELi32ELi8ELb0ELb0ELc84ELc76EKPKS1_KPS1_EviT_T0_PT8_S7_lSA_S7_lS8_PT9_S7_li.has_dyn_sized_stack, 0
	.set _ZL34rocblas_syrkx_herkx_general_kernelIi19rocblas_complex_numIdELi16ELi32ELi8ELb0ELb0ELc84ELc76EKPKS1_KPS1_EviT_T0_PT8_S7_lSA_S7_lS8_PT9_S7_li.has_recursion, 0
	.set _ZL34rocblas_syrkx_herkx_general_kernelIi19rocblas_complex_numIdELi16ELi32ELi8ELb0ELb0ELc84ELc76EKPKS1_KPS1_EviT_T0_PT8_S7_lSA_S7_lS8_PT9_S7_li.has_indirect_call, 0
	.section	.AMDGPU.csdata,"",@progbits
; Kernel info:
; codeLenInByte = 3276
; TotalNumSgprs: 31
; NumVgprs: 56
; ScratchSize: 0
; MemoryBound: 0
; FloatMode: 240
; IeeeMode: 1
; LDSByteSize: 8192 bytes/workgroup (compile time only)
; SGPRBlocks: 8
; VGPRBlocks: 13
; NumSGPRsForWavesPerEU: 65
; NumVGPRsForWavesPerEU: 56
; Occupancy: 4
; WaveLimiterHint : 1
; COMPUTE_PGM_RSRC2:SCRATCH_EN: 0
; COMPUTE_PGM_RSRC2:USER_SGPR: 6
; COMPUTE_PGM_RSRC2:TRAP_HANDLER: 0
; COMPUTE_PGM_RSRC2:TGID_X_EN: 1
; COMPUTE_PGM_RSRC2:TGID_Y_EN: 1
; COMPUTE_PGM_RSRC2:TGID_Z_EN: 1
; COMPUTE_PGM_RSRC2:TIDIG_COMP_CNT: 1
	.section	.text._ZL34rocblas_syrkx_herkx_general_kernelIi19rocblas_complex_numIdELi16ELi32ELi8ELb0ELb0ELc67ELc76EKPKS1_KPS1_EviT_T0_PT8_S7_lSA_S7_lS8_PT9_S7_li,"axG",@progbits,_ZL34rocblas_syrkx_herkx_general_kernelIi19rocblas_complex_numIdELi16ELi32ELi8ELb0ELb0ELc67ELc76EKPKS1_KPS1_EviT_T0_PT8_S7_lSA_S7_lS8_PT9_S7_li,comdat
	.globl	_ZL34rocblas_syrkx_herkx_general_kernelIi19rocblas_complex_numIdELi16ELi32ELi8ELb0ELb0ELc67ELc76EKPKS1_KPS1_EviT_T0_PT8_S7_lSA_S7_lS8_PT9_S7_li ; -- Begin function _ZL34rocblas_syrkx_herkx_general_kernelIi19rocblas_complex_numIdELi16ELi32ELi8ELb0ELb0ELc67ELc76EKPKS1_KPS1_EviT_T0_PT8_S7_lSA_S7_lS8_PT9_S7_li
	.p2align	8
	.type	_ZL34rocblas_syrkx_herkx_general_kernelIi19rocblas_complex_numIdELi16ELi32ELi8ELb0ELb0ELc67ELc76EKPKS1_KPS1_EviT_T0_PT8_S7_lSA_S7_lS8_PT9_S7_li,@function
_ZL34rocblas_syrkx_herkx_general_kernelIi19rocblas_complex_numIdELi16ELi32ELi8ELb0ELb0ELc67ELc76EKPKS1_KPS1_EviT_T0_PT8_S7_lSA_S7_lS8_PT9_S7_li: ; @_ZL34rocblas_syrkx_herkx_general_kernelIi19rocblas_complex_numIdELi16ELi32ELi8ELb0ELb0ELc67ELc76EKPKS1_KPS1_EviT_T0_PT8_S7_lSA_S7_lS8_PT9_S7_li
; %bb.0:
	s_load_dwordx2 s[20:21], s[4:5], 0x0
	s_load_dwordx4 s[12:15], s[4:5], 0x8
	s_load_dwordx2 s[10:11], s[4:5], 0x58
	s_load_dwordx2 s[0:1], s[4:5], 0x18
	s_load_dwordx4 s[16:19], s[4:5], 0x48
	s_mov_b32 s9, 0
	s_lshl_b64 s[2:3], s[8:9], 3
	s_waitcnt lgkmcnt(0)
	s_add_u32 s10, s10, s2
	s_addc_u32 s11, s11, s3
	s_load_dwordx2 s[10:11], s[10:11], 0x0
	s_lshl_b32 s8, s6, 5
	s_lshl_b32 s22, s7, 5
	s_cmp_lt_i32 s21, 1
	s_cbranch_scc1 .LBB762_9
; %bb.1:
	s_load_dword s23, s[4:5], 0x20
	s_load_dwordx2 s[6:7], s[4:5], 0x30
	s_load_dword s26, s[4:5], 0x38
	v_lshl_add_u32 v2, v1, 4, v0
	v_lshrrev_b32_e32 v28, 5, v2
	v_lshrrev_b32_e32 v3, 3, v2
	s_waitcnt lgkmcnt(0)
	s_add_u32 s6, s6, s2
	s_addc_u32 s7, s7, s3
	v_and_b32_e32 v2, 31, v2
	s_add_u32 s0, s0, s2
	v_or_b32_e32 v5, s8, v2
	s_addc_u32 s1, s1, s3
	v_and_b32_e32 v27, 7, v0
	s_load_dwordx2 s[24:25], s[0:1], 0x0
	v_cmp_gt_i32_e64 s[0:1], s20, v5
	v_lshlrev_b32_e32 v5, 4, v2
	v_lshl_or_b32 v29, v28, 9, v5
	v_lshlrev_b32_e32 v5, 4, v27
	v_add_u32_e32 v4, s22, v3
	v_lshl_or_b32 v3, v3, 7, v5
	v_add_u32_e32 v2, s8, v2
	v_add_u32_e32 v30, 0x1000, v3
	v_mad_i64_i32 v[2:3], s[2:3], s23, v2, 0
	v_mov_b32_e32 v6, 0x1000
	v_lshl_add_u32 v32, v1, 7, v6
	v_lshlrev_b64 v[2:3], 4, v[2:3]
	v_lshlrev_b32_e32 v6, 4, v28
	v_add_co_u32_e64 v6, s[2:3], v2, v6
	v_addc_co_u32_e64 v8, s[2:3], 0, v3, s[2:3]
	v_mad_i64_i32 v[2:3], s[2:3], s26, v4, 0
	s_load_dwordx2 s[6:7], s[6:7], 0x0
	s_waitcnt lgkmcnt(0)
	v_mov_b32_e32 v9, s25
	v_add_co_u32_e64 v7, s[2:3], s24, v6
	v_lshlrev_b64 v[2:3], 4, v[2:3]
	v_addc_co_u32_e64 v8, s[2:3], v9, v8, s[2:3]
	v_add_co_u32_e64 v2, s[2:3], v2, v5
	v_addc_co_u32_e64 v3, s[2:3], 0, v3, s[2:3]
	v_cmp_gt_i32_e32 vcc, s20, v4
	v_mov_b32_e32 v4, s7
	v_add_co_u32_e64 v9, s[2:3], s6, v2
	v_addc_co_u32_e64 v10, s[2:3], v4, v3, s[2:3]
	v_mov_b32_e32 v25, 0
	v_mov_b32_e32 v23, 0
	;; [unrolled: 1-line block ×8, first 2 shown]
	v_lshlrev_b32_e32 v31, 4, v0
	v_mov_b32_e32 v26, 0
	s_xor_b64 s[2:3], vcc, -1
	v_mov_b32_e32 v24, 0
	v_mov_b32_e32 v18, 0
	;; [unrolled: 1-line block ×8, first 2 shown]
	s_branch .LBB762_3
.LBB762_2:                              ;   in Loop: Header=BB762_3 Depth=1
	s_or_b64 exec, exec, s[6:7]
	s_waitcnt lgkmcnt(0)
	s_barrier
	ds_read_b128 v[3:6], v32
	ds_read_b128 v[33:36], v32 offset:16
	ds_read_b128 v[37:40], v32 offset:32
	;; [unrolled: 1-line block ×3, first 2 shown]
	ds_read_b128 v[45:48], v31
	v_add_co_u32_e32 v7, vcc, 0x80, v7
	v_addc_co_u32_e32 v8, vcc, 0, v8, vcc
	s_waitcnt lgkmcnt(0)
	v_mul_f64 v[49:50], v[5:6], v[47:48]
	v_mul_f64 v[51:52], v[3:4], v[47:48]
	s_add_i32 s9, s9, 8
	v_add_co_u32_e32 v9, vcc, 0x80, v9
	v_addc_co_u32_e32 v10, vcc, 0, v10, vcc
	s_cmp_ge_i32 s9, s21
	v_fma_f64 v[49:50], v[3:4], v[45:46], -v[49:50]
	v_fma_f64 v[51:52], v[5:6], v[45:46], v[51:52]
	v_add_f64 v[49:50], v[19:20], v[49:50]
	v_add_f64 v[51:52], v[51:52], v[21:22]
	ds_read_b128 v[19:22], v31 offset:256
	s_waitcnt lgkmcnt(0)
	v_mul_f64 v[53:54], v[5:6], v[21:22]
	v_fma_f64 v[53:54], v[3:4], v[19:20], -v[53:54]
	v_mul_f64 v[3:4], v[3:4], v[21:22]
	v_add_f64 v[53:54], v[11:12], v[53:54]
	v_fma_f64 v[3:4], v[5:6], v[19:20], v[3:4]
	v_add_f64 v[55:56], v[3:4], v[13:14]
	ds_read_b128 v[3:6], v32 offset:2048
	s_waitcnt lgkmcnt(0)
	v_mul_f64 v[11:12], v[5:6], v[47:48]
	v_mul_f64 v[13:14], v[3:4], v[47:48]
	v_fma_f64 v[11:12], v[3:4], v[45:46], -v[11:12]
	v_fma_f64 v[13:14], v[5:6], v[45:46], v[13:14]
	v_add_f64 v[45:46], v[15:16], v[11:12]
	v_mul_f64 v[11:12], v[5:6], v[21:22]
	v_add_f64 v[47:48], v[13:14], v[17:18]
	v_fma_f64 v[11:12], v[3:4], v[19:20], -v[11:12]
	v_mul_f64 v[3:4], v[3:4], v[21:22]
	v_fma_f64 v[3:4], v[5:6], v[19:20], v[3:4]
	v_add_f64 v[19:20], v[23:24], v[11:12]
	v_add_f64 v[21:22], v[3:4], v[25:26]
	ds_read_b128 v[3:6], v31 offset:512
	s_waitcnt lgkmcnt(0)
	v_mul_f64 v[11:12], v[35:36], v[5:6]
	v_mul_f64 v[13:14], v[33:34], v[5:6]
	v_fma_f64 v[11:12], v[33:34], v[3:4], -v[11:12]
	v_fma_f64 v[13:14], v[35:36], v[3:4], v[13:14]
	v_add_f64 v[23:24], v[49:50], v[11:12]
	v_add_f64 v[25:26], v[13:14], v[51:52]
	ds_read_b128 v[11:14], v31 offset:768
	s_waitcnt lgkmcnt(0)
	v_mul_f64 v[15:16], v[35:36], v[13:14]
	v_mul_f64 v[17:18], v[33:34], v[13:14]
	v_fma_f64 v[15:16], v[33:34], v[11:12], -v[15:16]
	;; [unrolled: 8-line block ×3, first 2 shown]
	v_fma_f64 v[3:4], v[17:18], v[3:4], v[5:6]
	v_mul_f64 v[5:6], v[15:16], v[13:14]
	v_add_f64 v[45:46], v[45:46], v[49:50]
	v_add_f64 v[47:48], v[3:4], v[47:48]
	v_mul_f64 v[3:4], v[17:18], v[13:14]
	v_fma_f64 v[5:6], v[17:18], v[11:12], v[5:6]
	v_fma_f64 v[3:4], v[15:16], v[11:12], -v[3:4]
	v_add_f64 v[21:22], v[5:6], v[21:22]
	v_add_f64 v[19:20], v[19:20], v[3:4]
	ds_read_b128 v[3:6], v31 offset:1024
	s_waitcnt lgkmcnt(0)
	v_mul_f64 v[11:12], v[39:40], v[5:6]
	v_mul_f64 v[13:14], v[37:38], v[5:6]
	v_fma_f64 v[11:12], v[37:38], v[3:4], -v[11:12]
	v_fma_f64 v[13:14], v[39:40], v[3:4], v[13:14]
	v_add_f64 v[23:24], v[23:24], v[11:12]
	v_add_f64 v[25:26], v[13:14], v[25:26]
	ds_read_b128 v[11:14], v31 offset:1280
	s_waitcnt lgkmcnt(0)
	v_mul_f64 v[15:16], v[39:40], v[13:14]
	v_mul_f64 v[17:18], v[37:38], v[13:14]
	v_fma_f64 v[15:16], v[37:38], v[11:12], -v[15:16]
	v_fma_f64 v[17:18], v[39:40], v[11:12], v[17:18]
	;; [unrolled: 8-line block ×3, first 2 shown]
	v_mul_f64 v[5:6], v[15:16], v[13:14]
	v_add_f64 v[37:38], v[45:46], v[37:38]
	v_add_f64 v[39:40], v[3:4], v[47:48]
	v_mul_f64 v[3:4], v[17:18], v[13:14]
	v_fma_f64 v[5:6], v[17:18], v[11:12], v[5:6]
	v_fma_f64 v[3:4], v[15:16], v[11:12], -v[3:4]
	v_add_f64 v[21:22], v[5:6], v[21:22]
	v_add_f64 v[19:20], v[19:20], v[3:4]
	ds_read_b128 v[3:6], v31 offset:1536
	s_waitcnt lgkmcnt(0)
	v_mul_f64 v[11:12], v[43:44], v[5:6]
	v_mul_f64 v[13:14], v[41:42], v[5:6]
	v_fma_f64 v[11:12], v[41:42], v[3:4], -v[11:12]
	v_fma_f64 v[13:14], v[43:44], v[3:4], v[13:14]
	v_add_f64 v[23:24], v[23:24], v[11:12]
	v_add_f64 v[25:26], v[13:14], v[25:26]
	ds_read_b128 v[11:14], v31 offset:1792
	s_waitcnt lgkmcnt(0)
	v_mul_f64 v[15:16], v[43:44], v[13:14]
	v_mul_f64 v[17:18], v[41:42], v[13:14]
	v_fma_f64 v[15:16], v[41:42], v[11:12], -v[15:16]
	v_fma_f64 v[17:18], v[43:44], v[11:12], v[17:18]
	;; [unrolled: 8-line block ×3, first 2 shown]
	v_mul_f64 v[5:6], v[15:16], v[13:14]
	v_add_f64 v[37:38], v[37:38], v[41:42]
	v_add_f64 v[39:40], v[3:4], v[39:40]
	v_mul_f64 v[3:4], v[17:18], v[13:14]
	v_fma_f64 v[5:6], v[17:18], v[11:12], v[5:6]
	v_fma_f64 v[3:4], v[15:16], v[11:12], -v[3:4]
	v_add_f64 v[21:22], v[5:6], v[21:22]
	v_add_f64 v[19:20], v[19:20], v[3:4]
	ds_read_b128 v[3:6], v32 offset:64
	ds_read_b128 v[11:14], v31 offset:2048
	s_waitcnt lgkmcnt(0)
	v_mul_f64 v[15:16], v[5:6], v[13:14]
	v_mul_f64 v[17:18], v[3:4], v[13:14]
	v_fma_f64 v[15:16], v[3:4], v[11:12], -v[15:16]
	v_fma_f64 v[17:18], v[5:6], v[11:12], v[17:18]
	v_add_f64 v[23:24], v[23:24], v[15:16]
	v_add_f64 v[25:26], v[17:18], v[25:26]
	ds_read_b128 v[15:18], v31 offset:2304
	s_waitcnt lgkmcnt(0)
	v_mul_f64 v[41:42], v[5:6], v[17:18]
	v_fma_f64 v[41:42], v[3:4], v[15:16], -v[41:42]
	v_mul_f64 v[3:4], v[3:4], v[17:18]
	v_add_f64 v[33:34], v[33:34], v[41:42]
	v_fma_f64 v[3:4], v[5:6], v[15:16], v[3:4]
	v_add_f64 v[35:36], v[3:4], v[35:36]
	ds_read_b128 v[3:6], v32 offset:2112
	s_waitcnt lgkmcnt(0)
	v_mul_f64 v[41:42], v[5:6], v[13:14]
	v_mul_f64 v[13:14], v[3:4], v[13:14]
	v_fma_f64 v[41:42], v[3:4], v[11:12], -v[41:42]
	v_fma_f64 v[11:12], v[5:6], v[11:12], v[13:14]
	v_add_f64 v[37:38], v[37:38], v[41:42]
	v_add_f64 v[39:40], v[11:12], v[39:40]
	v_mul_f64 v[11:12], v[5:6], v[17:18]
	v_fma_f64 v[11:12], v[3:4], v[15:16], -v[11:12]
	v_mul_f64 v[3:4], v[3:4], v[17:18]
	v_add_f64 v[19:20], v[19:20], v[11:12]
	v_fma_f64 v[3:4], v[5:6], v[15:16], v[3:4]
	v_add_f64 v[21:22], v[3:4], v[21:22]
	ds_read_b128 v[3:6], v32 offset:80
	ds_read_b128 v[11:14], v31 offset:2560
	s_waitcnt lgkmcnt(0)
	v_mul_f64 v[15:16], v[5:6], v[13:14]
	v_mul_f64 v[17:18], v[3:4], v[13:14]
	v_fma_f64 v[15:16], v[3:4], v[11:12], -v[15:16]
	v_fma_f64 v[17:18], v[5:6], v[11:12], v[17:18]
	v_add_f64 v[23:24], v[23:24], v[15:16]
	v_add_f64 v[25:26], v[17:18], v[25:26]
	ds_read_b128 v[15:18], v31 offset:2816
	s_waitcnt lgkmcnt(0)
	v_mul_f64 v[41:42], v[5:6], v[17:18]
	v_fma_f64 v[41:42], v[3:4], v[15:16], -v[41:42]
	v_mul_f64 v[3:4], v[3:4], v[17:18]
	v_add_f64 v[33:34], v[33:34], v[41:42]
	v_fma_f64 v[3:4], v[5:6], v[15:16], v[3:4]
	v_add_f64 v[35:36], v[3:4], v[35:36]
	ds_read_b128 v[3:6], v32 offset:2128
	s_waitcnt lgkmcnt(0)
	v_mul_f64 v[41:42], v[5:6], v[13:14]
	v_mul_f64 v[13:14], v[3:4], v[13:14]
	v_fma_f64 v[41:42], v[3:4], v[11:12], -v[41:42]
	v_fma_f64 v[11:12], v[5:6], v[11:12], v[13:14]
	v_add_f64 v[37:38], v[37:38], v[41:42]
	v_add_f64 v[39:40], v[11:12], v[39:40]
	v_mul_f64 v[11:12], v[5:6], v[17:18]
	v_fma_f64 v[11:12], v[3:4], v[15:16], -v[11:12]
	v_mul_f64 v[3:4], v[3:4], v[17:18]
	v_add_f64 v[19:20], v[19:20], v[11:12]
	v_fma_f64 v[3:4], v[5:6], v[15:16], v[3:4]
	;; [unrolled: 31-line block ×3, first 2 shown]
	v_add_f64 v[43:44], v[3:4], v[21:22]
	ds_read_b128 v[3:6], v32 offset:112
	ds_read_b128 v[15:18], v31 offset:3584
	s_waitcnt lgkmcnt(0)
	v_mul_f64 v[11:12], v[5:6], v[17:18]
	v_mul_f64 v[13:14], v[3:4], v[17:18]
	v_fma_f64 v[11:12], v[3:4], v[15:16], -v[11:12]
	v_fma_f64 v[13:14], v[5:6], v[15:16], v[13:14]
	v_add_f64 v[19:20], v[23:24], v[11:12]
	v_add_f64 v[21:22], v[13:14], v[25:26]
	ds_read_b128 v[23:26], v31 offset:3840
	s_waitcnt lgkmcnt(0)
	v_mul_f64 v[11:12], v[5:6], v[25:26]
	v_fma_f64 v[11:12], v[3:4], v[23:24], -v[11:12]
	v_mul_f64 v[3:4], v[3:4], v[25:26]
	v_add_f64 v[11:12], v[33:34], v[11:12]
	v_fma_f64 v[3:4], v[5:6], v[23:24], v[3:4]
	v_add_f64 v[13:14], v[3:4], v[35:36]
	ds_read_b128 v[3:6], v32 offset:2160
	s_waitcnt lgkmcnt(0)
	s_barrier
	v_mul_f64 v[33:34], v[5:6], v[17:18]
	v_mul_f64 v[17:18], v[3:4], v[17:18]
	v_fma_f64 v[33:34], v[3:4], v[15:16], -v[33:34]
	v_fma_f64 v[17:18], v[5:6], v[15:16], v[17:18]
	v_add_f64 v[15:16], v[37:38], v[33:34]
	v_mul_f64 v[33:34], v[5:6], v[25:26]
	v_add_f64 v[17:18], v[17:18], v[39:40]
	v_fma_f64 v[33:34], v[3:4], v[23:24], -v[33:34]
	v_mul_f64 v[3:4], v[3:4], v[25:26]
	v_fma_f64 v[3:4], v[5:6], v[23:24], v[3:4]
	v_add_f64 v[23:24], v[41:42], v[33:34]
	v_add_f64 v[25:26], v[3:4], v[43:44]
	s_cbranch_scc1 .LBB762_10
.LBB762_3:                              ; =>This Inner Loop Header: Depth=1
	v_add_u32_e32 v3, s9, v28
	v_cmp_gt_i32_e32 vcc, s21, v3
	v_mov_b32_e32 v3, 0
	v_mov_b32_e32 v5, 0
	;; [unrolled: 1-line block ×4, first 2 shown]
	s_and_b64 s[24:25], s[0:1], vcc
	s_and_saveexec_b64 s[6:7], s[24:25]
	s_cbranch_execz .LBB762_5
; %bb.4:                                ;   in Loop: Header=BB762_3 Depth=1
	flat_load_dwordx4 v[3:6], v[7:8]
.LBB762_5:                              ;   in Loop: Header=BB762_3 Depth=1
	s_or_b64 exec, exec, s[6:7]
	s_waitcnt vmcnt(0) lgkmcnt(0)
	ds_write_b128 v29, v[3:6]
	v_add_u32_e32 v3, s9, v27
	v_cmp_le_i32_e32 vcc, s21, v3
	s_or_b64 s[6:7], vcc, s[2:3]
	s_and_saveexec_b64 s[24:25], s[6:7]
	s_xor_b64 s[6:7], exec, s[24:25]
; %bb.6:                                ;   in Loop: Header=BB762_3 Depth=1
	v_mov_b32_e32 v3, v2
	v_mov_b32_e32 v4, v2
	;; [unrolled: 1-line block ×3, first 2 shown]
	ds_write_b128 v30, v[2:5]
; %bb.7:                                ;   in Loop: Header=BB762_3 Depth=1
	s_andn2_saveexec_b64 s[6:7], s[6:7]
	s_cbranch_execz .LBB762_2
; %bb.8:                                ;   in Loop: Header=BB762_3 Depth=1
	flat_load_dwordx4 v[3:6], v[9:10]
	s_waitcnt vmcnt(0) lgkmcnt(0)
	ds_write2_b64 v30, v[3:4], v[5:6] offset1:1
	s_branch .LBB762_2
.LBB762_9:
	v_mov_b32_e32 v19, 0
	v_mov_b32_e32 v21, 0
	;; [unrolled: 1-line block ×16, first 2 shown]
.LBB762_10:
	s_load_dword s6, s[4:5], 0x60
	v_add_u32_e32 v4, s22, v1
	s_waitcnt lgkmcnt(0)
	v_mov_b32_e32 v3, s11
	v_add_u32_e32 v0, s8, v0
	v_mad_i64_i32 v[1:2], s[0:1], v4, s6, 0
	v_cmp_le_i32_e64 s[0:1], v4, v0
	v_lshlrev_b64 v[1:2], 4, v[1:2]
	v_add_co_u32_e32 v5, vcc, s10, v1
	v_addc_co_u32_e32 v6, vcc, v3, v2, vcc
	v_cmp_gt_i32_e32 vcc, s20, v0
	s_and_b64 s[0:1], s[0:1], vcc
	s_and_saveexec_b64 s[2:3], s[0:1]
	s_cbranch_execz .LBB762_12
; %bb.11:
	v_ashrrev_i32_e32 v1, 31, v0
	v_lshlrev_b64 v[1:2], 4, v[0:1]
	v_mul_f64 v[27:28], s[14:15], v[21:22]
	v_add_co_u32_e64 v1, s[0:1], v5, v1
	v_addc_co_u32_e64 v2, s[0:1], v6, v2, s[0:1]
	flat_load_dwordx4 v[7:10], v[1:2]
	v_mul_f64 v[21:22], s[12:13], v[21:22]
	v_fma_f64 v[27:28], s[12:13], v[19:20], -v[27:28]
	v_fma_f64 v[19:20], s[14:15], v[19:20], v[21:22]
	s_waitcnt vmcnt(0) lgkmcnt(0)
	v_mul_f64 v[29:30], s[18:19], v[9:10]
	v_mul_f64 v[9:10], s[16:17], v[9:10]
	v_fma_f64 v[21:22], s[16:17], v[7:8], -v[29:30]
	v_fma_f64 v[9:10], s[18:19], v[7:8], v[9:10]
	v_add_f64 v[7:8], v[27:28], v[21:22]
	v_add_f64 v[9:10], v[19:20], v[9:10]
	flat_store_dwordx4 v[1:2], v[7:10]
.LBB762_12:
	s_or_b64 exec, exec, s[2:3]
	v_add_u32_e32 v2, 16, v0
	v_cmp_le_i32_e64 s[2:3], v4, v2
	v_cmp_gt_i32_e64 s[0:1], s20, v2
	s_and_b64 s[2:3], s[2:3], s[0:1]
	s_and_saveexec_b64 s[4:5], s[2:3]
	s_cbranch_execz .LBB762_14
; %bb.13:
	v_ashrrev_i32_e32 v3, 31, v2
	v_lshlrev_b64 v[7:8], 4, v[2:3]
	v_mul_f64 v[19:20], s[14:15], v[13:14]
	v_add_co_u32_e64 v9, s[2:3], v5, v7
	v_addc_co_u32_e64 v10, s[2:3], v6, v8, s[2:3]
	flat_load_dwordx4 v[5:8], v[9:10]
	v_mul_f64 v[13:14], s[12:13], v[13:14]
	v_fma_f64 v[19:20], s[12:13], v[11:12], -v[19:20]
	v_fma_f64 v[11:12], s[14:15], v[11:12], v[13:14]
	s_waitcnt vmcnt(0) lgkmcnt(0)
	v_mul_f64 v[21:22], s[18:19], v[7:8]
	v_mul_f64 v[7:8], s[16:17], v[7:8]
	v_fma_f64 v[13:14], s[16:17], v[5:6], -v[21:22]
	v_fma_f64 v[7:8], s[18:19], v[5:6], v[7:8]
	v_add_f64 v[5:6], v[19:20], v[13:14]
	v_add_f64 v[7:8], v[11:12], v[7:8]
	flat_store_dwordx4 v[9:10], v[5:8]
.LBB762_14:
	s_or_b64 exec, exec, s[4:5]
	v_add_u32_e32 v3, 16, v4
	v_mad_i64_i32 v[4:5], s[2:3], v3, s6, 0
	v_mov_b32_e32 v1, s11
	v_lshlrev_b64 v[4:5], 4, v[4:5]
	v_add_co_u32_e64 v4, s[2:3], s10, v4
	v_addc_co_u32_e64 v5, s[2:3], v1, v5, s[2:3]
	v_cmp_le_i32_e64 s[2:3], v3, v0
	s_and_b64 s[4:5], s[2:3], vcc
	s_and_saveexec_b64 s[2:3], s[4:5]
	s_cbranch_execz .LBB762_16
; %bb.15:
	v_ashrrev_i32_e32 v1, 31, v0
	v_lshlrev_b64 v[0:1], 4, v[0:1]
	v_mul_f64 v[10:11], s[14:15], v[17:18]
	v_add_co_u32_e32 v0, vcc, v4, v0
	v_addc_co_u32_e32 v1, vcc, v5, v1, vcc
	flat_load_dwordx4 v[6:9], v[0:1]
	v_mul_f64 v[12:13], s[12:13], v[17:18]
	v_fma_f64 v[10:11], s[12:13], v[15:16], -v[10:11]
	v_fma_f64 v[12:13], s[14:15], v[15:16], v[12:13]
	s_waitcnt vmcnt(0) lgkmcnt(0)
	v_mul_f64 v[17:18], s[18:19], v[8:9]
	v_mul_f64 v[8:9], s[16:17], v[8:9]
	v_fma_f64 v[14:15], s[16:17], v[6:7], -v[17:18]
	v_fma_f64 v[8:9], s[18:19], v[6:7], v[8:9]
	v_add_f64 v[6:7], v[10:11], v[14:15]
	v_add_f64 v[8:9], v[12:13], v[8:9]
	flat_store_dwordx4 v[0:1], v[6:9]
.LBB762_16:
	s_or_b64 exec, exec, s[2:3]
	v_cmp_le_i32_e32 vcc, v3, v2
	s_and_b64 s[0:1], vcc, s[0:1]
	s_and_saveexec_b64 s[2:3], s[0:1]
	s_cbranch_execz .LBB762_18
; %bb.17:
	v_ashrrev_i32_e32 v3, 31, v2
	v_lshlrev_b64 v[0:1], 4, v[2:3]
	v_mul_f64 v[6:7], s[14:15], v[25:26]
	v_add_co_u32_e32 v4, vcc, v4, v0
	v_addc_co_u32_e32 v5, vcc, v5, v1, vcc
	flat_load_dwordx4 v[0:3], v[4:5]
	v_mul_f64 v[8:9], s[12:13], v[25:26]
	v_fma_f64 v[6:7], s[12:13], v[23:24], -v[6:7]
	v_fma_f64 v[8:9], s[14:15], v[23:24], v[8:9]
	s_waitcnt vmcnt(0) lgkmcnt(0)
	v_mul_f64 v[10:11], s[18:19], v[2:3]
	v_mul_f64 v[2:3], s[16:17], v[2:3]
	v_fma_f64 v[10:11], s[16:17], v[0:1], -v[10:11]
	v_fma_f64 v[2:3], s[18:19], v[0:1], v[2:3]
	v_add_f64 v[0:1], v[6:7], v[10:11]
	v_add_f64 v[2:3], v[8:9], v[2:3]
	flat_store_dwordx4 v[4:5], v[0:3]
.LBB762_18:
	s_endpgm
	.section	.rodata,"a",@progbits
	.p2align	6, 0x0
	.amdhsa_kernel _ZL34rocblas_syrkx_herkx_general_kernelIi19rocblas_complex_numIdELi16ELi32ELi8ELb0ELb0ELc67ELc76EKPKS1_KPS1_EviT_T0_PT8_S7_lSA_S7_lS8_PT9_S7_li
		.amdhsa_group_segment_fixed_size 8192
		.amdhsa_private_segment_fixed_size 0
		.amdhsa_kernarg_size 116
		.amdhsa_user_sgpr_count 6
		.amdhsa_user_sgpr_private_segment_buffer 1
		.amdhsa_user_sgpr_dispatch_ptr 0
		.amdhsa_user_sgpr_queue_ptr 0
		.amdhsa_user_sgpr_kernarg_segment_ptr 1
		.amdhsa_user_sgpr_dispatch_id 0
		.amdhsa_user_sgpr_flat_scratch_init 0
		.amdhsa_user_sgpr_private_segment_size 0
		.amdhsa_uses_dynamic_stack 0
		.amdhsa_system_sgpr_private_segment_wavefront_offset 0
		.amdhsa_system_sgpr_workgroup_id_x 1
		.amdhsa_system_sgpr_workgroup_id_y 1
		.amdhsa_system_sgpr_workgroup_id_z 1
		.amdhsa_system_sgpr_workgroup_info 0
		.amdhsa_system_vgpr_workitem_id 1
		.amdhsa_next_free_vgpr 57
		.amdhsa_next_free_sgpr 61
		.amdhsa_reserve_vcc 1
		.amdhsa_reserve_flat_scratch 0
		.amdhsa_float_round_mode_32 0
		.amdhsa_float_round_mode_16_64 0
		.amdhsa_float_denorm_mode_32 3
		.amdhsa_float_denorm_mode_16_64 3
		.amdhsa_dx10_clamp 1
		.amdhsa_ieee_mode 1
		.amdhsa_fp16_overflow 0
		.amdhsa_exception_fp_ieee_invalid_op 0
		.amdhsa_exception_fp_denorm_src 0
		.amdhsa_exception_fp_ieee_div_zero 0
		.amdhsa_exception_fp_ieee_overflow 0
		.amdhsa_exception_fp_ieee_underflow 0
		.amdhsa_exception_fp_ieee_inexact 0
		.amdhsa_exception_int_div_zero 0
	.end_amdhsa_kernel
	.section	.text._ZL34rocblas_syrkx_herkx_general_kernelIi19rocblas_complex_numIdELi16ELi32ELi8ELb0ELb0ELc67ELc76EKPKS1_KPS1_EviT_T0_PT8_S7_lSA_S7_lS8_PT9_S7_li,"axG",@progbits,_ZL34rocblas_syrkx_herkx_general_kernelIi19rocblas_complex_numIdELi16ELi32ELi8ELb0ELb0ELc67ELc76EKPKS1_KPS1_EviT_T0_PT8_S7_lSA_S7_lS8_PT9_S7_li,comdat
.Lfunc_end762:
	.size	_ZL34rocblas_syrkx_herkx_general_kernelIi19rocblas_complex_numIdELi16ELi32ELi8ELb0ELb0ELc67ELc76EKPKS1_KPS1_EviT_T0_PT8_S7_lSA_S7_lS8_PT9_S7_li, .Lfunc_end762-_ZL34rocblas_syrkx_herkx_general_kernelIi19rocblas_complex_numIdELi16ELi32ELi8ELb0ELb0ELc67ELc76EKPKS1_KPS1_EviT_T0_PT8_S7_lSA_S7_lS8_PT9_S7_li
                                        ; -- End function
	.set _ZL34rocblas_syrkx_herkx_general_kernelIi19rocblas_complex_numIdELi16ELi32ELi8ELb0ELb0ELc67ELc76EKPKS1_KPS1_EviT_T0_PT8_S7_lSA_S7_lS8_PT9_S7_li.num_vgpr, 57
	.set _ZL34rocblas_syrkx_herkx_general_kernelIi19rocblas_complex_numIdELi16ELi32ELi8ELb0ELb0ELc67ELc76EKPKS1_KPS1_EviT_T0_PT8_S7_lSA_S7_lS8_PT9_S7_li.num_agpr, 0
	.set _ZL34rocblas_syrkx_herkx_general_kernelIi19rocblas_complex_numIdELi16ELi32ELi8ELb0ELb0ELc67ELc76EKPKS1_KPS1_EviT_T0_PT8_S7_lSA_S7_lS8_PT9_S7_li.numbered_sgpr, 27
	.set _ZL34rocblas_syrkx_herkx_general_kernelIi19rocblas_complex_numIdELi16ELi32ELi8ELb0ELb0ELc67ELc76EKPKS1_KPS1_EviT_T0_PT8_S7_lSA_S7_lS8_PT9_S7_li.num_named_barrier, 0
	.set _ZL34rocblas_syrkx_herkx_general_kernelIi19rocblas_complex_numIdELi16ELi32ELi8ELb0ELb0ELc67ELc76EKPKS1_KPS1_EviT_T0_PT8_S7_lSA_S7_lS8_PT9_S7_li.private_seg_size, 0
	.set _ZL34rocblas_syrkx_herkx_general_kernelIi19rocblas_complex_numIdELi16ELi32ELi8ELb0ELb0ELc67ELc76EKPKS1_KPS1_EviT_T0_PT8_S7_lSA_S7_lS8_PT9_S7_li.uses_vcc, 1
	.set _ZL34rocblas_syrkx_herkx_general_kernelIi19rocblas_complex_numIdELi16ELi32ELi8ELb0ELb0ELc67ELc76EKPKS1_KPS1_EviT_T0_PT8_S7_lSA_S7_lS8_PT9_S7_li.uses_flat_scratch, 0
	.set _ZL34rocblas_syrkx_herkx_general_kernelIi19rocblas_complex_numIdELi16ELi32ELi8ELb0ELb0ELc67ELc76EKPKS1_KPS1_EviT_T0_PT8_S7_lSA_S7_lS8_PT9_S7_li.has_dyn_sized_stack, 0
	.set _ZL34rocblas_syrkx_herkx_general_kernelIi19rocblas_complex_numIdELi16ELi32ELi8ELb0ELb0ELc67ELc76EKPKS1_KPS1_EviT_T0_PT8_S7_lSA_S7_lS8_PT9_S7_li.has_recursion, 0
	.set _ZL34rocblas_syrkx_herkx_general_kernelIi19rocblas_complex_numIdELi16ELi32ELi8ELb0ELb0ELc67ELc76EKPKS1_KPS1_EviT_T0_PT8_S7_lSA_S7_lS8_PT9_S7_li.has_indirect_call, 0
	.section	.AMDGPU.csdata,"",@progbits
; Kernel info:
; codeLenInByte = 3260
; TotalNumSgprs: 31
; NumVgprs: 57
; ScratchSize: 0
; MemoryBound: 1
; FloatMode: 240
; IeeeMode: 1
; LDSByteSize: 8192 bytes/workgroup (compile time only)
; SGPRBlocks: 8
; VGPRBlocks: 14
; NumSGPRsForWavesPerEU: 65
; NumVGPRsForWavesPerEU: 57
; Occupancy: 4
; WaveLimiterHint : 1
; COMPUTE_PGM_RSRC2:SCRATCH_EN: 0
; COMPUTE_PGM_RSRC2:USER_SGPR: 6
; COMPUTE_PGM_RSRC2:TRAP_HANDLER: 0
; COMPUTE_PGM_RSRC2:TGID_X_EN: 1
; COMPUTE_PGM_RSRC2:TGID_Y_EN: 1
; COMPUTE_PGM_RSRC2:TGID_Z_EN: 1
; COMPUTE_PGM_RSRC2:TIDIG_COMP_CNT: 1
	.section	.text._ZL34rocblas_syrkx_herkx_general_kernelIi19rocblas_complex_numIdELi16ELi32ELi8ELb0ELb0ELc78ELc76EKPKS1_KPS1_EviT_T0_PT8_S7_lSA_S7_lS8_PT9_S7_li,"axG",@progbits,_ZL34rocblas_syrkx_herkx_general_kernelIi19rocblas_complex_numIdELi16ELi32ELi8ELb0ELb0ELc78ELc76EKPKS1_KPS1_EviT_T0_PT8_S7_lSA_S7_lS8_PT9_S7_li,comdat
	.globl	_ZL34rocblas_syrkx_herkx_general_kernelIi19rocblas_complex_numIdELi16ELi32ELi8ELb0ELb0ELc78ELc76EKPKS1_KPS1_EviT_T0_PT8_S7_lSA_S7_lS8_PT9_S7_li ; -- Begin function _ZL34rocblas_syrkx_herkx_general_kernelIi19rocblas_complex_numIdELi16ELi32ELi8ELb0ELb0ELc78ELc76EKPKS1_KPS1_EviT_T0_PT8_S7_lSA_S7_lS8_PT9_S7_li
	.p2align	8
	.type	_ZL34rocblas_syrkx_herkx_general_kernelIi19rocblas_complex_numIdELi16ELi32ELi8ELb0ELb0ELc78ELc76EKPKS1_KPS1_EviT_T0_PT8_S7_lSA_S7_lS8_PT9_S7_li,@function
_ZL34rocblas_syrkx_herkx_general_kernelIi19rocblas_complex_numIdELi16ELi32ELi8ELb0ELb0ELc78ELc76EKPKS1_KPS1_EviT_T0_PT8_S7_lSA_S7_lS8_PT9_S7_li: ; @_ZL34rocblas_syrkx_herkx_general_kernelIi19rocblas_complex_numIdELi16ELi32ELi8ELb0ELb0ELc78ELc76EKPKS1_KPS1_EviT_T0_PT8_S7_lSA_S7_lS8_PT9_S7_li
; %bb.0:
	s_load_dwordx2 s[20:21], s[4:5], 0x0
	s_load_dwordx4 s[12:15], s[4:5], 0x8
	s_load_dwordx2 s[10:11], s[4:5], 0x58
	s_load_dwordx2 s[0:1], s[4:5], 0x18
	s_load_dwordx4 s[16:19], s[4:5], 0x48
	s_mov_b32 s9, 0
	s_lshl_b64 s[2:3], s[8:9], 3
	s_waitcnt lgkmcnt(0)
	s_add_u32 s10, s10, s2
	s_addc_u32 s11, s11, s3
	s_load_dwordx2 s[10:11], s[10:11], 0x0
	s_lshl_b32 s8, s6, 5
	s_lshl_b32 s24, s7, 5
	s_cmp_lt_i32 s21, 1
	s_cbranch_scc1 .LBB763_9
; %bb.1:
	s_load_dword s6, s[4:5], 0x20
	s_load_dword s22, s[4:5], 0x38
	s_load_dwordx2 s[26:27], s[4:5], 0x30
	v_lshl_add_u32 v3, v1, 4, v0
	v_and_b32_e32 v6, 31, v3
	s_waitcnt lgkmcnt(0)
	s_ashr_i32 s7, s6, 31
	s_ashr_i32 s23, s22, 31
	s_add_u32 s26, s26, s2
	s_addc_u32 s27, s27, s3
	s_add_u32 s0, s0, s2
	v_lshrrev_b32_e32 v28, 5, v3
	v_lshrrev_b32_e32 v4, 3, v3
	v_or_b32_e32 v3, s8, v6
	s_addc_u32 s1, s1, s3
	v_and_b32_e32 v27, 7, v0
	s_load_dwordx2 s[28:29], s[0:1], 0x0
	v_cmp_gt_i32_e64 s[0:1], s20, v3
	v_lshlrev_b32_e32 v3, 4, v6
	v_lshl_or_b32 v29, v28, 9, v3
	v_lshlrev_b32_e32 v3, 4, v27
	v_add_u32_e32 v2, s24, v4
	v_lshl_or_b32 v3, v4, 7, v3
	v_mad_i64_i32 v[4:5], s[2:3], v28, s6, 0
	v_mov_b32_e32 v7, 0x1000
	v_add_u32_e32 v6, s8, v6
	v_lshl_add_u32 v32, v1, 7, v7
	v_ashrrev_i32_e32 v7, 31, v6
	v_lshlrev_b64 v[4:5], 4, v[4:5]
	v_lshlrev_b64 v[6:7], 4, v[6:7]
	s_load_dwordx2 s[26:27], s[26:27], 0x0
	v_add_co_u32_e64 v6, s[2:3], v4, v6
	v_addc_co_u32_e64 v8, s[2:3], v5, v7, s[2:3]
	v_mad_i64_i32 v[4:5], s[2:3], s22, v27, 0
	v_add_u32_e32 v30, 0x1000, v3
	v_ashrrev_i32_e32 v3, 31, v2
	v_cmp_gt_i32_e32 vcc, s20, v2
	s_waitcnt lgkmcnt(0)
	v_mov_b32_e32 v9, s29
	v_add_co_u32_e64 v7, s[2:3], s28, v6
	v_lshlrev_b64 v[4:5], 4, v[4:5]
	v_lshlrev_b64 v[2:3], 4, v[2:3]
	v_addc_co_u32_e64 v8, s[2:3], v9, v8, s[2:3]
	v_add_co_u32_e64 v2, s[2:3], v4, v2
	v_addc_co_u32_e64 v3, s[2:3], v5, v3, s[2:3]
	v_mov_b32_e32 v4, s27
	v_add_co_u32_e64 v9, s[2:3], s26, v2
	v_addc_co_u32_e64 v10, s[2:3], v4, v3, s[2:3]
	s_lshl_b64 s[6:7], s[6:7], 7
	s_lshl_b64 s[2:3], s[22:23], 7
	v_mov_b32_e32 v25, 0
	v_mov_b32_e32 v23, 0
	;; [unrolled: 1-line block ×8, first 2 shown]
	v_lshlrev_b32_e32 v31, 4, v0
	v_mov_b32_e32 v26, 0
	s_xor_b64 s[22:23], s[0:1], -1
	v_mov_b32_e32 v33, s7
	v_mov_b32_e32 v34, s3
	;; [unrolled: 1-line block ×10, first 2 shown]
	s_branch .LBB763_3
.LBB763_2:                              ;   in Loop: Header=BB763_3 Depth=1
	s_or_b64 exec, exec, s[0:1]
	s_waitcnt vmcnt(0) lgkmcnt(0)
	ds_write_b128 v30, v[3:6]
	s_waitcnt lgkmcnt(0)
	s_barrier
	ds_read_b128 v[3:6], v32
	ds_read_b128 v[35:38], v32 offset:16
	ds_read_b128 v[39:42], v32 offset:32
	;; [unrolled: 1-line block ×3, first 2 shown]
	ds_read_b128 v[47:50], v31
	v_add_co_u32_e64 v7, s[0:1], s6, v7
	v_addc_co_u32_e64 v8, s[0:1], v8, v33, s[0:1]
	s_waitcnt lgkmcnt(0)
	v_mul_f64 v[51:52], v[5:6], v[49:50]
	v_mul_f64 v[53:54], v[3:4], v[49:50]
	s_add_i32 s9, s9, 8
	v_add_co_u32_e64 v9, s[0:1], s2, v9
	v_addc_co_u32_e64 v10, s[0:1], v10, v34, s[0:1]
	s_cmp_ge_i32 s9, s21
	v_fma_f64 v[51:52], v[3:4], v[47:48], -v[51:52]
	v_fma_f64 v[53:54], v[5:6], v[47:48], v[53:54]
	v_add_f64 v[51:52], v[19:20], v[51:52]
	v_add_f64 v[53:54], v[53:54], v[21:22]
	ds_read_b128 v[19:22], v31 offset:256
	s_waitcnt lgkmcnt(0)
	v_mul_f64 v[55:56], v[5:6], v[21:22]
	v_fma_f64 v[55:56], v[3:4], v[19:20], -v[55:56]
	v_mul_f64 v[3:4], v[3:4], v[21:22]
	v_add_f64 v[55:56], v[11:12], v[55:56]
	v_fma_f64 v[3:4], v[5:6], v[19:20], v[3:4]
	v_add_f64 v[57:58], v[3:4], v[13:14]
	ds_read_b128 v[3:6], v32 offset:2048
	s_waitcnt lgkmcnt(0)
	v_mul_f64 v[11:12], v[5:6], v[49:50]
	v_mul_f64 v[13:14], v[3:4], v[49:50]
	v_fma_f64 v[11:12], v[3:4], v[47:48], -v[11:12]
	v_fma_f64 v[13:14], v[5:6], v[47:48], v[13:14]
	v_add_f64 v[47:48], v[15:16], v[11:12]
	v_mul_f64 v[11:12], v[5:6], v[21:22]
	v_add_f64 v[49:50], v[13:14], v[17:18]
	v_fma_f64 v[11:12], v[3:4], v[19:20], -v[11:12]
	v_mul_f64 v[3:4], v[3:4], v[21:22]
	v_fma_f64 v[3:4], v[5:6], v[19:20], v[3:4]
	v_add_f64 v[19:20], v[23:24], v[11:12]
	v_add_f64 v[21:22], v[3:4], v[25:26]
	ds_read_b128 v[3:6], v31 offset:512
	s_waitcnt lgkmcnt(0)
	v_mul_f64 v[11:12], v[37:38], v[5:6]
	v_mul_f64 v[13:14], v[35:36], v[5:6]
	v_fma_f64 v[11:12], v[35:36], v[3:4], -v[11:12]
	v_fma_f64 v[13:14], v[37:38], v[3:4], v[13:14]
	v_add_f64 v[23:24], v[51:52], v[11:12]
	v_add_f64 v[25:26], v[13:14], v[53:54]
	ds_read_b128 v[11:14], v31 offset:768
	s_waitcnt lgkmcnt(0)
	v_mul_f64 v[15:16], v[37:38], v[13:14]
	v_mul_f64 v[17:18], v[35:36], v[13:14]
	v_fma_f64 v[15:16], v[35:36], v[11:12], -v[15:16]
	;; [unrolled: 8-line block ×3, first 2 shown]
	v_fma_f64 v[3:4], v[17:18], v[3:4], v[5:6]
	v_mul_f64 v[5:6], v[15:16], v[13:14]
	v_add_f64 v[47:48], v[47:48], v[51:52]
	v_add_f64 v[49:50], v[3:4], v[49:50]
	v_mul_f64 v[3:4], v[17:18], v[13:14]
	v_fma_f64 v[5:6], v[17:18], v[11:12], v[5:6]
	v_fma_f64 v[3:4], v[15:16], v[11:12], -v[3:4]
	v_add_f64 v[21:22], v[5:6], v[21:22]
	v_add_f64 v[19:20], v[19:20], v[3:4]
	ds_read_b128 v[3:6], v31 offset:1024
	s_waitcnt lgkmcnt(0)
	v_mul_f64 v[11:12], v[41:42], v[5:6]
	v_mul_f64 v[13:14], v[39:40], v[5:6]
	v_fma_f64 v[11:12], v[39:40], v[3:4], -v[11:12]
	v_fma_f64 v[13:14], v[41:42], v[3:4], v[13:14]
	v_add_f64 v[23:24], v[23:24], v[11:12]
	v_add_f64 v[25:26], v[13:14], v[25:26]
	ds_read_b128 v[11:14], v31 offset:1280
	s_waitcnt lgkmcnt(0)
	v_mul_f64 v[15:16], v[41:42], v[13:14]
	v_mul_f64 v[17:18], v[39:40], v[13:14]
	v_fma_f64 v[15:16], v[39:40], v[11:12], -v[15:16]
	v_fma_f64 v[17:18], v[41:42], v[11:12], v[17:18]
	;; [unrolled: 8-line block ×3, first 2 shown]
	v_mul_f64 v[5:6], v[15:16], v[13:14]
	v_add_f64 v[39:40], v[47:48], v[39:40]
	v_add_f64 v[41:42], v[3:4], v[49:50]
	v_mul_f64 v[3:4], v[17:18], v[13:14]
	v_fma_f64 v[5:6], v[17:18], v[11:12], v[5:6]
	v_fma_f64 v[3:4], v[15:16], v[11:12], -v[3:4]
	v_add_f64 v[21:22], v[5:6], v[21:22]
	v_add_f64 v[19:20], v[19:20], v[3:4]
	ds_read_b128 v[3:6], v31 offset:1536
	s_waitcnt lgkmcnt(0)
	v_mul_f64 v[11:12], v[45:46], v[5:6]
	v_mul_f64 v[13:14], v[43:44], v[5:6]
	v_fma_f64 v[11:12], v[43:44], v[3:4], -v[11:12]
	v_fma_f64 v[13:14], v[45:46], v[3:4], v[13:14]
	v_add_f64 v[23:24], v[23:24], v[11:12]
	v_add_f64 v[25:26], v[13:14], v[25:26]
	ds_read_b128 v[11:14], v31 offset:1792
	s_waitcnt lgkmcnt(0)
	v_mul_f64 v[15:16], v[45:46], v[13:14]
	v_mul_f64 v[17:18], v[43:44], v[13:14]
	v_fma_f64 v[15:16], v[43:44], v[11:12], -v[15:16]
	v_fma_f64 v[17:18], v[45:46], v[11:12], v[17:18]
	v_add_f64 v[35:36], v[35:36], v[15:16]
	v_add_f64 v[37:38], v[17:18], v[37:38]
	ds_read_b128 v[15:18], v32 offset:2096
	s_waitcnt lgkmcnt(0)
	v_mul_f64 v[43:44], v[17:18], v[5:6]
	v_mul_f64 v[5:6], v[15:16], v[5:6]
	v_fma_f64 v[43:44], v[15:16], v[3:4], -v[43:44]
	v_fma_f64 v[3:4], v[17:18], v[3:4], v[5:6]
	v_mul_f64 v[5:6], v[15:16], v[13:14]
	v_add_f64 v[39:40], v[39:40], v[43:44]
	v_add_f64 v[41:42], v[3:4], v[41:42]
	v_mul_f64 v[3:4], v[17:18], v[13:14]
	v_fma_f64 v[5:6], v[17:18], v[11:12], v[5:6]
	v_fma_f64 v[3:4], v[15:16], v[11:12], -v[3:4]
	v_add_f64 v[21:22], v[5:6], v[21:22]
	v_add_f64 v[19:20], v[19:20], v[3:4]
	ds_read_b128 v[3:6], v32 offset:64
	ds_read_b128 v[11:14], v31 offset:2048
	s_waitcnt lgkmcnt(0)
	v_mul_f64 v[15:16], v[5:6], v[13:14]
	v_mul_f64 v[17:18], v[3:4], v[13:14]
	v_fma_f64 v[15:16], v[3:4], v[11:12], -v[15:16]
	v_fma_f64 v[17:18], v[5:6], v[11:12], v[17:18]
	v_add_f64 v[23:24], v[23:24], v[15:16]
	v_add_f64 v[25:26], v[17:18], v[25:26]
	ds_read_b128 v[15:18], v31 offset:2304
	s_waitcnt lgkmcnt(0)
	v_mul_f64 v[43:44], v[5:6], v[17:18]
	v_fma_f64 v[43:44], v[3:4], v[15:16], -v[43:44]
	v_mul_f64 v[3:4], v[3:4], v[17:18]
	v_add_f64 v[35:36], v[35:36], v[43:44]
	v_fma_f64 v[3:4], v[5:6], v[15:16], v[3:4]
	v_add_f64 v[37:38], v[3:4], v[37:38]
	ds_read_b128 v[3:6], v32 offset:2112
	s_waitcnt lgkmcnt(0)
	v_mul_f64 v[43:44], v[5:6], v[13:14]
	v_mul_f64 v[13:14], v[3:4], v[13:14]
	v_fma_f64 v[43:44], v[3:4], v[11:12], -v[43:44]
	v_fma_f64 v[11:12], v[5:6], v[11:12], v[13:14]
	v_add_f64 v[39:40], v[39:40], v[43:44]
	v_add_f64 v[41:42], v[11:12], v[41:42]
	v_mul_f64 v[11:12], v[5:6], v[17:18]
	v_fma_f64 v[11:12], v[3:4], v[15:16], -v[11:12]
	v_mul_f64 v[3:4], v[3:4], v[17:18]
	v_add_f64 v[19:20], v[19:20], v[11:12]
	v_fma_f64 v[3:4], v[5:6], v[15:16], v[3:4]
	v_add_f64 v[21:22], v[3:4], v[21:22]
	ds_read_b128 v[3:6], v32 offset:80
	ds_read_b128 v[11:14], v31 offset:2560
	s_waitcnt lgkmcnt(0)
	v_mul_f64 v[15:16], v[5:6], v[13:14]
	v_mul_f64 v[17:18], v[3:4], v[13:14]
	v_fma_f64 v[15:16], v[3:4], v[11:12], -v[15:16]
	v_fma_f64 v[17:18], v[5:6], v[11:12], v[17:18]
	v_add_f64 v[23:24], v[23:24], v[15:16]
	v_add_f64 v[25:26], v[17:18], v[25:26]
	ds_read_b128 v[15:18], v31 offset:2816
	s_waitcnt lgkmcnt(0)
	v_mul_f64 v[43:44], v[5:6], v[17:18]
	v_fma_f64 v[43:44], v[3:4], v[15:16], -v[43:44]
	v_mul_f64 v[3:4], v[3:4], v[17:18]
	v_add_f64 v[35:36], v[35:36], v[43:44]
	v_fma_f64 v[3:4], v[5:6], v[15:16], v[3:4]
	v_add_f64 v[37:38], v[3:4], v[37:38]
	ds_read_b128 v[3:6], v32 offset:2128
	s_waitcnt lgkmcnt(0)
	v_mul_f64 v[43:44], v[5:6], v[13:14]
	v_mul_f64 v[13:14], v[3:4], v[13:14]
	v_fma_f64 v[43:44], v[3:4], v[11:12], -v[43:44]
	v_fma_f64 v[11:12], v[5:6], v[11:12], v[13:14]
	v_add_f64 v[39:40], v[39:40], v[43:44]
	v_add_f64 v[41:42], v[11:12], v[41:42]
	v_mul_f64 v[11:12], v[5:6], v[17:18]
	v_fma_f64 v[11:12], v[3:4], v[15:16], -v[11:12]
	v_mul_f64 v[3:4], v[3:4], v[17:18]
	v_add_f64 v[19:20], v[19:20], v[11:12]
	v_fma_f64 v[3:4], v[5:6], v[15:16], v[3:4]
	;; [unrolled: 31-line block ×3, first 2 shown]
	v_add_f64 v[45:46], v[3:4], v[21:22]
	ds_read_b128 v[3:6], v32 offset:112
	ds_read_b128 v[15:18], v31 offset:3584
	s_waitcnt lgkmcnt(0)
	v_mul_f64 v[11:12], v[5:6], v[17:18]
	v_mul_f64 v[13:14], v[3:4], v[17:18]
	v_fma_f64 v[11:12], v[3:4], v[15:16], -v[11:12]
	v_fma_f64 v[13:14], v[5:6], v[15:16], v[13:14]
	v_add_f64 v[19:20], v[23:24], v[11:12]
	v_add_f64 v[21:22], v[13:14], v[25:26]
	ds_read_b128 v[23:26], v31 offset:3840
	s_waitcnt lgkmcnt(0)
	v_mul_f64 v[11:12], v[5:6], v[25:26]
	v_fma_f64 v[11:12], v[3:4], v[23:24], -v[11:12]
	v_mul_f64 v[3:4], v[3:4], v[25:26]
	v_add_f64 v[11:12], v[35:36], v[11:12]
	v_fma_f64 v[3:4], v[5:6], v[23:24], v[3:4]
	v_add_f64 v[13:14], v[3:4], v[37:38]
	ds_read_b128 v[3:6], v32 offset:2160
	s_waitcnt lgkmcnt(0)
	s_barrier
	v_mul_f64 v[35:36], v[5:6], v[17:18]
	v_mul_f64 v[17:18], v[3:4], v[17:18]
	v_fma_f64 v[35:36], v[3:4], v[15:16], -v[35:36]
	v_fma_f64 v[17:18], v[5:6], v[15:16], v[17:18]
	v_add_f64 v[15:16], v[39:40], v[35:36]
	v_mul_f64 v[35:36], v[5:6], v[25:26]
	v_add_f64 v[17:18], v[17:18], v[41:42]
	v_fma_f64 v[35:36], v[3:4], v[23:24], -v[35:36]
	v_mul_f64 v[3:4], v[3:4], v[25:26]
	v_fma_f64 v[3:4], v[5:6], v[23:24], v[3:4]
	v_add_f64 v[23:24], v[43:44], v[35:36]
	v_add_f64 v[25:26], v[3:4], v[45:46]
	s_cbranch_scc1 .LBB763_10
.LBB763_3:                              ; =>This Inner Loop Header: Depth=1
	v_add_u32_e32 v3, s9, v28
	v_cmp_le_i32_e64 s[0:1], s21, v3
	s_or_b64 s[0:1], s[22:23], s[0:1]
	s_and_saveexec_b64 s[26:27], s[0:1]
	s_xor_b64 s[0:1], exec, s[26:27]
; %bb.4:                                ;   in Loop: Header=BB763_3 Depth=1
	v_mov_b32_e32 v3, v2
	v_mov_b32_e32 v4, v2
	;; [unrolled: 1-line block ×3, first 2 shown]
	ds_write_b128 v29, v[2:5]
; %bb.5:                                ;   in Loop: Header=BB763_3 Depth=1
	s_andn2_saveexec_b64 s[0:1], s[0:1]
	s_cbranch_execz .LBB763_7
; %bb.6:                                ;   in Loop: Header=BB763_3 Depth=1
	flat_load_dwordx4 v[3:6], v[7:8]
	s_waitcnt vmcnt(0) lgkmcnt(0)
	ds_write2_b64 v29, v[3:4], v[5:6] offset1:1
.LBB763_7:                              ;   in Loop: Header=BB763_3 Depth=1
	s_or_b64 exec, exec, s[0:1]
	v_add_u32_e32 v3, s9, v27
	v_cmp_gt_i32_e64 s[0:1], s21, v3
	v_mov_b32_e32 v3, 0
	v_mov_b32_e32 v5, 0
	;; [unrolled: 1-line block ×4, first 2 shown]
	s_and_b64 s[26:27], s[0:1], vcc
	s_and_saveexec_b64 s[0:1], s[26:27]
	s_cbranch_execz .LBB763_2
; %bb.8:                                ;   in Loop: Header=BB763_3 Depth=1
	flat_load_dwordx4 v[3:6], v[9:10]
	s_branch .LBB763_2
.LBB763_9:
	v_mov_b32_e32 v19, 0
	v_mov_b32_e32 v21, 0
	;; [unrolled: 1-line block ×16, first 2 shown]
.LBB763_10:
	s_load_dword s6, s[4:5], 0x60
	v_add_u32_e32 v4, s24, v1
	s_waitcnt lgkmcnt(0)
	v_mov_b32_e32 v3, s11
	v_add_u32_e32 v0, s8, v0
	v_mad_i64_i32 v[1:2], s[0:1], v4, s6, 0
	v_cmp_le_i32_e64 s[0:1], v4, v0
	v_lshlrev_b64 v[1:2], 4, v[1:2]
	v_add_co_u32_e32 v5, vcc, s10, v1
	v_addc_co_u32_e32 v6, vcc, v3, v2, vcc
	v_cmp_gt_i32_e32 vcc, s20, v0
	s_and_b64 s[0:1], s[0:1], vcc
	s_and_saveexec_b64 s[2:3], s[0:1]
	s_cbranch_execz .LBB763_12
; %bb.11:
	v_ashrrev_i32_e32 v1, 31, v0
	v_lshlrev_b64 v[1:2], 4, v[0:1]
	v_mul_f64 v[27:28], s[14:15], v[21:22]
	v_add_co_u32_e64 v1, s[0:1], v5, v1
	v_addc_co_u32_e64 v2, s[0:1], v6, v2, s[0:1]
	flat_load_dwordx4 v[7:10], v[1:2]
	v_mul_f64 v[21:22], s[12:13], v[21:22]
	v_fma_f64 v[27:28], s[12:13], v[19:20], -v[27:28]
	v_fma_f64 v[19:20], s[14:15], v[19:20], v[21:22]
	s_waitcnt vmcnt(0) lgkmcnt(0)
	v_mul_f64 v[29:30], s[18:19], v[9:10]
	v_mul_f64 v[9:10], s[16:17], v[9:10]
	v_fma_f64 v[21:22], s[16:17], v[7:8], -v[29:30]
	v_fma_f64 v[9:10], s[18:19], v[7:8], v[9:10]
	v_add_f64 v[7:8], v[27:28], v[21:22]
	v_add_f64 v[9:10], v[19:20], v[9:10]
	flat_store_dwordx4 v[1:2], v[7:10]
.LBB763_12:
	s_or_b64 exec, exec, s[2:3]
	v_add_u32_e32 v2, 16, v0
	v_cmp_le_i32_e64 s[2:3], v4, v2
	v_cmp_gt_i32_e64 s[0:1], s20, v2
	s_and_b64 s[2:3], s[2:3], s[0:1]
	s_and_saveexec_b64 s[4:5], s[2:3]
	s_cbranch_execz .LBB763_14
; %bb.13:
	v_ashrrev_i32_e32 v3, 31, v2
	v_lshlrev_b64 v[7:8], 4, v[2:3]
	v_mul_f64 v[19:20], s[14:15], v[13:14]
	v_add_co_u32_e64 v9, s[2:3], v5, v7
	v_addc_co_u32_e64 v10, s[2:3], v6, v8, s[2:3]
	flat_load_dwordx4 v[5:8], v[9:10]
	v_mul_f64 v[13:14], s[12:13], v[13:14]
	v_fma_f64 v[19:20], s[12:13], v[11:12], -v[19:20]
	v_fma_f64 v[11:12], s[14:15], v[11:12], v[13:14]
	s_waitcnt vmcnt(0) lgkmcnt(0)
	v_mul_f64 v[21:22], s[18:19], v[7:8]
	v_mul_f64 v[7:8], s[16:17], v[7:8]
	v_fma_f64 v[13:14], s[16:17], v[5:6], -v[21:22]
	v_fma_f64 v[7:8], s[18:19], v[5:6], v[7:8]
	v_add_f64 v[5:6], v[19:20], v[13:14]
	v_add_f64 v[7:8], v[11:12], v[7:8]
	flat_store_dwordx4 v[9:10], v[5:8]
.LBB763_14:
	s_or_b64 exec, exec, s[4:5]
	v_add_u32_e32 v3, 16, v4
	v_mad_i64_i32 v[4:5], s[2:3], v3, s6, 0
	v_mov_b32_e32 v1, s11
	v_lshlrev_b64 v[4:5], 4, v[4:5]
	v_add_co_u32_e64 v4, s[2:3], s10, v4
	v_addc_co_u32_e64 v5, s[2:3], v1, v5, s[2:3]
	v_cmp_le_i32_e64 s[2:3], v3, v0
	s_and_b64 s[4:5], s[2:3], vcc
	s_and_saveexec_b64 s[2:3], s[4:5]
	s_cbranch_execz .LBB763_16
; %bb.15:
	v_ashrrev_i32_e32 v1, 31, v0
	v_lshlrev_b64 v[0:1], 4, v[0:1]
	v_mul_f64 v[10:11], s[14:15], v[17:18]
	v_add_co_u32_e32 v0, vcc, v4, v0
	v_addc_co_u32_e32 v1, vcc, v5, v1, vcc
	flat_load_dwordx4 v[6:9], v[0:1]
	v_mul_f64 v[12:13], s[12:13], v[17:18]
	v_fma_f64 v[10:11], s[12:13], v[15:16], -v[10:11]
	v_fma_f64 v[12:13], s[14:15], v[15:16], v[12:13]
	s_waitcnt vmcnt(0) lgkmcnt(0)
	v_mul_f64 v[17:18], s[18:19], v[8:9]
	v_mul_f64 v[8:9], s[16:17], v[8:9]
	v_fma_f64 v[14:15], s[16:17], v[6:7], -v[17:18]
	v_fma_f64 v[8:9], s[18:19], v[6:7], v[8:9]
	v_add_f64 v[6:7], v[10:11], v[14:15]
	v_add_f64 v[8:9], v[12:13], v[8:9]
	flat_store_dwordx4 v[0:1], v[6:9]
.LBB763_16:
	s_or_b64 exec, exec, s[2:3]
	v_cmp_le_i32_e32 vcc, v3, v2
	s_and_b64 s[0:1], vcc, s[0:1]
	s_and_saveexec_b64 s[2:3], s[0:1]
	s_cbranch_execz .LBB763_18
; %bb.17:
	v_ashrrev_i32_e32 v3, 31, v2
	v_lshlrev_b64 v[0:1], 4, v[2:3]
	v_mul_f64 v[6:7], s[14:15], v[25:26]
	v_add_co_u32_e32 v4, vcc, v4, v0
	v_addc_co_u32_e32 v5, vcc, v5, v1, vcc
	flat_load_dwordx4 v[0:3], v[4:5]
	v_mul_f64 v[8:9], s[12:13], v[25:26]
	v_fma_f64 v[6:7], s[12:13], v[23:24], -v[6:7]
	v_fma_f64 v[8:9], s[14:15], v[23:24], v[8:9]
	s_waitcnt vmcnt(0) lgkmcnt(0)
	v_mul_f64 v[10:11], s[18:19], v[2:3]
	v_mul_f64 v[2:3], s[16:17], v[2:3]
	v_fma_f64 v[10:11], s[16:17], v[0:1], -v[10:11]
	v_fma_f64 v[2:3], s[18:19], v[0:1], v[2:3]
	v_add_f64 v[0:1], v[6:7], v[10:11]
	v_add_f64 v[2:3], v[8:9], v[2:3]
	flat_store_dwordx4 v[4:5], v[0:3]
.LBB763_18:
	s_endpgm
	.section	.rodata,"a",@progbits
	.p2align	6, 0x0
	.amdhsa_kernel _ZL34rocblas_syrkx_herkx_general_kernelIi19rocblas_complex_numIdELi16ELi32ELi8ELb0ELb0ELc78ELc76EKPKS1_KPS1_EviT_T0_PT8_S7_lSA_S7_lS8_PT9_S7_li
		.amdhsa_group_segment_fixed_size 8192
		.amdhsa_private_segment_fixed_size 0
		.amdhsa_kernarg_size 116
		.amdhsa_user_sgpr_count 6
		.amdhsa_user_sgpr_private_segment_buffer 1
		.amdhsa_user_sgpr_dispatch_ptr 0
		.amdhsa_user_sgpr_queue_ptr 0
		.amdhsa_user_sgpr_kernarg_segment_ptr 1
		.amdhsa_user_sgpr_dispatch_id 0
		.amdhsa_user_sgpr_flat_scratch_init 0
		.amdhsa_user_sgpr_private_segment_size 0
		.amdhsa_uses_dynamic_stack 0
		.amdhsa_system_sgpr_private_segment_wavefront_offset 0
		.amdhsa_system_sgpr_workgroup_id_x 1
		.amdhsa_system_sgpr_workgroup_id_y 1
		.amdhsa_system_sgpr_workgroup_id_z 1
		.amdhsa_system_sgpr_workgroup_info 0
		.amdhsa_system_vgpr_workitem_id 1
		.amdhsa_next_free_vgpr 59
		.amdhsa_next_free_sgpr 61
		.amdhsa_reserve_vcc 1
		.amdhsa_reserve_flat_scratch 0
		.amdhsa_float_round_mode_32 0
		.amdhsa_float_round_mode_16_64 0
		.amdhsa_float_denorm_mode_32 3
		.amdhsa_float_denorm_mode_16_64 3
		.amdhsa_dx10_clamp 1
		.amdhsa_ieee_mode 1
		.amdhsa_fp16_overflow 0
		.amdhsa_exception_fp_ieee_invalid_op 0
		.amdhsa_exception_fp_denorm_src 0
		.amdhsa_exception_fp_ieee_div_zero 0
		.amdhsa_exception_fp_ieee_overflow 0
		.amdhsa_exception_fp_ieee_underflow 0
		.amdhsa_exception_fp_ieee_inexact 0
		.amdhsa_exception_int_div_zero 0
	.end_amdhsa_kernel
	.section	.text._ZL34rocblas_syrkx_herkx_general_kernelIi19rocblas_complex_numIdELi16ELi32ELi8ELb0ELb0ELc78ELc76EKPKS1_KPS1_EviT_T0_PT8_S7_lSA_S7_lS8_PT9_S7_li,"axG",@progbits,_ZL34rocblas_syrkx_herkx_general_kernelIi19rocblas_complex_numIdELi16ELi32ELi8ELb0ELb0ELc78ELc76EKPKS1_KPS1_EviT_T0_PT8_S7_lSA_S7_lS8_PT9_S7_li,comdat
.Lfunc_end763:
	.size	_ZL34rocblas_syrkx_herkx_general_kernelIi19rocblas_complex_numIdELi16ELi32ELi8ELb0ELb0ELc78ELc76EKPKS1_KPS1_EviT_T0_PT8_S7_lSA_S7_lS8_PT9_S7_li, .Lfunc_end763-_ZL34rocblas_syrkx_herkx_general_kernelIi19rocblas_complex_numIdELi16ELi32ELi8ELb0ELb0ELc78ELc76EKPKS1_KPS1_EviT_T0_PT8_S7_lSA_S7_lS8_PT9_S7_li
                                        ; -- End function
	.set _ZL34rocblas_syrkx_herkx_general_kernelIi19rocblas_complex_numIdELi16ELi32ELi8ELb0ELb0ELc78ELc76EKPKS1_KPS1_EviT_T0_PT8_S7_lSA_S7_lS8_PT9_S7_li.num_vgpr, 59
	.set _ZL34rocblas_syrkx_herkx_general_kernelIi19rocblas_complex_numIdELi16ELi32ELi8ELb0ELb0ELc78ELc76EKPKS1_KPS1_EviT_T0_PT8_S7_lSA_S7_lS8_PT9_S7_li.num_agpr, 0
	.set _ZL34rocblas_syrkx_herkx_general_kernelIi19rocblas_complex_numIdELi16ELi32ELi8ELb0ELb0ELc78ELc76EKPKS1_KPS1_EviT_T0_PT8_S7_lSA_S7_lS8_PT9_S7_li.numbered_sgpr, 30
	.set _ZL34rocblas_syrkx_herkx_general_kernelIi19rocblas_complex_numIdELi16ELi32ELi8ELb0ELb0ELc78ELc76EKPKS1_KPS1_EviT_T0_PT8_S7_lSA_S7_lS8_PT9_S7_li.num_named_barrier, 0
	.set _ZL34rocblas_syrkx_herkx_general_kernelIi19rocblas_complex_numIdELi16ELi32ELi8ELb0ELb0ELc78ELc76EKPKS1_KPS1_EviT_T0_PT8_S7_lSA_S7_lS8_PT9_S7_li.private_seg_size, 0
	.set _ZL34rocblas_syrkx_herkx_general_kernelIi19rocblas_complex_numIdELi16ELi32ELi8ELb0ELb0ELc78ELc76EKPKS1_KPS1_EviT_T0_PT8_S7_lSA_S7_lS8_PT9_S7_li.uses_vcc, 1
	.set _ZL34rocblas_syrkx_herkx_general_kernelIi19rocblas_complex_numIdELi16ELi32ELi8ELb0ELb0ELc78ELc76EKPKS1_KPS1_EviT_T0_PT8_S7_lSA_S7_lS8_PT9_S7_li.uses_flat_scratch, 0
	.set _ZL34rocblas_syrkx_herkx_general_kernelIi19rocblas_complex_numIdELi16ELi32ELi8ELb0ELb0ELc78ELc76EKPKS1_KPS1_EviT_T0_PT8_S7_lSA_S7_lS8_PT9_S7_li.has_dyn_sized_stack, 0
	.set _ZL34rocblas_syrkx_herkx_general_kernelIi19rocblas_complex_numIdELi16ELi32ELi8ELb0ELb0ELc78ELc76EKPKS1_KPS1_EviT_T0_PT8_S7_lSA_S7_lS8_PT9_S7_li.has_recursion, 0
	.set _ZL34rocblas_syrkx_herkx_general_kernelIi19rocblas_complex_numIdELi16ELi32ELi8ELb0ELb0ELc78ELc76EKPKS1_KPS1_EviT_T0_PT8_S7_lSA_S7_lS8_PT9_S7_li.has_indirect_call, 0
	.section	.AMDGPU.csdata,"",@progbits
; Kernel info:
; codeLenInByte = 3320
; TotalNumSgprs: 34
; NumVgprs: 59
; ScratchSize: 0
; MemoryBound: 1
; FloatMode: 240
; IeeeMode: 1
; LDSByteSize: 8192 bytes/workgroup (compile time only)
; SGPRBlocks: 8
; VGPRBlocks: 14
; NumSGPRsForWavesPerEU: 65
; NumVGPRsForWavesPerEU: 59
; Occupancy: 4
; WaveLimiterHint : 1
; COMPUTE_PGM_RSRC2:SCRATCH_EN: 0
; COMPUTE_PGM_RSRC2:USER_SGPR: 6
; COMPUTE_PGM_RSRC2:TRAP_HANDLER: 0
; COMPUTE_PGM_RSRC2:TGID_X_EN: 1
; COMPUTE_PGM_RSRC2:TGID_Y_EN: 1
; COMPUTE_PGM_RSRC2:TGID_Z_EN: 1
; COMPUTE_PGM_RSRC2:TIDIG_COMP_CNT: 1
	.section	.text._ZL34rocblas_syrkx_herkx_general_kernelIi19rocblas_complex_numIdELi16ELi32ELi8ELb0ELb0ELc84ELc85EKPKS1_KPS1_EviT_T0_PT8_S7_lSA_S7_lS8_PT9_S7_li,"axG",@progbits,_ZL34rocblas_syrkx_herkx_general_kernelIi19rocblas_complex_numIdELi16ELi32ELi8ELb0ELb0ELc84ELc85EKPKS1_KPS1_EviT_T0_PT8_S7_lSA_S7_lS8_PT9_S7_li,comdat
	.globl	_ZL34rocblas_syrkx_herkx_general_kernelIi19rocblas_complex_numIdELi16ELi32ELi8ELb0ELb0ELc84ELc85EKPKS1_KPS1_EviT_T0_PT8_S7_lSA_S7_lS8_PT9_S7_li ; -- Begin function _ZL34rocblas_syrkx_herkx_general_kernelIi19rocblas_complex_numIdELi16ELi32ELi8ELb0ELb0ELc84ELc85EKPKS1_KPS1_EviT_T0_PT8_S7_lSA_S7_lS8_PT9_S7_li
	.p2align	8
	.type	_ZL34rocblas_syrkx_herkx_general_kernelIi19rocblas_complex_numIdELi16ELi32ELi8ELb0ELb0ELc84ELc85EKPKS1_KPS1_EviT_T0_PT8_S7_lSA_S7_lS8_PT9_S7_li,@function
_ZL34rocblas_syrkx_herkx_general_kernelIi19rocblas_complex_numIdELi16ELi32ELi8ELb0ELb0ELc84ELc85EKPKS1_KPS1_EviT_T0_PT8_S7_lSA_S7_lS8_PT9_S7_li: ; @_ZL34rocblas_syrkx_herkx_general_kernelIi19rocblas_complex_numIdELi16ELi32ELi8ELb0ELb0ELc84ELc85EKPKS1_KPS1_EviT_T0_PT8_S7_lSA_S7_lS8_PT9_S7_li
; %bb.0:
	s_load_dwordx2 s[10:11], s[4:5], 0x0
	s_load_dwordx4 s[12:15], s[4:5], 0x8
	s_load_dwordx2 s[20:21], s[4:5], 0x58
	s_load_dwordx2 s[0:1], s[4:5], 0x18
	s_load_dwordx4 s[16:19], s[4:5], 0x48
	s_mov_b32 s9, 0
	s_lshl_b64 s[2:3], s[8:9], 3
	s_waitcnt lgkmcnt(0)
	s_add_u32 s20, s20, s2
	s_addc_u32 s21, s21, s3
	s_load_dwordx2 s[20:21], s[20:21], 0x0
	s_lshl_b32 s8, s6, 5
	s_lshl_b32 s22, s7, 5
	s_cmp_lt_i32 s11, 1
	s_cbranch_scc1 .LBB764_11
; %bb.1:
	s_load_dword s23, s[4:5], 0x20
	s_load_dwordx2 s[6:7], s[4:5], 0x30
	s_load_dword s26, s[4:5], 0x38
	v_lshl_add_u32 v2, v1, 4, v0
	v_lshrrev_b32_e32 v27, 5, v2
	v_lshrrev_b32_e32 v3, 3, v2
	v_and_b32_e32 v2, 31, v2
	v_or_b32_e32 v5, s8, v2
	v_and_b32_e32 v26, 7, v0
	s_waitcnt lgkmcnt(0)
	s_add_u32 s6, s6, s2
	v_cmp_gt_i32_e32 vcc, s10, v5
	v_lshlrev_b32_e32 v5, 4, v2
	s_addc_u32 s7, s7, s3
	v_lshl_or_b32 v28, v27, 9, v5
	v_lshlrev_b32_e32 v5, 4, v26
	v_add_u32_e32 v4, s22, v3
	s_add_u32 s0, s0, s2
	v_lshl_or_b32 v3, v3, 7, v5
	v_add_u32_e32 v2, s8, v2
	s_addc_u32 s1, s1, s3
	v_add_u32_e32 v29, 0x1000, v3
	v_mad_i64_i32 v[2:3], s[2:3], s23, v2, 0
	v_mov_b32_e32 v6, 0x1000
	v_lshl_add_u32 v31, v1, 7, v6
	v_lshlrev_b64 v[2:3], 4, v[2:3]
	v_lshlrev_b32_e32 v6, 4, v27
	s_load_dwordx2 s[24:25], s[0:1], 0x0
	v_add_co_u32_e64 v6, s[2:3], v2, v6
	v_addc_co_u32_e64 v7, s[2:3], 0, v3, s[2:3]
	v_mad_i64_i32 v[2:3], s[2:3], s26, v4, 0
	s_load_dwordx2 s[6:7], s[6:7], 0x0
	s_waitcnt lgkmcnt(0)
	v_mov_b32_e32 v8, s25
	v_add_co_u32_e64 v6, s[2:3], s24, v6
	v_lshlrev_b64 v[2:3], 4, v[2:3]
	v_addc_co_u32_e64 v7, s[2:3], v8, v7, s[2:3]
	v_add_co_u32_e64 v2, s[2:3], v2, v5
	v_addc_co_u32_e64 v3, s[2:3], 0, v3, s[2:3]
	v_cmp_gt_i32_e64 s[0:1], s10, v4
	v_mov_b32_e32 v4, s7
	v_add_co_u32_e64 v8, s[2:3], s6, v2
	v_addc_co_u32_e64 v9, s[2:3], v4, v3, s[2:3]
	v_mov_b32_e32 v24, 0
	v_mov_b32_e32 v22, 0
	;; [unrolled: 1-line block ×8, first 2 shown]
	v_lshlrev_b32_e32 v30, 4, v0
	v_mov_b32_e32 v25, 0
	s_xor_b64 s[2:3], vcc, -1
	s_xor_b64 s[0:1], s[0:1], -1
	v_mov_b32_e32 v23, 0
	v_mov_b32_e32 v17, 0
	;; [unrolled: 1-line block ×8, first 2 shown]
	s_branch .LBB764_3
.LBB764_2:                              ;   in Loop: Header=BB764_3 Depth=1
	s_or_b64 exec, exec, s[6:7]
	s_waitcnt lgkmcnt(0)
	s_barrier
	ds_read_b128 v[32:35], v31
	ds_read_b128 v[36:39], v31 offset:16
	ds_read_b128 v[40:43], v31 offset:32
	;; [unrolled: 1-line block ×3, first 2 shown]
	ds_read_b128 v[48:51], v30
	v_add_co_u32_e32 v6, vcc, 0x80, v6
	v_addc_co_u32_e32 v7, vcc, 0, v7, vcc
	s_waitcnt lgkmcnt(0)
	v_mul_f64 v[3:4], v[34:35], v[50:51]
	v_mul_f64 v[52:53], v[32:33], v[50:51]
	s_add_i32 s9, s9, 8
	v_add_co_u32_e32 v8, vcc, 0x80, v8
	v_addc_co_u32_e32 v9, vcc, 0, v9, vcc
	s_cmp_ge_i32 s9, s11
	v_fma_f64 v[3:4], v[32:33], v[48:49], -v[3:4]
	v_fma_f64 v[52:53], v[34:35], v[48:49], v[52:53]
	v_add_f64 v[3:4], v[18:19], v[3:4]
	v_add_f64 v[52:53], v[52:53], v[20:21]
	ds_read_b128 v[18:21], v30 offset:256
	s_waitcnt lgkmcnt(0)
	v_mul_f64 v[54:55], v[34:35], v[20:21]
	v_fma_f64 v[54:55], v[32:33], v[18:19], -v[54:55]
	v_mul_f64 v[32:33], v[32:33], v[20:21]
	v_fma_f64 v[32:33], v[34:35], v[18:19], v[32:33]
	v_add_f64 v[34:35], v[10:11], v[54:55]
	v_add_f64 v[32:33], v[32:33], v[12:13]
	ds_read_b128 v[10:13], v31 offset:2048
	s_waitcnt lgkmcnt(0)
	v_mul_f64 v[54:55], v[12:13], v[50:51]
	v_mul_f64 v[50:51], v[10:11], v[50:51]
	v_fma_f64 v[54:55], v[10:11], v[48:49], -v[54:55]
	v_fma_f64 v[48:49], v[12:13], v[48:49], v[50:51]
	v_add_f64 v[50:51], v[14:15], v[54:55]
	v_mul_f64 v[14:15], v[12:13], v[20:21]
	v_add_f64 v[48:49], v[48:49], v[16:17]
	v_fma_f64 v[14:15], v[10:11], v[18:19], -v[14:15]
	v_mul_f64 v[10:11], v[10:11], v[20:21]
	v_add_f64 v[22:23], v[22:23], v[14:15]
	v_fma_f64 v[10:11], v[12:13], v[18:19], v[10:11]
	v_add_f64 v[24:25], v[10:11], v[24:25]
	ds_read_b128 v[10:13], v30 offset:512
	s_waitcnt lgkmcnt(0)
	v_mul_f64 v[14:15], v[38:39], v[12:13]
	v_mul_f64 v[16:17], v[36:37], v[12:13]
	v_fma_f64 v[14:15], v[36:37], v[10:11], -v[14:15]
	v_fma_f64 v[16:17], v[38:39], v[10:11], v[16:17]
	v_add_f64 v[3:4], v[3:4], v[14:15]
	v_add_f64 v[52:53], v[16:17], v[52:53]
	ds_read_b128 v[14:17], v30 offset:768
	s_waitcnt lgkmcnt(0)
	v_mul_f64 v[18:19], v[38:39], v[16:17]
	v_mul_f64 v[20:21], v[36:37], v[16:17]
	v_fma_f64 v[18:19], v[36:37], v[14:15], -v[18:19]
	v_fma_f64 v[20:21], v[38:39], v[14:15], v[20:21]
	v_add_f64 v[34:35], v[34:35], v[18:19]
	v_add_f64 v[32:33], v[20:21], v[32:33]
	ds_read_b128 v[18:21], v31 offset:2064
	s_waitcnt lgkmcnt(0)
	v_mul_f64 v[36:37], v[20:21], v[12:13]
	v_mul_f64 v[12:13], v[18:19], v[12:13]
	v_fma_f64 v[36:37], v[18:19], v[10:11], -v[36:37]
	v_fma_f64 v[10:11], v[20:21], v[10:11], v[12:13]
	v_mul_f64 v[12:13], v[18:19], v[16:17]
	v_add_f64 v[36:37], v[50:51], v[36:37]
	v_add_f64 v[38:39], v[10:11], v[48:49]
	v_mul_f64 v[10:11], v[20:21], v[16:17]
	v_fma_f64 v[12:13], v[20:21], v[14:15], v[12:13]
	v_fma_f64 v[10:11], v[18:19], v[14:15], -v[10:11]
	v_add_f64 v[24:25], v[12:13], v[24:25]
	v_add_f64 v[22:23], v[22:23], v[10:11]
	ds_read_b128 v[10:13], v30 offset:1024
	s_waitcnt lgkmcnt(0)
	v_mul_f64 v[14:15], v[42:43], v[12:13]
	v_mul_f64 v[16:17], v[40:41], v[12:13]
	v_fma_f64 v[14:15], v[40:41], v[10:11], -v[14:15]
	v_fma_f64 v[16:17], v[42:43], v[10:11], v[16:17]
	v_add_f64 v[3:4], v[3:4], v[14:15]
	v_add_f64 v[48:49], v[16:17], v[52:53]
	ds_read_b128 v[14:17], v30 offset:1280
	s_waitcnt lgkmcnt(0)
	v_mul_f64 v[18:19], v[42:43], v[16:17]
	v_mul_f64 v[20:21], v[40:41], v[16:17]
	v_fma_f64 v[18:19], v[40:41], v[14:15], -v[18:19]
	v_fma_f64 v[20:21], v[42:43], v[14:15], v[20:21]
	v_add_f64 v[34:35], v[34:35], v[18:19]
	v_add_f64 v[32:33], v[20:21], v[32:33]
	ds_read_b128 v[18:21], v31 offset:2080
	s_waitcnt lgkmcnt(0)
	v_mul_f64 v[40:41], v[20:21], v[12:13]
	v_mul_f64 v[12:13], v[18:19], v[12:13]
	v_fma_f64 v[40:41], v[18:19], v[10:11], -v[40:41]
	v_fma_f64 v[10:11], v[20:21], v[10:11], v[12:13]
	v_mul_f64 v[12:13], v[18:19], v[16:17]
	v_add_f64 v[36:37], v[36:37], v[40:41]
	v_add_f64 v[38:39], v[10:11], v[38:39]
	v_mul_f64 v[10:11], v[20:21], v[16:17]
	v_fma_f64 v[12:13], v[20:21], v[14:15], v[12:13]
	v_fma_f64 v[10:11], v[18:19], v[14:15], -v[10:11]
	v_add_f64 v[24:25], v[12:13], v[24:25]
	;; [unrolled: 30-line block ×3, first 2 shown]
	v_add_f64 v[22:23], v[22:23], v[10:11]
	ds_read_b128 v[10:13], v31 offset:64
	ds_read_b128 v[14:17], v30 offset:2048
	s_waitcnt lgkmcnt(0)
	v_mul_f64 v[18:19], v[12:13], v[16:17]
	v_mul_f64 v[20:21], v[10:11], v[16:17]
	v_fma_f64 v[18:19], v[10:11], v[14:15], -v[18:19]
	v_fma_f64 v[20:21], v[12:13], v[14:15], v[20:21]
	v_add_f64 v[3:4], v[3:4], v[18:19]
	v_add_f64 v[40:41], v[20:21], v[40:41]
	ds_read_b128 v[18:21], v30 offset:2304
	s_waitcnt lgkmcnt(0)
	v_mul_f64 v[42:43], v[12:13], v[20:21]
	v_fma_f64 v[42:43], v[10:11], v[18:19], -v[42:43]
	v_mul_f64 v[10:11], v[10:11], v[20:21]
	v_add_f64 v[34:35], v[34:35], v[42:43]
	v_fma_f64 v[10:11], v[12:13], v[18:19], v[10:11]
	v_add_f64 v[32:33], v[10:11], v[32:33]
	ds_read_b128 v[10:13], v31 offset:2112
	s_waitcnt lgkmcnt(0)
	v_mul_f64 v[42:43], v[12:13], v[16:17]
	v_mul_f64 v[16:17], v[10:11], v[16:17]
	v_fma_f64 v[42:43], v[10:11], v[14:15], -v[42:43]
	v_fma_f64 v[14:15], v[12:13], v[14:15], v[16:17]
	v_add_f64 v[36:37], v[36:37], v[42:43]
	v_add_f64 v[38:39], v[14:15], v[38:39]
	v_mul_f64 v[14:15], v[12:13], v[20:21]
	v_fma_f64 v[14:15], v[10:11], v[18:19], -v[14:15]
	v_mul_f64 v[10:11], v[10:11], v[20:21]
	v_add_f64 v[22:23], v[22:23], v[14:15]
	v_fma_f64 v[10:11], v[12:13], v[18:19], v[10:11]
	v_add_f64 v[24:25], v[10:11], v[24:25]
	ds_read_b128 v[10:13], v31 offset:80
	ds_read_b128 v[14:17], v30 offset:2560
	s_waitcnt lgkmcnt(0)
	v_mul_f64 v[18:19], v[12:13], v[16:17]
	v_mul_f64 v[20:21], v[10:11], v[16:17]
	v_fma_f64 v[18:19], v[10:11], v[14:15], -v[18:19]
	v_fma_f64 v[20:21], v[12:13], v[14:15], v[20:21]
	v_add_f64 v[3:4], v[3:4], v[18:19]
	v_add_f64 v[40:41], v[20:21], v[40:41]
	ds_read_b128 v[18:21], v30 offset:2816
	s_waitcnt lgkmcnt(0)
	v_mul_f64 v[42:43], v[12:13], v[20:21]
	v_fma_f64 v[42:43], v[10:11], v[18:19], -v[42:43]
	v_mul_f64 v[10:11], v[10:11], v[20:21]
	v_add_f64 v[34:35], v[34:35], v[42:43]
	v_fma_f64 v[10:11], v[12:13], v[18:19], v[10:11]
	v_add_f64 v[32:33], v[10:11], v[32:33]
	ds_read_b128 v[10:13], v31 offset:2128
	s_waitcnt lgkmcnt(0)
	v_mul_f64 v[42:43], v[12:13], v[16:17]
	v_mul_f64 v[16:17], v[10:11], v[16:17]
	v_fma_f64 v[42:43], v[10:11], v[14:15], -v[42:43]
	v_fma_f64 v[14:15], v[12:13], v[14:15], v[16:17]
	v_add_f64 v[36:37], v[36:37], v[42:43]
	v_add_f64 v[38:39], v[14:15], v[38:39]
	v_mul_f64 v[14:15], v[12:13], v[20:21]
	v_fma_f64 v[14:15], v[10:11], v[18:19], -v[14:15]
	v_mul_f64 v[10:11], v[10:11], v[20:21]
	v_add_f64 v[22:23], v[22:23], v[14:15]
	v_fma_f64 v[10:11], v[12:13], v[18:19], v[10:11]
	;; [unrolled: 31-line block ×3, first 2 shown]
	v_add_f64 v[44:45], v[10:11], v[24:25]
	ds_read_b128 v[10:13], v31 offset:112
	ds_read_b128 v[14:17], v30 offset:3584
	;; [unrolled: 1-line block ×3, first 2 shown]
	s_waitcnt lgkmcnt(1)
	v_mul_f64 v[18:19], v[12:13], v[16:17]
	v_mul_f64 v[20:21], v[10:11], v[16:17]
	v_fma_f64 v[18:19], v[10:11], v[14:15], -v[18:19]
	v_fma_f64 v[20:21], v[12:13], v[14:15], v[20:21]
	v_add_f64 v[18:19], v[3:4], v[18:19]
	s_waitcnt lgkmcnt(0)
	v_mul_f64 v[3:4], v[12:13], v[24:25]
	v_add_f64 v[20:21], v[20:21], v[40:41]
	v_fma_f64 v[3:4], v[10:11], v[22:23], -v[3:4]
	v_mul_f64 v[10:11], v[10:11], v[24:25]
	v_fma_f64 v[12:13], v[12:13], v[22:23], v[10:11]
	v_add_f64 v[10:11], v[34:35], v[3:4]
	v_add_f64 v[12:13], v[12:13], v[32:33]
	ds_read_b128 v[32:35], v31 offset:2160
	s_waitcnt lgkmcnt(0)
	s_barrier
	v_mul_f64 v[3:4], v[34:35], v[16:17]
	v_mul_f64 v[16:17], v[32:33], v[16:17]
	v_fma_f64 v[3:4], v[32:33], v[14:15], -v[3:4]
	v_fma_f64 v[16:17], v[34:35], v[14:15], v[16:17]
	v_add_f64 v[14:15], v[36:37], v[3:4]
	v_mul_f64 v[3:4], v[34:35], v[24:25]
	v_mul_f64 v[24:25], v[32:33], v[24:25]
	v_add_f64 v[16:17], v[16:17], v[38:39]
	v_fma_f64 v[3:4], v[32:33], v[22:23], -v[3:4]
	v_fma_f64 v[24:25], v[34:35], v[22:23], v[24:25]
	v_add_f64 v[22:23], v[42:43], v[3:4]
	v_add_f64 v[24:25], v[24:25], v[44:45]
	s_cbranch_scc1 .LBB764_12
.LBB764_3:                              ; =>This Inner Loop Header: Depth=1
	v_add_u32_e32 v3, s9, v27
	v_cmp_le_i32_e32 vcc, s11, v3
	s_or_b64 s[6:7], s[2:3], vcc
	s_and_saveexec_b64 s[24:25], s[6:7]
	s_xor_b64 s[6:7], exec, s[24:25]
; %bb.4:                                ;   in Loop: Header=BB764_3 Depth=1
	v_mov_b32_e32 v3, v2
	v_mov_b32_e32 v4, v2
	;; [unrolled: 1-line block ×3, first 2 shown]
	ds_write_b128 v28, v[2:5]
; %bb.5:                                ;   in Loop: Header=BB764_3 Depth=1
	s_andn2_saveexec_b64 s[6:7], s[6:7]
	s_cbranch_execz .LBB764_7
; %bb.6:                                ;   in Loop: Header=BB764_3 Depth=1
	flat_load_dwordx4 v[32:35], v[6:7]
	s_waitcnt vmcnt(0) lgkmcnt(0)
	ds_write2_b64 v28, v[32:33], v[34:35] offset1:1
.LBB764_7:                              ;   in Loop: Header=BB764_3 Depth=1
	s_or_b64 exec, exec, s[6:7]
	v_add_u32_e32 v3, s9, v26
	v_cmp_le_i32_e32 vcc, s11, v3
	s_or_b64 s[6:7], vcc, s[0:1]
	s_and_saveexec_b64 s[24:25], s[6:7]
	s_xor_b64 s[6:7], exec, s[24:25]
; %bb.8:                                ;   in Loop: Header=BB764_3 Depth=1
	v_mov_b32_e32 v3, v2
	v_mov_b32_e32 v4, v2
	v_mov_b32_e32 v5, v2
	ds_write_b128 v29, v[2:5]
; %bb.9:                                ;   in Loop: Header=BB764_3 Depth=1
	s_andn2_saveexec_b64 s[6:7], s[6:7]
	s_cbranch_execz .LBB764_2
; %bb.10:                               ;   in Loop: Header=BB764_3 Depth=1
	flat_load_dwordx4 v[32:35], v[8:9]
	s_waitcnt vmcnt(0) lgkmcnt(0)
	ds_write2_b64 v29, v[32:33], v[34:35] offset1:1
	s_branch .LBB764_2
.LBB764_11:
	v_mov_b32_e32 v18, 0
	v_mov_b32_e32 v20, 0
	;; [unrolled: 1-line block ×16, first 2 shown]
.LBB764_12:
	s_load_dword s4, s[4:5], 0x60
	v_add_u32_e32 v4, s22, v1
	s_waitcnt lgkmcnt(0)
	v_mov_b32_e32 v3, s21
	v_add_u32_e32 v0, s8, v0
	v_cmp_gt_i32_e32 vcc, s10, v4
	v_mad_i64_i32 v[1:2], s[0:1], v4, s4, 0
	v_lshlrev_b64 v[1:2], 4, v[1:2]
	v_add_co_u32_e64 v5, s[0:1], s20, v1
	v_addc_co_u32_e64 v6, s[0:1], v3, v2, s[0:1]
	v_cmp_le_i32_e64 s[0:1], v0, v4
	s_and_b64 s[0:1], vcc, s[0:1]
	s_and_saveexec_b64 s[2:3], s[0:1]
	s_cbranch_execz .LBB764_14
; %bb.13:
	v_ashrrev_i32_e32 v1, 31, v0
	v_lshlrev_b64 v[1:2], 4, v[0:1]
	v_mul_f64 v[7:8], s[14:15], v[20:21]
	v_add_co_u32_e64 v1, s[0:1], v5, v1
	v_addc_co_u32_e64 v2, s[0:1], v6, v2, s[0:1]
	flat_load_dwordx4 v[26:29], v[1:2]
	v_mul_f64 v[20:21], s[12:13], v[20:21]
	v_fma_f64 v[7:8], s[12:13], v[18:19], -v[7:8]
	v_fma_f64 v[20:21], s[14:15], v[18:19], v[20:21]
	s_waitcnt vmcnt(0) lgkmcnt(0)
	v_mul_f64 v[30:31], s[18:19], v[28:29]
	v_mul_f64 v[28:29], s[16:17], v[28:29]
	v_fma_f64 v[18:19], s[16:17], v[26:27], -v[30:31]
	v_fma_f64 v[26:27], s[18:19], v[26:27], v[28:29]
	v_add_f64 v[18:19], v[7:8], v[18:19]
	v_add_f64 v[20:21], v[20:21], v[26:27]
	flat_store_dwordx4 v[1:2], v[18:21]
.LBB764_14:
	s_or_b64 exec, exec, s[2:3]
	v_add_u32_e32 v2, 16, v0
	v_cmp_le_i32_e64 s[0:1], v2, v4
	s_and_b64 s[2:3], vcc, s[0:1]
	s_and_saveexec_b64 s[0:1], s[2:3]
	s_cbranch_execz .LBB764_16
; %bb.15:
	v_ashrrev_i32_e32 v3, 31, v2
	v_lshlrev_b64 v[7:8], 4, v[2:3]
	v_mul_f64 v[20:21], s[14:15], v[12:13]
	v_add_co_u32_e32 v18, vcc, v5, v7
	v_addc_co_u32_e32 v19, vcc, v6, v8, vcc
	flat_load_dwordx4 v[5:8], v[18:19]
	v_mul_f64 v[12:13], s[12:13], v[12:13]
	v_fma_f64 v[20:21], s[12:13], v[10:11], -v[20:21]
	v_fma_f64 v[9:10], s[14:15], v[10:11], v[12:13]
	s_waitcnt vmcnt(0) lgkmcnt(0)
	v_mul_f64 v[26:27], s[18:19], v[7:8]
	v_mul_f64 v[7:8], s[16:17], v[7:8]
	v_fma_f64 v[11:12], s[16:17], v[5:6], -v[26:27]
	v_fma_f64 v[7:8], s[18:19], v[5:6], v[7:8]
	v_add_f64 v[5:6], v[20:21], v[11:12]
	v_add_f64 v[7:8], v[9:10], v[7:8]
	flat_store_dwordx4 v[18:19], v[5:8]
.LBB764_16:
	s_or_b64 exec, exec, s[0:1]
	v_add_u32_e32 v3, 16, v4
	v_mad_i64_i32 v[4:5], s[0:1], v3, s4, 0
	v_mov_b32_e32 v1, s21
	v_cmp_gt_i32_e32 vcc, s10, v3
	v_lshlrev_b64 v[4:5], 4, v[4:5]
	v_add_co_u32_e64 v4, s[0:1], s20, v4
	v_addc_co_u32_e64 v5, s[0:1], v1, v5, s[0:1]
	v_cmp_le_i32_e64 s[0:1], v0, v3
	s_and_b64 s[0:1], vcc, s[0:1]
	s_and_saveexec_b64 s[2:3], s[0:1]
	s_cbranch_execz .LBB764_18
; %bb.17:
	v_ashrrev_i32_e32 v1, 31, v0
	v_lshlrev_b64 v[0:1], 4, v[0:1]
	v_mul_f64 v[10:11], s[14:15], v[16:17]
	v_add_co_u32_e64 v0, s[0:1], v4, v0
	v_addc_co_u32_e64 v1, s[0:1], v5, v1, s[0:1]
	flat_load_dwordx4 v[6:9], v[0:1]
	v_mul_f64 v[12:13], s[12:13], v[16:17]
	v_fma_f64 v[10:11], s[12:13], v[14:15], -v[10:11]
	v_fma_f64 v[12:13], s[14:15], v[14:15], v[12:13]
	s_waitcnt vmcnt(0) lgkmcnt(0)
	v_mul_f64 v[16:17], s[18:19], v[8:9]
	v_mul_f64 v[8:9], s[16:17], v[8:9]
	v_fma_f64 v[14:15], s[16:17], v[6:7], -v[16:17]
	v_fma_f64 v[8:9], s[18:19], v[6:7], v[8:9]
	v_add_f64 v[6:7], v[10:11], v[14:15]
	v_add_f64 v[8:9], v[12:13], v[8:9]
	flat_store_dwordx4 v[0:1], v[6:9]
.LBB764_18:
	s_or_b64 exec, exec, s[2:3]
	v_cmp_le_i32_e64 s[0:1], v2, v3
	s_and_b64 s[0:1], vcc, s[0:1]
	s_and_saveexec_b64 s[2:3], s[0:1]
	s_cbranch_execz .LBB764_20
; %bb.19:
	v_ashrrev_i32_e32 v3, 31, v2
	v_lshlrev_b64 v[0:1], 4, v[2:3]
	v_mul_f64 v[6:7], s[14:15], v[24:25]
	v_add_co_u32_e32 v4, vcc, v4, v0
	v_addc_co_u32_e32 v5, vcc, v5, v1, vcc
	flat_load_dwordx4 v[0:3], v[4:5]
	v_mul_f64 v[8:9], s[12:13], v[24:25]
	v_fma_f64 v[6:7], s[12:13], v[22:23], -v[6:7]
	v_fma_f64 v[8:9], s[14:15], v[22:23], v[8:9]
	s_waitcnt vmcnt(0) lgkmcnt(0)
	v_mul_f64 v[10:11], s[18:19], v[2:3]
	v_mul_f64 v[2:3], s[16:17], v[2:3]
	v_fma_f64 v[10:11], s[16:17], v[0:1], -v[10:11]
	v_fma_f64 v[2:3], s[18:19], v[0:1], v[2:3]
	v_add_f64 v[0:1], v[6:7], v[10:11]
	v_add_f64 v[2:3], v[8:9], v[2:3]
	flat_store_dwordx4 v[4:5], v[0:3]
.LBB764_20:
	s_endpgm
	.section	.rodata,"a",@progbits
	.p2align	6, 0x0
	.amdhsa_kernel _ZL34rocblas_syrkx_herkx_general_kernelIi19rocblas_complex_numIdELi16ELi32ELi8ELb0ELb0ELc84ELc85EKPKS1_KPS1_EviT_T0_PT8_S7_lSA_S7_lS8_PT9_S7_li
		.amdhsa_group_segment_fixed_size 8192
		.amdhsa_private_segment_fixed_size 0
		.amdhsa_kernarg_size 116
		.amdhsa_user_sgpr_count 6
		.amdhsa_user_sgpr_private_segment_buffer 1
		.amdhsa_user_sgpr_dispatch_ptr 0
		.amdhsa_user_sgpr_queue_ptr 0
		.amdhsa_user_sgpr_kernarg_segment_ptr 1
		.amdhsa_user_sgpr_dispatch_id 0
		.amdhsa_user_sgpr_flat_scratch_init 0
		.amdhsa_user_sgpr_private_segment_size 0
		.amdhsa_uses_dynamic_stack 0
		.amdhsa_system_sgpr_private_segment_wavefront_offset 0
		.amdhsa_system_sgpr_workgroup_id_x 1
		.amdhsa_system_sgpr_workgroup_id_y 1
		.amdhsa_system_sgpr_workgroup_id_z 1
		.amdhsa_system_sgpr_workgroup_info 0
		.amdhsa_system_vgpr_workitem_id 1
		.amdhsa_next_free_vgpr 56
		.amdhsa_next_free_sgpr 61
		.amdhsa_reserve_vcc 1
		.amdhsa_reserve_flat_scratch 0
		.amdhsa_float_round_mode_32 0
		.amdhsa_float_round_mode_16_64 0
		.amdhsa_float_denorm_mode_32 3
		.amdhsa_float_denorm_mode_16_64 3
		.amdhsa_dx10_clamp 1
		.amdhsa_ieee_mode 1
		.amdhsa_fp16_overflow 0
		.amdhsa_exception_fp_ieee_invalid_op 0
		.amdhsa_exception_fp_denorm_src 0
		.amdhsa_exception_fp_ieee_div_zero 0
		.amdhsa_exception_fp_ieee_overflow 0
		.amdhsa_exception_fp_ieee_underflow 0
		.amdhsa_exception_fp_ieee_inexact 0
		.amdhsa_exception_int_div_zero 0
	.end_amdhsa_kernel
	.section	.text._ZL34rocblas_syrkx_herkx_general_kernelIi19rocblas_complex_numIdELi16ELi32ELi8ELb0ELb0ELc84ELc85EKPKS1_KPS1_EviT_T0_PT8_S7_lSA_S7_lS8_PT9_S7_li,"axG",@progbits,_ZL34rocblas_syrkx_herkx_general_kernelIi19rocblas_complex_numIdELi16ELi32ELi8ELb0ELb0ELc84ELc85EKPKS1_KPS1_EviT_T0_PT8_S7_lSA_S7_lS8_PT9_S7_li,comdat
.Lfunc_end764:
	.size	_ZL34rocblas_syrkx_herkx_general_kernelIi19rocblas_complex_numIdELi16ELi32ELi8ELb0ELb0ELc84ELc85EKPKS1_KPS1_EviT_T0_PT8_S7_lSA_S7_lS8_PT9_S7_li, .Lfunc_end764-_ZL34rocblas_syrkx_herkx_general_kernelIi19rocblas_complex_numIdELi16ELi32ELi8ELb0ELb0ELc84ELc85EKPKS1_KPS1_EviT_T0_PT8_S7_lSA_S7_lS8_PT9_S7_li
                                        ; -- End function
	.set _ZL34rocblas_syrkx_herkx_general_kernelIi19rocblas_complex_numIdELi16ELi32ELi8ELb0ELb0ELc84ELc85EKPKS1_KPS1_EviT_T0_PT8_S7_lSA_S7_lS8_PT9_S7_li.num_vgpr, 56
	.set _ZL34rocblas_syrkx_herkx_general_kernelIi19rocblas_complex_numIdELi16ELi32ELi8ELb0ELb0ELc84ELc85EKPKS1_KPS1_EviT_T0_PT8_S7_lSA_S7_lS8_PT9_S7_li.num_agpr, 0
	.set _ZL34rocblas_syrkx_herkx_general_kernelIi19rocblas_complex_numIdELi16ELi32ELi8ELb0ELb0ELc84ELc85EKPKS1_KPS1_EviT_T0_PT8_S7_lSA_S7_lS8_PT9_S7_li.numbered_sgpr, 27
	.set _ZL34rocblas_syrkx_herkx_general_kernelIi19rocblas_complex_numIdELi16ELi32ELi8ELb0ELb0ELc84ELc85EKPKS1_KPS1_EviT_T0_PT8_S7_lSA_S7_lS8_PT9_S7_li.num_named_barrier, 0
	.set _ZL34rocblas_syrkx_herkx_general_kernelIi19rocblas_complex_numIdELi16ELi32ELi8ELb0ELb0ELc84ELc85EKPKS1_KPS1_EviT_T0_PT8_S7_lSA_S7_lS8_PT9_S7_li.private_seg_size, 0
	.set _ZL34rocblas_syrkx_herkx_general_kernelIi19rocblas_complex_numIdELi16ELi32ELi8ELb0ELb0ELc84ELc85EKPKS1_KPS1_EviT_T0_PT8_S7_lSA_S7_lS8_PT9_S7_li.uses_vcc, 1
	.set _ZL34rocblas_syrkx_herkx_general_kernelIi19rocblas_complex_numIdELi16ELi32ELi8ELb0ELb0ELc84ELc85EKPKS1_KPS1_EviT_T0_PT8_S7_lSA_S7_lS8_PT9_S7_li.uses_flat_scratch, 0
	.set _ZL34rocblas_syrkx_herkx_general_kernelIi19rocblas_complex_numIdELi16ELi32ELi8ELb0ELb0ELc84ELc85EKPKS1_KPS1_EviT_T0_PT8_S7_lSA_S7_lS8_PT9_S7_li.has_dyn_sized_stack, 0
	.set _ZL34rocblas_syrkx_herkx_general_kernelIi19rocblas_complex_numIdELi16ELi32ELi8ELb0ELb0ELc84ELc85EKPKS1_KPS1_EviT_T0_PT8_S7_lSA_S7_lS8_PT9_S7_li.has_recursion, 0
	.set _ZL34rocblas_syrkx_herkx_general_kernelIi19rocblas_complex_numIdELi16ELi32ELi8ELb0ELb0ELc84ELc85EKPKS1_KPS1_EviT_T0_PT8_S7_lSA_S7_lS8_PT9_S7_li.has_indirect_call, 0
	.section	.AMDGPU.csdata,"",@progbits
; Kernel info:
; codeLenInByte = 3284
; TotalNumSgprs: 31
; NumVgprs: 56
; ScratchSize: 0
; MemoryBound: 0
; FloatMode: 240
; IeeeMode: 1
; LDSByteSize: 8192 bytes/workgroup (compile time only)
; SGPRBlocks: 8
; VGPRBlocks: 13
; NumSGPRsForWavesPerEU: 65
; NumVGPRsForWavesPerEU: 56
; Occupancy: 4
; WaveLimiterHint : 1
; COMPUTE_PGM_RSRC2:SCRATCH_EN: 0
; COMPUTE_PGM_RSRC2:USER_SGPR: 6
; COMPUTE_PGM_RSRC2:TRAP_HANDLER: 0
; COMPUTE_PGM_RSRC2:TGID_X_EN: 1
; COMPUTE_PGM_RSRC2:TGID_Y_EN: 1
; COMPUTE_PGM_RSRC2:TGID_Z_EN: 1
; COMPUTE_PGM_RSRC2:TIDIG_COMP_CNT: 1
	.section	.text._ZL34rocblas_syrkx_herkx_general_kernelIi19rocblas_complex_numIdELi16ELi32ELi8ELb0ELb0ELc67ELc85EKPKS1_KPS1_EviT_T0_PT8_S7_lSA_S7_lS8_PT9_S7_li,"axG",@progbits,_ZL34rocblas_syrkx_herkx_general_kernelIi19rocblas_complex_numIdELi16ELi32ELi8ELb0ELb0ELc67ELc85EKPKS1_KPS1_EviT_T0_PT8_S7_lSA_S7_lS8_PT9_S7_li,comdat
	.globl	_ZL34rocblas_syrkx_herkx_general_kernelIi19rocblas_complex_numIdELi16ELi32ELi8ELb0ELb0ELc67ELc85EKPKS1_KPS1_EviT_T0_PT8_S7_lSA_S7_lS8_PT9_S7_li ; -- Begin function _ZL34rocblas_syrkx_herkx_general_kernelIi19rocblas_complex_numIdELi16ELi32ELi8ELb0ELb0ELc67ELc85EKPKS1_KPS1_EviT_T0_PT8_S7_lSA_S7_lS8_PT9_S7_li
	.p2align	8
	.type	_ZL34rocblas_syrkx_herkx_general_kernelIi19rocblas_complex_numIdELi16ELi32ELi8ELb0ELb0ELc67ELc85EKPKS1_KPS1_EviT_T0_PT8_S7_lSA_S7_lS8_PT9_S7_li,@function
_ZL34rocblas_syrkx_herkx_general_kernelIi19rocblas_complex_numIdELi16ELi32ELi8ELb0ELb0ELc67ELc85EKPKS1_KPS1_EviT_T0_PT8_S7_lSA_S7_lS8_PT9_S7_li: ; @_ZL34rocblas_syrkx_herkx_general_kernelIi19rocblas_complex_numIdELi16ELi32ELi8ELb0ELb0ELc67ELc85EKPKS1_KPS1_EviT_T0_PT8_S7_lSA_S7_lS8_PT9_S7_li
; %bb.0:
	s_load_dwordx2 s[10:11], s[4:5], 0x0
	s_load_dwordx4 s[12:15], s[4:5], 0x8
	s_load_dwordx2 s[20:21], s[4:5], 0x58
	s_load_dwordx2 s[0:1], s[4:5], 0x18
	s_load_dwordx4 s[16:19], s[4:5], 0x48
	s_mov_b32 s9, 0
	s_lshl_b64 s[2:3], s[8:9], 3
	s_waitcnt lgkmcnt(0)
	s_add_u32 s20, s20, s2
	s_addc_u32 s21, s21, s3
	s_load_dwordx2 s[20:21], s[20:21], 0x0
	s_lshl_b32 s8, s6, 5
	s_lshl_b32 s22, s7, 5
	s_cmp_lt_i32 s11, 1
	s_cbranch_scc1 .LBB765_9
; %bb.1:
	s_load_dword s23, s[4:5], 0x20
	s_load_dwordx2 s[6:7], s[4:5], 0x30
	s_load_dword s26, s[4:5], 0x38
	v_lshl_add_u32 v2, v1, 4, v0
	v_lshrrev_b32_e32 v28, 5, v2
	v_lshrrev_b32_e32 v3, 3, v2
	s_waitcnt lgkmcnt(0)
	s_add_u32 s6, s6, s2
	s_addc_u32 s7, s7, s3
	v_and_b32_e32 v2, 31, v2
	s_add_u32 s0, s0, s2
	v_or_b32_e32 v5, s8, v2
	s_addc_u32 s1, s1, s3
	v_and_b32_e32 v27, 7, v0
	s_load_dwordx2 s[24:25], s[0:1], 0x0
	v_cmp_gt_i32_e64 s[0:1], s10, v5
	v_lshlrev_b32_e32 v5, 4, v2
	v_lshl_or_b32 v29, v28, 9, v5
	v_lshlrev_b32_e32 v5, 4, v27
	v_add_u32_e32 v4, s22, v3
	v_lshl_or_b32 v3, v3, 7, v5
	v_add_u32_e32 v2, s8, v2
	v_add_u32_e32 v30, 0x1000, v3
	v_mad_i64_i32 v[2:3], s[2:3], s23, v2, 0
	v_mov_b32_e32 v6, 0x1000
	v_lshl_add_u32 v32, v1, 7, v6
	v_lshlrev_b64 v[2:3], 4, v[2:3]
	v_lshlrev_b32_e32 v6, 4, v28
	v_add_co_u32_e64 v6, s[2:3], v2, v6
	v_addc_co_u32_e64 v8, s[2:3], 0, v3, s[2:3]
	v_mad_i64_i32 v[2:3], s[2:3], s26, v4, 0
	s_load_dwordx2 s[6:7], s[6:7], 0x0
	s_waitcnt lgkmcnt(0)
	v_mov_b32_e32 v9, s25
	v_add_co_u32_e64 v7, s[2:3], s24, v6
	v_lshlrev_b64 v[2:3], 4, v[2:3]
	v_addc_co_u32_e64 v8, s[2:3], v9, v8, s[2:3]
	v_add_co_u32_e64 v2, s[2:3], v2, v5
	v_addc_co_u32_e64 v3, s[2:3], 0, v3, s[2:3]
	v_cmp_gt_i32_e32 vcc, s10, v4
	v_mov_b32_e32 v4, s7
	v_add_co_u32_e64 v9, s[2:3], s6, v2
	v_addc_co_u32_e64 v10, s[2:3], v4, v3, s[2:3]
	v_mov_b32_e32 v25, 0
	v_mov_b32_e32 v23, 0
	;; [unrolled: 1-line block ×8, first 2 shown]
	v_lshlrev_b32_e32 v31, 4, v0
	v_mov_b32_e32 v26, 0
	s_xor_b64 s[2:3], vcc, -1
	v_mov_b32_e32 v24, 0
	v_mov_b32_e32 v18, 0
	;; [unrolled: 1-line block ×8, first 2 shown]
	s_branch .LBB765_3
.LBB765_2:                              ;   in Loop: Header=BB765_3 Depth=1
	s_or_b64 exec, exec, s[6:7]
	s_waitcnt lgkmcnt(0)
	s_barrier
	ds_read_b128 v[3:6], v32
	ds_read_b128 v[33:36], v32 offset:16
	ds_read_b128 v[37:40], v32 offset:32
	;; [unrolled: 1-line block ×3, first 2 shown]
	ds_read_b128 v[45:48], v31
	v_add_co_u32_e32 v7, vcc, 0x80, v7
	v_addc_co_u32_e32 v8, vcc, 0, v8, vcc
	s_waitcnt lgkmcnt(0)
	v_mul_f64 v[49:50], v[5:6], v[47:48]
	v_mul_f64 v[51:52], v[3:4], v[47:48]
	s_add_i32 s9, s9, 8
	v_add_co_u32_e32 v9, vcc, 0x80, v9
	v_addc_co_u32_e32 v10, vcc, 0, v10, vcc
	s_cmp_ge_i32 s9, s11
	v_fma_f64 v[49:50], v[3:4], v[45:46], -v[49:50]
	v_fma_f64 v[51:52], v[5:6], v[45:46], v[51:52]
	v_add_f64 v[49:50], v[19:20], v[49:50]
	v_add_f64 v[51:52], v[51:52], v[21:22]
	ds_read_b128 v[19:22], v31 offset:256
	s_waitcnt lgkmcnt(0)
	v_mul_f64 v[53:54], v[5:6], v[21:22]
	v_fma_f64 v[53:54], v[3:4], v[19:20], -v[53:54]
	v_mul_f64 v[3:4], v[3:4], v[21:22]
	v_add_f64 v[53:54], v[11:12], v[53:54]
	v_fma_f64 v[3:4], v[5:6], v[19:20], v[3:4]
	v_add_f64 v[55:56], v[3:4], v[13:14]
	ds_read_b128 v[3:6], v32 offset:2048
	s_waitcnt lgkmcnt(0)
	v_mul_f64 v[11:12], v[5:6], v[47:48]
	v_mul_f64 v[13:14], v[3:4], v[47:48]
	v_fma_f64 v[11:12], v[3:4], v[45:46], -v[11:12]
	v_fma_f64 v[13:14], v[5:6], v[45:46], v[13:14]
	v_add_f64 v[45:46], v[15:16], v[11:12]
	v_mul_f64 v[11:12], v[5:6], v[21:22]
	v_add_f64 v[47:48], v[13:14], v[17:18]
	v_fma_f64 v[11:12], v[3:4], v[19:20], -v[11:12]
	v_mul_f64 v[3:4], v[3:4], v[21:22]
	v_fma_f64 v[3:4], v[5:6], v[19:20], v[3:4]
	v_add_f64 v[19:20], v[23:24], v[11:12]
	v_add_f64 v[21:22], v[3:4], v[25:26]
	ds_read_b128 v[3:6], v31 offset:512
	s_waitcnt lgkmcnt(0)
	v_mul_f64 v[11:12], v[35:36], v[5:6]
	v_mul_f64 v[13:14], v[33:34], v[5:6]
	v_fma_f64 v[11:12], v[33:34], v[3:4], -v[11:12]
	v_fma_f64 v[13:14], v[35:36], v[3:4], v[13:14]
	v_add_f64 v[23:24], v[49:50], v[11:12]
	v_add_f64 v[25:26], v[13:14], v[51:52]
	ds_read_b128 v[11:14], v31 offset:768
	s_waitcnt lgkmcnt(0)
	v_mul_f64 v[15:16], v[35:36], v[13:14]
	v_mul_f64 v[17:18], v[33:34], v[13:14]
	v_fma_f64 v[15:16], v[33:34], v[11:12], -v[15:16]
	v_fma_f64 v[17:18], v[35:36], v[11:12], v[17:18]
	v_add_f64 v[33:34], v[53:54], v[15:16]
	v_add_f64 v[35:36], v[17:18], v[55:56]
	ds_read_b128 v[15:18], v32 offset:2064
	s_waitcnt lgkmcnt(0)
	v_mul_f64 v[49:50], v[17:18], v[5:6]
	v_mul_f64 v[5:6], v[15:16], v[5:6]
	v_fma_f64 v[49:50], v[15:16], v[3:4], -v[49:50]
	v_fma_f64 v[3:4], v[17:18], v[3:4], v[5:6]
	v_mul_f64 v[5:6], v[15:16], v[13:14]
	v_add_f64 v[45:46], v[45:46], v[49:50]
	v_add_f64 v[47:48], v[3:4], v[47:48]
	v_mul_f64 v[3:4], v[17:18], v[13:14]
	v_fma_f64 v[5:6], v[17:18], v[11:12], v[5:6]
	v_fma_f64 v[3:4], v[15:16], v[11:12], -v[3:4]
	v_add_f64 v[21:22], v[5:6], v[21:22]
	v_add_f64 v[19:20], v[19:20], v[3:4]
	ds_read_b128 v[3:6], v31 offset:1024
	s_waitcnt lgkmcnt(0)
	v_mul_f64 v[11:12], v[39:40], v[5:6]
	v_mul_f64 v[13:14], v[37:38], v[5:6]
	v_fma_f64 v[11:12], v[37:38], v[3:4], -v[11:12]
	v_fma_f64 v[13:14], v[39:40], v[3:4], v[13:14]
	v_add_f64 v[23:24], v[23:24], v[11:12]
	v_add_f64 v[25:26], v[13:14], v[25:26]
	ds_read_b128 v[11:14], v31 offset:1280
	s_waitcnt lgkmcnt(0)
	v_mul_f64 v[15:16], v[39:40], v[13:14]
	v_mul_f64 v[17:18], v[37:38], v[13:14]
	v_fma_f64 v[15:16], v[37:38], v[11:12], -v[15:16]
	v_fma_f64 v[17:18], v[39:40], v[11:12], v[17:18]
	;; [unrolled: 8-line block ×3, first 2 shown]
	v_mul_f64 v[5:6], v[15:16], v[13:14]
	v_add_f64 v[37:38], v[45:46], v[37:38]
	v_add_f64 v[39:40], v[3:4], v[47:48]
	v_mul_f64 v[3:4], v[17:18], v[13:14]
	v_fma_f64 v[5:6], v[17:18], v[11:12], v[5:6]
	v_fma_f64 v[3:4], v[15:16], v[11:12], -v[3:4]
	v_add_f64 v[21:22], v[5:6], v[21:22]
	v_add_f64 v[19:20], v[19:20], v[3:4]
	ds_read_b128 v[3:6], v31 offset:1536
	s_waitcnt lgkmcnt(0)
	v_mul_f64 v[11:12], v[43:44], v[5:6]
	v_mul_f64 v[13:14], v[41:42], v[5:6]
	v_fma_f64 v[11:12], v[41:42], v[3:4], -v[11:12]
	v_fma_f64 v[13:14], v[43:44], v[3:4], v[13:14]
	v_add_f64 v[23:24], v[23:24], v[11:12]
	v_add_f64 v[25:26], v[13:14], v[25:26]
	ds_read_b128 v[11:14], v31 offset:1792
	s_waitcnt lgkmcnt(0)
	v_mul_f64 v[15:16], v[43:44], v[13:14]
	v_mul_f64 v[17:18], v[41:42], v[13:14]
	v_fma_f64 v[15:16], v[41:42], v[11:12], -v[15:16]
	v_fma_f64 v[17:18], v[43:44], v[11:12], v[17:18]
	;; [unrolled: 8-line block ×3, first 2 shown]
	v_mul_f64 v[5:6], v[15:16], v[13:14]
	v_add_f64 v[37:38], v[37:38], v[41:42]
	v_add_f64 v[39:40], v[3:4], v[39:40]
	v_mul_f64 v[3:4], v[17:18], v[13:14]
	v_fma_f64 v[5:6], v[17:18], v[11:12], v[5:6]
	v_fma_f64 v[3:4], v[15:16], v[11:12], -v[3:4]
	v_add_f64 v[21:22], v[5:6], v[21:22]
	v_add_f64 v[19:20], v[19:20], v[3:4]
	ds_read_b128 v[3:6], v32 offset:64
	ds_read_b128 v[11:14], v31 offset:2048
	s_waitcnt lgkmcnt(0)
	v_mul_f64 v[15:16], v[5:6], v[13:14]
	v_mul_f64 v[17:18], v[3:4], v[13:14]
	v_fma_f64 v[15:16], v[3:4], v[11:12], -v[15:16]
	v_fma_f64 v[17:18], v[5:6], v[11:12], v[17:18]
	v_add_f64 v[23:24], v[23:24], v[15:16]
	v_add_f64 v[25:26], v[17:18], v[25:26]
	ds_read_b128 v[15:18], v31 offset:2304
	s_waitcnt lgkmcnt(0)
	v_mul_f64 v[41:42], v[5:6], v[17:18]
	v_fma_f64 v[41:42], v[3:4], v[15:16], -v[41:42]
	v_mul_f64 v[3:4], v[3:4], v[17:18]
	v_add_f64 v[33:34], v[33:34], v[41:42]
	v_fma_f64 v[3:4], v[5:6], v[15:16], v[3:4]
	v_add_f64 v[35:36], v[3:4], v[35:36]
	ds_read_b128 v[3:6], v32 offset:2112
	s_waitcnt lgkmcnt(0)
	v_mul_f64 v[41:42], v[5:6], v[13:14]
	v_mul_f64 v[13:14], v[3:4], v[13:14]
	v_fma_f64 v[41:42], v[3:4], v[11:12], -v[41:42]
	v_fma_f64 v[11:12], v[5:6], v[11:12], v[13:14]
	v_add_f64 v[37:38], v[37:38], v[41:42]
	v_add_f64 v[39:40], v[11:12], v[39:40]
	v_mul_f64 v[11:12], v[5:6], v[17:18]
	v_fma_f64 v[11:12], v[3:4], v[15:16], -v[11:12]
	v_mul_f64 v[3:4], v[3:4], v[17:18]
	v_add_f64 v[19:20], v[19:20], v[11:12]
	v_fma_f64 v[3:4], v[5:6], v[15:16], v[3:4]
	v_add_f64 v[21:22], v[3:4], v[21:22]
	ds_read_b128 v[3:6], v32 offset:80
	ds_read_b128 v[11:14], v31 offset:2560
	s_waitcnt lgkmcnt(0)
	v_mul_f64 v[15:16], v[5:6], v[13:14]
	v_mul_f64 v[17:18], v[3:4], v[13:14]
	v_fma_f64 v[15:16], v[3:4], v[11:12], -v[15:16]
	v_fma_f64 v[17:18], v[5:6], v[11:12], v[17:18]
	v_add_f64 v[23:24], v[23:24], v[15:16]
	v_add_f64 v[25:26], v[17:18], v[25:26]
	ds_read_b128 v[15:18], v31 offset:2816
	s_waitcnt lgkmcnt(0)
	v_mul_f64 v[41:42], v[5:6], v[17:18]
	v_fma_f64 v[41:42], v[3:4], v[15:16], -v[41:42]
	v_mul_f64 v[3:4], v[3:4], v[17:18]
	v_add_f64 v[33:34], v[33:34], v[41:42]
	v_fma_f64 v[3:4], v[5:6], v[15:16], v[3:4]
	v_add_f64 v[35:36], v[3:4], v[35:36]
	ds_read_b128 v[3:6], v32 offset:2128
	s_waitcnt lgkmcnt(0)
	v_mul_f64 v[41:42], v[5:6], v[13:14]
	v_mul_f64 v[13:14], v[3:4], v[13:14]
	v_fma_f64 v[41:42], v[3:4], v[11:12], -v[41:42]
	v_fma_f64 v[11:12], v[5:6], v[11:12], v[13:14]
	v_add_f64 v[37:38], v[37:38], v[41:42]
	v_add_f64 v[39:40], v[11:12], v[39:40]
	v_mul_f64 v[11:12], v[5:6], v[17:18]
	v_fma_f64 v[11:12], v[3:4], v[15:16], -v[11:12]
	v_mul_f64 v[3:4], v[3:4], v[17:18]
	v_add_f64 v[19:20], v[19:20], v[11:12]
	v_fma_f64 v[3:4], v[5:6], v[15:16], v[3:4]
	;; [unrolled: 31-line block ×3, first 2 shown]
	v_add_f64 v[43:44], v[3:4], v[21:22]
	ds_read_b128 v[3:6], v32 offset:112
	ds_read_b128 v[15:18], v31 offset:3584
	s_waitcnt lgkmcnt(0)
	v_mul_f64 v[11:12], v[5:6], v[17:18]
	v_mul_f64 v[13:14], v[3:4], v[17:18]
	v_fma_f64 v[11:12], v[3:4], v[15:16], -v[11:12]
	v_fma_f64 v[13:14], v[5:6], v[15:16], v[13:14]
	v_add_f64 v[19:20], v[23:24], v[11:12]
	v_add_f64 v[21:22], v[13:14], v[25:26]
	ds_read_b128 v[23:26], v31 offset:3840
	s_waitcnt lgkmcnt(0)
	v_mul_f64 v[11:12], v[5:6], v[25:26]
	v_fma_f64 v[11:12], v[3:4], v[23:24], -v[11:12]
	v_mul_f64 v[3:4], v[3:4], v[25:26]
	v_add_f64 v[11:12], v[33:34], v[11:12]
	v_fma_f64 v[3:4], v[5:6], v[23:24], v[3:4]
	v_add_f64 v[13:14], v[3:4], v[35:36]
	ds_read_b128 v[3:6], v32 offset:2160
	s_waitcnt lgkmcnt(0)
	s_barrier
	v_mul_f64 v[33:34], v[5:6], v[17:18]
	v_mul_f64 v[17:18], v[3:4], v[17:18]
	v_fma_f64 v[33:34], v[3:4], v[15:16], -v[33:34]
	v_fma_f64 v[17:18], v[5:6], v[15:16], v[17:18]
	v_add_f64 v[15:16], v[37:38], v[33:34]
	v_mul_f64 v[33:34], v[5:6], v[25:26]
	v_add_f64 v[17:18], v[17:18], v[39:40]
	v_fma_f64 v[33:34], v[3:4], v[23:24], -v[33:34]
	v_mul_f64 v[3:4], v[3:4], v[25:26]
	v_fma_f64 v[3:4], v[5:6], v[23:24], v[3:4]
	v_add_f64 v[23:24], v[41:42], v[33:34]
	v_add_f64 v[25:26], v[3:4], v[43:44]
	s_cbranch_scc1 .LBB765_10
.LBB765_3:                              ; =>This Inner Loop Header: Depth=1
	v_add_u32_e32 v3, s9, v28
	v_cmp_gt_i32_e32 vcc, s11, v3
	v_mov_b32_e32 v3, 0
	v_mov_b32_e32 v5, 0
	;; [unrolled: 1-line block ×4, first 2 shown]
	s_and_b64 s[24:25], s[0:1], vcc
	s_and_saveexec_b64 s[6:7], s[24:25]
	s_cbranch_execz .LBB765_5
; %bb.4:                                ;   in Loop: Header=BB765_3 Depth=1
	flat_load_dwordx4 v[3:6], v[7:8]
.LBB765_5:                              ;   in Loop: Header=BB765_3 Depth=1
	s_or_b64 exec, exec, s[6:7]
	s_waitcnt vmcnt(0) lgkmcnt(0)
	ds_write_b128 v29, v[3:6]
	v_add_u32_e32 v3, s9, v27
	v_cmp_le_i32_e32 vcc, s11, v3
	s_or_b64 s[6:7], vcc, s[2:3]
	s_and_saveexec_b64 s[24:25], s[6:7]
	s_xor_b64 s[6:7], exec, s[24:25]
; %bb.6:                                ;   in Loop: Header=BB765_3 Depth=1
	v_mov_b32_e32 v3, v2
	v_mov_b32_e32 v4, v2
	;; [unrolled: 1-line block ×3, first 2 shown]
	ds_write_b128 v30, v[2:5]
; %bb.7:                                ;   in Loop: Header=BB765_3 Depth=1
	s_andn2_saveexec_b64 s[6:7], s[6:7]
	s_cbranch_execz .LBB765_2
; %bb.8:                                ;   in Loop: Header=BB765_3 Depth=1
	flat_load_dwordx4 v[3:6], v[9:10]
	s_waitcnt vmcnt(0) lgkmcnt(0)
	ds_write2_b64 v30, v[3:4], v[5:6] offset1:1
	s_branch .LBB765_2
.LBB765_9:
	v_mov_b32_e32 v19, 0
	v_mov_b32_e32 v21, 0
	;; [unrolled: 1-line block ×16, first 2 shown]
.LBB765_10:
	s_load_dword s4, s[4:5], 0x60
	v_add_u32_e32 v4, s22, v1
	s_waitcnt lgkmcnt(0)
	v_mov_b32_e32 v3, s21
	v_add_u32_e32 v0, s8, v0
	v_cmp_gt_i32_e32 vcc, s10, v4
	v_mad_i64_i32 v[1:2], s[0:1], v4, s4, 0
	v_lshlrev_b64 v[1:2], 4, v[1:2]
	v_add_co_u32_e64 v5, s[0:1], s20, v1
	v_addc_co_u32_e64 v6, s[0:1], v3, v2, s[0:1]
	v_cmp_le_i32_e64 s[0:1], v0, v4
	s_and_b64 s[0:1], vcc, s[0:1]
	s_and_saveexec_b64 s[2:3], s[0:1]
	s_cbranch_execz .LBB765_12
; %bb.11:
	v_ashrrev_i32_e32 v1, 31, v0
	v_lshlrev_b64 v[1:2], 4, v[0:1]
	v_mul_f64 v[27:28], s[14:15], v[21:22]
	v_add_co_u32_e64 v1, s[0:1], v5, v1
	v_addc_co_u32_e64 v2, s[0:1], v6, v2, s[0:1]
	flat_load_dwordx4 v[7:10], v[1:2]
	v_mul_f64 v[21:22], s[12:13], v[21:22]
	v_fma_f64 v[27:28], s[12:13], v[19:20], -v[27:28]
	v_fma_f64 v[19:20], s[14:15], v[19:20], v[21:22]
	s_waitcnt vmcnt(0) lgkmcnt(0)
	v_mul_f64 v[29:30], s[18:19], v[9:10]
	v_mul_f64 v[9:10], s[16:17], v[9:10]
	v_fma_f64 v[21:22], s[16:17], v[7:8], -v[29:30]
	v_fma_f64 v[9:10], s[18:19], v[7:8], v[9:10]
	v_add_f64 v[7:8], v[27:28], v[21:22]
	v_add_f64 v[9:10], v[19:20], v[9:10]
	flat_store_dwordx4 v[1:2], v[7:10]
.LBB765_12:
	s_or_b64 exec, exec, s[2:3]
	v_add_u32_e32 v2, 16, v0
	v_cmp_le_i32_e64 s[0:1], v2, v4
	s_and_b64 s[2:3], vcc, s[0:1]
	s_and_saveexec_b64 s[0:1], s[2:3]
	s_cbranch_execz .LBB765_14
; %bb.13:
	v_ashrrev_i32_e32 v3, 31, v2
	v_lshlrev_b64 v[7:8], 4, v[2:3]
	v_mul_f64 v[19:20], s[14:15], v[13:14]
	v_add_co_u32_e32 v9, vcc, v5, v7
	v_addc_co_u32_e32 v10, vcc, v6, v8, vcc
	flat_load_dwordx4 v[5:8], v[9:10]
	v_mul_f64 v[13:14], s[12:13], v[13:14]
	v_fma_f64 v[19:20], s[12:13], v[11:12], -v[19:20]
	v_fma_f64 v[11:12], s[14:15], v[11:12], v[13:14]
	s_waitcnt vmcnt(0) lgkmcnt(0)
	v_mul_f64 v[21:22], s[18:19], v[7:8]
	v_mul_f64 v[7:8], s[16:17], v[7:8]
	v_fma_f64 v[13:14], s[16:17], v[5:6], -v[21:22]
	v_fma_f64 v[7:8], s[18:19], v[5:6], v[7:8]
	v_add_f64 v[5:6], v[19:20], v[13:14]
	v_add_f64 v[7:8], v[11:12], v[7:8]
	flat_store_dwordx4 v[9:10], v[5:8]
.LBB765_14:
	s_or_b64 exec, exec, s[0:1]
	v_add_u32_e32 v3, 16, v4
	v_mad_i64_i32 v[4:5], s[0:1], v3, s4, 0
	v_mov_b32_e32 v1, s21
	v_cmp_gt_i32_e32 vcc, s10, v3
	v_lshlrev_b64 v[4:5], 4, v[4:5]
	v_add_co_u32_e64 v4, s[0:1], s20, v4
	v_addc_co_u32_e64 v5, s[0:1], v1, v5, s[0:1]
	v_cmp_le_i32_e64 s[0:1], v0, v3
	s_and_b64 s[0:1], vcc, s[0:1]
	s_and_saveexec_b64 s[2:3], s[0:1]
	s_cbranch_execz .LBB765_16
; %bb.15:
	v_ashrrev_i32_e32 v1, 31, v0
	v_lshlrev_b64 v[0:1], 4, v[0:1]
	v_mul_f64 v[10:11], s[14:15], v[17:18]
	v_add_co_u32_e64 v0, s[0:1], v4, v0
	v_addc_co_u32_e64 v1, s[0:1], v5, v1, s[0:1]
	flat_load_dwordx4 v[6:9], v[0:1]
	v_mul_f64 v[12:13], s[12:13], v[17:18]
	v_fma_f64 v[10:11], s[12:13], v[15:16], -v[10:11]
	v_fma_f64 v[12:13], s[14:15], v[15:16], v[12:13]
	s_waitcnt vmcnt(0) lgkmcnt(0)
	v_mul_f64 v[17:18], s[18:19], v[8:9]
	v_mul_f64 v[8:9], s[16:17], v[8:9]
	v_fma_f64 v[14:15], s[16:17], v[6:7], -v[17:18]
	v_fma_f64 v[8:9], s[18:19], v[6:7], v[8:9]
	v_add_f64 v[6:7], v[10:11], v[14:15]
	v_add_f64 v[8:9], v[12:13], v[8:9]
	flat_store_dwordx4 v[0:1], v[6:9]
.LBB765_16:
	s_or_b64 exec, exec, s[2:3]
	v_cmp_le_i32_e64 s[0:1], v2, v3
	s_and_b64 s[0:1], vcc, s[0:1]
	s_and_saveexec_b64 s[2:3], s[0:1]
	s_cbranch_execz .LBB765_18
; %bb.17:
	v_ashrrev_i32_e32 v3, 31, v2
	v_lshlrev_b64 v[0:1], 4, v[2:3]
	v_mul_f64 v[6:7], s[14:15], v[25:26]
	v_add_co_u32_e32 v4, vcc, v4, v0
	v_addc_co_u32_e32 v5, vcc, v5, v1, vcc
	flat_load_dwordx4 v[0:3], v[4:5]
	v_mul_f64 v[8:9], s[12:13], v[25:26]
	v_fma_f64 v[6:7], s[12:13], v[23:24], -v[6:7]
	v_fma_f64 v[8:9], s[14:15], v[23:24], v[8:9]
	s_waitcnt vmcnt(0) lgkmcnt(0)
	v_mul_f64 v[10:11], s[18:19], v[2:3]
	v_mul_f64 v[2:3], s[16:17], v[2:3]
	v_fma_f64 v[10:11], s[16:17], v[0:1], -v[10:11]
	v_fma_f64 v[2:3], s[18:19], v[0:1], v[2:3]
	v_add_f64 v[0:1], v[6:7], v[10:11]
	v_add_f64 v[2:3], v[8:9], v[2:3]
	flat_store_dwordx4 v[4:5], v[0:3]
.LBB765_18:
	s_endpgm
	.section	.rodata,"a",@progbits
	.p2align	6, 0x0
	.amdhsa_kernel _ZL34rocblas_syrkx_herkx_general_kernelIi19rocblas_complex_numIdELi16ELi32ELi8ELb0ELb0ELc67ELc85EKPKS1_KPS1_EviT_T0_PT8_S7_lSA_S7_lS8_PT9_S7_li
		.amdhsa_group_segment_fixed_size 8192
		.amdhsa_private_segment_fixed_size 0
		.amdhsa_kernarg_size 116
		.amdhsa_user_sgpr_count 6
		.amdhsa_user_sgpr_private_segment_buffer 1
		.amdhsa_user_sgpr_dispatch_ptr 0
		.amdhsa_user_sgpr_queue_ptr 0
		.amdhsa_user_sgpr_kernarg_segment_ptr 1
		.amdhsa_user_sgpr_dispatch_id 0
		.amdhsa_user_sgpr_flat_scratch_init 0
		.amdhsa_user_sgpr_private_segment_size 0
		.amdhsa_uses_dynamic_stack 0
		.amdhsa_system_sgpr_private_segment_wavefront_offset 0
		.amdhsa_system_sgpr_workgroup_id_x 1
		.amdhsa_system_sgpr_workgroup_id_y 1
		.amdhsa_system_sgpr_workgroup_id_z 1
		.amdhsa_system_sgpr_workgroup_info 0
		.amdhsa_system_vgpr_workitem_id 1
		.amdhsa_next_free_vgpr 57
		.amdhsa_next_free_sgpr 61
		.amdhsa_reserve_vcc 1
		.amdhsa_reserve_flat_scratch 0
		.amdhsa_float_round_mode_32 0
		.amdhsa_float_round_mode_16_64 0
		.amdhsa_float_denorm_mode_32 3
		.amdhsa_float_denorm_mode_16_64 3
		.amdhsa_dx10_clamp 1
		.amdhsa_ieee_mode 1
		.amdhsa_fp16_overflow 0
		.amdhsa_exception_fp_ieee_invalid_op 0
		.amdhsa_exception_fp_denorm_src 0
		.amdhsa_exception_fp_ieee_div_zero 0
		.amdhsa_exception_fp_ieee_overflow 0
		.amdhsa_exception_fp_ieee_underflow 0
		.amdhsa_exception_fp_ieee_inexact 0
		.amdhsa_exception_int_div_zero 0
	.end_amdhsa_kernel
	.section	.text._ZL34rocblas_syrkx_herkx_general_kernelIi19rocblas_complex_numIdELi16ELi32ELi8ELb0ELb0ELc67ELc85EKPKS1_KPS1_EviT_T0_PT8_S7_lSA_S7_lS8_PT9_S7_li,"axG",@progbits,_ZL34rocblas_syrkx_herkx_general_kernelIi19rocblas_complex_numIdELi16ELi32ELi8ELb0ELb0ELc67ELc85EKPKS1_KPS1_EviT_T0_PT8_S7_lSA_S7_lS8_PT9_S7_li,comdat
.Lfunc_end765:
	.size	_ZL34rocblas_syrkx_herkx_general_kernelIi19rocblas_complex_numIdELi16ELi32ELi8ELb0ELb0ELc67ELc85EKPKS1_KPS1_EviT_T0_PT8_S7_lSA_S7_lS8_PT9_S7_li, .Lfunc_end765-_ZL34rocblas_syrkx_herkx_general_kernelIi19rocblas_complex_numIdELi16ELi32ELi8ELb0ELb0ELc67ELc85EKPKS1_KPS1_EviT_T0_PT8_S7_lSA_S7_lS8_PT9_S7_li
                                        ; -- End function
	.set _ZL34rocblas_syrkx_herkx_general_kernelIi19rocblas_complex_numIdELi16ELi32ELi8ELb0ELb0ELc67ELc85EKPKS1_KPS1_EviT_T0_PT8_S7_lSA_S7_lS8_PT9_S7_li.num_vgpr, 57
	.set _ZL34rocblas_syrkx_herkx_general_kernelIi19rocblas_complex_numIdELi16ELi32ELi8ELb0ELb0ELc67ELc85EKPKS1_KPS1_EviT_T0_PT8_S7_lSA_S7_lS8_PT9_S7_li.num_agpr, 0
	.set _ZL34rocblas_syrkx_herkx_general_kernelIi19rocblas_complex_numIdELi16ELi32ELi8ELb0ELb0ELc67ELc85EKPKS1_KPS1_EviT_T0_PT8_S7_lSA_S7_lS8_PT9_S7_li.numbered_sgpr, 27
	.set _ZL34rocblas_syrkx_herkx_general_kernelIi19rocblas_complex_numIdELi16ELi32ELi8ELb0ELb0ELc67ELc85EKPKS1_KPS1_EviT_T0_PT8_S7_lSA_S7_lS8_PT9_S7_li.num_named_barrier, 0
	.set _ZL34rocblas_syrkx_herkx_general_kernelIi19rocblas_complex_numIdELi16ELi32ELi8ELb0ELb0ELc67ELc85EKPKS1_KPS1_EviT_T0_PT8_S7_lSA_S7_lS8_PT9_S7_li.private_seg_size, 0
	.set _ZL34rocblas_syrkx_herkx_general_kernelIi19rocblas_complex_numIdELi16ELi32ELi8ELb0ELb0ELc67ELc85EKPKS1_KPS1_EviT_T0_PT8_S7_lSA_S7_lS8_PT9_S7_li.uses_vcc, 1
	.set _ZL34rocblas_syrkx_herkx_general_kernelIi19rocblas_complex_numIdELi16ELi32ELi8ELb0ELb0ELc67ELc85EKPKS1_KPS1_EviT_T0_PT8_S7_lSA_S7_lS8_PT9_S7_li.uses_flat_scratch, 0
	.set _ZL34rocblas_syrkx_herkx_general_kernelIi19rocblas_complex_numIdELi16ELi32ELi8ELb0ELb0ELc67ELc85EKPKS1_KPS1_EviT_T0_PT8_S7_lSA_S7_lS8_PT9_S7_li.has_dyn_sized_stack, 0
	.set _ZL34rocblas_syrkx_herkx_general_kernelIi19rocblas_complex_numIdELi16ELi32ELi8ELb0ELb0ELc67ELc85EKPKS1_KPS1_EviT_T0_PT8_S7_lSA_S7_lS8_PT9_S7_li.has_recursion, 0
	.set _ZL34rocblas_syrkx_herkx_general_kernelIi19rocblas_complex_numIdELi16ELi32ELi8ELb0ELb0ELc67ELc85EKPKS1_KPS1_EviT_T0_PT8_S7_lSA_S7_lS8_PT9_S7_li.has_indirect_call, 0
	.section	.AMDGPU.csdata,"",@progbits
; Kernel info:
; codeLenInByte = 3268
; TotalNumSgprs: 31
; NumVgprs: 57
; ScratchSize: 0
; MemoryBound: 1
; FloatMode: 240
; IeeeMode: 1
; LDSByteSize: 8192 bytes/workgroup (compile time only)
; SGPRBlocks: 8
; VGPRBlocks: 14
; NumSGPRsForWavesPerEU: 65
; NumVGPRsForWavesPerEU: 57
; Occupancy: 4
; WaveLimiterHint : 1
; COMPUTE_PGM_RSRC2:SCRATCH_EN: 0
; COMPUTE_PGM_RSRC2:USER_SGPR: 6
; COMPUTE_PGM_RSRC2:TRAP_HANDLER: 0
; COMPUTE_PGM_RSRC2:TGID_X_EN: 1
; COMPUTE_PGM_RSRC2:TGID_Y_EN: 1
; COMPUTE_PGM_RSRC2:TGID_Z_EN: 1
; COMPUTE_PGM_RSRC2:TIDIG_COMP_CNT: 1
	.section	.text._ZL34rocblas_syrkx_herkx_general_kernelIi19rocblas_complex_numIdELi16ELi32ELi8ELb0ELb0ELc78ELc85EKPKS1_KPS1_EviT_T0_PT8_S7_lSA_S7_lS8_PT9_S7_li,"axG",@progbits,_ZL34rocblas_syrkx_herkx_general_kernelIi19rocblas_complex_numIdELi16ELi32ELi8ELb0ELb0ELc78ELc85EKPKS1_KPS1_EviT_T0_PT8_S7_lSA_S7_lS8_PT9_S7_li,comdat
	.globl	_ZL34rocblas_syrkx_herkx_general_kernelIi19rocblas_complex_numIdELi16ELi32ELi8ELb0ELb0ELc78ELc85EKPKS1_KPS1_EviT_T0_PT8_S7_lSA_S7_lS8_PT9_S7_li ; -- Begin function _ZL34rocblas_syrkx_herkx_general_kernelIi19rocblas_complex_numIdELi16ELi32ELi8ELb0ELb0ELc78ELc85EKPKS1_KPS1_EviT_T0_PT8_S7_lSA_S7_lS8_PT9_S7_li
	.p2align	8
	.type	_ZL34rocblas_syrkx_herkx_general_kernelIi19rocblas_complex_numIdELi16ELi32ELi8ELb0ELb0ELc78ELc85EKPKS1_KPS1_EviT_T0_PT8_S7_lSA_S7_lS8_PT9_S7_li,@function
_ZL34rocblas_syrkx_herkx_general_kernelIi19rocblas_complex_numIdELi16ELi32ELi8ELb0ELb0ELc78ELc85EKPKS1_KPS1_EviT_T0_PT8_S7_lSA_S7_lS8_PT9_S7_li: ; @_ZL34rocblas_syrkx_herkx_general_kernelIi19rocblas_complex_numIdELi16ELi32ELi8ELb0ELb0ELc78ELc85EKPKS1_KPS1_EviT_T0_PT8_S7_lSA_S7_lS8_PT9_S7_li
; %bb.0:
	s_load_dwordx2 s[10:11], s[4:5], 0x0
	s_load_dwordx4 s[12:15], s[4:5], 0x8
	s_load_dwordx2 s[20:21], s[4:5], 0x58
	s_load_dwordx2 s[0:1], s[4:5], 0x18
	s_load_dwordx4 s[16:19], s[4:5], 0x48
	s_mov_b32 s9, 0
	s_lshl_b64 s[2:3], s[8:9], 3
	s_waitcnt lgkmcnt(0)
	s_add_u32 s20, s20, s2
	s_addc_u32 s21, s21, s3
	s_load_dwordx2 s[20:21], s[20:21], 0x0
	s_lshl_b32 s8, s6, 5
	s_lshl_b32 s24, s7, 5
	s_cmp_lt_i32 s11, 1
	s_cbranch_scc1 .LBB766_9
; %bb.1:
	s_load_dword s6, s[4:5], 0x20
	s_load_dword s22, s[4:5], 0x38
	s_load_dwordx2 s[26:27], s[4:5], 0x30
	v_lshl_add_u32 v3, v1, 4, v0
	v_and_b32_e32 v6, 31, v3
	s_waitcnt lgkmcnt(0)
	s_ashr_i32 s7, s6, 31
	s_ashr_i32 s23, s22, 31
	s_add_u32 s26, s26, s2
	s_addc_u32 s27, s27, s3
	s_add_u32 s0, s0, s2
	v_lshrrev_b32_e32 v28, 5, v3
	v_lshrrev_b32_e32 v4, 3, v3
	v_or_b32_e32 v3, s8, v6
	s_addc_u32 s1, s1, s3
	v_and_b32_e32 v27, 7, v0
	s_load_dwordx2 s[28:29], s[0:1], 0x0
	v_cmp_gt_i32_e64 s[0:1], s10, v3
	v_lshlrev_b32_e32 v3, 4, v6
	v_lshl_or_b32 v29, v28, 9, v3
	v_lshlrev_b32_e32 v3, 4, v27
	v_add_u32_e32 v2, s24, v4
	v_lshl_or_b32 v3, v4, 7, v3
	v_mad_i64_i32 v[4:5], s[2:3], v28, s6, 0
	v_mov_b32_e32 v7, 0x1000
	v_add_u32_e32 v6, s8, v6
	v_lshl_add_u32 v32, v1, 7, v7
	v_ashrrev_i32_e32 v7, 31, v6
	v_lshlrev_b64 v[4:5], 4, v[4:5]
	v_lshlrev_b64 v[6:7], 4, v[6:7]
	s_load_dwordx2 s[26:27], s[26:27], 0x0
	v_add_co_u32_e64 v6, s[2:3], v4, v6
	v_addc_co_u32_e64 v8, s[2:3], v5, v7, s[2:3]
	v_mad_i64_i32 v[4:5], s[2:3], s22, v27, 0
	v_add_u32_e32 v30, 0x1000, v3
	v_ashrrev_i32_e32 v3, 31, v2
	v_cmp_gt_i32_e32 vcc, s10, v2
	s_waitcnt lgkmcnt(0)
	v_mov_b32_e32 v9, s29
	v_add_co_u32_e64 v7, s[2:3], s28, v6
	v_lshlrev_b64 v[4:5], 4, v[4:5]
	v_lshlrev_b64 v[2:3], 4, v[2:3]
	v_addc_co_u32_e64 v8, s[2:3], v9, v8, s[2:3]
	v_add_co_u32_e64 v2, s[2:3], v4, v2
	v_addc_co_u32_e64 v3, s[2:3], v5, v3, s[2:3]
	v_mov_b32_e32 v4, s27
	v_add_co_u32_e64 v9, s[2:3], s26, v2
	v_addc_co_u32_e64 v10, s[2:3], v4, v3, s[2:3]
	s_lshl_b64 s[6:7], s[6:7], 7
	s_lshl_b64 s[2:3], s[22:23], 7
	v_mov_b32_e32 v25, 0
	v_mov_b32_e32 v23, 0
	;; [unrolled: 1-line block ×8, first 2 shown]
	v_lshlrev_b32_e32 v31, 4, v0
	v_mov_b32_e32 v26, 0
	s_xor_b64 s[22:23], s[0:1], -1
	v_mov_b32_e32 v33, s7
	v_mov_b32_e32 v34, s3
	;; [unrolled: 1-line block ×10, first 2 shown]
	s_branch .LBB766_3
.LBB766_2:                              ;   in Loop: Header=BB766_3 Depth=1
	s_or_b64 exec, exec, s[0:1]
	s_waitcnt vmcnt(0) lgkmcnt(0)
	ds_write_b128 v30, v[3:6]
	s_waitcnt lgkmcnt(0)
	s_barrier
	ds_read_b128 v[3:6], v32
	ds_read_b128 v[35:38], v32 offset:16
	ds_read_b128 v[39:42], v32 offset:32
	;; [unrolled: 1-line block ×3, first 2 shown]
	ds_read_b128 v[47:50], v31
	v_add_co_u32_e64 v7, s[0:1], s6, v7
	v_addc_co_u32_e64 v8, s[0:1], v8, v33, s[0:1]
	s_waitcnt lgkmcnt(0)
	v_mul_f64 v[51:52], v[5:6], v[49:50]
	v_mul_f64 v[53:54], v[3:4], v[49:50]
	s_add_i32 s9, s9, 8
	v_add_co_u32_e64 v9, s[0:1], s2, v9
	v_addc_co_u32_e64 v10, s[0:1], v10, v34, s[0:1]
	s_cmp_ge_i32 s9, s11
	v_fma_f64 v[51:52], v[3:4], v[47:48], -v[51:52]
	v_fma_f64 v[53:54], v[5:6], v[47:48], v[53:54]
	v_add_f64 v[51:52], v[19:20], v[51:52]
	v_add_f64 v[53:54], v[53:54], v[21:22]
	ds_read_b128 v[19:22], v31 offset:256
	s_waitcnt lgkmcnt(0)
	v_mul_f64 v[55:56], v[5:6], v[21:22]
	v_fma_f64 v[55:56], v[3:4], v[19:20], -v[55:56]
	v_mul_f64 v[3:4], v[3:4], v[21:22]
	v_add_f64 v[55:56], v[11:12], v[55:56]
	v_fma_f64 v[3:4], v[5:6], v[19:20], v[3:4]
	v_add_f64 v[57:58], v[3:4], v[13:14]
	ds_read_b128 v[3:6], v32 offset:2048
	s_waitcnt lgkmcnt(0)
	v_mul_f64 v[11:12], v[5:6], v[49:50]
	v_mul_f64 v[13:14], v[3:4], v[49:50]
	v_fma_f64 v[11:12], v[3:4], v[47:48], -v[11:12]
	v_fma_f64 v[13:14], v[5:6], v[47:48], v[13:14]
	v_add_f64 v[47:48], v[15:16], v[11:12]
	v_mul_f64 v[11:12], v[5:6], v[21:22]
	v_add_f64 v[49:50], v[13:14], v[17:18]
	v_fma_f64 v[11:12], v[3:4], v[19:20], -v[11:12]
	v_mul_f64 v[3:4], v[3:4], v[21:22]
	v_fma_f64 v[3:4], v[5:6], v[19:20], v[3:4]
	v_add_f64 v[19:20], v[23:24], v[11:12]
	v_add_f64 v[21:22], v[3:4], v[25:26]
	ds_read_b128 v[3:6], v31 offset:512
	s_waitcnt lgkmcnt(0)
	v_mul_f64 v[11:12], v[37:38], v[5:6]
	v_mul_f64 v[13:14], v[35:36], v[5:6]
	v_fma_f64 v[11:12], v[35:36], v[3:4], -v[11:12]
	v_fma_f64 v[13:14], v[37:38], v[3:4], v[13:14]
	v_add_f64 v[23:24], v[51:52], v[11:12]
	v_add_f64 v[25:26], v[13:14], v[53:54]
	ds_read_b128 v[11:14], v31 offset:768
	s_waitcnt lgkmcnt(0)
	v_mul_f64 v[15:16], v[37:38], v[13:14]
	v_mul_f64 v[17:18], v[35:36], v[13:14]
	v_fma_f64 v[15:16], v[35:36], v[11:12], -v[15:16]
	;; [unrolled: 8-line block ×3, first 2 shown]
	v_fma_f64 v[3:4], v[17:18], v[3:4], v[5:6]
	v_mul_f64 v[5:6], v[15:16], v[13:14]
	v_add_f64 v[47:48], v[47:48], v[51:52]
	v_add_f64 v[49:50], v[3:4], v[49:50]
	v_mul_f64 v[3:4], v[17:18], v[13:14]
	v_fma_f64 v[5:6], v[17:18], v[11:12], v[5:6]
	v_fma_f64 v[3:4], v[15:16], v[11:12], -v[3:4]
	v_add_f64 v[21:22], v[5:6], v[21:22]
	v_add_f64 v[19:20], v[19:20], v[3:4]
	ds_read_b128 v[3:6], v31 offset:1024
	s_waitcnt lgkmcnt(0)
	v_mul_f64 v[11:12], v[41:42], v[5:6]
	v_mul_f64 v[13:14], v[39:40], v[5:6]
	v_fma_f64 v[11:12], v[39:40], v[3:4], -v[11:12]
	v_fma_f64 v[13:14], v[41:42], v[3:4], v[13:14]
	v_add_f64 v[23:24], v[23:24], v[11:12]
	v_add_f64 v[25:26], v[13:14], v[25:26]
	ds_read_b128 v[11:14], v31 offset:1280
	s_waitcnt lgkmcnt(0)
	v_mul_f64 v[15:16], v[41:42], v[13:14]
	v_mul_f64 v[17:18], v[39:40], v[13:14]
	v_fma_f64 v[15:16], v[39:40], v[11:12], -v[15:16]
	v_fma_f64 v[17:18], v[41:42], v[11:12], v[17:18]
	v_add_f64 v[35:36], v[35:36], v[15:16]
	v_add_f64 v[37:38], v[17:18], v[37:38]
	ds_read_b128 v[15:18], v32 offset:2080
	s_waitcnt lgkmcnt(0)
	v_mul_f64 v[39:40], v[17:18], v[5:6]
	v_mul_f64 v[5:6], v[15:16], v[5:6]
	v_fma_f64 v[39:40], v[15:16], v[3:4], -v[39:40]
	v_fma_f64 v[3:4], v[17:18], v[3:4], v[5:6]
	v_mul_f64 v[5:6], v[15:16], v[13:14]
	v_add_f64 v[39:40], v[47:48], v[39:40]
	v_add_f64 v[41:42], v[3:4], v[49:50]
	v_mul_f64 v[3:4], v[17:18], v[13:14]
	v_fma_f64 v[5:6], v[17:18], v[11:12], v[5:6]
	v_fma_f64 v[3:4], v[15:16], v[11:12], -v[3:4]
	v_add_f64 v[21:22], v[5:6], v[21:22]
	v_add_f64 v[19:20], v[19:20], v[3:4]
	ds_read_b128 v[3:6], v31 offset:1536
	s_waitcnt lgkmcnt(0)
	v_mul_f64 v[11:12], v[45:46], v[5:6]
	v_mul_f64 v[13:14], v[43:44], v[5:6]
	v_fma_f64 v[11:12], v[43:44], v[3:4], -v[11:12]
	v_fma_f64 v[13:14], v[45:46], v[3:4], v[13:14]
	v_add_f64 v[23:24], v[23:24], v[11:12]
	v_add_f64 v[25:26], v[13:14], v[25:26]
	ds_read_b128 v[11:14], v31 offset:1792
	s_waitcnt lgkmcnt(0)
	v_mul_f64 v[15:16], v[45:46], v[13:14]
	v_mul_f64 v[17:18], v[43:44], v[13:14]
	v_fma_f64 v[15:16], v[43:44], v[11:12], -v[15:16]
	v_fma_f64 v[17:18], v[45:46], v[11:12], v[17:18]
	;; [unrolled: 8-line block ×3, first 2 shown]
	v_mul_f64 v[5:6], v[15:16], v[13:14]
	v_add_f64 v[39:40], v[39:40], v[43:44]
	v_add_f64 v[41:42], v[3:4], v[41:42]
	v_mul_f64 v[3:4], v[17:18], v[13:14]
	v_fma_f64 v[5:6], v[17:18], v[11:12], v[5:6]
	v_fma_f64 v[3:4], v[15:16], v[11:12], -v[3:4]
	v_add_f64 v[21:22], v[5:6], v[21:22]
	v_add_f64 v[19:20], v[19:20], v[3:4]
	ds_read_b128 v[3:6], v32 offset:64
	ds_read_b128 v[11:14], v31 offset:2048
	s_waitcnt lgkmcnt(0)
	v_mul_f64 v[15:16], v[5:6], v[13:14]
	v_mul_f64 v[17:18], v[3:4], v[13:14]
	v_fma_f64 v[15:16], v[3:4], v[11:12], -v[15:16]
	v_fma_f64 v[17:18], v[5:6], v[11:12], v[17:18]
	v_add_f64 v[23:24], v[23:24], v[15:16]
	v_add_f64 v[25:26], v[17:18], v[25:26]
	ds_read_b128 v[15:18], v31 offset:2304
	s_waitcnt lgkmcnt(0)
	v_mul_f64 v[43:44], v[5:6], v[17:18]
	v_fma_f64 v[43:44], v[3:4], v[15:16], -v[43:44]
	v_mul_f64 v[3:4], v[3:4], v[17:18]
	v_add_f64 v[35:36], v[35:36], v[43:44]
	v_fma_f64 v[3:4], v[5:6], v[15:16], v[3:4]
	v_add_f64 v[37:38], v[3:4], v[37:38]
	ds_read_b128 v[3:6], v32 offset:2112
	s_waitcnt lgkmcnt(0)
	v_mul_f64 v[43:44], v[5:6], v[13:14]
	v_mul_f64 v[13:14], v[3:4], v[13:14]
	v_fma_f64 v[43:44], v[3:4], v[11:12], -v[43:44]
	v_fma_f64 v[11:12], v[5:6], v[11:12], v[13:14]
	v_add_f64 v[39:40], v[39:40], v[43:44]
	v_add_f64 v[41:42], v[11:12], v[41:42]
	v_mul_f64 v[11:12], v[5:6], v[17:18]
	v_fma_f64 v[11:12], v[3:4], v[15:16], -v[11:12]
	v_mul_f64 v[3:4], v[3:4], v[17:18]
	v_add_f64 v[19:20], v[19:20], v[11:12]
	v_fma_f64 v[3:4], v[5:6], v[15:16], v[3:4]
	v_add_f64 v[21:22], v[3:4], v[21:22]
	ds_read_b128 v[3:6], v32 offset:80
	ds_read_b128 v[11:14], v31 offset:2560
	s_waitcnt lgkmcnt(0)
	v_mul_f64 v[15:16], v[5:6], v[13:14]
	v_mul_f64 v[17:18], v[3:4], v[13:14]
	v_fma_f64 v[15:16], v[3:4], v[11:12], -v[15:16]
	v_fma_f64 v[17:18], v[5:6], v[11:12], v[17:18]
	v_add_f64 v[23:24], v[23:24], v[15:16]
	v_add_f64 v[25:26], v[17:18], v[25:26]
	ds_read_b128 v[15:18], v31 offset:2816
	s_waitcnt lgkmcnt(0)
	v_mul_f64 v[43:44], v[5:6], v[17:18]
	v_fma_f64 v[43:44], v[3:4], v[15:16], -v[43:44]
	v_mul_f64 v[3:4], v[3:4], v[17:18]
	v_add_f64 v[35:36], v[35:36], v[43:44]
	v_fma_f64 v[3:4], v[5:6], v[15:16], v[3:4]
	v_add_f64 v[37:38], v[3:4], v[37:38]
	ds_read_b128 v[3:6], v32 offset:2128
	s_waitcnt lgkmcnt(0)
	v_mul_f64 v[43:44], v[5:6], v[13:14]
	v_mul_f64 v[13:14], v[3:4], v[13:14]
	v_fma_f64 v[43:44], v[3:4], v[11:12], -v[43:44]
	v_fma_f64 v[11:12], v[5:6], v[11:12], v[13:14]
	v_add_f64 v[39:40], v[39:40], v[43:44]
	v_add_f64 v[41:42], v[11:12], v[41:42]
	v_mul_f64 v[11:12], v[5:6], v[17:18]
	v_fma_f64 v[11:12], v[3:4], v[15:16], -v[11:12]
	v_mul_f64 v[3:4], v[3:4], v[17:18]
	v_add_f64 v[19:20], v[19:20], v[11:12]
	v_fma_f64 v[3:4], v[5:6], v[15:16], v[3:4]
	;; [unrolled: 31-line block ×3, first 2 shown]
	v_add_f64 v[45:46], v[3:4], v[21:22]
	ds_read_b128 v[3:6], v32 offset:112
	ds_read_b128 v[15:18], v31 offset:3584
	s_waitcnt lgkmcnt(0)
	v_mul_f64 v[11:12], v[5:6], v[17:18]
	v_mul_f64 v[13:14], v[3:4], v[17:18]
	v_fma_f64 v[11:12], v[3:4], v[15:16], -v[11:12]
	v_fma_f64 v[13:14], v[5:6], v[15:16], v[13:14]
	v_add_f64 v[19:20], v[23:24], v[11:12]
	v_add_f64 v[21:22], v[13:14], v[25:26]
	ds_read_b128 v[23:26], v31 offset:3840
	s_waitcnt lgkmcnt(0)
	v_mul_f64 v[11:12], v[5:6], v[25:26]
	v_fma_f64 v[11:12], v[3:4], v[23:24], -v[11:12]
	v_mul_f64 v[3:4], v[3:4], v[25:26]
	v_add_f64 v[11:12], v[35:36], v[11:12]
	v_fma_f64 v[3:4], v[5:6], v[23:24], v[3:4]
	v_add_f64 v[13:14], v[3:4], v[37:38]
	ds_read_b128 v[3:6], v32 offset:2160
	s_waitcnt lgkmcnt(0)
	s_barrier
	v_mul_f64 v[35:36], v[5:6], v[17:18]
	v_mul_f64 v[17:18], v[3:4], v[17:18]
	v_fma_f64 v[35:36], v[3:4], v[15:16], -v[35:36]
	v_fma_f64 v[17:18], v[5:6], v[15:16], v[17:18]
	v_add_f64 v[15:16], v[39:40], v[35:36]
	v_mul_f64 v[35:36], v[5:6], v[25:26]
	v_add_f64 v[17:18], v[17:18], v[41:42]
	v_fma_f64 v[35:36], v[3:4], v[23:24], -v[35:36]
	v_mul_f64 v[3:4], v[3:4], v[25:26]
	v_fma_f64 v[3:4], v[5:6], v[23:24], v[3:4]
	v_add_f64 v[23:24], v[43:44], v[35:36]
	v_add_f64 v[25:26], v[3:4], v[45:46]
	s_cbranch_scc1 .LBB766_10
.LBB766_3:                              ; =>This Inner Loop Header: Depth=1
	v_add_u32_e32 v3, s9, v28
	v_cmp_le_i32_e64 s[0:1], s11, v3
	s_or_b64 s[0:1], s[22:23], s[0:1]
	s_and_saveexec_b64 s[26:27], s[0:1]
	s_xor_b64 s[0:1], exec, s[26:27]
; %bb.4:                                ;   in Loop: Header=BB766_3 Depth=1
	v_mov_b32_e32 v3, v2
	v_mov_b32_e32 v4, v2
	;; [unrolled: 1-line block ×3, first 2 shown]
	ds_write_b128 v29, v[2:5]
; %bb.5:                                ;   in Loop: Header=BB766_3 Depth=1
	s_andn2_saveexec_b64 s[0:1], s[0:1]
	s_cbranch_execz .LBB766_7
; %bb.6:                                ;   in Loop: Header=BB766_3 Depth=1
	flat_load_dwordx4 v[3:6], v[7:8]
	s_waitcnt vmcnt(0) lgkmcnt(0)
	ds_write2_b64 v29, v[3:4], v[5:6] offset1:1
.LBB766_7:                              ;   in Loop: Header=BB766_3 Depth=1
	s_or_b64 exec, exec, s[0:1]
	v_add_u32_e32 v3, s9, v27
	v_cmp_gt_i32_e64 s[0:1], s11, v3
	v_mov_b32_e32 v3, 0
	v_mov_b32_e32 v5, 0
	;; [unrolled: 1-line block ×4, first 2 shown]
	s_and_b64 s[26:27], s[0:1], vcc
	s_and_saveexec_b64 s[0:1], s[26:27]
	s_cbranch_execz .LBB766_2
; %bb.8:                                ;   in Loop: Header=BB766_3 Depth=1
	flat_load_dwordx4 v[3:6], v[9:10]
	s_branch .LBB766_2
.LBB766_9:
	v_mov_b32_e32 v19, 0
	v_mov_b32_e32 v21, 0
	;; [unrolled: 1-line block ×16, first 2 shown]
.LBB766_10:
	s_load_dword s4, s[4:5], 0x60
	v_add_u32_e32 v4, s24, v1
	s_waitcnt lgkmcnt(0)
	v_mov_b32_e32 v3, s21
	v_add_u32_e32 v0, s8, v0
	v_cmp_gt_i32_e32 vcc, s10, v4
	v_mad_i64_i32 v[1:2], s[0:1], v4, s4, 0
	v_lshlrev_b64 v[1:2], 4, v[1:2]
	v_add_co_u32_e64 v5, s[0:1], s20, v1
	v_addc_co_u32_e64 v6, s[0:1], v3, v2, s[0:1]
	v_cmp_le_i32_e64 s[0:1], v0, v4
	s_and_b64 s[0:1], vcc, s[0:1]
	s_and_saveexec_b64 s[2:3], s[0:1]
	s_cbranch_execz .LBB766_12
; %bb.11:
	v_ashrrev_i32_e32 v1, 31, v0
	v_lshlrev_b64 v[1:2], 4, v[0:1]
	v_mul_f64 v[27:28], s[14:15], v[21:22]
	v_add_co_u32_e64 v1, s[0:1], v5, v1
	v_addc_co_u32_e64 v2, s[0:1], v6, v2, s[0:1]
	flat_load_dwordx4 v[7:10], v[1:2]
	v_mul_f64 v[21:22], s[12:13], v[21:22]
	v_fma_f64 v[27:28], s[12:13], v[19:20], -v[27:28]
	v_fma_f64 v[19:20], s[14:15], v[19:20], v[21:22]
	s_waitcnt vmcnt(0) lgkmcnt(0)
	v_mul_f64 v[29:30], s[18:19], v[9:10]
	v_mul_f64 v[9:10], s[16:17], v[9:10]
	v_fma_f64 v[21:22], s[16:17], v[7:8], -v[29:30]
	v_fma_f64 v[9:10], s[18:19], v[7:8], v[9:10]
	v_add_f64 v[7:8], v[27:28], v[21:22]
	v_add_f64 v[9:10], v[19:20], v[9:10]
	flat_store_dwordx4 v[1:2], v[7:10]
.LBB766_12:
	s_or_b64 exec, exec, s[2:3]
	v_add_u32_e32 v2, 16, v0
	v_cmp_le_i32_e64 s[0:1], v2, v4
	s_and_b64 s[2:3], vcc, s[0:1]
	s_and_saveexec_b64 s[0:1], s[2:3]
	s_cbranch_execz .LBB766_14
; %bb.13:
	v_ashrrev_i32_e32 v3, 31, v2
	v_lshlrev_b64 v[7:8], 4, v[2:3]
	v_mul_f64 v[19:20], s[14:15], v[13:14]
	v_add_co_u32_e32 v9, vcc, v5, v7
	v_addc_co_u32_e32 v10, vcc, v6, v8, vcc
	flat_load_dwordx4 v[5:8], v[9:10]
	v_mul_f64 v[13:14], s[12:13], v[13:14]
	v_fma_f64 v[19:20], s[12:13], v[11:12], -v[19:20]
	v_fma_f64 v[11:12], s[14:15], v[11:12], v[13:14]
	s_waitcnt vmcnt(0) lgkmcnt(0)
	v_mul_f64 v[21:22], s[18:19], v[7:8]
	v_mul_f64 v[7:8], s[16:17], v[7:8]
	v_fma_f64 v[13:14], s[16:17], v[5:6], -v[21:22]
	v_fma_f64 v[7:8], s[18:19], v[5:6], v[7:8]
	v_add_f64 v[5:6], v[19:20], v[13:14]
	v_add_f64 v[7:8], v[11:12], v[7:8]
	flat_store_dwordx4 v[9:10], v[5:8]
.LBB766_14:
	s_or_b64 exec, exec, s[0:1]
	v_add_u32_e32 v3, 16, v4
	v_mad_i64_i32 v[4:5], s[0:1], v3, s4, 0
	v_mov_b32_e32 v1, s21
	v_cmp_gt_i32_e32 vcc, s10, v3
	v_lshlrev_b64 v[4:5], 4, v[4:5]
	v_add_co_u32_e64 v4, s[0:1], s20, v4
	v_addc_co_u32_e64 v5, s[0:1], v1, v5, s[0:1]
	v_cmp_le_i32_e64 s[0:1], v0, v3
	s_and_b64 s[0:1], vcc, s[0:1]
	s_and_saveexec_b64 s[2:3], s[0:1]
	s_cbranch_execz .LBB766_16
; %bb.15:
	v_ashrrev_i32_e32 v1, 31, v0
	v_lshlrev_b64 v[0:1], 4, v[0:1]
	v_mul_f64 v[10:11], s[14:15], v[17:18]
	v_add_co_u32_e64 v0, s[0:1], v4, v0
	v_addc_co_u32_e64 v1, s[0:1], v5, v1, s[0:1]
	flat_load_dwordx4 v[6:9], v[0:1]
	v_mul_f64 v[12:13], s[12:13], v[17:18]
	v_fma_f64 v[10:11], s[12:13], v[15:16], -v[10:11]
	v_fma_f64 v[12:13], s[14:15], v[15:16], v[12:13]
	s_waitcnt vmcnt(0) lgkmcnt(0)
	v_mul_f64 v[17:18], s[18:19], v[8:9]
	v_mul_f64 v[8:9], s[16:17], v[8:9]
	v_fma_f64 v[14:15], s[16:17], v[6:7], -v[17:18]
	v_fma_f64 v[8:9], s[18:19], v[6:7], v[8:9]
	v_add_f64 v[6:7], v[10:11], v[14:15]
	v_add_f64 v[8:9], v[12:13], v[8:9]
	flat_store_dwordx4 v[0:1], v[6:9]
.LBB766_16:
	s_or_b64 exec, exec, s[2:3]
	v_cmp_le_i32_e64 s[0:1], v2, v3
	s_and_b64 s[0:1], vcc, s[0:1]
	s_and_saveexec_b64 s[2:3], s[0:1]
	s_cbranch_execz .LBB766_18
; %bb.17:
	v_ashrrev_i32_e32 v3, 31, v2
	v_lshlrev_b64 v[0:1], 4, v[2:3]
	v_mul_f64 v[6:7], s[14:15], v[25:26]
	v_add_co_u32_e32 v4, vcc, v4, v0
	v_addc_co_u32_e32 v5, vcc, v5, v1, vcc
	flat_load_dwordx4 v[0:3], v[4:5]
	v_mul_f64 v[8:9], s[12:13], v[25:26]
	v_fma_f64 v[6:7], s[12:13], v[23:24], -v[6:7]
	v_fma_f64 v[8:9], s[14:15], v[23:24], v[8:9]
	s_waitcnt vmcnt(0) lgkmcnt(0)
	v_mul_f64 v[10:11], s[18:19], v[2:3]
	v_mul_f64 v[2:3], s[16:17], v[2:3]
	v_fma_f64 v[10:11], s[16:17], v[0:1], -v[10:11]
	v_fma_f64 v[2:3], s[18:19], v[0:1], v[2:3]
	v_add_f64 v[0:1], v[6:7], v[10:11]
	v_add_f64 v[2:3], v[8:9], v[2:3]
	flat_store_dwordx4 v[4:5], v[0:3]
.LBB766_18:
	s_endpgm
	.section	.rodata,"a",@progbits
	.p2align	6, 0x0
	.amdhsa_kernel _ZL34rocblas_syrkx_herkx_general_kernelIi19rocblas_complex_numIdELi16ELi32ELi8ELb0ELb0ELc78ELc85EKPKS1_KPS1_EviT_T0_PT8_S7_lSA_S7_lS8_PT9_S7_li
		.amdhsa_group_segment_fixed_size 8192
		.amdhsa_private_segment_fixed_size 0
		.amdhsa_kernarg_size 116
		.amdhsa_user_sgpr_count 6
		.amdhsa_user_sgpr_private_segment_buffer 1
		.amdhsa_user_sgpr_dispatch_ptr 0
		.amdhsa_user_sgpr_queue_ptr 0
		.amdhsa_user_sgpr_kernarg_segment_ptr 1
		.amdhsa_user_sgpr_dispatch_id 0
		.amdhsa_user_sgpr_flat_scratch_init 0
		.amdhsa_user_sgpr_private_segment_size 0
		.amdhsa_uses_dynamic_stack 0
		.amdhsa_system_sgpr_private_segment_wavefront_offset 0
		.amdhsa_system_sgpr_workgroup_id_x 1
		.amdhsa_system_sgpr_workgroup_id_y 1
		.amdhsa_system_sgpr_workgroup_id_z 1
		.amdhsa_system_sgpr_workgroup_info 0
		.amdhsa_system_vgpr_workitem_id 1
		.amdhsa_next_free_vgpr 59
		.amdhsa_next_free_sgpr 61
		.amdhsa_reserve_vcc 1
		.amdhsa_reserve_flat_scratch 0
		.amdhsa_float_round_mode_32 0
		.amdhsa_float_round_mode_16_64 0
		.amdhsa_float_denorm_mode_32 3
		.amdhsa_float_denorm_mode_16_64 3
		.amdhsa_dx10_clamp 1
		.amdhsa_ieee_mode 1
		.amdhsa_fp16_overflow 0
		.amdhsa_exception_fp_ieee_invalid_op 0
		.amdhsa_exception_fp_denorm_src 0
		.amdhsa_exception_fp_ieee_div_zero 0
		.amdhsa_exception_fp_ieee_overflow 0
		.amdhsa_exception_fp_ieee_underflow 0
		.amdhsa_exception_fp_ieee_inexact 0
		.amdhsa_exception_int_div_zero 0
	.end_amdhsa_kernel
	.section	.text._ZL34rocblas_syrkx_herkx_general_kernelIi19rocblas_complex_numIdELi16ELi32ELi8ELb0ELb0ELc78ELc85EKPKS1_KPS1_EviT_T0_PT8_S7_lSA_S7_lS8_PT9_S7_li,"axG",@progbits,_ZL34rocblas_syrkx_herkx_general_kernelIi19rocblas_complex_numIdELi16ELi32ELi8ELb0ELb0ELc78ELc85EKPKS1_KPS1_EviT_T0_PT8_S7_lSA_S7_lS8_PT9_S7_li,comdat
.Lfunc_end766:
	.size	_ZL34rocblas_syrkx_herkx_general_kernelIi19rocblas_complex_numIdELi16ELi32ELi8ELb0ELb0ELc78ELc85EKPKS1_KPS1_EviT_T0_PT8_S7_lSA_S7_lS8_PT9_S7_li, .Lfunc_end766-_ZL34rocblas_syrkx_herkx_general_kernelIi19rocblas_complex_numIdELi16ELi32ELi8ELb0ELb0ELc78ELc85EKPKS1_KPS1_EviT_T0_PT8_S7_lSA_S7_lS8_PT9_S7_li
                                        ; -- End function
	.set _ZL34rocblas_syrkx_herkx_general_kernelIi19rocblas_complex_numIdELi16ELi32ELi8ELb0ELb0ELc78ELc85EKPKS1_KPS1_EviT_T0_PT8_S7_lSA_S7_lS8_PT9_S7_li.num_vgpr, 59
	.set _ZL34rocblas_syrkx_herkx_general_kernelIi19rocblas_complex_numIdELi16ELi32ELi8ELb0ELb0ELc78ELc85EKPKS1_KPS1_EviT_T0_PT8_S7_lSA_S7_lS8_PT9_S7_li.num_agpr, 0
	.set _ZL34rocblas_syrkx_herkx_general_kernelIi19rocblas_complex_numIdELi16ELi32ELi8ELb0ELb0ELc78ELc85EKPKS1_KPS1_EviT_T0_PT8_S7_lSA_S7_lS8_PT9_S7_li.numbered_sgpr, 30
	.set _ZL34rocblas_syrkx_herkx_general_kernelIi19rocblas_complex_numIdELi16ELi32ELi8ELb0ELb0ELc78ELc85EKPKS1_KPS1_EviT_T0_PT8_S7_lSA_S7_lS8_PT9_S7_li.num_named_barrier, 0
	.set _ZL34rocblas_syrkx_herkx_general_kernelIi19rocblas_complex_numIdELi16ELi32ELi8ELb0ELb0ELc78ELc85EKPKS1_KPS1_EviT_T0_PT8_S7_lSA_S7_lS8_PT9_S7_li.private_seg_size, 0
	.set _ZL34rocblas_syrkx_herkx_general_kernelIi19rocblas_complex_numIdELi16ELi32ELi8ELb0ELb0ELc78ELc85EKPKS1_KPS1_EviT_T0_PT8_S7_lSA_S7_lS8_PT9_S7_li.uses_vcc, 1
	.set _ZL34rocblas_syrkx_herkx_general_kernelIi19rocblas_complex_numIdELi16ELi32ELi8ELb0ELb0ELc78ELc85EKPKS1_KPS1_EviT_T0_PT8_S7_lSA_S7_lS8_PT9_S7_li.uses_flat_scratch, 0
	.set _ZL34rocblas_syrkx_herkx_general_kernelIi19rocblas_complex_numIdELi16ELi32ELi8ELb0ELb0ELc78ELc85EKPKS1_KPS1_EviT_T0_PT8_S7_lSA_S7_lS8_PT9_S7_li.has_dyn_sized_stack, 0
	.set _ZL34rocblas_syrkx_herkx_general_kernelIi19rocblas_complex_numIdELi16ELi32ELi8ELb0ELb0ELc78ELc85EKPKS1_KPS1_EviT_T0_PT8_S7_lSA_S7_lS8_PT9_S7_li.has_recursion, 0
	.set _ZL34rocblas_syrkx_herkx_general_kernelIi19rocblas_complex_numIdELi16ELi32ELi8ELb0ELb0ELc78ELc85EKPKS1_KPS1_EviT_T0_PT8_S7_lSA_S7_lS8_PT9_S7_li.has_indirect_call, 0
	.section	.AMDGPU.csdata,"",@progbits
; Kernel info:
; codeLenInByte = 3328
; TotalNumSgprs: 34
; NumVgprs: 59
; ScratchSize: 0
; MemoryBound: 1
; FloatMode: 240
; IeeeMode: 1
; LDSByteSize: 8192 bytes/workgroup (compile time only)
; SGPRBlocks: 8
; VGPRBlocks: 14
; NumSGPRsForWavesPerEU: 65
; NumVGPRsForWavesPerEU: 59
; Occupancy: 4
; WaveLimiterHint : 1
; COMPUTE_PGM_RSRC2:SCRATCH_EN: 0
; COMPUTE_PGM_RSRC2:USER_SGPR: 6
; COMPUTE_PGM_RSRC2:TRAP_HANDLER: 0
; COMPUTE_PGM_RSRC2:TGID_X_EN: 1
; COMPUTE_PGM_RSRC2:TGID_Y_EN: 1
; COMPUTE_PGM_RSRC2:TGID_Z_EN: 1
; COMPUTE_PGM_RSRC2:TIDIG_COMP_CNT: 1
	.section	.text._ZL26rocblas_syr2k_scale_kernelIiLi128ELi8ELb0E19rocblas_complex_numIdES1_PKPS1_EvbiT_T3_T4_T5_S5_li,"axG",@progbits,_ZL26rocblas_syr2k_scale_kernelIiLi128ELi8ELb0E19rocblas_complex_numIdES1_PKPS1_EvbiT_T3_T4_T5_S5_li,comdat
	.globl	_ZL26rocblas_syr2k_scale_kernelIiLi128ELi8ELb0E19rocblas_complex_numIdES1_PKPS1_EvbiT_T3_T4_T5_S5_li ; -- Begin function _ZL26rocblas_syr2k_scale_kernelIiLi128ELi8ELb0E19rocblas_complex_numIdES1_PKPS1_EvbiT_T3_T4_T5_S5_li
	.p2align	8
	.type	_ZL26rocblas_syr2k_scale_kernelIiLi128ELi8ELb0E19rocblas_complex_numIdES1_PKPS1_EvbiT_T3_T4_T5_S5_li,@function
_ZL26rocblas_syr2k_scale_kernelIiLi128ELi8ELb0E19rocblas_complex_numIdES1_PKPS1_EvbiT_T3_T4_T5_S5_li: ; @_ZL26rocblas_syr2k_scale_kernelIiLi128ELi8ELb0E19rocblas_complex_numIdES1_PKPS1_EvbiT_T3_T4_T5_S5_li
; %bb.0:
	s_load_dwordx4 s[12:15], s[4:5], 0x20
	s_waitcnt lgkmcnt(0)
	v_cmp_eq_f64_e64 s[0:1], s[12:13], 1.0
	v_cmp_eq_f64_e64 s[2:3], s[14:15], 0
	s_and_b64 s[0:1], s[0:1], s[2:3]
	s_and_b64 vcc, exec, s[0:1]
	s_cbranch_vccnz .LBB767_5
; %bb.1:
	s_load_dwordx2 s[0:1], s[4:5], 0x0
	s_load_dword s2, s[4:5], 0x5c
	s_waitcnt lgkmcnt(0)
	s_bitcmp1_b32 s0, 0
	s_cselect_b64 vcc, -1, 0
	s_lshr_b32 s0, s2, 16
	s_and_b32 s2, s2, 0xffff
	s_mul_i32 s6, s6, s2
	s_mul_i32 s7, s7, s0
	v_add_u32_e32 v0, s6, v0
	v_add_u32_e32 v1, s7, v1
	v_cndmask_b32_e32 v2, v1, v0, vcc
	v_cndmask_b32_e32 v3, v0, v1, vcc
	v_max_u32_e32 v4, v0, v1
	v_cmp_gt_u32_e32 vcc, s1, v4
	v_cmp_le_i32_e64 s[0:1], v2, v3
	s_and_b64 s[0:1], vcc, s[0:1]
	s_and_saveexec_b64 s[2:3], s[0:1]
	s_cbranch_execz .LBB767_5
; %bb.2:
	s_load_dword s6, s[4:5], 0x38
	s_load_dwordx2 s[0:1], s[4:5], 0x30
	s_load_dwordx2 s[2:3], s[4:5], 0x40
	s_mov_b32 s9, 0
	s_lshl_b64 s[4:5], s[8:9], 3
	s_waitcnt lgkmcnt(0)
	s_ashr_i32 s8, s6, 31
	s_add_u32 s0, s0, s4
	s_addc_u32 s1, s1, s5
	v_mad_u64_u32 v[2:3], s[6:7], v1, s6, 0
	s_load_dwordx2 s[0:1], s[0:1], 0x0
	s_lshl_b64 s[2:3], s[2:3], 4
	v_mad_u64_u32 v[3:4], s[4:5], v1, s8, v[3:4]
	v_mov_b32_e32 v1, 0
	s_waitcnt lgkmcnt(0)
	s_add_u32 s4, s0, s2
	s_addc_u32 s5, s1, s3
	v_cmp_neq_f64_e64 s[0:1], s[12:13], 0
	v_cmp_neq_f64_e64 s[2:3], s[14:15], 0
	v_lshlrev_b64 v[2:3], 4, v[2:3]
	v_mov_b32_e32 v4, s5
	v_add_co_u32_e32 v6, vcc, s4, v2
	v_addc_co_u32_e32 v7, vcc, v4, v3, vcc
	v_lshlrev_b64 v[4:5], 4, v[0:1]
	s_or_b64 s[0:1], s[0:1], s[2:3]
	v_mov_b32_e32 v2, 0
	s_andn2_b64 vcc, exec, s[0:1]
	v_mov_b32_e32 v0, 0
	v_add_co_u32_e64 v4, s[0:1], v6, v4
	v_mov_b32_e32 v3, 0
	v_mov_b32_e32 v1, 0
	v_addc_co_u32_e64 v5, s[0:1], v7, v5, s[0:1]
	s_cbranch_vccnz .LBB767_4
; %bb.3:
	flat_load_dwordx4 v[6:9], v[4:5]
	s_waitcnt vmcnt(0) lgkmcnt(0)
	v_mul_f64 v[0:1], s[14:15], v[8:9]
	v_mul_f64 v[2:3], s[12:13], v[8:9]
	v_fma_f64 v[0:1], s[12:13], v[6:7], -v[0:1]
	v_fma_f64 v[2:3], s[14:15], v[6:7], v[2:3]
.LBB767_4:
	flat_store_dwordx4 v[4:5], v[0:3]
.LBB767_5:
	s_endpgm
	.section	.rodata,"a",@progbits
	.p2align	6, 0x0
	.amdhsa_kernel _ZL26rocblas_syr2k_scale_kernelIiLi128ELi8ELb0E19rocblas_complex_numIdES1_PKPS1_EvbiT_T3_T4_T5_S5_li
		.amdhsa_group_segment_fixed_size 0
		.amdhsa_private_segment_fixed_size 0
		.amdhsa_kernarg_size 336
		.amdhsa_user_sgpr_count 6
		.amdhsa_user_sgpr_private_segment_buffer 1
		.amdhsa_user_sgpr_dispatch_ptr 0
		.amdhsa_user_sgpr_queue_ptr 0
		.amdhsa_user_sgpr_kernarg_segment_ptr 1
		.amdhsa_user_sgpr_dispatch_id 0
		.amdhsa_user_sgpr_flat_scratch_init 0
		.amdhsa_user_sgpr_private_segment_size 0
		.amdhsa_uses_dynamic_stack 0
		.amdhsa_system_sgpr_private_segment_wavefront_offset 0
		.amdhsa_system_sgpr_workgroup_id_x 1
		.amdhsa_system_sgpr_workgroup_id_y 1
		.amdhsa_system_sgpr_workgroup_id_z 1
		.amdhsa_system_sgpr_workgroup_info 0
		.amdhsa_system_vgpr_workitem_id 1
		.amdhsa_next_free_vgpr 10
		.amdhsa_next_free_sgpr 16
		.amdhsa_reserve_vcc 1
		.amdhsa_reserve_flat_scratch 0
		.amdhsa_float_round_mode_32 0
		.amdhsa_float_round_mode_16_64 0
		.amdhsa_float_denorm_mode_32 3
		.amdhsa_float_denorm_mode_16_64 3
		.amdhsa_dx10_clamp 1
		.amdhsa_ieee_mode 1
		.amdhsa_fp16_overflow 0
		.amdhsa_exception_fp_ieee_invalid_op 0
		.amdhsa_exception_fp_denorm_src 0
		.amdhsa_exception_fp_ieee_div_zero 0
		.amdhsa_exception_fp_ieee_overflow 0
		.amdhsa_exception_fp_ieee_underflow 0
		.amdhsa_exception_fp_ieee_inexact 0
		.amdhsa_exception_int_div_zero 0
	.end_amdhsa_kernel
	.section	.text._ZL26rocblas_syr2k_scale_kernelIiLi128ELi8ELb0E19rocblas_complex_numIdES1_PKPS1_EvbiT_T3_T4_T5_S5_li,"axG",@progbits,_ZL26rocblas_syr2k_scale_kernelIiLi128ELi8ELb0E19rocblas_complex_numIdES1_PKPS1_EvbiT_T3_T4_T5_S5_li,comdat
.Lfunc_end767:
	.size	_ZL26rocblas_syr2k_scale_kernelIiLi128ELi8ELb0E19rocblas_complex_numIdES1_PKPS1_EvbiT_T3_T4_T5_S5_li, .Lfunc_end767-_ZL26rocblas_syr2k_scale_kernelIiLi128ELi8ELb0E19rocblas_complex_numIdES1_PKPS1_EvbiT_T3_T4_T5_S5_li
                                        ; -- End function
	.set _ZL26rocblas_syr2k_scale_kernelIiLi128ELi8ELb0E19rocblas_complex_numIdES1_PKPS1_EvbiT_T3_T4_T5_S5_li.num_vgpr, 10
	.set _ZL26rocblas_syr2k_scale_kernelIiLi128ELi8ELb0E19rocblas_complex_numIdES1_PKPS1_EvbiT_T3_T4_T5_S5_li.num_agpr, 0
	.set _ZL26rocblas_syr2k_scale_kernelIiLi128ELi8ELb0E19rocblas_complex_numIdES1_PKPS1_EvbiT_T3_T4_T5_S5_li.numbered_sgpr, 16
	.set _ZL26rocblas_syr2k_scale_kernelIiLi128ELi8ELb0E19rocblas_complex_numIdES1_PKPS1_EvbiT_T3_T4_T5_S5_li.num_named_barrier, 0
	.set _ZL26rocblas_syr2k_scale_kernelIiLi128ELi8ELb0E19rocblas_complex_numIdES1_PKPS1_EvbiT_T3_T4_T5_S5_li.private_seg_size, 0
	.set _ZL26rocblas_syr2k_scale_kernelIiLi128ELi8ELb0E19rocblas_complex_numIdES1_PKPS1_EvbiT_T3_T4_T5_S5_li.uses_vcc, 1
	.set _ZL26rocblas_syr2k_scale_kernelIiLi128ELi8ELb0E19rocblas_complex_numIdES1_PKPS1_EvbiT_T3_T4_T5_S5_li.uses_flat_scratch, 0
	.set _ZL26rocblas_syr2k_scale_kernelIiLi128ELi8ELb0E19rocblas_complex_numIdES1_PKPS1_EvbiT_T3_T4_T5_S5_li.has_dyn_sized_stack, 0
	.set _ZL26rocblas_syr2k_scale_kernelIiLi128ELi8ELb0E19rocblas_complex_numIdES1_PKPS1_EvbiT_T3_T4_T5_S5_li.has_recursion, 0
	.set _ZL26rocblas_syr2k_scale_kernelIiLi128ELi8ELb0E19rocblas_complex_numIdES1_PKPS1_EvbiT_T3_T4_T5_S5_li.has_indirect_call, 0
	.section	.AMDGPU.csdata,"",@progbits
; Kernel info:
; codeLenInByte = 368
; TotalNumSgprs: 20
; NumVgprs: 10
; ScratchSize: 0
; MemoryBound: 0
; FloatMode: 240
; IeeeMode: 1
; LDSByteSize: 0 bytes/workgroup (compile time only)
; SGPRBlocks: 2
; VGPRBlocks: 2
; NumSGPRsForWavesPerEU: 20
; NumVGPRsForWavesPerEU: 10
; Occupancy: 10
; WaveLimiterHint : 1
; COMPUTE_PGM_RSRC2:SCRATCH_EN: 0
; COMPUTE_PGM_RSRC2:USER_SGPR: 6
; COMPUTE_PGM_RSRC2:TRAP_HANDLER: 0
; COMPUTE_PGM_RSRC2:TGID_X_EN: 1
; COMPUTE_PGM_RSRC2:TGID_Y_EN: 1
; COMPUTE_PGM_RSRC2:TGID_Z_EN: 1
; COMPUTE_PGM_RSRC2:TIDIG_COMP_CNT: 1
	.section	.text._ZL26rocblas_syr2k_her2k_kernelIiLb0ELb0ELb0ELi32EPK19rocblas_complex_numIdEPKS3_PKPS1_EvbiT_T4_T5_S9_lSB_S9_lT6_S9_li,"axG",@progbits,_ZL26rocblas_syr2k_her2k_kernelIiLb0ELb0ELb0ELi32EPK19rocblas_complex_numIdEPKS3_PKPS1_EvbiT_T4_T5_S9_lSB_S9_lT6_S9_li,comdat
	.globl	_ZL26rocblas_syr2k_her2k_kernelIiLb0ELb0ELb0ELi32EPK19rocblas_complex_numIdEPKS3_PKPS1_EvbiT_T4_T5_S9_lSB_S9_lT6_S9_li ; -- Begin function _ZL26rocblas_syr2k_her2k_kernelIiLb0ELb0ELb0ELi32EPK19rocblas_complex_numIdEPKS3_PKPS1_EvbiT_T4_T5_S9_lSB_S9_lT6_S9_li
	.p2align	8
	.type	_ZL26rocblas_syr2k_her2k_kernelIiLb0ELb0ELb0ELi32EPK19rocblas_complex_numIdEPKS3_PKPS1_EvbiT_T4_T5_S9_lSB_S9_lT6_S9_li,@function
_ZL26rocblas_syr2k_her2k_kernelIiLb0ELb0ELb0ELi32EPK19rocblas_complex_numIdEPKS3_PKPS1_EvbiT_T4_T5_S9_lSB_S9_lT6_S9_li: ; @_ZL26rocblas_syr2k_her2k_kernelIiLb0ELb0ELb0ELi32EPK19rocblas_complex_numIdEPKS3_PKPS1_EvbiT_T4_T5_S9_lSB_S9_lT6_S9_li
; %bb.0:
	s_load_dwordx4 s[0:3], s[4:5], 0x10
	s_waitcnt lgkmcnt(0)
	s_load_dwordx4 s[12:15], s[0:1], 0x0
	s_waitcnt lgkmcnt(0)
	v_cmp_eq_f64_e64 s[0:1], s[12:13], 0
	v_cmp_eq_f64_e64 s[10:11], s[14:15], 0
	s_and_b64 s[0:1], s[0:1], s[10:11]
	s_and_b64 vcc, exec, s[0:1]
	s_cbranch_vccnz .LBB768_11
; %bb.1:
	s_load_dwordx4 s[16:19], s[4:5], 0x0
	s_lshl_b32 s0, s7, 5
	s_lshl_b32 s1, s6, 5
	s_waitcnt lgkmcnt(0)
	s_and_b32 s6, 1, s16
	s_cmp_eq_u32 s6, 1
	s_cselect_b64 vcc, -1, 0
	s_and_b64 s[6:7], vcc, exec
	s_cselect_b32 s6, s1, s0
	s_cselect_b32 s7, s0, s1
	s_cmp_gt_i32 s6, s7
	s_cbranch_scc1 .LBB768_11
; %bb.2:
	s_cmp_lt_i32 s18, 1
	s_cbranch_scc1 .LBB768_11
; %bb.3:
	s_mov_b32 s9, 0
	s_load_dword s10, s[4:5], 0x20
	s_load_dwordx4 s[20:23], s[4:5], 0x28
	s_load_dword s11, s[4:5], 0x38
	s_load_dwordx4 s[24:27], s[4:5], 0x40
	s_load_dword s16, s[4:5], 0x50
	s_load_dwordx2 s[6:7], s[4:5], 0x58
	s_lshl_b64 s[4:5], s[8:9], 3
	s_add_u32 s2, s2, s4
	s_addc_u32 s3, s3, s5
	s_load_dwordx2 s[2:3], s[2:3], 0x0
	s_waitcnt lgkmcnt(0)
	s_add_u32 s22, s22, s4
	s_addc_u32 s23, s23, s5
	s_load_dwordx2 s[22:23], s[22:23], 0x0
	s_add_u32 s4, s26, s4
	v_add_u32_e32 v3, s1, v0
	s_addc_u32 s5, s27, s5
	s_lshl_b64 s[20:21], s[20:21], 4
	v_ashrrev_i32_e32 v4, 31, v3
	s_load_dwordx2 s[4:5], s[4:5], 0x0
	s_add_u32 s8, s2, s20
	v_lshlrev_b64 v[4:5], 4, v[3:4]
	s_addc_u32 s19, s3, s21
	v_add_u32_e32 v2, s0, v1
	s_lshl_b64 s[2:3], s[24:25], 4
	v_cndmask_b32_e32 v8, v3, v2, vcc
	v_cndmask_b32_e32 v9, v2, v3, vcc
	v_cmp_gt_i32_e32 vcc, s17, v3
	v_mov_b32_e32 v3, s19
	v_add_co_u32_e64 v10, s[0:1], s8, v4
	s_waitcnt lgkmcnt(0)
	s_add_u32 s20, s22, s2
	v_addc_co_u32_e64 v11, s[0:1], v3, v5, s[0:1]
	v_ashrrev_i32_e32 v3, 31, v2
	s_addc_u32 s21, s23, s3
	s_lshl_b64 s[2:3], s[6:7], 4
	v_lshlrev_b64 v[6:7], 4, v[2:3]
	s_add_u32 s6, s4, s2
	s_addc_u32 s7, s5, s3
	v_mov_b32_e32 v3, s21
	v_add_co_u32_e64 v14, s[2:3], s20, v6
	v_cmp_gt_i32_e64 s[0:1], s17, v2
	v_addc_co_u32_e64 v15, s[2:3], v3, v7, s[2:3]
	v_mad_i64_i32 v[2:3], s[2:3], s16, v2, 0
	v_cmp_le_i32_e64 s[2:3], v9, v8
	s_and_b64 s[4:5], s[0:1], vcc
	v_lshlrev_b64 v[2:3], 4, v[2:3]
	s_and_b64 s[4:5], s[4:5], s[2:3]
	v_mov_b32_e32 v6, s7
	v_add_co_u32_e64 v2, s[2:3], s6, v2
	v_lshlrev_b32_e32 v12, 9, v0
	v_lshlrev_b32_e32 v16, 4, v1
	v_addc_co_u32_e64 v3, s[2:3], v6, v3, s[2:3]
	v_add_u32_e32 v13, v12, v16
	v_or_b32_e32 v16, 0x4000, v16
	v_add_co_u32_e64 v8, s[2:3], v2, v4
	v_add_u32_e32 v17, v16, v12
	v_addc_co_u32_e64 v9, s[2:3], v3, v5, s[2:3]
	s_branch .LBB768_5
.LBB768_4:                              ;   in Loop: Header=BB768_5 Depth=1
	s_or_b64 exec, exec, s[2:3]
	s_add_i32 s9, s9, 32
	s_cmp_lt_i32 s9, s18
	s_waitcnt vmcnt(0) lgkmcnt(0)
	s_barrier
	s_cbranch_scc0 .LBB768_11
.LBB768_5:                              ; =>This Inner Loop Header: Depth=1
	v_add_u32_e32 v18, s9, v1
	v_cmp_gt_i32_e64 s[2:3], s18, v18
	v_mov_b32_e32 v2, 0
	v_mov_b32_e32 v4, 0
	;; [unrolled: 1-line block ×6, first 2 shown]
	s_and_b64 s[2:3], vcc, s[2:3]
	s_and_saveexec_b64 s[6:7], s[2:3]
	s_cbranch_execz .LBB768_7
; %bb.6:                                ;   in Loop: Header=BB768_5 Depth=1
	v_mad_i64_i32 v[4:5], s[2:3], v18, s10, 0
	v_lshlrev_b64 v[4:5], 4, v[4:5]
	v_add_co_u32_e64 v4, s[2:3], v10, v4
	v_addc_co_u32_e64 v5, s[2:3], v11, v5, s[2:3]
	flat_load_dwordx4 v[4:7], v[4:5]
.LBB768_7:                              ;   in Loop: Header=BB768_5 Depth=1
	s_or_b64 exec, exec, s[6:7]
	s_waitcnt vmcnt(0) lgkmcnt(0)
	ds_write_b128 v13, v[4:7]
	v_add_u32_e32 v6, s9, v0
	v_cmp_gt_i32_e64 s[2:3], s18, v6
	v_mov_b32_e32 v4, 0
	v_mov_b32_e32 v5, 0
	s_and_b64 s[2:3], s[0:1], s[2:3]
	s_and_saveexec_b64 s[6:7], s[2:3]
	s_cbranch_execz .LBB768_9
; %bb.8:                                ;   in Loop: Header=BB768_5 Depth=1
	v_mad_i64_i32 v[2:3], s[2:3], v6, s11, 0
	v_lshlrev_b64 v[2:3], 4, v[2:3]
	v_add_co_u32_e64 v2, s[2:3], v14, v2
	v_addc_co_u32_e64 v3, s[2:3], v15, v3, s[2:3]
	flat_load_dwordx4 v[2:5], v[2:3]
.LBB768_9:                              ;   in Loop: Header=BB768_5 Depth=1
	s_or_b64 exec, exec, s[6:7]
	s_waitcnt vmcnt(0) lgkmcnt(0)
	ds_write_b128 v17, v[2:5]
	s_waitcnt lgkmcnt(0)
	s_barrier
	s_and_saveexec_b64 s[2:3], s[4:5]
	s_cbranch_execz .LBB768_4
; %bb.10:                               ;   in Loop: Header=BB768_5 Depth=1
	ds_read_b128 v[18:21], v16
	ds_read_b128 v[22:25], v12
	ds_read_b128 v[26:29], v12 offset:16
	ds_read_b128 v[30:33], v12 offset:32
	;; [unrolled: 1-line block ×3, first 2 shown]
	s_waitcnt lgkmcnt(3)
	v_mul_f64 v[6:7], v[20:21], v[24:25]
	v_fma_f64 v[6:7], v[18:19], v[22:23], -v[6:7]
	v_mul_f64 v[18:19], v[18:19], v[24:25]
	v_add_f64 v[6:7], v[6:7], 0
	v_fma_f64 v[18:19], v[20:21], v[22:23], v[18:19]
	v_add_f64 v[22:23], v[18:19], 0
	ds_read_b128 v[18:21], v16 offset:512
	s_waitcnt lgkmcnt(0)
	v_mul_f64 v[24:25], v[20:21], v[28:29]
	v_fma_f64 v[24:25], v[18:19], v[26:27], -v[24:25]
	v_mul_f64 v[18:19], v[18:19], v[28:29]
	v_add_f64 v[6:7], v[6:7], v[24:25]
	v_fma_f64 v[18:19], v[20:21], v[26:27], v[18:19]
	v_add_f64 v[22:23], v[22:23], v[18:19]
	ds_read_b128 v[18:21], v16 offset:1024
	;; [unrolled: 8-line block ×3, first 2 shown]
	s_waitcnt lgkmcnt(0)
	v_mul_f64 v[24:25], v[20:21], v[4:5]
	v_mul_f64 v[4:5], v[18:19], v[4:5]
	v_fma_f64 v[24:25], v[18:19], v[2:3], -v[24:25]
	v_fma_f64 v[2:3], v[20:21], v[2:3], v[4:5]
	v_add_f64 v[6:7], v[6:7], v[24:25]
	v_add_f64 v[22:23], v[22:23], v[2:3]
	ds_read_b128 v[2:5], v16 offset:2048
	ds_read_b128 v[18:21], v12 offset:64
	s_waitcnt lgkmcnt(0)
	v_mul_f64 v[24:25], v[4:5], v[20:21]
	v_fma_f64 v[24:25], v[2:3], v[18:19], -v[24:25]
	v_mul_f64 v[2:3], v[2:3], v[20:21]
	v_add_f64 v[6:7], v[6:7], v[24:25]
	v_fma_f64 v[2:3], v[4:5], v[18:19], v[2:3]
	v_add_f64 v[22:23], v[22:23], v[2:3]
	ds_read_b128 v[2:5], v16 offset:2560
	ds_read_b128 v[18:21], v12 offset:80
	s_waitcnt lgkmcnt(0)
	v_mul_f64 v[24:25], v[4:5], v[20:21]
	v_fma_f64 v[24:25], v[2:3], v[18:19], -v[24:25]
	v_mul_f64 v[2:3], v[2:3], v[20:21]
	v_add_f64 v[6:7], v[6:7], v[24:25]
	v_fma_f64 v[2:3], v[4:5], v[18:19], v[2:3]
	;; [unrolled: 9-line block ×27, first 2 shown]
	v_add_f64 v[22:23], v[22:23], v[2:3]
	ds_read_b128 v[2:5], v16 offset:15872
	ds_read_b128 v[18:21], v12 offset:496
	s_waitcnt lgkmcnt(0)
	v_mul_f64 v[24:25], v[4:5], v[20:21]
	v_fma_f64 v[24:25], v[2:3], v[18:19], -v[24:25]
	v_mul_f64 v[2:3], v[2:3], v[20:21]
	v_fma_f64 v[2:3], v[4:5], v[18:19], v[2:3]
	flat_load_dwordx4 v[18:21], v[8:9]
	v_add_f64 v[4:5], v[6:7], v[24:25]
	v_add_f64 v[6:7], v[22:23], v[2:3]
	v_mul_f64 v[2:3], s[14:15], v[6:7]
	v_fma_f64 v[2:3], s[12:13], v[4:5], -v[2:3]
	v_mul_f64 v[4:5], s[14:15], v[4:5]
	v_fma_f64 v[4:5], s[12:13], v[6:7], v[4:5]
	s_waitcnt vmcnt(0) lgkmcnt(0)
	v_add_f64 v[2:3], v[18:19], v[2:3]
	v_add_f64 v[4:5], v[20:21], v[4:5]
	flat_store_dwordx4 v[8:9], v[2:5]
	s_branch .LBB768_4
.LBB768_11:
	s_endpgm
	.section	.rodata,"a",@progbits
	.p2align	6, 0x0
	.amdhsa_kernel _ZL26rocblas_syr2k_her2k_kernelIiLb0ELb0ELb0ELi32EPK19rocblas_complex_numIdEPKS3_PKPS1_EvbiT_T4_T5_S9_lSB_S9_lT6_S9_li
		.amdhsa_group_segment_fixed_size 32768
		.amdhsa_private_segment_fixed_size 0
		.amdhsa_kernarg_size 100
		.amdhsa_user_sgpr_count 6
		.amdhsa_user_sgpr_private_segment_buffer 1
		.amdhsa_user_sgpr_dispatch_ptr 0
		.amdhsa_user_sgpr_queue_ptr 0
		.amdhsa_user_sgpr_kernarg_segment_ptr 1
		.amdhsa_user_sgpr_dispatch_id 0
		.amdhsa_user_sgpr_flat_scratch_init 0
		.amdhsa_user_sgpr_private_segment_size 0
		.amdhsa_uses_dynamic_stack 0
		.amdhsa_system_sgpr_private_segment_wavefront_offset 0
		.amdhsa_system_sgpr_workgroup_id_x 1
		.amdhsa_system_sgpr_workgroup_id_y 1
		.amdhsa_system_sgpr_workgroup_id_z 1
		.amdhsa_system_sgpr_workgroup_info 0
		.amdhsa_system_vgpr_workitem_id 1
		.amdhsa_next_free_vgpr 34
		.amdhsa_next_free_sgpr 61
		.amdhsa_reserve_vcc 1
		.amdhsa_reserve_flat_scratch 0
		.amdhsa_float_round_mode_32 0
		.amdhsa_float_round_mode_16_64 0
		.amdhsa_float_denorm_mode_32 3
		.amdhsa_float_denorm_mode_16_64 3
		.amdhsa_dx10_clamp 1
		.amdhsa_ieee_mode 1
		.amdhsa_fp16_overflow 0
		.amdhsa_exception_fp_ieee_invalid_op 0
		.amdhsa_exception_fp_denorm_src 0
		.amdhsa_exception_fp_ieee_div_zero 0
		.amdhsa_exception_fp_ieee_overflow 0
		.amdhsa_exception_fp_ieee_underflow 0
		.amdhsa_exception_fp_ieee_inexact 0
		.amdhsa_exception_int_div_zero 0
	.end_amdhsa_kernel
	.section	.text._ZL26rocblas_syr2k_her2k_kernelIiLb0ELb0ELb0ELi32EPK19rocblas_complex_numIdEPKS3_PKPS1_EvbiT_T4_T5_S9_lSB_S9_lT6_S9_li,"axG",@progbits,_ZL26rocblas_syr2k_her2k_kernelIiLb0ELb0ELb0ELi32EPK19rocblas_complex_numIdEPKS3_PKPS1_EvbiT_T4_T5_S9_lSB_S9_lT6_S9_li,comdat
.Lfunc_end768:
	.size	_ZL26rocblas_syr2k_her2k_kernelIiLb0ELb0ELb0ELi32EPK19rocblas_complex_numIdEPKS3_PKPS1_EvbiT_T4_T5_S9_lSB_S9_lT6_S9_li, .Lfunc_end768-_ZL26rocblas_syr2k_her2k_kernelIiLb0ELb0ELb0ELi32EPK19rocblas_complex_numIdEPKS3_PKPS1_EvbiT_T4_T5_S9_lSB_S9_lT6_S9_li
                                        ; -- End function
	.set _ZL26rocblas_syr2k_her2k_kernelIiLb0ELb0ELb0ELi32EPK19rocblas_complex_numIdEPKS3_PKPS1_EvbiT_T4_T5_S9_lSB_S9_lT6_S9_li.num_vgpr, 34
	.set _ZL26rocblas_syr2k_her2k_kernelIiLb0ELb0ELb0ELi32EPK19rocblas_complex_numIdEPKS3_PKPS1_EvbiT_T4_T5_S9_lSB_S9_lT6_S9_li.num_agpr, 0
	.set _ZL26rocblas_syr2k_her2k_kernelIiLb0ELb0ELb0ELi32EPK19rocblas_complex_numIdEPKS3_PKPS1_EvbiT_T4_T5_S9_lSB_S9_lT6_S9_li.numbered_sgpr, 28
	.set _ZL26rocblas_syr2k_her2k_kernelIiLb0ELb0ELb0ELi32EPK19rocblas_complex_numIdEPKS3_PKPS1_EvbiT_T4_T5_S9_lSB_S9_lT6_S9_li.num_named_barrier, 0
	.set _ZL26rocblas_syr2k_her2k_kernelIiLb0ELb0ELb0ELi32EPK19rocblas_complex_numIdEPKS3_PKPS1_EvbiT_T4_T5_S9_lSB_S9_lT6_S9_li.private_seg_size, 0
	.set _ZL26rocblas_syr2k_her2k_kernelIiLb0ELb0ELb0ELi32EPK19rocblas_complex_numIdEPKS3_PKPS1_EvbiT_T4_T5_S9_lSB_S9_lT6_S9_li.uses_vcc, 1
	.set _ZL26rocblas_syr2k_her2k_kernelIiLb0ELb0ELb0ELi32EPK19rocblas_complex_numIdEPKS3_PKPS1_EvbiT_T4_T5_S9_lSB_S9_lT6_S9_li.uses_flat_scratch, 0
	.set _ZL26rocblas_syr2k_her2k_kernelIiLb0ELb0ELb0ELi32EPK19rocblas_complex_numIdEPKS3_PKPS1_EvbiT_T4_T5_S9_lSB_S9_lT6_S9_li.has_dyn_sized_stack, 0
	.set _ZL26rocblas_syr2k_her2k_kernelIiLb0ELb0ELb0ELi32EPK19rocblas_complex_numIdEPKS3_PKPS1_EvbiT_T4_T5_S9_lSB_S9_lT6_S9_li.has_recursion, 0
	.set _ZL26rocblas_syr2k_her2k_kernelIiLb0ELb0ELb0ELi32EPK19rocblas_complex_numIdEPKS3_PKPS1_EvbiT_T4_T5_S9_lSB_S9_lT6_S9_li.has_indirect_call, 0
	.section	.AMDGPU.csdata,"",@progbits
; Kernel info:
; codeLenInByte = 2932
; TotalNumSgprs: 32
; NumVgprs: 34
; ScratchSize: 0
; MemoryBound: 1
; FloatMode: 240
; IeeeMode: 1
; LDSByteSize: 32768 bytes/workgroup (compile time only)
; SGPRBlocks: 8
; VGPRBlocks: 8
; NumSGPRsForWavesPerEU: 65
; NumVGPRsForWavesPerEU: 34
; Occupancy: 7
; WaveLimiterHint : 1
; COMPUTE_PGM_RSRC2:SCRATCH_EN: 0
; COMPUTE_PGM_RSRC2:USER_SGPR: 6
; COMPUTE_PGM_RSRC2:TRAP_HANDLER: 0
; COMPUTE_PGM_RSRC2:TGID_X_EN: 1
; COMPUTE_PGM_RSRC2:TGID_Y_EN: 1
; COMPUTE_PGM_RSRC2:TGID_Z_EN: 1
; COMPUTE_PGM_RSRC2:TIDIG_COMP_CNT: 1
	.section	.text._ZL26rocblas_syr2k_her2k_kernelIiLb0ELb0ELb1ELi32EPK19rocblas_complex_numIdEPKS3_PKPS1_EvbiT_T4_T5_S9_lSB_S9_lT6_S9_li,"axG",@progbits,_ZL26rocblas_syr2k_her2k_kernelIiLb0ELb0ELb1ELi32EPK19rocblas_complex_numIdEPKS3_PKPS1_EvbiT_T4_T5_S9_lSB_S9_lT6_S9_li,comdat
	.globl	_ZL26rocblas_syr2k_her2k_kernelIiLb0ELb0ELb1ELi32EPK19rocblas_complex_numIdEPKS3_PKPS1_EvbiT_T4_T5_S9_lSB_S9_lT6_S9_li ; -- Begin function _ZL26rocblas_syr2k_her2k_kernelIiLb0ELb0ELb1ELi32EPK19rocblas_complex_numIdEPKS3_PKPS1_EvbiT_T4_T5_S9_lSB_S9_lT6_S9_li
	.p2align	8
	.type	_ZL26rocblas_syr2k_her2k_kernelIiLb0ELb0ELb1ELi32EPK19rocblas_complex_numIdEPKS3_PKPS1_EvbiT_T4_T5_S9_lSB_S9_lT6_S9_li,@function
_ZL26rocblas_syr2k_her2k_kernelIiLb0ELb0ELb1ELi32EPK19rocblas_complex_numIdEPKS3_PKPS1_EvbiT_T4_T5_S9_lSB_S9_lT6_S9_li: ; @_ZL26rocblas_syr2k_her2k_kernelIiLb0ELb0ELb1ELi32EPK19rocblas_complex_numIdEPKS3_PKPS1_EvbiT_T4_T5_S9_lSB_S9_lT6_S9_li
; %bb.0:
	s_load_dwordx4 s[0:3], s[4:5], 0x10
	s_waitcnt lgkmcnt(0)
	s_load_dwordx4 s[12:15], s[0:1], 0x0
	s_waitcnt lgkmcnt(0)
	v_cmp_eq_f64_e64 s[0:1], s[12:13], 0
	v_cmp_eq_f64_e64 s[10:11], s[14:15], 0
	s_and_b64 s[0:1], s[0:1], s[10:11]
	s_and_b64 vcc, exec, s[0:1]
	s_cbranch_vccnz .LBB769_11
; %bb.1:
	s_load_dwordx4 s[16:19], s[4:5], 0x0
	s_lshl_b32 s0, s7, 5
	s_lshl_b32 s1, s6, 5
	s_waitcnt lgkmcnt(0)
	s_and_b32 s6, 1, s16
	s_cmp_eq_u32 s6, 1
	s_cselect_b64 vcc, -1, 0
	s_and_b64 s[6:7], vcc, exec
	s_cselect_b32 s6, s1, s0
	s_cselect_b32 s7, s0, s1
	s_cmp_gt_i32 s6, s7
	s_cbranch_scc1 .LBB769_11
; %bb.2:
	s_cmp_lt_i32 s18, 1
	s_cbranch_scc1 .LBB769_11
; %bb.3:
	s_mov_b32 s9, 0
	s_load_dword s16, s[4:5], 0x20
	s_load_dwordx4 s[20:23], s[4:5], 0x28
	s_load_dword s19, s[4:5], 0x38
	s_load_dwordx4 s[24:27], s[4:5], 0x40
	s_load_dword s28, s[4:5], 0x50
	s_load_dwordx2 s[6:7], s[4:5], 0x58
	s_lshl_b64 s[4:5], s[8:9], 3
	s_add_u32 s2, s2, s4
	s_addc_u32 s3, s3, s5
	s_load_dwordx2 s[2:3], s[2:3], 0x0
	v_add_u32_e32 v2, s1, v0
	s_waitcnt lgkmcnt(0)
	s_add_u32 s10, s22, s4
	v_add_u32_e32 v6, s0, v1
	v_mad_i64_i32 v[4:5], s[0:1], s16, v2, 0
	s_addc_u32 s11, s23, s5
	s_add_u32 s4, s26, s4
	s_addc_u32 s5, s27, s5
	s_lshl_b64 s[20:21], s[20:21], 4
	s_add_u32 s8, s2, s20
	v_lshlrev_b64 v[4:5], 4, v[4:5]
	s_load_dwordx2 s[10:11], s[10:11], 0x0
	s_addc_u32 s20, s3, s21
	v_mov_b32_e32 v9, s20
	v_add_co_u32_e64 v12, s[0:1], s8, v4
	s_load_dwordx2 s[4:5], s[4:5], 0x0
	v_addc_co_u32_e64 v13, s[0:1], v9, v5, s[0:1]
	v_mad_i64_i32 v[4:5], s[0:1], s19, v6, 0
	s_lshl_b64 s[2:3], s[24:25], 4
	s_waitcnt lgkmcnt(0)
	s_add_u32 s10, s10, s2
	s_addc_u32 s11, s11, s3
	s_lshl_b64 s[2:3], s[6:7], 4
	v_lshlrev_b64 v[4:5], 4, v[4:5]
	s_add_u32 s6, s4, s2
	s_addc_u32 s7, s5, s3
	v_mov_b32_e32 v10, s11
	v_add_co_u32_e64 v16, s[2:3], s10, v4
	v_addc_co_u32_e64 v17, s[2:3], v10, v5, s[2:3]
	v_mad_i64_i32 v[4:5], s[2:3], s28, v6, 0
	v_cndmask_b32_e32 v7, v2, v6, vcc
	v_cndmask_b32_e32 v8, v6, v2, vcc
	v_cmp_gt_i32_e32 vcc, s17, v2
	v_cmp_gt_i32_e64 s[0:1], s17, v6
	v_lshlrev_b64 v[4:5], 4, v[4:5]
	v_ashrrev_i32_e32 v3, 31, v2
	v_cmp_le_i32_e64 s[2:3], v8, v7
	s_and_b64 s[4:5], s[0:1], vcc
	s_and_b64 s[4:5], s[4:5], s[2:3]
	v_mov_b32_e32 v6, s7
	v_add_co_u32_e64 v4, s[2:3], s6, v4
	v_lshlrev_b64 v[2:3], 4, v[2:3]
	v_lshlrev_b32_e32 v9, 4, v1
	v_addc_co_u32_e64 v5, s[2:3], v6, v5, s[2:3]
	v_lshlrev_b32_e32 v14, 9, v0
	v_or_b32_e32 v18, 0x4000, v9
	v_add_co_u32_e64 v8, s[2:3], v4, v2
	v_add_u32_e32 v15, v14, v9
	v_add_u32_e32 v19, v18, v14
	v_addc_co_u32_e64 v9, s[2:3], v5, v3, s[2:3]
	s_branch .LBB769_5
.LBB769_4:                              ;   in Loop: Header=BB769_5 Depth=1
	s_or_b64 exec, exec, s[2:3]
	s_add_i32 s9, s9, 32
	s_cmp_lt_i32 s9, s18
	s_waitcnt vmcnt(0) lgkmcnt(0)
	s_barrier
	s_cbranch_scc0 .LBB769_11
.LBB769_5:                              ; =>This Inner Loop Header: Depth=1
	v_add_u32_e32 v10, s9, v1
	v_cmp_gt_i32_e64 s[2:3], s18, v10
	v_mov_b32_e32 v2, 0
	v_mov_b32_e32 v4, 0
	;; [unrolled: 1-line block ×6, first 2 shown]
	s_and_b64 s[2:3], vcc, s[2:3]
	s_and_saveexec_b64 s[6:7], s[2:3]
	s_cbranch_execz .LBB769_7
; %bb.6:                                ;   in Loop: Header=BB769_5 Depth=1
	v_ashrrev_i32_e32 v11, 31, v10
	v_lshlrev_b64 v[4:5], 4, v[10:11]
	v_add_co_u32_e64 v4, s[2:3], v12, v4
	v_addc_co_u32_e64 v5, s[2:3], v13, v5, s[2:3]
	flat_load_dwordx4 v[4:7], v[4:5]
.LBB769_7:                              ;   in Loop: Header=BB769_5 Depth=1
	s_or_b64 exec, exec, s[6:7]
	s_waitcnt vmcnt(0) lgkmcnt(0)
	ds_write_b128 v15, v[4:7]
	v_add_u32_e32 v6, s9, v0
	v_cmp_gt_i32_e64 s[2:3], s18, v6
	v_mov_b32_e32 v4, 0
	v_mov_b32_e32 v5, 0
	s_and_b64 s[2:3], s[0:1], s[2:3]
	s_and_saveexec_b64 s[6:7], s[2:3]
	s_cbranch_execz .LBB769_9
; %bb.8:                                ;   in Loop: Header=BB769_5 Depth=1
	v_ashrrev_i32_e32 v7, 31, v6
	v_lshlrev_b64 v[2:3], 4, v[6:7]
	v_add_co_u32_e64 v2, s[2:3], v16, v2
	v_addc_co_u32_e64 v3, s[2:3], v17, v3, s[2:3]
	flat_load_dwordx4 v[2:5], v[2:3]
.LBB769_9:                              ;   in Loop: Header=BB769_5 Depth=1
	s_or_b64 exec, exec, s[6:7]
	s_waitcnt vmcnt(0) lgkmcnt(0)
	ds_write_b128 v19, v[2:5]
	s_waitcnt lgkmcnt(0)
	s_barrier
	s_and_saveexec_b64 s[2:3], s[4:5]
	s_cbranch_execz .LBB769_4
; %bb.10:                               ;   in Loop: Header=BB769_5 Depth=1
	ds_read_b128 v[20:23], v18
	ds_read_b128 v[24:27], v14
	ds_read_b128 v[28:31], v14 offset:16
	ds_read_b128 v[32:35], v14 offset:32
	;; [unrolled: 1-line block ×3, first 2 shown]
	s_waitcnt lgkmcnt(3)
	v_mul_f64 v[6:7], v[22:23], v[26:27]
	v_mul_f64 v[10:11], v[20:21], v[26:27]
	v_fma_f64 v[6:7], v[20:21], v[24:25], -v[6:7]
	v_fma_f64 v[10:11], v[22:23], v[24:25], v[10:11]
	ds_read_b128 v[20:23], v18 offset:512
	s_waitcnt lgkmcnt(0)
	v_mul_f64 v[24:25], v[22:23], v[30:31]
	v_add_f64 v[6:7], v[6:7], 0
	v_add_f64 v[10:11], v[10:11], 0
	v_fma_f64 v[24:25], v[20:21], v[28:29], -v[24:25]
	v_mul_f64 v[20:21], v[20:21], v[30:31]
	v_add_f64 v[6:7], v[6:7], v[24:25]
	v_fma_f64 v[20:21], v[22:23], v[28:29], v[20:21]
	v_add_f64 v[10:11], v[10:11], v[20:21]
	ds_read_b128 v[20:23], v18 offset:1024
	s_waitcnt lgkmcnt(0)
	v_mul_f64 v[24:25], v[22:23], v[34:35]
	v_fma_f64 v[24:25], v[20:21], v[32:33], -v[24:25]
	v_mul_f64 v[20:21], v[20:21], v[34:35]
	v_add_f64 v[6:7], v[6:7], v[24:25]
	v_fma_f64 v[20:21], v[22:23], v[32:33], v[20:21]
	v_add_f64 v[10:11], v[10:11], v[20:21]
	ds_read_b128 v[20:23], v18 offset:1536
	s_waitcnt lgkmcnt(0)
	v_mul_f64 v[24:25], v[22:23], v[4:5]
	v_mul_f64 v[4:5], v[20:21], v[4:5]
	v_fma_f64 v[24:25], v[20:21], v[2:3], -v[24:25]
	v_fma_f64 v[2:3], v[22:23], v[2:3], v[4:5]
	v_add_f64 v[6:7], v[6:7], v[24:25]
	v_add_f64 v[10:11], v[10:11], v[2:3]
	ds_read_b128 v[2:5], v18 offset:2048
	ds_read_b128 v[20:23], v14 offset:64
	s_waitcnt lgkmcnt(0)
	v_mul_f64 v[24:25], v[4:5], v[22:23]
	v_fma_f64 v[24:25], v[2:3], v[20:21], -v[24:25]
	v_mul_f64 v[2:3], v[2:3], v[22:23]
	v_add_f64 v[6:7], v[6:7], v[24:25]
	v_fma_f64 v[2:3], v[4:5], v[20:21], v[2:3]
	v_add_f64 v[10:11], v[10:11], v[2:3]
	ds_read_b128 v[2:5], v18 offset:2560
	ds_read_b128 v[20:23], v14 offset:80
	s_waitcnt lgkmcnt(0)
	v_mul_f64 v[24:25], v[4:5], v[22:23]
	v_fma_f64 v[24:25], v[2:3], v[20:21], -v[24:25]
	v_mul_f64 v[2:3], v[2:3], v[22:23]
	v_add_f64 v[6:7], v[6:7], v[24:25]
	v_fma_f64 v[2:3], v[4:5], v[20:21], v[2:3]
	;; [unrolled: 9-line block ×27, first 2 shown]
	v_add_f64 v[10:11], v[10:11], v[2:3]
	ds_read_b128 v[2:5], v18 offset:15872
	ds_read_b128 v[20:23], v14 offset:496
	s_waitcnt lgkmcnt(0)
	v_mul_f64 v[24:25], v[4:5], v[22:23]
	v_fma_f64 v[24:25], v[2:3], v[20:21], -v[24:25]
	v_mul_f64 v[2:3], v[2:3], v[22:23]
	v_fma_f64 v[2:3], v[4:5], v[20:21], v[2:3]
	flat_load_dwordx4 v[20:23], v[8:9]
	v_add_f64 v[4:5], v[6:7], v[24:25]
	v_add_f64 v[6:7], v[10:11], v[2:3]
	v_mul_f64 v[2:3], s[14:15], v[6:7]
	v_fma_f64 v[2:3], s[12:13], v[4:5], -v[2:3]
	v_mul_f64 v[4:5], s[14:15], v[4:5]
	v_fma_f64 v[4:5], s[12:13], v[6:7], v[4:5]
	s_waitcnt vmcnt(0) lgkmcnt(0)
	v_add_f64 v[2:3], v[20:21], v[2:3]
	v_add_f64 v[4:5], v[22:23], v[4:5]
	flat_store_dwordx4 v[8:9], v[2:5]
	s_branch .LBB769_4
.LBB769_11:
	s_endpgm
	.section	.rodata,"a",@progbits
	.p2align	6, 0x0
	.amdhsa_kernel _ZL26rocblas_syr2k_her2k_kernelIiLb0ELb0ELb1ELi32EPK19rocblas_complex_numIdEPKS3_PKPS1_EvbiT_T4_T5_S9_lSB_S9_lT6_S9_li
		.amdhsa_group_segment_fixed_size 32768
		.amdhsa_private_segment_fixed_size 0
		.amdhsa_kernarg_size 100
		.amdhsa_user_sgpr_count 6
		.amdhsa_user_sgpr_private_segment_buffer 1
		.amdhsa_user_sgpr_dispatch_ptr 0
		.amdhsa_user_sgpr_queue_ptr 0
		.amdhsa_user_sgpr_kernarg_segment_ptr 1
		.amdhsa_user_sgpr_dispatch_id 0
		.amdhsa_user_sgpr_flat_scratch_init 0
		.amdhsa_user_sgpr_private_segment_size 0
		.amdhsa_uses_dynamic_stack 0
		.amdhsa_system_sgpr_private_segment_wavefront_offset 0
		.amdhsa_system_sgpr_workgroup_id_x 1
		.amdhsa_system_sgpr_workgroup_id_y 1
		.amdhsa_system_sgpr_workgroup_id_z 1
		.amdhsa_system_sgpr_workgroup_info 0
		.amdhsa_system_vgpr_workitem_id 1
		.amdhsa_next_free_vgpr 36
		.amdhsa_next_free_sgpr 61
		.amdhsa_reserve_vcc 1
		.amdhsa_reserve_flat_scratch 0
		.amdhsa_float_round_mode_32 0
		.amdhsa_float_round_mode_16_64 0
		.amdhsa_float_denorm_mode_32 3
		.amdhsa_float_denorm_mode_16_64 3
		.amdhsa_dx10_clamp 1
		.amdhsa_ieee_mode 1
		.amdhsa_fp16_overflow 0
		.amdhsa_exception_fp_ieee_invalid_op 0
		.amdhsa_exception_fp_denorm_src 0
		.amdhsa_exception_fp_ieee_div_zero 0
		.amdhsa_exception_fp_ieee_overflow 0
		.amdhsa_exception_fp_ieee_underflow 0
		.amdhsa_exception_fp_ieee_inexact 0
		.amdhsa_exception_int_div_zero 0
	.end_amdhsa_kernel
	.section	.text._ZL26rocblas_syr2k_her2k_kernelIiLb0ELb0ELb1ELi32EPK19rocblas_complex_numIdEPKS3_PKPS1_EvbiT_T4_T5_S9_lSB_S9_lT6_S9_li,"axG",@progbits,_ZL26rocblas_syr2k_her2k_kernelIiLb0ELb0ELb1ELi32EPK19rocblas_complex_numIdEPKS3_PKPS1_EvbiT_T4_T5_S9_lSB_S9_lT6_S9_li,comdat
.Lfunc_end769:
	.size	_ZL26rocblas_syr2k_her2k_kernelIiLb0ELb0ELb1ELi32EPK19rocblas_complex_numIdEPKS3_PKPS1_EvbiT_T4_T5_S9_lSB_S9_lT6_S9_li, .Lfunc_end769-_ZL26rocblas_syr2k_her2k_kernelIiLb0ELb0ELb1ELi32EPK19rocblas_complex_numIdEPKS3_PKPS1_EvbiT_T4_T5_S9_lSB_S9_lT6_S9_li
                                        ; -- End function
	.set _ZL26rocblas_syr2k_her2k_kernelIiLb0ELb0ELb1ELi32EPK19rocblas_complex_numIdEPKS3_PKPS1_EvbiT_T4_T5_S9_lSB_S9_lT6_S9_li.num_vgpr, 36
	.set _ZL26rocblas_syr2k_her2k_kernelIiLb0ELb0ELb1ELi32EPK19rocblas_complex_numIdEPKS3_PKPS1_EvbiT_T4_T5_S9_lSB_S9_lT6_S9_li.num_agpr, 0
	.set _ZL26rocblas_syr2k_her2k_kernelIiLb0ELb0ELb1ELi32EPK19rocblas_complex_numIdEPKS3_PKPS1_EvbiT_T4_T5_S9_lSB_S9_lT6_S9_li.numbered_sgpr, 29
	.set _ZL26rocblas_syr2k_her2k_kernelIiLb0ELb0ELb1ELi32EPK19rocblas_complex_numIdEPKS3_PKPS1_EvbiT_T4_T5_S9_lSB_S9_lT6_S9_li.num_named_barrier, 0
	.set _ZL26rocblas_syr2k_her2k_kernelIiLb0ELb0ELb1ELi32EPK19rocblas_complex_numIdEPKS3_PKPS1_EvbiT_T4_T5_S9_lSB_S9_lT6_S9_li.private_seg_size, 0
	.set _ZL26rocblas_syr2k_her2k_kernelIiLb0ELb0ELb1ELi32EPK19rocblas_complex_numIdEPKS3_PKPS1_EvbiT_T4_T5_S9_lSB_S9_lT6_S9_li.uses_vcc, 1
	.set _ZL26rocblas_syr2k_her2k_kernelIiLb0ELb0ELb1ELi32EPK19rocblas_complex_numIdEPKS3_PKPS1_EvbiT_T4_T5_S9_lSB_S9_lT6_S9_li.uses_flat_scratch, 0
	.set _ZL26rocblas_syr2k_her2k_kernelIiLb0ELb0ELb1ELi32EPK19rocblas_complex_numIdEPKS3_PKPS1_EvbiT_T4_T5_S9_lSB_S9_lT6_S9_li.has_dyn_sized_stack, 0
	.set _ZL26rocblas_syr2k_her2k_kernelIiLb0ELb0ELb1ELi32EPK19rocblas_complex_numIdEPKS3_PKPS1_EvbiT_T4_T5_S9_lSB_S9_lT6_S9_li.has_recursion, 0
	.set _ZL26rocblas_syr2k_her2k_kernelIiLb0ELb0ELb1ELi32EPK19rocblas_complex_numIdEPKS3_PKPS1_EvbiT_T4_T5_S9_lSB_S9_lT6_S9_li.has_indirect_call, 0
	.section	.AMDGPU.csdata,"",@progbits
; Kernel info:
; codeLenInByte = 2944
; TotalNumSgprs: 33
; NumVgprs: 36
; ScratchSize: 0
; MemoryBound: 1
; FloatMode: 240
; IeeeMode: 1
; LDSByteSize: 32768 bytes/workgroup (compile time only)
; SGPRBlocks: 8
; VGPRBlocks: 8
; NumSGPRsForWavesPerEU: 65
; NumVGPRsForWavesPerEU: 36
; Occupancy: 7
; WaveLimiterHint : 1
; COMPUTE_PGM_RSRC2:SCRATCH_EN: 0
; COMPUTE_PGM_RSRC2:USER_SGPR: 6
; COMPUTE_PGM_RSRC2:TRAP_HANDLER: 0
; COMPUTE_PGM_RSRC2:TGID_X_EN: 1
; COMPUTE_PGM_RSRC2:TGID_Y_EN: 1
; COMPUTE_PGM_RSRC2:TGID_Z_EN: 1
; COMPUTE_PGM_RSRC2:TIDIG_COMP_CNT: 1
	.section	.text._ZL26rocblas_syr2k_her2k_kernelIiLb0ELb1ELb0ELi32E19rocblas_complex_numIfEPKPKS1_PKPS1_EvbiT_T4_T5_S9_lSB_S9_lT6_S9_li,"axG",@progbits,_ZL26rocblas_syr2k_her2k_kernelIiLb0ELb1ELb0ELi32E19rocblas_complex_numIfEPKPKS1_PKPS1_EvbiT_T4_T5_S9_lSB_S9_lT6_S9_li,comdat
	.globl	_ZL26rocblas_syr2k_her2k_kernelIiLb0ELb1ELb0ELi32E19rocblas_complex_numIfEPKPKS1_PKPS1_EvbiT_T4_T5_S9_lSB_S9_lT6_S9_li ; -- Begin function _ZL26rocblas_syr2k_her2k_kernelIiLb0ELb1ELb0ELi32E19rocblas_complex_numIfEPKPKS1_PKPS1_EvbiT_T4_T5_S9_lSB_S9_lT6_S9_li
	.p2align	8
	.type	_ZL26rocblas_syr2k_her2k_kernelIiLb0ELb1ELb0ELi32E19rocblas_complex_numIfEPKPKS1_PKPS1_EvbiT_T4_T5_S9_lSB_S9_lT6_S9_li,@function
_ZL26rocblas_syr2k_her2k_kernelIiLb0ELb1ELb0ELi32E19rocblas_complex_numIfEPKPKS1_PKPS1_EvbiT_T4_T5_S9_lSB_S9_lT6_S9_li: ; @_ZL26rocblas_syr2k_her2k_kernelIiLb0ELb1ELb0ELi32E19rocblas_complex_numIfEPKPKS1_PKPS1_EvbiT_T4_T5_S9_lSB_S9_lT6_S9_li
; %bb.0:
	s_load_dwordx4 s[12:15], s[4:5], 0x0
	s_load_dword s10, s[4:5], 0x10
	s_waitcnt lgkmcnt(0)
	v_cmp_eq_f32_e64 s[0:1], s15, 0
	v_cmp_eq_f32_e64 s[2:3], s10, 0
	s_and_b64 s[0:1], s[0:1], s[2:3]
	s_and_b64 vcc, exec, s[0:1]
	s_cbranch_vccnz .LBB770_13
; %bb.1:
	s_and_b32 s0, 1, s12
	s_lshl_b32 s7, s7, 5
	s_lshl_b32 s6, s6, 5
	s_cmp_eq_u32 s0, 1
	s_cselect_b64 s[0:1], -1, 0
	s_and_b64 s[2:3], s[0:1], exec
	s_cselect_b32 s2, s6, s7
	s_cselect_b32 s3, s7, s6
	s_cmp_gt_i32 s2, s3
	s_cbranch_scc1 .LBB770_13
; %bb.2:
	s_load_dwordx4 s[16:19], s[4:5], 0x40
	s_load_dword s11, s[4:5], 0x50
	s_load_dwordx2 s[20:21], s[4:5], 0x58
	s_mov_b32 s9, 0
	s_lshl_b64 s[2:3], s[8:9], 3
	s_waitcnt lgkmcnt(0)
	s_add_u32 s18, s18, s2
	s_addc_u32 s19, s19, s3
	s_load_dwordx2 s[18:19], s[18:19], 0x0
	v_add_u32_e32 v10, s6, v0
	v_add_u32_e32 v12, s7, v1
	s_lshl_b64 s[6:7], s[20:21], 3
	v_cmp_gt_i32_e32 vcc, s13, v10
	s_waitcnt lgkmcnt(0)
	s_add_u32 s8, s18, s6
	s_addc_u32 s12, s19, s7
	s_cmp_lt_i32 s14, 1
	v_ashrrev_i32_e32 v11, 31, v10
	s_cbranch_scc1 .LBB770_11
; %bb.3:
	s_load_dwordx2 s[6:7], s[4:5], 0x18
	s_load_dword s18, s[4:5], 0x20
	s_load_dwordx4 s[20:23], s[4:5], 0x28
	s_load_dword s19, s[4:5], 0x38
	v_lshlrev_b64 v[2:3], 3, v[10:11]
	s_waitcnt lgkmcnt(0)
	s_add_u32 s4, s6, s2
	s_addc_u32 s5, s7, s3
	s_load_dwordx2 s[4:5], s[4:5], 0x0
	s_add_u32 s2, s22, s2
	s_addc_u32 s3, s23, s3
	s_load_dwordx2 s[2:3], s[2:3], 0x0
	s_lshl_b64 s[6:7], s[20:21], 3
	s_waitcnt lgkmcnt(0)
	s_add_u32 s6, s4, s6
	s_addc_u32 s7, s5, s7
	s_lshl_b64 s[4:5], s[16:17], 3
	v_cndmask_b32_e64 v6, v10, v12, s[0:1]
	v_cndmask_b32_e64 v7, v12, v10, s[0:1]
	v_mov_b32_e32 v4, s7
	v_add_co_u32_e64 v15, s[0:1], s6, v2
	v_ashrrev_i32_e32 v13, 31, v12
	s_add_u32 s2, s2, s4
	v_addc_co_u32_e64 v16, s[0:1], v4, v3, s[0:1]
	v_lshlrev_b64 v[4:5], 3, v[12:13]
	s_addc_u32 s3, s3, s5
	v_mov_b32_e32 v9, s3
	v_add_co_u32_e64 v19, s[2:3], s2, v4
	v_addc_co_u32_e64 v20, s[2:3], v9, v5, s[2:3]
	v_mad_i64_i32 v[4:5], s[2:3], s11, v12, 0
	v_cmp_gt_i32_e64 s[0:1], s13, v12
	v_cmp_le_i32_e64 s[2:3], v7, v6
	v_lshlrev_b64 v[4:5], 3, v[4:5]
	s_and_b64 s[4:5], s[0:1], vcc
	s_and_b64 s[4:5], s[4:5], s[2:3]
	v_mov_b32_e32 v6, s12
	v_add_co_u32_e64 v4, s[2:3], s8, v4
	v_lshlrev_b32_e32 v8, 3, v1
	v_addc_co_u32_e64 v5, s[2:3], v6, v5, s[2:3]
	v_lshlrev_b32_e32 v17, 8, v0
	v_or_b32_e32 v21, 0x2000, v8
	v_add_co_u32_e64 v13, s[2:3], v4, v2
	v_add_u32_e32 v18, v17, v8
	v_addc_co_u32_e64 v14, s[2:3], v5, v3, s[2:3]
	v_add_u32_e32 v22, 0x800, v21
	v_add_u32_e32 v23, 0x1000, v21
	;; [unrolled: 1-line block ×3, first 2 shown]
	s_branch .LBB770_5
.LBB770_4:                              ;   in Loop: Header=BB770_5 Depth=1
	s_or_b64 exec, exec, s[2:3]
	s_add_i32 s9, s9, 32
	s_cmp_ge_i32 s9, s14
	s_waitcnt vmcnt(0) lgkmcnt(0)
	s_barrier
	s_cbranch_scc1 .LBB770_11
.LBB770_5:                              ; =>This Inner Loop Header: Depth=1
	v_add_u32_e32 v5, s9, v1
	v_cmp_gt_i32_e64 s[2:3], s14, v5
	s_and_b64 s[2:3], vcc, s[2:3]
	v_mov_b32_e32 v2, 0
	v_mov_b32_e32 v3, 0
	;; [unrolled: 1-line block ×3, first 2 shown]
	s_and_saveexec_b64 s[6:7], s[2:3]
	s_cbranch_execz .LBB770_7
; %bb.6:                                ;   in Loop: Header=BB770_5 Depth=1
	v_mad_i64_i32 v[3:4], s[2:3], v5, s18, 0
	v_lshlrev_b64 v[3:4], 3, v[3:4]
	v_add_co_u32_e64 v3, s[2:3], v15, v3
	v_addc_co_u32_e64 v4, s[2:3], v16, v4, s[2:3]
	flat_load_dwordx2 v[3:4], v[3:4]
.LBB770_7:                              ;   in Loop: Header=BB770_5 Depth=1
	s_or_b64 exec, exec, s[6:7]
	s_waitcnt vmcnt(0) lgkmcnt(0)
	ds_write_b64 v18, v[3:4]
	v_add_u32_e32 v4, s9, v0
	v_cmp_gt_i32_e64 s[2:3], s14, v4
	s_and_b64 s[2:3], s[0:1], s[2:3]
	v_mov_b32_e32 v3, 0
	s_and_saveexec_b64 s[6:7], s[2:3]
	s_cbranch_execz .LBB770_9
; %bb.8:                                ;   in Loop: Header=BB770_5 Depth=1
	v_mad_i64_i32 v[2:3], s[2:3], v4, s19, 0
	v_lshlrev_b64 v[2:3], 3, v[2:3]
	v_add_co_u32_e64 v2, s[2:3], v19, v2
	v_addc_co_u32_e64 v3, s[2:3], v20, v3, s[2:3]
	flat_load_dwordx2 v[2:3], v[2:3]
	s_waitcnt vmcnt(0) lgkmcnt(0)
	v_xor_b32_e32 v3, 0x80000000, v3
.LBB770_9:                              ;   in Loop: Header=BB770_5 Depth=1
	s_or_b64 exec, exec, s[6:7]
	v_add_u32_e32 v4, v21, v17
	ds_write_b64 v4, v[2:3]
	s_waitcnt lgkmcnt(0)
	s_barrier
	s_and_saveexec_b64 s[2:3], s[4:5]
	s_cbranch_execz .LBB770_4
; %bb.10:                               ;   in Loop: Header=BB770_5 Depth=1
	ds_read2_b64 v[2:5], v21 offset1:32
	ds_read_b128 v[6:9], v17
	ds_read_b128 v[25:28], v17 offset:16
	s_waitcnt lgkmcnt(1)
	v_mul_f32_e32 v29, v3, v7
	v_fma_f32 v34, v2, v6, -v29
	ds_read2_b64 v[29:32], v21 offset0:64 offset1:96
	v_mul_f32_e32 v33, v2, v7
	v_mul_f32_e32 v2, v5, v9
	v_fma_f32 v35, v4, v8, -v2
	v_fmac_f32_e32 v33, v3, v6
	s_waitcnt lgkmcnt(0)
	v_mul_f32_e32 v2, v30, v26
	v_mul_f32_e32 v36, v4, v9
	v_fma_f32 v37, v29, v25, -v2
	v_mul_f32_e32 v29, v29, v26
	v_mul_f32_e32 v2, v32, v28
	v_fmac_f32_e32 v36, v5, v8
	v_fmac_f32_e32 v29, v30, v25
	v_fma_f32 v30, v31, v27, -v2
	v_mul_f32_e32 v31, v31, v28
	v_add_f32_e32 v25, 0, v34
	v_add_f32_e32 v26, 0, v33
	v_fmac_f32_e32 v31, v32, v27
	ds_read_b128 v[2:5], v17 offset:32
	ds_read_b128 v[6:9], v17 offset:48
	v_add_f32_e32 v32, v25, v35
	v_add_f32_e32 v33, v26, v36
	ds_read2_b64 v[25:28], v21 offset0:128 offset1:160
	v_add_f32_e32 v29, v33, v29
	v_add_f32_e32 v29, v29, v31
	;; [unrolled: 1-line block ×4, first 2 shown]
	s_waitcnt lgkmcnt(0)
	v_mul_f32_e32 v31, v26, v3
	v_fma_f32 v31, v25, v2, -v31
	v_mul_f32_e32 v25, v25, v3
	v_fmac_f32_e32 v25, v26, v2
	v_mul_f32_e32 v2, v28, v5
	v_fma_f32 v26, v27, v4, -v2
	v_mul_f32_e32 v27, v27, v5
	v_fmac_f32_e32 v27, v28, v4
	ds_read2_b64 v[2:5], v21 offset0:192 offset1:224
	v_add_f32_e32 v25, v29, v25
	v_add_f32_e32 v28, v30, v31
	;; [unrolled: 1-line block ×4, first 2 shown]
	s_waitcnt lgkmcnt(0)
	v_mul_f32_e32 v25, v3, v7
	v_fma_f32 v25, v2, v6, -v25
	v_mul_f32_e32 v7, v2, v7
	v_mul_f32_e32 v2, v5, v9
	;; [unrolled: 1-line block ×3, first 2 shown]
	v_fmac_f32_e32 v7, v3, v6
	v_add_f32_e32 v6, v26, v25
	v_fma_f32 v30, v4, v8, -v2
	ds_read_b128 v[25:28], v17 offset:64
	v_fmac_f32_e32 v9, v5, v8
	ds_read2_b64 v[2:5], v22 offset1:32
	v_add_f32_e32 v7, v29, v7
	v_add_f32_e32 v29, v6, v30
	;; [unrolled: 1-line block ×3, first 2 shown]
	ds_read_b128 v[6:9], v17 offset:80
	s_waitcnt lgkmcnt(1)
	v_mul_f32_e32 v31, v3, v26
	v_fma_f32 v31, v2, v25, -v31
	v_mul_f32_e32 v26, v2, v26
	v_mul_f32_e32 v2, v5, v28
	;; [unrolled: 1-line block ×3, first 2 shown]
	v_fmac_f32_e32 v26, v3, v25
	v_fma_f32 v25, v4, v27, -v2
	v_fmac_f32_e32 v28, v5, v27
	ds_read2_b64 v[2:5], v22 offset0:64 offset1:96
	v_add_f32_e32 v26, v30, v26
	v_add_f32_e32 v27, v29, v31
	;; [unrolled: 1-line block ×4, first 2 shown]
	s_waitcnt lgkmcnt(0)
	v_mul_f32_e32 v26, v3, v7
	v_fma_f32 v26, v2, v6, -v26
	v_mul_f32_e32 v7, v2, v7
	v_mul_f32_e32 v2, v5, v9
	;; [unrolled: 1-line block ×3, first 2 shown]
	v_fmac_f32_e32 v7, v3, v6
	v_add_f32_e32 v6, v25, v26
	v_fma_f32 v30, v4, v8, -v2
	ds_read_b128 v[25:28], v17 offset:96
	v_fmac_f32_e32 v9, v5, v8
	ds_read2_b64 v[2:5], v22 offset0:128 offset1:160
	v_add_f32_e32 v7, v29, v7
	v_add_f32_e32 v29, v6, v30
	v_add_f32_e32 v30, v7, v9
	ds_read_b128 v[6:9], v17 offset:112
	s_waitcnt lgkmcnt(1)
	v_mul_f32_e32 v31, v3, v26
	v_fma_f32 v31, v2, v25, -v31
	v_mul_f32_e32 v26, v2, v26
	v_mul_f32_e32 v2, v5, v28
	;; [unrolled: 1-line block ×3, first 2 shown]
	v_fmac_f32_e32 v26, v3, v25
	v_fma_f32 v25, v4, v27, -v2
	v_fmac_f32_e32 v28, v5, v27
	ds_read2_b64 v[2:5], v22 offset0:192 offset1:224
	v_add_f32_e32 v26, v30, v26
	v_add_f32_e32 v27, v29, v31
	;; [unrolled: 1-line block ×4, first 2 shown]
	s_waitcnt lgkmcnt(0)
	v_mul_f32_e32 v26, v3, v7
	v_fma_f32 v26, v2, v6, -v26
	v_mul_f32_e32 v7, v2, v7
	v_mul_f32_e32 v2, v5, v9
	v_mul_f32_e32 v9, v4, v9
	v_fmac_f32_e32 v7, v3, v6
	v_add_f32_e32 v6, v25, v26
	v_fma_f32 v30, v4, v8, -v2
	ds_read_b128 v[25:28], v17 offset:128
	v_fmac_f32_e32 v9, v5, v8
	ds_read2_b64 v[2:5], v23 offset1:32
	v_add_f32_e32 v7, v29, v7
	v_add_f32_e32 v29, v6, v30
	v_add_f32_e32 v30, v7, v9
	ds_read_b128 v[6:9], v17 offset:144
	s_waitcnt lgkmcnt(1)
	v_mul_f32_e32 v31, v3, v26
	v_fma_f32 v31, v2, v25, -v31
	v_mul_f32_e32 v2, v2, v26
	v_fmac_f32_e32 v2, v3, v25
	v_mul_f32_e32 v3, v5, v28
	v_fma_f32 v3, v4, v27, -v3
	v_mul_f32_e32 v4, v4, v28
	v_fmac_f32_e32 v4, v5, v27
	ds_read2_b64 v[25:28], v23 offset0:64 offset1:96
	v_add_f32_e32 v2, v30, v2
	v_add_f32_e32 v30, v2, v4
	;; [unrolled: 1-line block ×4, first 2 shown]
	s_waitcnt lgkmcnt(0)
	v_mul_f32_e32 v2, v26, v7
	v_fma_f32 v31, v25, v6, -v2
	v_mul_f32_e32 v25, v25, v7
	v_mul_f32_e32 v2, v28, v9
	v_fmac_f32_e32 v25, v26, v6
	v_fma_f32 v26, v27, v8, -v2
	v_mul_f32_e32 v27, v27, v9
	ds_read_b128 v[2:5], v17 offset:160
	v_fmac_f32_e32 v27, v28, v8
	ds_read2_b64 v[6:9], v23 offset0:128 offset1:160
	v_add_f32_e32 v28, v29, v31
	v_add_f32_e32 v29, v30, v25
	;; [unrolled: 1-line block ×4, first 2 shown]
	ds_read_b128 v[27:30], v17 offset:176
	s_waitcnt lgkmcnt(1)
	v_mul_f32_e32 v31, v7, v3
	v_fma_f32 v33, v6, v2, -v31
	flat_load_dwordx2 v[31:32], v[13:14]
	v_mul_f32_e32 v6, v6, v3
	v_fmac_f32_e32 v6, v7, v2
	v_mul_f32_e32 v2, v9, v5
	v_fma_f32 v7, v8, v4, -v2
	v_mul_f32_e32 v8, v8, v5
	v_fmac_f32_e32 v8, v9, v4
	ds_read2_b64 v[2:5], v23 offset0:192 offset1:224
	v_add_f32_e32 v6, v26, v6
	v_add_f32_e32 v26, v6, v8
	;; [unrolled: 1-line block ×4, first 2 shown]
	s_waitcnt lgkmcnt(0)
	v_mul_f32_e32 v6, v3, v28
	v_fma_f32 v33, v2, v27, -v6
	v_mul_f32_e32 v28, v2, v28
	v_mul_f32_e32 v2, v5, v30
	;; [unrolled: 1-line block ×3, first 2 shown]
	v_fmac_f32_e32 v28, v3, v27
	v_fma_f32 v27, v4, v29, -v2
	v_fmac_f32_e32 v30, v5, v29
	ds_read_b128 v[2:5], v17 offset:192
	ds_read2_b64 v[6:9], v24 offset1:32
	v_add_f32_e32 v25, v25, v33
	v_add_f32_e32 v26, v26, v28
	;; [unrolled: 1-line block ×4, first 2 shown]
	s_waitcnt lgkmcnt(0)
	v_mul_f32_e32 v33, v7, v3
	v_fma_f32 v33, v6, v2, -v33
	v_mul_f32_e32 v6, v6, v3
	v_fmac_f32_e32 v6, v7, v2
	v_mul_f32_e32 v2, v9, v5
	v_fma_f32 v7, v8, v4, -v2
	v_mul_f32_e32 v8, v8, v5
	ds_read_b128 v[25:28], v17 offset:208
	v_fmac_f32_e32 v8, v9, v4
	ds_read2_b64 v[2:5], v24 offset0:64 offset1:96
	v_add_f32_e32 v6, v30, v6
	v_add_f32_e32 v30, v6, v8
	;; [unrolled: 1-line block ×4, first 2 shown]
	s_waitcnt lgkmcnt(0)
	v_mul_f32_e32 v6, v3, v26
	v_fma_f32 v33, v2, v25, -v6
	v_mul_f32_e32 v26, v2, v26
	v_mul_f32_e32 v2, v5, v28
	v_mul_f32_e32 v28, v4, v28
	v_fmac_f32_e32 v26, v3, v25
	v_fma_f32 v25, v4, v27, -v2
	v_fmac_f32_e32 v28, v5, v27
	ds_read_b128 v[2:5], v17 offset:224
	ds_read2_b64 v[6:9], v24 offset0:128 offset1:160
	v_add_f32_e32 v27, v29, v33
	v_add_f32_e32 v26, v30, v26
	;; [unrolled: 1-line block ×4, first 2 shown]
	s_waitcnt lgkmcnt(0)
	v_mul_f32_e32 v33, v7, v3
	v_fma_f32 v33, v6, v2, -v33
	v_mul_f32_e32 v6, v6, v3
	v_fmac_f32_e32 v6, v7, v2
	v_mul_f32_e32 v2, v9, v5
	v_fma_f32 v7, v8, v4, -v2
	v_mul_f32_e32 v8, v8, v5
	ds_read_b128 v[25:28], v17 offset:240
	v_fmac_f32_e32 v8, v9, v4
	ds_read2_b64 v[2:5], v24 offset0:192 offset1:224
	v_add_f32_e32 v6, v30, v6
	v_add_f32_e32 v6, v6, v8
	;; [unrolled: 1-line block ×4, first 2 shown]
	s_waitcnt lgkmcnt(0)
	v_mul_f32_e32 v8, v3, v26
	v_fma_f32 v8, v2, v25, -v8
	v_mul_f32_e32 v2, v2, v26
	v_fmac_f32_e32 v2, v3, v25
	v_add_f32_e32 v2, v6, v2
	v_mul_f32_e32 v6, v5, v28
	v_fma_f32 v6, v4, v27, -v6
	v_mul_f32_e32 v4, v4, v28
	v_fmac_f32_e32 v4, v5, v27
	v_add_f32_e32 v3, v7, v8
	v_add_f32_e32 v2, v2, v4
	;; [unrolled: 1-line block ×3, first 2 shown]
	v_mul_f32_e32 v4, s10, v2
	v_mul_f32_e32 v5, s15, v2
	v_fma_f32 v4, s15, v3, -v4
	v_fmac_f32_e32 v5, s10, v3
	s_waitcnt vmcnt(0)
	v_add_f32_e32 v2, v31, v4
	v_add_f32_e32 v3, v32, v5
	flat_store_dwordx2 v[13:14], v[2:3]
	s_branch .LBB770_4
.LBB770_11:
	v_cmp_eq_u32_e32 vcc, v10, v12
	v_cmp_gt_i32_e64 s[0:1], s13, v10
	s_and_b64 s[0:1], vcc, s[0:1]
	s_and_saveexec_b64 s[2:3], s[0:1]
	s_cbranch_execz .LBB770_13
; %bb.12:
	v_mad_i64_i32 v[0:1], s[0:1], s11, v10, 0
	v_mov_b32_e32 v2, s12
	v_lshlrev_b64 v[0:1], 3, v[0:1]
	v_add_co_u32_e32 v3, vcc, s8, v0
	v_addc_co_u32_e32 v2, vcc, v2, v1, vcc
	v_lshlrev_b64 v[0:1], 3, v[10:11]
	v_add_co_u32_e32 v0, vcc, v3, v0
	v_addc_co_u32_e32 v1, vcc, v2, v1, vcc
	v_mov_b32_e32 v2, 0
	flat_store_dword v[0:1], v2 offset:4
.LBB770_13:
	s_endpgm
	.section	.rodata,"a",@progbits
	.p2align	6, 0x0
	.amdhsa_kernel _ZL26rocblas_syr2k_her2k_kernelIiLb0ELb1ELb0ELi32E19rocblas_complex_numIfEPKPKS1_PKPS1_EvbiT_T4_T5_S9_lSB_S9_lT6_S9_li
		.amdhsa_group_segment_fixed_size 16384
		.amdhsa_private_segment_fixed_size 0
		.amdhsa_kernarg_size 100
		.amdhsa_user_sgpr_count 6
		.amdhsa_user_sgpr_private_segment_buffer 1
		.amdhsa_user_sgpr_dispatch_ptr 0
		.amdhsa_user_sgpr_queue_ptr 0
		.amdhsa_user_sgpr_kernarg_segment_ptr 1
		.amdhsa_user_sgpr_dispatch_id 0
		.amdhsa_user_sgpr_flat_scratch_init 0
		.amdhsa_user_sgpr_private_segment_size 0
		.amdhsa_uses_dynamic_stack 0
		.amdhsa_system_sgpr_private_segment_wavefront_offset 0
		.amdhsa_system_sgpr_workgroup_id_x 1
		.amdhsa_system_sgpr_workgroup_id_y 1
		.amdhsa_system_sgpr_workgroup_id_z 1
		.amdhsa_system_sgpr_workgroup_info 0
		.amdhsa_system_vgpr_workitem_id 1
		.amdhsa_next_free_vgpr 38
		.amdhsa_next_free_sgpr 61
		.amdhsa_reserve_vcc 1
		.amdhsa_reserve_flat_scratch 0
		.amdhsa_float_round_mode_32 0
		.amdhsa_float_round_mode_16_64 0
		.amdhsa_float_denorm_mode_32 3
		.amdhsa_float_denorm_mode_16_64 3
		.amdhsa_dx10_clamp 1
		.amdhsa_ieee_mode 1
		.amdhsa_fp16_overflow 0
		.amdhsa_exception_fp_ieee_invalid_op 0
		.amdhsa_exception_fp_denorm_src 0
		.amdhsa_exception_fp_ieee_div_zero 0
		.amdhsa_exception_fp_ieee_overflow 0
		.amdhsa_exception_fp_ieee_underflow 0
		.amdhsa_exception_fp_ieee_inexact 0
		.amdhsa_exception_int_div_zero 0
	.end_amdhsa_kernel
	.section	.text._ZL26rocblas_syr2k_her2k_kernelIiLb0ELb1ELb0ELi32E19rocblas_complex_numIfEPKPKS1_PKPS1_EvbiT_T4_T5_S9_lSB_S9_lT6_S9_li,"axG",@progbits,_ZL26rocblas_syr2k_her2k_kernelIiLb0ELb1ELb0ELi32E19rocblas_complex_numIfEPKPKS1_PKPS1_EvbiT_T4_T5_S9_lSB_S9_lT6_S9_li,comdat
.Lfunc_end770:
	.size	_ZL26rocblas_syr2k_her2k_kernelIiLb0ELb1ELb0ELi32E19rocblas_complex_numIfEPKPKS1_PKPS1_EvbiT_T4_T5_S9_lSB_S9_lT6_S9_li, .Lfunc_end770-_ZL26rocblas_syr2k_her2k_kernelIiLb0ELb1ELb0ELi32E19rocblas_complex_numIfEPKPKS1_PKPS1_EvbiT_T4_T5_S9_lSB_S9_lT6_S9_li
                                        ; -- End function
	.set _ZL26rocblas_syr2k_her2k_kernelIiLb0ELb1ELb0ELi32E19rocblas_complex_numIfEPKPKS1_PKPS1_EvbiT_T4_T5_S9_lSB_S9_lT6_S9_li.num_vgpr, 38
	.set _ZL26rocblas_syr2k_her2k_kernelIiLb0ELb1ELb0ELi32E19rocblas_complex_numIfEPKPKS1_PKPS1_EvbiT_T4_T5_S9_lSB_S9_lT6_S9_li.num_agpr, 0
	.set _ZL26rocblas_syr2k_her2k_kernelIiLb0ELb1ELb0ELi32E19rocblas_complex_numIfEPKPKS1_PKPS1_EvbiT_T4_T5_S9_lSB_S9_lT6_S9_li.numbered_sgpr, 24
	.set _ZL26rocblas_syr2k_her2k_kernelIiLb0ELb1ELb0ELi32E19rocblas_complex_numIfEPKPKS1_PKPS1_EvbiT_T4_T5_S9_lSB_S9_lT6_S9_li.num_named_barrier, 0
	.set _ZL26rocblas_syr2k_her2k_kernelIiLb0ELb1ELb0ELi32E19rocblas_complex_numIfEPKPKS1_PKPS1_EvbiT_T4_T5_S9_lSB_S9_lT6_S9_li.private_seg_size, 0
	.set _ZL26rocblas_syr2k_her2k_kernelIiLb0ELb1ELb0ELi32E19rocblas_complex_numIfEPKPKS1_PKPS1_EvbiT_T4_T5_S9_lSB_S9_lT6_S9_li.uses_vcc, 1
	.set _ZL26rocblas_syr2k_her2k_kernelIiLb0ELb1ELb0ELi32E19rocblas_complex_numIfEPKPKS1_PKPS1_EvbiT_T4_T5_S9_lSB_S9_lT6_S9_li.uses_flat_scratch, 0
	.set _ZL26rocblas_syr2k_her2k_kernelIiLb0ELb1ELb0ELi32E19rocblas_complex_numIfEPKPKS1_PKPS1_EvbiT_T4_T5_S9_lSB_S9_lT6_S9_li.has_dyn_sized_stack, 0
	.set _ZL26rocblas_syr2k_her2k_kernelIiLb0ELb1ELb0ELi32E19rocblas_complex_numIfEPKPKS1_PKPS1_EvbiT_T4_T5_S9_lSB_S9_lT6_S9_li.has_recursion, 0
	.set _ZL26rocblas_syr2k_her2k_kernelIiLb0ELb1ELb0ELi32E19rocblas_complex_numIfEPKPKS1_PKPS1_EvbiT_T4_T5_S9_lSB_S9_lT6_S9_li.has_indirect_call, 0
	.section	.AMDGPU.csdata,"",@progbits
; Kernel info:
; codeLenInByte = 2056
; TotalNumSgprs: 28
; NumVgprs: 38
; ScratchSize: 0
; MemoryBound: 0
; FloatMode: 240
; IeeeMode: 1
; LDSByteSize: 16384 bytes/workgroup (compile time only)
; SGPRBlocks: 8
; VGPRBlocks: 9
; NumSGPRsForWavesPerEU: 65
; NumVGPRsForWavesPerEU: 38
; Occupancy: 6
; WaveLimiterHint : 1
; COMPUTE_PGM_RSRC2:SCRATCH_EN: 0
; COMPUTE_PGM_RSRC2:USER_SGPR: 6
; COMPUTE_PGM_RSRC2:TRAP_HANDLER: 0
; COMPUTE_PGM_RSRC2:TGID_X_EN: 1
; COMPUTE_PGM_RSRC2:TGID_Y_EN: 1
; COMPUTE_PGM_RSRC2:TGID_Z_EN: 1
; COMPUTE_PGM_RSRC2:TIDIG_COMP_CNT: 1
	.section	.text._ZL26rocblas_syr2k_her2k_kernelIiLb0ELb1ELb1ELi32E19rocblas_complex_numIfEPKPKS1_PKPS1_EvbiT_T4_T5_S9_lSB_S9_lT6_S9_li,"axG",@progbits,_ZL26rocblas_syr2k_her2k_kernelIiLb0ELb1ELb1ELi32E19rocblas_complex_numIfEPKPKS1_PKPS1_EvbiT_T4_T5_S9_lSB_S9_lT6_S9_li,comdat
	.globl	_ZL26rocblas_syr2k_her2k_kernelIiLb0ELb1ELb1ELi32E19rocblas_complex_numIfEPKPKS1_PKPS1_EvbiT_T4_T5_S9_lSB_S9_lT6_S9_li ; -- Begin function _ZL26rocblas_syr2k_her2k_kernelIiLb0ELb1ELb1ELi32E19rocblas_complex_numIfEPKPKS1_PKPS1_EvbiT_T4_T5_S9_lSB_S9_lT6_S9_li
	.p2align	8
	.type	_ZL26rocblas_syr2k_her2k_kernelIiLb0ELb1ELb1ELi32E19rocblas_complex_numIfEPKPKS1_PKPS1_EvbiT_T4_T5_S9_lSB_S9_lT6_S9_li,@function
_ZL26rocblas_syr2k_her2k_kernelIiLb0ELb1ELb1ELi32E19rocblas_complex_numIfEPKPKS1_PKPS1_EvbiT_T4_T5_S9_lSB_S9_lT6_S9_li: ; @_ZL26rocblas_syr2k_her2k_kernelIiLb0ELb1ELb1ELi32E19rocblas_complex_numIfEPKPKS1_PKPS1_EvbiT_T4_T5_S9_lSB_S9_lT6_S9_li
; %bb.0:
	s_load_dwordx4 s[12:15], s[4:5], 0x0
	s_load_dword s10, s[4:5], 0x10
	s_waitcnt lgkmcnt(0)
	v_cmp_eq_f32_e64 s[0:1], s15, 0
	v_cmp_eq_f32_e64 s[2:3], s10, 0
	s_and_b64 s[0:1], s[0:1], s[2:3]
	s_and_b64 vcc, exec, s[0:1]
	s_cbranch_vccnz .LBB771_13
; %bb.1:
	s_and_b32 s0, 1, s12
	s_lshl_b32 s7, s7, 5
	s_lshl_b32 s6, s6, 5
	s_cmp_eq_u32 s0, 1
	s_cselect_b64 s[0:1], -1, 0
	s_and_b64 s[2:3], s[0:1], exec
	s_cselect_b32 s2, s6, s7
	s_cselect_b32 s3, s7, s6
	s_cmp_gt_i32 s2, s3
	s_cbranch_scc1 .LBB771_13
; %bb.2:
	s_load_dwordx4 s[16:19], s[4:5], 0x40
	s_load_dword s11, s[4:5], 0x50
	s_load_dwordx2 s[20:21], s[4:5], 0x58
	s_mov_b32 s9, 0
	s_lshl_b64 s[2:3], s[8:9], 3
	s_waitcnt lgkmcnt(0)
	s_add_u32 s18, s18, s2
	s_addc_u32 s19, s19, s3
	s_load_dwordx2 s[18:19], s[18:19], 0x0
	v_add_u32_e32 v10, s6, v0
	v_add_u32_e32 v14, s7, v1
	s_lshl_b64 s[6:7], s[20:21], 3
	v_cmp_gt_i32_e32 vcc, s13, v10
	s_waitcnt lgkmcnt(0)
	s_add_u32 s8, s18, s6
	s_addc_u32 s12, s19, s7
	s_cmp_lt_i32 s14, 1
	v_ashrrev_i32_e32 v11, 31, v10
	s_cbranch_scc1 .LBB771_11
; %bb.3:
	s_load_dwordx2 s[6:7], s[4:5], 0x18
	s_load_dword s18, s[4:5], 0x20
	s_load_dwordx4 s[20:23], s[4:5], 0x28
	s_load_dword s19, s[4:5], 0x38
	v_cndmask_b32_e64 v4, v10, v14, s[0:1]
	s_waitcnt lgkmcnt(0)
	s_add_u32 s4, s6, s2
	s_addc_u32 s5, s7, s3
	s_load_dwordx2 s[4:5], s[4:5], 0x0
	s_add_u32 s2, s22, s2
	s_addc_u32 s3, s23, s3
	s_lshl_b64 s[6:7], s[20:21], 3
	s_load_dwordx2 s[2:3], s[2:3], 0x0
	s_waitcnt lgkmcnt(0)
	s_add_u32 s20, s4, s6
	s_addc_u32 s21, s5, s7
	v_mad_i64_i32 v[2:3], s[6:7], s18, v10, 0
	v_cndmask_b32_e64 v5, v14, v10, s[0:1]
	v_mov_b32_e32 v6, s21
	v_lshlrev_b64 v[2:3], 3, v[2:3]
	s_lshl_b64 s[4:5], s[16:17], 3
	v_add_co_u32_e64 v15, s[0:1], s20, v2
	v_addc_co_u32_e64 v16, s[0:1], v6, v3, s[0:1]
	v_mad_i64_i32 v[2:3], s[0:1], s19, v14, 0
	s_add_u32 s2, s2, s4
	s_addc_u32 s3, s3, s5
	v_lshlrev_b64 v[2:3], 3, v[2:3]
	v_mov_b32_e32 v7, s3
	v_add_co_u32_e64 v19, s[2:3], s2, v2
	v_addc_co_u32_e64 v20, s[2:3], v7, v3, s[2:3]
	v_mad_i64_i32 v[2:3], s[2:3], s11, v14, 0
	v_cmp_gt_i32_e64 s[0:1], s13, v14
	v_cmp_le_i32_e64 s[2:3], v5, v4
	v_lshlrev_b64 v[2:3], 3, v[2:3]
	s_and_b64 s[4:5], s[0:1], vcc
	s_and_b64 s[4:5], s[4:5], s[2:3]
	v_mov_b32_e32 v4, s12
	v_add_co_u32_e64 v5, s[2:3], s8, v2
	v_addc_co_u32_e64 v4, s[2:3], v4, v3, s[2:3]
	v_lshlrev_b64 v[2:3], 3, v[10:11]
	v_lshlrev_b32_e32 v6, 3, v1
	v_lshlrev_b32_e32 v17, 8, v0
	v_or_b32_e32 v21, 0x2000, v6
	v_add_co_u32_e64 v12, s[2:3], v5, v2
	v_add_u32_e32 v18, v17, v6
	v_addc_co_u32_e64 v13, s[2:3], v4, v3, s[2:3]
	v_add_u32_e32 v22, 0x800, v21
	v_add_u32_e32 v23, 0x1000, v21
	;; [unrolled: 1-line block ×3, first 2 shown]
	s_branch .LBB771_5
.LBB771_4:                              ;   in Loop: Header=BB771_5 Depth=1
	s_or_b64 exec, exec, s[2:3]
	s_add_i32 s9, s9, 32
	s_cmp_ge_i32 s9, s14
	s_waitcnt vmcnt(0) lgkmcnt(0)
	s_barrier
	s_cbranch_scc1 .LBB771_11
.LBB771_5:                              ; =>This Inner Loop Header: Depth=1
	v_add_u32_e32 v5, s9, v1
	v_cmp_gt_i32_e64 s[2:3], s14, v5
	s_and_b64 s[2:3], vcc, s[2:3]
	v_mov_b32_e32 v4, 0
	v_mov_b32_e32 v2, 0
	;; [unrolled: 1-line block ×3, first 2 shown]
	s_and_saveexec_b64 s[6:7], s[2:3]
	s_cbranch_execz .LBB771_7
; %bb.6:                                ;   in Loop: Header=BB771_5 Depth=1
	v_ashrrev_i32_e32 v6, 31, v5
	v_lshlrev_b64 v[3:4], 3, v[5:6]
	v_add_co_u32_e64 v3, s[2:3], v15, v3
	v_addc_co_u32_e64 v4, s[2:3], v16, v4, s[2:3]
	flat_load_dwordx2 v[3:4], v[3:4]
	s_waitcnt vmcnt(0) lgkmcnt(0)
	v_xor_b32_e32 v4, 0x80000000, v4
.LBB771_7:                              ;   in Loop: Header=BB771_5 Depth=1
	s_or_b64 exec, exec, s[6:7]
	ds_write_b64 v18, v[3:4]
	v_add_u32_e32 v4, s9, v0
	v_cmp_gt_i32_e64 s[2:3], s14, v4
	s_and_b64 s[2:3], s[0:1], s[2:3]
	v_mov_b32_e32 v3, 0
	s_and_saveexec_b64 s[6:7], s[2:3]
	s_cbranch_execz .LBB771_9
; %bb.8:                                ;   in Loop: Header=BB771_5 Depth=1
	v_ashrrev_i32_e32 v5, 31, v4
	v_lshlrev_b64 v[2:3], 3, v[4:5]
	v_add_co_u32_e64 v2, s[2:3], v19, v2
	v_addc_co_u32_e64 v3, s[2:3], v20, v3, s[2:3]
	flat_load_dwordx2 v[2:3], v[2:3]
.LBB771_9:                              ;   in Loop: Header=BB771_5 Depth=1
	s_or_b64 exec, exec, s[6:7]
	v_add_u32_e32 v4, v21, v17
	s_waitcnt vmcnt(0) lgkmcnt(0)
	ds_write_b64 v4, v[2:3]
	s_waitcnt lgkmcnt(0)
	s_barrier
	s_and_saveexec_b64 s[2:3], s[4:5]
	s_cbranch_execz .LBB771_4
; %bb.10:                               ;   in Loop: Header=BB771_5 Depth=1
	ds_read2_b64 v[2:5], v21 offset1:32
	ds_read_b128 v[6:9], v17
	ds_read_b128 v[25:28], v17 offset:16
	s_waitcnt lgkmcnt(1)
	v_mul_f32_e32 v29, v3, v7
	v_fma_f32 v34, v2, v6, -v29
	ds_read2_b64 v[29:32], v21 offset0:64 offset1:96
	v_mul_f32_e32 v33, v2, v7
	v_mul_f32_e32 v2, v5, v9
	v_fma_f32 v35, v4, v8, -v2
	v_fmac_f32_e32 v33, v3, v6
	s_waitcnt lgkmcnt(0)
	v_mul_f32_e32 v2, v30, v26
	v_mul_f32_e32 v36, v4, v9
	v_fma_f32 v37, v29, v25, -v2
	v_mul_f32_e32 v29, v29, v26
	v_mul_f32_e32 v2, v32, v28
	v_fmac_f32_e32 v36, v5, v8
	v_fmac_f32_e32 v29, v30, v25
	v_fma_f32 v30, v31, v27, -v2
	v_mul_f32_e32 v31, v31, v28
	v_add_f32_e32 v25, 0, v34
	v_add_f32_e32 v26, 0, v33
	v_fmac_f32_e32 v31, v32, v27
	ds_read_b128 v[2:5], v17 offset:32
	ds_read_b128 v[6:9], v17 offset:48
	v_add_f32_e32 v32, v25, v35
	v_add_f32_e32 v33, v26, v36
	ds_read2_b64 v[25:28], v21 offset0:128 offset1:160
	v_add_f32_e32 v29, v33, v29
	v_add_f32_e32 v29, v29, v31
	;; [unrolled: 1-line block ×4, first 2 shown]
	s_waitcnt lgkmcnt(0)
	v_mul_f32_e32 v31, v26, v3
	v_fma_f32 v31, v25, v2, -v31
	v_mul_f32_e32 v25, v25, v3
	v_fmac_f32_e32 v25, v26, v2
	v_mul_f32_e32 v2, v28, v5
	v_fma_f32 v26, v27, v4, -v2
	v_mul_f32_e32 v27, v27, v5
	v_fmac_f32_e32 v27, v28, v4
	ds_read2_b64 v[2:5], v21 offset0:192 offset1:224
	v_add_f32_e32 v25, v29, v25
	v_add_f32_e32 v28, v30, v31
	;; [unrolled: 1-line block ×4, first 2 shown]
	s_waitcnt lgkmcnt(0)
	v_mul_f32_e32 v25, v3, v7
	v_fma_f32 v25, v2, v6, -v25
	v_mul_f32_e32 v7, v2, v7
	v_mul_f32_e32 v2, v5, v9
	;; [unrolled: 1-line block ×3, first 2 shown]
	v_fmac_f32_e32 v7, v3, v6
	v_add_f32_e32 v6, v26, v25
	v_fma_f32 v30, v4, v8, -v2
	ds_read_b128 v[25:28], v17 offset:64
	v_fmac_f32_e32 v9, v5, v8
	ds_read2_b64 v[2:5], v22 offset1:32
	v_add_f32_e32 v7, v29, v7
	v_add_f32_e32 v29, v6, v30
	v_add_f32_e32 v30, v7, v9
	ds_read_b128 v[6:9], v17 offset:80
	s_waitcnt lgkmcnt(1)
	v_mul_f32_e32 v31, v3, v26
	v_fma_f32 v31, v2, v25, -v31
	v_mul_f32_e32 v26, v2, v26
	v_mul_f32_e32 v2, v5, v28
	;; [unrolled: 1-line block ×3, first 2 shown]
	v_fmac_f32_e32 v26, v3, v25
	v_fma_f32 v25, v4, v27, -v2
	v_fmac_f32_e32 v28, v5, v27
	ds_read2_b64 v[2:5], v22 offset0:64 offset1:96
	v_add_f32_e32 v26, v30, v26
	v_add_f32_e32 v27, v29, v31
	;; [unrolled: 1-line block ×4, first 2 shown]
	s_waitcnt lgkmcnt(0)
	v_mul_f32_e32 v26, v3, v7
	v_fma_f32 v26, v2, v6, -v26
	v_mul_f32_e32 v7, v2, v7
	v_mul_f32_e32 v2, v5, v9
	;; [unrolled: 1-line block ×3, first 2 shown]
	v_fmac_f32_e32 v7, v3, v6
	v_add_f32_e32 v6, v25, v26
	v_fma_f32 v30, v4, v8, -v2
	ds_read_b128 v[25:28], v17 offset:96
	v_fmac_f32_e32 v9, v5, v8
	ds_read2_b64 v[2:5], v22 offset0:128 offset1:160
	v_add_f32_e32 v7, v29, v7
	v_add_f32_e32 v29, v6, v30
	;; [unrolled: 1-line block ×3, first 2 shown]
	ds_read_b128 v[6:9], v17 offset:112
	s_waitcnt lgkmcnt(1)
	v_mul_f32_e32 v31, v3, v26
	v_fma_f32 v31, v2, v25, -v31
	v_mul_f32_e32 v26, v2, v26
	v_mul_f32_e32 v2, v5, v28
	;; [unrolled: 1-line block ×3, first 2 shown]
	v_fmac_f32_e32 v26, v3, v25
	v_fma_f32 v25, v4, v27, -v2
	v_fmac_f32_e32 v28, v5, v27
	ds_read2_b64 v[2:5], v22 offset0:192 offset1:224
	v_add_f32_e32 v26, v30, v26
	v_add_f32_e32 v27, v29, v31
	;; [unrolled: 1-line block ×4, first 2 shown]
	s_waitcnt lgkmcnt(0)
	v_mul_f32_e32 v26, v3, v7
	v_fma_f32 v26, v2, v6, -v26
	v_mul_f32_e32 v7, v2, v7
	v_mul_f32_e32 v2, v5, v9
	;; [unrolled: 1-line block ×3, first 2 shown]
	v_fmac_f32_e32 v7, v3, v6
	v_add_f32_e32 v6, v25, v26
	v_fma_f32 v30, v4, v8, -v2
	ds_read_b128 v[25:28], v17 offset:128
	v_fmac_f32_e32 v9, v5, v8
	ds_read2_b64 v[2:5], v23 offset1:32
	v_add_f32_e32 v7, v29, v7
	v_add_f32_e32 v29, v6, v30
	;; [unrolled: 1-line block ×3, first 2 shown]
	ds_read_b128 v[6:9], v17 offset:144
	s_waitcnt lgkmcnt(1)
	v_mul_f32_e32 v31, v3, v26
	v_fma_f32 v31, v2, v25, -v31
	v_mul_f32_e32 v2, v2, v26
	v_fmac_f32_e32 v2, v3, v25
	v_mul_f32_e32 v3, v5, v28
	v_fma_f32 v3, v4, v27, -v3
	v_mul_f32_e32 v4, v4, v28
	v_fmac_f32_e32 v4, v5, v27
	ds_read2_b64 v[25:28], v23 offset0:64 offset1:96
	v_add_f32_e32 v2, v30, v2
	v_add_f32_e32 v30, v2, v4
	;; [unrolled: 1-line block ×4, first 2 shown]
	s_waitcnt lgkmcnt(0)
	v_mul_f32_e32 v2, v26, v7
	v_fma_f32 v31, v25, v6, -v2
	v_mul_f32_e32 v25, v25, v7
	v_mul_f32_e32 v2, v28, v9
	v_fmac_f32_e32 v25, v26, v6
	v_fma_f32 v26, v27, v8, -v2
	v_mul_f32_e32 v27, v27, v9
	ds_read_b128 v[2:5], v17 offset:160
	v_fmac_f32_e32 v27, v28, v8
	ds_read2_b64 v[6:9], v23 offset0:128 offset1:160
	v_add_f32_e32 v28, v29, v31
	v_add_f32_e32 v29, v30, v25
	;; [unrolled: 1-line block ×4, first 2 shown]
	ds_read_b128 v[27:30], v17 offset:176
	s_waitcnt lgkmcnt(1)
	v_mul_f32_e32 v31, v7, v3
	v_fma_f32 v33, v6, v2, -v31
	flat_load_dwordx2 v[31:32], v[12:13]
	v_mul_f32_e32 v6, v6, v3
	v_fmac_f32_e32 v6, v7, v2
	v_mul_f32_e32 v2, v9, v5
	v_fma_f32 v7, v8, v4, -v2
	v_mul_f32_e32 v8, v8, v5
	v_fmac_f32_e32 v8, v9, v4
	ds_read2_b64 v[2:5], v23 offset0:192 offset1:224
	v_add_f32_e32 v6, v26, v6
	v_add_f32_e32 v26, v6, v8
	;; [unrolled: 1-line block ×4, first 2 shown]
	s_waitcnt lgkmcnt(0)
	v_mul_f32_e32 v6, v3, v28
	v_fma_f32 v33, v2, v27, -v6
	v_mul_f32_e32 v28, v2, v28
	v_mul_f32_e32 v2, v5, v30
	;; [unrolled: 1-line block ×3, first 2 shown]
	v_fmac_f32_e32 v28, v3, v27
	v_fma_f32 v27, v4, v29, -v2
	v_fmac_f32_e32 v30, v5, v29
	ds_read_b128 v[2:5], v17 offset:192
	ds_read2_b64 v[6:9], v24 offset1:32
	v_add_f32_e32 v25, v25, v33
	v_add_f32_e32 v26, v26, v28
	v_add_f32_e32 v29, v25, v27
	v_add_f32_e32 v30, v26, v30
	s_waitcnt lgkmcnt(0)
	v_mul_f32_e32 v33, v7, v3
	v_fma_f32 v33, v6, v2, -v33
	v_mul_f32_e32 v6, v6, v3
	v_fmac_f32_e32 v6, v7, v2
	v_mul_f32_e32 v2, v9, v5
	v_fma_f32 v7, v8, v4, -v2
	v_mul_f32_e32 v8, v8, v5
	ds_read_b128 v[25:28], v17 offset:208
	v_fmac_f32_e32 v8, v9, v4
	ds_read2_b64 v[2:5], v24 offset0:64 offset1:96
	v_add_f32_e32 v6, v30, v6
	v_add_f32_e32 v30, v6, v8
	;; [unrolled: 1-line block ×4, first 2 shown]
	s_waitcnt lgkmcnt(0)
	v_mul_f32_e32 v6, v3, v26
	v_fma_f32 v33, v2, v25, -v6
	v_mul_f32_e32 v26, v2, v26
	v_mul_f32_e32 v2, v5, v28
	v_mul_f32_e32 v28, v4, v28
	v_fmac_f32_e32 v26, v3, v25
	v_fma_f32 v25, v4, v27, -v2
	v_fmac_f32_e32 v28, v5, v27
	ds_read_b128 v[2:5], v17 offset:224
	ds_read2_b64 v[6:9], v24 offset0:128 offset1:160
	v_add_f32_e32 v27, v29, v33
	v_add_f32_e32 v26, v30, v26
	;; [unrolled: 1-line block ×4, first 2 shown]
	s_waitcnt lgkmcnt(0)
	v_mul_f32_e32 v33, v7, v3
	v_fma_f32 v33, v6, v2, -v33
	v_mul_f32_e32 v6, v6, v3
	v_fmac_f32_e32 v6, v7, v2
	v_mul_f32_e32 v2, v9, v5
	v_fma_f32 v7, v8, v4, -v2
	v_mul_f32_e32 v8, v8, v5
	ds_read_b128 v[25:28], v17 offset:240
	v_fmac_f32_e32 v8, v9, v4
	ds_read2_b64 v[2:5], v24 offset0:192 offset1:224
	v_add_f32_e32 v6, v30, v6
	v_add_f32_e32 v6, v6, v8
	;; [unrolled: 1-line block ×4, first 2 shown]
	s_waitcnt lgkmcnt(0)
	v_mul_f32_e32 v8, v3, v26
	v_fma_f32 v8, v2, v25, -v8
	v_mul_f32_e32 v2, v2, v26
	v_fmac_f32_e32 v2, v3, v25
	v_add_f32_e32 v2, v6, v2
	v_mul_f32_e32 v6, v5, v28
	v_fma_f32 v6, v4, v27, -v6
	v_mul_f32_e32 v4, v4, v28
	v_fmac_f32_e32 v4, v5, v27
	v_add_f32_e32 v3, v7, v8
	v_add_f32_e32 v2, v2, v4
	;; [unrolled: 1-line block ×3, first 2 shown]
	v_mul_f32_e32 v4, s10, v2
	v_mul_f32_e32 v5, s15, v2
	v_fma_f32 v4, s15, v3, -v4
	v_fmac_f32_e32 v5, s10, v3
	s_waitcnt vmcnt(0)
	v_add_f32_e32 v2, v31, v4
	v_add_f32_e32 v3, v32, v5
	flat_store_dwordx2 v[12:13], v[2:3]
	s_branch .LBB771_4
.LBB771_11:
	v_cmp_eq_u32_e32 vcc, v10, v14
	v_cmp_gt_i32_e64 s[0:1], s13, v10
	s_and_b64 s[0:1], vcc, s[0:1]
	s_and_saveexec_b64 s[2:3], s[0:1]
	s_cbranch_execz .LBB771_13
; %bb.12:
	v_mad_i64_i32 v[0:1], s[0:1], s11, v10, 0
	v_mov_b32_e32 v2, s12
	v_lshlrev_b64 v[0:1], 3, v[0:1]
	v_add_co_u32_e32 v3, vcc, s8, v0
	v_addc_co_u32_e32 v2, vcc, v2, v1, vcc
	v_lshlrev_b64 v[0:1], 3, v[10:11]
	v_add_co_u32_e32 v0, vcc, v3, v0
	v_addc_co_u32_e32 v1, vcc, v2, v1, vcc
	v_mov_b32_e32 v2, 0
	flat_store_dword v[0:1], v2 offset:4
.LBB771_13:
	s_endpgm
	.section	.rodata,"a",@progbits
	.p2align	6, 0x0
	.amdhsa_kernel _ZL26rocblas_syr2k_her2k_kernelIiLb0ELb1ELb1ELi32E19rocblas_complex_numIfEPKPKS1_PKPS1_EvbiT_T4_T5_S9_lSB_S9_lT6_S9_li
		.amdhsa_group_segment_fixed_size 16384
		.amdhsa_private_segment_fixed_size 0
		.amdhsa_kernarg_size 100
		.amdhsa_user_sgpr_count 6
		.amdhsa_user_sgpr_private_segment_buffer 1
		.amdhsa_user_sgpr_dispatch_ptr 0
		.amdhsa_user_sgpr_queue_ptr 0
		.amdhsa_user_sgpr_kernarg_segment_ptr 1
		.amdhsa_user_sgpr_dispatch_id 0
		.amdhsa_user_sgpr_flat_scratch_init 0
		.amdhsa_user_sgpr_private_segment_size 0
		.amdhsa_uses_dynamic_stack 0
		.amdhsa_system_sgpr_private_segment_wavefront_offset 0
		.amdhsa_system_sgpr_workgroup_id_x 1
		.amdhsa_system_sgpr_workgroup_id_y 1
		.amdhsa_system_sgpr_workgroup_id_z 1
		.amdhsa_system_sgpr_workgroup_info 0
		.amdhsa_system_vgpr_workitem_id 1
		.amdhsa_next_free_vgpr 38
		.amdhsa_next_free_sgpr 61
		.amdhsa_reserve_vcc 1
		.amdhsa_reserve_flat_scratch 0
		.amdhsa_float_round_mode_32 0
		.amdhsa_float_round_mode_16_64 0
		.amdhsa_float_denorm_mode_32 3
		.amdhsa_float_denorm_mode_16_64 3
		.amdhsa_dx10_clamp 1
		.amdhsa_ieee_mode 1
		.amdhsa_fp16_overflow 0
		.amdhsa_exception_fp_ieee_invalid_op 0
		.amdhsa_exception_fp_denorm_src 0
		.amdhsa_exception_fp_ieee_div_zero 0
		.amdhsa_exception_fp_ieee_overflow 0
		.amdhsa_exception_fp_ieee_underflow 0
		.amdhsa_exception_fp_ieee_inexact 0
		.amdhsa_exception_int_div_zero 0
	.end_amdhsa_kernel
	.section	.text._ZL26rocblas_syr2k_her2k_kernelIiLb0ELb1ELb1ELi32E19rocblas_complex_numIfEPKPKS1_PKPS1_EvbiT_T4_T5_S9_lSB_S9_lT6_S9_li,"axG",@progbits,_ZL26rocblas_syr2k_her2k_kernelIiLb0ELb1ELb1ELi32E19rocblas_complex_numIfEPKPKS1_PKPS1_EvbiT_T4_T5_S9_lSB_S9_lT6_S9_li,comdat
.Lfunc_end771:
	.size	_ZL26rocblas_syr2k_her2k_kernelIiLb0ELb1ELb1ELi32E19rocblas_complex_numIfEPKPKS1_PKPS1_EvbiT_T4_T5_S9_lSB_S9_lT6_S9_li, .Lfunc_end771-_ZL26rocblas_syr2k_her2k_kernelIiLb0ELb1ELb1ELi32E19rocblas_complex_numIfEPKPKS1_PKPS1_EvbiT_T4_T5_S9_lSB_S9_lT6_S9_li
                                        ; -- End function
	.set _ZL26rocblas_syr2k_her2k_kernelIiLb0ELb1ELb1ELi32E19rocblas_complex_numIfEPKPKS1_PKPS1_EvbiT_T4_T5_S9_lSB_S9_lT6_S9_li.num_vgpr, 38
	.set _ZL26rocblas_syr2k_her2k_kernelIiLb0ELb1ELb1ELi32E19rocblas_complex_numIfEPKPKS1_PKPS1_EvbiT_T4_T5_S9_lSB_S9_lT6_S9_li.num_agpr, 0
	.set _ZL26rocblas_syr2k_her2k_kernelIiLb0ELb1ELb1ELi32E19rocblas_complex_numIfEPKPKS1_PKPS1_EvbiT_T4_T5_S9_lSB_S9_lT6_S9_li.numbered_sgpr, 24
	.set _ZL26rocblas_syr2k_her2k_kernelIiLb0ELb1ELb1ELi32E19rocblas_complex_numIfEPKPKS1_PKPS1_EvbiT_T4_T5_S9_lSB_S9_lT6_S9_li.num_named_barrier, 0
	.set _ZL26rocblas_syr2k_her2k_kernelIiLb0ELb1ELb1ELi32E19rocblas_complex_numIfEPKPKS1_PKPS1_EvbiT_T4_T5_S9_lSB_S9_lT6_S9_li.private_seg_size, 0
	.set _ZL26rocblas_syr2k_her2k_kernelIiLb0ELb1ELb1ELi32E19rocblas_complex_numIfEPKPKS1_PKPS1_EvbiT_T4_T5_S9_lSB_S9_lT6_S9_li.uses_vcc, 1
	.set _ZL26rocblas_syr2k_her2k_kernelIiLb0ELb1ELb1ELi32E19rocblas_complex_numIfEPKPKS1_PKPS1_EvbiT_T4_T5_S9_lSB_S9_lT6_S9_li.uses_flat_scratch, 0
	.set _ZL26rocblas_syr2k_her2k_kernelIiLb0ELb1ELb1ELi32E19rocblas_complex_numIfEPKPKS1_PKPS1_EvbiT_T4_T5_S9_lSB_S9_lT6_S9_li.has_dyn_sized_stack, 0
	.set _ZL26rocblas_syr2k_her2k_kernelIiLb0ELb1ELb1ELi32E19rocblas_complex_numIfEPKPKS1_PKPS1_EvbiT_T4_T5_S9_lSB_S9_lT6_S9_li.has_recursion, 0
	.set _ZL26rocblas_syr2k_her2k_kernelIiLb0ELb1ELb1ELi32E19rocblas_complex_numIfEPKPKS1_PKPS1_EvbiT_T4_T5_S9_lSB_S9_lT6_S9_li.has_indirect_call, 0
	.section	.AMDGPU.csdata,"",@progbits
; Kernel info:
; codeLenInByte = 2068
; TotalNumSgprs: 28
; NumVgprs: 38
; ScratchSize: 0
; MemoryBound: 0
; FloatMode: 240
; IeeeMode: 1
; LDSByteSize: 16384 bytes/workgroup (compile time only)
; SGPRBlocks: 8
; VGPRBlocks: 9
; NumSGPRsForWavesPerEU: 65
; NumVGPRsForWavesPerEU: 38
; Occupancy: 6
; WaveLimiterHint : 1
; COMPUTE_PGM_RSRC2:SCRATCH_EN: 0
; COMPUTE_PGM_RSRC2:USER_SGPR: 6
; COMPUTE_PGM_RSRC2:TRAP_HANDLER: 0
; COMPUTE_PGM_RSRC2:TGID_X_EN: 1
; COMPUTE_PGM_RSRC2:TGID_Y_EN: 1
; COMPUTE_PGM_RSRC2:TGID_Z_EN: 1
; COMPUTE_PGM_RSRC2:TIDIG_COMP_CNT: 1
	.section	.text._ZL37rocblas_syrkx_herkx_restricted_kernelIi19rocblas_complex_numIfELi16ELi32ELi8ELi1ELi1ELb1ELc84ELc76EKPKS1_KPS1_EviT_PT9_S7_lS9_S7_lPT10_S7_li,"axG",@progbits,_ZL37rocblas_syrkx_herkx_restricted_kernelIi19rocblas_complex_numIfELi16ELi32ELi8ELi1ELi1ELb1ELc84ELc76EKPKS1_KPS1_EviT_PT9_S7_lS9_S7_lPT10_S7_li,comdat
	.globl	_ZL37rocblas_syrkx_herkx_restricted_kernelIi19rocblas_complex_numIfELi16ELi32ELi8ELi1ELi1ELb1ELc84ELc76EKPKS1_KPS1_EviT_PT9_S7_lS9_S7_lPT10_S7_li ; -- Begin function _ZL37rocblas_syrkx_herkx_restricted_kernelIi19rocblas_complex_numIfELi16ELi32ELi8ELi1ELi1ELb1ELc84ELc76EKPKS1_KPS1_EviT_PT9_S7_lS9_S7_lPT10_S7_li
	.p2align	8
	.type	_ZL37rocblas_syrkx_herkx_restricted_kernelIi19rocblas_complex_numIfELi16ELi32ELi8ELi1ELi1ELb1ELc84ELc76EKPKS1_KPS1_EviT_PT9_S7_lS9_S7_lPT10_S7_li,@function
_ZL37rocblas_syrkx_herkx_restricted_kernelIi19rocblas_complex_numIfELi16ELi32ELi8ELi1ELi1ELb1ELc84ELc76EKPKS1_KPS1_EviT_PT9_S7_lS9_S7_lPT10_S7_li: ; @_ZL37rocblas_syrkx_herkx_restricted_kernelIi19rocblas_complex_numIfELi16ELi32ELi8ELi1ELi1ELb1ELc84ELc76EKPKS1_KPS1_EviT_PT9_S7_lS9_S7_lPT10_S7_li
; %bb.0:
	s_load_dwordx2 s[2:3], s[4:5], 0x38
	s_load_dwordx2 s[12:13], s[4:5], 0x0
	s_mov_b32 s9, 0
	s_lshl_b64 s[0:1], s[8:9], 3
	s_waitcnt lgkmcnt(0)
	s_add_u32 s2, s2, s0
	s_addc_u32 s3, s3, s1
	s_load_dwordx2 s[10:11], s[2:3], 0x0
	s_lshl_b32 s2, s6, 5
	s_lshl_b32 s3, s7, 5
	s_cmp_lt_i32 s13, 1
	s_cbranch_scc1 .LBB772_3
; %bb.1:
	v_lshl_add_u32 v4, v1, 4, v0
	s_load_dwordx2 s[6:7], s[4:5], 0x8
	s_load_dword s8, s[4:5], 0x10
	s_load_dwordx2 s[14:15], s[4:5], 0x20
	s_load_dword s16, s[4:5], 0x28
	v_and_b32_e32 v7, 31, v4
	v_lshrrev_b32_e32 v6, 3, v4
	v_and_b32_e32 v9, 7, v0
	v_lshrrev_b32_e32 v4, 5, v4
	v_lshlrev_b32_e32 v8, 3, v7
	s_waitcnt lgkmcnt(0)
	s_add_u32 s6, s6, s0
	v_lshl_or_b32 v11, v4, 8, v8
	v_lshlrev_b32_e32 v8, 3, v9
	s_addc_u32 s7, s7, s1
	v_add_u32_e32 v2, s3, v6
	v_mov_b32_e32 v10, 0
	v_lshl_or_b32 v6, v6, 6, v8
	s_add_u32 s0, s14, s0
	v_mov_b32_e32 v5, v10
	v_add_u32_e32 v12, 0x800, v6
	v_add_u32_e32 v6, s2, v7
	s_addc_u32 s1, s15, s1
	v_mad_i64_i32 v[4:5], s[14:15], s8, v6, v[4:5]
	s_load_dwordx2 s[6:7], s[6:7], 0x0
	v_mad_i64_i32 v[2:3], s[14:15], s16, v2, v[9:10]
	s_load_dwordx2 s[0:1], s[0:1], 0x0
	v_lshlrev_b64 v[4:5], 3, v[4:5]
	v_mov_b32_e32 v6, 0x800
	v_lshl_add_u32 v14, v1, 6, v6
	s_waitcnt lgkmcnt(0)
	v_mov_b32_e32 v7, s7
	v_add_co_u32_e32 v6, vcc, s6, v4
	v_lshlrev_b64 v[2:3], 3, v[2:3]
	v_addc_co_u32_e32 v7, vcc, v7, v5, vcc
	v_mov_b32_e32 v4, s1
	v_add_co_u32_e32 v8, vcc, s0, v2
	v_lshlrev_b32_e32 v13, 3, v0
	v_addc_co_u32_e32 v9, vcc, v4, v3, vcc
	v_mov_b32_e32 v15, v10
	v_mov_b32_e32 v16, v10
	v_mov_b32_e32 v17, v10
	v_mov_b32_e32 v18, v10
	v_mov_b32_e32 v19, v10
	v_mov_b32_e32 v21, v10
	v_mov_b32_e32 v20, v10
.LBB772_2:                              ; =>This Inner Loop Header: Depth=1
	flat_load_dwordx2 v[2:3], v[6:7]
	v_add_co_u32_e32 v6, vcc, 64, v6
	v_addc_co_u32_e32 v7, vcc, 0, v7, vcc
	s_add_i32 s9, s9, 8
	s_cmp_ge_i32 s9, s13
	s_waitcnt vmcnt(0) lgkmcnt(0)
	ds_write_b64 v11, v[2:3]
	flat_load_dwordx2 v[2:3], v[8:9]
	v_add_co_u32_e32 v8, vcc, 64, v8
	v_addc_co_u32_e32 v9, vcc, 0, v9, vcc
	s_waitcnt vmcnt(0) lgkmcnt(0)
	ds_write_b64 v12, v[2:3]
	s_waitcnt lgkmcnt(0)
	s_barrier
	ds_read_b128 v[22:25], v14
	ds_read_b128 v[26:29], v14 offset:16
	ds_read_b128 v[30:33], v14 offset:32
	;; [unrolled: 1-line block ×3, first 2 shown]
	ds_read2_b64 v[34:37], v13 offset1:16
	s_waitcnt lgkmcnt(0)
	v_mul_f32_e32 v38, v23, v35
	v_mul_f32_e32 v39, v22, v35
	v_fma_f32 v38, v22, v34, -v38
	v_fmac_f32_e32 v39, v23, v34
	v_add_f32_e32 v38, v20, v38
	v_add_f32_e32 v39, v21, v39
	v_mul_f32_e32 v20, v23, v37
	v_mul_f32_e32 v21, v22, v37
	v_fma_f32 v20, v22, v36, -v20
	v_fmac_f32_e32 v21, v23, v36
	v_add_f32_e32 v22, v19, v20
	v_add_f32_e32 v23, v18, v21
	ds_read_b128 v[18:21], v14 offset:1024
	s_waitcnt lgkmcnt(0)
	v_mul_f32_e32 v40, v19, v35
	v_mul_f32_e32 v35, v18, v35
	v_fma_f32 v40, v18, v34, -v40
	v_fmac_f32_e32 v35, v19, v34
	v_add_f32_e32 v34, v17, v40
	v_add_f32_e32 v35, v16, v35
	v_mul_f32_e32 v16, v19, v37
	v_mul_f32_e32 v17, v18, v37
	v_fma_f32 v16, v18, v36, -v16
	v_fmac_f32_e32 v17, v19, v36
	v_add_f32_e32 v19, v15, v16
	v_add_f32_e32 v10, v10, v17
	ds_read2_b64 v[15:18], v13 offset0:32 offset1:48
	s_waitcnt lgkmcnt(0)
	v_mul_f32_e32 v36, v25, v16
	v_fma_f32 v36, v24, v15, -v36
	v_add_f32_e32 v36, v38, v36
	v_mul_f32_e32 v38, v25, v18
	v_mul_f32_e32 v37, v24, v16
	v_fma_f32 v38, v24, v17, -v38
	v_mul_f32_e32 v24, v24, v18
	v_fmac_f32_e32 v24, v25, v17
	v_add_f32_e32 v23, v23, v24
	v_mul_f32_e32 v24, v21, v16
	v_mul_f32_e32 v16, v20, v16
	v_fmac_f32_e32 v16, v21, v15
	v_fmac_f32_e32 v37, v25, v15
	v_fma_f32 v24, v20, v15, -v24
	v_add_f32_e32 v25, v35, v16
	v_mul_f32_e32 v15, v21, v18
	v_mul_f32_e32 v16, v20, v18
	v_fma_f32 v15, v20, v17, -v15
	v_fmac_f32_e32 v16, v21, v17
	v_add_f32_e32 v24, v34, v24
	v_add_f32_e32 v34, v19, v15
	v_add_f32_e32 v10, v10, v16
	ds_read2_b64 v[15:18], v13 offset0:64 offset1:80
	v_add_f32_e32 v37, v39, v37
	v_add_f32_e32 v22, v22, v38
	s_waitcnt lgkmcnt(0)
	v_mul_f32_e32 v19, v27, v16
	v_mul_f32_e32 v20, v26, v16
	v_fma_f32 v19, v26, v15, -v19
	v_fmac_f32_e32 v20, v27, v15
	v_add_f32_e32 v35, v36, v19
	v_add_f32_e32 v36, v37, v20
	v_mul_f32_e32 v19, v27, v18
	v_mul_f32_e32 v20, v26, v18
	v_fma_f32 v19, v26, v17, -v19
	v_fmac_f32_e32 v20, v27, v17
	v_add_f32_e32 v26, v22, v19
	v_add_f32_e32 v23, v23, v20
	ds_read_b128 v[19:22], v14 offset:1040
	s_waitcnt lgkmcnt(0)
	v_mul_f32_e32 v27, v20, v16
	v_mul_f32_e32 v16, v19, v16
	v_fmac_f32_e32 v16, v20, v15
	v_fma_f32 v27, v19, v15, -v27
	v_add_f32_e32 v25, v25, v16
	v_mul_f32_e32 v15, v20, v18
	v_mul_f32_e32 v16, v19, v18
	v_fma_f32 v15, v19, v17, -v15
	v_fmac_f32_e32 v16, v20, v17
	v_add_f32_e32 v19, v34, v15
	v_add_f32_e32 v10, v10, v16
	ds_read2_b64 v[15:18], v13 offset0:96 offset1:112
	v_add_f32_e32 v24, v24, v27
	s_waitcnt lgkmcnt(0)
	v_mul_f32_e32 v20, v29, v16
	v_mul_f32_e32 v34, v29, v18
	v_fma_f32 v20, v28, v15, -v20
	v_mul_f32_e32 v27, v28, v16
	v_fma_f32 v34, v28, v17, -v34
	v_mul_f32_e32 v28, v28, v18
	v_fmac_f32_e32 v28, v29, v17
	v_add_f32_e32 v23, v23, v28
	v_mul_f32_e32 v28, v22, v16
	v_mul_f32_e32 v16, v21, v16
	v_fmac_f32_e32 v16, v22, v15
	v_fmac_f32_e32 v27, v29, v15
	v_fma_f32 v28, v21, v15, -v28
	v_add_f32_e32 v25, v25, v16
	v_mul_f32_e32 v15, v22, v18
	v_mul_f32_e32 v16, v21, v18
	v_fma_f32 v15, v21, v17, -v15
	v_fmac_f32_e32 v16, v22, v17
	v_add_f32_e32 v24, v24, v28
	v_add_f32_e32 v28, v19, v15
	;; [unrolled: 1-line block ×3, first 2 shown]
	ds_read2_b64 v[15:18], v13 offset0:128 offset1:144
	v_add_f32_e32 v20, v35, v20
	v_add_f32_e32 v27, v36, v27
	;; [unrolled: 1-line block ×3, first 2 shown]
	s_waitcnt lgkmcnt(0)
	v_mul_f32_e32 v19, v31, v16
	v_fma_f32 v19, v30, v15, -v19
	v_mul_f32_e32 v21, v30, v16
	v_add_f32_e32 v29, v20, v19
	v_mul_f32_e32 v19, v31, v18
	v_mul_f32_e32 v20, v30, v18
	v_fmac_f32_e32 v21, v31, v15
	v_fma_f32 v19, v30, v17, -v19
	v_fmac_f32_e32 v20, v31, v17
	v_add_f32_e32 v27, v27, v21
	v_add_f32_e32 v26, v26, v19
	;; [unrolled: 1-line block ×3, first 2 shown]
	ds_read_b128 v[19:22], v14 offset:1056
	s_waitcnt lgkmcnt(0)
	v_mul_f32_e32 v30, v20, v16
	v_mul_f32_e32 v16, v19, v16
	v_fmac_f32_e32 v16, v20, v15
	v_fma_f32 v30, v19, v15, -v30
	v_add_f32_e32 v25, v25, v16
	v_mul_f32_e32 v15, v20, v18
	v_mul_f32_e32 v16, v19, v18
	v_fma_f32 v15, v19, v17, -v15
	v_fmac_f32_e32 v16, v20, v17
	v_add_f32_e32 v19, v28, v15
	v_add_f32_e32 v10, v10, v16
	ds_read2_b64 v[15:18], v13 offset0:160 offset1:176
	v_add_f32_e32 v24, v24, v30
	s_waitcnt lgkmcnt(0)
	v_mul_f32_e32 v28, v32, v16
	v_fmac_f32_e32 v28, v33, v15
	v_add_f32_e32 v27, v27, v28
	v_mul_f32_e32 v28, v33, v18
	v_fma_f32 v28, v32, v17, -v28
	v_mul_f32_e32 v20, v33, v16
	v_add_f32_e32 v26, v26, v28
	v_mul_f32_e32 v28, v22, v16
	v_mul_f32_e32 v16, v21, v16
	v_fmac_f32_e32 v16, v22, v15
	v_fma_f32 v20, v32, v15, -v20
	v_fma_f32 v28, v21, v15, -v28
	v_add_f32_e32 v25, v25, v16
	v_mul_f32_e32 v15, v22, v18
	v_mul_f32_e32 v16, v21, v18
	v_add_f32_e32 v20, v29, v20
	v_mul_f32_e32 v29, v32, v18
	v_fma_f32 v15, v21, v17, -v15
	v_fmac_f32_e32 v16, v22, v17
	v_fmac_f32_e32 v29, v33, v17
	v_add_f32_e32 v19, v19, v15
	v_add_f32_e32 v10, v10, v16
	ds_read2_b64 v[15:18], v13 offset0:192 offset1:208
	v_add_f32_e32 v24, v24, v28
	v_add_f32_e32 v23, v23, v29
	s_waitcnt lgkmcnt(0)
	v_mul_f32_e32 v21, v3, v16
	v_fma_f32 v21, v2, v15, -v21
	v_add_f32_e32 v28, v20, v21
	v_mul_f32_e32 v20, v3, v18
	v_mul_f32_e32 v22, v2, v16
	v_fma_f32 v20, v2, v17, -v20
	v_mul_f32_e32 v2, v2, v18
	v_fmac_f32_e32 v22, v3, v15
	v_fmac_f32_e32 v2, v3, v17
	v_add_f32_e32 v29, v27, v22
	v_add_f32_e32 v3, v26, v20
	;; [unrolled: 1-line block ×3, first 2 shown]
	ds_read_b128 v[20:23], v14 offset:1072
	s_waitcnt lgkmcnt(0)
	v_mul_f32_e32 v26, v21, v16
	v_fma_f32 v26, v20, v15, -v26
	v_mul_f32_e32 v16, v20, v16
	v_fmac_f32_e32 v16, v21, v15
	v_add_f32_e32 v15, v24, v26
	v_mul_f32_e32 v24, v21, v18
	v_fma_f32 v24, v20, v17, -v24
	v_add_f32_e32 v16, v25, v16
	v_add_f32_e32 v30, v19, v24
	ds_read2_b64 v[24:27], v13 offset0:224 offset1:240
	v_mul_f32_e32 v18, v20, v18
	v_fmac_f32_e32 v18, v21, v17
	v_add_f32_e32 v10, v10, v18
	s_waitcnt lgkmcnt(0)
	v_mul_f32_e32 v17, v5, v25
	v_fma_f32 v17, v4, v24, -v17
	v_add_f32_e32 v20, v28, v17
	v_mul_f32_e32 v17, v5, v27
	v_mul_f32_e32 v18, v4, v25
	v_fma_f32 v17, v4, v26, -v17
	v_mul_f32_e32 v4, v4, v27
	v_fmac_f32_e32 v18, v5, v24
	v_fmac_f32_e32 v4, v5, v26
	v_add_f32_e32 v21, v29, v18
	v_add_f32_e32 v19, v3, v17
	;; [unrolled: 1-line block ×3, first 2 shown]
	v_mul_f32_e32 v2, v23, v25
	v_mul_f32_e32 v3, v22, v25
	v_fma_f32 v2, v22, v24, -v2
	v_fmac_f32_e32 v3, v23, v24
	v_add_f32_e32 v17, v15, v2
	v_add_f32_e32 v16, v16, v3
	v_mul_f32_e32 v2, v23, v27
	v_mul_f32_e32 v3, v22, v27
	v_fma_f32 v2, v22, v26, -v2
	v_fmac_f32_e32 v3, v23, v26
	v_add_f32_e32 v15, v30, v2
	v_add_f32_e32 v10, v10, v3
	s_barrier
	s_cbranch_scc0 .LBB772_2
	s_branch .LBB772_4
.LBB772_3:
	v_mov_b32_e32 v20, 0
	v_mov_b32_e32 v21, 0
	;; [unrolled: 1-line block ×8, first 2 shown]
.LBB772_4:
	s_load_dword s6, s[4:5], 0x40
	v_add_u32_e32 v5, s3, v1
	s_waitcnt lgkmcnt(0)
	v_mov_b32_e32 v3, s11
	v_add_u32_e32 v0, s2, v0
	v_mad_i64_i32 v[1:2], s[0:1], v5, s6, 0
	v_cmp_le_i32_e64 s[0:1], v5, v0
	v_lshlrev_b64 v[1:2], 3, v[1:2]
	v_add_co_u32_e32 v4, vcc, s10, v1
	v_addc_co_u32_e32 v6, vcc, v3, v2, vcc
	v_cmp_gt_i32_e32 vcc, s12, v0
	s_and_b64 s[0:1], s[0:1], vcc
	s_and_saveexec_b64 s[2:3], s[0:1]
	s_cbranch_execz .LBB772_7
; %bb.5:
	v_ashrrev_i32_e32 v1, 31, v0
	v_lshlrev_b64 v[1:2], 3, v[0:1]
	v_add_co_u32_e64 v1, s[0:1], v4, v1
	v_addc_co_u32_e64 v2, s[0:1], v6, v2, s[0:1]
	flat_load_dwordx2 v[7:8], v[1:2]
	v_cmp_eq_u32_e64 s[0:1], v5, v0
	s_waitcnt vmcnt(0) lgkmcnt(0)
	v_add_f32_e32 v7, v20, v7
	v_add_f32_e32 v8, v21, v8
	flat_store_dwordx2 v[1:2], v[7:8]
	s_and_b64 exec, exec, s[0:1]
	s_cbranch_execz .LBB772_7
; %bb.6:
	v_mov_b32_e32 v3, 0
	flat_store_dword v[1:2], v3 offset:4
.LBB772_7:
	s_or_b64 exec, exec, s[2:3]
	v_add_u32_e32 v2, 16, v0
	v_cmp_le_i32_e64 s[2:3], v5, v2
	v_cmp_gt_i32_e64 s[0:1], s12, v2
	s_and_b64 s[2:3], s[2:3], s[0:1]
	s_and_saveexec_b64 s[4:5], s[2:3]
	s_cbranch_execz .LBB772_10
; %bb.8:
	v_ashrrev_i32_e32 v3, 31, v2
	v_lshlrev_b64 v[7:8], 3, v[2:3]
	v_add_co_u32_e64 v3, s[2:3], v4, v7
	v_addc_co_u32_e64 v4, s[2:3], v6, v8, s[2:3]
	flat_load_dwordx2 v[6:7], v[3:4]
	v_cmp_eq_u32_e64 s[2:3], v5, v2
	s_waitcnt vmcnt(0) lgkmcnt(0)
	v_add_f32_e32 v6, v19, v6
	v_add_f32_e32 v7, v18, v7
	flat_store_dwordx2 v[3:4], v[6:7]
	s_and_b64 exec, exec, s[2:3]
	s_cbranch_execz .LBB772_10
; %bb.9:
	v_mov_b32_e32 v1, 0
	flat_store_dword v[3:4], v1 offset:4
.LBB772_10:
	s_or_b64 exec, exec, s[4:5]
	v_add_u32_e32 v8, 16, v5
	v_mad_i64_i32 v[3:4], s[2:3], v8, s6, 0
	v_mov_b32_e32 v1, s11
	v_lshlrev_b64 v[3:4], 3, v[3:4]
	v_add_co_u32_e64 v6, s[2:3], s10, v3
	v_addc_co_u32_e64 v7, s[2:3], v1, v4, s[2:3]
	v_cmp_le_i32_e64 s[2:3], v8, v0
	s_and_b64 s[4:5], s[2:3], vcc
	s_and_saveexec_b64 s[2:3], s[4:5]
	s_cbranch_execz .LBB772_13
; %bb.11:
	v_ashrrev_i32_e32 v1, 31, v0
	v_lshlrev_b64 v[3:4], 3, v[0:1]
	v_add_co_u32_e32 v3, vcc, v6, v3
	v_addc_co_u32_e32 v4, vcc, v7, v4, vcc
	flat_load_dwordx2 v[11:12], v[3:4]
	v_cmp_eq_u32_e32 vcc, v8, v0
	s_waitcnt vmcnt(0) lgkmcnt(0)
	v_add_f32_e32 v11, v17, v11
	v_add_f32_e32 v12, v16, v12
	flat_store_dwordx2 v[3:4], v[11:12]
	s_and_b64 exec, exec, vcc
	s_cbranch_execz .LBB772_13
; %bb.12:
	v_mov_b32_e32 v1, 0
	flat_store_dword v[3:4], v1 offset:4
.LBB772_13:
	s_or_b64 exec, exec, s[2:3]
	v_cmp_le_i32_e32 vcc, v8, v2
	s_and_b64 s[0:1], vcc, s[0:1]
	s_and_saveexec_b64 s[2:3], s[0:1]
	s_cbranch_execz .LBB772_16
; %bb.14:
	v_ashrrev_i32_e32 v3, 31, v2
	v_lshlrev_b64 v[1:2], 3, v[2:3]
	v_add_co_u32_e32 v1, vcc, v6, v1
	v_addc_co_u32_e32 v2, vcc, v7, v2, vcc
	flat_load_dwordx2 v[3:4], v[1:2]
	v_cmp_eq_u32_e32 vcc, v5, v0
	s_waitcnt vmcnt(0) lgkmcnt(0)
	v_add_f32_e32 v3, v15, v3
	v_add_f32_e32 v4, v10, v4
	flat_store_dwordx2 v[1:2], v[3:4]
	s_and_b64 exec, exec, vcc
	s_cbranch_execz .LBB772_16
; %bb.15:
	v_mov_b32_e32 v0, 0
	flat_store_dword v[1:2], v0 offset:4
.LBB772_16:
	s_endpgm
	.section	.rodata,"a",@progbits
	.p2align	6, 0x0
	.amdhsa_kernel _ZL37rocblas_syrkx_herkx_restricted_kernelIi19rocblas_complex_numIfELi16ELi32ELi8ELi1ELi1ELb1ELc84ELc76EKPKS1_KPS1_EviT_PT9_S7_lS9_S7_lPT10_S7_li
		.amdhsa_group_segment_fixed_size 4096
		.amdhsa_private_segment_fixed_size 0
		.amdhsa_kernarg_size 84
		.amdhsa_user_sgpr_count 6
		.amdhsa_user_sgpr_private_segment_buffer 1
		.amdhsa_user_sgpr_dispatch_ptr 0
		.amdhsa_user_sgpr_queue_ptr 0
		.amdhsa_user_sgpr_kernarg_segment_ptr 1
		.amdhsa_user_sgpr_dispatch_id 0
		.amdhsa_user_sgpr_flat_scratch_init 0
		.amdhsa_user_sgpr_private_segment_size 0
		.amdhsa_uses_dynamic_stack 0
		.amdhsa_system_sgpr_private_segment_wavefront_offset 0
		.amdhsa_system_sgpr_workgroup_id_x 1
		.amdhsa_system_sgpr_workgroup_id_y 1
		.amdhsa_system_sgpr_workgroup_id_z 1
		.amdhsa_system_sgpr_workgroup_info 0
		.amdhsa_system_vgpr_workitem_id 1
		.amdhsa_next_free_vgpr 41
		.amdhsa_next_free_sgpr 17
		.amdhsa_reserve_vcc 1
		.amdhsa_reserve_flat_scratch 0
		.amdhsa_float_round_mode_32 0
		.amdhsa_float_round_mode_16_64 0
		.amdhsa_float_denorm_mode_32 3
		.amdhsa_float_denorm_mode_16_64 3
		.amdhsa_dx10_clamp 1
		.amdhsa_ieee_mode 1
		.amdhsa_fp16_overflow 0
		.amdhsa_exception_fp_ieee_invalid_op 0
		.amdhsa_exception_fp_denorm_src 0
		.amdhsa_exception_fp_ieee_div_zero 0
		.amdhsa_exception_fp_ieee_overflow 0
		.amdhsa_exception_fp_ieee_underflow 0
		.amdhsa_exception_fp_ieee_inexact 0
		.amdhsa_exception_int_div_zero 0
	.end_amdhsa_kernel
	.section	.text._ZL37rocblas_syrkx_herkx_restricted_kernelIi19rocblas_complex_numIfELi16ELi32ELi8ELi1ELi1ELb1ELc84ELc76EKPKS1_KPS1_EviT_PT9_S7_lS9_S7_lPT10_S7_li,"axG",@progbits,_ZL37rocblas_syrkx_herkx_restricted_kernelIi19rocblas_complex_numIfELi16ELi32ELi8ELi1ELi1ELb1ELc84ELc76EKPKS1_KPS1_EviT_PT9_S7_lS9_S7_lPT10_S7_li,comdat
.Lfunc_end772:
	.size	_ZL37rocblas_syrkx_herkx_restricted_kernelIi19rocblas_complex_numIfELi16ELi32ELi8ELi1ELi1ELb1ELc84ELc76EKPKS1_KPS1_EviT_PT9_S7_lS9_S7_lPT10_S7_li, .Lfunc_end772-_ZL37rocblas_syrkx_herkx_restricted_kernelIi19rocblas_complex_numIfELi16ELi32ELi8ELi1ELi1ELb1ELc84ELc76EKPKS1_KPS1_EviT_PT9_S7_lS9_S7_lPT10_S7_li
                                        ; -- End function
	.set _ZL37rocblas_syrkx_herkx_restricted_kernelIi19rocblas_complex_numIfELi16ELi32ELi8ELi1ELi1ELb1ELc84ELc76EKPKS1_KPS1_EviT_PT9_S7_lS9_S7_lPT10_S7_li.num_vgpr, 41
	.set _ZL37rocblas_syrkx_herkx_restricted_kernelIi19rocblas_complex_numIfELi16ELi32ELi8ELi1ELi1ELb1ELc84ELc76EKPKS1_KPS1_EviT_PT9_S7_lS9_S7_lPT10_S7_li.num_agpr, 0
	.set _ZL37rocblas_syrkx_herkx_restricted_kernelIi19rocblas_complex_numIfELi16ELi32ELi8ELi1ELi1ELb1ELc84ELc76EKPKS1_KPS1_EviT_PT9_S7_lS9_S7_lPT10_S7_li.numbered_sgpr, 17
	.set _ZL37rocblas_syrkx_herkx_restricted_kernelIi19rocblas_complex_numIfELi16ELi32ELi8ELi1ELi1ELb1ELc84ELc76EKPKS1_KPS1_EviT_PT9_S7_lS9_S7_lPT10_S7_li.num_named_barrier, 0
	.set _ZL37rocblas_syrkx_herkx_restricted_kernelIi19rocblas_complex_numIfELi16ELi32ELi8ELi1ELi1ELb1ELc84ELc76EKPKS1_KPS1_EviT_PT9_S7_lS9_S7_lPT10_S7_li.private_seg_size, 0
	.set _ZL37rocblas_syrkx_herkx_restricted_kernelIi19rocblas_complex_numIfELi16ELi32ELi8ELi1ELi1ELb1ELc84ELc76EKPKS1_KPS1_EviT_PT9_S7_lS9_S7_lPT10_S7_li.uses_vcc, 1
	.set _ZL37rocblas_syrkx_herkx_restricted_kernelIi19rocblas_complex_numIfELi16ELi32ELi8ELi1ELi1ELb1ELc84ELc76EKPKS1_KPS1_EviT_PT9_S7_lS9_S7_lPT10_S7_li.uses_flat_scratch, 0
	.set _ZL37rocblas_syrkx_herkx_restricted_kernelIi19rocblas_complex_numIfELi16ELi32ELi8ELi1ELi1ELb1ELc84ELc76EKPKS1_KPS1_EviT_PT9_S7_lS9_S7_lPT10_S7_li.has_dyn_sized_stack, 0
	.set _ZL37rocblas_syrkx_herkx_restricted_kernelIi19rocblas_complex_numIfELi16ELi32ELi8ELi1ELi1ELb1ELc84ELc76EKPKS1_KPS1_EviT_PT9_S7_lS9_S7_lPT10_S7_li.has_recursion, 0
	.set _ZL37rocblas_syrkx_herkx_restricted_kernelIi19rocblas_complex_numIfELi16ELi32ELi8ELi1ELi1ELb1ELc84ELc76EKPKS1_KPS1_EviT_PT9_S7_lS9_S7_lPT10_S7_li.has_indirect_call, 0
	.section	.AMDGPU.csdata,"",@progbits
; Kernel info:
; codeLenInByte = 2004
; TotalNumSgprs: 21
; NumVgprs: 41
; ScratchSize: 0
; MemoryBound: 0
; FloatMode: 240
; IeeeMode: 1
; LDSByteSize: 4096 bytes/workgroup (compile time only)
; SGPRBlocks: 2
; VGPRBlocks: 10
; NumSGPRsForWavesPerEU: 21
; NumVGPRsForWavesPerEU: 41
; Occupancy: 5
; WaveLimiterHint : 1
; COMPUTE_PGM_RSRC2:SCRATCH_EN: 0
; COMPUTE_PGM_RSRC2:USER_SGPR: 6
; COMPUTE_PGM_RSRC2:TRAP_HANDLER: 0
; COMPUTE_PGM_RSRC2:TGID_X_EN: 1
; COMPUTE_PGM_RSRC2:TGID_Y_EN: 1
; COMPUTE_PGM_RSRC2:TGID_Z_EN: 1
; COMPUTE_PGM_RSRC2:TIDIG_COMP_CNT: 1
	.section	.text._ZL37rocblas_syrkx_herkx_restricted_kernelIi19rocblas_complex_numIfELi16ELi32ELi8ELi1ELi1ELb1ELc67ELc76EKPKS1_KPS1_EviT_PT9_S7_lS9_S7_lPT10_S7_li,"axG",@progbits,_ZL37rocblas_syrkx_herkx_restricted_kernelIi19rocblas_complex_numIfELi16ELi32ELi8ELi1ELi1ELb1ELc67ELc76EKPKS1_KPS1_EviT_PT9_S7_lS9_S7_lPT10_S7_li,comdat
	.globl	_ZL37rocblas_syrkx_herkx_restricted_kernelIi19rocblas_complex_numIfELi16ELi32ELi8ELi1ELi1ELb1ELc67ELc76EKPKS1_KPS1_EviT_PT9_S7_lS9_S7_lPT10_S7_li ; -- Begin function _ZL37rocblas_syrkx_herkx_restricted_kernelIi19rocblas_complex_numIfELi16ELi32ELi8ELi1ELi1ELb1ELc67ELc76EKPKS1_KPS1_EviT_PT9_S7_lS9_S7_lPT10_S7_li
	.p2align	8
	.type	_ZL37rocblas_syrkx_herkx_restricted_kernelIi19rocblas_complex_numIfELi16ELi32ELi8ELi1ELi1ELb1ELc67ELc76EKPKS1_KPS1_EviT_PT9_S7_lS9_S7_lPT10_S7_li,@function
_ZL37rocblas_syrkx_herkx_restricted_kernelIi19rocblas_complex_numIfELi16ELi32ELi8ELi1ELi1ELb1ELc67ELc76EKPKS1_KPS1_EviT_PT9_S7_lS9_S7_lPT10_S7_li: ; @_ZL37rocblas_syrkx_herkx_restricted_kernelIi19rocblas_complex_numIfELi16ELi32ELi8ELi1ELi1ELb1ELc67ELc76EKPKS1_KPS1_EviT_PT9_S7_lS9_S7_lPT10_S7_li
; %bb.0:
	s_load_dwordx2 s[2:3], s[4:5], 0x38
	s_load_dwordx2 s[12:13], s[4:5], 0x0
	s_mov_b32 s9, 0
	s_lshl_b64 s[0:1], s[8:9], 3
	s_waitcnt lgkmcnt(0)
	s_add_u32 s2, s2, s0
	s_addc_u32 s3, s3, s1
	s_load_dwordx2 s[10:11], s[2:3], 0x0
	s_lshl_b32 s2, s6, 5
	s_lshl_b32 s3, s7, 5
	s_cmp_lt_i32 s13, 1
	s_cbranch_scc1 .LBB773_3
; %bb.1:
	v_lshl_add_u32 v4, v1, 4, v0
	s_load_dwordx2 s[6:7], s[4:5], 0x8
	s_load_dword s8, s[4:5], 0x10
	s_load_dwordx2 s[14:15], s[4:5], 0x20
	s_load_dword s16, s[4:5], 0x28
	v_and_b32_e32 v7, 31, v4
	v_lshrrev_b32_e32 v6, 3, v4
	v_and_b32_e32 v9, 7, v0
	v_lshrrev_b32_e32 v4, 5, v4
	v_lshlrev_b32_e32 v8, 3, v7
	s_waitcnt lgkmcnt(0)
	s_add_u32 s6, s6, s0
	v_lshl_or_b32 v11, v4, 8, v8
	v_lshlrev_b32_e32 v8, 3, v9
	s_addc_u32 s7, s7, s1
	v_add_u32_e32 v2, s3, v6
	v_mov_b32_e32 v10, 0
	v_lshl_or_b32 v6, v6, 6, v8
	s_add_u32 s0, s14, s0
	v_mov_b32_e32 v5, v10
	v_add_u32_e32 v12, 0x800, v6
	v_add_u32_e32 v6, s2, v7
	s_addc_u32 s1, s15, s1
	v_mad_i64_i32 v[4:5], s[14:15], s8, v6, v[4:5]
	s_load_dwordx2 s[6:7], s[6:7], 0x0
	v_mad_i64_i32 v[2:3], s[14:15], s16, v2, v[9:10]
	s_load_dwordx2 s[0:1], s[0:1], 0x0
	v_lshlrev_b64 v[4:5], 3, v[4:5]
	v_mov_b32_e32 v6, 0x800
	v_lshl_add_u32 v14, v1, 6, v6
	s_waitcnt lgkmcnt(0)
	v_mov_b32_e32 v7, s7
	v_add_co_u32_e32 v6, vcc, s6, v4
	v_lshlrev_b64 v[2:3], 3, v[2:3]
	v_addc_co_u32_e32 v7, vcc, v7, v5, vcc
	v_mov_b32_e32 v4, s1
	v_add_co_u32_e32 v8, vcc, s0, v2
	v_lshlrev_b32_e32 v13, 3, v0
	v_addc_co_u32_e32 v9, vcc, v4, v3, vcc
	v_mov_b32_e32 v15, v10
	v_mov_b32_e32 v16, v10
	;; [unrolled: 1-line block ×7, first 2 shown]
.LBB773_2:                              ; =>This Inner Loop Header: Depth=1
	flat_load_dwordx2 v[2:3], v[6:7]
	v_add_co_u32_e32 v6, vcc, 64, v6
	v_addc_co_u32_e32 v7, vcc, 0, v7, vcc
	s_add_i32 s9, s9, 8
	s_cmp_ge_i32 s9, s13
	s_waitcnt vmcnt(0) lgkmcnt(0)
	v_xor_b32_e32 v3, 0x80000000, v3
	ds_write_b64 v11, v[2:3]
	flat_load_dwordx2 v[2:3], v[8:9]
	v_add_co_u32_e32 v8, vcc, 64, v8
	v_addc_co_u32_e32 v9, vcc, 0, v9, vcc
	s_waitcnt vmcnt(0) lgkmcnt(0)
	ds_write_b64 v12, v[2:3]
	s_waitcnt lgkmcnt(0)
	s_barrier
	ds_read_b128 v[22:25], v14
	ds_read_b128 v[26:29], v14 offset:16
	ds_read_b128 v[30:33], v14 offset:32
	ds_read_b128 v[2:5], v14 offset:48
	ds_read2_b64 v[34:37], v13 offset1:16
	s_waitcnt lgkmcnt(0)
	v_mul_f32_e32 v38, v23, v35
	v_mul_f32_e32 v39, v22, v35
	v_fma_f32 v38, v22, v34, -v38
	v_fmac_f32_e32 v39, v23, v34
	v_add_f32_e32 v38, v20, v38
	v_add_f32_e32 v39, v21, v39
	v_mul_f32_e32 v20, v23, v37
	v_mul_f32_e32 v21, v22, v37
	v_fma_f32 v20, v22, v36, -v20
	v_fmac_f32_e32 v21, v23, v36
	v_add_f32_e32 v22, v19, v20
	v_add_f32_e32 v23, v18, v21
	ds_read_b128 v[18:21], v14 offset:1024
	s_waitcnt lgkmcnt(0)
	v_mul_f32_e32 v40, v19, v35
	v_mul_f32_e32 v35, v18, v35
	v_fma_f32 v40, v18, v34, -v40
	v_fmac_f32_e32 v35, v19, v34
	v_add_f32_e32 v34, v17, v40
	v_add_f32_e32 v35, v16, v35
	v_mul_f32_e32 v16, v19, v37
	v_mul_f32_e32 v17, v18, v37
	v_fma_f32 v16, v18, v36, -v16
	v_fmac_f32_e32 v17, v19, v36
	v_add_f32_e32 v19, v15, v16
	v_add_f32_e32 v10, v10, v17
	ds_read2_b64 v[15:18], v13 offset0:32 offset1:48
	s_waitcnt lgkmcnt(0)
	v_mul_f32_e32 v36, v25, v16
	v_fma_f32 v36, v24, v15, -v36
	v_add_f32_e32 v36, v38, v36
	v_mul_f32_e32 v38, v25, v18
	v_mul_f32_e32 v37, v24, v16
	v_fma_f32 v38, v24, v17, -v38
	v_mul_f32_e32 v24, v24, v18
	v_fmac_f32_e32 v24, v25, v17
	v_add_f32_e32 v23, v23, v24
	v_mul_f32_e32 v24, v21, v16
	v_mul_f32_e32 v16, v20, v16
	v_fmac_f32_e32 v16, v21, v15
	v_fmac_f32_e32 v37, v25, v15
	v_fma_f32 v24, v20, v15, -v24
	v_add_f32_e32 v25, v35, v16
	v_mul_f32_e32 v15, v21, v18
	v_mul_f32_e32 v16, v20, v18
	v_fma_f32 v15, v20, v17, -v15
	v_fmac_f32_e32 v16, v21, v17
	v_add_f32_e32 v24, v34, v24
	v_add_f32_e32 v34, v19, v15
	v_add_f32_e32 v10, v10, v16
	ds_read2_b64 v[15:18], v13 offset0:64 offset1:80
	v_add_f32_e32 v37, v39, v37
	v_add_f32_e32 v22, v22, v38
	s_waitcnt lgkmcnt(0)
	v_mul_f32_e32 v19, v27, v16
	v_mul_f32_e32 v20, v26, v16
	v_fma_f32 v19, v26, v15, -v19
	v_fmac_f32_e32 v20, v27, v15
	v_add_f32_e32 v35, v36, v19
	v_add_f32_e32 v36, v37, v20
	v_mul_f32_e32 v19, v27, v18
	v_mul_f32_e32 v20, v26, v18
	v_fma_f32 v19, v26, v17, -v19
	v_fmac_f32_e32 v20, v27, v17
	v_add_f32_e32 v26, v22, v19
	v_add_f32_e32 v23, v23, v20
	ds_read_b128 v[19:22], v14 offset:1040
	s_waitcnt lgkmcnt(0)
	v_mul_f32_e32 v27, v20, v16
	v_mul_f32_e32 v16, v19, v16
	v_fmac_f32_e32 v16, v20, v15
	v_fma_f32 v27, v19, v15, -v27
	v_add_f32_e32 v25, v25, v16
	v_mul_f32_e32 v15, v20, v18
	v_mul_f32_e32 v16, v19, v18
	v_fma_f32 v15, v19, v17, -v15
	v_fmac_f32_e32 v16, v20, v17
	v_add_f32_e32 v19, v34, v15
	v_add_f32_e32 v10, v10, v16
	ds_read2_b64 v[15:18], v13 offset0:96 offset1:112
	v_add_f32_e32 v24, v24, v27
	s_waitcnt lgkmcnt(0)
	v_mul_f32_e32 v20, v29, v16
	v_mul_f32_e32 v34, v29, v18
	v_fma_f32 v20, v28, v15, -v20
	v_mul_f32_e32 v27, v28, v16
	v_fma_f32 v34, v28, v17, -v34
	v_mul_f32_e32 v28, v28, v18
	v_fmac_f32_e32 v28, v29, v17
	v_add_f32_e32 v23, v23, v28
	v_mul_f32_e32 v28, v22, v16
	v_mul_f32_e32 v16, v21, v16
	v_fmac_f32_e32 v16, v22, v15
	v_fmac_f32_e32 v27, v29, v15
	v_fma_f32 v28, v21, v15, -v28
	v_add_f32_e32 v25, v25, v16
	v_mul_f32_e32 v15, v22, v18
	v_mul_f32_e32 v16, v21, v18
	v_fma_f32 v15, v21, v17, -v15
	v_fmac_f32_e32 v16, v22, v17
	v_add_f32_e32 v24, v24, v28
	v_add_f32_e32 v28, v19, v15
	;; [unrolled: 1-line block ×3, first 2 shown]
	ds_read2_b64 v[15:18], v13 offset0:128 offset1:144
	v_add_f32_e32 v20, v35, v20
	v_add_f32_e32 v27, v36, v27
	;; [unrolled: 1-line block ×3, first 2 shown]
	s_waitcnt lgkmcnt(0)
	v_mul_f32_e32 v19, v31, v16
	v_fma_f32 v19, v30, v15, -v19
	v_mul_f32_e32 v21, v30, v16
	v_add_f32_e32 v29, v20, v19
	v_mul_f32_e32 v19, v31, v18
	v_mul_f32_e32 v20, v30, v18
	v_fmac_f32_e32 v21, v31, v15
	v_fma_f32 v19, v30, v17, -v19
	v_fmac_f32_e32 v20, v31, v17
	v_add_f32_e32 v27, v27, v21
	v_add_f32_e32 v26, v26, v19
	;; [unrolled: 1-line block ×3, first 2 shown]
	ds_read_b128 v[19:22], v14 offset:1056
	s_waitcnt lgkmcnt(0)
	v_mul_f32_e32 v30, v20, v16
	v_mul_f32_e32 v16, v19, v16
	v_fmac_f32_e32 v16, v20, v15
	v_fma_f32 v30, v19, v15, -v30
	v_add_f32_e32 v25, v25, v16
	v_mul_f32_e32 v15, v20, v18
	v_mul_f32_e32 v16, v19, v18
	v_fma_f32 v15, v19, v17, -v15
	v_fmac_f32_e32 v16, v20, v17
	v_add_f32_e32 v19, v28, v15
	v_add_f32_e32 v10, v10, v16
	ds_read2_b64 v[15:18], v13 offset0:160 offset1:176
	v_add_f32_e32 v24, v24, v30
	s_waitcnt lgkmcnt(0)
	v_mul_f32_e32 v28, v32, v16
	v_fmac_f32_e32 v28, v33, v15
	v_add_f32_e32 v27, v27, v28
	v_mul_f32_e32 v28, v33, v18
	v_fma_f32 v28, v32, v17, -v28
	v_mul_f32_e32 v20, v33, v16
	v_add_f32_e32 v26, v26, v28
	v_mul_f32_e32 v28, v22, v16
	v_mul_f32_e32 v16, v21, v16
	v_fmac_f32_e32 v16, v22, v15
	v_fma_f32 v20, v32, v15, -v20
	v_fma_f32 v28, v21, v15, -v28
	v_add_f32_e32 v25, v25, v16
	v_mul_f32_e32 v15, v22, v18
	v_mul_f32_e32 v16, v21, v18
	v_add_f32_e32 v20, v29, v20
	v_mul_f32_e32 v29, v32, v18
	v_fma_f32 v15, v21, v17, -v15
	v_fmac_f32_e32 v16, v22, v17
	v_fmac_f32_e32 v29, v33, v17
	v_add_f32_e32 v19, v19, v15
	v_add_f32_e32 v10, v10, v16
	ds_read2_b64 v[15:18], v13 offset0:192 offset1:208
	v_add_f32_e32 v24, v24, v28
	v_add_f32_e32 v23, v23, v29
	s_waitcnt lgkmcnt(0)
	v_mul_f32_e32 v21, v3, v16
	v_fma_f32 v21, v2, v15, -v21
	v_add_f32_e32 v28, v20, v21
	v_mul_f32_e32 v20, v3, v18
	v_mul_f32_e32 v22, v2, v16
	v_fma_f32 v20, v2, v17, -v20
	v_mul_f32_e32 v2, v2, v18
	v_fmac_f32_e32 v22, v3, v15
	v_fmac_f32_e32 v2, v3, v17
	v_add_f32_e32 v29, v27, v22
	v_add_f32_e32 v3, v26, v20
	;; [unrolled: 1-line block ×3, first 2 shown]
	ds_read_b128 v[20:23], v14 offset:1072
	s_waitcnt lgkmcnt(0)
	v_mul_f32_e32 v26, v21, v16
	v_fma_f32 v26, v20, v15, -v26
	v_mul_f32_e32 v16, v20, v16
	v_fmac_f32_e32 v16, v21, v15
	v_add_f32_e32 v15, v24, v26
	v_mul_f32_e32 v24, v21, v18
	v_fma_f32 v24, v20, v17, -v24
	v_add_f32_e32 v16, v25, v16
	v_add_f32_e32 v30, v19, v24
	ds_read2_b64 v[24:27], v13 offset0:224 offset1:240
	v_mul_f32_e32 v18, v20, v18
	v_fmac_f32_e32 v18, v21, v17
	v_add_f32_e32 v10, v10, v18
	s_waitcnt lgkmcnt(0)
	v_mul_f32_e32 v17, v5, v25
	v_fma_f32 v17, v4, v24, -v17
	v_add_f32_e32 v20, v28, v17
	v_mul_f32_e32 v17, v5, v27
	v_mul_f32_e32 v18, v4, v25
	v_fma_f32 v17, v4, v26, -v17
	v_mul_f32_e32 v4, v4, v27
	v_fmac_f32_e32 v18, v5, v24
	v_fmac_f32_e32 v4, v5, v26
	v_add_f32_e32 v21, v29, v18
	v_add_f32_e32 v19, v3, v17
	;; [unrolled: 1-line block ×3, first 2 shown]
	v_mul_f32_e32 v2, v23, v25
	v_mul_f32_e32 v3, v22, v25
	v_fma_f32 v2, v22, v24, -v2
	v_fmac_f32_e32 v3, v23, v24
	v_add_f32_e32 v17, v15, v2
	v_add_f32_e32 v16, v16, v3
	v_mul_f32_e32 v2, v23, v27
	v_mul_f32_e32 v3, v22, v27
	v_fma_f32 v2, v22, v26, -v2
	v_fmac_f32_e32 v3, v23, v26
	v_add_f32_e32 v15, v30, v2
	v_add_f32_e32 v10, v10, v3
	s_barrier
	s_cbranch_scc0 .LBB773_2
	s_branch .LBB773_4
.LBB773_3:
	v_mov_b32_e32 v20, 0
	v_mov_b32_e32 v21, 0
	;; [unrolled: 1-line block ×8, first 2 shown]
.LBB773_4:
	s_load_dword s6, s[4:5], 0x40
	v_add_u32_e32 v5, s3, v1
	s_waitcnt lgkmcnt(0)
	v_mov_b32_e32 v3, s11
	v_add_u32_e32 v0, s2, v0
	v_mad_i64_i32 v[1:2], s[0:1], v5, s6, 0
	v_cmp_le_i32_e64 s[0:1], v5, v0
	v_lshlrev_b64 v[1:2], 3, v[1:2]
	v_add_co_u32_e32 v4, vcc, s10, v1
	v_addc_co_u32_e32 v6, vcc, v3, v2, vcc
	v_cmp_gt_i32_e32 vcc, s12, v0
	s_and_b64 s[0:1], s[0:1], vcc
	s_and_saveexec_b64 s[2:3], s[0:1]
	s_cbranch_execz .LBB773_7
; %bb.5:
	v_ashrrev_i32_e32 v1, 31, v0
	v_lshlrev_b64 v[1:2], 3, v[0:1]
	v_add_co_u32_e64 v1, s[0:1], v4, v1
	v_addc_co_u32_e64 v2, s[0:1], v6, v2, s[0:1]
	flat_load_dwordx2 v[7:8], v[1:2]
	v_cmp_eq_u32_e64 s[0:1], v5, v0
	s_waitcnt vmcnt(0) lgkmcnt(0)
	v_add_f32_e32 v7, v20, v7
	v_add_f32_e32 v8, v21, v8
	flat_store_dwordx2 v[1:2], v[7:8]
	s_and_b64 exec, exec, s[0:1]
	s_cbranch_execz .LBB773_7
; %bb.6:
	v_mov_b32_e32 v3, 0
	flat_store_dword v[1:2], v3 offset:4
.LBB773_7:
	s_or_b64 exec, exec, s[2:3]
	v_add_u32_e32 v2, 16, v0
	v_cmp_le_i32_e64 s[2:3], v5, v2
	v_cmp_gt_i32_e64 s[0:1], s12, v2
	s_and_b64 s[2:3], s[2:3], s[0:1]
	s_and_saveexec_b64 s[4:5], s[2:3]
	s_cbranch_execz .LBB773_10
; %bb.8:
	v_ashrrev_i32_e32 v3, 31, v2
	v_lshlrev_b64 v[7:8], 3, v[2:3]
	v_add_co_u32_e64 v3, s[2:3], v4, v7
	v_addc_co_u32_e64 v4, s[2:3], v6, v8, s[2:3]
	flat_load_dwordx2 v[6:7], v[3:4]
	v_cmp_eq_u32_e64 s[2:3], v5, v2
	s_waitcnt vmcnt(0) lgkmcnt(0)
	v_add_f32_e32 v6, v19, v6
	v_add_f32_e32 v7, v18, v7
	flat_store_dwordx2 v[3:4], v[6:7]
	s_and_b64 exec, exec, s[2:3]
	s_cbranch_execz .LBB773_10
; %bb.9:
	v_mov_b32_e32 v1, 0
	flat_store_dword v[3:4], v1 offset:4
.LBB773_10:
	s_or_b64 exec, exec, s[4:5]
	v_add_u32_e32 v8, 16, v5
	v_mad_i64_i32 v[3:4], s[2:3], v8, s6, 0
	v_mov_b32_e32 v1, s11
	v_lshlrev_b64 v[3:4], 3, v[3:4]
	v_add_co_u32_e64 v6, s[2:3], s10, v3
	v_addc_co_u32_e64 v7, s[2:3], v1, v4, s[2:3]
	v_cmp_le_i32_e64 s[2:3], v8, v0
	s_and_b64 s[4:5], s[2:3], vcc
	s_and_saveexec_b64 s[2:3], s[4:5]
	s_cbranch_execz .LBB773_13
; %bb.11:
	v_ashrrev_i32_e32 v1, 31, v0
	v_lshlrev_b64 v[3:4], 3, v[0:1]
	v_add_co_u32_e32 v3, vcc, v6, v3
	v_addc_co_u32_e32 v4, vcc, v7, v4, vcc
	flat_load_dwordx2 v[11:12], v[3:4]
	v_cmp_eq_u32_e32 vcc, v8, v0
	s_waitcnt vmcnt(0) lgkmcnt(0)
	v_add_f32_e32 v11, v17, v11
	v_add_f32_e32 v12, v16, v12
	flat_store_dwordx2 v[3:4], v[11:12]
	s_and_b64 exec, exec, vcc
	s_cbranch_execz .LBB773_13
; %bb.12:
	v_mov_b32_e32 v1, 0
	flat_store_dword v[3:4], v1 offset:4
.LBB773_13:
	s_or_b64 exec, exec, s[2:3]
	v_cmp_le_i32_e32 vcc, v8, v2
	s_and_b64 s[0:1], vcc, s[0:1]
	s_and_saveexec_b64 s[2:3], s[0:1]
	s_cbranch_execz .LBB773_16
; %bb.14:
	v_ashrrev_i32_e32 v3, 31, v2
	v_lshlrev_b64 v[1:2], 3, v[2:3]
	v_add_co_u32_e32 v1, vcc, v6, v1
	v_addc_co_u32_e32 v2, vcc, v7, v2, vcc
	flat_load_dwordx2 v[3:4], v[1:2]
	v_cmp_eq_u32_e32 vcc, v5, v0
	s_waitcnt vmcnt(0) lgkmcnt(0)
	v_add_f32_e32 v3, v15, v3
	v_add_f32_e32 v4, v10, v4
	flat_store_dwordx2 v[1:2], v[3:4]
	s_and_b64 exec, exec, vcc
	s_cbranch_execz .LBB773_16
; %bb.15:
	v_mov_b32_e32 v0, 0
	flat_store_dword v[1:2], v0 offset:4
.LBB773_16:
	s_endpgm
	.section	.rodata,"a",@progbits
	.p2align	6, 0x0
	.amdhsa_kernel _ZL37rocblas_syrkx_herkx_restricted_kernelIi19rocblas_complex_numIfELi16ELi32ELi8ELi1ELi1ELb1ELc67ELc76EKPKS1_KPS1_EviT_PT9_S7_lS9_S7_lPT10_S7_li
		.amdhsa_group_segment_fixed_size 4096
		.amdhsa_private_segment_fixed_size 0
		.amdhsa_kernarg_size 84
		.amdhsa_user_sgpr_count 6
		.amdhsa_user_sgpr_private_segment_buffer 1
		.amdhsa_user_sgpr_dispatch_ptr 0
		.amdhsa_user_sgpr_queue_ptr 0
		.amdhsa_user_sgpr_kernarg_segment_ptr 1
		.amdhsa_user_sgpr_dispatch_id 0
		.amdhsa_user_sgpr_flat_scratch_init 0
		.amdhsa_user_sgpr_private_segment_size 0
		.amdhsa_uses_dynamic_stack 0
		.amdhsa_system_sgpr_private_segment_wavefront_offset 0
		.amdhsa_system_sgpr_workgroup_id_x 1
		.amdhsa_system_sgpr_workgroup_id_y 1
		.amdhsa_system_sgpr_workgroup_id_z 1
		.amdhsa_system_sgpr_workgroup_info 0
		.amdhsa_system_vgpr_workitem_id 1
		.amdhsa_next_free_vgpr 41
		.amdhsa_next_free_sgpr 17
		.amdhsa_reserve_vcc 1
		.amdhsa_reserve_flat_scratch 0
		.amdhsa_float_round_mode_32 0
		.amdhsa_float_round_mode_16_64 0
		.amdhsa_float_denorm_mode_32 3
		.amdhsa_float_denorm_mode_16_64 3
		.amdhsa_dx10_clamp 1
		.amdhsa_ieee_mode 1
		.amdhsa_fp16_overflow 0
		.amdhsa_exception_fp_ieee_invalid_op 0
		.amdhsa_exception_fp_denorm_src 0
		.amdhsa_exception_fp_ieee_div_zero 0
		.amdhsa_exception_fp_ieee_overflow 0
		.amdhsa_exception_fp_ieee_underflow 0
		.amdhsa_exception_fp_ieee_inexact 0
		.amdhsa_exception_int_div_zero 0
	.end_amdhsa_kernel
	.section	.text._ZL37rocblas_syrkx_herkx_restricted_kernelIi19rocblas_complex_numIfELi16ELi32ELi8ELi1ELi1ELb1ELc67ELc76EKPKS1_KPS1_EviT_PT9_S7_lS9_S7_lPT10_S7_li,"axG",@progbits,_ZL37rocblas_syrkx_herkx_restricted_kernelIi19rocblas_complex_numIfELi16ELi32ELi8ELi1ELi1ELb1ELc67ELc76EKPKS1_KPS1_EviT_PT9_S7_lS9_S7_lPT10_S7_li,comdat
.Lfunc_end773:
	.size	_ZL37rocblas_syrkx_herkx_restricted_kernelIi19rocblas_complex_numIfELi16ELi32ELi8ELi1ELi1ELb1ELc67ELc76EKPKS1_KPS1_EviT_PT9_S7_lS9_S7_lPT10_S7_li, .Lfunc_end773-_ZL37rocblas_syrkx_herkx_restricted_kernelIi19rocblas_complex_numIfELi16ELi32ELi8ELi1ELi1ELb1ELc67ELc76EKPKS1_KPS1_EviT_PT9_S7_lS9_S7_lPT10_S7_li
                                        ; -- End function
	.set _ZL37rocblas_syrkx_herkx_restricted_kernelIi19rocblas_complex_numIfELi16ELi32ELi8ELi1ELi1ELb1ELc67ELc76EKPKS1_KPS1_EviT_PT9_S7_lS9_S7_lPT10_S7_li.num_vgpr, 41
	.set _ZL37rocblas_syrkx_herkx_restricted_kernelIi19rocblas_complex_numIfELi16ELi32ELi8ELi1ELi1ELb1ELc67ELc76EKPKS1_KPS1_EviT_PT9_S7_lS9_S7_lPT10_S7_li.num_agpr, 0
	.set _ZL37rocblas_syrkx_herkx_restricted_kernelIi19rocblas_complex_numIfELi16ELi32ELi8ELi1ELi1ELb1ELc67ELc76EKPKS1_KPS1_EviT_PT9_S7_lS9_S7_lPT10_S7_li.numbered_sgpr, 17
	.set _ZL37rocblas_syrkx_herkx_restricted_kernelIi19rocblas_complex_numIfELi16ELi32ELi8ELi1ELi1ELb1ELc67ELc76EKPKS1_KPS1_EviT_PT9_S7_lS9_S7_lPT10_S7_li.num_named_barrier, 0
	.set _ZL37rocblas_syrkx_herkx_restricted_kernelIi19rocblas_complex_numIfELi16ELi32ELi8ELi1ELi1ELb1ELc67ELc76EKPKS1_KPS1_EviT_PT9_S7_lS9_S7_lPT10_S7_li.private_seg_size, 0
	.set _ZL37rocblas_syrkx_herkx_restricted_kernelIi19rocblas_complex_numIfELi16ELi32ELi8ELi1ELi1ELb1ELc67ELc76EKPKS1_KPS1_EviT_PT9_S7_lS9_S7_lPT10_S7_li.uses_vcc, 1
	.set _ZL37rocblas_syrkx_herkx_restricted_kernelIi19rocblas_complex_numIfELi16ELi32ELi8ELi1ELi1ELb1ELc67ELc76EKPKS1_KPS1_EviT_PT9_S7_lS9_S7_lPT10_S7_li.uses_flat_scratch, 0
	.set _ZL37rocblas_syrkx_herkx_restricted_kernelIi19rocblas_complex_numIfELi16ELi32ELi8ELi1ELi1ELb1ELc67ELc76EKPKS1_KPS1_EviT_PT9_S7_lS9_S7_lPT10_S7_li.has_dyn_sized_stack, 0
	.set _ZL37rocblas_syrkx_herkx_restricted_kernelIi19rocblas_complex_numIfELi16ELi32ELi8ELi1ELi1ELb1ELc67ELc76EKPKS1_KPS1_EviT_PT9_S7_lS9_S7_lPT10_S7_li.has_recursion, 0
	.set _ZL37rocblas_syrkx_herkx_restricted_kernelIi19rocblas_complex_numIfELi16ELi32ELi8ELi1ELi1ELb1ELc67ELc76EKPKS1_KPS1_EviT_PT9_S7_lS9_S7_lPT10_S7_li.has_indirect_call, 0
	.section	.AMDGPU.csdata,"",@progbits
; Kernel info:
; codeLenInByte = 2012
; TotalNumSgprs: 21
; NumVgprs: 41
; ScratchSize: 0
; MemoryBound: 0
; FloatMode: 240
; IeeeMode: 1
; LDSByteSize: 4096 bytes/workgroup (compile time only)
; SGPRBlocks: 2
; VGPRBlocks: 10
; NumSGPRsForWavesPerEU: 21
; NumVGPRsForWavesPerEU: 41
; Occupancy: 5
; WaveLimiterHint : 1
; COMPUTE_PGM_RSRC2:SCRATCH_EN: 0
; COMPUTE_PGM_RSRC2:USER_SGPR: 6
; COMPUTE_PGM_RSRC2:TRAP_HANDLER: 0
; COMPUTE_PGM_RSRC2:TGID_X_EN: 1
; COMPUTE_PGM_RSRC2:TGID_Y_EN: 1
; COMPUTE_PGM_RSRC2:TGID_Z_EN: 1
; COMPUTE_PGM_RSRC2:TIDIG_COMP_CNT: 1
	.section	.text._ZL37rocblas_syrkx_herkx_restricted_kernelIi19rocblas_complex_numIfELi16ELi32ELi8ELi1ELi1ELb1ELc78ELc76EKPKS1_KPS1_EviT_PT9_S7_lS9_S7_lPT10_S7_li,"axG",@progbits,_ZL37rocblas_syrkx_herkx_restricted_kernelIi19rocblas_complex_numIfELi16ELi32ELi8ELi1ELi1ELb1ELc78ELc76EKPKS1_KPS1_EviT_PT9_S7_lS9_S7_lPT10_S7_li,comdat
	.globl	_ZL37rocblas_syrkx_herkx_restricted_kernelIi19rocblas_complex_numIfELi16ELi32ELi8ELi1ELi1ELb1ELc78ELc76EKPKS1_KPS1_EviT_PT9_S7_lS9_S7_lPT10_S7_li ; -- Begin function _ZL37rocblas_syrkx_herkx_restricted_kernelIi19rocblas_complex_numIfELi16ELi32ELi8ELi1ELi1ELb1ELc78ELc76EKPKS1_KPS1_EviT_PT9_S7_lS9_S7_lPT10_S7_li
	.p2align	8
	.type	_ZL37rocblas_syrkx_herkx_restricted_kernelIi19rocblas_complex_numIfELi16ELi32ELi8ELi1ELi1ELb1ELc78ELc76EKPKS1_KPS1_EviT_PT9_S7_lS9_S7_lPT10_S7_li,@function
_ZL37rocblas_syrkx_herkx_restricted_kernelIi19rocblas_complex_numIfELi16ELi32ELi8ELi1ELi1ELb1ELc78ELc76EKPKS1_KPS1_EviT_PT9_S7_lS9_S7_lPT10_S7_li: ; @_ZL37rocblas_syrkx_herkx_restricted_kernelIi19rocblas_complex_numIfELi16ELi32ELi8ELi1ELi1ELb1ELc78ELc76EKPKS1_KPS1_EviT_PT9_S7_lS9_S7_lPT10_S7_li
; %bb.0:
	s_load_dwordx2 s[2:3], s[4:5], 0x38
	s_load_dwordx2 s[12:13], s[4:5], 0x0
	s_mov_b32 s9, 0
	s_lshl_b64 s[0:1], s[8:9], 3
	s_waitcnt lgkmcnt(0)
	s_add_u32 s2, s2, s0
	s_addc_u32 s3, s3, s1
	s_load_dwordx2 s[10:11], s[2:3], 0x0
	s_lshl_b32 s6, s6, 5
	s_lshl_b32 s7, s7, 5
	s_cmp_lt_i32 s13, 1
	s_cbranch_scc1 .LBB774_3
; %bb.1:
	s_load_dword s2, s[4:5], 0x10
	s_load_dword s14, s[4:5], 0x28
	s_load_dwordx2 s[16:17], s[4:5], 0x20
	s_load_dwordx2 s[18:19], s[4:5], 0x8
	v_lshl_add_u32 v5, v1, 4, v0
	s_waitcnt lgkmcnt(0)
	s_ashr_i32 s3, s2, 31
	s_ashr_i32 s15, s14, 31
	v_lshrrev_b32_e32 v6, 3, v5
	s_add_u32 s18, s18, s0
	s_addc_u32 s19, s19, s1
	s_add_u32 s0, s16, s0
	v_add_u32_e32 v2, s7, v6
	s_addc_u32 s1, s17, s1
	v_and_b32_e32 v4, 7, v0
	v_ashrrev_i32_e32 v3, 31, v2
	s_load_dwordx2 s[16:17], s[0:1], 0x0
	v_mad_i64_i32 v[2:3], s[0:1], s14, v4, v[2:3]
	v_lshlrev_b32_e32 v4, 3, v4
	v_lshrrev_b32_e32 v7, 5, v5
	v_and_b32_e32 v5, 31, v5
	v_lshl_or_b32 v4, v6, 6, v4
	v_add_u32_e32 v11, 0x800, v4
	v_add_u32_e32 v4, s6, v5
	v_lshlrev_b32_e32 v8, 3, v5
	v_ashrrev_i32_e32 v5, 31, v4
	v_mad_i64_i32 v[4:5], s[0:1], s2, v7, v[4:5]
	s_load_dwordx2 s[18:19], s[18:19], 0x0
	v_mov_b32_e32 v6, 0x800
	v_lshlrev_b64 v[4:5], 3, v[4:5]
	v_lshl_or_b32 v10, v7, 8, v8
	v_lshl_add_u32 v13, v1, 6, v6
	s_waitcnt lgkmcnt(0)
	v_mov_b32_e32 v7, s19
	v_add_co_u32_e32 v6, vcc, s18, v4
	v_lshlrev_b64 v[2:3], 3, v[2:3]
	v_addc_co_u32_e32 v7, vcc, v7, v5, vcc
	s_lshl_b64 s[0:1], s[2:3], 6
	v_mov_b32_e32 v4, s17
	v_add_co_u32_e32 v8, vcc, s16, v2
	s_lshl_b64 s[2:3], s[14:15], 6
	v_lshlrev_b32_e32 v12, 3, v0
	v_addc_co_u32_e32 v9, vcc, v4, v3, vcc
	v_mov_b32_e32 v16, 0
	v_mov_b32_e32 v14, s1
	;; [unrolled: 1-line block ×10, first 2 shown]
.LBB774_2:                              ; =>This Inner Loop Header: Depth=1
	flat_load_dwordx2 v[2:3], v[6:7]
	v_add_co_u32_e32 v6, vcc, s0, v6
	v_addc_co_u32_e32 v7, vcc, v7, v14, vcc
	s_add_i32 s9, s9, 8
	s_cmp_ge_i32 s9, s13
	s_waitcnt vmcnt(0) lgkmcnt(0)
	ds_write_b64 v10, v[2:3]
	flat_load_dwordx2 v[2:3], v[8:9]
	v_add_co_u32_e32 v8, vcc, s2, v8
	v_addc_co_u32_e32 v9, vcc, v9, v15, vcc
	s_waitcnt vmcnt(0) lgkmcnt(0)
	v_xor_b32_e32 v3, 0x80000000, v3
	ds_write_b64 v11, v[2:3]
	s_waitcnt lgkmcnt(0)
	s_barrier
	ds_read_b128 v[24:27], v13
	ds_read_b128 v[28:31], v13 offset:16
	ds_read_b128 v[32:35], v13 offset:32
	ds_read_b128 v[2:5], v13 offset:48
	ds_read2_b64 v[36:39], v12 offset1:16
	s_waitcnt lgkmcnt(0)
	v_mul_f32_e32 v40, v25, v37
	v_mul_f32_e32 v41, v24, v37
	v_fma_f32 v40, v24, v36, -v40
	v_fmac_f32_e32 v41, v25, v36
	v_add_f32_e32 v40, v22, v40
	v_add_f32_e32 v41, v23, v41
	v_mul_f32_e32 v22, v25, v39
	v_mul_f32_e32 v23, v24, v39
	v_fma_f32 v22, v24, v38, -v22
	v_fmac_f32_e32 v23, v25, v38
	v_add_f32_e32 v24, v21, v22
	v_add_f32_e32 v25, v20, v23
	ds_read_b128 v[20:23], v13 offset:1024
	s_waitcnt lgkmcnt(0)
	v_mul_f32_e32 v42, v21, v37
	v_mul_f32_e32 v37, v20, v37
	v_fma_f32 v42, v20, v36, -v42
	v_fmac_f32_e32 v37, v21, v36
	v_add_f32_e32 v36, v19, v42
	v_add_f32_e32 v37, v18, v37
	v_mul_f32_e32 v18, v21, v39
	v_mul_f32_e32 v19, v20, v39
	v_fma_f32 v18, v20, v38, -v18
	v_fmac_f32_e32 v19, v21, v38
	v_add_f32_e32 v20, v17, v18
	v_add_f32_e32 v21, v16, v19
	ds_read2_b64 v[16:19], v12 offset0:32 offset1:48
	s_waitcnt lgkmcnt(0)
	v_mul_f32_e32 v38, v27, v17
	v_fma_f32 v38, v26, v16, -v38
	v_add_f32_e32 v38, v40, v38
	v_mul_f32_e32 v40, v27, v19
	v_mul_f32_e32 v39, v26, v17
	v_fma_f32 v40, v26, v18, -v40
	v_mul_f32_e32 v26, v26, v19
	v_fmac_f32_e32 v26, v27, v18
	v_add_f32_e32 v25, v25, v26
	v_mul_f32_e32 v26, v23, v17
	v_mul_f32_e32 v17, v22, v17
	v_fmac_f32_e32 v17, v23, v16
	v_fmac_f32_e32 v39, v27, v16
	v_fma_f32 v26, v22, v16, -v26
	v_add_f32_e32 v27, v37, v17
	v_mul_f32_e32 v16, v23, v19
	v_mul_f32_e32 v17, v22, v19
	v_fma_f32 v16, v22, v18, -v16
	v_fmac_f32_e32 v17, v23, v18
	v_add_f32_e32 v26, v36, v26
	v_add_f32_e32 v36, v20, v16
	;; [unrolled: 1-line block ×3, first 2 shown]
	ds_read2_b64 v[16:19], v12 offset0:64 offset1:80
	v_add_f32_e32 v39, v41, v39
	v_add_f32_e32 v24, v24, v40
	s_waitcnt lgkmcnt(0)
	v_mul_f32_e32 v20, v29, v17
	v_mul_f32_e32 v21, v28, v17
	v_fma_f32 v20, v28, v16, -v20
	v_fmac_f32_e32 v21, v29, v16
	v_add_f32_e32 v38, v38, v20
	v_add_f32_e32 v39, v39, v21
	v_mul_f32_e32 v20, v29, v19
	v_mul_f32_e32 v21, v28, v19
	v_fma_f32 v20, v28, v18, -v20
	v_fmac_f32_e32 v21, v29, v18
	v_add_f32_e32 v24, v24, v20
	v_add_f32_e32 v25, v25, v21
	ds_read_b128 v[20:23], v13 offset:1040
	s_waitcnt lgkmcnt(0)
	v_mul_f32_e32 v28, v21, v17
	v_mul_f32_e32 v17, v20, v17
	v_fmac_f32_e32 v17, v21, v16
	v_fma_f32 v28, v20, v16, -v28
	v_add_f32_e32 v27, v27, v17
	v_mul_f32_e32 v16, v21, v19
	v_mul_f32_e32 v17, v20, v19
	v_fma_f32 v16, v20, v18, -v16
	v_fmac_f32_e32 v17, v21, v18
	v_add_f32_e32 v20, v36, v16
	v_add_f32_e32 v21, v37, v17
	ds_read2_b64 v[16:19], v12 offset0:96 offset1:112
	v_add_f32_e32 v26, v26, v28
	s_waitcnt lgkmcnt(0)
	v_mul_f32_e32 v28, v31, v17
	v_mul_f32_e32 v36, v31, v19
	v_fma_f32 v28, v30, v16, -v28
	v_mul_f32_e32 v29, v30, v17
	v_fma_f32 v36, v30, v18, -v36
	v_mul_f32_e32 v30, v30, v19
	v_fmac_f32_e32 v30, v31, v18
	v_add_f32_e32 v25, v25, v30
	v_mul_f32_e32 v30, v23, v17
	v_mul_f32_e32 v17, v22, v17
	v_fmac_f32_e32 v17, v23, v16
	v_fmac_f32_e32 v29, v31, v16
	v_fma_f32 v30, v22, v16, -v30
	v_add_f32_e32 v27, v27, v17
	v_mul_f32_e32 v16, v23, v19
	v_mul_f32_e32 v17, v22, v19
	v_fma_f32 v16, v22, v18, -v16
	v_fmac_f32_e32 v17, v23, v18
	v_add_f32_e32 v26, v26, v30
	v_add_f32_e32 v30, v20, v16
	;; [unrolled: 1-line block ×3, first 2 shown]
	ds_read2_b64 v[16:19], v12 offset0:128 offset1:144
	v_add_f32_e32 v28, v38, v28
	v_add_f32_e32 v29, v39, v29
	;; [unrolled: 1-line block ×3, first 2 shown]
	s_waitcnt lgkmcnt(0)
	v_mul_f32_e32 v20, v33, v17
	v_mul_f32_e32 v21, v32, v17
	v_fma_f32 v20, v32, v16, -v20
	v_fmac_f32_e32 v21, v33, v16
	v_add_f32_e32 v28, v28, v20
	v_add_f32_e32 v29, v29, v21
	v_mul_f32_e32 v20, v33, v19
	v_mul_f32_e32 v21, v32, v19
	v_fma_f32 v20, v32, v18, -v20
	v_fmac_f32_e32 v21, v33, v18
	v_add_f32_e32 v24, v24, v20
	v_add_f32_e32 v25, v25, v21
	ds_read_b128 v[20:23], v13 offset:1056
	s_waitcnt lgkmcnt(0)
	v_mul_f32_e32 v32, v21, v17
	v_mul_f32_e32 v17, v20, v17
	v_fmac_f32_e32 v17, v21, v16
	v_fma_f32 v32, v20, v16, -v32
	v_add_f32_e32 v27, v27, v17
	v_mul_f32_e32 v16, v21, v19
	v_mul_f32_e32 v17, v20, v19
	v_fma_f32 v16, v20, v18, -v16
	v_fmac_f32_e32 v17, v21, v18
	v_add_f32_e32 v20, v30, v16
	v_add_f32_e32 v21, v31, v17
	ds_read2_b64 v[16:19], v12 offset0:160 offset1:176
	v_add_f32_e32 v26, v26, v32
	s_waitcnt lgkmcnt(0)
	v_mul_f32_e32 v30, v35, v17
	v_fma_f32 v30, v34, v16, -v30
	v_add_f32_e32 v28, v28, v30
	v_mul_f32_e32 v30, v35, v19
	v_fma_f32 v30, v34, v18, -v30
	v_mul_f32_e32 v31, v34, v17
	v_add_f32_e32 v24, v24, v30
	v_mul_f32_e32 v30, v23, v17
	v_mul_f32_e32 v17, v22, v17
	v_fmac_f32_e32 v17, v23, v16
	v_fmac_f32_e32 v31, v35, v16
	v_fma_f32 v30, v22, v16, -v30
	v_add_f32_e32 v27, v27, v17
	v_mul_f32_e32 v16, v23, v19
	v_mul_f32_e32 v17, v22, v19
	v_add_f32_e32 v29, v29, v31
	v_mul_f32_e32 v31, v34, v19
	v_fma_f32 v16, v22, v18, -v16
	v_fmac_f32_e32 v17, v23, v18
	v_fmac_f32_e32 v31, v35, v18
	v_add_f32_e32 v20, v20, v16
	v_add_f32_e32 v21, v21, v17
	ds_read2_b64 v[16:19], v12 offset0:192 offset1:208
	v_add_f32_e32 v26, v26, v30
	v_add_f32_e32 v25, v25, v31
	s_waitcnt lgkmcnt(0)
	v_mul_f32_e32 v22, v3, v17
	v_fma_f32 v22, v2, v16, -v22
	v_add_f32_e32 v30, v28, v22
	v_mul_f32_e32 v22, v3, v19
	v_mul_f32_e32 v23, v2, v17
	v_fma_f32 v22, v2, v18, -v22
	v_mul_f32_e32 v2, v2, v19
	v_fmac_f32_e32 v23, v3, v16
	v_fmac_f32_e32 v2, v3, v18
	v_add_f32_e32 v31, v29, v23
	v_add_f32_e32 v3, v24, v22
	;; [unrolled: 1-line block ×3, first 2 shown]
	ds_read_b128 v[22:25], v13 offset:1072
	s_waitcnt lgkmcnt(0)
	v_mul_f32_e32 v28, v23, v17
	v_fma_f32 v28, v22, v16, -v28
	v_mul_f32_e32 v17, v22, v17
	v_fmac_f32_e32 v17, v23, v16
	v_add_f32_e32 v16, v26, v28
	v_mul_f32_e32 v26, v23, v19
	v_fma_f32 v26, v22, v18, -v26
	v_add_f32_e32 v17, v27, v17
	v_add_f32_e32 v32, v20, v26
	ds_read2_b64 v[26:29], v12 offset0:224 offset1:240
	v_mul_f32_e32 v19, v22, v19
	v_fmac_f32_e32 v19, v23, v18
	v_add_f32_e32 v33, v21, v19
	s_waitcnt lgkmcnt(0)
	v_mul_f32_e32 v18, v5, v27
	v_fma_f32 v18, v4, v26, -v18
	v_add_f32_e32 v22, v30, v18
	v_mul_f32_e32 v18, v5, v29
	v_mul_f32_e32 v19, v4, v27
	v_fma_f32 v18, v4, v28, -v18
	v_mul_f32_e32 v4, v4, v29
	v_fmac_f32_e32 v4, v5, v28
	v_add_f32_e32 v21, v3, v18
	v_add_f32_e32 v20, v2, v4
	v_mul_f32_e32 v2, v25, v27
	v_mul_f32_e32 v3, v24, v27
	v_fmac_f32_e32 v19, v5, v26
	v_fma_f32 v2, v24, v26, -v2
	v_fmac_f32_e32 v3, v25, v26
	v_add_f32_e32 v23, v31, v19
	v_add_f32_e32 v19, v16, v2
	;; [unrolled: 1-line block ×3, first 2 shown]
	v_mul_f32_e32 v2, v25, v29
	v_mul_f32_e32 v3, v24, v29
	v_fma_f32 v2, v24, v28, -v2
	v_fmac_f32_e32 v3, v25, v28
	v_add_f32_e32 v17, v32, v2
	v_add_f32_e32 v16, v33, v3
	s_barrier
	s_cbranch_scc0 .LBB774_2
	s_branch .LBB774_4
.LBB774_3:
	v_mov_b32_e32 v22, 0
	v_mov_b32_e32 v23, 0
	;; [unrolled: 1-line block ×8, first 2 shown]
.LBB774_4:
	s_load_dword s8, s[4:5], 0x40
	v_add_u32_e32 v5, s7, v1
	s_waitcnt lgkmcnt(0)
	v_mov_b32_e32 v3, s11
	v_add_u32_e32 v0, s6, v0
	v_mad_i64_i32 v[1:2], s[0:1], v5, s8, 0
	v_cmp_le_i32_e64 s[0:1], v5, v0
	v_lshlrev_b64 v[1:2], 3, v[1:2]
	v_add_co_u32_e32 v4, vcc, s10, v1
	v_addc_co_u32_e32 v6, vcc, v3, v2, vcc
	v_cmp_gt_i32_e32 vcc, s12, v0
	s_and_b64 s[0:1], s[0:1], vcc
	s_and_saveexec_b64 s[2:3], s[0:1]
	s_cbranch_execz .LBB774_7
; %bb.5:
	v_ashrrev_i32_e32 v1, 31, v0
	v_lshlrev_b64 v[1:2], 3, v[0:1]
	v_add_co_u32_e64 v1, s[0:1], v4, v1
	v_addc_co_u32_e64 v2, s[0:1], v6, v2, s[0:1]
	flat_load_dwordx2 v[7:8], v[1:2]
	v_cmp_eq_u32_e64 s[0:1], v5, v0
	s_waitcnt vmcnt(0) lgkmcnt(0)
	v_add_f32_e32 v7, v22, v7
	v_add_f32_e32 v8, v23, v8
	flat_store_dwordx2 v[1:2], v[7:8]
	s_and_b64 exec, exec, s[0:1]
	s_cbranch_execz .LBB774_7
; %bb.6:
	v_mov_b32_e32 v3, 0
	flat_store_dword v[1:2], v3 offset:4
.LBB774_7:
	s_or_b64 exec, exec, s[2:3]
	v_add_u32_e32 v2, 16, v0
	v_cmp_le_i32_e64 s[2:3], v5, v2
	v_cmp_gt_i32_e64 s[0:1], s12, v2
	s_and_b64 s[2:3], s[2:3], s[0:1]
	s_and_saveexec_b64 s[4:5], s[2:3]
	s_cbranch_execz .LBB774_10
; %bb.8:
	v_ashrrev_i32_e32 v3, 31, v2
	v_lshlrev_b64 v[7:8], 3, v[2:3]
	v_add_co_u32_e64 v3, s[2:3], v4, v7
	v_addc_co_u32_e64 v4, s[2:3], v6, v8, s[2:3]
	flat_load_dwordx2 v[6:7], v[3:4]
	v_cmp_eq_u32_e64 s[2:3], v5, v2
	s_waitcnt vmcnt(0) lgkmcnt(0)
	v_add_f32_e32 v6, v21, v6
	v_add_f32_e32 v7, v20, v7
	flat_store_dwordx2 v[3:4], v[6:7]
	s_and_b64 exec, exec, s[2:3]
	s_cbranch_execz .LBB774_10
; %bb.9:
	v_mov_b32_e32 v1, 0
	flat_store_dword v[3:4], v1 offset:4
.LBB774_10:
	s_or_b64 exec, exec, s[4:5]
	v_add_u32_e32 v8, 16, v5
	v_mad_i64_i32 v[3:4], s[2:3], v8, s8, 0
	v_mov_b32_e32 v1, s11
	v_lshlrev_b64 v[3:4], 3, v[3:4]
	v_add_co_u32_e64 v6, s[2:3], s10, v3
	v_addc_co_u32_e64 v7, s[2:3], v1, v4, s[2:3]
	v_cmp_le_i32_e64 s[2:3], v8, v0
	s_and_b64 s[4:5], s[2:3], vcc
	s_and_saveexec_b64 s[2:3], s[4:5]
	s_cbranch_execz .LBB774_13
; %bb.11:
	v_ashrrev_i32_e32 v1, 31, v0
	v_lshlrev_b64 v[3:4], 3, v[0:1]
	v_add_co_u32_e32 v3, vcc, v6, v3
	v_addc_co_u32_e32 v4, vcc, v7, v4, vcc
	flat_load_dwordx2 v[9:10], v[3:4]
	v_cmp_eq_u32_e32 vcc, v8, v0
	s_waitcnt vmcnt(0) lgkmcnt(0)
	v_add_f32_e32 v9, v19, v9
	v_add_f32_e32 v10, v18, v10
	flat_store_dwordx2 v[3:4], v[9:10]
	s_and_b64 exec, exec, vcc
	s_cbranch_execz .LBB774_13
; %bb.12:
	v_mov_b32_e32 v1, 0
	flat_store_dword v[3:4], v1 offset:4
.LBB774_13:
	s_or_b64 exec, exec, s[2:3]
	v_cmp_le_i32_e32 vcc, v8, v2
	s_and_b64 s[0:1], vcc, s[0:1]
	s_and_saveexec_b64 s[2:3], s[0:1]
	s_cbranch_execz .LBB774_16
; %bb.14:
	v_ashrrev_i32_e32 v3, 31, v2
	v_lshlrev_b64 v[1:2], 3, v[2:3]
	v_add_co_u32_e32 v1, vcc, v6, v1
	v_addc_co_u32_e32 v2, vcc, v7, v2, vcc
	flat_load_dwordx2 v[3:4], v[1:2]
	v_cmp_eq_u32_e32 vcc, v5, v0
	s_waitcnt vmcnt(0) lgkmcnt(0)
	v_add_f32_e32 v3, v17, v3
	v_add_f32_e32 v4, v16, v4
	flat_store_dwordx2 v[1:2], v[3:4]
	s_and_b64 exec, exec, vcc
	s_cbranch_execz .LBB774_16
; %bb.15:
	v_mov_b32_e32 v0, 0
	flat_store_dword v[1:2], v0 offset:4
.LBB774_16:
	s_endpgm
	.section	.rodata,"a",@progbits
	.p2align	6, 0x0
	.amdhsa_kernel _ZL37rocblas_syrkx_herkx_restricted_kernelIi19rocblas_complex_numIfELi16ELi32ELi8ELi1ELi1ELb1ELc78ELc76EKPKS1_KPS1_EviT_PT9_S7_lS9_S7_lPT10_S7_li
		.amdhsa_group_segment_fixed_size 4096
		.amdhsa_private_segment_fixed_size 0
		.amdhsa_kernarg_size 84
		.amdhsa_user_sgpr_count 6
		.amdhsa_user_sgpr_private_segment_buffer 1
		.amdhsa_user_sgpr_dispatch_ptr 0
		.amdhsa_user_sgpr_queue_ptr 0
		.amdhsa_user_sgpr_kernarg_segment_ptr 1
		.amdhsa_user_sgpr_dispatch_id 0
		.amdhsa_user_sgpr_flat_scratch_init 0
		.amdhsa_user_sgpr_private_segment_size 0
		.amdhsa_uses_dynamic_stack 0
		.amdhsa_system_sgpr_private_segment_wavefront_offset 0
		.amdhsa_system_sgpr_workgroup_id_x 1
		.amdhsa_system_sgpr_workgroup_id_y 1
		.amdhsa_system_sgpr_workgroup_id_z 1
		.amdhsa_system_sgpr_workgroup_info 0
		.amdhsa_system_vgpr_workitem_id 1
		.amdhsa_next_free_vgpr 43
		.amdhsa_next_free_sgpr 20
		.amdhsa_reserve_vcc 1
		.amdhsa_reserve_flat_scratch 0
		.amdhsa_float_round_mode_32 0
		.amdhsa_float_round_mode_16_64 0
		.amdhsa_float_denorm_mode_32 3
		.amdhsa_float_denorm_mode_16_64 3
		.amdhsa_dx10_clamp 1
		.amdhsa_ieee_mode 1
		.amdhsa_fp16_overflow 0
		.amdhsa_exception_fp_ieee_invalid_op 0
		.amdhsa_exception_fp_denorm_src 0
		.amdhsa_exception_fp_ieee_div_zero 0
		.amdhsa_exception_fp_ieee_overflow 0
		.amdhsa_exception_fp_ieee_underflow 0
		.amdhsa_exception_fp_ieee_inexact 0
		.amdhsa_exception_int_div_zero 0
	.end_amdhsa_kernel
	.section	.text._ZL37rocblas_syrkx_herkx_restricted_kernelIi19rocblas_complex_numIfELi16ELi32ELi8ELi1ELi1ELb1ELc78ELc76EKPKS1_KPS1_EviT_PT9_S7_lS9_S7_lPT10_S7_li,"axG",@progbits,_ZL37rocblas_syrkx_herkx_restricted_kernelIi19rocblas_complex_numIfELi16ELi32ELi8ELi1ELi1ELb1ELc78ELc76EKPKS1_KPS1_EviT_PT9_S7_lS9_S7_lPT10_S7_li,comdat
.Lfunc_end774:
	.size	_ZL37rocblas_syrkx_herkx_restricted_kernelIi19rocblas_complex_numIfELi16ELi32ELi8ELi1ELi1ELb1ELc78ELc76EKPKS1_KPS1_EviT_PT9_S7_lS9_S7_lPT10_S7_li, .Lfunc_end774-_ZL37rocblas_syrkx_herkx_restricted_kernelIi19rocblas_complex_numIfELi16ELi32ELi8ELi1ELi1ELb1ELc78ELc76EKPKS1_KPS1_EviT_PT9_S7_lS9_S7_lPT10_S7_li
                                        ; -- End function
	.set _ZL37rocblas_syrkx_herkx_restricted_kernelIi19rocblas_complex_numIfELi16ELi32ELi8ELi1ELi1ELb1ELc78ELc76EKPKS1_KPS1_EviT_PT9_S7_lS9_S7_lPT10_S7_li.num_vgpr, 43
	.set _ZL37rocblas_syrkx_herkx_restricted_kernelIi19rocblas_complex_numIfELi16ELi32ELi8ELi1ELi1ELb1ELc78ELc76EKPKS1_KPS1_EviT_PT9_S7_lS9_S7_lPT10_S7_li.num_agpr, 0
	.set _ZL37rocblas_syrkx_herkx_restricted_kernelIi19rocblas_complex_numIfELi16ELi32ELi8ELi1ELi1ELb1ELc78ELc76EKPKS1_KPS1_EviT_PT9_S7_lS9_S7_lPT10_S7_li.numbered_sgpr, 20
	.set _ZL37rocblas_syrkx_herkx_restricted_kernelIi19rocblas_complex_numIfELi16ELi32ELi8ELi1ELi1ELb1ELc78ELc76EKPKS1_KPS1_EviT_PT9_S7_lS9_S7_lPT10_S7_li.num_named_barrier, 0
	.set _ZL37rocblas_syrkx_herkx_restricted_kernelIi19rocblas_complex_numIfELi16ELi32ELi8ELi1ELi1ELb1ELc78ELc76EKPKS1_KPS1_EviT_PT9_S7_lS9_S7_lPT10_S7_li.private_seg_size, 0
	.set _ZL37rocblas_syrkx_herkx_restricted_kernelIi19rocblas_complex_numIfELi16ELi32ELi8ELi1ELi1ELb1ELc78ELc76EKPKS1_KPS1_EviT_PT9_S7_lS9_S7_lPT10_S7_li.uses_vcc, 1
	.set _ZL37rocblas_syrkx_herkx_restricted_kernelIi19rocblas_complex_numIfELi16ELi32ELi8ELi1ELi1ELb1ELc78ELc76EKPKS1_KPS1_EviT_PT9_S7_lS9_S7_lPT10_S7_li.uses_flat_scratch, 0
	.set _ZL37rocblas_syrkx_herkx_restricted_kernelIi19rocblas_complex_numIfELi16ELi32ELi8ELi1ELi1ELb1ELc78ELc76EKPKS1_KPS1_EviT_PT9_S7_lS9_S7_lPT10_S7_li.has_dyn_sized_stack, 0
	.set _ZL37rocblas_syrkx_herkx_restricted_kernelIi19rocblas_complex_numIfELi16ELi32ELi8ELi1ELi1ELb1ELc78ELc76EKPKS1_KPS1_EviT_PT9_S7_lS9_S7_lPT10_S7_li.has_recursion, 0
	.set _ZL37rocblas_syrkx_herkx_restricted_kernelIi19rocblas_complex_numIfELi16ELi32ELi8ELi1ELi1ELb1ELc78ELc76EKPKS1_KPS1_EviT_PT9_S7_lS9_S7_lPT10_S7_li.has_indirect_call, 0
	.section	.AMDGPU.csdata,"",@progbits
; Kernel info:
; codeLenInByte = 2040
; TotalNumSgprs: 24
; NumVgprs: 43
; ScratchSize: 0
; MemoryBound: 0
; FloatMode: 240
; IeeeMode: 1
; LDSByteSize: 4096 bytes/workgroup (compile time only)
; SGPRBlocks: 2
; VGPRBlocks: 10
; NumSGPRsForWavesPerEU: 24
; NumVGPRsForWavesPerEU: 43
; Occupancy: 5
; WaveLimiterHint : 1
; COMPUTE_PGM_RSRC2:SCRATCH_EN: 0
; COMPUTE_PGM_RSRC2:USER_SGPR: 6
; COMPUTE_PGM_RSRC2:TRAP_HANDLER: 0
; COMPUTE_PGM_RSRC2:TGID_X_EN: 1
; COMPUTE_PGM_RSRC2:TGID_Y_EN: 1
; COMPUTE_PGM_RSRC2:TGID_Z_EN: 1
; COMPUTE_PGM_RSRC2:TIDIG_COMP_CNT: 1
	.section	.text._ZL37rocblas_syrkx_herkx_restricted_kernelIi19rocblas_complex_numIfELi16ELi32ELi8ELi1ELi1ELb1ELc84ELc85EKPKS1_KPS1_EviT_PT9_S7_lS9_S7_lPT10_S7_li,"axG",@progbits,_ZL37rocblas_syrkx_herkx_restricted_kernelIi19rocblas_complex_numIfELi16ELi32ELi8ELi1ELi1ELb1ELc84ELc85EKPKS1_KPS1_EviT_PT9_S7_lS9_S7_lPT10_S7_li,comdat
	.globl	_ZL37rocblas_syrkx_herkx_restricted_kernelIi19rocblas_complex_numIfELi16ELi32ELi8ELi1ELi1ELb1ELc84ELc85EKPKS1_KPS1_EviT_PT9_S7_lS9_S7_lPT10_S7_li ; -- Begin function _ZL37rocblas_syrkx_herkx_restricted_kernelIi19rocblas_complex_numIfELi16ELi32ELi8ELi1ELi1ELb1ELc84ELc85EKPKS1_KPS1_EviT_PT9_S7_lS9_S7_lPT10_S7_li
	.p2align	8
	.type	_ZL37rocblas_syrkx_herkx_restricted_kernelIi19rocblas_complex_numIfELi16ELi32ELi8ELi1ELi1ELb1ELc84ELc85EKPKS1_KPS1_EviT_PT9_S7_lS9_S7_lPT10_S7_li,@function
_ZL37rocblas_syrkx_herkx_restricted_kernelIi19rocblas_complex_numIfELi16ELi32ELi8ELi1ELi1ELb1ELc84ELc85EKPKS1_KPS1_EviT_PT9_S7_lS9_S7_lPT10_S7_li: ; @_ZL37rocblas_syrkx_herkx_restricted_kernelIi19rocblas_complex_numIfELi16ELi32ELi8ELi1ELi1ELb1ELc84ELc85EKPKS1_KPS1_EviT_PT9_S7_lS9_S7_lPT10_S7_li
; %bb.0:
	s_load_dwordx2 s[10:11], s[4:5], 0x38
	s_load_dwordx2 s[2:3], s[4:5], 0x0
	s_mov_b32 s9, 0
	s_lshl_b64 s[0:1], s[8:9], 3
	s_waitcnt lgkmcnt(0)
	s_add_u32 s10, s10, s0
	s_addc_u32 s11, s11, s1
	s_load_dwordx2 s[10:11], s[10:11], 0x0
	s_lshl_b32 s6, s6, 5
	s_lshl_b32 s7, s7, 5
	s_cmp_lt_i32 s3, 1
	s_cbranch_scc1 .LBB775_3
; %bb.1:
	v_lshl_add_u32 v4, v1, 4, v0
	s_load_dwordx2 s[12:13], s[4:5], 0x8
	s_load_dword s8, s[4:5], 0x10
	s_load_dwordx2 s[14:15], s[4:5], 0x20
	s_load_dword s16, s[4:5], 0x28
	v_and_b32_e32 v7, 31, v4
	v_lshrrev_b32_e32 v6, 3, v4
	v_and_b32_e32 v9, 7, v0
	v_lshrrev_b32_e32 v4, 5, v4
	v_lshlrev_b32_e32 v8, 3, v7
	s_waitcnt lgkmcnt(0)
	s_add_u32 s12, s12, s0
	v_lshl_or_b32 v11, v4, 8, v8
	v_lshlrev_b32_e32 v8, 3, v9
	s_addc_u32 s13, s13, s1
	v_add_u32_e32 v2, s7, v6
	v_mov_b32_e32 v10, 0
	v_lshl_or_b32 v6, v6, 6, v8
	s_add_u32 s0, s14, s0
	v_mov_b32_e32 v5, v10
	v_add_u32_e32 v12, 0x800, v6
	v_add_u32_e32 v6, s6, v7
	s_addc_u32 s1, s15, s1
	v_mad_i64_i32 v[4:5], s[14:15], s8, v6, v[4:5]
	s_load_dwordx2 s[12:13], s[12:13], 0x0
	v_mad_i64_i32 v[2:3], s[14:15], s16, v2, v[9:10]
	s_load_dwordx2 s[0:1], s[0:1], 0x0
	v_lshlrev_b64 v[4:5], 3, v[4:5]
	v_mov_b32_e32 v6, 0x800
	v_lshl_add_u32 v14, v1, 6, v6
	s_waitcnt lgkmcnt(0)
	v_mov_b32_e32 v7, s13
	v_add_co_u32_e32 v6, vcc, s12, v4
	v_lshlrev_b64 v[2:3], 3, v[2:3]
	v_addc_co_u32_e32 v7, vcc, v7, v5, vcc
	v_mov_b32_e32 v4, s1
	v_add_co_u32_e32 v8, vcc, s0, v2
	v_lshlrev_b32_e32 v13, 3, v0
	v_addc_co_u32_e32 v9, vcc, v4, v3, vcc
	v_mov_b32_e32 v15, v10
	v_mov_b32_e32 v16, v10
	v_mov_b32_e32 v17, v10
	v_mov_b32_e32 v18, v10
	v_mov_b32_e32 v19, v10
	v_mov_b32_e32 v21, v10
	v_mov_b32_e32 v20, v10
.LBB775_2:                              ; =>This Inner Loop Header: Depth=1
	flat_load_dwordx2 v[2:3], v[6:7]
	v_add_co_u32_e32 v6, vcc, 64, v6
	v_addc_co_u32_e32 v7, vcc, 0, v7, vcc
	s_add_i32 s9, s9, 8
	s_cmp_ge_i32 s9, s3
	s_waitcnt vmcnt(0) lgkmcnt(0)
	ds_write_b64 v11, v[2:3]
	flat_load_dwordx2 v[2:3], v[8:9]
	v_add_co_u32_e32 v8, vcc, 64, v8
	v_addc_co_u32_e32 v9, vcc, 0, v9, vcc
	s_waitcnt vmcnt(0) lgkmcnt(0)
	ds_write_b64 v12, v[2:3]
	s_waitcnt lgkmcnt(0)
	s_barrier
	ds_read_b128 v[22:25], v14
	ds_read_b128 v[26:29], v14 offset:16
	ds_read_b128 v[30:33], v14 offset:32
	;; [unrolled: 1-line block ×3, first 2 shown]
	ds_read2_b64 v[34:37], v13 offset1:16
	s_waitcnt lgkmcnt(0)
	v_mul_f32_e32 v38, v23, v35
	v_mul_f32_e32 v39, v22, v35
	v_fma_f32 v38, v22, v34, -v38
	v_fmac_f32_e32 v39, v23, v34
	v_add_f32_e32 v38, v20, v38
	v_add_f32_e32 v39, v21, v39
	v_mul_f32_e32 v20, v23, v37
	v_mul_f32_e32 v21, v22, v37
	v_fma_f32 v20, v22, v36, -v20
	v_fmac_f32_e32 v21, v23, v36
	v_add_f32_e32 v22, v19, v20
	v_add_f32_e32 v23, v18, v21
	ds_read_b128 v[18:21], v14 offset:1024
	s_waitcnt lgkmcnt(0)
	v_mul_f32_e32 v40, v19, v35
	v_mul_f32_e32 v35, v18, v35
	v_fma_f32 v40, v18, v34, -v40
	v_fmac_f32_e32 v35, v19, v34
	v_add_f32_e32 v34, v17, v40
	v_add_f32_e32 v35, v16, v35
	v_mul_f32_e32 v16, v19, v37
	v_mul_f32_e32 v17, v18, v37
	v_fma_f32 v16, v18, v36, -v16
	v_fmac_f32_e32 v17, v19, v36
	v_add_f32_e32 v19, v15, v16
	v_add_f32_e32 v10, v10, v17
	ds_read2_b64 v[15:18], v13 offset0:32 offset1:48
	s_waitcnt lgkmcnt(0)
	v_mul_f32_e32 v36, v25, v16
	v_fma_f32 v36, v24, v15, -v36
	v_add_f32_e32 v36, v38, v36
	v_mul_f32_e32 v38, v25, v18
	v_mul_f32_e32 v37, v24, v16
	v_fma_f32 v38, v24, v17, -v38
	v_mul_f32_e32 v24, v24, v18
	v_fmac_f32_e32 v24, v25, v17
	v_add_f32_e32 v23, v23, v24
	v_mul_f32_e32 v24, v21, v16
	v_mul_f32_e32 v16, v20, v16
	v_fmac_f32_e32 v16, v21, v15
	v_fmac_f32_e32 v37, v25, v15
	v_fma_f32 v24, v20, v15, -v24
	v_add_f32_e32 v25, v35, v16
	v_mul_f32_e32 v15, v21, v18
	v_mul_f32_e32 v16, v20, v18
	v_fma_f32 v15, v20, v17, -v15
	v_fmac_f32_e32 v16, v21, v17
	v_add_f32_e32 v24, v34, v24
	v_add_f32_e32 v34, v19, v15
	;; [unrolled: 1-line block ×3, first 2 shown]
	ds_read2_b64 v[15:18], v13 offset0:64 offset1:80
	v_add_f32_e32 v37, v39, v37
	v_add_f32_e32 v22, v22, v38
	s_waitcnt lgkmcnt(0)
	v_mul_f32_e32 v19, v27, v16
	v_mul_f32_e32 v20, v26, v16
	v_fma_f32 v19, v26, v15, -v19
	v_fmac_f32_e32 v20, v27, v15
	v_add_f32_e32 v35, v36, v19
	v_add_f32_e32 v36, v37, v20
	v_mul_f32_e32 v19, v27, v18
	v_mul_f32_e32 v20, v26, v18
	v_fma_f32 v19, v26, v17, -v19
	v_fmac_f32_e32 v20, v27, v17
	v_add_f32_e32 v26, v22, v19
	v_add_f32_e32 v23, v23, v20
	ds_read_b128 v[19:22], v14 offset:1040
	s_waitcnt lgkmcnt(0)
	v_mul_f32_e32 v27, v20, v16
	v_mul_f32_e32 v16, v19, v16
	v_fmac_f32_e32 v16, v20, v15
	v_fma_f32 v27, v19, v15, -v27
	v_add_f32_e32 v25, v25, v16
	v_mul_f32_e32 v15, v20, v18
	v_mul_f32_e32 v16, v19, v18
	v_fma_f32 v15, v19, v17, -v15
	v_fmac_f32_e32 v16, v20, v17
	v_add_f32_e32 v19, v34, v15
	v_add_f32_e32 v10, v10, v16
	ds_read2_b64 v[15:18], v13 offset0:96 offset1:112
	v_add_f32_e32 v24, v24, v27
	s_waitcnt lgkmcnt(0)
	v_mul_f32_e32 v20, v29, v16
	v_mul_f32_e32 v34, v29, v18
	v_fma_f32 v20, v28, v15, -v20
	v_mul_f32_e32 v27, v28, v16
	v_fma_f32 v34, v28, v17, -v34
	v_mul_f32_e32 v28, v28, v18
	v_fmac_f32_e32 v28, v29, v17
	v_add_f32_e32 v23, v23, v28
	v_mul_f32_e32 v28, v22, v16
	v_mul_f32_e32 v16, v21, v16
	v_fmac_f32_e32 v16, v22, v15
	v_fmac_f32_e32 v27, v29, v15
	v_fma_f32 v28, v21, v15, -v28
	v_add_f32_e32 v25, v25, v16
	v_mul_f32_e32 v15, v22, v18
	v_mul_f32_e32 v16, v21, v18
	v_fma_f32 v15, v21, v17, -v15
	v_fmac_f32_e32 v16, v22, v17
	v_add_f32_e32 v24, v24, v28
	v_add_f32_e32 v28, v19, v15
	;; [unrolled: 1-line block ×3, first 2 shown]
	ds_read2_b64 v[15:18], v13 offset0:128 offset1:144
	v_add_f32_e32 v20, v35, v20
	v_add_f32_e32 v27, v36, v27
	;; [unrolled: 1-line block ×3, first 2 shown]
	s_waitcnt lgkmcnt(0)
	v_mul_f32_e32 v19, v31, v16
	v_fma_f32 v19, v30, v15, -v19
	v_mul_f32_e32 v21, v30, v16
	v_add_f32_e32 v29, v20, v19
	v_mul_f32_e32 v19, v31, v18
	v_mul_f32_e32 v20, v30, v18
	v_fmac_f32_e32 v21, v31, v15
	v_fma_f32 v19, v30, v17, -v19
	v_fmac_f32_e32 v20, v31, v17
	v_add_f32_e32 v27, v27, v21
	v_add_f32_e32 v26, v26, v19
	;; [unrolled: 1-line block ×3, first 2 shown]
	ds_read_b128 v[19:22], v14 offset:1056
	s_waitcnt lgkmcnt(0)
	v_mul_f32_e32 v30, v20, v16
	v_mul_f32_e32 v16, v19, v16
	v_fmac_f32_e32 v16, v20, v15
	v_fma_f32 v30, v19, v15, -v30
	v_add_f32_e32 v25, v25, v16
	v_mul_f32_e32 v15, v20, v18
	v_mul_f32_e32 v16, v19, v18
	v_fma_f32 v15, v19, v17, -v15
	v_fmac_f32_e32 v16, v20, v17
	v_add_f32_e32 v19, v28, v15
	v_add_f32_e32 v10, v10, v16
	ds_read2_b64 v[15:18], v13 offset0:160 offset1:176
	v_add_f32_e32 v24, v24, v30
	s_waitcnt lgkmcnt(0)
	v_mul_f32_e32 v28, v32, v16
	v_fmac_f32_e32 v28, v33, v15
	v_add_f32_e32 v27, v27, v28
	v_mul_f32_e32 v28, v33, v18
	v_fma_f32 v28, v32, v17, -v28
	v_mul_f32_e32 v20, v33, v16
	v_add_f32_e32 v26, v26, v28
	v_mul_f32_e32 v28, v22, v16
	v_mul_f32_e32 v16, v21, v16
	v_fmac_f32_e32 v16, v22, v15
	v_fma_f32 v20, v32, v15, -v20
	v_fma_f32 v28, v21, v15, -v28
	v_add_f32_e32 v25, v25, v16
	v_mul_f32_e32 v15, v22, v18
	v_mul_f32_e32 v16, v21, v18
	v_add_f32_e32 v20, v29, v20
	v_mul_f32_e32 v29, v32, v18
	v_fma_f32 v15, v21, v17, -v15
	v_fmac_f32_e32 v16, v22, v17
	v_fmac_f32_e32 v29, v33, v17
	v_add_f32_e32 v19, v19, v15
	v_add_f32_e32 v10, v10, v16
	ds_read2_b64 v[15:18], v13 offset0:192 offset1:208
	v_add_f32_e32 v24, v24, v28
	v_add_f32_e32 v23, v23, v29
	s_waitcnt lgkmcnt(0)
	v_mul_f32_e32 v21, v3, v16
	v_fma_f32 v21, v2, v15, -v21
	v_add_f32_e32 v28, v20, v21
	v_mul_f32_e32 v20, v3, v18
	v_mul_f32_e32 v22, v2, v16
	v_fma_f32 v20, v2, v17, -v20
	v_mul_f32_e32 v2, v2, v18
	v_fmac_f32_e32 v22, v3, v15
	v_fmac_f32_e32 v2, v3, v17
	v_add_f32_e32 v29, v27, v22
	v_add_f32_e32 v3, v26, v20
	;; [unrolled: 1-line block ×3, first 2 shown]
	ds_read_b128 v[20:23], v14 offset:1072
	s_waitcnt lgkmcnt(0)
	v_mul_f32_e32 v26, v21, v16
	v_fma_f32 v26, v20, v15, -v26
	v_mul_f32_e32 v16, v20, v16
	v_fmac_f32_e32 v16, v21, v15
	v_add_f32_e32 v15, v24, v26
	v_mul_f32_e32 v24, v21, v18
	v_fma_f32 v24, v20, v17, -v24
	v_add_f32_e32 v16, v25, v16
	v_add_f32_e32 v30, v19, v24
	ds_read2_b64 v[24:27], v13 offset0:224 offset1:240
	v_mul_f32_e32 v18, v20, v18
	v_fmac_f32_e32 v18, v21, v17
	v_add_f32_e32 v10, v10, v18
	s_waitcnt lgkmcnt(0)
	v_mul_f32_e32 v17, v5, v25
	v_fma_f32 v17, v4, v24, -v17
	v_add_f32_e32 v20, v28, v17
	v_mul_f32_e32 v17, v5, v27
	v_mul_f32_e32 v18, v4, v25
	v_fma_f32 v17, v4, v26, -v17
	v_mul_f32_e32 v4, v4, v27
	v_fmac_f32_e32 v18, v5, v24
	v_fmac_f32_e32 v4, v5, v26
	v_add_f32_e32 v21, v29, v18
	v_add_f32_e32 v19, v3, v17
	;; [unrolled: 1-line block ×3, first 2 shown]
	v_mul_f32_e32 v2, v23, v25
	v_mul_f32_e32 v3, v22, v25
	v_fma_f32 v2, v22, v24, -v2
	v_fmac_f32_e32 v3, v23, v24
	v_add_f32_e32 v17, v15, v2
	v_add_f32_e32 v16, v16, v3
	v_mul_f32_e32 v2, v23, v27
	v_mul_f32_e32 v3, v22, v27
	v_fma_f32 v2, v22, v26, -v2
	v_fmac_f32_e32 v3, v23, v26
	v_add_f32_e32 v15, v30, v2
	v_add_f32_e32 v10, v10, v3
	s_barrier
	s_cbranch_scc0 .LBB775_2
	s_branch .LBB775_4
.LBB775_3:
	v_mov_b32_e32 v20, 0
	v_mov_b32_e32 v21, 0
	;; [unrolled: 1-line block ×8, first 2 shown]
.LBB775_4:
	s_load_dword s3, s[4:5], 0x40
	v_add_u32_e32 v5, s7, v1
	s_waitcnt lgkmcnt(0)
	v_mov_b32_e32 v3, s11
	v_add_u32_e32 v0, s6, v0
	v_cmp_gt_i32_e32 vcc, s2, v5
	v_mad_i64_i32 v[1:2], s[0:1], v5, s3, 0
	v_lshlrev_b64 v[1:2], 3, v[1:2]
	v_add_co_u32_e64 v4, s[0:1], s10, v1
	v_addc_co_u32_e64 v6, s[0:1], v3, v2, s[0:1]
	v_cmp_le_i32_e64 s[0:1], v0, v5
	s_and_b64 s[0:1], vcc, s[0:1]
	s_and_saveexec_b64 s[4:5], s[0:1]
	s_cbranch_execz .LBB775_7
; %bb.5:
	v_ashrrev_i32_e32 v1, 31, v0
	v_lshlrev_b64 v[1:2], 3, v[0:1]
	v_add_co_u32_e64 v1, s[0:1], v4, v1
	v_addc_co_u32_e64 v2, s[0:1], v6, v2, s[0:1]
	flat_load_dwordx2 v[7:8], v[1:2]
	v_cmp_eq_u32_e64 s[0:1], v5, v0
	s_waitcnt vmcnt(0) lgkmcnt(0)
	v_add_f32_e32 v7, v20, v7
	v_add_f32_e32 v8, v21, v8
	flat_store_dwordx2 v[1:2], v[7:8]
	s_and_b64 exec, exec, s[0:1]
	s_cbranch_execz .LBB775_7
; %bb.6:
	v_mov_b32_e32 v3, 0
	flat_store_dword v[1:2], v3 offset:4
.LBB775_7:
	s_or_b64 exec, exec, s[4:5]
	v_add_u32_e32 v2, 16, v0
	v_cmp_le_i32_e64 s[0:1], v2, v5
	s_and_b64 s[4:5], vcc, s[0:1]
	s_and_saveexec_b64 s[0:1], s[4:5]
	s_cbranch_execz .LBB775_10
; %bb.8:
	v_ashrrev_i32_e32 v3, 31, v2
	v_lshlrev_b64 v[7:8], 3, v[2:3]
	v_add_co_u32_e32 v3, vcc, v4, v7
	v_addc_co_u32_e32 v4, vcc, v6, v8, vcc
	flat_load_dwordx2 v[6:7], v[3:4]
	v_cmp_eq_u32_e32 vcc, v5, v2
	s_waitcnt vmcnt(0) lgkmcnt(0)
	v_add_f32_e32 v6, v19, v6
	v_add_f32_e32 v7, v18, v7
	flat_store_dwordx2 v[3:4], v[6:7]
	s_and_b64 exec, exec, vcc
	s_cbranch_execz .LBB775_10
; %bb.9:
	v_mov_b32_e32 v1, 0
	flat_store_dword v[3:4], v1 offset:4
.LBB775_10:
	s_or_b64 exec, exec, s[0:1]
	v_add_u32_e32 v8, 16, v5
	v_mad_i64_i32 v[3:4], s[0:1], v8, s3, 0
	v_mov_b32_e32 v1, s11
	v_cmp_gt_i32_e32 vcc, s2, v8
	v_lshlrev_b64 v[3:4], 3, v[3:4]
	v_add_co_u32_e64 v6, s[0:1], s10, v3
	v_addc_co_u32_e64 v7, s[0:1], v1, v4, s[0:1]
	v_cmp_le_i32_e64 s[0:1], v0, v8
	s_and_b64 s[0:1], vcc, s[0:1]
	s_and_saveexec_b64 s[2:3], s[0:1]
	s_cbranch_execz .LBB775_13
; %bb.11:
	v_ashrrev_i32_e32 v1, 31, v0
	v_lshlrev_b64 v[3:4], 3, v[0:1]
	v_add_co_u32_e64 v3, s[0:1], v6, v3
	v_addc_co_u32_e64 v4, s[0:1], v7, v4, s[0:1]
	flat_load_dwordx2 v[11:12], v[3:4]
	v_cmp_eq_u32_e64 s[0:1], v8, v0
	s_waitcnt vmcnt(0) lgkmcnt(0)
	v_add_f32_e32 v11, v17, v11
	v_add_f32_e32 v12, v16, v12
	flat_store_dwordx2 v[3:4], v[11:12]
	s_and_b64 exec, exec, s[0:1]
	s_cbranch_execz .LBB775_13
; %bb.12:
	v_mov_b32_e32 v1, 0
	flat_store_dword v[3:4], v1 offset:4
.LBB775_13:
	s_or_b64 exec, exec, s[2:3]
	v_cmp_le_i32_e64 s[0:1], v2, v8
	s_and_b64 s[0:1], vcc, s[0:1]
	s_and_saveexec_b64 s[2:3], s[0:1]
	s_cbranch_execz .LBB775_16
; %bb.14:
	v_ashrrev_i32_e32 v3, 31, v2
	v_lshlrev_b64 v[1:2], 3, v[2:3]
	v_add_co_u32_e32 v1, vcc, v6, v1
	v_addc_co_u32_e32 v2, vcc, v7, v2, vcc
	flat_load_dwordx2 v[3:4], v[1:2]
	v_cmp_eq_u32_e32 vcc, v5, v0
	s_waitcnt vmcnt(0) lgkmcnt(0)
	v_add_f32_e32 v3, v15, v3
	v_add_f32_e32 v4, v10, v4
	flat_store_dwordx2 v[1:2], v[3:4]
	s_and_b64 exec, exec, vcc
	s_cbranch_execz .LBB775_16
; %bb.15:
	v_mov_b32_e32 v0, 0
	flat_store_dword v[1:2], v0 offset:4
.LBB775_16:
	s_endpgm
	.section	.rodata,"a",@progbits
	.p2align	6, 0x0
	.amdhsa_kernel _ZL37rocblas_syrkx_herkx_restricted_kernelIi19rocblas_complex_numIfELi16ELi32ELi8ELi1ELi1ELb1ELc84ELc85EKPKS1_KPS1_EviT_PT9_S7_lS9_S7_lPT10_S7_li
		.amdhsa_group_segment_fixed_size 4096
		.amdhsa_private_segment_fixed_size 0
		.amdhsa_kernarg_size 84
		.amdhsa_user_sgpr_count 6
		.amdhsa_user_sgpr_private_segment_buffer 1
		.amdhsa_user_sgpr_dispatch_ptr 0
		.amdhsa_user_sgpr_queue_ptr 0
		.amdhsa_user_sgpr_kernarg_segment_ptr 1
		.amdhsa_user_sgpr_dispatch_id 0
		.amdhsa_user_sgpr_flat_scratch_init 0
		.amdhsa_user_sgpr_private_segment_size 0
		.amdhsa_uses_dynamic_stack 0
		.amdhsa_system_sgpr_private_segment_wavefront_offset 0
		.amdhsa_system_sgpr_workgroup_id_x 1
		.amdhsa_system_sgpr_workgroup_id_y 1
		.amdhsa_system_sgpr_workgroup_id_z 1
		.amdhsa_system_sgpr_workgroup_info 0
		.amdhsa_system_vgpr_workitem_id 1
		.amdhsa_next_free_vgpr 41
		.amdhsa_next_free_sgpr 17
		.amdhsa_reserve_vcc 1
		.amdhsa_reserve_flat_scratch 0
		.amdhsa_float_round_mode_32 0
		.amdhsa_float_round_mode_16_64 0
		.amdhsa_float_denorm_mode_32 3
		.amdhsa_float_denorm_mode_16_64 3
		.amdhsa_dx10_clamp 1
		.amdhsa_ieee_mode 1
		.amdhsa_fp16_overflow 0
		.amdhsa_exception_fp_ieee_invalid_op 0
		.amdhsa_exception_fp_denorm_src 0
		.amdhsa_exception_fp_ieee_div_zero 0
		.amdhsa_exception_fp_ieee_overflow 0
		.amdhsa_exception_fp_ieee_underflow 0
		.amdhsa_exception_fp_ieee_inexact 0
		.amdhsa_exception_int_div_zero 0
	.end_amdhsa_kernel
	.section	.text._ZL37rocblas_syrkx_herkx_restricted_kernelIi19rocblas_complex_numIfELi16ELi32ELi8ELi1ELi1ELb1ELc84ELc85EKPKS1_KPS1_EviT_PT9_S7_lS9_S7_lPT10_S7_li,"axG",@progbits,_ZL37rocblas_syrkx_herkx_restricted_kernelIi19rocblas_complex_numIfELi16ELi32ELi8ELi1ELi1ELb1ELc84ELc85EKPKS1_KPS1_EviT_PT9_S7_lS9_S7_lPT10_S7_li,comdat
.Lfunc_end775:
	.size	_ZL37rocblas_syrkx_herkx_restricted_kernelIi19rocblas_complex_numIfELi16ELi32ELi8ELi1ELi1ELb1ELc84ELc85EKPKS1_KPS1_EviT_PT9_S7_lS9_S7_lPT10_S7_li, .Lfunc_end775-_ZL37rocblas_syrkx_herkx_restricted_kernelIi19rocblas_complex_numIfELi16ELi32ELi8ELi1ELi1ELb1ELc84ELc85EKPKS1_KPS1_EviT_PT9_S7_lS9_S7_lPT10_S7_li
                                        ; -- End function
	.set _ZL37rocblas_syrkx_herkx_restricted_kernelIi19rocblas_complex_numIfELi16ELi32ELi8ELi1ELi1ELb1ELc84ELc85EKPKS1_KPS1_EviT_PT9_S7_lS9_S7_lPT10_S7_li.num_vgpr, 41
	.set _ZL37rocblas_syrkx_herkx_restricted_kernelIi19rocblas_complex_numIfELi16ELi32ELi8ELi1ELi1ELb1ELc84ELc85EKPKS1_KPS1_EviT_PT9_S7_lS9_S7_lPT10_S7_li.num_agpr, 0
	.set _ZL37rocblas_syrkx_herkx_restricted_kernelIi19rocblas_complex_numIfELi16ELi32ELi8ELi1ELi1ELb1ELc84ELc85EKPKS1_KPS1_EviT_PT9_S7_lS9_S7_lPT10_S7_li.numbered_sgpr, 17
	.set _ZL37rocblas_syrkx_herkx_restricted_kernelIi19rocblas_complex_numIfELi16ELi32ELi8ELi1ELi1ELb1ELc84ELc85EKPKS1_KPS1_EviT_PT9_S7_lS9_S7_lPT10_S7_li.num_named_barrier, 0
	.set _ZL37rocblas_syrkx_herkx_restricted_kernelIi19rocblas_complex_numIfELi16ELi32ELi8ELi1ELi1ELb1ELc84ELc85EKPKS1_KPS1_EviT_PT9_S7_lS9_S7_lPT10_S7_li.private_seg_size, 0
	.set _ZL37rocblas_syrkx_herkx_restricted_kernelIi19rocblas_complex_numIfELi16ELi32ELi8ELi1ELi1ELb1ELc84ELc85EKPKS1_KPS1_EviT_PT9_S7_lS9_S7_lPT10_S7_li.uses_vcc, 1
	.set _ZL37rocblas_syrkx_herkx_restricted_kernelIi19rocblas_complex_numIfELi16ELi32ELi8ELi1ELi1ELb1ELc84ELc85EKPKS1_KPS1_EviT_PT9_S7_lS9_S7_lPT10_S7_li.uses_flat_scratch, 0
	.set _ZL37rocblas_syrkx_herkx_restricted_kernelIi19rocblas_complex_numIfELi16ELi32ELi8ELi1ELi1ELb1ELc84ELc85EKPKS1_KPS1_EviT_PT9_S7_lS9_S7_lPT10_S7_li.has_dyn_sized_stack, 0
	.set _ZL37rocblas_syrkx_herkx_restricted_kernelIi19rocblas_complex_numIfELi16ELi32ELi8ELi1ELi1ELb1ELc84ELc85EKPKS1_KPS1_EviT_PT9_S7_lS9_S7_lPT10_S7_li.has_recursion, 0
	.set _ZL37rocblas_syrkx_herkx_restricted_kernelIi19rocblas_complex_numIfELi16ELi32ELi8ELi1ELi1ELb1ELc84ELc85EKPKS1_KPS1_EviT_PT9_S7_lS9_S7_lPT10_S7_li.has_indirect_call, 0
	.section	.AMDGPU.csdata,"",@progbits
; Kernel info:
; codeLenInByte = 2012
; TotalNumSgprs: 21
; NumVgprs: 41
; ScratchSize: 0
; MemoryBound: 0
; FloatMode: 240
; IeeeMode: 1
; LDSByteSize: 4096 bytes/workgroup (compile time only)
; SGPRBlocks: 2
; VGPRBlocks: 10
; NumSGPRsForWavesPerEU: 21
; NumVGPRsForWavesPerEU: 41
; Occupancy: 5
; WaveLimiterHint : 1
; COMPUTE_PGM_RSRC2:SCRATCH_EN: 0
; COMPUTE_PGM_RSRC2:USER_SGPR: 6
; COMPUTE_PGM_RSRC2:TRAP_HANDLER: 0
; COMPUTE_PGM_RSRC2:TGID_X_EN: 1
; COMPUTE_PGM_RSRC2:TGID_Y_EN: 1
; COMPUTE_PGM_RSRC2:TGID_Z_EN: 1
; COMPUTE_PGM_RSRC2:TIDIG_COMP_CNT: 1
	.section	.text._ZL37rocblas_syrkx_herkx_restricted_kernelIi19rocblas_complex_numIfELi16ELi32ELi8ELi1ELi1ELb1ELc67ELc85EKPKS1_KPS1_EviT_PT9_S7_lS9_S7_lPT10_S7_li,"axG",@progbits,_ZL37rocblas_syrkx_herkx_restricted_kernelIi19rocblas_complex_numIfELi16ELi32ELi8ELi1ELi1ELb1ELc67ELc85EKPKS1_KPS1_EviT_PT9_S7_lS9_S7_lPT10_S7_li,comdat
	.globl	_ZL37rocblas_syrkx_herkx_restricted_kernelIi19rocblas_complex_numIfELi16ELi32ELi8ELi1ELi1ELb1ELc67ELc85EKPKS1_KPS1_EviT_PT9_S7_lS9_S7_lPT10_S7_li ; -- Begin function _ZL37rocblas_syrkx_herkx_restricted_kernelIi19rocblas_complex_numIfELi16ELi32ELi8ELi1ELi1ELb1ELc67ELc85EKPKS1_KPS1_EviT_PT9_S7_lS9_S7_lPT10_S7_li
	.p2align	8
	.type	_ZL37rocblas_syrkx_herkx_restricted_kernelIi19rocblas_complex_numIfELi16ELi32ELi8ELi1ELi1ELb1ELc67ELc85EKPKS1_KPS1_EviT_PT9_S7_lS9_S7_lPT10_S7_li,@function
_ZL37rocblas_syrkx_herkx_restricted_kernelIi19rocblas_complex_numIfELi16ELi32ELi8ELi1ELi1ELb1ELc67ELc85EKPKS1_KPS1_EviT_PT9_S7_lS9_S7_lPT10_S7_li: ; @_ZL37rocblas_syrkx_herkx_restricted_kernelIi19rocblas_complex_numIfELi16ELi32ELi8ELi1ELi1ELb1ELc67ELc85EKPKS1_KPS1_EviT_PT9_S7_lS9_S7_lPT10_S7_li
; %bb.0:
	s_load_dwordx2 s[10:11], s[4:5], 0x38
	s_load_dwordx2 s[2:3], s[4:5], 0x0
	s_mov_b32 s9, 0
	s_lshl_b64 s[0:1], s[8:9], 3
	s_waitcnt lgkmcnt(0)
	s_add_u32 s10, s10, s0
	s_addc_u32 s11, s11, s1
	s_load_dwordx2 s[10:11], s[10:11], 0x0
	s_lshl_b32 s6, s6, 5
	s_lshl_b32 s7, s7, 5
	s_cmp_lt_i32 s3, 1
	s_cbranch_scc1 .LBB776_3
; %bb.1:
	v_lshl_add_u32 v4, v1, 4, v0
	s_load_dwordx2 s[12:13], s[4:5], 0x8
	s_load_dword s8, s[4:5], 0x10
	s_load_dwordx2 s[14:15], s[4:5], 0x20
	s_load_dword s16, s[4:5], 0x28
	v_and_b32_e32 v7, 31, v4
	v_lshrrev_b32_e32 v6, 3, v4
	v_and_b32_e32 v9, 7, v0
	v_lshrrev_b32_e32 v4, 5, v4
	v_lshlrev_b32_e32 v8, 3, v7
	s_waitcnt lgkmcnt(0)
	s_add_u32 s12, s12, s0
	v_lshl_or_b32 v11, v4, 8, v8
	v_lshlrev_b32_e32 v8, 3, v9
	s_addc_u32 s13, s13, s1
	v_add_u32_e32 v2, s7, v6
	v_mov_b32_e32 v10, 0
	v_lshl_or_b32 v6, v6, 6, v8
	s_add_u32 s0, s14, s0
	v_mov_b32_e32 v5, v10
	v_add_u32_e32 v12, 0x800, v6
	v_add_u32_e32 v6, s6, v7
	s_addc_u32 s1, s15, s1
	v_mad_i64_i32 v[4:5], s[14:15], s8, v6, v[4:5]
	s_load_dwordx2 s[12:13], s[12:13], 0x0
	v_mad_i64_i32 v[2:3], s[14:15], s16, v2, v[9:10]
	s_load_dwordx2 s[0:1], s[0:1], 0x0
	v_lshlrev_b64 v[4:5], 3, v[4:5]
	v_mov_b32_e32 v6, 0x800
	v_lshl_add_u32 v14, v1, 6, v6
	s_waitcnt lgkmcnt(0)
	v_mov_b32_e32 v7, s13
	v_add_co_u32_e32 v6, vcc, s12, v4
	v_lshlrev_b64 v[2:3], 3, v[2:3]
	v_addc_co_u32_e32 v7, vcc, v7, v5, vcc
	v_mov_b32_e32 v4, s1
	v_add_co_u32_e32 v8, vcc, s0, v2
	v_lshlrev_b32_e32 v13, 3, v0
	v_addc_co_u32_e32 v9, vcc, v4, v3, vcc
	v_mov_b32_e32 v15, v10
	v_mov_b32_e32 v16, v10
	;; [unrolled: 1-line block ×7, first 2 shown]
.LBB776_2:                              ; =>This Inner Loop Header: Depth=1
	flat_load_dwordx2 v[2:3], v[6:7]
	v_add_co_u32_e32 v6, vcc, 64, v6
	v_addc_co_u32_e32 v7, vcc, 0, v7, vcc
	s_add_i32 s9, s9, 8
	s_cmp_ge_i32 s9, s3
	s_waitcnt vmcnt(0) lgkmcnt(0)
	v_xor_b32_e32 v3, 0x80000000, v3
	ds_write_b64 v11, v[2:3]
	flat_load_dwordx2 v[2:3], v[8:9]
	v_add_co_u32_e32 v8, vcc, 64, v8
	v_addc_co_u32_e32 v9, vcc, 0, v9, vcc
	s_waitcnt vmcnt(0) lgkmcnt(0)
	ds_write_b64 v12, v[2:3]
	s_waitcnt lgkmcnt(0)
	s_barrier
	ds_read_b128 v[22:25], v14
	ds_read_b128 v[26:29], v14 offset:16
	ds_read_b128 v[30:33], v14 offset:32
	;; [unrolled: 1-line block ×3, first 2 shown]
	ds_read2_b64 v[34:37], v13 offset1:16
	s_waitcnt lgkmcnt(0)
	v_mul_f32_e32 v38, v23, v35
	v_mul_f32_e32 v39, v22, v35
	v_fma_f32 v38, v22, v34, -v38
	v_fmac_f32_e32 v39, v23, v34
	v_add_f32_e32 v38, v20, v38
	v_add_f32_e32 v39, v21, v39
	v_mul_f32_e32 v20, v23, v37
	v_mul_f32_e32 v21, v22, v37
	v_fma_f32 v20, v22, v36, -v20
	v_fmac_f32_e32 v21, v23, v36
	v_add_f32_e32 v22, v19, v20
	v_add_f32_e32 v23, v18, v21
	ds_read_b128 v[18:21], v14 offset:1024
	s_waitcnt lgkmcnt(0)
	v_mul_f32_e32 v40, v19, v35
	v_mul_f32_e32 v35, v18, v35
	v_fma_f32 v40, v18, v34, -v40
	v_fmac_f32_e32 v35, v19, v34
	v_add_f32_e32 v34, v17, v40
	v_add_f32_e32 v35, v16, v35
	v_mul_f32_e32 v16, v19, v37
	v_mul_f32_e32 v17, v18, v37
	v_fma_f32 v16, v18, v36, -v16
	v_fmac_f32_e32 v17, v19, v36
	v_add_f32_e32 v19, v15, v16
	v_add_f32_e32 v10, v10, v17
	ds_read2_b64 v[15:18], v13 offset0:32 offset1:48
	s_waitcnt lgkmcnt(0)
	v_mul_f32_e32 v36, v25, v16
	v_fma_f32 v36, v24, v15, -v36
	v_add_f32_e32 v36, v38, v36
	v_mul_f32_e32 v38, v25, v18
	v_mul_f32_e32 v37, v24, v16
	v_fma_f32 v38, v24, v17, -v38
	v_mul_f32_e32 v24, v24, v18
	v_fmac_f32_e32 v24, v25, v17
	v_add_f32_e32 v23, v23, v24
	v_mul_f32_e32 v24, v21, v16
	v_mul_f32_e32 v16, v20, v16
	v_fmac_f32_e32 v16, v21, v15
	v_fmac_f32_e32 v37, v25, v15
	v_fma_f32 v24, v20, v15, -v24
	v_add_f32_e32 v25, v35, v16
	v_mul_f32_e32 v15, v21, v18
	v_mul_f32_e32 v16, v20, v18
	v_fma_f32 v15, v20, v17, -v15
	v_fmac_f32_e32 v16, v21, v17
	v_add_f32_e32 v24, v34, v24
	v_add_f32_e32 v34, v19, v15
	;; [unrolled: 1-line block ×3, first 2 shown]
	ds_read2_b64 v[15:18], v13 offset0:64 offset1:80
	v_add_f32_e32 v37, v39, v37
	v_add_f32_e32 v22, v22, v38
	s_waitcnt lgkmcnt(0)
	v_mul_f32_e32 v19, v27, v16
	v_mul_f32_e32 v20, v26, v16
	v_fma_f32 v19, v26, v15, -v19
	v_fmac_f32_e32 v20, v27, v15
	v_add_f32_e32 v35, v36, v19
	v_add_f32_e32 v36, v37, v20
	v_mul_f32_e32 v19, v27, v18
	v_mul_f32_e32 v20, v26, v18
	v_fma_f32 v19, v26, v17, -v19
	v_fmac_f32_e32 v20, v27, v17
	v_add_f32_e32 v26, v22, v19
	v_add_f32_e32 v23, v23, v20
	ds_read_b128 v[19:22], v14 offset:1040
	s_waitcnt lgkmcnt(0)
	v_mul_f32_e32 v27, v20, v16
	v_mul_f32_e32 v16, v19, v16
	v_fmac_f32_e32 v16, v20, v15
	v_fma_f32 v27, v19, v15, -v27
	v_add_f32_e32 v25, v25, v16
	v_mul_f32_e32 v15, v20, v18
	v_mul_f32_e32 v16, v19, v18
	v_fma_f32 v15, v19, v17, -v15
	v_fmac_f32_e32 v16, v20, v17
	v_add_f32_e32 v19, v34, v15
	v_add_f32_e32 v10, v10, v16
	ds_read2_b64 v[15:18], v13 offset0:96 offset1:112
	v_add_f32_e32 v24, v24, v27
	s_waitcnt lgkmcnt(0)
	v_mul_f32_e32 v20, v29, v16
	v_mul_f32_e32 v34, v29, v18
	v_fma_f32 v20, v28, v15, -v20
	v_mul_f32_e32 v27, v28, v16
	v_fma_f32 v34, v28, v17, -v34
	v_mul_f32_e32 v28, v28, v18
	v_fmac_f32_e32 v28, v29, v17
	v_add_f32_e32 v23, v23, v28
	v_mul_f32_e32 v28, v22, v16
	v_mul_f32_e32 v16, v21, v16
	v_fmac_f32_e32 v16, v22, v15
	v_fmac_f32_e32 v27, v29, v15
	v_fma_f32 v28, v21, v15, -v28
	v_add_f32_e32 v25, v25, v16
	v_mul_f32_e32 v15, v22, v18
	v_mul_f32_e32 v16, v21, v18
	v_fma_f32 v15, v21, v17, -v15
	v_fmac_f32_e32 v16, v22, v17
	v_add_f32_e32 v24, v24, v28
	v_add_f32_e32 v28, v19, v15
	;; [unrolled: 1-line block ×3, first 2 shown]
	ds_read2_b64 v[15:18], v13 offset0:128 offset1:144
	v_add_f32_e32 v20, v35, v20
	v_add_f32_e32 v27, v36, v27
	;; [unrolled: 1-line block ×3, first 2 shown]
	s_waitcnt lgkmcnt(0)
	v_mul_f32_e32 v19, v31, v16
	v_fma_f32 v19, v30, v15, -v19
	v_mul_f32_e32 v21, v30, v16
	v_add_f32_e32 v29, v20, v19
	v_mul_f32_e32 v19, v31, v18
	v_mul_f32_e32 v20, v30, v18
	v_fmac_f32_e32 v21, v31, v15
	v_fma_f32 v19, v30, v17, -v19
	v_fmac_f32_e32 v20, v31, v17
	v_add_f32_e32 v27, v27, v21
	v_add_f32_e32 v26, v26, v19
	;; [unrolled: 1-line block ×3, first 2 shown]
	ds_read_b128 v[19:22], v14 offset:1056
	s_waitcnt lgkmcnt(0)
	v_mul_f32_e32 v30, v20, v16
	v_mul_f32_e32 v16, v19, v16
	v_fmac_f32_e32 v16, v20, v15
	v_fma_f32 v30, v19, v15, -v30
	v_add_f32_e32 v25, v25, v16
	v_mul_f32_e32 v15, v20, v18
	v_mul_f32_e32 v16, v19, v18
	v_fma_f32 v15, v19, v17, -v15
	v_fmac_f32_e32 v16, v20, v17
	v_add_f32_e32 v19, v28, v15
	v_add_f32_e32 v10, v10, v16
	ds_read2_b64 v[15:18], v13 offset0:160 offset1:176
	v_add_f32_e32 v24, v24, v30
	s_waitcnt lgkmcnt(0)
	v_mul_f32_e32 v28, v32, v16
	v_fmac_f32_e32 v28, v33, v15
	v_add_f32_e32 v27, v27, v28
	v_mul_f32_e32 v28, v33, v18
	v_fma_f32 v28, v32, v17, -v28
	v_mul_f32_e32 v20, v33, v16
	v_add_f32_e32 v26, v26, v28
	v_mul_f32_e32 v28, v22, v16
	v_mul_f32_e32 v16, v21, v16
	v_fmac_f32_e32 v16, v22, v15
	v_fma_f32 v20, v32, v15, -v20
	v_fma_f32 v28, v21, v15, -v28
	v_add_f32_e32 v25, v25, v16
	v_mul_f32_e32 v15, v22, v18
	v_mul_f32_e32 v16, v21, v18
	v_add_f32_e32 v20, v29, v20
	v_mul_f32_e32 v29, v32, v18
	v_fma_f32 v15, v21, v17, -v15
	v_fmac_f32_e32 v16, v22, v17
	v_fmac_f32_e32 v29, v33, v17
	v_add_f32_e32 v19, v19, v15
	v_add_f32_e32 v10, v10, v16
	ds_read2_b64 v[15:18], v13 offset0:192 offset1:208
	v_add_f32_e32 v24, v24, v28
	v_add_f32_e32 v23, v23, v29
	s_waitcnt lgkmcnt(0)
	v_mul_f32_e32 v21, v3, v16
	v_fma_f32 v21, v2, v15, -v21
	v_add_f32_e32 v28, v20, v21
	v_mul_f32_e32 v20, v3, v18
	v_mul_f32_e32 v22, v2, v16
	v_fma_f32 v20, v2, v17, -v20
	v_mul_f32_e32 v2, v2, v18
	v_fmac_f32_e32 v22, v3, v15
	v_fmac_f32_e32 v2, v3, v17
	v_add_f32_e32 v29, v27, v22
	v_add_f32_e32 v3, v26, v20
	;; [unrolled: 1-line block ×3, first 2 shown]
	ds_read_b128 v[20:23], v14 offset:1072
	s_waitcnt lgkmcnt(0)
	v_mul_f32_e32 v26, v21, v16
	v_fma_f32 v26, v20, v15, -v26
	v_mul_f32_e32 v16, v20, v16
	v_fmac_f32_e32 v16, v21, v15
	v_add_f32_e32 v15, v24, v26
	v_mul_f32_e32 v24, v21, v18
	v_fma_f32 v24, v20, v17, -v24
	v_add_f32_e32 v16, v25, v16
	v_add_f32_e32 v30, v19, v24
	ds_read2_b64 v[24:27], v13 offset0:224 offset1:240
	v_mul_f32_e32 v18, v20, v18
	v_fmac_f32_e32 v18, v21, v17
	v_add_f32_e32 v10, v10, v18
	s_waitcnt lgkmcnt(0)
	v_mul_f32_e32 v17, v5, v25
	v_fma_f32 v17, v4, v24, -v17
	v_add_f32_e32 v20, v28, v17
	v_mul_f32_e32 v17, v5, v27
	v_mul_f32_e32 v18, v4, v25
	v_fma_f32 v17, v4, v26, -v17
	v_mul_f32_e32 v4, v4, v27
	v_fmac_f32_e32 v18, v5, v24
	v_fmac_f32_e32 v4, v5, v26
	v_add_f32_e32 v21, v29, v18
	v_add_f32_e32 v19, v3, v17
	;; [unrolled: 1-line block ×3, first 2 shown]
	v_mul_f32_e32 v2, v23, v25
	v_mul_f32_e32 v3, v22, v25
	v_fma_f32 v2, v22, v24, -v2
	v_fmac_f32_e32 v3, v23, v24
	v_add_f32_e32 v17, v15, v2
	v_add_f32_e32 v16, v16, v3
	v_mul_f32_e32 v2, v23, v27
	v_mul_f32_e32 v3, v22, v27
	v_fma_f32 v2, v22, v26, -v2
	v_fmac_f32_e32 v3, v23, v26
	v_add_f32_e32 v15, v30, v2
	v_add_f32_e32 v10, v10, v3
	s_barrier
	s_cbranch_scc0 .LBB776_2
	s_branch .LBB776_4
.LBB776_3:
	v_mov_b32_e32 v20, 0
	v_mov_b32_e32 v21, 0
	;; [unrolled: 1-line block ×8, first 2 shown]
.LBB776_4:
	s_load_dword s3, s[4:5], 0x40
	v_add_u32_e32 v5, s7, v1
	s_waitcnt lgkmcnt(0)
	v_mov_b32_e32 v3, s11
	v_add_u32_e32 v0, s6, v0
	v_cmp_gt_i32_e32 vcc, s2, v5
	v_mad_i64_i32 v[1:2], s[0:1], v5, s3, 0
	v_lshlrev_b64 v[1:2], 3, v[1:2]
	v_add_co_u32_e64 v4, s[0:1], s10, v1
	v_addc_co_u32_e64 v6, s[0:1], v3, v2, s[0:1]
	v_cmp_le_i32_e64 s[0:1], v0, v5
	s_and_b64 s[0:1], vcc, s[0:1]
	s_and_saveexec_b64 s[4:5], s[0:1]
	s_cbranch_execz .LBB776_7
; %bb.5:
	v_ashrrev_i32_e32 v1, 31, v0
	v_lshlrev_b64 v[1:2], 3, v[0:1]
	v_add_co_u32_e64 v1, s[0:1], v4, v1
	v_addc_co_u32_e64 v2, s[0:1], v6, v2, s[0:1]
	flat_load_dwordx2 v[7:8], v[1:2]
	v_cmp_eq_u32_e64 s[0:1], v5, v0
	s_waitcnt vmcnt(0) lgkmcnt(0)
	v_add_f32_e32 v7, v20, v7
	v_add_f32_e32 v8, v21, v8
	flat_store_dwordx2 v[1:2], v[7:8]
	s_and_b64 exec, exec, s[0:1]
	s_cbranch_execz .LBB776_7
; %bb.6:
	v_mov_b32_e32 v3, 0
	flat_store_dword v[1:2], v3 offset:4
.LBB776_7:
	s_or_b64 exec, exec, s[4:5]
	v_add_u32_e32 v2, 16, v0
	v_cmp_le_i32_e64 s[0:1], v2, v5
	s_and_b64 s[4:5], vcc, s[0:1]
	s_and_saveexec_b64 s[0:1], s[4:5]
	s_cbranch_execz .LBB776_10
; %bb.8:
	v_ashrrev_i32_e32 v3, 31, v2
	v_lshlrev_b64 v[7:8], 3, v[2:3]
	v_add_co_u32_e32 v3, vcc, v4, v7
	v_addc_co_u32_e32 v4, vcc, v6, v8, vcc
	flat_load_dwordx2 v[6:7], v[3:4]
	v_cmp_eq_u32_e32 vcc, v5, v2
	s_waitcnt vmcnt(0) lgkmcnt(0)
	v_add_f32_e32 v6, v19, v6
	v_add_f32_e32 v7, v18, v7
	flat_store_dwordx2 v[3:4], v[6:7]
	s_and_b64 exec, exec, vcc
	s_cbranch_execz .LBB776_10
; %bb.9:
	v_mov_b32_e32 v1, 0
	flat_store_dword v[3:4], v1 offset:4
.LBB776_10:
	s_or_b64 exec, exec, s[0:1]
	v_add_u32_e32 v8, 16, v5
	v_mad_i64_i32 v[3:4], s[0:1], v8, s3, 0
	v_mov_b32_e32 v1, s11
	v_cmp_gt_i32_e32 vcc, s2, v8
	v_lshlrev_b64 v[3:4], 3, v[3:4]
	v_add_co_u32_e64 v6, s[0:1], s10, v3
	v_addc_co_u32_e64 v7, s[0:1], v1, v4, s[0:1]
	v_cmp_le_i32_e64 s[0:1], v0, v8
	s_and_b64 s[0:1], vcc, s[0:1]
	s_and_saveexec_b64 s[2:3], s[0:1]
	s_cbranch_execz .LBB776_13
; %bb.11:
	v_ashrrev_i32_e32 v1, 31, v0
	v_lshlrev_b64 v[3:4], 3, v[0:1]
	v_add_co_u32_e64 v3, s[0:1], v6, v3
	v_addc_co_u32_e64 v4, s[0:1], v7, v4, s[0:1]
	flat_load_dwordx2 v[11:12], v[3:4]
	v_cmp_eq_u32_e64 s[0:1], v8, v0
	s_waitcnt vmcnt(0) lgkmcnt(0)
	v_add_f32_e32 v11, v17, v11
	v_add_f32_e32 v12, v16, v12
	flat_store_dwordx2 v[3:4], v[11:12]
	s_and_b64 exec, exec, s[0:1]
	s_cbranch_execz .LBB776_13
; %bb.12:
	v_mov_b32_e32 v1, 0
	flat_store_dword v[3:4], v1 offset:4
.LBB776_13:
	s_or_b64 exec, exec, s[2:3]
	v_cmp_le_i32_e64 s[0:1], v2, v8
	s_and_b64 s[0:1], vcc, s[0:1]
	s_and_saveexec_b64 s[2:3], s[0:1]
	s_cbranch_execz .LBB776_16
; %bb.14:
	v_ashrrev_i32_e32 v3, 31, v2
	v_lshlrev_b64 v[1:2], 3, v[2:3]
	v_add_co_u32_e32 v1, vcc, v6, v1
	v_addc_co_u32_e32 v2, vcc, v7, v2, vcc
	flat_load_dwordx2 v[3:4], v[1:2]
	v_cmp_eq_u32_e32 vcc, v5, v0
	s_waitcnt vmcnt(0) lgkmcnt(0)
	v_add_f32_e32 v3, v15, v3
	v_add_f32_e32 v4, v10, v4
	flat_store_dwordx2 v[1:2], v[3:4]
	s_and_b64 exec, exec, vcc
	s_cbranch_execz .LBB776_16
; %bb.15:
	v_mov_b32_e32 v0, 0
	flat_store_dword v[1:2], v0 offset:4
.LBB776_16:
	s_endpgm
	.section	.rodata,"a",@progbits
	.p2align	6, 0x0
	.amdhsa_kernel _ZL37rocblas_syrkx_herkx_restricted_kernelIi19rocblas_complex_numIfELi16ELi32ELi8ELi1ELi1ELb1ELc67ELc85EKPKS1_KPS1_EviT_PT9_S7_lS9_S7_lPT10_S7_li
		.amdhsa_group_segment_fixed_size 4096
		.amdhsa_private_segment_fixed_size 0
		.amdhsa_kernarg_size 84
		.amdhsa_user_sgpr_count 6
		.amdhsa_user_sgpr_private_segment_buffer 1
		.amdhsa_user_sgpr_dispatch_ptr 0
		.amdhsa_user_sgpr_queue_ptr 0
		.amdhsa_user_sgpr_kernarg_segment_ptr 1
		.amdhsa_user_sgpr_dispatch_id 0
		.amdhsa_user_sgpr_flat_scratch_init 0
		.amdhsa_user_sgpr_private_segment_size 0
		.amdhsa_uses_dynamic_stack 0
		.amdhsa_system_sgpr_private_segment_wavefront_offset 0
		.amdhsa_system_sgpr_workgroup_id_x 1
		.amdhsa_system_sgpr_workgroup_id_y 1
		.amdhsa_system_sgpr_workgroup_id_z 1
		.amdhsa_system_sgpr_workgroup_info 0
		.amdhsa_system_vgpr_workitem_id 1
		.amdhsa_next_free_vgpr 41
		.amdhsa_next_free_sgpr 17
		.amdhsa_reserve_vcc 1
		.amdhsa_reserve_flat_scratch 0
		.amdhsa_float_round_mode_32 0
		.amdhsa_float_round_mode_16_64 0
		.amdhsa_float_denorm_mode_32 3
		.amdhsa_float_denorm_mode_16_64 3
		.amdhsa_dx10_clamp 1
		.amdhsa_ieee_mode 1
		.amdhsa_fp16_overflow 0
		.amdhsa_exception_fp_ieee_invalid_op 0
		.amdhsa_exception_fp_denorm_src 0
		.amdhsa_exception_fp_ieee_div_zero 0
		.amdhsa_exception_fp_ieee_overflow 0
		.amdhsa_exception_fp_ieee_underflow 0
		.amdhsa_exception_fp_ieee_inexact 0
		.amdhsa_exception_int_div_zero 0
	.end_amdhsa_kernel
	.section	.text._ZL37rocblas_syrkx_herkx_restricted_kernelIi19rocblas_complex_numIfELi16ELi32ELi8ELi1ELi1ELb1ELc67ELc85EKPKS1_KPS1_EviT_PT9_S7_lS9_S7_lPT10_S7_li,"axG",@progbits,_ZL37rocblas_syrkx_herkx_restricted_kernelIi19rocblas_complex_numIfELi16ELi32ELi8ELi1ELi1ELb1ELc67ELc85EKPKS1_KPS1_EviT_PT9_S7_lS9_S7_lPT10_S7_li,comdat
.Lfunc_end776:
	.size	_ZL37rocblas_syrkx_herkx_restricted_kernelIi19rocblas_complex_numIfELi16ELi32ELi8ELi1ELi1ELb1ELc67ELc85EKPKS1_KPS1_EviT_PT9_S7_lS9_S7_lPT10_S7_li, .Lfunc_end776-_ZL37rocblas_syrkx_herkx_restricted_kernelIi19rocblas_complex_numIfELi16ELi32ELi8ELi1ELi1ELb1ELc67ELc85EKPKS1_KPS1_EviT_PT9_S7_lS9_S7_lPT10_S7_li
                                        ; -- End function
	.set _ZL37rocblas_syrkx_herkx_restricted_kernelIi19rocblas_complex_numIfELi16ELi32ELi8ELi1ELi1ELb1ELc67ELc85EKPKS1_KPS1_EviT_PT9_S7_lS9_S7_lPT10_S7_li.num_vgpr, 41
	.set _ZL37rocblas_syrkx_herkx_restricted_kernelIi19rocblas_complex_numIfELi16ELi32ELi8ELi1ELi1ELb1ELc67ELc85EKPKS1_KPS1_EviT_PT9_S7_lS9_S7_lPT10_S7_li.num_agpr, 0
	.set _ZL37rocblas_syrkx_herkx_restricted_kernelIi19rocblas_complex_numIfELi16ELi32ELi8ELi1ELi1ELb1ELc67ELc85EKPKS1_KPS1_EviT_PT9_S7_lS9_S7_lPT10_S7_li.numbered_sgpr, 17
	.set _ZL37rocblas_syrkx_herkx_restricted_kernelIi19rocblas_complex_numIfELi16ELi32ELi8ELi1ELi1ELb1ELc67ELc85EKPKS1_KPS1_EviT_PT9_S7_lS9_S7_lPT10_S7_li.num_named_barrier, 0
	.set _ZL37rocblas_syrkx_herkx_restricted_kernelIi19rocblas_complex_numIfELi16ELi32ELi8ELi1ELi1ELb1ELc67ELc85EKPKS1_KPS1_EviT_PT9_S7_lS9_S7_lPT10_S7_li.private_seg_size, 0
	.set _ZL37rocblas_syrkx_herkx_restricted_kernelIi19rocblas_complex_numIfELi16ELi32ELi8ELi1ELi1ELb1ELc67ELc85EKPKS1_KPS1_EviT_PT9_S7_lS9_S7_lPT10_S7_li.uses_vcc, 1
	.set _ZL37rocblas_syrkx_herkx_restricted_kernelIi19rocblas_complex_numIfELi16ELi32ELi8ELi1ELi1ELb1ELc67ELc85EKPKS1_KPS1_EviT_PT9_S7_lS9_S7_lPT10_S7_li.uses_flat_scratch, 0
	.set _ZL37rocblas_syrkx_herkx_restricted_kernelIi19rocblas_complex_numIfELi16ELi32ELi8ELi1ELi1ELb1ELc67ELc85EKPKS1_KPS1_EviT_PT9_S7_lS9_S7_lPT10_S7_li.has_dyn_sized_stack, 0
	.set _ZL37rocblas_syrkx_herkx_restricted_kernelIi19rocblas_complex_numIfELi16ELi32ELi8ELi1ELi1ELb1ELc67ELc85EKPKS1_KPS1_EviT_PT9_S7_lS9_S7_lPT10_S7_li.has_recursion, 0
	.set _ZL37rocblas_syrkx_herkx_restricted_kernelIi19rocblas_complex_numIfELi16ELi32ELi8ELi1ELi1ELb1ELc67ELc85EKPKS1_KPS1_EviT_PT9_S7_lS9_S7_lPT10_S7_li.has_indirect_call, 0
	.section	.AMDGPU.csdata,"",@progbits
; Kernel info:
; codeLenInByte = 2020
; TotalNumSgprs: 21
; NumVgprs: 41
; ScratchSize: 0
; MemoryBound: 0
; FloatMode: 240
; IeeeMode: 1
; LDSByteSize: 4096 bytes/workgroup (compile time only)
; SGPRBlocks: 2
; VGPRBlocks: 10
; NumSGPRsForWavesPerEU: 21
; NumVGPRsForWavesPerEU: 41
; Occupancy: 5
; WaveLimiterHint : 1
; COMPUTE_PGM_RSRC2:SCRATCH_EN: 0
; COMPUTE_PGM_RSRC2:USER_SGPR: 6
; COMPUTE_PGM_RSRC2:TRAP_HANDLER: 0
; COMPUTE_PGM_RSRC2:TGID_X_EN: 1
; COMPUTE_PGM_RSRC2:TGID_Y_EN: 1
; COMPUTE_PGM_RSRC2:TGID_Z_EN: 1
; COMPUTE_PGM_RSRC2:TIDIG_COMP_CNT: 1
	.section	.text._ZL37rocblas_syrkx_herkx_restricted_kernelIi19rocblas_complex_numIfELi16ELi32ELi8ELi1ELi1ELb1ELc78ELc85EKPKS1_KPS1_EviT_PT9_S7_lS9_S7_lPT10_S7_li,"axG",@progbits,_ZL37rocblas_syrkx_herkx_restricted_kernelIi19rocblas_complex_numIfELi16ELi32ELi8ELi1ELi1ELb1ELc78ELc85EKPKS1_KPS1_EviT_PT9_S7_lS9_S7_lPT10_S7_li,comdat
	.globl	_ZL37rocblas_syrkx_herkx_restricted_kernelIi19rocblas_complex_numIfELi16ELi32ELi8ELi1ELi1ELb1ELc78ELc85EKPKS1_KPS1_EviT_PT9_S7_lS9_S7_lPT10_S7_li ; -- Begin function _ZL37rocblas_syrkx_herkx_restricted_kernelIi19rocblas_complex_numIfELi16ELi32ELi8ELi1ELi1ELb1ELc78ELc85EKPKS1_KPS1_EviT_PT9_S7_lS9_S7_lPT10_S7_li
	.p2align	8
	.type	_ZL37rocblas_syrkx_herkx_restricted_kernelIi19rocblas_complex_numIfELi16ELi32ELi8ELi1ELi1ELb1ELc78ELc85EKPKS1_KPS1_EviT_PT9_S7_lS9_S7_lPT10_S7_li,@function
_ZL37rocblas_syrkx_herkx_restricted_kernelIi19rocblas_complex_numIfELi16ELi32ELi8ELi1ELi1ELb1ELc78ELc85EKPKS1_KPS1_EviT_PT9_S7_lS9_S7_lPT10_S7_li: ; @_ZL37rocblas_syrkx_herkx_restricted_kernelIi19rocblas_complex_numIfELi16ELi32ELi8ELi1ELi1ELb1ELc78ELc85EKPKS1_KPS1_EviT_PT9_S7_lS9_S7_lPT10_S7_li
; %bb.0:
	s_load_dwordx2 s[10:11], s[4:5], 0x38
	s_load_dwordx2 s[2:3], s[4:5], 0x0
	s_mov_b32 s9, 0
	s_lshl_b64 s[0:1], s[8:9], 3
	s_waitcnt lgkmcnt(0)
	s_add_u32 s10, s10, s0
	s_addc_u32 s11, s11, s1
	s_load_dwordx2 s[10:11], s[10:11], 0x0
	s_lshl_b32 s8, s6, 5
	s_lshl_b32 s12, s7, 5
	s_cmp_lt_i32 s3, 1
	s_cbranch_scc1 .LBB777_3
; %bb.1:
	s_load_dword s6, s[4:5], 0x10
	s_load_dword s14, s[4:5], 0x28
	s_load_dwordx2 s[16:17], s[4:5], 0x20
	s_load_dwordx2 s[18:19], s[4:5], 0x8
	v_lshl_add_u32 v5, v1, 4, v0
	s_waitcnt lgkmcnt(0)
	s_ashr_i32 s7, s6, 31
	s_ashr_i32 s15, s14, 31
	v_lshrrev_b32_e32 v6, 3, v5
	s_add_u32 s18, s18, s0
	s_addc_u32 s19, s19, s1
	s_add_u32 s0, s16, s0
	v_add_u32_e32 v2, s12, v6
	s_addc_u32 s1, s17, s1
	v_and_b32_e32 v4, 7, v0
	v_ashrrev_i32_e32 v3, 31, v2
	s_load_dwordx2 s[16:17], s[0:1], 0x0
	v_mad_i64_i32 v[2:3], s[0:1], s14, v4, v[2:3]
	v_lshlrev_b32_e32 v4, 3, v4
	v_lshrrev_b32_e32 v7, 5, v5
	v_and_b32_e32 v5, 31, v5
	v_lshl_or_b32 v4, v6, 6, v4
	v_add_u32_e32 v11, 0x800, v4
	v_add_u32_e32 v4, s8, v5
	v_lshlrev_b32_e32 v8, 3, v5
	v_ashrrev_i32_e32 v5, 31, v4
	v_mad_i64_i32 v[4:5], s[0:1], s6, v7, v[4:5]
	s_load_dwordx2 s[18:19], s[18:19], 0x0
	v_mov_b32_e32 v6, 0x800
	v_lshlrev_b64 v[4:5], 3, v[4:5]
	v_lshl_or_b32 v10, v7, 8, v8
	v_lshl_add_u32 v13, v1, 6, v6
	s_waitcnt lgkmcnt(0)
	v_mov_b32_e32 v7, s19
	v_add_co_u32_e32 v6, vcc, s18, v4
	v_lshlrev_b64 v[2:3], 3, v[2:3]
	v_addc_co_u32_e32 v7, vcc, v7, v5, vcc
	s_lshl_b64 s[0:1], s[6:7], 6
	v_mov_b32_e32 v4, s17
	v_add_co_u32_e32 v8, vcc, s16, v2
	s_lshl_b64 s[6:7], s[14:15], 6
	v_lshlrev_b32_e32 v12, 3, v0
	v_addc_co_u32_e32 v9, vcc, v4, v3, vcc
	v_mov_b32_e32 v16, 0
	v_mov_b32_e32 v14, s1
	;; [unrolled: 1-line block ×10, first 2 shown]
.LBB777_2:                              ; =>This Inner Loop Header: Depth=1
	flat_load_dwordx2 v[2:3], v[6:7]
	v_add_co_u32_e32 v6, vcc, s0, v6
	v_addc_co_u32_e32 v7, vcc, v7, v14, vcc
	s_add_i32 s9, s9, 8
	s_cmp_ge_i32 s9, s3
	s_waitcnt vmcnt(0) lgkmcnt(0)
	ds_write_b64 v10, v[2:3]
	flat_load_dwordx2 v[2:3], v[8:9]
	v_add_co_u32_e32 v8, vcc, s6, v8
	v_addc_co_u32_e32 v9, vcc, v9, v15, vcc
	s_waitcnt vmcnt(0) lgkmcnt(0)
	v_xor_b32_e32 v3, 0x80000000, v3
	ds_write_b64 v11, v[2:3]
	s_waitcnt lgkmcnt(0)
	s_barrier
	ds_read_b128 v[24:27], v13
	ds_read_b128 v[28:31], v13 offset:16
	ds_read_b128 v[32:35], v13 offset:32
	;; [unrolled: 1-line block ×3, first 2 shown]
	ds_read2_b64 v[36:39], v12 offset1:16
	s_waitcnt lgkmcnt(0)
	v_mul_f32_e32 v40, v25, v37
	v_mul_f32_e32 v41, v24, v37
	v_fma_f32 v40, v24, v36, -v40
	v_fmac_f32_e32 v41, v25, v36
	v_add_f32_e32 v40, v22, v40
	v_add_f32_e32 v41, v23, v41
	v_mul_f32_e32 v22, v25, v39
	v_mul_f32_e32 v23, v24, v39
	v_fma_f32 v22, v24, v38, -v22
	v_fmac_f32_e32 v23, v25, v38
	v_add_f32_e32 v24, v21, v22
	v_add_f32_e32 v25, v20, v23
	ds_read_b128 v[20:23], v13 offset:1024
	s_waitcnt lgkmcnt(0)
	v_mul_f32_e32 v42, v21, v37
	v_mul_f32_e32 v37, v20, v37
	v_fma_f32 v42, v20, v36, -v42
	v_fmac_f32_e32 v37, v21, v36
	v_add_f32_e32 v36, v19, v42
	v_add_f32_e32 v37, v18, v37
	v_mul_f32_e32 v18, v21, v39
	v_mul_f32_e32 v19, v20, v39
	v_fma_f32 v18, v20, v38, -v18
	v_fmac_f32_e32 v19, v21, v38
	v_add_f32_e32 v20, v17, v18
	v_add_f32_e32 v21, v16, v19
	ds_read2_b64 v[16:19], v12 offset0:32 offset1:48
	s_waitcnt lgkmcnt(0)
	v_mul_f32_e32 v38, v27, v17
	v_fma_f32 v38, v26, v16, -v38
	v_add_f32_e32 v38, v40, v38
	v_mul_f32_e32 v40, v27, v19
	v_mul_f32_e32 v39, v26, v17
	v_fma_f32 v40, v26, v18, -v40
	v_mul_f32_e32 v26, v26, v19
	v_fmac_f32_e32 v26, v27, v18
	v_add_f32_e32 v25, v25, v26
	v_mul_f32_e32 v26, v23, v17
	v_mul_f32_e32 v17, v22, v17
	v_fmac_f32_e32 v17, v23, v16
	v_fmac_f32_e32 v39, v27, v16
	v_fma_f32 v26, v22, v16, -v26
	v_add_f32_e32 v27, v37, v17
	v_mul_f32_e32 v16, v23, v19
	v_mul_f32_e32 v17, v22, v19
	v_fma_f32 v16, v22, v18, -v16
	v_fmac_f32_e32 v17, v23, v18
	v_add_f32_e32 v26, v36, v26
	v_add_f32_e32 v36, v20, v16
	;; [unrolled: 1-line block ×3, first 2 shown]
	ds_read2_b64 v[16:19], v12 offset0:64 offset1:80
	v_add_f32_e32 v39, v41, v39
	v_add_f32_e32 v24, v24, v40
	s_waitcnt lgkmcnt(0)
	v_mul_f32_e32 v20, v29, v17
	v_mul_f32_e32 v21, v28, v17
	v_fma_f32 v20, v28, v16, -v20
	v_fmac_f32_e32 v21, v29, v16
	v_add_f32_e32 v38, v38, v20
	v_add_f32_e32 v39, v39, v21
	v_mul_f32_e32 v20, v29, v19
	v_mul_f32_e32 v21, v28, v19
	v_fma_f32 v20, v28, v18, -v20
	v_fmac_f32_e32 v21, v29, v18
	v_add_f32_e32 v24, v24, v20
	v_add_f32_e32 v25, v25, v21
	ds_read_b128 v[20:23], v13 offset:1040
	s_waitcnt lgkmcnt(0)
	v_mul_f32_e32 v28, v21, v17
	v_mul_f32_e32 v17, v20, v17
	v_fmac_f32_e32 v17, v21, v16
	v_fma_f32 v28, v20, v16, -v28
	v_add_f32_e32 v27, v27, v17
	v_mul_f32_e32 v16, v21, v19
	v_mul_f32_e32 v17, v20, v19
	v_fma_f32 v16, v20, v18, -v16
	v_fmac_f32_e32 v17, v21, v18
	v_add_f32_e32 v20, v36, v16
	v_add_f32_e32 v21, v37, v17
	ds_read2_b64 v[16:19], v12 offset0:96 offset1:112
	v_add_f32_e32 v26, v26, v28
	s_waitcnt lgkmcnt(0)
	v_mul_f32_e32 v28, v31, v17
	v_mul_f32_e32 v36, v31, v19
	v_fma_f32 v28, v30, v16, -v28
	v_mul_f32_e32 v29, v30, v17
	v_fma_f32 v36, v30, v18, -v36
	v_mul_f32_e32 v30, v30, v19
	v_fmac_f32_e32 v30, v31, v18
	v_add_f32_e32 v25, v25, v30
	v_mul_f32_e32 v30, v23, v17
	v_mul_f32_e32 v17, v22, v17
	v_fmac_f32_e32 v17, v23, v16
	v_fmac_f32_e32 v29, v31, v16
	v_fma_f32 v30, v22, v16, -v30
	v_add_f32_e32 v27, v27, v17
	v_mul_f32_e32 v16, v23, v19
	v_mul_f32_e32 v17, v22, v19
	v_fma_f32 v16, v22, v18, -v16
	v_fmac_f32_e32 v17, v23, v18
	v_add_f32_e32 v26, v26, v30
	v_add_f32_e32 v30, v20, v16
	;; [unrolled: 1-line block ×3, first 2 shown]
	ds_read2_b64 v[16:19], v12 offset0:128 offset1:144
	v_add_f32_e32 v28, v38, v28
	v_add_f32_e32 v29, v39, v29
	;; [unrolled: 1-line block ×3, first 2 shown]
	s_waitcnt lgkmcnt(0)
	v_mul_f32_e32 v20, v33, v17
	v_mul_f32_e32 v21, v32, v17
	v_fma_f32 v20, v32, v16, -v20
	v_fmac_f32_e32 v21, v33, v16
	v_add_f32_e32 v28, v28, v20
	v_add_f32_e32 v29, v29, v21
	v_mul_f32_e32 v20, v33, v19
	v_mul_f32_e32 v21, v32, v19
	v_fma_f32 v20, v32, v18, -v20
	v_fmac_f32_e32 v21, v33, v18
	v_add_f32_e32 v24, v24, v20
	v_add_f32_e32 v25, v25, v21
	ds_read_b128 v[20:23], v13 offset:1056
	s_waitcnt lgkmcnt(0)
	v_mul_f32_e32 v32, v21, v17
	v_mul_f32_e32 v17, v20, v17
	v_fmac_f32_e32 v17, v21, v16
	v_fma_f32 v32, v20, v16, -v32
	v_add_f32_e32 v27, v27, v17
	v_mul_f32_e32 v16, v21, v19
	v_mul_f32_e32 v17, v20, v19
	v_fma_f32 v16, v20, v18, -v16
	v_fmac_f32_e32 v17, v21, v18
	v_add_f32_e32 v20, v30, v16
	v_add_f32_e32 v21, v31, v17
	ds_read2_b64 v[16:19], v12 offset0:160 offset1:176
	v_add_f32_e32 v26, v26, v32
	s_waitcnt lgkmcnt(0)
	v_mul_f32_e32 v30, v35, v17
	v_fma_f32 v30, v34, v16, -v30
	v_add_f32_e32 v28, v28, v30
	v_mul_f32_e32 v30, v35, v19
	v_fma_f32 v30, v34, v18, -v30
	v_mul_f32_e32 v31, v34, v17
	v_add_f32_e32 v24, v24, v30
	v_mul_f32_e32 v30, v23, v17
	v_mul_f32_e32 v17, v22, v17
	v_fmac_f32_e32 v17, v23, v16
	v_fmac_f32_e32 v31, v35, v16
	v_fma_f32 v30, v22, v16, -v30
	v_add_f32_e32 v27, v27, v17
	v_mul_f32_e32 v16, v23, v19
	v_mul_f32_e32 v17, v22, v19
	v_add_f32_e32 v29, v29, v31
	v_mul_f32_e32 v31, v34, v19
	v_fma_f32 v16, v22, v18, -v16
	v_fmac_f32_e32 v17, v23, v18
	v_fmac_f32_e32 v31, v35, v18
	v_add_f32_e32 v20, v20, v16
	v_add_f32_e32 v21, v21, v17
	ds_read2_b64 v[16:19], v12 offset0:192 offset1:208
	v_add_f32_e32 v26, v26, v30
	v_add_f32_e32 v25, v25, v31
	s_waitcnt lgkmcnt(0)
	v_mul_f32_e32 v22, v3, v17
	v_fma_f32 v22, v2, v16, -v22
	v_add_f32_e32 v30, v28, v22
	v_mul_f32_e32 v22, v3, v19
	v_mul_f32_e32 v23, v2, v17
	v_fma_f32 v22, v2, v18, -v22
	v_mul_f32_e32 v2, v2, v19
	v_fmac_f32_e32 v23, v3, v16
	v_fmac_f32_e32 v2, v3, v18
	v_add_f32_e32 v31, v29, v23
	v_add_f32_e32 v3, v24, v22
	;; [unrolled: 1-line block ×3, first 2 shown]
	ds_read_b128 v[22:25], v13 offset:1072
	s_waitcnt lgkmcnt(0)
	v_mul_f32_e32 v28, v23, v17
	v_fma_f32 v28, v22, v16, -v28
	v_mul_f32_e32 v17, v22, v17
	v_fmac_f32_e32 v17, v23, v16
	v_add_f32_e32 v16, v26, v28
	v_mul_f32_e32 v26, v23, v19
	v_fma_f32 v26, v22, v18, -v26
	v_add_f32_e32 v17, v27, v17
	v_add_f32_e32 v32, v20, v26
	ds_read2_b64 v[26:29], v12 offset0:224 offset1:240
	v_mul_f32_e32 v19, v22, v19
	v_fmac_f32_e32 v19, v23, v18
	v_add_f32_e32 v33, v21, v19
	s_waitcnt lgkmcnt(0)
	v_mul_f32_e32 v18, v5, v27
	v_fma_f32 v18, v4, v26, -v18
	v_add_f32_e32 v22, v30, v18
	v_mul_f32_e32 v18, v5, v29
	v_mul_f32_e32 v19, v4, v27
	v_fma_f32 v18, v4, v28, -v18
	v_mul_f32_e32 v4, v4, v29
	v_fmac_f32_e32 v4, v5, v28
	v_add_f32_e32 v21, v3, v18
	v_add_f32_e32 v20, v2, v4
	v_mul_f32_e32 v2, v25, v27
	v_mul_f32_e32 v3, v24, v27
	v_fmac_f32_e32 v19, v5, v26
	v_fma_f32 v2, v24, v26, -v2
	v_fmac_f32_e32 v3, v25, v26
	v_add_f32_e32 v23, v31, v19
	v_add_f32_e32 v19, v16, v2
	;; [unrolled: 1-line block ×3, first 2 shown]
	v_mul_f32_e32 v2, v25, v29
	v_mul_f32_e32 v3, v24, v29
	v_fma_f32 v2, v24, v28, -v2
	v_fmac_f32_e32 v3, v25, v28
	v_add_f32_e32 v17, v32, v2
	v_add_f32_e32 v16, v33, v3
	s_barrier
	s_cbranch_scc0 .LBB777_2
	s_branch .LBB777_4
.LBB777_3:
	v_mov_b32_e32 v22, 0
	v_mov_b32_e32 v23, 0
	;; [unrolled: 1-line block ×8, first 2 shown]
.LBB777_4:
	s_load_dword s3, s[4:5], 0x40
	v_add_u32_e32 v5, s12, v1
	s_waitcnt lgkmcnt(0)
	v_mov_b32_e32 v3, s11
	v_add_u32_e32 v0, s8, v0
	v_cmp_gt_i32_e32 vcc, s2, v5
	v_mad_i64_i32 v[1:2], s[0:1], v5, s3, 0
	v_lshlrev_b64 v[1:2], 3, v[1:2]
	v_add_co_u32_e64 v4, s[0:1], s10, v1
	v_addc_co_u32_e64 v6, s[0:1], v3, v2, s[0:1]
	v_cmp_le_i32_e64 s[0:1], v0, v5
	s_and_b64 s[0:1], vcc, s[0:1]
	s_and_saveexec_b64 s[4:5], s[0:1]
	s_cbranch_execz .LBB777_7
; %bb.5:
	v_ashrrev_i32_e32 v1, 31, v0
	v_lshlrev_b64 v[1:2], 3, v[0:1]
	v_add_co_u32_e64 v1, s[0:1], v4, v1
	v_addc_co_u32_e64 v2, s[0:1], v6, v2, s[0:1]
	flat_load_dwordx2 v[7:8], v[1:2]
	v_cmp_eq_u32_e64 s[0:1], v5, v0
	s_waitcnt vmcnt(0) lgkmcnt(0)
	v_add_f32_e32 v7, v22, v7
	v_add_f32_e32 v8, v23, v8
	flat_store_dwordx2 v[1:2], v[7:8]
	s_and_b64 exec, exec, s[0:1]
	s_cbranch_execz .LBB777_7
; %bb.6:
	v_mov_b32_e32 v3, 0
	flat_store_dword v[1:2], v3 offset:4
.LBB777_7:
	s_or_b64 exec, exec, s[4:5]
	v_add_u32_e32 v2, 16, v0
	v_cmp_le_i32_e64 s[0:1], v2, v5
	s_and_b64 s[4:5], vcc, s[0:1]
	s_and_saveexec_b64 s[0:1], s[4:5]
	s_cbranch_execz .LBB777_10
; %bb.8:
	v_ashrrev_i32_e32 v3, 31, v2
	v_lshlrev_b64 v[7:8], 3, v[2:3]
	v_add_co_u32_e32 v3, vcc, v4, v7
	v_addc_co_u32_e32 v4, vcc, v6, v8, vcc
	flat_load_dwordx2 v[6:7], v[3:4]
	v_cmp_eq_u32_e32 vcc, v5, v2
	s_waitcnt vmcnt(0) lgkmcnt(0)
	v_add_f32_e32 v6, v21, v6
	v_add_f32_e32 v7, v20, v7
	flat_store_dwordx2 v[3:4], v[6:7]
	s_and_b64 exec, exec, vcc
	s_cbranch_execz .LBB777_10
; %bb.9:
	v_mov_b32_e32 v1, 0
	flat_store_dword v[3:4], v1 offset:4
.LBB777_10:
	s_or_b64 exec, exec, s[0:1]
	v_add_u32_e32 v8, 16, v5
	v_mad_i64_i32 v[3:4], s[0:1], v8, s3, 0
	v_mov_b32_e32 v1, s11
	v_cmp_gt_i32_e32 vcc, s2, v8
	v_lshlrev_b64 v[3:4], 3, v[3:4]
	v_add_co_u32_e64 v6, s[0:1], s10, v3
	v_addc_co_u32_e64 v7, s[0:1], v1, v4, s[0:1]
	v_cmp_le_i32_e64 s[0:1], v0, v8
	s_and_b64 s[0:1], vcc, s[0:1]
	s_and_saveexec_b64 s[2:3], s[0:1]
	s_cbranch_execz .LBB777_13
; %bb.11:
	v_ashrrev_i32_e32 v1, 31, v0
	v_lshlrev_b64 v[3:4], 3, v[0:1]
	v_add_co_u32_e64 v3, s[0:1], v6, v3
	v_addc_co_u32_e64 v4, s[0:1], v7, v4, s[0:1]
	flat_load_dwordx2 v[9:10], v[3:4]
	v_cmp_eq_u32_e64 s[0:1], v8, v0
	s_waitcnt vmcnt(0) lgkmcnt(0)
	v_add_f32_e32 v9, v19, v9
	v_add_f32_e32 v10, v18, v10
	flat_store_dwordx2 v[3:4], v[9:10]
	s_and_b64 exec, exec, s[0:1]
	s_cbranch_execz .LBB777_13
; %bb.12:
	v_mov_b32_e32 v1, 0
	flat_store_dword v[3:4], v1 offset:4
.LBB777_13:
	s_or_b64 exec, exec, s[2:3]
	v_cmp_le_i32_e64 s[0:1], v2, v8
	s_and_b64 s[0:1], vcc, s[0:1]
	s_and_saveexec_b64 s[2:3], s[0:1]
	s_cbranch_execz .LBB777_16
; %bb.14:
	v_ashrrev_i32_e32 v3, 31, v2
	v_lshlrev_b64 v[1:2], 3, v[2:3]
	v_add_co_u32_e32 v1, vcc, v6, v1
	v_addc_co_u32_e32 v2, vcc, v7, v2, vcc
	flat_load_dwordx2 v[3:4], v[1:2]
	v_cmp_eq_u32_e32 vcc, v5, v0
	s_waitcnt vmcnt(0) lgkmcnt(0)
	v_add_f32_e32 v3, v17, v3
	v_add_f32_e32 v4, v16, v4
	flat_store_dwordx2 v[1:2], v[3:4]
	s_and_b64 exec, exec, vcc
	s_cbranch_execz .LBB777_16
; %bb.15:
	v_mov_b32_e32 v0, 0
	flat_store_dword v[1:2], v0 offset:4
.LBB777_16:
	s_endpgm
	.section	.rodata,"a",@progbits
	.p2align	6, 0x0
	.amdhsa_kernel _ZL37rocblas_syrkx_herkx_restricted_kernelIi19rocblas_complex_numIfELi16ELi32ELi8ELi1ELi1ELb1ELc78ELc85EKPKS1_KPS1_EviT_PT9_S7_lS9_S7_lPT10_S7_li
		.amdhsa_group_segment_fixed_size 4096
		.amdhsa_private_segment_fixed_size 0
		.amdhsa_kernarg_size 84
		.amdhsa_user_sgpr_count 6
		.amdhsa_user_sgpr_private_segment_buffer 1
		.amdhsa_user_sgpr_dispatch_ptr 0
		.amdhsa_user_sgpr_queue_ptr 0
		.amdhsa_user_sgpr_kernarg_segment_ptr 1
		.amdhsa_user_sgpr_dispatch_id 0
		.amdhsa_user_sgpr_flat_scratch_init 0
		.amdhsa_user_sgpr_private_segment_size 0
		.amdhsa_uses_dynamic_stack 0
		.amdhsa_system_sgpr_private_segment_wavefront_offset 0
		.amdhsa_system_sgpr_workgroup_id_x 1
		.amdhsa_system_sgpr_workgroup_id_y 1
		.amdhsa_system_sgpr_workgroup_id_z 1
		.amdhsa_system_sgpr_workgroup_info 0
		.amdhsa_system_vgpr_workitem_id 1
		.amdhsa_next_free_vgpr 43
		.amdhsa_next_free_sgpr 20
		.amdhsa_reserve_vcc 1
		.amdhsa_reserve_flat_scratch 0
		.amdhsa_float_round_mode_32 0
		.amdhsa_float_round_mode_16_64 0
		.amdhsa_float_denorm_mode_32 3
		.amdhsa_float_denorm_mode_16_64 3
		.amdhsa_dx10_clamp 1
		.amdhsa_ieee_mode 1
		.amdhsa_fp16_overflow 0
		.amdhsa_exception_fp_ieee_invalid_op 0
		.amdhsa_exception_fp_denorm_src 0
		.amdhsa_exception_fp_ieee_div_zero 0
		.amdhsa_exception_fp_ieee_overflow 0
		.amdhsa_exception_fp_ieee_underflow 0
		.amdhsa_exception_fp_ieee_inexact 0
		.amdhsa_exception_int_div_zero 0
	.end_amdhsa_kernel
	.section	.text._ZL37rocblas_syrkx_herkx_restricted_kernelIi19rocblas_complex_numIfELi16ELi32ELi8ELi1ELi1ELb1ELc78ELc85EKPKS1_KPS1_EviT_PT9_S7_lS9_S7_lPT10_S7_li,"axG",@progbits,_ZL37rocblas_syrkx_herkx_restricted_kernelIi19rocblas_complex_numIfELi16ELi32ELi8ELi1ELi1ELb1ELc78ELc85EKPKS1_KPS1_EviT_PT9_S7_lS9_S7_lPT10_S7_li,comdat
.Lfunc_end777:
	.size	_ZL37rocblas_syrkx_herkx_restricted_kernelIi19rocblas_complex_numIfELi16ELi32ELi8ELi1ELi1ELb1ELc78ELc85EKPKS1_KPS1_EviT_PT9_S7_lS9_S7_lPT10_S7_li, .Lfunc_end777-_ZL37rocblas_syrkx_herkx_restricted_kernelIi19rocblas_complex_numIfELi16ELi32ELi8ELi1ELi1ELb1ELc78ELc85EKPKS1_KPS1_EviT_PT9_S7_lS9_S7_lPT10_S7_li
                                        ; -- End function
	.set _ZL37rocblas_syrkx_herkx_restricted_kernelIi19rocblas_complex_numIfELi16ELi32ELi8ELi1ELi1ELb1ELc78ELc85EKPKS1_KPS1_EviT_PT9_S7_lS9_S7_lPT10_S7_li.num_vgpr, 43
	.set _ZL37rocblas_syrkx_herkx_restricted_kernelIi19rocblas_complex_numIfELi16ELi32ELi8ELi1ELi1ELb1ELc78ELc85EKPKS1_KPS1_EviT_PT9_S7_lS9_S7_lPT10_S7_li.num_agpr, 0
	.set _ZL37rocblas_syrkx_herkx_restricted_kernelIi19rocblas_complex_numIfELi16ELi32ELi8ELi1ELi1ELb1ELc78ELc85EKPKS1_KPS1_EviT_PT9_S7_lS9_S7_lPT10_S7_li.numbered_sgpr, 20
	.set _ZL37rocblas_syrkx_herkx_restricted_kernelIi19rocblas_complex_numIfELi16ELi32ELi8ELi1ELi1ELb1ELc78ELc85EKPKS1_KPS1_EviT_PT9_S7_lS9_S7_lPT10_S7_li.num_named_barrier, 0
	.set _ZL37rocblas_syrkx_herkx_restricted_kernelIi19rocblas_complex_numIfELi16ELi32ELi8ELi1ELi1ELb1ELc78ELc85EKPKS1_KPS1_EviT_PT9_S7_lS9_S7_lPT10_S7_li.private_seg_size, 0
	.set _ZL37rocblas_syrkx_herkx_restricted_kernelIi19rocblas_complex_numIfELi16ELi32ELi8ELi1ELi1ELb1ELc78ELc85EKPKS1_KPS1_EviT_PT9_S7_lS9_S7_lPT10_S7_li.uses_vcc, 1
	.set _ZL37rocblas_syrkx_herkx_restricted_kernelIi19rocblas_complex_numIfELi16ELi32ELi8ELi1ELi1ELb1ELc78ELc85EKPKS1_KPS1_EviT_PT9_S7_lS9_S7_lPT10_S7_li.uses_flat_scratch, 0
	.set _ZL37rocblas_syrkx_herkx_restricted_kernelIi19rocblas_complex_numIfELi16ELi32ELi8ELi1ELi1ELb1ELc78ELc85EKPKS1_KPS1_EviT_PT9_S7_lS9_S7_lPT10_S7_li.has_dyn_sized_stack, 0
	.set _ZL37rocblas_syrkx_herkx_restricted_kernelIi19rocblas_complex_numIfELi16ELi32ELi8ELi1ELi1ELb1ELc78ELc85EKPKS1_KPS1_EviT_PT9_S7_lS9_S7_lPT10_S7_li.has_recursion, 0
	.set _ZL37rocblas_syrkx_herkx_restricted_kernelIi19rocblas_complex_numIfELi16ELi32ELi8ELi1ELi1ELb1ELc78ELc85EKPKS1_KPS1_EviT_PT9_S7_lS9_S7_lPT10_S7_li.has_indirect_call, 0
	.section	.AMDGPU.csdata,"",@progbits
; Kernel info:
; codeLenInByte = 2048
; TotalNumSgprs: 24
; NumVgprs: 43
; ScratchSize: 0
; MemoryBound: 0
; FloatMode: 240
; IeeeMode: 1
; LDSByteSize: 4096 bytes/workgroup (compile time only)
; SGPRBlocks: 2
; VGPRBlocks: 10
; NumSGPRsForWavesPerEU: 24
; NumVGPRsForWavesPerEU: 43
; Occupancy: 5
; WaveLimiterHint : 1
; COMPUTE_PGM_RSRC2:SCRATCH_EN: 0
; COMPUTE_PGM_RSRC2:USER_SGPR: 6
; COMPUTE_PGM_RSRC2:TRAP_HANDLER: 0
; COMPUTE_PGM_RSRC2:TGID_X_EN: 1
; COMPUTE_PGM_RSRC2:TGID_Y_EN: 1
; COMPUTE_PGM_RSRC2:TGID_Z_EN: 1
; COMPUTE_PGM_RSRC2:TIDIG_COMP_CNT: 1
	.section	.text._ZL37rocblas_syrkx_herkx_restricted_kernelIi19rocblas_complex_numIfELi16ELi32ELi8ELi1ELin1ELb1ELc84ELc76EKPKS1_KPS1_EviT_PT9_S7_lS9_S7_lPT10_S7_li,"axG",@progbits,_ZL37rocblas_syrkx_herkx_restricted_kernelIi19rocblas_complex_numIfELi16ELi32ELi8ELi1ELin1ELb1ELc84ELc76EKPKS1_KPS1_EviT_PT9_S7_lS9_S7_lPT10_S7_li,comdat
	.globl	_ZL37rocblas_syrkx_herkx_restricted_kernelIi19rocblas_complex_numIfELi16ELi32ELi8ELi1ELin1ELb1ELc84ELc76EKPKS1_KPS1_EviT_PT9_S7_lS9_S7_lPT10_S7_li ; -- Begin function _ZL37rocblas_syrkx_herkx_restricted_kernelIi19rocblas_complex_numIfELi16ELi32ELi8ELi1ELin1ELb1ELc84ELc76EKPKS1_KPS1_EviT_PT9_S7_lS9_S7_lPT10_S7_li
	.p2align	8
	.type	_ZL37rocblas_syrkx_herkx_restricted_kernelIi19rocblas_complex_numIfELi16ELi32ELi8ELi1ELin1ELb1ELc84ELc76EKPKS1_KPS1_EviT_PT9_S7_lS9_S7_lPT10_S7_li,@function
_ZL37rocblas_syrkx_herkx_restricted_kernelIi19rocblas_complex_numIfELi16ELi32ELi8ELi1ELin1ELb1ELc84ELc76EKPKS1_KPS1_EviT_PT9_S7_lS9_S7_lPT10_S7_li: ; @_ZL37rocblas_syrkx_herkx_restricted_kernelIi19rocblas_complex_numIfELi16ELi32ELi8ELi1ELin1ELb1ELc84ELc76EKPKS1_KPS1_EviT_PT9_S7_lS9_S7_lPT10_S7_li
; %bb.0:
	s_load_dwordx2 s[2:3], s[4:5], 0x38
	s_load_dwordx2 s[12:13], s[4:5], 0x0
	s_mov_b32 s9, 0
	s_lshl_b64 s[0:1], s[8:9], 3
	s_waitcnt lgkmcnt(0)
	s_add_u32 s2, s2, s0
	s_addc_u32 s3, s3, s1
	s_load_dwordx2 s[10:11], s[2:3], 0x0
	s_lshl_b32 s2, s6, 5
	s_lshl_b32 s3, s7, 5
	s_cmp_lt_i32 s13, 1
	s_cbranch_scc1 .LBB778_3
; %bb.1:
	v_lshl_add_u32 v4, v1, 4, v0
	s_load_dwordx2 s[6:7], s[4:5], 0x8
	s_load_dword s8, s[4:5], 0x10
	s_load_dwordx2 s[14:15], s[4:5], 0x20
	s_load_dword s16, s[4:5], 0x28
	v_and_b32_e32 v7, 31, v4
	v_lshrrev_b32_e32 v6, 3, v4
	v_and_b32_e32 v9, 7, v0
	v_lshrrev_b32_e32 v4, 5, v4
	v_lshlrev_b32_e32 v8, 3, v7
	s_waitcnt lgkmcnt(0)
	s_add_u32 s6, s6, s0
	v_lshl_or_b32 v11, v4, 8, v8
	v_lshlrev_b32_e32 v8, 3, v9
	s_addc_u32 s7, s7, s1
	v_add_u32_e32 v2, s3, v6
	v_mov_b32_e32 v10, 0
	v_lshl_or_b32 v6, v6, 6, v8
	s_add_u32 s0, s14, s0
	v_mov_b32_e32 v5, v10
	v_add_u32_e32 v12, 0x800, v6
	v_add_u32_e32 v6, s2, v7
	s_addc_u32 s1, s15, s1
	v_mad_i64_i32 v[4:5], s[14:15], s8, v6, v[4:5]
	s_load_dwordx2 s[6:7], s[6:7], 0x0
	v_mad_i64_i32 v[2:3], s[14:15], s16, v2, v[9:10]
	s_load_dwordx2 s[0:1], s[0:1], 0x0
	v_lshlrev_b64 v[4:5], 3, v[4:5]
	v_mov_b32_e32 v6, 0x800
	v_lshl_add_u32 v14, v1, 6, v6
	s_waitcnt lgkmcnt(0)
	v_mov_b32_e32 v7, s7
	v_add_co_u32_e32 v6, vcc, s6, v4
	v_lshlrev_b64 v[2:3], 3, v[2:3]
	v_addc_co_u32_e32 v7, vcc, v7, v5, vcc
	v_mov_b32_e32 v4, s1
	v_add_co_u32_e32 v8, vcc, s0, v2
	v_lshlrev_b32_e32 v13, 3, v0
	v_addc_co_u32_e32 v9, vcc, v4, v3, vcc
	v_mov_b32_e32 v15, v10
	v_mov_b32_e32 v16, v10
	;; [unrolled: 1-line block ×7, first 2 shown]
.LBB778_2:                              ; =>This Inner Loop Header: Depth=1
	flat_load_dwordx2 v[2:3], v[6:7]
	v_add_co_u32_e32 v6, vcc, 64, v6
	v_addc_co_u32_e32 v7, vcc, 0, v7, vcc
	s_add_i32 s9, s9, 8
	s_cmp_ge_i32 s9, s13
	s_waitcnt vmcnt(0) lgkmcnt(0)
	ds_write_b64 v11, v[2:3]
	flat_load_dwordx2 v[2:3], v[8:9]
	v_add_co_u32_e32 v8, vcc, 64, v8
	v_addc_co_u32_e32 v9, vcc, 0, v9, vcc
	s_waitcnt vmcnt(0) lgkmcnt(0)
	ds_write_b64 v12, v[2:3]
	s_waitcnt lgkmcnt(0)
	s_barrier
	ds_read_b128 v[22:25], v14
	ds_read_b128 v[26:29], v14 offset:16
	ds_read_b128 v[30:33], v14 offset:32
	;; [unrolled: 1-line block ×3, first 2 shown]
	ds_read2_b64 v[34:37], v13 offset1:16
	s_waitcnt lgkmcnt(0)
	v_mul_f32_e32 v38, v23, v35
	v_mul_f32_e32 v39, v22, v35
	v_fma_f32 v38, v22, v34, -v38
	v_fmac_f32_e32 v39, v23, v34
	v_add_f32_e32 v38, v20, v38
	v_add_f32_e32 v39, v21, v39
	v_mul_f32_e32 v20, v23, v37
	v_mul_f32_e32 v21, v22, v37
	v_fma_f32 v20, v22, v36, -v20
	v_fmac_f32_e32 v21, v23, v36
	v_add_f32_e32 v22, v19, v20
	v_add_f32_e32 v23, v18, v21
	ds_read_b128 v[18:21], v14 offset:1024
	s_waitcnt lgkmcnt(0)
	v_mul_f32_e32 v40, v19, v35
	v_mul_f32_e32 v35, v18, v35
	v_fma_f32 v40, v18, v34, -v40
	v_fmac_f32_e32 v35, v19, v34
	v_add_f32_e32 v34, v17, v40
	v_add_f32_e32 v35, v16, v35
	v_mul_f32_e32 v16, v19, v37
	v_mul_f32_e32 v17, v18, v37
	v_fma_f32 v16, v18, v36, -v16
	v_fmac_f32_e32 v17, v19, v36
	v_add_f32_e32 v19, v15, v16
	v_add_f32_e32 v10, v10, v17
	ds_read2_b64 v[15:18], v13 offset0:32 offset1:48
	s_waitcnt lgkmcnt(0)
	v_mul_f32_e32 v36, v25, v16
	v_fma_f32 v36, v24, v15, -v36
	v_add_f32_e32 v36, v38, v36
	v_mul_f32_e32 v38, v25, v18
	v_mul_f32_e32 v37, v24, v16
	v_fma_f32 v38, v24, v17, -v38
	v_mul_f32_e32 v24, v24, v18
	v_fmac_f32_e32 v24, v25, v17
	v_add_f32_e32 v23, v23, v24
	v_mul_f32_e32 v24, v21, v16
	v_mul_f32_e32 v16, v20, v16
	v_fmac_f32_e32 v16, v21, v15
	v_fmac_f32_e32 v37, v25, v15
	v_fma_f32 v24, v20, v15, -v24
	v_add_f32_e32 v25, v35, v16
	v_mul_f32_e32 v15, v21, v18
	v_mul_f32_e32 v16, v20, v18
	v_fma_f32 v15, v20, v17, -v15
	v_fmac_f32_e32 v16, v21, v17
	v_add_f32_e32 v24, v34, v24
	v_add_f32_e32 v34, v19, v15
	;; [unrolled: 1-line block ×3, first 2 shown]
	ds_read2_b64 v[15:18], v13 offset0:64 offset1:80
	v_add_f32_e32 v37, v39, v37
	v_add_f32_e32 v22, v22, v38
	s_waitcnt lgkmcnt(0)
	v_mul_f32_e32 v19, v27, v16
	v_mul_f32_e32 v20, v26, v16
	v_fma_f32 v19, v26, v15, -v19
	v_fmac_f32_e32 v20, v27, v15
	v_add_f32_e32 v35, v36, v19
	v_add_f32_e32 v36, v37, v20
	v_mul_f32_e32 v19, v27, v18
	v_mul_f32_e32 v20, v26, v18
	v_fma_f32 v19, v26, v17, -v19
	v_fmac_f32_e32 v20, v27, v17
	v_add_f32_e32 v26, v22, v19
	v_add_f32_e32 v23, v23, v20
	ds_read_b128 v[19:22], v14 offset:1040
	s_waitcnt lgkmcnt(0)
	v_mul_f32_e32 v27, v20, v16
	v_mul_f32_e32 v16, v19, v16
	v_fmac_f32_e32 v16, v20, v15
	v_fma_f32 v27, v19, v15, -v27
	v_add_f32_e32 v25, v25, v16
	v_mul_f32_e32 v15, v20, v18
	v_mul_f32_e32 v16, v19, v18
	v_fma_f32 v15, v19, v17, -v15
	v_fmac_f32_e32 v16, v20, v17
	v_add_f32_e32 v19, v34, v15
	v_add_f32_e32 v10, v10, v16
	ds_read2_b64 v[15:18], v13 offset0:96 offset1:112
	v_add_f32_e32 v24, v24, v27
	s_waitcnt lgkmcnt(0)
	v_mul_f32_e32 v20, v29, v16
	v_mul_f32_e32 v34, v29, v18
	v_fma_f32 v20, v28, v15, -v20
	v_mul_f32_e32 v27, v28, v16
	v_fma_f32 v34, v28, v17, -v34
	v_mul_f32_e32 v28, v28, v18
	v_fmac_f32_e32 v28, v29, v17
	v_add_f32_e32 v23, v23, v28
	v_mul_f32_e32 v28, v22, v16
	v_mul_f32_e32 v16, v21, v16
	v_fmac_f32_e32 v16, v22, v15
	v_fmac_f32_e32 v27, v29, v15
	v_fma_f32 v28, v21, v15, -v28
	v_add_f32_e32 v25, v25, v16
	v_mul_f32_e32 v15, v22, v18
	v_mul_f32_e32 v16, v21, v18
	v_fma_f32 v15, v21, v17, -v15
	v_fmac_f32_e32 v16, v22, v17
	v_add_f32_e32 v24, v24, v28
	v_add_f32_e32 v28, v19, v15
	;; [unrolled: 1-line block ×3, first 2 shown]
	ds_read2_b64 v[15:18], v13 offset0:128 offset1:144
	v_add_f32_e32 v20, v35, v20
	v_add_f32_e32 v27, v36, v27
	;; [unrolled: 1-line block ×3, first 2 shown]
	s_waitcnt lgkmcnt(0)
	v_mul_f32_e32 v19, v31, v16
	v_fma_f32 v19, v30, v15, -v19
	v_mul_f32_e32 v21, v30, v16
	v_add_f32_e32 v29, v20, v19
	v_mul_f32_e32 v19, v31, v18
	v_mul_f32_e32 v20, v30, v18
	v_fmac_f32_e32 v21, v31, v15
	v_fma_f32 v19, v30, v17, -v19
	v_fmac_f32_e32 v20, v31, v17
	v_add_f32_e32 v27, v27, v21
	v_add_f32_e32 v26, v26, v19
	;; [unrolled: 1-line block ×3, first 2 shown]
	ds_read_b128 v[19:22], v14 offset:1056
	s_waitcnt lgkmcnt(0)
	v_mul_f32_e32 v30, v20, v16
	v_mul_f32_e32 v16, v19, v16
	v_fmac_f32_e32 v16, v20, v15
	v_fma_f32 v30, v19, v15, -v30
	v_add_f32_e32 v25, v25, v16
	v_mul_f32_e32 v15, v20, v18
	v_mul_f32_e32 v16, v19, v18
	v_fma_f32 v15, v19, v17, -v15
	v_fmac_f32_e32 v16, v20, v17
	v_add_f32_e32 v19, v28, v15
	v_add_f32_e32 v10, v10, v16
	ds_read2_b64 v[15:18], v13 offset0:160 offset1:176
	v_add_f32_e32 v24, v24, v30
	s_waitcnt lgkmcnt(0)
	v_mul_f32_e32 v28, v32, v16
	v_fmac_f32_e32 v28, v33, v15
	v_add_f32_e32 v27, v27, v28
	v_mul_f32_e32 v28, v33, v18
	v_fma_f32 v28, v32, v17, -v28
	v_mul_f32_e32 v20, v33, v16
	v_add_f32_e32 v26, v26, v28
	v_mul_f32_e32 v28, v22, v16
	v_mul_f32_e32 v16, v21, v16
	v_fmac_f32_e32 v16, v22, v15
	v_fma_f32 v20, v32, v15, -v20
	v_fma_f32 v28, v21, v15, -v28
	v_add_f32_e32 v25, v25, v16
	v_mul_f32_e32 v15, v22, v18
	v_mul_f32_e32 v16, v21, v18
	v_add_f32_e32 v20, v29, v20
	v_mul_f32_e32 v29, v32, v18
	v_fma_f32 v15, v21, v17, -v15
	v_fmac_f32_e32 v16, v22, v17
	v_fmac_f32_e32 v29, v33, v17
	v_add_f32_e32 v19, v19, v15
	v_add_f32_e32 v10, v10, v16
	ds_read2_b64 v[15:18], v13 offset0:192 offset1:208
	v_add_f32_e32 v24, v24, v28
	v_add_f32_e32 v23, v23, v29
	s_waitcnt lgkmcnt(0)
	v_mul_f32_e32 v21, v3, v16
	v_fma_f32 v21, v2, v15, -v21
	v_add_f32_e32 v28, v20, v21
	v_mul_f32_e32 v20, v3, v18
	v_mul_f32_e32 v22, v2, v16
	v_fma_f32 v20, v2, v17, -v20
	v_mul_f32_e32 v2, v2, v18
	v_fmac_f32_e32 v22, v3, v15
	v_fmac_f32_e32 v2, v3, v17
	v_add_f32_e32 v29, v27, v22
	v_add_f32_e32 v3, v26, v20
	;; [unrolled: 1-line block ×3, first 2 shown]
	ds_read_b128 v[20:23], v14 offset:1072
	s_waitcnt lgkmcnt(0)
	v_mul_f32_e32 v26, v21, v16
	v_fma_f32 v26, v20, v15, -v26
	v_mul_f32_e32 v16, v20, v16
	v_fmac_f32_e32 v16, v21, v15
	v_add_f32_e32 v15, v24, v26
	v_mul_f32_e32 v24, v21, v18
	v_fma_f32 v24, v20, v17, -v24
	v_add_f32_e32 v16, v25, v16
	v_add_f32_e32 v30, v19, v24
	ds_read2_b64 v[24:27], v13 offset0:224 offset1:240
	v_mul_f32_e32 v18, v20, v18
	v_fmac_f32_e32 v18, v21, v17
	v_add_f32_e32 v10, v10, v18
	s_waitcnt lgkmcnt(0)
	v_mul_f32_e32 v17, v5, v25
	v_fma_f32 v17, v4, v24, -v17
	v_add_f32_e32 v20, v28, v17
	v_mul_f32_e32 v17, v5, v27
	v_mul_f32_e32 v18, v4, v25
	v_fma_f32 v17, v4, v26, -v17
	v_mul_f32_e32 v4, v4, v27
	v_fmac_f32_e32 v18, v5, v24
	v_fmac_f32_e32 v4, v5, v26
	v_add_f32_e32 v21, v29, v18
	v_add_f32_e32 v19, v3, v17
	;; [unrolled: 1-line block ×3, first 2 shown]
	v_mul_f32_e32 v2, v23, v25
	v_mul_f32_e32 v3, v22, v25
	v_fma_f32 v2, v22, v24, -v2
	v_fmac_f32_e32 v3, v23, v24
	v_add_f32_e32 v17, v15, v2
	v_add_f32_e32 v16, v16, v3
	v_mul_f32_e32 v2, v23, v27
	v_mul_f32_e32 v3, v22, v27
	v_fma_f32 v2, v22, v26, -v2
	v_fmac_f32_e32 v3, v23, v26
	v_add_f32_e32 v15, v30, v2
	v_add_f32_e32 v10, v10, v3
	s_barrier
	s_cbranch_scc0 .LBB778_2
	s_branch .LBB778_4
.LBB778_3:
	v_mov_b32_e32 v20, 0
	v_mov_b32_e32 v21, 0
	;; [unrolled: 1-line block ×8, first 2 shown]
.LBB778_4:
	s_load_dword s6, s[4:5], 0x40
	v_add_u32_e32 v5, s3, v1
	s_waitcnt lgkmcnt(0)
	v_mov_b32_e32 v3, s11
	v_add_u32_e32 v0, s2, v0
	v_mad_i64_i32 v[1:2], s[0:1], v5, s6, 0
	v_cmp_le_i32_e64 s[0:1], v5, v0
	v_lshlrev_b64 v[1:2], 3, v[1:2]
	v_add_co_u32_e32 v4, vcc, s10, v1
	v_addc_co_u32_e32 v6, vcc, v3, v2, vcc
	v_cmp_gt_i32_e32 vcc, s12, v0
	s_and_b64 s[0:1], s[0:1], vcc
	s_and_saveexec_b64 s[2:3], s[0:1]
	s_cbranch_execz .LBB778_7
; %bb.5:
	v_ashrrev_i32_e32 v1, 31, v0
	v_lshlrev_b64 v[1:2], 3, v[0:1]
	v_add_co_u32_e64 v1, s[0:1], v4, v1
	v_addc_co_u32_e64 v2, s[0:1], v6, v2, s[0:1]
	flat_load_dwordx2 v[7:8], v[1:2]
	v_cmp_eq_u32_e64 s[0:1], v5, v0
	s_waitcnt vmcnt(0) lgkmcnt(0)
	v_sub_f32_e32 v7, v20, v7
	v_sub_f32_e32 v8, v21, v8
	flat_store_dwordx2 v[1:2], v[7:8]
	s_and_b64 exec, exec, s[0:1]
	s_cbranch_execz .LBB778_7
; %bb.6:
	v_mov_b32_e32 v3, 0
	flat_store_dword v[1:2], v3 offset:4
.LBB778_7:
	s_or_b64 exec, exec, s[2:3]
	v_add_u32_e32 v2, 16, v0
	v_cmp_le_i32_e64 s[2:3], v5, v2
	v_cmp_gt_i32_e64 s[0:1], s12, v2
	s_and_b64 s[2:3], s[2:3], s[0:1]
	s_and_saveexec_b64 s[4:5], s[2:3]
	s_cbranch_execz .LBB778_10
; %bb.8:
	v_ashrrev_i32_e32 v3, 31, v2
	v_lshlrev_b64 v[7:8], 3, v[2:3]
	v_add_co_u32_e64 v3, s[2:3], v4, v7
	v_addc_co_u32_e64 v4, s[2:3], v6, v8, s[2:3]
	flat_load_dwordx2 v[6:7], v[3:4]
	v_cmp_eq_u32_e64 s[2:3], v5, v2
	s_waitcnt vmcnt(0) lgkmcnt(0)
	v_sub_f32_e32 v6, v19, v6
	v_sub_f32_e32 v7, v18, v7
	flat_store_dwordx2 v[3:4], v[6:7]
	s_and_b64 exec, exec, s[2:3]
	s_cbranch_execz .LBB778_10
; %bb.9:
	v_mov_b32_e32 v1, 0
	flat_store_dword v[3:4], v1 offset:4
.LBB778_10:
	s_or_b64 exec, exec, s[4:5]
	v_add_u32_e32 v8, 16, v5
	v_mad_i64_i32 v[3:4], s[2:3], v8, s6, 0
	v_mov_b32_e32 v1, s11
	v_lshlrev_b64 v[3:4], 3, v[3:4]
	v_add_co_u32_e64 v6, s[2:3], s10, v3
	v_addc_co_u32_e64 v7, s[2:3], v1, v4, s[2:3]
	v_cmp_le_i32_e64 s[2:3], v8, v0
	s_and_b64 s[4:5], s[2:3], vcc
	s_and_saveexec_b64 s[2:3], s[4:5]
	s_cbranch_execz .LBB778_13
; %bb.11:
	v_ashrrev_i32_e32 v1, 31, v0
	v_lshlrev_b64 v[3:4], 3, v[0:1]
	v_add_co_u32_e32 v3, vcc, v6, v3
	v_addc_co_u32_e32 v4, vcc, v7, v4, vcc
	flat_load_dwordx2 v[11:12], v[3:4]
	v_cmp_eq_u32_e32 vcc, v8, v0
	s_waitcnt vmcnt(0) lgkmcnt(0)
	v_sub_f32_e32 v11, v17, v11
	v_sub_f32_e32 v12, v16, v12
	flat_store_dwordx2 v[3:4], v[11:12]
	s_and_b64 exec, exec, vcc
	s_cbranch_execz .LBB778_13
; %bb.12:
	v_mov_b32_e32 v1, 0
	flat_store_dword v[3:4], v1 offset:4
.LBB778_13:
	s_or_b64 exec, exec, s[2:3]
	v_cmp_le_i32_e32 vcc, v8, v2
	s_and_b64 s[0:1], vcc, s[0:1]
	s_and_saveexec_b64 s[2:3], s[0:1]
	s_cbranch_execz .LBB778_16
; %bb.14:
	v_ashrrev_i32_e32 v3, 31, v2
	v_lshlrev_b64 v[1:2], 3, v[2:3]
	v_add_co_u32_e32 v1, vcc, v6, v1
	v_addc_co_u32_e32 v2, vcc, v7, v2, vcc
	flat_load_dwordx2 v[3:4], v[1:2]
	v_cmp_eq_u32_e32 vcc, v5, v0
	s_waitcnt vmcnt(0) lgkmcnt(0)
	v_sub_f32_e32 v3, v15, v3
	v_sub_f32_e32 v4, v10, v4
	flat_store_dwordx2 v[1:2], v[3:4]
	s_and_b64 exec, exec, vcc
	s_cbranch_execz .LBB778_16
; %bb.15:
	v_mov_b32_e32 v0, 0
	flat_store_dword v[1:2], v0 offset:4
.LBB778_16:
	s_endpgm
	.section	.rodata,"a",@progbits
	.p2align	6, 0x0
	.amdhsa_kernel _ZL37rocblas_syrkx_herkx_restricted_kernelIi19rocblas_complex_numIfELi16ELi32ELi8ELi1ELin1ELb1ELc84ELc76EKPKS1_KPS1_EviT_PT9_S7_lS9_S7_lPT10_S7_li
		.amdhsa_group_segment_fixed_size 4096
		.amdhsa_private_segment_fixed_size 0
		.amdhsa_kernarg_size 84
		.amdhsa_user_sgpr_count 6
		.amdhsa_user_sgpr_private_segment_buffer 1
		.amdhsa_user_sgpr_dispatch_ptr 0
		.amdhsa_user_sgpr_queue_ptr 0
		.amdhsa_user_sgpr_kernarg_segment_ptr 1
		.amdhsa_user_sgpr_dispatch_id 0
		.amdhsa_user_sgpr_flat_scratch_init 0
		.amdhsa_user_sgpr_private_segment_size 0
		.amdhsa_uses_dynamic_stack 0
		.amdhsa_system_sgpr_private_segment_wavefront_offset 0
		.amdhsa_system_sgpr_workgroup_id_x 1
		.amdhsa_system_sgpr_workgroup_id_y 1
		.amdhsa_system_sgpr_workgroup_id_z 1
		.amdhsa_system_sgpr_workgroup_info 0
		.amdhsa_system_vgpr_workitem_id 1
		.amdhsa_next_free_vgpr 41
		.amdhsa_next_free_sgpr 17
		.amdhsa_reserve_vcc 1
		.amdhsa_reserve_flat_scratch 0
		.amdhsa_float_round_mode_32 0
		.amdhsa_float_round_mode_16_64 0
		.amdhsa_float_denorm_mode_32 3
		.amdhsa_float_denorm_mode_16_64 3
		.amdhsa_dx10_clamp 1
		.amdhsa_ieee_mode 1
		.amdhsa_fp16_overflow 0
		.amdhsa_exception_fp_ieee_invalid_op 0
		.amdhsa_exception_fp_denorm_src 0
		.amdhsa_exception_fp_ieee_div_zero 0
		.amdhsa_exception_fp_ieee_overflow 0
		.amdhsa_exception_fp_ieee_underflow 0
		.amdhsa_exception_fp_ieee_inexact 0
		.amdhsa_exception_int_div_zero 0
	.end_amdhsa_kernel
	.section	.text._ZL37rocblas_syrkx_herkx_restricted_kernelIi19rocblas_complex_numIfELi16ELi32ELi8ELi1ELin1ELb1ELc84ELc76EKPKS1_KPS1_EviT_PT9_S7_lS9_S7_lPT10_S7_li,"axG",@progbits,_ZL37rocblas_syrkx_herkx_restricted_kernelIi19rocblas_complex_numIfELi16ELi32ELi8ELi1ELin1ELb1ELc84ELc76EKPKS1_KPS1_EviT_PT9_S7_lS9_S7_lPT10_S7_li,comdat
.Lfunc_end778:
	.size	_ZL37rocblas_syrkx_herkx_restricted_kernelIi19rocblas_complex_numIfELi16ELi32ELi8ELi1ELin1ELb1ELc84ELc76EKPKS1_KPS1_EviT_PT9_S7_lS9_S7_lPT10_S7_li, .Lfunc_end778-_ZL37rocblas_syrkx_herkx_restricted_kernelIi19rocblas_complex_numIfELi16ELi32ELi8ELi1ELin1ELb1ELc84ELc76EKPKS1_KPS1_EviT_PT9_S7_lS9_S7_lPT10_S7_li
                                        ; -- End function
	.set _ZL37rocblas_syrkx_herkx_restricted_kernelIi19rocblas_complex_numIfELi16ELi32ELi8ELi1ELin1ELb1ELc84ELc76EKPKS1_KPS1_EviT_PT9_S7_lS9_S7_lPT10_S7_li.num_vgpr, 41
	.set _ZL37rocblas_syrkx_herkx_restricted_kernelIi19rocblas_complex_numIfELi16ELi32ELi8ELi1ELin1ELb1ELc84ELc76EKPKS1_KPS1_EviT_PT9_S7_lS9_S7_lPT10_S7_li.num_agpr, 0
	.set _ZL37rocblas_syrkx_herkx_restricted_kernelIi19rocblas_complex_numIfELi16ELi32ELi8ELi1ELin1ELb1ELc84ELc76EKPKS1_KPS1_EviT_PT9_S7_lS9_S7_lPT10_S7_li.numbered_sgpr, 17
	.set _ZL37rocblas_syrkx_herkx_restricted_kernelIi19rocblas_complex_numIfELi16ELi32ELi8ELi1ELin1ELb1ELc84ELc76EKPKS1_KPS1_EviT_PT9_S7_lS9_S7_lPT10_S7_li.num_named_barrier, 0
	.set _ZL37rocblas_syrkx_herkx_restricted_kernelIi19rocblas_complex_numIfELi16ELi32ELi8ELi1ELin1ELb1ELc84ELc76EKPKS1_KPS1_EviT_PT9_S7_lS9_S7_lPT10_S7_li.private_seg_size, 0
	.set _ZL37rocblas_syrkx_herkx_restricted_kernelIi19rocblas_complex_numIfELi16ELi32ELi8ELi1ELin1ELb1ELc84ELc76EKPKS1_KPS1_EviT_PT9_S7_lS9_S7_lPT10_S7_li.uses_vcc, 1
	.set _ZL37rocblas_syrkx_herkx_restricted_kernelIi19rocblas_complex_numIfELi16ELi32ELi8ELi1ELin1ELb1ELc84ELc76EKPKS1_KPS1_EviT_PT9_S7_lS9_S7_lPT10_S7_li.uses_flat_scratch, 0
	.set _ZL37rocblas_syrkx_herkx_restricted_kernelIi19rocblas_complex_numIfELi16ELi32ELi8ELi1ELin1ELb1ELc84ELc76EKPKS1_KPS1_EviT_PT9_S7_lS9_S7_lPT10_S7_li.has_dyn_sized_stack, 0
	.set _ZL37rocblas_syrkx_herkx_restricted_kernelIi19rocblas_complex_numIfELi16ELi32ELi8ELi1ELin1ELb1ELc84ELc76EKPKS1_KPS1_EviT_PT9_S7_lS9_S7_lPT10_S7_li.has_recursion, 0
	.set _ZL37rocblas_syrkx_herkx_restricted_kernelIi19rocblas_complex_numIfELi16ELi32ELi8ELi1ELin1ELb1ELc84ELc76EKPKS1_KPS1_EviT_PT9_S7_lS9_S7_lPT10_S7_li.has_indirect_call, 0
	.section	.AMDGPU.csdata,"",@progbits
; Kernel info:
; codeLenInByte = 2004
; TotalNumSgprs: 21
; NumVgprs: 41
; ScratchSize: 0
; MemoryBound: 0
; FloatMode: 240
; IeeeMode: 1
; LDSByteSize: 4096 bytes/workgroup (compile time only)
; SGPRBlocks: 2
; VGPRBlocks: 10
; NumSGPRsForWavesPerEU: 21
; NumVGPRsForWavesPerEU: 41
; Occupancy: 5
; WaveLimiterHint : 1
; COMPUTE_PGM_RSRC2:SCRATCH_EN: 0
; COMPUTE_PGM_RSRC2:USER_SGPR: 6
; COMPUTE_PGM_RSRC2:TRAP_HANDLER: 0
; COMPUTE_PGM_RSRC2:TGID_X_EN: 1
; COMPUTE_PGM_RSRC2:TGID_Y_EN: 1
; COMPUTE_PGM_RSRC2:TGID_Z_EN: 1
; COMPUTE_PGM_RSRC2:TIDIG_COMP_CNT: 1
	.section	.text._ZL37rocblas_syrkx_herkx_restricted_kernelIi19rocblas_complex_numIfELi16ELi32ELi8ELi1ELin1ELb1ELc67ELc76EKPKS1_KPS1_EviT_PT9_S7_lS9_S7_lPT10_S7_li,"axG",@progbits,_ZL37rocblas_syrkx_herkx_restricted_kernelIi19rocblas_complex_numIfELi16ELi32ELi8ELi1ELin1ELb1ELc67ELc76EKPKS1_KPS1_EviT_PT9_S7_lS9_S7_lPT10_S7_li,comdat
	.globl	_ZL37rocblas_syrkx_herkx_restricted_kernelIi19rocblas_complex_numIfELi16ELi32ELi8ELi1ELin1ELb1ELc67ELc76EKPKS1_KPS1_EviT_PT9_S7_lS9_S7_lPT10_S7_li ; -- Begin function _ZL37rocblas_syrkx_herkx_restricted_kernelIi19rocblas_complex_numIfELi16ELi32ELi8ELi1ELin1ELb1ELc67ELc76EKPKS1_KPS1_EviT_PT9_S7_lS9_S7_lPT10_S7_li
	.p2align	8
	.type	_ZL37rocblas_syrkx_herkx_restricted_kernelIi19rocblas_complex_numIfELi16ELi32ELi8ELi1ELin1ELb1ELc67ELc76EKPKS1_KPS1_EviT_PT9_S7_lS9_S7_lPT10_S7_li,@function
_ZL37rocblas_syrkx_herkx_restricted_kernelIi19rocblas_complex_numIfELi16ELi32ELi8ELi1ELin1ELb1ELc67ELc76EKPKS1_KPS1_EviT_PT9_S7_lS9_S7_lPT10_S7_li: ; @_ZL37rocblas_syrkx_herkx_restricted_kernelIi19rocblas_complex_numIfELi16ELi32ELi8ELi1ELin1ELb1ELc67ELc76EKPKS1_KPS1_EviT_PT9_S7_lS9_S7_lPT10_S7_li
; %bb.0:
	s_load_dwordx2 s[2:3], s[4:5], 0x38
	s_load_dwordx2 s[12:13], s[4:5], 0x0
	s_mov_b32 s9, 0
	s_lshl_b64 s[0:1], s[8:9], 3
	s_waitcnt lgkmcnt(0)
	s_add_u32 s2, s2, s0
	s_addc_u32 s3, s3, s1
	s_load_dwordx2 s[10:11], s[2:3], 0x0
	s_lshl_b32 s2, s6, 5
	s_lshl_b32 s3, s7, 5
	s_cmp_lt_i32 s13, 1
	s_cbranch_scc1 .LBB779_3
; %bb.1:
	v_lshl_add_u32 v4, v1, 4, v0
	s_load_dwordx2 s[6:7], s[4:5], 0x8
	s_load_dword s8, s[4:5], 0x10
	s_load_dwordx2 s[14:15], s[4:5], 0x20
	s_load_dword s16, s[4:5], 0x28
	v_and_b32_e32 v7, 31, v4
	v_lshrrev_b32_e32 v6, 3, v4
	v_and_b32_e32 v9, 7, v0
	v_lshrrev_b32_e32 v4, 5, v4
	v_lshlrev_b32_e32 v8, 3, v7
	s_waitcnt lgkmcnt(0)
	s_add_u32 s6, s6, s0
	v_lshl_or_b32 v11, v4, 8, v8
	v_lshlrev_b32_e32 v8, 3, v9
	s_addc_u32 s7, s7, s1
	v_add_u32_e32 v2, s3, v6
	v_mov_b32_e32 v10, 0
	v_lshl_or_b32 v6, v6, 6, v8
	s_add_u32 s0, s14, s0
	v_mov_b32_e32 v5, v10
	v_add_u32_e32 v12, 0x800, v6
	v_add_u32_e32 v6, s2, v7
	s_addc_u32 s1, s15, s1
	v_mad_i64_i32 v[4:5], s[14:15], s8, v6, v[4:5]
	s_load_dwordx2 s[6:7], s[6:7], 0x0
	v_mad_i64_i32 v[2:3], s[14:15], s16, v2, v[9:10]
	s_load_dwordx2 s[0:1], s[0:1], 0x0
	v_lshlrev_b64 v[4:5], 3, v[4:5]
	v_mov_b32_e32 v6, 0x800
	v_lshl_add_u32 v14, v1, 6, v6
	s_waitcnt lgkmcnt(0)
	v_mov_b32_e32 v7, s7
	v_add_co_u32_e32 v6, vcc, s6, v4
	v_lshlrev_b64 v[2:3], 3, v[2:3]
	v_addc_co_u32_e32 v7, vcc, v7, v5, vcc
	v_mov_b32_e32 v4, s1
	v_add_co_u32_e32 v8, vcc, s0, v2
	v_lshlrev_b32_e32 v13, 3, v0
	v_addc_co_u32_e32 v9, vcc, v4, v3, vcc
	v_mov_b32_e32 v15, v10
	v_mov_b32_e32 v16, v10
	;; [unrolled: 1-line block ×7, first 2 shown]
.LBB779_2:                              ; =>This Inner Loop Header: Depth=1
	flat_load_dwordx2 v[2:3], v[6:7]
	v_add_co_u32_e32 v6, vcc, 64, v6
	v_addc_co_u32_e32 v7, vcc, 0, v7, vcc
	s_add_i32 s9, s9, 8
	s_cmp_ge_i32 s9, s13
	s_waitcnt vmcnt(0) lgkmcnt(0)
	v_xor_b32_e32 v3, 0x80000000, v3
	ds_write_b64 v11, v[2:3]
	flat_load_dwordx2 v[2:3], v[8:9]
	v_add_co_u32_e32 v8, vcc, 64, v8
	v_addc_co_u32_e32 v9, vcc, 0, v9, vcc
	s_waitcnt vmcnt(0) lgkmcnt(0)
	ds_write_b64 v12, v[2:3]
	s_waitcnt lgkmcnt(0)
	s_barrier
	ds_read_b128 v[22:25], v14
	ds_read_b128 v[26:29], v14 offset:16
	ds_read_b128 v[30:33], v14 offset:32
	;; [unrolled: 1-line block ×3, first 2 shown]
	ds_read2_b64 v[34:37], v13 offset1:16
	s_waitcnt lgkmcnt(0)
	v_mul_f32_e32 v38, v23, v35
	v_mul_f32_e32 v39, v22, v35
	v_fma_f32 v38, v22, v34, -v38
	v_fmac_f32_e32 v39, v23, v34
	v_add_f32_e32 v38, v20, v38
	v_add_f32_e32 v39, v21, v39
	v_mul_f32_e32 v20, v23, v37
	v_mul_f32_e32 v21, v22, v37
	v_fma_f32 v20, v22, v36, -v20
	v_fmac_f32_e32 v21, v23, v36
	v_add_f32_e32 v22, v19, v20
	v_add_f32_e32 v23, v18, v21
	ds_read_b128 v[18:21], v14 offset:1024
	s_waitcnt lgkmcnt(0)
	v_mul_f32_e32 v40, v19, v35
	v_mul_f32_e32 v35, v18, v35
	v_fma_f32 v40, v18, v34, -v40
	v_fmac_f32_e32 v35, v19, v34
	v_add_f32_e32 v34, v17, v40
	v_add_f32_e32 v35, v16, v35
	v_mul_f32_e32 v16, v19, v37
	v_mul_f32_e32 v17, v18, v37
	v_fma_f32 v16, v18, v36, -v16
	v_fmac_f32_e32 v17, v19, v36
	v_add_f32_e32 v19, v15, v16
	v_add_f32_e32 v10, v10, v17
	ds_read2_b64 v[15:18], v13 offset0:32 offset1:48
	s_waitcnt lgkmcnt(0)
	v_mul_f32_e32 v36, v25, v16
	v_fma_f32 v36, v24, v15, -v36
	v_add_f32_e32 v36, v38, v36
	v_mul_f32_e32 v38, v25, v18
	v_mul_f32_e32 v37, v24, v16
	v_fma_f32 v38, v24, v17, -v38
	v_mul_f32_e32 v24, v24, v18
	v_fmac_f32_e32 v24, v25, v17
	v_add_f32_e32 v23, v23, v24
	v_mul_f32_e32 v24, v21, v16
	v_mul_f32_e32 v16, v20, v16
	v_fmac_f32_e32 v16, v21, v15
	v_fmac_f32_e32 v37, v25, v15
	v_fma_f32 v24, v20, v15, -v24
	v_add_f32_e32 v25, v35, v16
	v_mul_f32_e32 v15, v21, v18
	v_mul_f32_e32 v16, v20, v18
	v_fma_f32 v15, v20, v17, -v15
	v_fmac_f32_e32 v16, v21, v17
	v_add_f32_e32 v24, v34, v24
	v_add_f32_e32 v34, v19, v15
	;; [unrolled: 1-line block ×3, first 2 shown]
	ds_read2_b64 v[15:18], v13 offset0:64 offset1:80
	v_add_f32_e32 v37, v39, v37
	v_add_f32_e32 v22, v22, v38
	s_waitcnt lgkmcnt(0)
	v_mul_f32_e32 v19, v27, v16
	v_mul_f32_e32 v20, v26, v16
	v_fma_f32 v19, v26, v15, -v19
	v_fmac_f32_e32 v20, v27, v15
	v_add_f32_e32 v35, v36, v19
	v_add_f32_e32 v36, v37, v20
	v_mul_f32_e32 v19, v27, v18
	v_mul_f32_e32 v20, v26, v18
	v_fma_f32 v19, v26, v17, -v19
	v_fmac_f32_e32 v20, v27, v17
	v_add_f32_e32 v26, v22, v19
	v_add_f32_e32 v23, v23, v20
	ds_read_b128 v[19:22], v14 offset:1040
	s_waitcnt lgkmcnt(0)
	v_mul_f32_e32 v27, v20, v16
	v_mul_f32_e32 v16, v19, v16
	v_fmac_f32_e32 v16, v20, v15
	v_fma_f32 v27, v19, v15, -v27
	v_add_f32_e32 v25, v25, v16
	v_mul_f32_e32 v15, v20, v18
	v_mul_f32_e32 v16, v19, v18
	v_fma_f32 v15, v19, v17, -v15
	v_fmac_f32_e32 v16, v20, v17
	v_add_f32_e32 v19, v34, v15
	v_add_f32_e32 v10, v10, v16
	ds_read2_b64 v[15:18], v13 offset0:96 offset1:112
	v_add_f32_e32 v24, v24, v27
	s_waitcnt lgkmcnt(0)
	v_mul_f32_e32 v20, v29, v16
	v_mul_f32_e32 v34, v29, v18
	v_fma_f32 v20, v28, v15, -v20
	v_mul_f32_e32 v27, v28, v16
	v_fma_f32 v34, v28, v17, -v34
	v_mul_f32_e32 v28, v28, v18
	v_fmac_f32_e32 v28, v29, v17
	v_add_f32_e32 v23, v23, v28
	v_mul_f32_e32 v28, v22, v16
	v_mul_f32_e32 v16, v21, v16
	v_fmac_f32_e32 v16, v22, v15
	v_fmac_f32_e32 v27, v29, v15
	v_fma_f32 v28, v21, v15, -v28
	v_add_f32_e32 v25, v25, v16
	v_mul_f32_e32 v15, v22, v18
	v_mul_f32_e32 v16, v21, v18
	v_fma_f32 v15, v21, v17, -v15
	v_fmac_f32_e32 v16, v22, v17
	v_add_f32_e32 v24, v24, v28
	v_add_f32_e32 v28, v19, v15
	;; [unrolled: 1-line block ×3, first 2 shown]
	ds_read2_b64 v[15:18], v13 offset0:128 offset1:144
	v_add_f32_e32 v20, v35, v20
	v_add_f32_e32 v27, v36, v27
	;; [unrolled: 1-line block ×3, first 2 shown]
	s_waitcnt lgkmcnt(0)
	v_mul_f32_e32 v19, v31, v16
	v_fma_f32 v19, v30, v15, -v19
	v_mul_f32_e32 v21, v30, v16
	v_add_f32_e32 v29, v20, v19
	v_mul_f32_e32 v19, v31, v18
	v_mul_f32_e32 v20, v30, v18
	v_fmac_f32_e32 v21, v31, v15
	v_fma_f32 v19, v30, v17, -v19
	v_fmac_f32_e32 v20, v31, v17
	v_add_f32_e32 v27, v27, v21
	v_add_f32_e32 v26, v26, v19
	;; [unrolled: 1-line block ×3, first 2 shown]
	ds_read_b128 v[19:22], v14 offset:1056
	s_waitcnt lgkmcnt(0)
	v_mul_f32_e32 v30, v20, v16
	v_mul_f32_e32 v16, v19, v16
	v_fmac_f32_e32 v16, v20, v15
	v_fma_f32 v30, v19, v15, -v30
	v_add_f32_e32 v25, v25, v16
	v_mul_f32_e32 v15, v20, v18
	v_mul_f32_e32 v16, v19, v18
	v_fma_f32 v15, v19, v17, -v15
	v_fmac_f32_e32 v16, v20, v17
	v_add_f32_e32 v19, v28, v15
	v_add_f32_e32 v10, v10, v16
	ds_read2_b64 v[15:18], v13 offset0:160 offset1:176
	v_add_f32_e32 v24, v24, v30
	s_waitcnt lgkmcnt(0)
	v_mul_f32_e32 v28, v32, v16
	v_fmac_f32_e32 v28, v33, v15
	v_add_f32_e32 v27, v27, v28
	v_mul_f32_e32 v28, v33, v18
	v_fma_f32 v28, v32, v17, -v28
	v_mul_f32_e32 v20, v33, v16
	v_add_f32_e32 v26, v26, v28
	v_mul_f32_e32 v28, v22, v16
	v_mul_f32_e32 v16, v21, v16
	v_fmac_f32_e32 v16, v22, v15
	v_fma_f32 v20, v32, v15, -v20
	v_fma_f32 v28, v21, v15, -v28
	v_add_f32_e32 v25, v25, v16
	v_mul_f32_e32 v15, v22, v18
	v_mul_f32_e32 v16, v21, v18
	v_add_f32_e32 v20, v29, v20
	v_mul_f32_e32 v29, v32, v18
	v_fma_f32 v15, v21, v17, -v15
	v_fmac_f32_e32 v16, v22, v17
	v_fmac_f32_e32 v29, v33, v17
	v_add_f32_e32 v19, v19, v15
	v_add_f32_e32 v10, v10, v16
	ds_read2_b64 v[15:18], v13 offset0:192 offset1:208
	v_add_f32_e32 v24, v24, v28
	v_add_f32_e32 v23, v23, v29
	s_waitcnt lgkmcnt(0)
	v_mul_f32_e32 v21, v3, v16
	v_fma_f32 v21, v2, v15, -v21
	v_add_f32_e32 v28, v20, v21
	v_mul_f32_e32 v20, v3, v18
	v_mul_f32_e32 v22, v2, v16
	v_fma_f32 v20, v2, v17, -v20
	v_mul_f32_e32 v2, v2, v18
	v_fmac_f32_e32 v22, v3, v15
	v_fmac_f32_e32 v2, v3, v17
	v_add_f32_e32 v29, v27, v22
	v_add_f32_e32 v3, v26, v20
	;; [unrolled: 1-line block ×3, first 2 shown]
	ds_read_b128 v[20:23], v14 offset:1072
	s_waitcnt lgkmcnt(0)
	v_mul_f32_e32 v26, v21, v16
	v_fma_f32 v26, v20, v15, -v26
	v_mul_f32_e32 v16, v20, v16
	v_fmac_f32_e32 v16, v21, v15
	v_add_f32_e32 v15, v24, v26
	v_mul_f32_e32 v24, v21, v18
	v_fma_f32 v24, v20, v17, -v24
	v_add_f32_e32 v16, v25, v16
	v_add_f32_e32 v30, v19, v24
	ds_read2_b64 v[24:27], v13 offset0:224 offset1:240
	v_mul_f32_e32 v18, v20, v18
	v_fmac_f32_e32 v18, v21, v17
	v_add_f32_e32 v10, v10, v18
	s_waitcnt lgkmcnt(0)
	v_mul_f32_e32 v17, v5, v25
	v_fma_f32 v17, v4, v24, -v17
	v_add_f32_e32 v20, v28, v17
	v_mul_f32_e32 v17, v5, v27
	v_mul_f32_e32 v18, v4, v25
	v_fma_f32 v17, v4, v26, -v17
	v_mul_f32_e32 v4, v4, v27
	v_fmac_f32_e32 v18, v5, v24
	v_fmac_f32_e32 v4, v5, v26
	v_add_f32_e32 v21, v29, v18
	v_add_f32_e32 v19, v3, v17
	;; [unrolled: 1-line block ×3, first 2 shown]
	v_mul_f32_e32 v2, v23, v25
	v_mul_f32_e32 v3, v22, v25
	v_fma_f32 v2, v22, v24, -v2
	v_fmac_f32_e32 v3, v23, v24
	v_add_f32_e32 v17, v15, v2
	v_add_f32_e32 v16, v16, v3
	v_mul_f32_e32 v2, v23, v27
	v_mul_f32_e32 v3, v22, v27
	v_fma_f32 v2, v22, v26, -v2
	v_fmac_f32_e32 v3, v23, v26
	v_add_f32_e32 v15, v30, v2
	v_add_f32_e32 v10, v10, v3
	s_barrier
	s_cbranch_scc0 .LBB779_2
	s_branch .LBB779_4
.LBB779_3:
	v_mov_b32_e32 v20, 0
	v_mov_b32_e32 v21, 0
	;; [unrolled: 1-line block ×8, first 2 shown]
.LBB779_4:
	s_load_dword s6, s[4:5], 0x40
	v_add_u32_e32 v5, s3, v1
	s_waitcnt lgkmcnt(0)
	v_mov_b32_e32 v3, s11
	v_add_u32_e32 v0, s2, v0
	v_mad_i64_i32 v[1:2], s[0:1], v5, s6, 0
	v_cmp_le_i32_e64 s[0:1], v5, v0
	v_lshlrev_b64 v[1:2], 3, v[1:2]
	v_add_co_u32_e32 v4, vcc, s10, v1
	v_addc_co_u32_e32 v6, vcc, v3, v2, vcc
	v_cmp_gt_i32_e32 vcc, s12, v0
	s_and_b64 s[0:1], s[0:1], vcc
	s_and_saveexec_b64 s[2:3], s[0:1]
	s_cbranch_execz .LBB779_7
; %bb.5:
	v_ashrrev_i32_e32 v1, 31, v0
	v_lshlrev_b64 v[1:2], 3, v[0:1]
	v_add_co_u32_e64 v1, s[0:1], v4, v1
	v_addc_co_u32_e64 v2, s[0:1], v6, v2, s[0:1]
	flat_load_dwordx2 v[7:8], v[1:2]
	v_cmp_eq_u32_e64 s[0:1], v5, v0
	s_waitcnt vmcnt(0) lgkmcnt(0)
	v_sub_f32_e32 v7, v20, v7
	v_sub_f32_e32 v8, v21, v8
	flat_store_dwordx2 v[1:2], v[7:8]
	s_and_b64 exec, exec, s[0:1]
	s_cbranch_execz .LBB779_7
; %bb.6:
	v_mov_b32_e32 v3, 0
	flat_store_dword v[1:2], v3 offset:4
.LBB779_7:
	s_or_b64 exec, exec, s[2:3]
	v_add_u32_e32 v2, 16, v0
	v_cmp_le_i32_e64 s[2:3], v5, v2
	v_cmp_gt_i32_e64 s[0:1], s12, v2
	s_and_b64 s[2:3], s[2:3], s[0:1]
	s_and_saveexec_b64 s[4:5], s[2:3]
	s_cbranch_execz .LBB779_10
; %bb.8:
	v_ashrrev_i32_e32 v3, 31, v2
	v_lshlrev_b64 v[7:8], 3, v[2:3]
	v_add_co_u32_e64 v3, s[2:3], v4, v7
	v_addc_co_u32_e64 v4, s[2:3], v6, v8, s[2:3]
	flat_load_dwordx2 v[6:7], v[3:4]
	v_cmp_eq_u32_e64 s[2:3], v5, v2
	s_waitcnt vmcnt(0) lgkmcnt(0)
	v_sub_f32_e32 v6, v19, v6
	v_sub_f32_e32 v7, v18, v7
	flat_store_dwordx2 v[3:4], v[6:7]
	s_and_b64 exec, exec, s[2:3]
	s_cbranch_execz .LBB779_10
; %bb.9:
	v_mov_b32_e32 v1, 0
	flat_store_dword v[3:4], v1 offset:4
.LBB779_10:
	s_or_b64 exec, exec, s[4:5]
	v_add_u32_e32 v8, 16, v5
	v_mad_i64_i32 v[3:4], s[2:3], v8, s6, 0
	v_mov_b32_e32 v1, s11
	v_lshlrev_b64 v[3:4], 3, v[3:4]
	v_add_co_u32_e64 v6, s[2:3], s10, v3
	v_addc_co_u32_e64 v7, s[2:3], v1, v4, s[2:3]
	v_cmp_le_i32_e64 s[2:3], v8, v0
	s_and_b64 s[4:5], s[2:3], vcc
	s_and_saveexec_b64 s[2:3], s[4:5]
	s_cbranch_execz .LBB779_13
; %bb.11:
	v_ashrrev_i32_e32 v1, 31, v0
	v_lshlrev_b64 v[3:4], 3, v[0:1]
	v_add_co_u32_e32 v3, vcc, v6, v3
	v_addc_co_u32_e32 v4, vcc, v7, v4, vcc
	flat_load_dwordx2 v[11:12], v[3:4]
	v_cmp_eq_u32_e32 vcc, v8, v0
	s_waitcnt vmcnt(0) lgkmcnt(0)
	v_sub_f32_e32 v11, v17, v11
	v_sub_f32_e32 v12, v16, v12
	flat_store_dwordx2 v[3:4], v[11:12]
	s_and_b64 exec, exec, vcc
	s_cbranch_execz .LBB779_13
; %bb.12:
	v_mov_b32_e32 v1, 0
	flat_store_dword v[3:4], v1 offset:4
.LBB779_13:
	s_or_b64 exec, exec, s[2:3]
	v_cmp_le_i32_e32 vcc, v8, v2
	s_and_b64 s[0:1], vcc, s[0:1]
	s_and_saveexec_b64 s[2:3], s[0:1]
	s_cbranch_execz .LBB779_16
; %bb.14:
	v_ashrrev_i32_e32 v3, 31, v2
	v_lshlrev_b64 v[1:2], 3, v[2:3]
	v_add_co_u32_e32 v1, vcc, v6, v1
	v_addc_co_u32_e32 v2, vcc, v7, v2, vcc
	flat_load_dwordx2 v[3:4], v[1:2]
	v_cmp_eq_u32_e32 vcc, v5, v0
	s_waitcnt vmcnt(0) lgkmcnt(0)
	v_sub_f32_e32 v3, v15, v3
	v_sub_f32_e32 v4, v10, v4
	flat_store_dwordx2 v[1:2], v[3:4]
	s_and_b64 exec, exec, vcc
	s_cbranch_execz .LBB779_16
; %bb.15:
	v_mov_b32_e32 v0, 0
	flat_store_dword v[1:2], v0 offset:4
.LBB779_16:
	s_endpgm
	.section	.rodata,"a",@progbits
	.p2align	6, 0x0
	.amdhsa_kernel _ZL37rocblas_syrkx_herkx_restricted_kernelIi19rocblas_complex_numIfELi16ELi32ELi8ELi1ELin1ELb1ELc67ELc76EKPKS1_KPS1_EviT_PT9_S7_lS9_S7_lPT10_S7_li
		.amdhsa_group_segment_fixed_size 4096
		.amdhsa_private_segment_fixed_size 0
		.amdhsa_kernarg_size 84
		.amdhsa_user_sgpr_count 6
		.amdhsa_user_sgpr_private_segment_buffer 1
		.amdhsa_user_sgpr_dispatch_ptr 0
		.amdhsa_user_sgpr_queue_ptr 0
		.amdhsa_user_sgpr_kernarg_segment_ptr 1
		.amdhsa_user_sgpr_dispatch_id 0
		.amdhsa_user_sgpr_flat_scratch_init 0
		.amdhsa_user_sgpr_private_segment_size 0
		.amdhsa_uses_dynamic_stack 0
		.amdhsa_system_sgpr_private_segment_wavefront_offset 0
		.amdhsa_system_sgpr_workgroup_id_x 1
		.amdhsa_system_sgpr_workgroup_id_y 1
		.amdhsa_system_sgpr_workgroup_id_z 1
		.amdhsa_system_sgpr_workgroup_info 0
		.amdhsa_system_vgpr_workitem_id 1
		.amdhsa_next_free_vgpr 41
		.amdhsa_next_free_sgpr 17
		.amdhsa_reserve_vcc 1
		.amdhsa_reserve_flat_scratch 0
		.amdhsa_float_round_mode_32 0
		.amdhsa_float_round_mode_16_64 0
		.amdhsa_float_denorm_mode_32 3
		.amdhsa_float_denorm_mode_16_64 3
		.amdhsa_dx10_clamp 1
		.amdhsa_ieee_mode 1
		.amdhsa_fp16_overflow 0
		.amdhsa_exception_fp_ieee_invalid_op 0
		.amdhsa_exception_fp_denorm_src 0
		.amdhsa_exception_fp_ieee_div_zero 0
		.amdhsa_exception_fp_ieee_overflow 0
		.amdhsa_exception_fp_ieee_underflow 0
		.amdhsa_exception_fp_ieee_inexact 0
		.amdhsa_exception_int_div_zero 0
	.end_amdhsa_kernel
	.section	.text._ZL37rocblas_syrkx_herkx_restricted_kernelIi19rocblas_complex_numIfELi16ELi32ELi8ELi1ELin1ELb1ELc67ELc76EKPKS1_KPS1_EviT_PT9_S7_lS9_S7_lPT10_S7_li,"axG",@progbits,_ZL37rocblas_syrkx_herkx_restricted_kernelIi19rocblas_complex_numIfELi16ELi32ELi8ELi1ELin1ELb1ELc67ELc76EKPKS1_KPS1_EviT_PT9_S7_lS9_S7_lPT10_S7_li,comdat
.Lfunc_end779:
	.size	_ZL37rocblas_syrkx_herkx_restricted_kernelIi19rocblas_complex_numIfELi16ELi32ELi8ELi1ELin1ELb1ELc67ELc76EKPKS1_KPS1_EviT_PT9_S7_lS9_S7_lPT10_S7_li, .Lfunc_end779-_ZL37rocblas_syrkx_herkx_restricted_kernelIi19rocblas_complex_numIfELi16ELi32ELi8ELi1ELin1ELb1ELc67ELc76EKPKS1_KPS1_EviT_PT9_S7_lS9_S7_lPT10_S7_li
                                        ; -- End function
	.set _ZL37rocblas_syrkx_herkx_restricted_kernelIi19rocblas_complex_numIfELi16ELi32ELi8ELi1ELin1ELb1ELc67ELc76EKPKS1_KPS1_EviT_PT9_S7_lS9_S7_lPT10_S7_li.num_vgpr, 41
	.set _ZL37rocblas_syrkx_herkx_restricted_kernelIi19rocblas_complex_numIfELi16ELi32ELi8ELi1ELin1ELb1ELc67ELc76EKPKS1_KPS1_EviT_PT9_S7_lS9_S7_lPT10_S7_li.num_agpr, 0
	.set _ZL37rocblas_syrkx_herkx_restricted_kernelIi19rocblas_complex_numIfELi16ELi32ELi8ELi1ELin1ELb1ELc67ELc76EKPKS1_KPS1_EviT_PT9_S7_lS9_S7_lPT10_S7_li.numbered_sgpr, 17
	.set _ZL37rocblas_syrkx_herkx_restricted_kernelIi19rocblas_complex_numIfELi16ELi32ELi8ELi1ELin1ELb1ELc67ELc76EKPKS1_KPS1_EviT_PT9_S7_lS9_S7_lPT10_S7_li.num_named_barrier, 0
	.set _ZL37rocblas_syrkx_herkx_restricted_kernelIi19rocblas_complex_numIfELi16ELi32ELi8ELi1ELin1ELb1ELc67ELc76EKPKS1_KPS1_EviT_PT9_S7_lS9_S7_lPT10_S7_li.private_seg_size, 0
	.set _ZL37rocblas_syrkx_herkx_restricted_kernelIi19rocblas_complex_numIfELi16ELi32ELi8ELi1ELin1ELb1ELc67ELc76EKPKS1_KPS1_EviT_PT9_S7_lS9_S7_lPT10_S7_li.uses_vcc, 1
	.set _ZL37rocblas_syrkx_herkx_restricted_kernelIi19rocblas_complex_numIfELi16ELi32ELi8ELi1ELin1ELb1ELc67ELc76EKPKS1_KPS1_EviT_PT9_S7_lS9_S7_lPT10_S7_li.uses_flat_scratch, 0
	.set _ZL37rocblas_syrkx_herkx_restricted_kernelIi19rocblas_complex_numIfELi16ELi32ELi8ELi1ELin1ELb1ELc67ELc76EKPKS1_KPS1_EviT_PT9_S7_lS9_S7_lPT10_S7_li.has_dyn_sized_stack, 0
	.set _ZL37rocblas_syrkx_herkx_restricted_kernelIi19rocblas_complex_numIfELi16ELi32ELi8ELi1ELin1ELb1ELc67ELc76EKPKS1_KPS1_EviT_PT9_S7_lS9_S7_lPT10_S7_li.has_recursion, 0
	.set _ZL37rocblas_syrkx_herkx_restricted_kernelIi19rocblas_complex_numIfELi16ELi32ELi8ELi1ELin1ELb1ELc67ELc76EKPKS1_KPS1_EviT_PT9_S7_lS9_S7_lPT10_S7_li.has_indirect_call, 0
	.section	.AMDGPU.csdata,"",@progbits
; Kernel info:
; codeLenInByte = 2012
; TotalNumSgprs: 21
; NumVgprs: 41
; ScratchSize: 0
; MemoryBound: 0
; FloatMode: 240
; IeeeMode: 1
; LDSByteSize: 4096 bytes/workgroup (compile time only)
; SGPRBlocks: 2
; VGPRBlocks: 10
; NumSGPRsForWavesPerEU: 21
; NumVGPRsForWavesPerEU: 41
; Occupancy: 5
; WaveLimiterHint : 1
; COMPUTE_PGM_RSRC2:SCRATCH_EN: 0
; COMPUTE_PGM_RSRC2:USER_SGPR: 6
; COMPUTE_PGM_RSRC2:TRAP_HANDLER: 0
; COMPUTE_PGM_RSRC2:TGID_X_EN: 1
; COMPUTE_PGM_RSRC2:TGID_Y_EN: 1
; COMPUTE_PGM_RSRC2:TGID_Z_EN: 1
; COMPUTE_PGM_RSRC2:TIDIG_COMP_CNT: 1
	.section	.text._ZL37rocblas_syrkx_herkx_restricted_kernelIi19rocblas_complex_numIfELi16ELi32ELi8ELi1ELin1ELb1ELc78ELc76EKPKS1_KPS1_EviT_PT9_S7_lS9_S7_lPT10_S7_li,"axG",@progbits,_ZL37rocblas_syrkx_herkx_restricted_kernelIi19rocblas_complex_numIfELi16ELi32ELi8ELi1ELin1ELb1ELc78ELc76EKPKS1_KPS1_EviT_PT9_S7_lS9_S7_lPT10_S7_li,comdat
	.globl	_ZL37rocblas_syrkx_herkx_restricted_kernelIi19rocblas_complex_numIfELi16ELi32ELi8ELi1ELin1ELb1ELc78ELc76EKPKS1_KPS1_EviT_PT9_S7_lS9_S7_lPT10_S7_li ; -- Begin function _ZL37rocblas_syrkx_herkx_restricted_kernelIi19rocblas_complex_numIfELi16ELi32ELi8ELi1ELin1ELb1ELc78ELc76EKPKS1_KPS1_EviT_PT9_S7_lS9_S7_lPT10_S7_li
	.p2align	8
	.type	_ZL37rocblas_syrkx_herkx_restricted_kernelIi19rocblas_complex_numIfELi16ELi32ELi8ELi1ELin1ELb1ELc78ELc76EKPKS1_KPS1_EviT_PT9_S7_lS9_S7_lPT10_S7_li,@function
_ZL37rocblas_syrkx_herkx_restricted_kernelIi19rocblas_complex_numIfELi16ELi32ELi8ELi1ELin1ELb1ELc78ELc76EKPKS1_KPS1_EviT_PT9_S7_lS9_S7_lPT10_S7_li: ; @_ZL37rocblas_syrkx_herkx_restricted_kernelIi19rocblas_complex_numIfELi16ELi32ELi8ELi1ELin1ELb1ELc78ELc76EKPKS1_KPS1_EviT_PT9_S7_lS9_S7_lPT10_S7_li
; %bb.0:
	s_load_dwordx2 s[2:3], s[4:5], 0x38
	s_load_dwordx2 s[12:13], s[4:5], 0x0
	s_mov_b32 s9, 0
	s_lshl_b64 s[0:1], s[8:9], 3
	s_waitcnt lgkmcnt(0)
	s_add_u32 s2, s2, s0
	s_addc_u32 s3, s3, s1
	s_load_dwordx2 s[10:11], s[2:3], 0x0
	s_lshl_b32 s6, s6, 5
	s_lshl_b32 s7, s7, 5
	s_cmp_lt_i32 s13, 1
	s_cbranch_scc1 .LBB780_3
; %bb.1:
	s_load_dword s2, s[4:5], 0x10
	s_load_dword s14, s[4:5], 0x28
	s_load_dwordx2 s[16:17], s[4:5], 0x20
	s_load_dwordx2 s[18:19], s[4:5], 0x8
	v_lshl_add_u32 v5, v1, 4, v0
	s_waitcnt lgkmcnt(0)
	s_ashr_i32 s3, s2, 31
	s_ashr_i32 s15, s14, 31
	v_lshrrev_b32_e32 v6, 3, v5
	s_add_u32 s18, s18, s0
	s_addc_u32 s19, s19, s1
	s_add_u32 s0, s16, s0
	v_add_u32_e32 v2, s7, v6
	s_addc_u32 s1, s17, s1
	v_and_b32_e32 v4, 7, v0
	v_ashrrev_i32_e32 v3, 31, v2
	s_load_dwordx2 s[16:17], s[0:1], 0x0
	v_mad_i64_i32 v[2:3], s[0:1], s14, v4, v[2:3]
	v_lshlrev_b32_e32 v4, 3, v4
	v_lshrrev_b32_e32 v7, 5, v5
	v_and_b32_e32 v5, 31, v5
	v_lshl_or_b32 v4, v6, 6, v4
	v_add_u32_e32 v11, 0x800, v4
	v_add_u32_e32 v4, s6, v5
	v_lshlrev_b32_e32 v8, 3, v5
	v_ashrrev_i32_e32 v5, 31, v4
	v_mad_i64_i32 v[4:5], s[0:1], s2, v7, v[4:5]
	s_load_dwordx2 s[18:19], s[18:19], 0x0
	v_mov_b32_e32 v6, 0x800
	v_lshlrev_b64 v[4:5], 3, v[4:5]
	v_lshl_or_b32 v10, v7, 8, v8
	v_lshl_add_u32 v13, v1, 6, v6
	s_waitcnt lgkmcnt(0)
	v_mov_b32_e32 v7, s19
	v_add_co_u32_e32 v6, vcc, s18, v4
	v_lshlrev_b64 v[2:3], 3, v[2:3]
	v_addc_co_u32_e32 v7, vcc, v7, v5, vcc
	s_lshl_b64 s[0:1], s[2:3], 6
	v_mov_b32_e32 v4, s17
	v_add_co_u32_e32 v8, vcc, s16, v2
	s_lshl_b64 s[2:3], s[14:15], 6
	v_lshlrev_b32_e32 v12, 3, v0
	v_addc_co_u32_e32 v9, vcc, v4, v3, vcc
	v_mov_b32_e32 v16, 0
	v_mov_b32_e32 v14, s1
	;; [unrolled: 1-line block ×10, first 2 shown]
.LBB780_2:                              ; =>This Inner Loop Header: Depth=1
	flat_load_dwordx2 v[2:3], v[6:7]
	v_add_co_u32_e32 v6, vcc, s0, v6
	v_addc_co_u32_e32 v7, vcc, v7, v14, vcc
	s_add_i32 s9, s9, 8
	s_cmp_ge_i32 s9, s13
	s_waitcnt vmcnt(0) lgkmcnt(0)
	ds_write_b64 v10, v[2:3]
	flat_load_dwordx2 v[2:3], v[8:9]
	v_add_co_u32_e32 v8, vcc, s2, v8
	v_addc_co_u32_e32 v9, vcc, v9, v15, vcc
	s_waitcnt vmcnt(0) lgkmcnt(0)
	v_xor_b32_e32 v3, 0x80000000, v3
	ds_write_b64 v11, v[2:3]
	s_waitcnt lgkmcnt(0)
	s_barrier
	ds_read_b128 v[24:27], v13
	ds_read_b128 v[28:31], v13 offset:16
	ds_read_b128 v[32:35], v13 offset:32
	;; [unrolled: 1-line block ×3, first 2 shown]
	ds_read2_b64 v[36:39], v12 offset1:16
	s_waitcnt lgkmcnt(0)
	v_mul_f32_e32 v40, v25, v37
	v_mul_f32_e32 v41, v24, v37
	v_fma_f32 v40, v24, v36, -v40
	v_fmac_f32_e32 v41, v25, v36
	v_add_f32_e32 v40, v22, v40
	v_add_f32_e32 v41, v23, v41
	v_mul_f32_e32 v22, v25, v39
	v_mul_f32_e32 v23, v24, v39
	v_fma_f32 v22, v24, v38, -v22
	v_fmac_f32_e32 v23, v25, v38
	v_add_f32_e32 v24, v21, v22
	v_add_f32_e32 v25, v20, v23
	ds_read_b128 v[20:23], v13 offset:1024
	s_waitcnt lgkmcnt(0)
	v_mul_f32_e32 v42, v21, v37
	v_mul_f32_e32 v37, v20, v37
	v_fma_f32 v42, v20, v36, -v42
	v_fmac_f32_e32 v37, v21, v36
	v_add_f32_e32 v36, v19, v42
	v_add_f32_e32 v37, v18, v37
	v_mul_f32_e32 v18, v21, v39
	v_mul_f32_e32 v19, v20, v39
	v_fma_f32 v18, v20, v38, -v18
	v_fmac_f32_e32 v19, v21, v38
	v_add_f32_e32 v20, v17, v18
	v_add_f32_e32 v21, v16, v19
	ds_read2_b64 v[16:19], v12 offset0:32 offset1:48
	s_waitcnt lgkmcnt(0)
	v_mul_f32_e32 v38, v27, v17
	v_fma_f32 v38, v26, v16, -v38
	v_add_f32_e32 v38, v40, v38
	v_mul_f32_e32 v40, v27, v19
	v_mul_f32_e32 v39, v26, v17
	v_fma_f32 v40, v26, v18, -v40
	v_mul_f32_e32 v26, v26, v19
	v_fmac_f32_e32 v26, v27, v18
	v_add_f32_e32 v25, v25, v26
	v_mul_f32_e32 v26, v23, v17
	v_mul_f32_e32 v17, v22, v17
	v_fmac_f32_e32 v17, v23, v16
	v_fmac_f32_e32 v39, v27, v16
	v_fma_f32 v26, v22, v16, -v26
	v_add_f32_e32 v27, v37, v17
	v_mul_f32_e32 v16, v23, v19
	v_mul_f32_e32 v17, v22, v19
	v_fma_f32 v16, v22, v18, -v16
	v_fmac_f32_e32 v17, v23, v18
	v_add_f32_e32 v26, v36, v26
	v_add_f32_e32 v36, v20, v16
	;; [unrolled: 1-line block ×3, first 2 shown]
	ds_read2_b64 v[16:19], v12 offset0:64 offset1:80
	v_add_f32_e32 v39, v41, v39
	v_add_f32_e32 v24, v24, v40
	s_waitcnt lgkmcnt(0)
	v_mul_f32_e32 v20, v29, v17
	v_mul_f32_e32 v21, v28, v17
	v_fma_f32 v20, v28, v16, -v20
	v_fmac_f32_e32 v21, v29, v16
	v_add_f32_e32 v38, v38, v20
	v_add_f32_e32 v39, v39, v21
	v_mul_f32_e32 v20, v29, v19
	v_mul_f32_e32 v21, v28, v19
	v_fma_f32 v20, v28, v18, -v20
	v_fmac_f32_e32 v21, v29, v18
	v_add_f32_e32 v24, v24, v20
	v_add_f32_e32 v25, v25, v21
	ds_read_b128 v[20:23], v13 offset:1040
	s_waitcnt lgkmcnt(0)
	v_mul_f32_e32 v28, v21, v17
	v_mul_f32_e32 v17, v20, v17
	v_fmac_f32_e32 v17, v21, v16
	v_fma_f32 v28, v20, v16, -v28
	v_add_f32_e32 v27, v27, v17
	v_mul_f32_e32 v16, v21, v19
	v_mul_f32_e32 v17, v20, v19
	v_fma_f32 v16, v20, v18, -v16
	v_fmac_f32_e32 v17, v21, v18
	v_add_f32_e32 v20, v36, v16
	v_add_f32_e32 v21, v37, v17
	ds_read2_b64 v[16:19], v12 offset0:96 offset1:112
	v_add_f32_e32 v26, v26, v28
	s_waitcnt lgkmcnt(0)
	v_mul_f32_e32 v28, v31, v17
	v_mul_f32_e32 v36, v31, v19
	v_fma_f32 v28, v30, v16, -v28
	v_mul_f32_e32 v29, v30, v17
	v_fma_f32 v36, v30, v18, -v36
	v_mul_f32_e32 v30, v30, v19
	v_fmac_f32_e32 v30, v31, v18
	v_add_f32_e32 v25, v25, v30
	v_mul_f32_e32 v30, v23, v17
	v_mul_f32_e32 v17, v22, v17
	v_fmac_f32_e32 v17, v23, v16
	v_fmac_f32_e32 v29, v31, v16
	v_fma_f32 v30, v22, v16, -v30
	v_add_f32_e32 v27, v27, v17
	v_mul_f32_e32 v16, v23, v19
	v_mul_f32_e32 v17, v22, v19
	v_fma_f32 v16, v22, v18, -v16
	v_fmac_f32_e32 v17, v23, v18
	v_add_f32_e32 v26, v26, v30
	v_add_f32_e32 v30, v20, v16
	;; [unrolled: 1-line block ×3, first 2 shown]
	ds_read2_b64 v[16:19], v12 offset0:128 offset1:144
	v_add_f32_e32 v28, v38, v28
	v_add_f32_e32 v29, v39, v29
	;; [unrolled: 1-line block ×3, first 2 shown]
	s_waitcnt lgkmcnt(0)
	v_mul_f32_e32 v20, v33, v17
	v_mul_f32_e32 v21, v32, v17
	v_fma_f32 v20, v32, v16, -v20
	v_fmac_f32_e32 v21, v33, v16
	v_add_f32_e32 v28, v28, v20
	v_add_f32_e32 v29, v29, v21
	v_mul_f32_e32 v20, v33, v19
	v_mul_f32_e32 v21, v32, v19
	v_fma_f32 v20, v32, v18, -v20
	v_fmac_f32_e32 v21, v33, v18
	v_add_f32_e32 v24, v24, v20
	v_add_f32_e32 v25, v25, v21
	ds_read_b128 v[20:23], v13 offset:1056
	s_waitcnt lgkmcnt(0)
	v_mul_f32_e32 v32, v21, v17
	v_mul_f32_e32 v17, v20, v17
	v_fmac_f32_e32 v17, v21, v16
	v_fma_f32 v32, v20, v16, -v32
	v_add_f32_e32 v27, v27, v17
	v_mul_f32_e32 v16, v21, v19
	v_mul_f32_e32 v17, v20, v19
	v_fma_f32 v16, v20, v18, -v16
	v_fmac_f32_e32 v17, v21, v18
	v_add_f32_e32 v20, v30, v16
	v_add_f32_e32 v21, v31, v17
	ds_read2_b64 v[16:19], v12 offset0:160 offset1:176
	v_add_f32_e32 v26, v26, v32
	s_waitcnt lgkmcnt(0)
	v_mul_f32_e32 v30, v35, v17
	v_fma_f32 v30, v34, v16, -v30
	v_add_f32_e32 v28, v28, v30
	v_mul_f32_e32 v30, v35, v19
	v_fma_f32 v30, v34, v18, -v30
	v_mul_f32_e32 v31, v34, v17
	v_add_f32_e32 v24, v24, v30
	v_mul_f32_e32 v30, v23, v17
	v_mul_f32_e32 v17, v22, v17
	v_fmac_f32_e32 v17, v23, v16
	v_fmac_f32_e32 v31, v35, v16
	v_fma_f32 v30, v22, v16, -v30
	v_add_f32_e32 v27, v27, v17
	v_mul_f32_e32 v16, v23, v19
	v_mul_f32_e32 v17, v22, v19
	v_add_f32_e32 v29, v29, v31
	v_mul_f32_e32 v31, v34, v19
	v_fma_f32 v16, v22, v18, -v16
	v_fmac_f32_e32 v17, v23, v18
	v_fmac_f32_e32 v31, v35, v18
	v_add_f32_e32 v20, v20, v16
	v_add_f32_e32 v21, v21, v17
	ds_read2_b64 v[16:19], v12 offset0:192 offset1:208
	v_add_f32_e32 v26, v26, v30
	v_add_f32_e32 v25, v25, v31
	s_waitcnt lgkmcnt(0)
	v_mul_f32_e32 v22, v3, v17
	v_fma_f32 v22, v2, v16, -v22
	v_add_f32_e32 v30, v28, v22
	v_mul_f32_e32 v22, v3, v19
	v_mul_f32_e32 v23, v2, v17
	v_fma_f32 v22, v2, v18, -v22
	v_mul_f32_e32 v2, v2, v19
	v_fmac_f32_e32 v23, v3, v16
	v_fmac_f32_e32 v2, v3, v18
	v_add_f32_e32 v31, v29, v23
	v_add_f32_e32 v3, v24, v22
	;; [unrolled: 1-line block ×3, first 2 shown]
	ds_read_b128 v[22:25], v13 offset:1072
	s_waitcnt lgkmcnt(0)
	v_mul_f32_e32 v28, v23, v17
	v_fma_f32 v28, v22, v16, -v28
	v_mul_f32_e32 v17, v22, v17
	v_fmac_f32_e32 v17, v23, v16
	v_add_f32_e32 v16, v26, v28
	v_mul_f32_e32 v26, v23, v19
	v_fma_f32 v26, v22, v18, -v26
	v_add_f32_e32 v17, v27, v17
	v_add_f32_e32 v32, v20, v26
	ds_read2_b64 v[26:29], v12 offset0:224 offset1:240
	v_mul_f32_e32 v19, v22, v19
	v_fmac_f32_e32 v19, v23, v18
	v_add_f32_e32 v33, v21, v19
	s_waitcnt lgkmcnt(0)
	v_mul_f32_e32 v18, v5, v27
	v_fma_f32 v18, v4, v26, -v18
	v_add_f32_e32 v22, v30, v18
	v_mul_f32_e32 v18, v5, v29
	v_mul_f32_e32 v19, v4, v27
	v_fma_f32 v18, v4, v28, -v18
	v_mul_f32_e32 v4, v4, v29
	v_fmac_f32_e32 v4, v5, v28
	v_add_f32_e32 v21, v3, v18
	v_add_f32_e32 v20, v2, v4
	v_mul_f32_e32 v2, v25, v27
	v_mul_f32_e32 v3, v24, v27
	v_fmac_f32_e32 v19, v5, v26
	v_fma_f32 v2, v24, v26, -v2
	v_fmac_f32_e32 v3, v25, v26
	v_add_f32_e32 v23, v31, v19
	v_add_f32_e32 v19, v16, v2
	;; [unrolled: 1-line block ×3, first 2 shown]
	v_mul_f32_e32 v2, v25, v29
	v_mul_f32_e32 v3, v24, v29
	v_fma_f32 v2, v24, v28, -v2
	v_fmac_f32_e32 v3, v25, v28
	v_add_f32_e32 v17, v32, v2
	v_add_f32_e32 v16, v33, v3
	s_barrier
	s_cbranch_scc0 .LBB780_2
	s_branch .LBB780_4
.LBB780_3:
	v_mov_b32_e32 v22, 0
	v_mov_b32_e32 v23, 0
	v_mov_b32_e32 v21, 0
	v_mov_b32_e32 v20, 0
	v_mov_b32_e32 v19, 0
	v_mov_b32_e32 v18, 0
	v_mov_b32_e32 v17, 0
	v_mov_b32_e32 v16, 0
.LBB780_4:
	s_load_dword s8, s[4:5], 0x40
	v_add_u32_e32 v5, s7, v1
	s_waitcnt lgkmcnt(0)
	v_mov_b32_e32 v3, s11
	v_add_u32_e32 v0, s6, v0
	v_mad_i64_i32 v[1:2], s[0:1], v5, s8, 0
	v_cmp_le_i32_e64 s[0:1], v5, v0
	v_lshlrev_b64 v[1:2], 3, v[1:2]
	v_add_co_u32_e32 v4, vcc, s10, v1
	v_addc_co_u32_e32 v6, vcc, v3, v2, vcc
	v_cmp_gt_i32_e32 vcc, s12, v0
	s_and_b64 s[0:1], s[0:1], vcc
	s_and_saveexec_b64 s[2:3], s[0:1]
	s_cbranch_execz .LBB780_7
; %bb.5:
	v_ashrrev_i32_e32 v1, 31, v0
	v_lshlrev_b64 v[1:2], 3, v[0:1]
	v_add_co_u32_e64 v1, s[0:1], v4, v1
	v_addc_co_u32_e64 v2, s[0:1], v6, v2, s[0:1]
	flat_load_dwordx2 v[7:8], v[1:2]
	v_cmp_eq_u32_e64 s[0:1], v5, v0
	s_waitcnt vmcnt(0) lgkmcnt(0)
	v_sub_f32_e32 v7, v22, v7
	v_sub_f32_e32 v8, v23, v8
	flat_store_dwordx2 v[1:2], v[7:8]
	s_and_b64 exec, exec, s[0:1]
	s_cbranch_execz .LBB780_7
; %bb.6:
	v_mov_b32_e32 v3, 0
	flat_store_dword v[1:2], v3 offset:4
.LBB780_7:
	s_or_b64 exec, exec, s[2:3]
	v_add_u32_e32 v2, 16, v0
	v_cmp_le_i32_e64 s[2:3], v5, v2
	v_cmp_gt_i32_e64 s[0:1], s12, v2
	s_and_b64 s[2:3], s[2:3], s[0:1]
	s_and_saveexec_b64 s[4:5], s[2:3]
	s_cbranch_execz .LBB780_10
; %bb.8:
	v_ashrrev_i32_e32 v3, 31, v2
	v_lshlrev_b64 v[7:8], 3, v[2:3]
	v_add_co_u32_e64 v3, s[2:3], v4, v7
	v_addc_co_u32_e64 v4, s[2:3], v6, v8, s[2:3]
	flat_load_dwordx2 v[6:7], v[3:4]
	v_cmp_eq_u32_e64 s[2:3], v5, v2
	s_waitcnt vmcnt(0) lgkmcnt(0)
	v_sub_f32_e32 v6, v21, v6
	v_sub_f32_e32 v7, v20, v7
	flat_store_dwordx2 v[3:4], v[6:7]
	s_and_b64 exec, exec, s[2:3]
	s_cbranch_execz .LBB780_10
; %bb.9:
	v_mov_b32_e32 v1, 0
	flat_store_dword v[3:4], v1 offset:4
.LBB780_10:
	s_or_b64 exec, exec, s[4:5]
	v_add_u32_e32 v8, 16, v5
	v_mad_i64_i32 v[3:4], s[2:3], v8, s8, 0
	v_mov_b32_e32 v1, s11
	v_lshlrev_b64 v[3:4], 3, v[3:4]
	v_add_co_u32_e64 v6, s[2:3], s10, v3
	v_addc_co_u32_e64 v7, s[2:3], v1, v4, s[2:3]
	v_cmp_le_i32_e64 s[2:3], v8, v0
	s_and_b64 s[4:5], s[2:3], vcc
	s_and_saveexec_b64 s[2:3], s[4:5]
	s_cbranch_execz .LBB780_13
; %bb.11:
	v_ashrrev_i32_e32 v1, 31, v0
	v_lshlrev_b64 v[3:4], 3, v[0:1]
	v_add_co_u32_e32 v3, vcc, v6, v3
	v_addc_co_u32_e32 v4, vcc, v7, v4, vcc
	flat_load_dwordx2 v[9:10], v[3:4]
	v_cmp_eq_u32_e32 vcc, v8, v0
	s_waitcnt vmcnt(0) lgkmcnt(0)
	v_sub_f32_e32 v9, v19, v9
	v_sub_f32_e32 v10, v18, v10
	flat_store_dwordx2 v[3:4], v[9:10]
	s_and_b64 exec, exec, vcc
	s_cbranch_execz .LBB780_13
; %bb.12:
	v_mov_b32_e32 v1, 0
	flat_store_dword v[3:4], v1 offset:4
.LBB780_13:
	s_or_b64 exec, exec, s[2:3]
	v_cmp_le_i32_e32 vcc, v8, v2
	s_and_b64 s[0:1], vcc, s[0:1]
	s_and_saveexec_b64 s[2:3], s[0:1]
	s_cbranch_execz .LBB780_16
; %bb.14:
	v_ashrrev_i32_e32 v3, 31, v2
	v_lshlrev_b64 v[1:2], 3, v[2:3]
	v_add_co_u32_e32 v1, vcc, v6, v1
	v_addc_co_u32_e32 v2, vcc, v7, v2, vcc
	flat_load_dwordx2 v[3:4], v[1:2]
	v_cmp_eq_u32_e32 vcc, v5, v0
	s_waitcnt vmcnt(0) lgkmcnt(0)
	v_sub_f32_e32 v3, v17, v3
	v_sub_f32_e32 v4, v16, v4
	flat_store_dwordx2 v[1:2], v[3:4]
	s_and_b64 exec, exec, vcc
	s_cbranch_execz .LBB780_16
; %bb.15:
	v_mov_b32_e32 v0, 0
	flat_store_dword v[1:2], v0 offset:4
.LBB780_16:
	s_endpgm
	.section	.rodata,"a",@progbits
	.p2align	6, 0x0
	.amdhsa_kernel _ZL37rocblas_syrkx_herkx_restricted_kernelIi19rocblas_complex_numIfELi16ELi32ELi8ELi1ELin1ELb1ELc78ELc76EKPKS1_KPS1_EviT_PT9_S7_lS9_S7_lPT10_S7_li
		.amdhsa_group_segment_fixed_size 4096
		.amdhsa_private_segment_fixed_size 0
		.amdhsa_kernarg_size 84
		.amdhsa_user_sgpr_count 6
		.amdhsa_user_sgpr_private_segment_buffer 1
		.amdhsa_user_sgpr_dispatch_ptr 0
		.amdhsa_user_sgpr_queue_ptr 0
		.amdhsa_user_sgpr_kernarg_segment_ptr 1
		.amdhsa_user_sgpr_dispatch_id 0
		.amdhsa_user_sgpr_flat_scratch_init 0
		.amdhsa_user_sgpr_private_segment_size 0
		.amdhsa_uses_dynamic_stack 0
		.amdhsa_system_sgpr_private_segment_wavefront_offset 0
		.amdhsa_system_sgpr_workgroup_id_x 1
		.amdhsa_system_sgpr_workgroup_id_y 1
		.amdhsa_system_sgpr_workgroup_id_z 1
		.amdhsa_system_sgpr_workgroup_info 0
		.amdhsa_system_vgpr_workitem_id 1
		.amdhsa_next_free_vgpr 43
		.amdhsa_next_free_sgpr 20
		.amdhsa_reserve_vcc 1
		.amdhsa_reserve_flat_scratch 0
		.amdhsa_float_round_mode_32 0
		.amdhsa_float_round_mode_16_64 0
		.amdhsa_float_denorm_mode_32 3
		.amdhsa_float_denorm_mode_16_64 3
		.amdhsa_dx10_clamp 1
		.amdhsa_ieee_mode 1
		.amdhsa_fp16_overflow 0
		.amdhsa_exception_fp_ieee_invalid_op 0
		.amdhsa_exception_fp_denorm_src 0
		.amdhsa_exception_fp_ieee_div_zero 0
		.amdhsa_exception_fp_ieee_overflow 0
		.amdhsa_exception_fp_ieee_underflow 0
		.amdhsa_exception_fp_ieee_inexact 0
		.amdhsa_exception_int_div_zero 0
	.end_amdhsa_kernel
	.section	.text._ZL37rocblas_syrkx_herkx_restricted_kernelIi19rocblas_complex_numIfELi16ELi32ELi8ELi1ELin1ELb1ELc78ELc76EKPKS1_KPS1_EviT_PT9_S7_lS9_S7_lPT10_S7_li,"axG",@progbits,_ZL37rocblas_syrkx_herkx_restricted_kernelIi19rocblas_complex_numIfELi16ELi32ELi8ELi1ELin1ELb1ELc78ELc76EKPKS1_KPS1_EviT_PT9_S7_lS9_S7_lPT10_S7_li,comdat
.Lfunc_end780:
	.size	_ZL37rocblas_syrkx_herkx_restricted_kernelIi19rocblas_complex_numIfELi16ELi32ELi8ELi1ELin1ELb1ELc78ELc76EKPKS1_KPS1_EviT_PT9_S7_lS9_S7_lPT10_S7_li, .Lfunc_end780-_ZL37rocblas_syrkx_herkx_restricted_kernelIi19rocblas_complex_numIfELi16ELi32ELi8ELi1ELin1ELb1ELc78ELc76EKPKS1_KPS1_EviT_PT9_S7_lS9_S7_lPT10_S7_li
                                        ; -- End function
	.set _ZL37rocblas_syrkx_herkx_restricted_kernelIi19rocblas_complex_numIfELi16ELi32ELi8ELi1ELin1ELb1ELc78ELc76EKPKS1_KPS1_EviT_PT9_S7_lS9_S7_lPT10_S7_li.num_vgpr, 43
	.set _ZL37rocblas_syrkx_herkx_restricted_kernelIi19rocblas_complex_numIfELi16ELi32ELi8ELi1ELin1ELb1ELc78ELc76EKPKS1_KPS1_EviT_PT9_S7_lS9_S7_lPT10_S7_li.num_agpr, 0
	.set _ZL37rocblas_syrkx_herkx_restricted_kernelIi19rocblas_complex_numIfELi16ELi32ELi8ELi1ELin1ELb1ELc78ELc76EKPKS1_KPS1_EviT_PT9_S7_lS9_S7_lPT10_S7_li.numbered_sgpr, 20
	.set _ZL37rocblas_syrkx_herkx_restricted_kernelIi19rocblas_complex_numIfELi16ELi32ELi8ELi1ELin1ELb1ELc78ELc76EKPKS1_KPS1_EviT_PT9_S7_lS9_S7_lPT10_S7_li.num_named_barrier, 0
	.set _ZL37rocblas_syrkx_herkx_restricted_kernelIi19rocblas_complex_numIfELi16ELi32ELi8ELi1ELin1ELb1ELc78ELc76EKPKS1_KPS1_EviT_PT9_S7_lS9_S7_lPT10_S7_li.private_seg_size, 0
	.set _ZL37rocblas_syrkx_herkx_restricted_kernelIi19rocblas_complex_numIfELi16ELi32ELi8ELi1ELin1ELb1ELc78ELc76EKPKS1_KPS1_EviT_PT9_S7_lS9_S7_lPT10_S7_li.uses_vcc, 1
	.set _ZL37rocblas_syrkx_herkx_restricted_kernelIi19rocblas_complex_numIfELi16ELi32ELi8ELi1ELin1ELb1ELc78ELc76EKPKS1_KPS1_EviT_PT9_S7_lS9_S7_lPT10_S7_li.uses_flat_scratch, 0
	.set _ZL37rocblas_syrkx_herkx_restricted_kernelIi19rocblas_complex_numIfELi16ELi32ELi8ELi1ELin1ELb1ELc78ELc76EKPKS1_KPS1_EviT_PT9_S7_lS9_S7_lPT10_S7_li.has_dyn_sized_stack, 0
	.set _ZL37rocblas_syrkx_herkx_restricted_kernelIi19rocblas_complex_numIfELi16ELi32ELi8ELi1ELin1ELb1ELc78ELc76EKPKS1_KPS1_EviT_PT9_S7_lS9_S7_lPT10_S7_li.has_recursion, 0
	.set _ZL37rocblas_syrkx_herkx_restricted_kernelIi19rocblas_complex_numIfELi16ELi32ELi8ELi1ELin1ELb1ELc78ELc76EKPKS1_KPS1_EviT_PT9_S7_lS9_S7_lPT10_S7_li.has_indirect_call, 0
	.section	.AMDGPU.csdata,"",@progbits
; Kernel info:
; codeLenInByte = 2040
; TotalNumSgprs: 24
; NumVgprs: 43
; ScratchSize: 0
; MemoryBound: 0
; FloatMode: 240
; IeeeMode: 1
; LDSByteSize: 4096 bytes/workgroup (compile time only)
; SGPRBlocks: 2
; VGPRBlocks: 10
; NumSGPRsForWavesPerEU: 24
; NumVGPRsForWavesPerEU: 43
; Occupancy: 5
; WaveLimiterHint : 1
; COMPUTE_PGM_RSRC2:SCRATCH_EN: 0
; COMPUTE_PGM_RSRC2:USER_SGPR: 6
; COMPUTE_PGM_RSRC2:TRAP_HANDLER: 0
; COMPUTE_PGM_RSRC2:TGID_X_EN: 1
; COMPUTE_PGM_RSRC2:TGID_Y_EN: 1
; COMPUTE_PGM_RSRC2:TGID_Z_EN: 1
; COMPUTE_PGM_RSRC2:TIDIG_COMP_CNT: 1
	.section	.text._ZL37rocblas_syrkx_herkx_restricted_kernelIi19rocblas_complex_numIfELi16ELi32ELi8ELi1ELin1ELb1ELc84ELc85EKPKS1_KPS1_EviT_PT9_S7_lS9_S7_lPT10_S7_li,"axG",@progbits,_ZL37rocblas_syrkx_herkx_restricted_kernelIi19rocblas_complex_numIfELi16ELi32ELi8ELi1ELin1ELb1ELc84ELc85EKPKS1_KPS1_EviT_PT9_S7_lS9_S7_lPT10_S7_li,comdat
	.globl	_ZL37rocblas_syrkx_herkx_restricted_kernelIi19rocblas_complex_numIfELi16ELi32ELi8ELi1ELin1ELb1ELc84ELc85EKPKS1_KPS1_EviT_PT9_S7_lS9_S7_lPT10_S7_li ; -- Begin function _ZL37rocblas_syrkx_herkx_restricted_kernelIi19rocblas_complex_numIfELi16ELi32ELi8ELi1ELin1ELb1ELc84ELc85EKPKS1_KPS1_EviT_PT9_S7_lS9_S7_lPT10_S7_li
	.p2align	8
	.type	_ZL37rocblas_syrkx_herkx_restricted_kernelIi19rocblas_complex_numIfELi16ELi32ELi8ELi1ELin1ELb1ELc84ELc85EKPKS1_KPS1_EviT_PT9_S7_lS9_S7_lPT10_S7_li,@function
_ZL37rocblas_syrkx_herkx_restricted_kernelIi19rocblas_complex_numIfELi16ELi32ELi8ELi1ELin1ELb1ELc84ELc85EKPKS1_KPS1_EviT_PT9_S7_lS9_S7_lPT10_S7_li: ; @_ZL37rocblas_syrkx_herkx_restricted_kernelIi19rocblas_complex_numIfELi16ELi32ELi8ELi1ELin1ELb1ELc84ELc85EKPKS1_KPS1_EviT_PT9_S7_lS9_S7_lPT10_S7_li
; %bb.0:
	s_load_dwordx2 s[10:11], s[4:5], 0x38
	s_load_dwordx2 s[2:3], s[4:5], 0x0
	s_mov_b32 s9, 0
	s_lshl_b64 s[0:1], s[8:9], 3
	s_waitcnt lgkmcnt(0)
	s_add_u32 s10, s10, s0
	s_addc_u32 s11, s11, s1
	s_load_dwordx2 s[10:11], s[10:11], 0x0
	s_lshl_b32 s6, s6, 5
	s_lshl_b32 s7, s7, 5
	s_cmp_lt_i32 s3, 1
	s_cbranch_scc1 .LBB781_3
; %bb.1:
	v_lshl_add_u32 v4, v1, 4, v0
	s_load_dwordx2 s[12:13], s[4:5], 0x8
	s_load_dword s8, s[4:5], 0x10
	s_load_dwordx2 s[14:15], s[4:5], 0x20
	s_load_dword s16, s[4:5], 0x28
	v_and_b32_e32 v7, 31, v4
	v_lshrrev_b32_e32 v6, 3, v4
	v_and_b32_e32 v9, 7, v0
	v_lshrrev_b32_e32 v4, 5, v4
	v_lshlrev_b32_e32 v8, 3, v7
	s_waitcnt lgkmcnt(0)
	s_add_u32 s12, s12, s0
	v_lshl_or_b32 v11, v4, 8, v8
	v_lshlrev_b32_e32 v8, 3, v9
	s_addc_u32 s13, s13, s1
	v_add_u32_e32 v2, s7, v6
	v_mov_b32_e32 v10, 0
	v_lshl_or_b32 v6, v6, 6, v8
	s_add_u32 s0, s14, s0
	v_mov_b32_e32 v5, v10
	v_add_u32_e32 v12, 0x800, v6
	v_add_u32_e32 v6, s6, v7
	s_addc_u32 s1, s15, s1
	v_mad_i64_i32 v[4:5], s[14:15], s8, v6, v[4:5]
	s_load_dwordx2 s[12:13], s[12:13], 0x0
	v_mad_i64_i32 v[2:3], s[14:15], s16, v2, v[9:10]
	s_load_dwordx2 s[0:1], s[0:1], 0x0
	v_lshlrev_b64 v[4:5], 3, v[4:5]
	v_mov_b32_e32 v6, 0x800
	v_lshl_add_u32 v14, v1, 6, v6
	s_waitcnt lgkmcnt(0)
	v_mov_b32_e32 v7, s13
	v_add_co_u32_e32 v6, vcc, s12, v4
	v_lshlrev_b64 v[2:3], 3, v[2:3]
	v_addc_co_u32_e32 v7, vcc, v7, v5, vcc
	v_mov_b32_e32 v4, s1
	v_add_co_u32_e32 v8, vcc, s0, v2
	v_lshlrev_b32_e32 v13, 3, v0
	v_addc_co_u32_e32 v9, vcc, v4, v3, vcc
	v_mov_b32_e32 v15, v10
	v_mov_b32_e32 v16, v10
	;; [unrolled: 1-line block ×7, first 2 shown]
.LBB781_2:                              ; =>This Inner Loop Header: Depth=1
	flat_load_dwordx2 v[2:3], v[6:7]
	v_add_co_u32_e32 v6, vcc, 64, v6
	v_addc_co_u32_e32 v7, vcc, 0, v7, vcc
	s_add_i32 s9, s9, 8
	s_cmp_ge_i32 s9, s3
	s_waitcnt vmcnt(0) lgkmcnt(0)
	ds_write_b64 v11, v[2:3]
	flat_load_dwordx2 v[2:3], v[8:9]
	v_add_co_u32_e32 v8, vcc, 64, v8
	v_addc_co_u32_e32 v9, vcc, 0, v9, vcc
	s_waitcnt vmcnt(0) lgkmcnt(0)
	ds_write_b64 v12, v[2:3]
	s_waitcnt lgkmcnt(0)
	s_barrier
	ds_read_b128 v[22:25], v14
	ds_read_b128 v[26:29], v14 offset:16
	ds_read_b128 v[30:33], v14 offset:32
	;; [unrolled: 1-line block ×3, first 2 shown]
	ds_read2_b64 v[34:37], v13 offset1:16
	s_waitcnt lgkmcnt(0)
	v_mul_f32_e32 v38, v23, v35
	v_mul_f32_e32 v39, v22, v35
	v_fma_f32 v38, v22, v34, -v38
	v_fmac_f32_e32 v39, v23, v34
	v_add_f32_e32 v38, v20, v38
	v_add_f32_e32 v39, v21, v39
	v_mul_f32_e32 v20, v23, v37
	v_mul_f32_e32 v21, v22, v37
	v_fma_f32 v20, v22, v36, -v20
	v_fmac_f32_e32 v21, v23, v36
	v_add_f32_e32 v22, v19, v20
	v_add_f32_e32 v23, v18, v21
	ds_read_b128 v[18:21], v14 offset:1024
	s_waitcnt lgkmcnt(0)
	v_mul_f32_e32 v40, v19, v35
	v_mul_f32_e32 v35, v18, v35
	v_fma_f32 v40, v18, v34, -v40
	v_fmac_f32_e32 v35, v19, v34
	v_add_f32_e32 v34, v17, v40
	v_add_f32_e32 v35, v16, v35
	v_mul_f32_e32 v16, v19, v37
	v_mul_f32_e32 v17, v18, v37
	v_fma_f32 v16, v18, v36, -v16
	v_fmac_f32_e32 v17, v19, v36
	v_add_f32_e32 v19, v15, v16
	v_add_f32_e32 v10, v10, v17
	ds_read2_b64 v[15:18], v13 offset0:32 offset1:48
	s_waitcnt lgkmcnt(0)
	v_mul_f32_e32 v36, v25, v16
	v_fma_f32 v36, v24, v15, -v36
	v_add_f32_e32 v36, v38, v36
	v_mul_f32_e32 v38, v25, v18
	v_mul_f32_e32 v37, v24, v16
	v_fma_f32 v38, v24, v17, -v38
	v_mul_f32_e32 v24, v24, v18
	v_fmac_f32_e32 v24, v25, v17
	v_add_f32_e32 v23, v23, v24
	v_mul_f32_e32 v24, v21, v16
	v_mul_f32_e32 v16, v20, v16
	v_fmac_f32_e32 v16, v21, v15
	v_fmac_f32_e32 v37, v25, v15
	v_fma_f32 v24, v20, v15, -v24
	v_add_f32_e32 v25, v35, v16
	v_mul_f32_e32 v15, v21, v18
	v_mul_f32_e32 v16, v20, v18
	v_fma_f32 v15, v20, v17, -v15
	v_fmac_f32_e32 v16, v21, v17
	v_add_f32_e32 v24, v34, v24
	v_add_f32_e32 v34, v19, v15
	;; [unrolled: 1-line block ×3, first 2 shown]
	ds_read2_b64 v[15:18], v13 offset0:64 offset1:80
	v_add_f32_e32 v37, v39, v37
	v_add_f32_e32 v22, v22, v38
	s_waitcnt lgkmcnt(0)
	v_mul_f32_e32 v19, v27, v16
	v_mul_f32_e32 v20, v26, v16
	v_fma_f32 v19, v26, v15, -v19
	v_fmac_f32_e32 v20, v27, v15
	v_add_f32_e32 v35, v36, v19
	v_add_f32_e32 v36, v37, v20
	v_mul_f32_e32 v19, v27, v18
	v_mul_f32_e32 v20, v26, v18
	v_fma_f32 v19, v26, v17, -v19
	v_fmac_f32_e32 v20, v27, v17
	v_add_f32_e32 v26, v22, v19
	v_add_f32_e32 v23, v23, v20
	ds_read_b128 v[19:22], v14 offset:1040
	s_waitcnt lgkmcnt(0)
	v_mul_f32_e32 v27, v20, v16
	v_mul_f32_e32 v16, v19, v16
	v_fmac_f32_e32 v16, v20, v15
	v_fma_f32 v27, v19, v15, -v27
	v_add_f32_e32 v25, v25, v16
	v_mul_f32_e32 v15, v20, v18
	v_mul_f32_e32 v16, v19, v18
	v_fma_f32 v15, v19, v17, -v15
	v_fmac_f32_e32 v16, v20, v17
	v_add_f32_e32 v19, v34, v15
	v_add_f32_e32 v10, v10, v16
	ds_read2_b64 v[15:18], v13 offset0:96 offset1:112
	v_add_f32_e32 v24, v24, v27
	s_waitcnt lgkmcnt(0)
	v_mul_f32_e32 v20, v29, v16
	v_mul_f32_e32 v34, v29, v18
	v_fma_f32 v20, v28, v15, -v20
	v_mul_f32_e32 v27, v28, v16
	v_fma_f32 v34, v28, v17, -v34
	v_mul_f32_e32 v28, v28, v18
	v_fmac_f32_e32 v28, v29, v17
	v_add_f32_e32 v23, v23, v28
	v_mul_f32_e32 v28, v22, v16
	v_mul_f32_e32 v16, v21, v16
	v_fmac_f32_e32 v16, v22, v15
	v_fmac_f32_e32 v27, v29, v15
	v_fma_f32 v28, v21, v15, -v28
	v_add_f32_e32 v25, v25, v16
	v_mul_f32_e32 v15, v22, v18
	v_mul_f32_e32 v16, v21, v18
	v_fma_f32 v15, v21, v17, -v15
	v_fmac_f32_e32 v16, v22, v17
	v_add_f32_e32 v24, v24, v28
	v_add_f32_e32 v28, v19, v15
	;; [unrolled: 1-line block ×3, first 2 shown]
	ds_read2_b64 v[15:18], v13 offset0:128 offset1:144
	v_add_f32_e32 v20, v35, v20
	v_add_f32_e32 v27, v36, v27
	;; [unrolled: 1-line block ×3, first 2 shown]
	s_waitcnt lgkmcnt(0)
	v_mul_f32_e32 v19, v31, v16
	v_fma_f32 v19, v30, v15, -v19
	v_mul_f32_e32 v21, v30, v16
	v_add_f32_e32 v29, v20, v19
	v_mul_f32_e32 v19, v31, v18
	v_mul_f32_e32 v20, v30, v18
	v_fmac_f32_e32 v21, v31, v15
	v_fma_f32 v19, v30, v17, -v19
	v_fmac_f32_e32 v20, v31, v17
	v_add_f32_e32 v27, v27, v21
	v_add_f32_e32 v26, v26, v19
	;; [unrolled: 1-line block ×3, first 2 shown]
	ds_read_b128 v[19:22], v14 offset:1056
	s_waitcnt lgkmcnt(0)
	v_mul_f32_e32 v30, v20, v16
	v_mul_f32_e32 v16, v19, v16
	v_fmac_f32_e32 v16, v20, v15
	v_fma_f32 v30, v19, v15, -v30
	v_add_f32_e32 v25, v25, v16
	v_mul_f32_e32 v15, v20, v18
	v_mul_f32_e32 v16, v19, v18
	v_fma_f32 v15, v19, v17, -v15
	v_fmac_f32_e32 v16, v20, v17
	v_add_f32_e32 v19, v28, v15
	v_add_f32_e32 v10, v10, v16
	ds_read2_b64 v[15:18], v13 offset0:160 offset1:176
	v_add_f32_e32 v24, v24, v30
	s_waitcnt lgkmcnt(0)
	v_mul_f32_e32 v28, v32, v16
	v_fmac_f32_e32 v28, v33, v15
	v_add_f32_e32 v27, v27, v28
	v_mul_f32_e32 v28, v33, v18
	v_fma_f32 v28, v32, v17, -v28
	v_mul_f32_e32 v20, v33, v16
	v_add_f32_e32 v26, v26, v28
	v_mul_f32_e32 v28, v22, v16
	v_mul_f32_e32 v16, v21, v16
	v_fmac_f32_e32 v16, v22, v15
	v_fma_f32 v20, v32, v15, -v20
	v_fma_f32 v28, v21, v15, -v28
	v_add_f32_e32 v25, v25, v16
	v_mul_f32_e32 v15, v22, v18
	v_mul_f32_e32 v16, v21, v18
	v_add_f32_e32 v20, v29, v20
	v_mul_f32_e32 v29, v32, v18
	v_fma_f32 v15, v21, v17, -v15
	v_fmac_f32_e32 v16, v22, v17
	v_fmac_f32_e32 v29, v33, v17
	v_add_f32_e32 v19, v19, v15
	v_add_f32_e32 v10, v10, v16
	ds_read2_b64 v[15:18], v13 offset0:192 offset1:208
	v_add_f32_e32 v24, v24, v28
	v_add_f32_e32 v23, v23, v29
	s_waitcnt lgkmcnt(0)
	v_mul_f32_e32 v21, v3, v16
	v_fma_f32 v21, v2, v15, -v21
	v_add_f32_e32 v28, v20, v21
	v_mul_f32_e32 v20, v3, v18
	v_mul_f32_e32 v22, v2, v16
	v_fma_f32 v20, v2, v17, -v20
	v_mul_f32_e32 v2, v2, v18
	v_fmac_f32_e32 v22, v3, v15
	v_fmac_f32_e32 v2, v3, v17
	v_add_f32_e32 v29, v27, v22
	v_add_f32_e32 v3, v26, v20
	;; [unrolled: 1-line block ×3, first 2 shown]
	ds_read_b128 v[20:23], v14 offset:1072
	s_waitcnt lgkmcnt(0)
	v_mul_f32_e32 v26, v21, v16
	v_fma_f32 v26, v20, v15, -v26
	v_mul_f32_e32 v16, v20, v16
	v_fmac_f32_e32 v16, v21, v15
	v_add_f32_e32 v15, v24, v26
	v_mul_f32_e32 v24, v21, v18
	v_fma_f32 v24, v20, v17, -v24
	v_add_f32_e32 v16, v25, v16
	v_add_f32_e32 v30, v19, v24
	ds_read2_b64 v[24:27], v13 offset0:224 offset1:240
	v_mul_f32_e32 v18, v20, v18
	v_fmac_f32_e32 v18, v21, v17
	v_add_f32_e32 v10, v10, v18
	s_waitcnt lgkmcnt(0)
	v_mul_f32_e32 v17, v5, v25
	v_fma_f32 v17, v4, v24, -v17
	v_add_f32_e32 v20, v28, v17
	v_mul_f32_e32 v17, v5, v27
	v_mul_f32_e32 v18, v4, v25
	v_fma_f32 v17, v4, v26, -v17
	v_mul_f32_e32 v4, v4, v27
	v_fmac_f32_e32 v18, v5, v24
	v_fmac_f32_e32 v4, v5, v26
	v_add_f32_e32 v21, v29, v18
	v_add_f32_e32 v19, v3, v17
	;; [unrolled: 1-line block ×3, first 2 shown]
	v_mul_f32_e32 v2, v23, v25
	v_mul_f32_e32 v3, v22, v25
	v_fma_f32 v2, v22, v24, -v2
	v_fmac_f32_e32 v3, v23, v24
	v_add_f32_e32 v17, v15, v2
	v_add_f32_e32 v16, v16, v3
	v_mul_f32_e32 v2, v23, v27
	v_mul_f32_e32 v3, v22, v27
	v_fma_f32 v2, v22, v26, -v2
	v_fmac_f32_e32 v3, v23, v26
	v_add_f32_e32 v15, v30, v2
	v_add_f32_e32 v10, v10, v3
	s_barrier
	s_cbranch_scc0 .LBB781_2
	s_branch .LBB781_4
.LBB781_3:
	v_mov_b32_e32 v20, 0
	v_mov_b32_e32 v21, 0
	;; [unrolled: 1-line block ×8, first 2 shown]
.LBB781_4:
	s_load_dword s3, s[4:5], 0x40
	v_add_u32_e32 v5, s7, v1
	s_waitcnt lgkmcnt(0)
	v_mov_b32_e32 v3, s11
	v_add_u32_e32 v0, s6, v0
	v_cmp_gt_i32_e32 vcc, s2, v5
	v_mad_i64_i32 v[1:2], s[0:1], v5, s3, 0
	v_lshlrev_b64 v[1:2], 3, v[1:2]
	v_add_co_u32_e64 v4, s[0:1], s10, v1
	v_addc_co_u32_e64 v6, s[0:1], v3, v2, s[0:1]
	v_cmp_le_i32_e64 s[0:1], v0, v5
	s_and_b64 s[0:1], vcc, s[0:1]
	s_and_saveexec_b64 s[4:5], s[0:1]
	s_cbranch_execz .LBB781_7
; %bb.5:
	v_ashrrev_i32_e32 v1, 31, v0
	v_lshlrev_b64 v[1:2], 3, v[0:1]
	v_add_co_u32_e64 v1, s[0:1], v4, v1
	v_addc_co_u32_e64 v2, s[0:1], v6, v2, s[0:1]
	flat_load_dwordx2 v[7:8], v[1:2]
	v_cmp_eq_u32_e64 s[0:1], v5, v0
	s_waitcnt vmcnt(0) lgkmcnt(0)
	v_sub_f32_e32 v7, v20, v7
	v_sub_f32_e32 v8, v21, v8
	flat_store_dwordx2 v[1:2], v[7:8]
	s_and_b64 exec, exec, s[0:1]
	s_cbranch_execz .LBB781_7
; %bb.6:
	v_mov_b32_e32 v3, 0
	flat_store_dword v[1:2], v3 offset:4
.LBB781_7:
	s_or_b64 exec, exec, s[4:5]
	v_add_u32_e32 v2, 16, v0
	v_cmp_le_i32_e64 s[0:1], v2, v5
	s_and_b64 s[4:5], vcc, s[0:1]
	s_and_saveexec_b64 s[0:1], s[4:5]
	s_cbranch_execz .LBB781_10
; %bb.8:
	v_ashrrev_i32_e32 v3, 31, v2
	v_lshlrev_b64 v[7:8], 3, v[2:3]
	v_add_co_u32_e32 v3, vcc, v4, v7
	v_addc_co_u32_e32 v4, vcc, v6, v8, vcc
	flat_load_dwordx2 v[6:7], v[3:4]
	v_cmp_eq_u32_e32 vcc, v5, v2
	s_waitcnt vmcnt(0) lgkmcnt(0)
	v_sub_f32_e32 v6, v19, v6
	v_sub_f32_e32 v7, v18, v7
	flat_store_dwordx2 v[3:4], v[6:7]
	s_and_b64 exec, exec, vcc
	s_cbranch_execz .LBB781_10
; %bb.9:
	v_mov_b32_e32 v1, 0
	flat_store_dword v[3:4], v1 offset:4
.LBB781_10:
	s_or_b64 exec, exec, s[0:1]
	v_add_u32_e32 v8, 16, v5
	v_mad_i64_i32 v[3:4], s[0:1], v8, s3, 0
	v_mov_b32_e32 v1, s11
	v_cmp_gt_i32_e32 vcc, s2, v8
	v_lshlrev_b64 v[3:4], 3, v[3:4]
	v_add_co_u32_e64 v6, s[0:1], s10, v3
	v_addc_co_u32_e64 v7, s[0:1], v1, v4, s[0:1]
	v_cmp_le_i32_e64 s[0:1], v0, v8
	s_and_b64 s[0:1], vcc, s[0:1]
	s_and_saveexec_b64 s[2:3], s[0:1]
	s_cbranch_execz .LBB781_13
; %bb.11:
	v_ashrrev_i32_e32 v1, 31, v0
	v_lshlrev_b64 v[3:4], 3, v[0:1]
	v_add_co_u32_e64 v3, s[0:1], v6, v3
	v_addc_co_u32_e64 v4, s[0:1], v7, v4, s[0:1]
	flat_load_dwordx2 v[11:12], v[3:4]
	v_cmp_eq_u32_e64 s[0:1], v8, v0
	s_waitcnt vmcnt(0) lgkmcnt(0)
	v_sub_f32_e32 v11, v17, v11
	v_sub_f32_e32 v12, v16, v12
	flat_store_dwordx2 v[3:4], v[11:12]
	s_and_b64 exec, exec, s[0:1]
	s_cbranch_execz .LBB781_13
; %bb.12:
	v_mov_b32_e32 v1, 0
	flat_store_dword v[3:4], v1 offset:4
.LBB781_13:
	s_or_b64 exec, exec, s[2:3]
	v_cmp_le_i32_e64 s[0:1], v2, v8
	s_and_b64 s[0:1], vcc, s[0:1]
	s_and_saveexec_b64 s[2:3], s[0:1]
	s_cbranch_execz .LBB781_16
; %bb.14:
	v_ashrrev_i32_e32 v3, 31, v2
	v_lshlrev_b64 v[1:2], 3, v[2:3]
	v_add_co_u32_e32 v1, vcc, v6, v1
	v_addc_co_u32_e32 v2, vcc, v7, v2, vcc
	flat_load_dwordx2 v[3:4], v[1:2]
	v_cmp_eq_u32_e32 vcc, v5, v0
	s_waitcnt vmcnt(0) lgkmcnt(0)
	v_sub_f32_e32 v3, v15, v3
	v_sub_f32_e32 v4, v10, v4
	flat_store_dwordx2 v[1:2], v[3:4]
	s_and_b64 exec, exec, vcc
	s_cbranch_execz .LBB781_16
; %bb.15:
	v_mov_b32_e32 v0, 0
	flat_store_dword v[1:2], v0 offset:4
.LBB781_16:
	s_endpgm
	.section	.rodata,"a",@progbits
	.p2align	6, 0x0
	.amdhsa_kernel _ZL37rocblas_syrkx_herkx_restricted_kernelIi19rocblas_complex_numIfELi16ELi32ELi8ELi1ELin1ELb1ELc84ELc85EKPKS1_KPS1_EviT_PT9_S7_lS9_S7_lPT10_S7_li
		.amdhsa_group_segment_fixed_size 4096
		.amdhsa_private_segment_fixed_size 0
		.amdhsa_kernarg_size 84
		.amdhsa_user_sgpr_count 6
		.amdhsa_user_sgpr_private_segment_buffer 1
		.amdhsa_user_sgpr_dispatch_ptr 0
		.amdhsa_user_sgpr_queue_ptr 0
		.amdhsa_user_sgpr_kernarg_segment_ptr 1
		.amdhsa_user_sgpr_dispatch_id 0
		.amdhsa_user_sgpr_flat_scratch_init 0
		.amdhsa_user_sgpr_private_segment_size 0
		.amdhsa_uses_dynamic_stack 0
		.amdhsa_system_sgpr_private_segment_wavefront_offset 0
		.amdhsa_system_sgpr_workgroup_id_x 1
		.amdhsa_system_sgpr_workgroup_id_y 1
		.amdhsa_system_sgpr_workgroup_id_z 1
		.amdhsa_system_sgpr_workgroup_info 0
		.amdhsa_system_vgpr_workitem_id 1
		.amdhsa_next_free_vgpr 41
		.amdhsa_next_free_sgpr 17
		.amdhsa_reserve_vcc 1
		.amdhsa_reserve_flat_scratch 0
		.amdhsa_float_round_mode_32 0
		.amdhsa_float_round_mode_16_64 0
		.amdhsa_float_denorm_mode_32 3
		.amdhsa_float_denorm_mode_16_64 3
		.amdhsa_dx10_clamp 1
		.amdhsa_ieee_mode 1
		.amdhsa_fp16_overflow 0
		.amdhsa_exception_fp_ieee_invalid_op 0
		.amdhsa_exception_fp_denorm_src 0
		.amdhsa_exception_fp_ieee_div_zero 0
		.amdhsa_exception_fp_ieee_overflow 0
		.amdhsa_exception_fp_ieee_underflow 0
		.amdhsa_exception_fp_ieee_inexact 0
		.amdhsa_exception_int_div_zero 0
	.end_amdhsa_kernel
	.section	.text._ZL37rocblas_syrkx_herkx_restricted_kernelIi19rocblas_complex_numIfELi16ELi32ELi8ELi1ELin1ELb1ELc84ELc85EKPKS1_KPS1_EviT_PT9_S7_lS9_S7_lPT10_S7_li,"axG",@progbits,_ZL37rocblas_syrkx_herkx_restricted_kernelIi19rocblas_complex_numIfELi16ELi32ELi8ELi1ELin1ELb1ELc84ELc85EKPKS1_KPS1_EviT_PT9_S7_lS9_S7_lPT10_S7_li,comdat
.Lfunc_end781:
	.size	_ZL37rocblas_syrkx_herkx_restricted_kernelIi19rocblas_complex_numIfELi16ELi32ELi8ELi1ELin1ELb1ELc84ELc85EKPKS1_KPS1_EviT_PT9_S7_lS9_S7_lPT10_S7_li, .Lfunc_end781-_ZL37rocblas_syrkx_herkx_restricted_kernelIi19rocblas_complex_numIfELi16ELi32ELi8ELi1ELin1ELb1ELc84ELc85EKPKS1_KPS1_EviT_PT9_S7_lS9_S7_lPT10_S7_li
                                        ; -- End function
	.set _ZL37rocblas_syrkx_herkx_restricted_kernelIi19rocblas_complex_numIfELi16ELi32ELi8ELi1ELin1ELb1ELc84ELc85EKPKS1_KPS1_EviT_PT9_S7_lS9_S7_lPT10_S7_li.num_vgpr, 41
	.set _ZL37rocblas_syrkx_herkx_restricted_kernelIi19rocblas_complex_numIfELi16ELi32ELi8ELi1ELin1ELb1ELc84ELc85EKPKS1_KPS1_EviT_PT9_S7_lS9_S7_lPT10_S7_li.num_agpr, 0
	.set _ZL37rocblas_syrkx_herkx_restricted_kernelIi19rocblas_complex_numIfELi16ELi32ELi8ELi1ELin1ELb1ELc84ELc85EKPKS1_KPS1_EviT_PT9_S7_lS9_S7_lPT10_S7_li.numbered_sgpr, 17
	.set _ZL37rocblas_syrkx_herkx_restricted_kernelIi19rocblas_complex_numIfELi16ELi32ELi8ELi1ELin1ELb1ELc84ELc85EKPKS1_KPS1_EviT_PT9_S7_lS9_S7_lPT10_S7_li.num_named_barrier, 0
	.set _ZL37rocblas_syrkx_herkx_restricted_kernelIi19rocblas_complex_numIfELi16ELi32ELi8ELi1ELin1ELb1ELc84ELc85EKPKS1_KPS1_EviT_PT9_S7_lS9_S7_lPT10_S7_li.private_seg_size, 0
	.set _ZL37rocblas_syrkx_herkx_restricted_kernelIi19rocblas_complex_numIfELi16ELi32ELi8ELi1ELin1ELb1ELc84ELc85EKPKS1_KPS1_EviT_PT9_S7_lS9_S7_lPT10_S7_li.uses_vcc, 1
	.set _ZL37rocblas_syrkx_herkx_restricted_kernelIi19rocblas_complex_numIfELi16ELi32ELi8ELi1ELin1ELb1ELc84ELc85EKPKS1_KPS1_EviT_PT9_S7_lS9_S7_lPT10_S7_li.uses_flat_scratch, 0
	.set _ZL37rocblas_syrkx_herkx_restricted_kernelIi19rocblas_complex_numIfELi16ELi32ELi8ELi1ELin1ELb1ELc84ELc85EKPKS1_KPS1_EviT_PT9_S7_lS9_S7_lPT10_S7_li.has_dyn_sized_stack, 0
	.set _ZL37rocblas_syrkx_herkx_restricted_kernelIi19rocblas_complex_numIfELi16ELi32ELi8ELi1ELin1ELb1ELc84ELc85EKPKS1_KPS1_EviT_PT9_S7_lS9_S7_lPT10_S7_li.has_recursion, 0
	.set _ZL37rocblas_syrkx_herkx_restricted_kernelIi19rocblas_complex_numIfELi16ELi32ELi8ELi1ELin1ELb1ELc84ELc85EKPKS1_KPS1_EviT_PT9_S7_lS9_S7_lPT10_S7_li.has_indirect_call, 0
	.section	.AMDGPU.csdata,"",@progbits
; Kernel info:
; codeLenInByte = 2012
; TotalNumSgprs: 21
; NumVgprs: 41
; ScratchSize: 0
; MemoryBound: 0
; FloatMode: 240
; IeeeMode: 1
; LDSByteSize: 4096 bytes/workgroup (compile time only)
; SGPRBlocks: 2
; VGPRBlocks: 10
; NumSGPRsForWavesPerEU: 21
; NumVGPRsForWavesPerEU: 41
; Occupancy: 5
; WaveLimiterHint : 1
; COMPUTE_PGM_RSRC2:SCRATCH_EN: 0
; COMPUTE_PGM_RSRC2:USER_SGPR: 6
; COMPUTE_PGM_RSRC2:TRAP_HANDLER: 0
; COMPUTE_PGM_RSRC2:TGID_X_EN: 1
; COMPUTE_PGM_RSRC2:TGID_Y_EN: 1
; COMPUTE_PGM_RSRC2:TGID_Z_EN: 1
; COMPUTE_PGM_RSRC2:TIDIG_COMP_CNT: 1
	.section	.text._ZL37rocblas_syrkx_herkx_restricted_kernelIi19rocblas_complex_numIfELi16ELi32ELi8ELi1ELin1ELb1ELc67ELc85EKPKS1_KPS1_EviT_PT9_S7_lS9_S7_lPT10_S7_li,"axG",@progbits,_ZL37rocblas_syrkx_herkx_restricted_kernelIi19rocblas_complex_numIfELi16ELi32ELi8ELi1ELin1ELb1ELc67ELc85EKPKS1_KPS1_EviT_PT9_S7_lS9_S7_lPT10_S7_li,comdat
	.globl	_ZL37rocblas_syrkx_herkx_restricted_kernelIi19rocblas_complex_numIfELi16ELi32ELi8ELi1ELin1ELb1ELc67ELc85EKPKS1_KPS1_EviT_PT9_S7_lS9_S7_lPT10_S7_li ; -- Begin function _ZL37rocblas_syrkx_herkx_restricted_kernelIi19rocblas_complex_numIfELi16ELi32ELi8ELi1ELin1ELb1ELc67ELc85EKPKS1_KPS1_EviT_PT9_S7_lS9_S7_lPT10_S7_li
	.p2align	8
	.type	_ZL37rocblas_syrkx_herkx_restricted_kernelIi19rocblas_complex_numIfELi16ELi32ELi8ELi1ELin1ELb1ELc67ELc85EKPKS1_KPS1_EviT_PT9_S7_lS9_S7_lPT10_S7_li,@function
_ZL37rocblas_syrkx_herkx_restricted_kernelIi19rocblas_complex_numIfELi16ELi32ELi8ELi1ELin1ELb1ELc67ELc85EKPKS1_KPS1_EviT_PT9_S7_lS9_S7_lPT10_S7_li: ; @_ZL37rocblas_syrkx_herkx_restricted_kernelIi19rocblas_complex_numIfELi16ELi32ELi8ELi1ELin1ELb1ELc67ELc85EKPKS1_KPS1_EviT_PT9_S7_lS9_S7_lPT10_S7_li
; %bb.0:
	s_load_dwordx2 s[10:11], s[4:5], 0x38
	s_load_dwordx2 s[2:3], s[4:5], 0x0
	s_mov_b32 s9, 0
	s_lshl_b64 s[0:1], s[8:9], 3
	s_waitcnt lgkmcnt(0)
	s_add_u32 s10, s10, s0
	s_addc_u32 s11, s11, s1
	s_load_dwordx2 s[10:11], s[10:11], 0x0
	s_lshl_b32 s6, s6, 5
	s_lshl_b32 s7, s7, 5
	s_cmp_lt_i32 s3, 1
	s_cbranch_scc1 .LBB782_3
; %bb.1:
	v_lshl_add_u32 v4, v1, 4, v0
	s_load_dwordx2 s[12:13], s[4:5], 0x8
	s_load_dword s8, s[4:5], 0x10
	s_load_dwordx2 s[14:15], s[4:5], 0x20
	s_load_dword s16, s[4:5], 0x28
	v_and_b32_e32 v7, 31, v4
	v_lshrrev_b32_e32 v6, 3, v4
	v_and_b32_e32 v9, 7, v0
	v_lshrrev_b32_e32 v4, 5, v4
	v_lshlrev_b32_e32 v8, 3, v7
	s_waitcnt lgkmcnt(0)
	s_add_u32 s12, s12, s0
	v_lshl_or_b32 v11, v4, 8, v8
	v_lshlrev_b32_e32 v8, 3, v9
	s_addc_u32 s13, s13, s1
	v_add_u32_e32 v2, s7, v6
	v_mov_b32_e32 v10, 0
	v_lshl_or_b32 v6, v6, 6, v8
	s_add_u32 s0, s14, s0
	v_mov_b32_e32 v5, v10
	v_add_u32_e32 v12, 0x800, v6
	v_add_u32_e32 v6, s6, v7
	s_addc_u32 s1, s15, s1
	v_mad_i64_i32 v[4:5], s[14:15], s8, v6, v[4:5]
	s_load_dwordx2 s[12:13], s[12:13], 0x0
	v_mad_i64_i32 v[2:3], s[14:15], s16, v2, v[9:10]
	s_load_dwordx2 s[0:1], s[0:1], 0x0
	v_lshlrev_b64 v[4:5], 3, v[4:5]
	v_mov_b32_e32 v6, 0x800
	v_lshl_add_u32 v14, v1, 6, v6
	s_waitcnt lgkmcnt(0)
	v_mov_b32_e32 v7, s13
	v_add_co_u32_e32 v6, vcc, s12, v4
	v_lshlrev_b64 v[2:3], 3, v[2:3]
	v_addc_co_u32_e32 v7, vcc, v7, v5, vcc
	v_mov_b32_e32 v4, s1
	v_add_co_u32_e32 v8, vcc, s0, v2
	v_lshlrev_b32_e32 v13, 3, v0
	v_addc_co_u32_e32 v9, vcc, v4, v3, vcc
	v_mov_b32_e32 v15, v10
	v_mov_b32_e32 v16, v10
	v_mov_b32_e32 v17, v10
	v_mov_b32_e32 v18, v10
	v_mov_b32_e32 v19, v10
	v_mov_b32_e32 v21, v10
	v_mov_b32_e32 v20, v10
.LBB782_2:                              ; =>This Inner Loop Header: Depth=1
	flat_load_dwordx2 v[2:3], v[6:7]
	v_add_co_u32_e32 v6, vcc, 64, v6
	v_addc_co_u32_e32 v7, vcc, 0, v7, vcc
	s_add_i32 s9, s9, 8
	s_cmp_ge_i32 s9, s3
	s_waitcnt vmcnt(0) lgkmcnt(0)
	v_xor_b32_e32 v3, 0x80000000, v3
	ds_write_b64 v11, v[2:3]
	flat_load_dwordx2 v[2:3], v[8:9]
	v_add_co_u32_e32 v8, vcc, 64, v8
	v_addc_co_u32_e32 v9, vcc, 0, v9, vcc
	s_waitcnt vmcnt(0) lgkmcnt(0)
	ds_write_b64 v12, v[2:3]
	s_waitcnt lgkmcnt(0)
	s_barrier
	ds_read_b128 v[22:25], v14
	ds_read_b128 v[26:29], v14 offset:16
	ds_read_b128 v[30:33], v14 offset:32
	;; [unrolled: 1-line block ×3, first 2 shown]
	ds_read2_b64 v[34:37], v13 offset1:16
	s_waitcnt lgkmcnt(0)
	v_mul_f32_e32 v38, v23, v35
	v_mul_f32_e32 v39, v22, v35
	v_fma_f32 v38, v22, v34, -v38
	v_fmac_f32_e32 v39, v23, v34
	v_add_f32_e32 v38, v20, v38
	v_add_f32_e32 v39, v21, v39
	v_mul_f32_e32 v20, v23, v37
	v_mul_f32_e32 v21, v22, v37
	v_fma_f32 v20, v22, v36, -v20
	v_fmac_f32_e32 v21, v23, v36
	v_add_f32_e32 v22, v19, v20
	v_add_f32_e32 v23, v18, v21
	ds_read_b128 v[18:21], v14 offset:1024
	s_waitcnt lgkmcnt(0)
	v_mul_f32_e32 v40, v19, v35
	v_mul_f32_e32 v35, v18, v35
	v_fma_f32 v40, v18, v34, -v40
	v_fmac_f32_e32 v35, v19, v34
	v_add_f32_e32 v34, v17, v40
	v_add_f32_e32 v35, v16, v35
	v_mul_f32_e32 v16, v19, v37
	v_mul_f32_e32 v17, v18, v37
	v_fma_f32 v16, v18, v36, -v16
	v_fmac_f32_e32 v17, v19, v36
	v_add_f32_e32 v19, v15, v16
	v_add_f32_e32 v10, v10, v17
	ds_read2_b64 v[15:18], v13 offset0:32 offset1:48
	s_waitcnt lgkmcnt(0)
	v_mul_f32_e32 v36, v25, v16
	v_fma_f32 v36, v24, v15, -v36
	v_add_f32_e32 v36, v38, v36
	v_mul_f32_e32 v38, v25, v18
	v_mul_f32_e32 v37, v24, v16
	v_fma_f32 v38, v24, v17, -v38
	v_mul_f32_e32 v24, v24, v18
	v_fmac_f32_e32 v24, v25, v17
	v_add_f32_e32 v23, v23, v24
	v_mul_f32_e32 v24, v21, v16
	v_mul_f32_e32 v16, v20, v16
	v_fmac_f32_e32 v16, v21, v15
	v_fmac_f32_e32 v37, v25, v15
	v_fma_f32 v24, v20, v15, -v24
	v_add_f32_e32 v25, v35, v16
	v_mul_f32_e32 v15, v21, v18
	v_mul_f32_e32 v16, v20, v18
	v_fma_f32 v15, v20, v17, -v15
	v_fmac_f32_e32 v16, v21, v17
	v_add_f32_e32 v24, v34, v24
	v_add_f32_e32 v34, v19, v15
	;; [unrolled: 1-line block ×3, first 2 shown]
	ds_read2_b64 v[15:18], v13 offset0:64 offset1:80
	v_add_f32_e32 v37, v39, v37
	v_add_f32_e32 v22, v22, v38
	s_waitcnt lgkmcnt(0)
	v_mul_f32_e32 v19, v27, v16
	v_mul_f32_e32 v20, v26, v16
	v_fma_f32 v19, v26, v15, -v19
	v_fmac_f32_e32 v20, v27, v15
	v_add_f32_e32 v35, v36, v19
	v_add_f32_e32 v36, v37, v20
	v_mul_f32_e32 v19, v27, v18
	v_mul_f32_e32 v20, v26, v18
	v_fma_f32 v19, v26, v17, -v19
	v_fmac_f32_e32 v20, v27, v17
	v_add_f32_e32 v26, v22, v19
	v_add_f32_e32 v23, v23, v20
	ds_read_b128 v[19:22], v14 offset:1040
	s_waitcnt lgkmcnt(0)
	v_mul_f32_e32 v27, v20, v16
	v_mul_f32_e32 v16, v19, v16
	v_fmac_f32_e32 v16, v20, v15
	v_fma_f32 v27, v19, v15, -v27
	v_add_f32_e32 v25, v25, v16
	v_mul_f32_e32 v15, v20, v18
	v_mul_f32_e32 v16, v19, v18
	v_fma_f32 v15, v19, v17, -v15
	v_fmac_f32_e32 v16, v20, v17
	v_add_f32_e32 v19, v34, v15
	v_add_f32_e32 v10, v10, v16
	ds_read2_b64 v[15:18], v13 offset0:96 offset1:112
	v_add_f32_e32 v24, v24, v27
	s_waitcnt lgkmcnt(0)
	v_mul_f32_e32 v20, v29, v16
	v_mul_f32_e32 v34, v29, v18
	v_fma_f32 v20, v28, v15, -v20
	v_mul_f32_e32 v27, v28, v16
	v_fma_f32 v34, v28, v17, -v34
	v_mul_f32_e32 v28, v28, v18
	v_fmac_f32_e32 v28, v29, v17
	v_add_f32_e32 v23, v23, v28
	v_mul_f32_e32 v28, v22, v16
	v_mul_f32_e32 v16, v21, v16
	v_fmac_f32_e32 v16, v22, v15
	v_fmac_f32_e32 v27, v29, v15
	v_fma_f32 v28, v21, v15, -v28
	v_add_f32_e32 v25, v25, v16
	v_mul_f32_e32 v15, v22, v18
	v_mul_f32_e32 v16, v21, v18
	v_fma_f32 v15, v21, v17, -v15
	v_fmac_f32_e32 v16, v22, v17
	v_add_f32_e32 v24, v24, v28
	v_add_f32_e32 v28, v19, v15
	;; [unrolled: 1-line block ×3, first 2 shown]
	ds_read2_b64 v[15:18], v13 offset0:128 offset1:144
	v_add_f32_e32 v20, v35, v20
	v_add_f32_e32 v27, v36, v27
	;; [unrolled: 1-line block ×3, first 2 shown]
	s_waitcnt lgkmcnt(0)
	v_mul_f32_e32 v19, v31, v16
	v_fma_f32 v19, v30, v15, -v19
	v_mul_f32_e32 v21, v30, v16
	v_add_f32_e32 v29, v20, v19
	v_mul_f32_e32 v19, v31, v18
	v_mul_f32_e32 v20, v30, v18
	v_fmac_f32_e32 v21, v31, v15
	v_fma_f32 v19, v30, v17, -v19
	v_fmac_f32_e32 v20, v31, v17
	v_add_f32_e32 v27, v27, v21
	v_add_f32_e32 v26, v26, v19
	;; [unrolled: 1-line block ×3, first 2 shown]
	ds_read_b128 v[19:22], v14 offset:1056
	s_waitcnt lgkmcnt(0)
	v_mul_f32_e32 v30, v20, v16
	v_mul_f32_e32 v16, v19, v16
	v_fmac_f32_e32 v16, v20, v15
	v_fma_f32 v30, v19, v15, -v30
	v_add_f32_e32 v25, v25, v16
	v_mul_f32_e32 v15, v20, v18
	v_mul_f32_e32 v16, v19, v18
	v_fma_f32 v15, v19, v17, -v15
	v_fmac_f32_e32 v16, v20, v17
	v_add_f32_e32 v19, v28, v15
	v_add_f32_e32 v10, v10, v16
	ds_read2_b64 v[15:18], v13 offset0:160 offset1:176
	v_add_f32_e32 v24, v24, v30
	s_waitcnt lgkmcnt(0)
	v_mul_f32_e32 v28, v32, v16
	v_fmac_f32_e32 v28, v33, v15
	v_add_f32_e32 v27, v27, v28
	v_mul_f32_e32 v28, v33, v18
	v_fma_f32 v28, v32, v17, -v28
	v_mul_f32_e32 v20, v33, v16
	v_add_f32_e32 v26, v26, v28
	v_mul_f32_e32 v28, v22, v16
	v_mul_f32_e32 v16, v21, v16
	v_fmac_f32_e32 v16, v22, v15
	v_fma_f32 v20, v32, v15, -v20
	v_fma_f32 v28, v21, v15, -v28
	v_add_f32_e32 v25, v25, v16
	v_mul_f32_e32 v15, v22, v18
	v_mul_f32_e32 v16, v21, v18
	v_add_f32_e32 v20, v29, v20
	v_mul_f32_e32 v29, v32, v18
	v_fma_f32 v15, v21, v17, -v15
	v_fmac_f32_e32 v16, v22, v17
	v_fmac_f32_e32 v29, v33, v17
	v_add_f32_e32 v19, v19, v15
	v_add_f32_e32 v10, v10, v16
	ds_read2_b64 v[15:18], v13 offset0:192 offset1:208
	v_add_f32_e32 v24, v24, v28
	v_add_f32_e32 v23, v23, v29
	s_waitcnt lgkmcnt(0)
	v_mul_f32_e32 v21, v3, v16
	v_fma_f32 v21, v2, v15, -v21
	v_add_f32_e32 v28, v20, v21
	v_mul_f32_e32 v20, v3, v18
	v_mul_f32_e32 v22, v2, v16
	v_fma_f32 v20, v2, v17, -v20
	v_mul_f32_e32 v2, v2, v18
	v_fmac_f32_e32 v22, v3, v15
	v_fmac_f32_e32 v2, v3, v17
	v_add_f32_e32 v29, v27, v22
	v_add_f32_e32 v3, v26, v20
	;; [unrolled: 1-line block ×3, first 2 shown]
	ds_read_b128 v[20:23], v14 offset:1072
	s_waitcnt lgkmcnt(0)
	v_mul_f32_e32 v26, v21, v16
	v_fma_f32 v26, v20, v15, -v26
	v_mul_f32_e32 v16, v20, v16
	v_fmac_f32_e32 v16, v21, v15
	v_add_f32_e32 v15, v24, v26
	v_mul_f32_e32 v24, v21, v18
	v_fma_f32 v24, v20, v17, -v24
	v_add_f32_e32 v16, v25, v16
	v_add_f32_e32 v30, v19, v24
	ds_read2_b64 v[24:27], v13 offset0:224 offset1:240
	v_mul_f32_e32 v18, v20, v18
	v_fmac_f32_e32 v18, v21, v17
	v_add_f32_e32 v10, v10, v18
	s_waitcnt lgkmcnt(0)
	v_mul_f32_e32 v17, v5, v25
	v_fma_f32 v17, v4, v24, -v17
	v_add_f32_e32 v20, v28, v17
	v_mul_f32_e32 v17, v5, v27
	v_mul_f32_e32 v18, v4, v25
	v_fma_f32 v17, v4, v26, -v17
	v_mul_f32_e32 v4, v4, v27
	v_fmac_f32_e32 v18, v5, v24
	v_fmac_f32_e32 v4, v5, v26
	v_add_f32_e32 v21, v29, v18
	v_add_f32_e32 v19, v3, v17
	;; [unrolled: 1-line block ×3, first 2 shown]
	v_mul_f32_e32 v2, v23, v25
	v_mul_f32_e32 v3, v22, v25
	v_fma_f32 v2, v22, v24, -v2
	v_fmac_f32_e32 v3, v23, v24
	v_add_f32_e32 v17, v15, v2
	v_add_f32_e32 v16, v16, v3
	v_mul_f32_e32 v2, v23, v27
	v_mul_f32_e32 v3, v22, v27
	v_fma_f32 v2, v22, v26, -v2
	v_fmac_f32_e32 v3, v23, v26
	v_add_f32_e32 v15, v30, v2
	v_add_f32_e32 v10, v10, v3
	s_barrier
	s_cbranch_scc0 .LBB782_2
	s_branch .LBB782_4
.LBB782_3:
	v_mov_b32_e32 v20, 0
	v_mov_b32_e32 v21, 0
	;; [unrolled: 1-line block ×8, first 2 shown]
.LBB782_4:
	s_load_dword s3, s[4:5], 0x40
	v_add_u32_e32 v5, s7, v1
	s_waitcnt lgkmcnt(0)
	v_mov_b32_e32 v3, s11
	v_add_u32_e32 v0, s6, v0
	v_cmp_gt_i32_e32 vcc, s2, v5
	v_mad_i64_i32 v[1:2], s[0:1], v5, s3, 0
	v_lshlrev_b64 v[1:2], 3, v[1:2]
	v_add_co_u32_e64 v4, s[0:1], s10, v1
	v_addc_co_u32_e64 v6, s[0:1], v3, v2, s[0:1]
	v_cmp_le_i32_e64 s[0:1], v0, v5
	s_and_b64 s[0:1], vcc, s[0:1]
	s_and_saveexec_b64 s[4:5], s[0:1]
	s_cbranch_execz .LBB782_7
; %bb.5:
	v_ashrrev_i32_e32 v1, 31, v0
	v_lshlrev_b64 v[1:2], 3, v[0:1]
	v_add_co_u32_e64 v1, s[0:1], v4, v1
	v_addc_co_u32_e64 v2, s[0:1], v6, v2, s[0:1]
	flat_load_dwordx2 v[7:8], v[1:2]
	v_cmp_eq_u32_e64 s[0:1], v5, v0
	s_waitcnt vmcnt(0) lgkmcnt(0)
	v_sub_f32_e32 v7, v20, v7
	v_sub_f32_e32 v8, v21, v8
	flat_store_dwordx2 v[1:2], v[7:8]
	s_and_b64 exec, exec, s[0:1]
	s_cbranch_execz .LBB782_7
; %bb.6:
	v_mov_b32_e32 v3, 0
	flat_store_dword v[1:2], v3 offset:4
.LBB782_7:
	s_or_b64 exec, exec, s[4:5]
	v_add_u32_e32 v2, 16, v0
	v_cmp_le_i32_e64 s[0:1], v2, v5
	s_and_b64 s[4:5], vcc, s[0:1]
	s_and_saveexec_b64 s[0:1], s[4:5]
	s_cbranch_execz .LBB782_10
; %bb.8:
	v_ashrrev_i32_e32 v3, 31, v2
	v_lshlrev_b64 v[7:8], 3, v[2:3]
	v_add_co_u32_e32 v3, vcc, v4, v7
	v_addc_co_u32_e32 v4, vcc, v6, v8, vcc
	flat_load_dwordx2 v[6:7], v[3:4]
	v_cmp_eq_u32_e32 vcc, v5, v2
	s_waitcnt vmcnt(0) lgkmcnt(0)
	v_sub_f32_e32 v6, v19, v6
	v_sub_f32_e32 v7, v18, v7
	flat_store_dwordx2 v[3:4], v[6:7]
	s_and_b64 exec, exec, vcc
	s_cbranch_execz .LBB782_10
; %bb.9:
	v_mov_b32_e32 v1, 0
	flat_store_dword v[3:4], v1 offset:4
.LBB782_10:
	s_or_b64 exec, exec, s[0:1]
	v_add_u32_e32 v8, 16, v5
	v_mad_i64_i32 v[3:4], s[0:1], v8, s3, 0
	v_mov_b32_e32 v1, s11
	v_cmp_gt_i32_e32 vcc, s2, v8
	v_lshlrev_b64 v[3:4], 3, v[3:4]
	v_add_co_u32_e64 v6, s[0:1], s10, v3
	v_addc_co_u32_e64 v7, s[0:1], v1, v4, s[0:1]
	v_cmp_le_i32_e64 s[0:1], v0, v8
	s_and_b64 s[0:1], vcc, s[0:1]
	s_and_saveexec_b64 s[2:3], s[0:1]
	s_cbranch_execz .LBB782_13
; %bb.11:
	v_ashrrev_i32_e32 v1, 31, v0
	v_lshlrev_b64 v[3:4], 3, v[0:1]
	v_add_co_u32_e64 v3, s[0:1], v6, v3
	v_addc_co_u32_e64 v4, s[0:1], v7, v4, s[0:1]
	flat_load_dwordx2 v[11:12], v[3:4]
	v_cmp_eq_u32_e64 s[0:1], v8, v0
	s_waitcnt vmcnt(0) lgkmcnt(0)
	v_sub_f32_e32 v11, v17, v11
	v_sub_f32_e32 v12, v16, v12
	flat_store_dwordx2 v[3:4], v[11:12]
	s_and_b64 exec, exec, s[0:1]
	s_cbranch_execz .LBB782_13
; %bb.12:
	v_mov_b32_e32 v1, 0
	flat_store_dword v[3:4], v1 offset:4
.LBB782_13:
	s_or_b64 exec, exec, s[2:3]
	v_cmp_le_i32_e64 s[0:1], v2, v8
	s_and_b64 s[0:1], vcc, s[0:1]
	s_and_saveexec_b64 s[2:3], s[0:1]
	s_cbranch_execz .LBB782_16
; %bb.14:
	v_ashrrev_i32_e32 v3, 31, v2
	v_lshlrev_b64 v[1:2], 3, v[2:3]
	v_add_co_u32_e32 v1, vcc, v6, v1
	v_addc_co_u32_e32 v2, vcc, v7, v2, vcc
	flat_load_dwordx2 v[3:4], v[1:2]
	v_cmp_eq_u32_e32 vcc, v5, v0
	s_waitcnt vmcnt(0) lgkmcnt(0)
	v_sub_f32_e32 v3, v15, v3
	v_sub_f32_e32 v4, v10, v4
	flat_store_dwordx2 v[1:2], v[3:4]
	s_and_b64 exec, exec, vcc
	s_cbranch_execz .LBB782_16
; %bb.15:
	v_mov_b32_e32 v0, 0
	flat_store_dword v[1:2], v0 offset:4
.LBB782_16:
	s_endpgm
	.section	.rodata,"a",@progbits
	.p2align	6, 0x0
	.amdhsa_kernel _ZL37rocblas_syrkx_herkx_restricted_kernelIi19rocblas_complex_numIfELi16ELi32ELi8ELi1ELin1ELb1ELc67ELc85EKPKS1_KPS1_EviT_PT9_S7_lS9_S7_lPT10_S7_li
		.amdhsa_group_segment_fixed_size 4096
		.amdhsa_private_segment_fixed_size 0
		.amdhsa_kernarg_size 84
		.amdhsa_user_sgpr_count 6
		.amdhsa_user_sgpr_private_segment_buffer 1
		.amdhsa_user_sgpr_dispatch_ptr 0
		.amdhsa_user_sgpr_queue_ptr 0
		.amdhsa_user_sgpr_kernarg_segment_ptr 1
		.amdhsa_user_sgpr_dispatch_id 0
		.amdhsa_user_sgpr_flat_scratch_init 0
		.amdhsa_user_sgpr_private_segment_size 0
		.amdhsa_uses_dynamic_stack 0
		.amdhsa_system_sgpr_private_segment_wavefront_offset 0
		.amdhsa_system_sgpr_workgroup_id_x 1
		.amdhsa_system_sgpr_workgroup_id_y 1
		.amdhsa_system_sgpr_workgroup_id_z 1
		.amdhsa_system_sgpr_workgroup_info 0
		.amdhsa_system_vgpr_workitem_id 1
		.amdhsa_next_free_vgpr 41
		.amdhsa_next_free_sgpr 17
		.amdhsa_reserve_vcc 1
		.amdhsa_reserve_flat_scratch 0
		.amdhsa_float_round_mode_32 0
		.amdhsa_float_round_mode_16_64 0
		.amdhsa_float_denorm_mode_32 3
		.amdhsa_float_denorm_mode_16_64 3
		.amdhsa_dx10_clamp 1
		.amdhsa_ieee_mode 1
		.amdhsa_fp16_overflow 0
		.amdhsa_exception_fp_ieee_invalid_op 0
		.amdhsa_exception_fp_denorm_src 0
		.amdhsa_exception_fp_ieee_div_zero 0
		.amdhsa_exception_fp_ieee_overflow 0
		.amdhsa_exception_fp_ieee_underflow 0
		.amdhsa_exception_fp_ieee_inexact 0
		.amdhsa_exception_int_div_zero 0
	.end_amdhsa_kernel
	.section	.text._ZL37rocblas_syrkx_herkx_restricted_kernelIi19rocblas_complex_numIfELi16ELi32ELi8ELi1ELin1ELb1ELc67ELc85EKPKS1_KPS1_EviT_PT9_S7_lS9_S7_lPT10_S7_li,"axG",@progbits,_ZL37rocblas_syrkx_herkx_restricted_kernelIi19rocblas_complex_numIfELi16ELi32ELi8ELi1ELin1ELb1ELc67ELc85EKPKS1_KPS1_EviT_PT9_S7_lS9_S7_lPT10_S7_li,comdat
.Lfunc_end782:
	.size	_ZL37rocblas_syrkx_herkx_restricted_kernelIi19rocblas_complex_numIfELi16ELi32ELi8ELi1ELin1ELb1ELc67ELc85EKPKS1_KPS1_EviT_PT9_S7_lS9_S7_lPT10_S7_li, .Lfunc_end782-_ZL37rocblas_syrkx_herkx_restricted_kernelIi19rocblas_complex_numIfELi16ELi32ELi8ELi1ELin1ELb1ELc67ELc85EKPKS1_KPS1_EviT_PT9_S7_lS9_S7_lPT10_S7_li
                                        ; -- End function
	.set _ZL37rocblas_syrkx_herkx_restricted_kernelIi19rocblas_complex_numIfELi16ELi32ELi8ELi1ELin1ELb1ELc67ELc85EKPKS1_KPS1_EviT_PT9_S7_lS9_S7_lPT10_S7_li.num_vgpr, 41
	.set _ZL37rocblas_syrkx_herkx_restricted_kernelIi19rocblas_complex_numIfELi16ELi32ELi8ELi1ELin1ELb1ELc67ELc85EKPKS1_KPS1_EviT_PT9_S7_lS9_S7_lPT10_S7_li.num_agpr, 0
	.set _ZL37rocblas_syrkx_herkx_restricted_kernelIi19rocblas_complex_numIfELi16ELi32ELi8ELi1ELin1ELb1ELc67ELc85EKPKS1_KPS1_EviT_PT9_S7_lS9_S7_lPT10_S7_li.numbered_sgpr, 17
	.set _ZL37rocblas_syrkx_herkx_restricted_kernelIi19rocblas_complex_numIfELi16ELi32ELi8ELi1ELin1ELb1ELc67ELc85EKPKS1_KPS1_EviT_PT9_S7_lS9_S7_lPT10_S7_li.num_named_barrier, 0
	.set _ZL37rocblas_syrkx_herkx_restricted_kernelIi19rocblas_complex_numIfELi16ELi32ELi8ELi1ELin1ELb1ELc67ELc85EKPKS1_KPS1_EviT_PT9_S7_lS9_S7_lPT10_S7_li.private_seg_size, 0
	.set _ZL37rocblas_syrkx_herkx_restricted_kernelIi19rocblas_complex_numIfELi16ELi32ELi8ELi1ELin1ELb1ELc67ELc85EKPKS1_KPS1_EviT_PT9_S7_lS9_S7_lPT10_S7_li.uses_vcc, 1
	.set _ZL37rocblas_syrkx_herkx_restricted_kernelIi19rocblas_complex_numIfELi16ELi32ELi8ELi1ELin1ELb1ELc67ELc85EKPKS1_KPS1_EviT_PT9_S7_lS9_S7_lPT10_S7_li.uses_flat_scratch, 0
	.set _ZL37rocblas_syrkx_herkx_restricted_kernelIi19rocblas_complex_numIfELi16ELi32ELi8ELi1ELin1ELb1ELc67ELc85EKPKS1_KPS1_EviT_PT9_S7_lS9_S7_lPT10_S7_li.has_dyn_sized_stack, 0
	.set _ZL37rocblas_syrkx_herkx_restricted_kernelIi19rocblas_complex_numIfELi16ELi32ELi8ELi1ELin1ELb1ELc67ELc85EKPKS1_KPS1_EviT_PT9_S7_lS9_S7_lPT10_S7_li.has_recursion, 0
	.set _ZL37rocblas_syrkx_herkx_restricted_kernelIi19rocblas_complex_numIfELi16ELi32ELi8ELi1ELin1ELb1ELc67ELc85EKPKS1_KPS1_EviT_PT9_S7_lS9_S7_lPT10_S7_li.has_indirect_call, 0
	.section	.AMDGPU.csdata,"",@progbits
; Kernel info:
; codeLenInByte = 2020
; TotalNumSgprs: 21
; NumVgprs: 41
; ScratchSize: 0
; MemoryBound: 0
; FloatMode: 240
; IeeeMode: 1
; LDSByteSize: 4096 bytes/workgroup (compile time only)
; SGPRBlocks: 2
; VGPRBlocks: 10
; NumSGPRsForWavesPerEU: 21
; NumVGPRsForWavesPerEU: 41
; Occupancy: 5
; WaveLimiterHint : 1
; COMPUTE_PGM_RSRC2:SCRATCH_EN: 0
; COMPUTE_PGM_RSRC2:USER_SGPR: 6
; COMPUTE_PGM_RSRC2:TRAP_HANDLER: 0
; COMPUTE_PGM_RSRC2:TGID_X_EN: 1
; COMPUTE_PGM_RSRC2:TGID_Y_EN: 1
; COMPUTE_PGM_RSRC2:TGID_Z_EN: 1
; COMPUTE_PGM_RSRC2:TIDIG_COMP_CNT: 1
	.section	.text._ZL37rocblas_syrkx_herkx_restricted_kernelIi19rocblas_complex_numIfELi16ELi32ELi8ELi1ELin1ELb1ELc78ELc85EKPKS1_KPS1_EviT_PT9_S7_lS9_S7_lPT10_S7_li,"axG",@progbits,_ZL37rocblas_syrkx_herkx_restricted_kernelIi19rocblas_complex_numIfELi16ELi32ELi8ELi1ELin1ELb1ELc78ELc85EKPKS1_KPS1_EviT_PT9_S7_lS9_S7_lPT10_S7_li,comdat
	.globl	_ZL37rocblas_syrkx_herkx_restricted_kernelIi19rocblas_complex_numIfELi16ELi32ELi8ELi1ELin1ELb1ELc78ELc85EKPKS1_KPS1_EviT_PT9_S7_lS9_S7_lPT10_S7_li ; -- Begin function _ZL37rocblas_syrkx_herkx_restricted_kernelIi19rocblas_complex_numIfELi16ELi32ELi8ELi1ELin1ELb1ELc78ELc85EKPKS1_KPS1_EviT_PT9_S7_lS9_S7_lPT10_S7_li
	.p2align	8
	.type	_ZL37rocblas_syrkx_herkx_restricted_kernelIi19rocblas_complex_numIfELi16ELi32ELi8ELi1ELin1ELb1ELc78ELc85EKPKS1_KPS1_EviT_PT9_S7_lS9_S7_lPT10_S7_li,@function
_ZL37rocblas_syrkx_herkx_restricted_kernelIi19rocblas_complex_numIfELi16ELi32ELi8ELi1ELin1ELb1ELc78ELc85EKPKS1_KPS1_EviT_PT9_S7_lS9_S7_lPT10_S7_li: ; @_ZL37rocblas_syrkx_herkx_restricted_kernelIi19rocblas_complex_numIfELi16ELi32ELi8ELi1ELin1ELb1ELc78ELc85EKPKS1_KPS1_EviT_PT9_S7_lS9_S7_lPT10_S7_li
; %bb.0:
	s_load_dwordx2 s[10:11], s[4:5], 0x38
	s_load_dwordx2 s[2:3], s[4:5], 0x0
	s_mov_b32 s9, 0
	s_lshl_b64 s[0:1], s[8:9], 3
	s_waitcnt lgkmcnt(0)
	s_add_u32 s10, s10, s0
	s_addc_u32 s11, s11, s1
	s_load_dwordx2 s[10:11], s[10:11], 0x0
	s_lshl_b32 s8, s6, 5
	s_lshl_b32 s12, s7, 5
	s_cmp_lt_i32 s3, 1
	s_cbranch_scc1 .LBB783_3
; %bb.1:
	s_load_dword s6, s[4:5], 0x10
	s_load_dword s14, s[4:5], 0x28
	s_load_dwordx2 s[16:17], s[4:5], 0x20
	s_load_dwordx2 s[18:19], s[4:5], 0x8
	v_lshl_add_u32 v5, v1, 4, v0
	s_waitcnt lgkmcnt(0)
	s_ashr_i32 s7, s6, 31
	s_ashr_i32 s15, s14, 31
	v_lshrrev_b32_e32 v6, 3, v5
	s_add_u32 s18, s18, s0
	s_addc_u32 s19, s19, s1
	s_add_u32 s0, s16, s0
	v_add_u32_e32 v2, s12, v6
	s_addc_u32 s1, s17, s1
	v_and_b32_e32 v4, 7, v0
	v_ashrrev_i32_e32 v3, 31, v2
	s_load_dwordx2 s[16:17], s[0:1], 0x0
	v_mad_i64_i32 v[2:3], s[0:1], s14, v4, v[2:3]
	v_lshlrev_b32_e32 v4, 3, v4
	v_lshrrev_b32_e32 v7, 5, v5
	v_and_b32_e32 v5, 31, v5
	v_lshl_or_b32 v4, v6, 6, v4
	v_add_u32_e32 v11, 0x800, v4
	v_add_u32_e32 v4, s8, v5
	v_lshlrev_b32_e32 v8, 3, v5
	v_ashrrev_i32_e32 v5, 31, v4
	v_mad_i64_i32 v[4:5], s[0:1], s6, v7, v[4:5]
	s_load_dwordx2 s[18:19], s[18:19], 0x0
	v_mov_b32_e32 v6, 0x800
	v_lshlrev_b64 v[4:5], 3, v[4:5]
	v_lshl_or_b32 v10, v7, 8, v8
	v_lshl_add_u32 v13, v1, 6, v6
	s_waitcnt lgkmcnt(0)
	v_mov_b32_e32 v7, s19
	v_add_co_u32_e32 v6, vcc, s18, v4
	v_lshlrev_b64 v[2:3], 3, v[2:3]
	v_addc_co_u32_e32 v7, vcc, v7, v5, vcc
	s_lshl_b64 s[0:1], s[6:7], 6
	v_mov_b32_e32 v4, s17
	v_add_co_u32_e32 v8, vcc, s16, v2
	s_lshl_b64 s[6:7], s[14:15], 6
	v_lshlrev_b32_e32 v12, 3, v0
	v_addc_co_u32_e32 v9, vcc, v4, v3, vcc
	v_mov_b32_e32 v16, 0
	v_mov_b32_e32 v14, s1
	;; [unrolled: 1-line block ×10, first 2 shown]
.LBB783_2:                              ; =>This Inner Loop Header: Depth=1
	flat_load_dwordx2 v[2:3], v[6:7]
	v_add_co_u32_e32 v6, vcc, s0, v6
	v_addc_co_u32_e32 v7, vcc, v7, v14, vcc
	s_add_i32 s9, s9, 8
	s_cmp_ge_i32 s9, s3
	s_waitcnt vmcnt(0) lgkmcnt(0)
	ds_write_b64 v10, v[2:3]
	flat_load_dwordx2 v[2:3], v[8:9]
	v_add_co_u32_e32 v8, vcc, s6, v8
	v_addc_co_u32_e32 v9, vcc, v9, v15, vcc
	s_waitcnt vmcnt(0) lgkmcnt(0)
	v_xor_b32_e32 v3, 0x80000000, v3
	ds_write_b64 v11, v[2:3]
	s_waitcnt lgkmcnt(0)
	s_barrier
	ds_read_b128 v[24:27], v13
	ds_read_b128 v[28:31], v13 offset:16
	ds_read_b128 v[32:35], v13 offset:32
	;; [unrolled: 1-line block ×3, first 2 shown]
	ds_read2_b64 v[36:39], v12 offset1:16
	s_waitcnt lgkmcnt(0)
	v_mul_f32_e32 v40, v25, v37
	v_mul_f32_e32 v41, v24, v37
	v_fma_f32 v40, v24, v36, -v40
	v_fmac_f32_e32 v41, v25, v36
	v_add_f32_e32 v40, v22, v40
	v_add_f32_e32 v41, v23, v41
	v_mul_f32_e32 v22, v25, v39
	v_mul_f32_e32 v23, v24, v39
	v_fma_f32 v22, v24, v38, -v22
	v_fmac_f32_e32 v23, v25, v38
	v_add_f32_e32 v24, v21, v22
	v_add_f32_e32 v25, v20, v23
	ds_read_b128 v[20:23], v13 offset:1024
	s_waitcnt lgkmcnt(0)
	v_mul_f32_e32 v42, v21, v37
	v_mul_f32_e32 v37, v20, v37
	v_fma_f32 v42, v20, v36, -v42
	v_fmac_f32_e32 v37, v21, v36
	v_add_f32_e32 v36, v19, v42
	v_add_f32_e32 v37, v18, v37
	v_mul_f32_e32 v18, v21, v39
	v_mul_f32_e32 v19, v20, v39
	v_fma_f32 v18, v20, v38, -v18
	v_fmac_f32_e32 v19, v21, v38
	v_add_f32_e32 v20, v17, v18
	v_add_f32_e32 v21, v16, v19
	ds_read2_b64 v[16:19], v12 offset0:32 offset1:48
	s_waitcnt lgkmcnt(0)
	v_mul_f32_e32 v38, v27, v17
	v_fma_f32 v38, v26, v16, -v38
	v_add_f32_e32 v38, v40, v38
	v_mul_f32_e32 v40, v27, v19
	v_mul_f32_e32 v39, v26, v17
	v_fma_f32 v40, v26, v18, -v40
	v_mul_f32_e32 v26, v26, v19
	v_fmac_f32_e32 v26, v27, v18
	v_add_f32_e32 v25, v25, v26
	v_mul_f32_e32 v26, v23, v17
	v_mul_f32_e32 v17, v22, v17
	v_fmac_f32_e32 v17, v23, v16
	v_fmac_f32_e32 v39, v27, v16
	v_fma_f32 v26, v22, v16, -v26
	v_add_f32_e32 v27, v37, v17
	v_mul_f32_e32 v16, v23, v19
	v_mul_f32_e32 v17, v22, v19
	v_fma_f32 v16, v22, v18, -v16
	v_fmac_f32_e32 v17, v23, v18
	v_add_f32_e32 v26, v36, v26
	v_add_f32_e32 v36, v20, v16
	v_add_f32_e32 v37, v21, v17
	ds_read2_b64 v[16:19], v12 offset0:64 offset1:80
	v_add_f32_e32 v39, v41, v39
	v_add_f32_e32 v24, v24, v40
	s_waitcnt lgkmcnt(0)
	v_mul_f32_e32 v20, v29, v17
	v_mul_f32_e32 v21, v28, v17
	v_fma_f32 v20, v28, v16, -v20
	v_fmac_f32_e32 v21, v29, v16
	v_add_f32_e32 v38, v38, v20
	v_add_f32_e32 v39, v39, v21
	v_mul_f32_e32 v20, v29, v19
	v_mul_f32_e32 v21, v28, v19
	v_fma_f32 v20, v28, v18, -v20
	v_fmac_f32_e32 v21, v29, v18
	v_add_f32_e32 v24, v24, v20
	v_add_f32_e32 v25, v25, v21
	ds_read_b128 v[20:23], v13 offset:1040
	s_waitcnt lgkmcnt(0)
	v_mul_f32_e32 v28, v21, v17
	v_mul_f32_e32 v17, v20, v17
	v_fmac_f32_e32 v17, v21, v16
	v_fma_f32 v28, v20, v16, -v28
	v_add_f32_e32 v27, v27, v17
	v_mul_f32_e32 v16, v21, v19
	v_mul_f32_e32 v17, v20, v19
	v_fma_f32 v16, v20, v18, -v16
	v_fmac_f32_e32 v17, v21, v18
	v_add_f32_e32 v20, v36, v16
	v_add_f32_e32 v21, v37, v17
	ds_read2_b64 v[16:19], v12 offset0:96 offset1:112
	v_add_f32_e32 v26, v26, v28
	s_waitcnt lgkmcnt(0)
	v_mul_f32_e32 v28, v31, v17
	v_mul_f32_e32 v36, v31, v19
	v_fma_f32 v28, v30, v16, -v28
	v_mul_f32_e32 v29, v30, v17
	v_fma_f32 v36, v30, v18, -v36
	v_mul_f32_e32 v30, v30, v19
	v_fmac_f32_e32 v30, v31, v18
	v_add_f32_e32 v25, v25, v30
	v_mul_f32_e32 v30, v23, v17
	v_mul_f32_e32 v17, v22, v17
	v_fmac_f32_e32 v17, v23, v16
	v_fmac_f32_e32 v29, v31, v16
	v_fma_f32 v30, v22, v16, -v30
	v_add_f32_e32 v27, v27, v17
	v_mul_f32_e32 v16, v23, v19
	v_mul_f32_e32 v17, v22, v19
	v_fma_f32 v16, v22, v18, -v16
	v_fmac_f32_e32 v17, v23, v18
	v_add_f32_e32 v26, v26, v30
	v_add_f32_e32 v30, v20, v16
	;; [unrolled: 1-line block ×3, first 2 shown]
	ds_read2_b64 v[16:19], v12 offset0:128 offset1:144
	v_add_f32_e32 v28, v38, v28
	v_add_f32_e32 v29, v39, v29
	v_add_f32_e32 v24, v24, v36
	s_waitcnt lgkmcnt(0)
	v_mul_f32_e32 v20, v33, v17
	v_mul_f32_e32 v21, v32, v17
	v_fma_f32 v20, v32, v16, -v20
	v_fmac_f32_e32 v21, v33, v16
	v_add_f32_e32 v28, v28, v20
	v_add_f32_e32 v29, v29, v21
	v_mul_f32_e32 v20, v33, v19
	v_mul_f32_e32 v21, v32, v19
	v_fma_f32 v20, v32, v18, -v20
	v_fmac_f32_e32 v21, v33, v18
	v_add_f32_e32 v24, v24, v20
	v_add_f32_e32 v25, v25, v21
	ds_read_b128 v[20:23], v13 offset:1056
	s_waitcnt lgkmcnt(0)
	v_mul_f32_e32 v32, v21, v17
	v_mul_f32_e32 v17, v20, v17
	v_fmac_f32_e32 v17, v21, v16
	v_fma_f32 v32, v20, v16, -v32
	v_add_f32_e32 v27, v27, v17
	v_mul_f32_e32 v16, v21, v19
	v_mul_f32_e32 v17, v20, v19
	v_fma_f32 v16, v20, v18, -v16
	v_fmac_f32_e32 v17, v21, v18
	v_add_f32_e32 v20, v30, v16
	v_add_f32_e32 v21, v31, v17
	ds_read2_b64 v[16:19], v12 offset0:160 offset1:176
	v_add_f32_e32 v26, v26, v32
	s_waitcnt lgkmcnt(0)
	v_mul_f32_e32 v30, v35, v17
	v_fma_f32 v30, v34, v16, -v30
	v_add_f32_e32 v28, v28, v30
	v_mul_f32_e32 v30, v35, v19
	v_fma_f32 v30, v34, v18, -v30
	v_mul_f32_e32 v31, v34, v17
	v_add_f32_e32 v24, v24, v30
	v_mul_f32_e32 v30, v23, v17
	v_mul_f32_e32 v17, v22, v17
	v_fmac_f32_e32 v17, v23, v16
	v_fmac_f32_e32 v31, v35, v16
	v_fma_f32 v30, v22, v16, -v30
	v_add_f32_e32 v27, v27, v17
	v_mul_f32_e32 v16, v23, v19
	v_mul_f32_e32 v17, v22, v19
	v_add_f32_e32 v29, v29, v31
	v_mul_f32_e32 v31, v34, v19
	v_fma_f32 v16, v22, v18, -v16
	v_fmac_f32_e32 v17, v23, v18
	v_fmac_f32_e32 v31, v35, v18
	v_add_f32_e32 v20, v20, v16
	v_add_f32_e32 v21, v21, v17
	ds_read2_b64 v[16:19], v12 offset0:192 offset1:208
	v_add_f32_e32 v26, v26, v30
	v_add_f32_e32 v25, v25, v31
	s_waitcnt lgkmcnt(0)
	v_mul_f32_e32 v22, v3, v17
	v_fma_f32 v22, v2, v16, -v22
	v_add_f32_e32 v30, v28, v22
	v_mul_f32_e32 v22, v3, v19
	v_mul_f32_e32 v23, v2, v17
	v_fma_f32 v22, v2, v18, -v22
	v_mul_f32_e32 v2, v2, v19
	v_fmac_f32_e32 v23, v3, v16
	v_fmac_f32_e32 v2, v3, v18
	v_add_f32_e32 v31, v29, v23
	v_add_f32_e32 v3, v24, v22
	;; [unrolled: 1-line block ×3, first 2 shown]
	ds_read_b128 v[22:25], v13 offset:1072
	s_waitcnt lgkmcnt(0)
	v_mul_f32_e32 v28, v23, v17
	v_fma_f32 v28, v22, v16, -v28
	v_mul_f32_e32 v17, v22, v17
	v_fmac_f32_e32 v17, v23, v16
	v_add_f32_e32 v16, v26, v28
	v_mul_f32_e32 v26, v23, v19
	v_fma_f32 v26, v22, v18, -v26
	v_add_f32_e32 v17, v27, v17
	v_add_f32_e32 v32, v20, v26
	ds_read2_b64 v[26:29], v12 offset0:224 offset1:240
	v_mul_f32_e32 v19, v22, v19
	v_fmac_f32_e32 v19, v23, v18
	v_add_f32_e32 v33, v21, v19
	s_waitcnt lgkmcnt(0)
	v_mul_f32_e32 v18, v5, v27
	v_fma_f32 v18, v4, v26, -v18
	v_add_f32_e32 v22, v30, v18
	v_mul_f32_e32 v18, v5, v29
	v_mul_f32_e32 v19, v4, v27
	v_fma_f32 v18, v4, v28, -v18
	v_mul_f32_e32 v4, v4, v29
	v_fmac_f32_e32 v4, v5, v28
	v_add_f32_e32 v21, v3, v18
	v_add_f32_e32 v20, v2, v4
	v_mul_f32_e32 v2, v25, v27
	v_mul_f32_e32 v3, v24, v27
	v_fmac_f32_e32 v19, v5, v26
	v_fma_f32 v2, v24, v26, -v2
	v_fmac_f32_e32 v3, v25, v26
	v_add_f32_e32 v23, v31, v19
	v_add_f32_e32 v19, v16, v2
	;; [unrolled: 1-line block ×3, first 2 shown]
	v_mul_f32_e32 v2, v25, v29
	v_mul_f32_e32 v3, v24, v29
	v_fma_f32 v2, v24, v28, -v2
	v_fmac_f32_e32 v3, v25, v28
	v_add_f32_e32 v17, v32, v2
	v_add_f32_e32 v16, v33, v3
	s_barrier
	s_cbranch_scc0 .LBB783_2
	s_branch .LBB783_4
.LBB783_3:
	v_mov_b32_e32 v22, 0
	v_mov_b32_e32 v23, 0
	;; [unrolled: 1-line block ×8, first 2 shown]
.LBB783_4:
	s_load_dword s3, s[4:5], 0x40
	v_add_u32_e32 v5, s12, v1
	s_waitcnt lgkmcnt(0)
	v_mov_b32_e32 v3, s11
	v_add_u32_e32 v0, s8, v0
	v_cmp_gt_i32_e32 vcc, s2, v5
	v_mad_i64_i32 v[1:2], s[0:1], v5, s3, 0
	v_lshlrev_b64 v[1:2], 3, v[1:2]
	v_add_co_u32_e64 v4, s[0:1], s10, v1
	v_addc_co_u32_e64 v6, s[0:1], v3, v2, s[0:1]
	v_cmp_le_i32_e64 s[0:1], v0, v5
	s_and_b64 s[0:1], vcc, s[0:1]
	s_and_saveexec_b64 s[4:5], s[0:1]
	s_cbranch_execz .LBB783_7
; %bb.5:
	v_ashrrev_i32_e32 v1, 31, v0
	v_lshlrev_b64 v[1:2], 3, v[0:1]
	v_add_co_u32_e64 v1, s[0:1], v4, v1
	v_addc_co_u32_e64 v2, s[0:1], v6, v2, s[0:1]
	flat_load_dwordx2 v[7:8], v[1:2]
	v_cmp_eq_u32_e64 s[0:1], v5, v0
	s_waitcnt vmcnt(0) lgkmcnt(0)
	v_sub_f32_e32 v7, v22, v7
	v_sub_f32_e32 v8, v23, v8
	flat_store_dwordx2 v[1:2], v[7:8]
	s_and_b64 exec, exec, s[0:1]
	s_cbranch_execz .LBB783_7
; %bb.6:
	v_mov_b32_e32 v3, 0
	flat_store_dword v[1:2], v3 offset:4
.LBB783_7:
	s_or_b64 exec, exec, s[4:5]
	v_add_u32_e32 v2, 16, v0
	v_cmp_le_i32_e64 s[0:1], v2, v5
	s_and_b64 s[4:5], vcc, s[0:1]
	s_and_saveexec_b64 s[0:1], s[4:5]
	s_cbranch_execz .LBB783_10
; %bb.8:
	v_ashrrev_i32_e32 v3, 31, v2
	v_lshlrev_b64 v[7:8], 3, v[2:3]
	v_add_co_u32_e32 v3, vcc, v4, v7
	v_addc_co_u32_e32 v4, vcc, v6, v8, vcc
	flat_load_dwordx2 v[6:7], v[3:4]
	v_cmp_eq_u32_e32 vcc, v5, v2
	s_waitcnt vmcnt(0) lgkmcnt(0)
	v_sub_f32_e32 v6, v21, v6
	v_sub_f32_e32 v7, v20, v7
	flat_store_dwordx2 v[3:4], v[6:7]
	s_and_b64 exec, exec, vcc
	s_cbranch_execz .LBB783_10
; %bb.9:
	v_mov_b32_e32 v1, 0
	flat_store_dword v[3:4], v1 offset:4
.LBB783_10:
	s_or_b64 exec, exec, s[0:1]
	v_add_u32_e32 v8, 16, v5
	v_mad_i64_i32 v[3:4], s[0:1], v8, s3, 0
	v_mov_b32_e32 v1, s11
	v_cmp_gt_i32_e32 vcc, s2, v8
	v_lshlrev_b64 v[3:4], 3, v[3:4]
	v_add_co_u32_e64 v6, s[0:1], s10, v3
	v_addc_co_u32_e64 v7, s[0:1], v1, v4, s[0:1]
	v_cmp_le_i32_e64 s[0:1], v0, v8
	s_and_b64 s[0:1], vcc, s[0:1]
	s_and_saveexec_b64 s[2:3], s[0:1]
	s_cbranch_execz .LBB783_13
; %bb.11:
	v_ashrrev_i32_e32 v1, 31, v0
	v_lshlrev_b64 v[3:4], 3, v[0:1]
	v_add_co_u32_e64 v3, s[0:1], v6, v3
	v_addc_co_u32_e64 v4, s[0:1], v7, v4, s[0:1]
	flat_load_dwordx2 v[9:10], v[3:4]
	v_cmp_eq_u32_e64 s[0:1], v8, v0
	s_waitcnt vmcnt(0) lgkmcnt(0)
	v_sub_f32_e32 v9, v19, v9
	v_sub_f32_e32 v10, v18, v10
	flat_store_dwordx2 v[3:4], v[9:10]
	s_and_b64 exec, exec, s[0:1]
	s_cbranch_execz .LBB783_13
; %bb.12:
	v_mov_b32_e32 v1, 0
	flat_store_dword v[3:4], v1 offset:4
.LBB783_13:
	s_or_b64 exec, exec, s[2:3]
	v_cmp_le_i32_e64 s[0:1], v2, v8
	s_and_b64 s[0:1], vcc, s[0:1]
	s_and_saveexec_b64 s[2:3], s[0:1]
	s_cbranch_execz .LBB783_16
; %bb.14:
	v_ashrrev_i32_e32 v3, 31, v2
	v_lshlrev_b64 v[1:2], 3, v[2:3]
	v_add_co_u32_e32 v1, vcc, v6, v1
	v_addc_co_u32_e32 v2, vcc, v7, v2, vcc
	flat_load_dwordx2 v[3:4], v[1:2]
	v_cmp_eq_u32_e32 vcc, v5, v0
	s_waitcnt vmcnt(0) lgkmcnt(0)
	v_sub_f32_e32 v3, v17, v3
	v_sub_f32_e32 v4, v16, v4
	flat_store_dwordx2 v[1:2], v[3:4]
	s_and_b64 exec, exec, vcc
	s_cbranch_execz .LBB783_16
; %bb.15:
	v_mov_b32_e32 v0, 0
	flat_store_dword v[1:2], v0 offset:4
.LBB783_16:
	s_endpgm
	.section	.rodata,"a",@progbits
	.p2align	6, 0x0
	.amdhsa_kernel _ZL37rocblas_syrkx_herkx_restricted_kernelIi19rocblas_complex_numIfELi16ELi32ELi8ELi1ELin1ELb1ELc78ELc85EKPKS1_KPS1_EviT_PT9_S7_lS9_S7_lPT10_S7_li
		.amdhsa_group_segment_fixed_size 4096
		.amdhsa_private_segment_fixed_size 0
		.amdhsa_kernarg_size 84
		.amdhsa_user_sgpr_count 6
		.amdhsa_user_sgpr_private_segment_buffer 1
		.amdhsa_user_sgpr_dispatch_ptr 0
		.amdhsa_user_sgpr_queue_ptr 0
		.amdhsa_user_sgpr_kernarg_segment_ptr 1
		.amdhsa_user_sgpr_dispatch_id 0
		.amdhsa_user_sgpr_flat_scratch_init 0
		.amdhsa_user_sgpr_private_segment_size 0
		.amdhsa_uses_dynamic_stack 0
		.amdhsa_system_sgpr_private_segment_wavefront_offset 0
		.amdhsa_system_sgpr_workgroup_id_x 1
		.amdhsa_system_sgpr_workgroup_id_y 1
		.amdhsa_system_sgpr_workgroup_id_z 1
		.amdhsa_system_sgpr_workgroup_info 0
		.amdhsa_system_vgpr_workitem_id 1
		.amdhsa_next_free_vgpr 43
		.amdhsa_next_free_sgpr 20
		.amdhsa_reserve_vcc 1
		.amdhsa_reserve_flat_scratch 0
		.amdhsa_float_round_mode_32 0
		.amdhsa_float_round_mode_16_64 0
		.amdhsa_float_denorm_mode_32 3
		.amdhsa_float_denorm_mode_16_64 3
		.amdhsa_dx10_clamp 1
		.amdhsa_ieee_mode 1
		.amdhsa_fp16_overflow 0
		.amdhsa_exception_fp_ieee_invalid_op 0
		.amdhsa_exception_fp_denorm_src 0
		.amdhsa_exception_fp_ieee_div_zero 0
		.amdhsa_exception_fp_ieee_overflow 0
		.amdhsa_exception_fp_ieee_underflow 0
		.amdhsa_exception_fp_ieee_inexact 0
		.amdhsa_exception_int_div_zero 0
	.end_amdhsa_kernel
	.section	.text._ZL37rocblas_syrkx_herkx_restricted_kernelIi19rocblas_complex_numIfELi16ELi32ELi8ELi1ELin1ELb1ELc78ELc85EKPKS1_KPS1_EviT_PT9_S7_lS9_S7_lPT10_S7_li,"axG",@progbits,_ZL37rocblas_syrkx_herkx_restricted_kernelIi19rocblas_complex_numIfELi16ELi32ELi8ELi1ELin1ELb1ELc78ELc85EKPKS1_KPS1_EviT_PT9_S7_lS9_S7_lPT10_S7_li,comdat
.Lfunc_end783:
	.size	_ZL37rocblas_syrkx_herkx_restricted_kernelIi19rocblas_complex_numIfELi16ELi32ELi8ELi1ELin1ELb1ELc78ELc85EKPKS1_KPS1_EviT_PT9_S7_lS9_S7_lPT10_S7_li, .Lfunc_end783-_ZL37rocblas_syrkx_herkx_restricted_kernelIi19rocblas_complex_numIfELi16ELi32ELi8ELi1ELin1ELb1ELc78ELc85EKPKS1_KPS1_EviT_PT9_S7_lS9_S7_lPT10_S7_li
                                        ; -- End function
	.set _ZL37rocblas_syrkx_herkx_restricted_kernelIi19rocblas_complex_numIfELi16ELi32ELi8ELi1ELin1ELb1ELc78ELc85EKPKS1_KPS1_EviT_PT9_S7_lS9_S7_lPT10_S7_li.num_vgpr, 43
	.set _ZL37rocblas_syrkx_herkx_restricted_kernelIi19rocblas_complex_numIfELi16ELi32ELi8ELi1ELin1ELb1ELc78ELc85EKPKS1_KPS1_EviT_PT9_S7_lS9_S7_lPT10_S7_li.num_agpr, 0
	.set _ZL37rocblas_syrkx_herkx_restricted_kernelIi19rocblas_complex_numIfELi16ELi32ELi8ELi1ELin1ELb1ELc78ELc85EKPKS1_KPS1_EviT_PT9_S7_lS9_S7_lPT10_S7_li.numbered_sgpr, 20
	.set _ZL37rocblas_syrkx_herkx_restricted_kernelIi19rocblas_complex_numIfELi16ELi32ELi8ELi1ELin1ELb1ELc78ELc85EKPKS1_KPS1_EviT_PT9_S7_lS9_S7_lPT10_S7_li.num_named_barrier, 0
	.set _ZL37rocblas_syrkx_herkx_restricted_kernelIi19rocblas_complex_numIfELi16ELi32ELi8ELi1ELin1ELb1ELc78ELc85EKPKS1_KPS1_EviT_PT9_S7_lS9_S7_lPT10_S7_li.private_seg_size, 0
	.set _ZL37rocblas_syrkx_herkx_restricted_kernelIi19rocblas_complex_numIfELi16ELi32ELi8ELi1ELin1ELb1ELc78ELc85EKPKS1_KPS1_EviT_PT9_S7_lS9_S7_lPT10_S7_li.uses_vcc, 1
	.set _ZL37rocblas_syrkx_herkx_restricted_kernelIi19rocblas_complex_numIfELi16ELi32ELi8ELi1ELin1ELb1ELc78ELc85EKPKS1_KPS1_EviT_PT9_S7_lS9_S7_lPT10_S7_li.uses_flat_scratch, 0
	.set _ZL37rocblas_syrkx_herkx_restricted_kernelIi19rocblas_complex_numIfELi16ELi32ELi8ELi1ELin1ELb1ELc78ELc85EKPKS1_KPS1_EviT_PT9_S7_lS9_S7_lPT10_S7_li.has_dyn_sized_stack, 0
	.set _ZL37rocblas_syrkx_herkx_restricted_kernelIi19rocblas_complex_numIfELi16ELi32ELi8ELi1ELin1ELb1ELc78ELc85EKPKS1_KPS1_EviT_PT9_S7_lS9_S7_lPT10_S7_li.has_recursion, 0
	.set _ZL37rocblas_syrkx_herkx_restricted_kernelIi19rocblas_complex_numIfELi16ELi32ELi8ELi1ELin1ELb1ELc78ELc85EKPKS1_KPS1_EviT_PT9_S7_lS9_S7_lPT10_S7_li.has_indirect_call, 0
	.section	.AMDGPU.csdata,"",@progbits
; Kernel info:
; codeLenInByte = 2048
; TotalNumSgprs: 24
; NumVgprs: 43
; ScratchSize: 0
; MemoryBound: 0
; FloatMode: 240
; IeeeMode: 1
; LDSByteSize: 4096 bytes/workgroup (compile time only)
; SGPRBlocks: 2
; VGPRBlocks: 10
; NumSGPRsForWavesPerEU: 24
; NumVGPRsForWavesPerEU: 43
; Occupancy: 5
; WaveLimiterHint : 1
; COMPUTE_PGM_RSRC2:SCRATCH_EN: 0
; COMPUTE_PGM_RSRC2:USER_SGPR: 6
; COMPUTE_PGM_RSRC2:TRAP_HANDLER: 0
; COMPUTE_PGM_RSRC2:TGID_X_EN: 1
; COMPUTE_PGM_RSRC2:TGID_Y_EN: 1
; COMPUTE_PGM_RSRC2:TGID_Z_EN: 1
; COMPUTE_PGM_RSRC2:TIDIG_COMP_CNT: 1
	.section	.text._ZL37rocblas_syrkx_herkx_restricted_kernelIi19rocblas_complex_numIfELi16ELi32ELi8ELi1ELi0ELb1ELc84ELc76EKPKS1_KPS1_EviT_PT9_S7_lS9_S7_lPT10_S7_li,"axG",@progbits,_ZL37rocblas_syrkx_herkx_restricted_kernelIi19rocblas_complex_numIfELi16ELi32ELi8ELi1ELi0ELb1ELc84ELc76EKPKS1_KPS1_EviT_PT9_S7_lS9_S7_lPT10_S7_li,comdat
	.globl	_ZL37rocblas_syrkx_herkx_restricted_kernelIi19rocblas_complex_numIfELi16ELi32ELi8ELi1ELi0ELb1ELc84ELc76EKPKS1_KPS1_EviT_PT9_S7_lS9_S7_lPT10_S7_li ; -- Begin function _ZL37rocblas_syrkx_herkx_restricted_kernelIi19rocblas_complex_numIfELi16ELi32ELi8ELi1ELi0ELb1ELc84ELc76EKPKS1_KPS1_EviT_PT9_S7_lS9_S7_lPT10_S7_li
	.p2align	8
	.type	_ZL37rocblas_syrkx_herkx_restricted_kernelIi19rocblas_complex_numIfELi16ELi32ELi8ELi1ELi0ELb1ELc84ELc76EKPKS1_KPS1_EviT_PT9_S7_lS9_S7_lPT10_S7_li,@function
_ZL37rocblas_syrkx_herkx_restricted_kernelIi19rocblas_complex_numIfELi16ELi32ELi8ELi1ELi0ELb1ELc84ELc76EKPKS1_KPS1_EviT_PT9_S7_lS9_S7_lPT10_S7_li: ; @_ZL37rocblas_syrkx_herkx_restricted_kernelIi19rocblas_complex_numIfELi16ELi32ELi8ELi1ELi0ELb1ELc84ELc76EKPKS1_KPS1_EviT_PT9_S7_lS9_S7_lPT10_S7_li
; %bb.0:
	s_load_dwordx2 s[2:3], s[4:5], 0x38
	s_load_dwordx2 s[12:13], s[4:5], 0x0
	s_mov_b32 s9, 0
	s_lshl_b64 s[0:1], s[8:9], 3
	s_waitcnt lgkmcnt(0)
	s_add_u32 s2, s2, s0
	s_addc_u32 s3, s3, s1
	s_load_dwordx2 s[10:11], s[2:3], 0x0
	s_lshl_b32 s2, s6, 5
	s_lshl_b32 s3, s7, 5
	s_cmp_lt_i32 s13, 1
	s_cbranch_scc1 .LBB784_3
; %bb.1:
	v_lshl_add_u32 v4, v1, 4, v0
	s_load_dwordx2 s[6:7], s[4:5], 0x8
	s_load_dword s8, s[4:5], 0x10
	s_load_dwordx2 s[14:15], s[4:5], 0x20
	s_load_dword s16, s[4:5], 0x28
	v_and_b32_e32 v7, 31, v4
	v_lshrrev_b32_e32 v6, 3, v4
	v_and_b32_e32 v9, 7, v0
	v_lshrrev_b32_e32 v4, 5, v4
	v_lshlrev_b32_e32 v8, 3, v7
	s_waitcnt lgkmcnt(0)
	s_add_u32 s6, s6, s0
	v_lshl_or_b32 v15, v4, 8, v8
	v_lshlrev_b32_e32 v8, 3, v9
	s_addc_u32 s7, s7, s1
	v_add_u32_e32 v2, s3, v6
	v_mov_b32_e32 v10, 0
	v_lshl_or_b32 v6, v6, 6, v8
	s_add_u32 s0, s14, s0
	v_mov_b32_e32 v5, v10
	v_add_u32_e32 v16, 0x800, v6
	v_add_u32_e32 v6, s2, v7
	s_addc_u32 s1, s15, s1
	v_mad_i64_i32 v[4:5], s[14:15], s8, v6, v[4:5]
	s_load_dwordx2 s[6:7], s[6:7], 0x0
	v_mad_i64_i32 v[2:3], s[14:15], s16, v2, v[9:10]
	s_load_dwordx2 s[0:1], s[0:1], 0x0
	v_lshlrev_b64 v[4:5], 3, v[4:5]
	v_mov_b32_e32 v6, 0x800
	v_lshl_add_u32 v18, v1, 6, v6
	s_waitcnt lgkmcnt(0)
	v_mov_b32_e32 v7, s7
	v_add_co_u32_e32 v6, vcc, s6, v4
	v_lshlrev_b64 v[2:3], 3, v[2:3]
	v_addc_co_u32_e32 v7, vcc, v7, v5, vcc
	v_mov_b32_e32 v4, s1
	v_add_co_u32_e32 v8, vcc, s0, v2
	v_lshlrev_b32_e32 v17, 3, v0
	v_addc_co_u32_e32 v9, vcc, v4, v3, vcc
	v_mov_b32_e32 v11, v10
	v_mov_b32_e32 v19, v10
	;; [unrolled: 1-line block ×7, first 2 shown]
.LBB784_2:                              ; =>This Inner Loop Header: Depth=1
	flat_load_dwordx2 v[2:3], v[6:7]
	v_add_co_u32_e32 v6, vcc, 64, v6
	v_addc_co_u32_e32 v7, vcc, 0, v7, vcc
	s_add_i32 s9, s9, 8
	s_cmp_ge_i32 s9, s13
	s_waitcnt vmcnt(0) lgkmcnt(0)
	ds_write_b64 v15, v[2:3]
	flat_load_dwordx2 v[2:3], v[8:9]
	v_add_co_u32_e32 v8, vcc, 64, v8
	v_addc_co_u32_e32 v9, vcc, 0, v9, vcc
	s_waitcnt vmcnt(0) lgkmcnt(0)
	ds_write_b64 v16, v[2:3]
	s_waitcnt lgkmcnt(0)
	s_barrier
	ds_read_b128 v[22:25], v18
	ds_read_b128 v[26:29], v18 offset:16
	ds_read_b128 v[30:33], v18 offset:32
	;; [unrolled: 1-line block ×3, first 2 shown]
	ds_read2_b64 v[34:37], v17 offset1:16
	s_waitcnt lgkmcnt(0)
	v_mul_f32_e32 v38, v23, v35
	v_mul_f32_e32 v39, v22, v35
	v_fma_f32 v38, v22, v34, -v38
	v_fmac_f32_e32 v39, v23, v34
	v_add_f32_e32 v14, v14, v38
	v_add_f32_e32 v38, v21, v39
	v_mul_f32_e32 v21, v23, v37
	v_fma_f32 v21, v22, v36, -v21
	v_mul_f32_e32 v22, v22, v37
	v_fmac_f32_e32 v22, v23, v36
	v_add_f32_e32 v39, v13, v21
	v_add_f32_e32 v40, v20, v22
	ds_read_b128 v[20:23], v18 offset:1024
	s_waitcnt lgkmcnt(0)
	v_mul_f32_e32 v13, v21, v35
	v_fma_f32 v13, v20, v34, -v13
	v_mul_f32_e32 v35, v20, v35
	v_fmac_f32_e32 v35, v21, v34
	v_add_f32_e32 v34, v12, v13
	v_mul_f32_e32 v12, v21, v37
	v_mul_f32_e32 v13, v20, v37
	v_fma_f32 v12, v20, v36, -v12
	v_fmac_f32_e32 v13, v21, v36
	v_add_f32_e32 v20, v11, v12
	v_add_f32_e32 v21, v10, v13
	ds_read2_b64 v[10:13], v17 offset0:32 offset1:48
	v_add_f32_e32 v19, v19, v35
	s_waitcnt lgkmcnt(0)
	v_mul_f32_e32 v35, v25, v11
	v_mul_f32_e32 v36, v24, v11
	v_fma_f32 v35, v24, v10, -v35
	v_fmac_f32_e32 v36, v25, v10
	v_add_f32_e32 v14, v14, v35
	v_add_f32_e32 v35, v38, v36
	v_mul_f32_e32 v36, v25, v13
	v_fma_f32 v36, v24, v12, -v36
	v_mul_f32_e32 v24, v24, v13
	v_fmac_f32_e32 v24, v25, v12
	v_add_f32_e32 v25, v39, v36
	v_mul_f32_e32 v36, v23, v11
	v_mul_f32_e32 v11, v22, v11
	v_fma_f32 v36, v22, v10, -v36
	v_fmac_f32_e32 v11, v23, v10
	v_add_f32_e32 v34, v34, v36
	v_add_f32_e32 v36, v19, v11
	v_mul_f32_e32 v10, v23, v13
	v_mul_f32_e32 v11, v22, v13
	v_fma_f32 v10, v22, v12, -v10
	v_fmac_f32_e32 v11, v23, v12
	v_add_f32_e32 v23, v20, v10
	v_add_f32_e32 v37, v21, v11
	ds_read2_b64 v[10:13], v17 offset0:64 offset1:80
	v_add_f32_e32 v24, v40, v24
	s_waitcnt lgkmcnt(0)
	v_mul_f32_e32 v19, v27, v11
	v_mul_f32_e32 v20, v26, v11
	v_fma_f32 v19, v26, v10, -v19
	v_fmac_f32_e32 v20, v27, v10
	v_add_f32_e32 v14, v14, v19
	v_add_f32_e32 v35, v35, v20
	v_mul_f32_e32 v19, v27, v13
	v_mul_f32_e32 v20, v26, v13
	v_fma_f32 v19, v26, v12, -v19
	v_fmac_f32_e32 v20, v27, v12
	v_add_f32_e32 v25, v25, v19
	v_add_f32_e32 v24, v24, v20
	ds_read_b128 v[19:22], v18 offset:1040
	s_waitcnt lgkmcnt(0)
	v_mul_f32_e32 v26, v20, v11
	v_mul_f32_e32 v11, v19, v11
	v_fmac_f32_e32 v11, v20, v10
	v_fma_f32 v26, v19, v10, -v26
	v_add_f32_e32 v27, v36, v11
	v_mul_f32_e32 v10, v20, v13
	v_mul_f32_e32 v11, v19, v13
	v_fma_f32 v10, v19, v12, -v10
	v_fmac_f32_e32 v11, v20, v12
	v_add_f32_e32 v19, v23, v10
	v_add_f32_e32 v20, v37, v11
	ds_read2_b64 v[10:13], v17 offset0:96 offset1:112
	v_add_f32_e32 v26, v34, v26
	s_waitcnt lgkmcnt(0)
	v_mul_f32_e32 v23, v29, v11
	v_mul_f32_e32 v34, v28, v11
	v_fma_f32 v23, v28, v10, -v23
	v_fmac_f32_e32 v34, v29, v10
	v_add_f32_e32 v14, v14, v23
	v_add_f32_e32 v23, v35, v34
	v_mul_f32_e32 v34, v29, v13
	v_fma_f32 v34, v28, v12, -v34
	v_mul_f32_e32 v28, v28, v13
	v_fmac_f32_e32 v28, v29, v12
	v_add_f32_e32 v24, v24, v28
	v_mul_f32_e32 v28, v22, v11
	v_mul_f32_e32 v11, v21, v11
	v_fmac_f32_e32 v11, v22, v10
	v_fma_f32 v28, v21, v10, -v28
	v_add_f32_e32 v27, v27, v11
	v_mul_f32_e32 v10, v22, v13
	v_mul_f32_e32 v11, v21, v13
	v_fma_f32 v10, v21, v12, -v10
	v_fmac_f32_e32 v11, v22, v12
	v_add_f32_e32 v26, v26, v28
	v_add_f32_e32 v28, v19, v10
	;; [unrolled: 1-line block ×3, first 2 shown]
	ds_read2_b64 v[10:13], v17 offset0:128 offset1:144
	v_add_f32_e32 v25, v25, v34
	s_waitcnt lgkmcnt(0)
	v_mul_f32_e32 v19, v31, v11
	v_mul_f32_e32 v20, v30, v11
	v_fma_f32 v19, v30, v10, -v19
	v_fmac_f32_e32 v20, v31, v10
	v_add_f32_e32 v14, v14, v19
	v_add_f32_e32 v23, v23, v20
	v_mul_f32_e32 v19, v31, v13
	v_mul_f32_e32 v20, v30, v13
	v_fma_f32 v19, v30, v12, -v19
	v_fmac_f32_e32 v20, v31, v12
	v_add_f32_e32 v25, v25, v19
	v_add_f32_e32 v24, v24, v20
	ds_read_b128 v[19:22], v18 offset:1056
	s_waitcnt lgkmcnt(0)
	v_mul_f32_e32 v30, v20, v11
	v_mul_f32_e32 v11, v19, v11
	v_fmac_f32_e32 v11, v20, v10
	v_fma_f32 v30, v19, v10, -v30
	v_add_f32_e32 v27, v27, v11
	v_mul_f32_e32 v10, v20, v13
	v_mul_f32_e32 v11, v19, v13
	v_fma_f32 v10, v19, v12, -v10
	v_fmac_f32_e32 v11, v20, v12
	v_add_f32_e32 v19, v28, v10
	v_add_f32_e32 v20, v29, v11
	ds_read2_b64 v[10:13], v17 offset0:160 offset1:176
	v_add_f32_e32 v26, v26, v30
	s_waitcnt lgkmcnt(0)
	v_mul_f32_e32 v28, v33, v11
	v_fma_f32 v28, v32, v10, -v28
	v_add_f32_e32 v14, v14, v28
	v_mul_f32_e32 v28, v33, v13
	v_fma_f32 v28, v32, v12, -v28
	v_mul_f32_e32 v29, v32, v11
	v_add_f32_e32 v25, v25, v28
	v_mul_f32_e32 v28, v22, v11
	v_mul_f32_e32 v11, v21, v11
	v_fmac_f32_e32 v11, v22, v10
	v_fmac_f32_e32 v29, v33, v10
	v_fma_f32 v28, v21, v10, -v28
	v_add_f32_e32 v27, v27, v11
	v_mul_f32_e32 v10, v22, v13
	v_mul_f32_e32 v11, v21, v13
	v_add_f32_e32 v23, v23, v29
	v_mul_f32_e32 v29, v32, v13
	v_fma_f32 v10, v21, v12, -v10
	v_fmac_f32_e32 v11, v22, v12
	v_fmac_f32_e32 v29, v33, v12
	v_add_f32_e32 v26, v26, v28
	v_add_f32_e32 v19, v19, v10
	;; [unrolled: 1-line block ×3, first 2 shown]
	ds_read2_b64 v[10:13], v17 offset0:192 offset1:208
	v_add_f32_e32 v24, v24, v29
	s_waitcnt lgkmcnt(0)
	v_mul_f32_e32 v20, v3, v11
	v_fma_f32 v20, v2, v10, -v20
	v_mul_f32_e32 v21, v2, v11
	v_add_f32_e32 v14, v14, v20
	v_mul_f32_e32 v20, v3, v13
	v_fmac_f32_e32 v21, v3, v10
	v_fma_f32 v20, v2, v12, -v20
	v_mul_f32_e32 v2, v2, v13
	v_add_f32_e32 v29, v23, v21
	v_fmac_f32_e32 v2, v3, v12
	v_add_f32_e32 v3, v25, v20
	ds_read_b128 v[20:23], v18 offset:1072
	v_add_f32_e32 v2, v24, v2
	s_waitcnt lgkmcnt(0)
	v_mul_f32_e32 v24, v21, v11
	v_fma_f32 v24, v20, v10, -v24
	v_mul_f32_e32 v11, v20, v11
	v_fmac_f32_e32 v11, v21, v10
	v_add_f32_e32 v10, v26, v24
	v_mul_f32_e32 v24, v21, v13
	v_fma_f32 v24, v20, v12, -v24
	v_add_f32_e32 v11, v27, v11
	v_add_f32_e32 v30, v19, v24
	ds_read2_b64 v[24:27], v17 offset0:224 offset1:240
	v_mul_f32_e32 v13, v20, v13
	v_fmac_f32_e32 v13, v21, v12
	v_add_f32_e32 v28, v28, v13
	s_waitcnt lgkmcnt(0)
	v_mul_f32_e32 v12, v5, v25
	v_fma_f32 v12, v4, v24, -v12
	v_add_f32_e32 v14, v14, v12
	v_mul_f32_e32 v12, v5, v27
	v_mul_f32_e32 v13, v4, v25
	v_fma_f32 v12, v4, v26, -v12
	v_mul_f32_e32 v4, v4, v27
	v_fmac_f32_e32 v13, v5, v24
	v_fmac_f32_e32 v4, v5, v26
	v_add_f32_e32 v21, v29, v13
	v_add_f32_e32 v13, v3, v12
	;; [unrolled: 1-line block ×3, first 2 shown]
	v_mul_f32_e32 v2, v23, v25
	v_mul_f32_e32 v3, v22, v25
	v_fma_f32 v2, v22, v24, -v2
	v_fmac_f32_e32 v3, v23, v24
	v_add_f32_e32 v12, v10, v2
	v_add_f32_e32 v19, v11, v3
	v_mul_f32_e32 v2, v23, v27
	v_mul_f32_e32 v3, v22, v27
	v_fma_f32 v2, v22, v26, -v2
	v_fmac_f32_e32 v3, v23, v26
	v_add_f32_e32 v11, v30, v2
	v_add_f32_e32 v10, v28, v3
	s_barrier
	s_cbranch_scc0 .LBB784_2
	s_branch .LBB784_4
.LBB784_3:
	v_mov_b32_e32 v21, 0
	v_mov_b32_e32 v14, 0
	;; [unrolled: 1-line block ×8, first 2 shown]
.LBB784_4:
	s_load_dword s6, s[4:5], 0x40
	v_add_u32_e32 v4, s3, v1
	s_waitcnt lgkmcnt(0)
	v_mov_b32_e32 v3, s11
	v_add_u32_e32 v0, s2, v0
	v_mad_i64_i32 v[1:2], s[0:1], v4, s6, 0
	v_cmp_le_i32_e64 s[0:1], v4, v0
	v_lshlrev_b64 v[1:2], 3, v[1:2]
	v_add_co_u32_e32 v5, vcc, s10, v1
	v_addc_co_u32_e32 v6, vcc, v3, v2, vcc
	v_cmp_gt_i32_e32 vcc, s12, v0
	s_and_b64 s[0:1], s[0:1], vcc
	s_and_saveexec_b64 s[2:3], s[0:1]
	s_cbranch_execz .LBB784_6
; %bb.5:
	v_ashrrev_i32_e32 v1, 31, v0
	v_lshlrev_b64 v[1:2], 3, v[0:1]
	v_add_co_u32_e64 v1, s[0:1], v5, v1
	v_addc_co_u32_e64 v2, s[0:1], v6, v2, s[0:1]
	v_cmp_ne_u32_e64 s[0:1], v4, v0
	v_cndmask_b32_e64 v15, 0, v21, s[0:1]
	flat_store_dwordx2 v[1:2], v[14:15]
.LBB784_6:
	s_or_b64 exec, exec, s[2:3]
	v_add_u32_e32 v2, 16, v0
	v_cmp_le_i32_e64 s[2:3], v4, v2
	v_cmp_gt_i32_e64 s[0:1], s12, v2
	s_and_b64 s[2:3], s[2:3], s[0:1]
	s_and_saveexec_b64 s[4:5], s[2:3]
	s_cbranch_execz .LBB784_8
; %bb.7:
	v_ashrrev_i32_e32 v3, 31, v2
	v_lshlrev_b64 v[7:8], 3, v[2:3]
	v_add_co_u32_e64 v5, s[2:3], v5, v7
	v_addc_co_u32_e64 v6, s[2:3], v6, v8, s[2:3]
	v_cmp_ne_u32_e64 s[2:3], v4, v2
	v_cndmask_b32_e64 v14, 0, v20, s[2:3]
	flat_store_dwordx2 v[5:6], v[13:14]
.LBB784_8:
	s_or_b64 exec, exec, s[4:5]
	v_add_u32_e32 v3, 16, v4
	v_mad_i64_i32 v[5:6], s[2:3], v3, s6, 0
	v_mov_b32_e32 v1, s11
	v_lshlrev_b64 v[5:6], 3, v[5:6]
	v_add_co_u32_e64 v5, s[2:3], s10, v5
	v_addc_co_u32_e64 v6, s[2:3], v1, v6, s[2:3]
	v_cmp_le_i32_e64 s[2:3], v3, v0
	s_and_b64 s[4:5], s[2:3], vcc
	s_and_saveexec_b64 s[2:3], s[4:5]
	s_cbranch_execz .LBB784_10
; %bb.9:
	v_ashrrev_i32_e32 v1, 31, v0
	v_lshlrev_b64 v[7:8], 3, v[0:1]
	v_add_co_u32_e32 v7, vcc, v5, v7
	v_addc_co_u32_e32 v8, vcc, v6, v8, vcc
	v_cmp_ne_u32_e32 vcc, v3, v0
	v_cndmask_b32_e32 v13, 0, v19, vcc
	flat_store_dwordx2 v[7:8], v[12:13]
.LBB784_10:
	s_or_b64 exec, exec, s[2:3]
	v_cmp_le_i32_e32 vcc, v3, v2
	s_and_b64 s[0:1], vcc, s[0:1]
	s_and_saveexec_b64 s[2:3], s[0:1]
	s_cbranch_execz .LBB784_12
; %bb.11:
	v_ashrrev_i32_e32 v3, 31, v2
	v_lshlrev_b64 v[1:2], 3, v[2:3]
	v_add_co_u32_e32 v1, vcc, v5, v1
	v_addc_co_u32_e32 v2, vcc, v6, v2, vcc
	v_cmp_ne_u32_e32 vcc, v4, v0
	v_cndmask_b32_e32 v12, 0, v10, vcc
	flat_store_dwordx2 v[1:2], v[11:12]
.LBB784_12:
	s_endpgm
	.section	.rodata,"a",@progbits
	.p2align	6, 0x0
	.amdhsa_kernel _ZL37rocblas_syrkx_herkx_restricted_kernelIi19rocblas_complex_numIfELi16ELi32ELi8ELi1ELi0ELb1ELc84ELc76EKPKS1_KPS1_EviT_PT9_S7_lS9_S7_lPT10_S7_li
		.amdhsa_group_segment_fixed_size 4096
		.amdhsa_private_segment_fixed_size 0
		.amdhsa_kernarg_size 84
		.amdhsa_user_sgpr_count 6
		.amdhsa_user_sgpr_private_segment_buffer 1
		.amdhsa_user_sgpr_dispatch_ptr 0
		.amdhsa_user_sgpr_queue_ptr 0
		.amdhsa_user_sgpr_kernarg_segment_ptr 1
		.amdhsa_user_sgpr_dispatch_id 0
		.amdhsa_user_sgpr_flat_scratch_init 0
		.amdhsa_user_sgpr_private_segment_size 0
		.amdhsa_uses_dynamic_stack 0
		.amdhsa_system_sgpr_private_segment_wavefront_offset 0
		.amdhsa_system_sgpr_workgroup_id_x 1
		.amdhsa_system_sgpr_workgroup_id_y 1
		.amdhsa_system_sgpr_workgroup_id_z 1
		.amdhsa_system_sgpr_workgroup_info 0
		.amdhsa_system_vgpr_workitem_id 1
		.amdhsa_next_free_vgpr 41
		.amdhsa_next_free_sgpr 17
		.amdhsa_reserve_vcc 1
		.amdhsa_reserve_flat_scratch 0
		.amdhsa_float_round_mode_32 0
		.amdhsa_float_round_mode_16_64 0
		.amdhsa_float_denorm_mode_32 3
		.amdhsa_float_denorm_mode_16_64 3
		.amdhsa_dx10_clamp 1
		.amdhsa_ieee_mode 1
		.amdhsa_fp16_overflow 0
		.amdhsa_exception_fp_ieee_invalid_op 0
		.amdhsa_exception_fp_denorm_src 0
		.amdhsa_exception_fp_ieee_div_zero 0
		.amdhsa_exception_fp_ieee_overflow 0
		.amdhsa_exception_fp_ieee_underflow 0
		.amdhsa_exception_fp_ieee_inexact 0
		.amdhsa_exception_int_div_zero 0
	.end_amdhsa_kernel
	.section	.text._ZL37rocblas_syrkx_herkx_restricted_kernelIi19rocblas_complex_numIfELi16ELi32ELi8ELi1ELi0ELb1ELc84ELc76EKPKS1_KPS1_EviT_PT9_S7_lS9_S7_lPT10_S7_li,"axG",@progbits,_ZL37rocblas_syrkx_herkx_restricted_kernelIi19rocblas_complex_numIfELi16ELi32ELi8ELi1ELi0ELb1ELc84ELc76EKPKS1_KPS1_EviT_PT9_S7_lS9_S7_lPT10_S7_li,comdat
.Lfunc_end784:
	.size	_ZL37rocblas_syrkx_herkx_restricted_kernelIi19rocblas_complex_numIfELi16ELi32ELi8ELi1ELi0ELb1ELc84ELc76EKPKS1_KPS1_EviT_PT9_S7_lS9_S7_lPT10_S7_li, .Lfunc_end784-_ZL37rocblas_syrkx_herkx_restricted_kernelIi19rocblas_complex_numIfELi16ELi32ELi8ELi1ELi0ELb1ELc84ELc76EKPKS1_KPS1_EviT_PT9_S7_lS9_S7_lPT10_S7_li
                                        ; -- End function
	.set _ZL37rocblas_syrkx_herkx_restricted_kernelIi19rocblas_complex_numIfELi16ELi32ELi8ELi1ELi0ELb1ELc84ELc76EKPKS1_KPS1_EviT_PT9_S7_lS9_S7_lPT10_S7_li.num_vgpr, 41
	.set _ZL37rocblas_syrkx_herkx_restricted_kernelIi19rocblas_complex_numIfELi16ELi32ELi8ELi1ELi0ELb1ELc84ELc76EKPKS1_KPS1_EviT_PT9_S7_lS9_S7_lPT10_S7_li.num_agpr, 0
	.set _ZL37rocblas_syrkx_herkx_restricted_kernelIi19rocblas_complex_numIfELi16ELi32ELi8ELi1ELi0ELb1ELc84ELc76EKPKS1_KPS1_EviT_PT9_S7_lS9_S7_lPT10_S7_li.numbered_sgpr, 17
	.set _ZL37rocblas_syrkx_herkx_restricted_kernelIi19rocblas_complex_numIfELi16ELi32ELi8ELi1ELi0ELb1ELc84ELc76EKPKS1_KPS1_EviT_PT9_S7_lS9_S7_lPT10_S7_li.num_named_barrier, 0
	.set _ZL37rocblas_syrkx_herkx_restricted_kernelIi19rocblas_complex_numIfELi16ELi32ELi8ELi1ELi0ELb1ELc84ELc76EKPKS1_KPS1_EviT_PT9_S7_lS9_S7_lPT10_S7_li.private_seg_size, 0
	.set _ZL37rocblas_syrkx_herkx_restricted_kernelIi19rocblas_complex_numIfELi16ELi32ELi8ELi1ELi0ELb1ELc84ELc76EKPKS1_KPS1_EviT_PT9_S7_lS9_S7_lPT10_S7_li.uses_vcc, 1
	.set _ZL37rocblas_syrkx_herkx_restricted_kernelIi19rocblas_complex_numIfELi16ELi32ELi8ELi1ELi0ELb1ELc84ELc76EKPKS1_KPS1_EviT_PT9_S7_lS9_S7_lPT10_S7_li.uses_flat_scratch, 0
	.set _ZL37rocblas_syrkx_herkx_restricted_kernelIi19rocblas_complex_numIfELi16ELi32ELi8ELi1ELi0ELb1ELc84ELc76EKPKS1_KPS1_EviT_PT9_S7_lS9_S7_lPT10_S7_li.has_dyn_sized_stack, 0
	.set _ZL37rocblas_syrkx_herkx_restricted_kernelIi19rocblas_complex_numIfELi16ELi32ELi8ELi1ELi0ELb1ELc84ELc76EKPKS1_KPS1_EviT_PT9_S7_lS9_S7_lPT10_S7_li.has_recursion, 0
	.set _ZL37rocblas_syrkx_herkx_restricted_kernelIi19rocblas_complex_numIfELi16ELi32ELi8ELi1ELi0ELb1ELc84ELc76EKPKS1_KPS1_EviT_PT9_S7_lS9_S7_lPT10_S7_li.has_indirect_call, 0
	.section	.AMDGPU.csdata,"",@progbits
; Kernel info:
; codeLenInByte = 1868
; TotalNumSgprs: 21
; NumVgprs: 41
; ScratchSize: 0
; MemoryBound: 0
; FloatMode: 240
; IeeeMode: 1
; LDSByteSize: 4096 bytes/workgroup (compile time only)
; SGPRBlocks: 2
; VGPRBlocks: 10
; NumSGPRsForWavesPerEU: 21
; NumVGPRsForWavesPerEU: 41
; Occupancy: 5
; WaveLimiterHint : 1
; COMPUTE_PGM_RSRC2:SCRATCH_EN: 0
; COMPUTE_PGM_RSRC2:USER_SGPR: 6
; COMPUTE_PGM_RSRC2:TRAP_HANDLER: 0
; COMPUTE_PGM_RSRC2:TGID_X_EN: 1
; COMPUTE_PGM_RSRC2:TGID_Y_EN: 1
; COMPUTE_PGM_RSRC2:TGID_Z_EN: 1
; COMPUTE_PGM_RSRC2:TIDIG_COMP_CNT: 1
	.section	.text._ZL37rocblas_syrkx_herkx_restricted_kernelIi19rocblas_complex_numIfELi16ELi32ELi8ELi1ELi0ELb1ELc67ELc76EKPKS1_KPS1_EviT_PT9_S7_lS9_S7_lPT10_S7_li,"axG",@progbits,_ZL37rocblas_syrkx_herkx_restricted_kernelIi19rocblas_complex_numIfELi16ELi32ELi8ELi1ELi0ELb1ELc67ELc76EKPKS1_KPS1_EviT_PT9_S7_lS9_S7_lPT10_S7_li,comdat
	.globl	_ZL37rocblas_syrkx_herkx_restricted_kernelIi19rocblas_complex_numIfELi16ELi32ELi8ELi1ELi0ELb1ELc67ELc76EKPKS1_KPS1_EviT_PT9_S7_lS9_S7_lPT10_S7_li ; -- Begin function _ZL37rocblas_syrkx_herkx_restricted_kernelIi19rocblas_complex_numIfELi16ELi32ELi8ELi1ELi0ELb1ELc67ELc76EKPKS1_KPS1_EviT_PT9_S7_lS9_S7_lPT10_S7_li
	.p2align	8
	.type	_ZL37rocblas_syrkx_herkx_restricted_kernelIi19rocblas_complex_numIfELi16ELi32ELi8ELi1ELi0ELb1ELc67ELc76EKPKS1_KPS1_EviT_PT9_S7_lS9_S7_lPT10_S7_li,@function
_ZL37rocblas_syrkx_herkx_restricted_kernelIi19rocblas_complex_numIfELi16ELi32ELi8ELi1ELi0ELb1ELc67ELc76EKPKS1_KPS1_EviT_PT9_S7_lS9_S7_lPT10_S7_li: ; @_ZL37rocblas_syrkx_herkx_restricted_kernelIi19rocblas_complex_numIfELi16ELi32ELi8ELi1ELi0ELb1ELc67ELc76EKPKS1_KPS1_EviT_PT9_S7_lS9_S7_lPT10_S7_li
; %bb.0:
	s_load_dwordx2 s[2:3], s[4:5], 0x38
	s_load_dwordx2 s[12:13], s[4:5], 0x0
	s_mov_b32 s9, 0
	s_lshl_b64 s[0:1], s[8:9], 3
	s_waitcnt lgkmcnt(0)
	s_add_u32 s2, s2, s0
	s_addc_u32 s3, s3, s1
	s_load_dwordx2 s[10:11], s[2:3], 0x0
	s_lshl_b32 s2, s6, 5
	s_lshl_b32 s3, s7, 5
	s_cmp_lt_i32 s13, 1
	s_cbranch_scc1 .LBB785_3
; %bb.1:
	v_lshl_add_u32 v4, v1, 4, v0
	s_load_dwordx2 s[6:7], s[4:5], 0x8
	s_load_dword s8, s[4:5], 0x10
	s_load_dwordx2 s[14:15], s[4:5], 0x20
	s_load_dword s16, s[4:5], 0x28
	v_and_b32_e32 v7, 31, v4
	v_lshrrev_b32_e32 v6, 3, v4
	v_and_b32_e32 v9, 7, v0
	v_lshrrev_b32_e32 v4, 5, v4
	v_lshlrev_b32_e32 v8, 3, v7
	s_waitcnt lgkmcnt(0)
	s_add_u32 s6, s6, s0
	v_lshl_or_b32 v15, v4, 8, v8
	v_lshlrev_b32_e32 v8, 3, v9
	s_addc_u32 s7, s7, s1
	v_add_u32_e32 v2, s3, v6
	v_mov_b32_e32 v10, 0
	v_lshl_or_b32 v6, v6, 6, v8
	s_add_u32 s0, s14, s0
	v_mov_b32_e32 v5, v10
	v_add_u32_e32 v16, 0x800, v6
	v_add_u32_e32 v6, s2, v7
	s_addc_u32 s1, s15, s1
	v_mad_i64_i32 v[4:5], s[14:15], s8, v6, v[4:5]
	s_load_dwordx2 s[6:7], s[6:7], 0x0
	v_mad_i64_i32 v[2:3], s[14:15], s16, v2, v[9:10]
	s_load_dwordx2 s[0:1], s[0:1], 0x0
	v_lshlrev_b64 v[4:5], 3, v[4:5]
	v_mov_b32_e32 v6, 0x800
	v_lshl_add_u32 v18, v1, 6, v6
	s_waitcnt lgkmcnt(0)
	v_mov_b32_e32 v7, s7
	v_add_co_u32_e32 v6, vcc, s6, v4
	v_lshlrev_b64 v[2:3], 3, v[2:3]
	v_addc_co_u32_e32 v7, vcc, v7, v5, vcc
	v_mov_b32_e32 v4, s1
	v_add_co_u32_e32 v8, vcc, s0, v2
	v_lshlrev_b32_e32 v17, 3, v0
	v_addc_co_u32_e32 v9, vcc, v4, v3, vcc
	v_mov_b32_e32 v11, v10
	v_mov_b32_e32 v19, v10
	;; [unrolled: 1-line block ×7, first 2 shown]
.LBB785_2:                              ; =>This Inner Loop Header: Depth=1
	flat_load_dwordx2 v[2:3], v[6:7]
	v_add_co_u32_e32 v6, vcc, 64, v6
	v_addc_co_u32_e32 v7, vcc, 0, v7, vcc
	s_add_i32 s9, s9, 8
	s_cmp_ge_i32 s9, s13
	s_waitcnt vmcnt(0) lgkmcnt(0)
	v_xor_b32_e32 v3, 0x80000000, v3
	ds_write_b64 v15, v[2:3]
	flat_load_dwordx2 v[2:3], v[8:9]
	v_add_co_u32_e32 v8, vcc, 64, v8
	v_addc_co_u32_e32 v9, vcc, 0, v9, vcc
	s_waitcnt vmcnt(0) lgkmcnt(0)
	ds_write_b64 v16, v[2:3]
	s_waitcnt lgkmcnt(0)
	s_barrier
	ds_read_b128 v[22:25], v18
	ds_read_b128 v[26:29], v18 offset:16
	ds_read_b128 v[30:33], v18 offset:32
	;; [unrolled: 1-line block ×3, first 2 shown]
	ds_read2_b64 v[34:37], v17 offset1:16
	s_waitcnt lgkmcnt(0)
	v_mul_f32_e32 v38, v23, v35
	v_mul_f32_e32 v39, v22, v35
	v_fma_f32 v38, v22, v34, -v38
	v_fmac_f32_e32 v39, v23, v34
	v_add_f32_e32 v14, v14, v38
	v_add_f32_e32 v38, v21, v39
	v_mul_f32_e32 v21, v23, v37
	v_fma_f32 v21, v22, v36, -v21
	v_mul_f32_e32 v22, v22, v37
	v_fmac_f32_e32 v22, v23, v36
	v_add_f32_e32 v39, v13, v21
	v_add_f32_e32 v40, v20, v22
	ds_read_b128 v[20:23], v18 offset:1024
	s_waitcnt lgkmcnt(0)
	v_mul_f32_e32 v13, v21, v35
	v_fma_f32 v13, v20, v34, -v13
	v_mul_f32_e32 v35, v20, v35
	v_fmac_f32_e32 v35, v21, v34
	v_add_f32_e32 v34, v12, v13
	v_mul_f32_e32 v12, v21, v37
	v_mul_f32_e32 v13, v20, v37
	v_fma_f32 v12, v20, v36, -v12
	v_fmac_f32_e32 v13, v21, v36
	v_add_f32_e32 v20, v11, v12
	v_add_f32_e32 v21, v10, v13
	ds_read2_b64 v[10:13], v17 offset0:32 offset1:48
	v_add_f32_e32 v19, v19, v35
	s_waitcnt lgkmcnt(0)
	v_mul_f32_e32 v35, v25, v11
	v_mul_f32_e32 v36, v24, v11
	v_fma_f32 v35, v24, v10, -v35
	v_fmac_f32_e32 v36, v25, v10
	v_add_f32_e32 v14, v14, v35
	v_add_f32_e32 v35, v38, v36
	v_mul_f32_e32 v36, v25, v13
	v_fma_f32 v36, v24, v12, -v36
	v_mul_f32_e32 v24, v24, v13
	v_fmac_f32_e32 v24, v25, v12
	v_add_f32_e32 v25, v39, v36
	v_mul_f32_e32 v36, v23, v11
	v_mul_f32_e32 v11, v22, v11
	v_fma_f32 v36, v22, v10, -v36
	v_fmac_f32_e32 v11, v23, v10
	v_add_f32_e32 v34, v34, v36
	v_add_f32_e32 v36, v19, v11
	v_mul_f32_e32 v10, v23, v13
	v_mul_f32_e32 v11, v22, v13
	v_fma_f32 v10, v22, v12, -v10
	v_fmac_f32_e32 v11, v23, v12
	v_add_f32_e32 v23, v20, v10
	v_add_f32_e32 v37, v21, v11
	ds_read2_b64 v[10:13], v17 offset0:64 offset1:80
	v_add_f32_e32 v24, v40, v24
	s_waitcnt lgkmcnt(0)
	v_mul_f32_e32 v19, v27, v11
	v_mul_f32_e32 v20, v26, v11
	v_fma_f32 v19, v26, v10, -v19
	v_fmac_f32_e32 v20, v27, v10
	v_add_f32_e32 v14, v14, v19
	v_add_f32_e32 v35, v35, v20
	v_mul_f32_e32 v19, v27, v13
	v_mul_f32_e32 v20, v26, v13
	v_fma_f32 v19, v26, v12, -v19
	v_fmac_f32_e32 v20, v27, v12
	v_add_f32_e32 v25, v25, v19
	v_add_f32_e32 v24, v24, v20
	ds_read_b128 v[19:22], v18 offset:1040
	s_waitcnt lgkmcnt(0)
	v_mul_f32_e32 v26, v20, v11
	v_mul_f32_e32 v11, v19, v11
	v_fmac_f32_e32 v11, v20, v10
	v_fma_f32 v26, v19, v10, -v26
	v_add_f32_e32 v27, v36, v11
	v_mul_f32_e32 v10, v20, v13
	v_mul_f32_e32 v11, v19, v13
	v_fma_f32 v10, v19, v12, -v10
	v_fmac_f32_e32 v11, v20, v12
	v_add_f32_e32 v19, v23, v10
	v_add_f32_e32 v20, v37, v11
	ds_read2_b64 v[10:13], v17 offset0:96 offset1:112
	v_add_f32_e32 v26, v34, v26
	s_waitcnt lgkmcnt(0)
	v_mul_f32_e32 v23, v29, v11
	v_mul_f32_e32 v34, v28, v11
	v_fma_f32 v23, v28, v10, -v23
	v_fmac_f32_e32 v34, v29, v10
	v_add_f32_e32 v14, v14, v23
	v_add_f32_e32 v23, v35, v34
	v_mul_f32_e32 v34, v29, v13
	v_fma_f32 v34, v28, v12, -v34
	v_mul_f32_e32 v28, v28, v13
	v_fmac_f32_e32 v28, v29, v12
	v_add_f32_e32 v24, v24, v28
	v_mul_f32_e32 v28, v22, v11
	v_mul_f32_e32 v11, v21, v11
	v_fmac_f32_e32 v11, v22, v10
	v_fma_f32 v28, v21, v10, -v28
	v_add_f32_e32 v27, v27, v11
	v_mul_f32_e32 v10, v22, v13
	v_mul_f32_e32 v11, v21, v13
	v_fma_f32 v10, v21, v12, -v10
	v_fmac_f32_e32 v11, v22, v12
	v_add_f32_e32 v26, v26, v28
	v_add_f32_e32 v28, v19, v10
	;; [unrolled: 1-line block ×3, first 2 shown]
	ds_read2_b64 v[10:13], v17 offset0:128 offset1:144
	v_add_f32_e32 v25, v25, v34
	s_waitcnt lgkmcnt(0)
	v_mul_f32_e32 v19, v31, v11
	v_mul_f32_e32 v20, v30, v11
	v_fma_f32 v19, v30, v10, -v19
	v_fmac_f32_e32 v20, v31, v10
	v_add_f32_e32 v14, v14, v19
	v_add_f32_e32 v23, v23, v20
	v_mul_f32_e32 v19, v31, v13
	v_mul_f32_e32 v20, v30, v13
	v_fma_f32 v19, v30, v12, -v19
	v_fmac_f32_e32 v20, v31, v12
	v_add_f32_e32 v25, v25, v19
	v_add_f32_e32 v24, v24, v20
	ds_read_b128 v[19:22], v18 offset:1056
	s_waitcnt lgkmcnt(0)
	v_mul_f32_e32 v30, v20, v11
	v_mul_f32_e32 v11, v19, v11
	v_fmac_f32_e32 v11, v20, v10
	v_fma_f32 v30, v19, v10, -v30
	v_add_f32_e32 v27, v27, v11
	v_mul_f32_e32 v10, v20, v13
	v_mul_f32_e32 v11, v19, v13
	v_fma_f32 v10, v19, v12, -v10
	v_fmac_f32_e32 v11, v20, v12
	v_add_f32_e32 v19, v28, v10
	v_add_f32_e32 v20, v29, v11
	ds_read2_b64 v[10:13], v17 offset0:160 offset1:176
	v_add_f32_e32 v26, v26, v30
	s_waitcnt lgkmcnt(0)
	v_mul_f32_e32 v28, v33, v11
	v_fma_f32 v28, v32, v10, -v28
	v_add_f32_e32 v14, v14, v28
	v_mul_f32_e32 v28, v33, v13
	v_fma_f32 v28, v32, v12, -v28
	v_mul_f32_e32 v29, v32, v11
	v_add_f32_e32 v25, v25, v28
	v_mul_f32_e32 v28, v22, v11
	v_mul_f32_e32 v11, v21, v11
	v_fmac_f32_e32 v11, v22, v10
	v_fmac_f32_e32 v29, v33, v10
	v_fma_f32 v28, v21, v10, -v28
	v_add_f32_e32 v27, v27, v11
	v_mul_f32_e32 v10, v22, v13
	v_mul_f32_e32 v11, v21, v13
	v_add_f32_e32 v23, v23, v29
	v_mul_f32_e32 v29, v32, v13
	v_fma_f32 v10, v21, v12, -v10
	v_fmac_f32_e32 v11, v22, v12
	v_fmac_f32_e32 v29, v33, v12
	v_add_f32_e32 v26, v26, v28
	v_add_f32_e32 v19, v19, v10
	;; [unrolled: 1-line block ×3, first 2 shown]
	ds_read2_b64 v[10:13], v17 offset0:192 offset1:208
	v_add_f32_e32 v24, v24, v29
	s_waitcnt lgkmcnt(0)
	v_mul_f32_e32 v20, v3, v11
	v_fma_f32 v20, v2, v10, -v20
	v_mul_f32_e32 v21, v2, v11
	v_add_f32_e32 v14, v14, v20
	v_mul_f32_e32 v20, v3, v13
	v_fmac_f32_e32 v21, v3, v10
	v_fma_f32 v20, v2, v12, -v20
	v_mul_f32_e32 v2, v2, v13
	v_add_f32_e32 v29, v23, v21
	v_fmac_f32_e32 v2, v3, v12
	v_add_f32_e32 v3, v25, v20
	ds_read_b128 v[20:23], v18 offset:1072
	v_add_f32_e32 v2, v24, v2
	s_waitcnt lgkmcnt(0)
	v_mul_f32_e32 v24, v21, v11
	v_fma_f32 v24, v20, v10, -v24
	v_mul_f32_e32 v11, v20, v11
	v_fmac_f32_e32 v11, v21, v10
	v_add_f32_e32 v10, v26, v24
	v_mul_f32_e32 v24, v21, v13
	v_fma_f32 v24, v20, v12, -v24
	v_add_f32_e32 v11, v27, v11
	v_add_f32_e32 v30, v19, v24
	ds_read2_b64 v[24:27], v17 offset0:224 offset1:240
	v_mul_f32_e32 v13, v20, v13
	v_fmac_f32_e32 v13, v21, v12
	v_add_f32_e32 v28, v28, v13
	s_waitcnt lgkmcnt(0)
	v_mul_f32_e32 v12, v5, v25
	v_fma_f32 v12, v4, v24, -v12
	v_add_f32_e32 v14, v14, v12
	v_mul_f32_e32 v12, v5, v27
	v_mul_f32_e32 v13, v4, v25
	v_fma_f32 v12, v4, v26, -v12
	v_mul_f32_e32 v4, v4, v27
	v_fmac_f32_e32 v13, v5, v24
	v_fmac_f32_e32 v4, v5, v26
	v_add_f32_e32 v21, v29, v13
	v_add_f32_e32 v13, v3, v12
	;; [unrolled: 1-line block ×3, first 2 shown]
	v_mul_f32_e32 v2, v23, v25
	v_mul_f32_e32 v3, v22, v25
	v_fma_f32 v2, v22, v24, -v2
	v_fmac_f32_e32 v3, v23, v24
	v_add_f32_e32 v12, v10, v2
	v_add_f32_e32 v19, v11, v3
	v_mul_f32_e32 v2, v23, v27
	v_mul_f32_e32 v3, v22, v27
	v_fma_f32 v2, v22, v26, -v2
	v_fmac_f32_e32 v3, v23, v26
	v_add_f32_e32 v11, v30, v2
	v_add_f32_e32 v10, v28, v3
	s_barrier
	s_cbranch_scc0 .LBB785_2
	s_branch .LBB785_4
.LBB785_3:
	v_mov_b32_e32 v21, 0
	v_mov_b32_e32 v14, 0
	;; [unrolled: 1-line block ×8, first 2 shown]
.LBB785_4:
	s_load_dword s6, s[4:5], 0x40
	v_add_u32_e32 v4, s3, v1
	s_waitcnt lgkmcnt(0)
	v_mov_b32_e32 v3, s11
	v_add_u32_e32 v0, s2, v0
	v_mad_i64_i32 v[1:2], s[0:1], v4, s6, 0
	v_cmp_le_i32_e64 s[0:1], v4, v0
	v_lshlrev_b64 v[1:2], 3, v[1:2]
	v_add_co_u32_e32 v5, vcc, s10, v1
	v_addc_co_u32_e32 v6, vcc, v3, v2, vcc
	v_cmp_gt_i32_e32 vcc, s12, v0
	s_and_b64 s[0:1], s[0:1], vcc
	s_and_saveexec_b64 s[2:3], s[0:1]
	s_cbranch_execz .LBB785_6
; %bb.5:
	v_ashrrev_i32_e32 v1, 31, v0
	v_lshlrev_b64 v[1:2], 3, v[0:1]
	v_add_co_u32_e64 v1, s[0:1], v5, v1
	v_addc_co_u32_e64 v2, s[0:1], v6, v2, s[0:1]
	v_cmp_ne_u32_e64 s[0:1], v4, v0
	v_cndmask_b32_e64 v15, 0, v21, s[0:1]
	flat_store_dwordx2 v[1:2], v[14:15]
.LBB785_6:
	s_or_b64 exec, exec, s[2:3]
	v_add_u32_e32 v2, 16, v0
	v_cmp_le_i32_e64 s[2:3], v4, v2
	v_cmp_gt_i32_e64 s[0:1], s12, v2
	s_and_b64 s[2:3], s[2:3], s[0:1]
	s_and_saveexec_b64 s[4:5], s[2:3]
	s_cbranch_execz .LBB785_8
; %bb.7:
	v_ashrrev_i32_e32 v3, 31, v2
	v_lshlrev_b64 v[7:8], 3, v[2:3]
	v_add_co_u32_e64 v5, s[2:3], v5, v7
	v_addc_co_u32_e64 v6, s[2:3], v6, v8, s[2:3]
	v_cmp_ne_u32_e64 s[2:3], v4, v2
	v_cndmask_b32_e64 v14, 0, v20, s[2:3]
	flat_store_dwordx2 v[5:6], v[13:14]
.LBB785_8:
	s_or_b64 exec, exec, s[4:5]
	v_add_u32_e32 v3, 16, v4
	v_mad_i64_i32 v[5:6], s[2:3], v3, s6, 0
	v_mov_b32_e32 v1, s11
	v_lshlrev_b64 v[5:6], 3, v[5:6]
	v_add_co_u32_e64 v5, s[2:3], s10, v5
	v_addc_co_u32_e64 v6, s[2:3], v1, v6, s[2:3]
	v_cmp_le_i32_e64 s[2:3], v3, v0
	s_and_b64 s[4:5], s[2:3], vcc
	s_and_saveexec_b64 s[2:3], s[4:5]
	s_cbranch_execz .LBB785_10
; %bb.9:
	v_ashrrev_i32_e32 v1, 31, v0
	v_lshlrev_b64 v[7:8], 3, v[0:1]
	v_add_co_u32_e32 v7, vcc, v5, v7
	v_addc_co_u32_e32 v8, vcc, v6, v8, vcc
	v_cmp_ne_u32_e32 vcc, v3, v0
	v_cndmask_b32_e32 v13, 0, v19, vcc
	flat_store_dwordx2 v[7:8], v[12:13]
.LBB785_10:
	s_or_b64 exec, exec, s[2:3]
	v_cmp_le_i32_e32 vcc, v3, v2
	s_and_b64 s[0:1], vcc, s[0:1]
	s_and_saveexec_b64 s[2:3], s[0:1]
	s_cbranch_execz .LBB785_12
; %bb.11:
	v_ashrrev_i32_e32 v3, 31, v2
	v_lshlrev_b64 v[1:2], 3, v[2:3]
	v_add_co_u32_e32 v1, vcc, v5, v1
	v_addc_co_u32_e32 v2, vcc, v6, v2, vcc
	v_cmp_ne_u32_e32 vcc, v4, v0
	v_cndmask_b32_e32 v12, 0, v10, vcc
	flat_store_dwordx2 v[1:2], v[11:12]
.LBB785_12:
	s_endpgm
	.section	.rodata,"a",@progbits
	.p2align	6, 0x0
	.amdhsa_kernel _ZL37rocblas_syrkx_herkx_restricted_kernelIi19rocblas_complex_numIfELi16ELi32ELi8ELi1ELi0ELb1ELc67ELc76EKPKS1_KPS1_EviT_PT9_S7_lS9_S7_lPT10_S7_li
		.amdhsa_group_segment_fixed_size 4096
		.amdhsa_private_segment_fixed_size 0
		.amdhsa_kernarg_size 84
		.amdhsa_user_sgpr_count 6
		.amdhsa_user_sgpr_private_segment_buffer 1
		.amdhsa_user_sgpr_dispatch_ptr 0
		.amdhsa_user_sgpr_queue_ptr 0
		.amdhsa_user_sgpr_kernarg_segment_ptr 1
		.amdhsa_user_sgpr_dispatch_id 0
		.amdhsa_user_sgpr_flat_scratch_init 0
		.amdhsa_user_sgpr_private_segment_size 0
		.amdhsa_uses_dynamic_stack 0
		.amdhsa_system_sgpr_private_segment_wavefront_offset 0
		.amdhsa_system_sgpr_workgroup_id_x 1
		.amdhsa_system_sgpr_workgroup_id_y 1
		.amdhsa_system_sgpr_workgroup_id_z 1
		.amdhsa_system_sgpr_workgroup_info 0
		.amdhsa_system_vgpr_workitem_id 1
		.amdhsa_next_free_vgpr 41
		.amdhsa_next_free_sgpr 17
		.amdhsa_reserve_vcc 1
		.amdhsa_reserve_flat_scratch 0
		.amdhsa_float_round_mode_32 0
		.amdhsa_float_round_mode_16_64 0
		.amdhsa_float_denorm_mode_32 3
		.amdhsa_float_denorm_mode_16_64 3
		.amdhsa_dx10_clamp 1
		.amdhsa_ieee_mode 1
		.amdhsa_fp16_overflow 0
		.amdhsa_exception_fp_ieee_invalid_op 0
		.amdhsa_exception_fp_denorm_src 0
		.amdhsa_exception_fp_ieee_div_zero 0
		.amdhsa_exception_fp_ieee_overflow 0
		.amdhsa_exception_fp_ieee_underflow 0
		.amdhsa_exception_fp_ieee_inexact 0
		.amdhsa_exception_int_div_zero 0
	.end_amdhsa_kernel
	.section	.text._ZL37rocblas_syrkx_herkx_restricted_kernelIi19rocblas_complex_numIfELi16ELi32ELi8ELi1ELi0ELb1ELc67ELc76EKPKS1_KPS1_EviT_PT9_S7_lS9_S7_lPT10_S7_li,"axG",@progbits,_ZL37rocblas_syrkx_herkx_restricted_kernelIi19rocblas_complex_numIfELi16ELi32ELi8ELi1ELi0ELb1ELc67ELc76EKPKS1_KPS1_EviT_PT9_S7_lS9_S7_lPT10_S7_li,comdat
.Lfunc_end785:
	.size	_ZL37rocblas_syrkx_herkx_restricted_kernelIi19rocblas_complex_numIfELi16ELi32ELi8ELi1ELi0ELb1ELc67ELc76EKPKS1_KPS1_EviT_PT9_S7_lS9_S7_lPT10_S7_li, .Lfunc_end785-_ZL37rocblas_syrkx_herkx_restricted_kernelIi19rocblas_complex_numIfELi16ELi32ELi8ELi1ELi0ELb1ELc67ELc76EKPKS1_KPS1_EviT_PT9_S7_lS9_S7_lPT10_S7_li
                                        ; -- End function
	.set _ZL37rocblas_syrkx_herkx_restricted_kernelIi19rocblas_complex_numIfELi16ELi32ELi8ELi1ELi0ELb1ELc67ELc76EKPKS1_KPS1_EviT_PT9_S7_lS9_S7_lPT10_S7_li.num_vgpr, 41
	.set _ZL37rocblas_syrkx_herkx_restricted_kernelIi19rocblas_complex_numIfELi16ELi32ELi8ELi1ELi0ELb1ELc67ELc76EKPKS1_KPS1_EviT_PT9_S7_lS9_S7_lPT10_S7_li.num_agpr, 0
	.set _ZL37rocblas_syrkx_herkx_restricted_kernelIi19rocblas_complex_numIfELi16ELi32ELi8ELi1ELi0ELb1ELc67ELc76EKPKS1_KPS1_EviT_PT9_S7_lS9_S7_lPT10_S7_li.numbered_sgpr, 17
	.set _ZL37rocblas_syrkx_herkx_restricted_kernelIi19rocblas_complex_numIfELi16ELi32ELi8ELi1ELi0ELb1ELc67ELc76EKPKS1_KPS1_EviT_PT9_S7_lS9_S7_lPT10_S7_li.num_named_barrier, 0
	.set _ZL37rocblas_syrkx_herkx_restricted_kernelIi19rocblas_complex_numIfELi16ELi32ELi8ELi1ELi0ELb1ELc67ELc76EKPKS1_KPS1_EviT_PT9_S7_lS9_S7_lPT10_S7_li.private_seg_size, 0
	.set _ZL37rocblas_syrkx_herkx_restricted_kernelIi19rocblas_complex_numIfELi16ELi32ELi8ELi1ELi0ELb1ELc67ELc76EKPKS1_KPS1_EviT_PT9_S7_lS9_S7_lPT10_S7_li.uses_vcc, 1
	.set _ZL37rocblas_syrkx_herkx_restricted_kernelIi19rocblas_complex_numIfELi16ELi32ELi8ELi1ELi0ELb1ELc67ELc76EKPKS1_KPS1_EviT_PT9_S7_lS9_S7_lPT10_S7_li.uses_flat_scratch, 0
	.set _ZL37rocblas_syrkx_herkx_restricted_kernelIi19rocblas_complex_numIfELi16ELi32ELi8ELi1ELi0ELb1ELc67ELc76EKPKS1_KPS1_EviT_PT9_S7_lS9_S7_lPT10_S7_li.has_dyn_sized_stack, 0
	.set _ZL37rocblas_syrkx_herkx_restricted_kernelIi19rocblas_complex_numIfELi16ELi32ELi8ELi1ELi0ELb1ELc67ELc76EKPKS1_KPS1_EviT_PT9_S7_lS9_S7_lPT10_S7_li.has_recursion, 0
	.set _ZL37rocblas_syrkx_herkx_restricted_kernelIi19rocblas_complex_numIfELi16ELi32ELi8ELi1ELi0ELb1ELc67ELc76EKPKS1_KPS1_EviT_PT9_S7_lS9_S7_lPT10_S7_li.has_indirect_call, 0
	.section	.AMDGPU.csdata,"",@progbits
; Kernel info:
; codeLenInByte = 1876
; TotalNumSgprs: 21
; NumVgprs: 41
; ScratchSize: 0
; MemoryBound: 0
; FloatMode: 240
; IeeeMode: 1
; LDSByteSize: 4096 bytes/workgroup (compile time only)
; SGPRBlocks: 2
; VGPRBlocks: 10
; NumSGPRsForWavesPerEU: 21
; NumVGPRsForWavesPerEU: 41
; Occupancy: 5
; WaveLimiterHint : 1
; COMPUTE_PGM_RSRC2:SCRATCH_EN: 0
; COMPUTE_PGM_RSRC2:USER_SGPR: 6
; COMPUTE_PGM_RSRC2:TRAP_HANDLER: 0
; COMPUTE_PGM_RSRC2:TGID_X_EN: 1
; COMPUTE_PGM_RSRC2:TGID_Y_EN: 1
; COMPUTE_PGM_RSRC2:TGID_Z_EN: 1
; COMPUTE_PGM_RSRC2:TIDIG_COMP_CNT: 1
	.section	.text._ZL37rocblas_syrkx_herkx_restricted_kernelIi19rocblas_complex_numIfELi16ELi32ELi8ELi1ELi0ELb1ELc78ELc76EKPKS1_KPS1_EviT_PT9_S7_lS9_S7_lPT10_S7_li,"axG",@progbits,_ZL37rocblas_syrkx_herkx_restricted_kernelIi19rocblas_complex_numIfELi16ELi32ELi8ELi1ELi0ELb1ELc78ELc76EKPKS1_KPS1_EviT_PT9_S7_lS9_S7_lPT10_S7_li,comdat
	.globl	_ZL37rocblas_syrkx_herkx_restricted_kernelIi19rocblas_complex_numIfELi16ELi32ELi8ELi1ELi0ELb1ELc78ELc76EKPKS1_KPS1_EviT_PT9_S7_lS9_S7_lPT10_S7_li ; -- Begin function _ZL37rocblas_syrkx_herkx_restricted_kernelIi19rocblas_complex_numIfELi16ELi32ELi8ELi1ELi0ELb1ELc78ELc76EKPKS1_KPS1_EviT_PT9_S7_lS9_S7_lPT10_S7_li
	.p2align	8
	.type	_ZL37rocblas_syrkx_herkx_restricted_kernelIi19rocblas_complex_numIfELi16ELi32ELi8ELi1ELi0ELb1ELc78ELc76EKPKS1_KPS1_EviT_PT9_S7_lS9_S7_lPT10_S7_li,@function
_ZL37rocblas_syrkx_herkx_restricted_kernelIi19rocblas_complex_numIfELi16ELi32ELi8ELi1ELi0ELb1ELc78ELc76EKPKS1_KPS1_EviT_PT9_S7_lS9_S7_lPT10_S7_li: ; @_ZL37rocblas_syrkx_herkx_restricted_kernelIi19rocblas_complex_numIfELi16ELi32ELi8ELi1ELi0ELb1ELc78ELc76EKPKS1_KPS1_EviT_PT9_S7_lS9_S7_lPT10_S7_li
; %bb.0:
	s_load_dwordx2 s[2:3], s[4:5], 0x38
	s_load_dwordx2 s[12:13], s[4:5], 0x0
	s_mov_b32 s9, 0
	s_lshl_b64 s[0:1], s[8:9], 3
	s_waitcnt lgkmcnt(0)
	s_add_u32 s2, s2, s0
	s_addc_u32 s3, s3, s1
	s_load_dwordx2 s[10:11], s[2:3], 0x0
	s_lshl_b32 s6, s6, 5
	s_lshl_b32 s7, s7, 5
	s_cmp_lt_i32 s13, 1
	s_cbranch_scc1 .LBB786_3
; %bb.1:
	s_load_dword s2, s[4:5], 0x10
	s_load_dword s14, s[4:5], 0x28
	s_load_dwordx2 s[16:17], s[4:5], 0x20
	s_load_dwordx2 s[18:19], s[4:5], 0x8
	v_lshl_add_u32 v5, v1, 4, v0
	s_waitcnt lgkmcnt(0)
	s_ashr_i32 s3, s2, 31
	s_ashr_i32 s15, s14, 31
	v_lshrrev_b32_e32 v6, 3, v5
	s_add_u32 s18, s18, s0
	s_addc_u32 s19, s19, s1
	s_add_u32 s0, s16, s0
	v_add_u32_e32 v2, s7, v6
	s_addc_u32 s1, s17, s1
	v_and_b32_e32 v4, 7, v0
	v_ashrrev_i32_e32 v3, 31, v2
	s_load_dwordx2 s[16:17], s[0:1], 0x0
	v_mad_i64_i32 v[2:3], s[0:1], s14, v4, v[2:3]
	v_lshlrev_b32_e32 v4, 3, v4
	v_lshrrev_b32_e32 v7, 5, v5
	v_and_b32_e32 v5, 31, v5
	v_lshl_or_b32 v4, v6, 6, v4
	v_add_u32_e32 v15, 0x800, v4
	v_add_u32_e32 v4, s6, v5
	v_lshlrev_b32_e32 v8, 3, v5
	v_ashrrev_i32_e32 v5, 31, v4
	v_mad_i64_i32 v[4:5], s[0:1], s2, v7, v[4:5]
	s_load_dwordx2 s[18:19], s[18:19], 0x0
	v_mov_b32_e32 v6, 0x800
	v_lshlrev_b64 v[4:5], 3, v[4:5]
	v_lshl_or_b32 v14, v7, 8, v8
	v_lshl_add_u32 v17, v1, 6, v6
	s_waitcnt lgkmcnt(0)
	v_mov_b32_e32 v7, s19
	v_add_co_u32_e32 v6, vcc, s18, v4
	v_lshlrev_b64 v[2:3], 3, v[2:3]
	v_addc_co_u32_e32 v7, vcc, v7, v5, vcc
	s_lshl_b64 s[0:1], s[2:3], 6
	v_mov_b32_e32 v4, s17
	v_add_co_u32_e32 v8, vcc, s16, v2
	s_lshl_b64 s[2:3], s[14:15], 6
	v_lshlrev_b32_e32 v16, 3, v0
	v_addc_co_u32_e32 v9, vcc, v4, v3, vcc
	v_mov_b32_e32 v20, 0
	v_mov_b32_e32 v18, s1
	;; [unrolled: 1-line block ×10, first 2 shown]
.LBB786_2:                              ; =>This Inner Loop Header: Depth=1
	flat_load_dwordx2 v[2:3], v[6:7]
	v_add_co_u32_e32 v6, vcc, s0, v6
	v_addc_co_u32_e32 v7, vcc, v7, v18, vcc
	s_add_i32 s9, s9, 8
	s_cmp_ge_i32 s9, s13
	s_waitcnt vmcnt(0) lgkmcnt(0)
	ds_write_b64 v14, v[2:3]
	flat_load_dwordx2 v[2:3], v[8:9]
	v_add_co_u32_e32 v8, vcc, s2, v8
	v_addc_co_u32_e32 v9, vcc, v9, v19, vcc
	s_waitcnt vmcnt(0) lgkmcnt(0)
	v_xor_b32_e32 v3, 0x80000000, v3
	ds_write_b64 v15, v[2:3]
	s_waitcnt lgkmcnt(0)
	s_barrier
	ds_read_b128 v[24:27], v17
	ds_read_b128 v[28:31], v17 offset:16
	ds_read_b128 v[32:35], v17 offset:32
	;; [unrolled: 1-line block ×3, first 2 shown]
	ds_read2_b64 v[36:39], v16 offset1:16
	s_waitcnt lgkmcnt(0)
	v_mul_f32_e32 v41, v24, v37
	v_mul_f32_e32 v40, v25, v37
	v_fmac_f32_e32 v41, v25, v36
	v_fma_f32 v40, v24, v36, -v40
	v_add_f32_e32 v41, v23, v41
	v_mul_f32_e32 v23, v24, v39
	v_add_f32_e32 v40, v13, v40
	v_mul_f32_e32 v13, v25, v39
	v_fmac_f32_e32 v23, v25, v38
	v_fma_f32 v13, v24, v38, -v13
	v_add_f32_e32 v43, v22, v23
	ds_read_b128 v[22:25], v17 offset:1024
	v_add_f32_e32 v42, v12, v13
	s_waitcnt lgkmcnt(0)
	v_mul_f32_e32 v12, v23, v37
	v_fma_f32 v12, v22, v36, -v12
	v_mul_f32_e32 v13, v22, v37
	v_fmac_f32_e32 v13, v23, v36
	v_add_f32_e32 v36, v11, v12
	v_mul_f32_e32 v11, v23, v39
	v_mul_f32_e32 v12, v22, v39
	v_fma_f32 v11, v22, v38, -v11
	v_fmac_f32_e32 v12, v23, v38
	v_add_f32_e32 v21, v21, v13
	v_add_f32_e32 v22, v10, v11
	;; [unrolled: 1-line block ×3, first 2 shown]
	ds_read2_b64 v[10:13], v16 offset0:32 offset1:48
	s_waitcnt lgkmcnt(0)
	v_mul_f32_e32 v23, v27, v11
	v_mul_f32_e32 v38, v27, v13
	v_fma_f32 v23, v26, v10, -v23
	v_mul_f32_e32 v37, v26, v11
	v_fma_f32 v38, v26, v12, -v38
	v_mul_f32_e32 v26, v26, v13
	v_fmac_f32_e32 v37, v27, v10
	v_fmac_f32_e32 v26, v27, v12
	v_add_f32_e32 v27, v42, v38
	v_mul_f32_e32 v38, v25, v11
	v_mul_f32_e32 v11, v24, v11
	v_fma_f32 v38, v24, v10, -v38
	v_fmac_f32_e32 v11, v25, v10
	v_add_f32_e32 v36, v36, v38
	v_add_f32_e32 v38, v21, v11
	v_mul_f32_e32 v10, v25, v13
	v_mul_f32_e32 v11, v24, v13
	v_fma_f32 v10, v24, v12, -v10
	v_fmac_f32_e32 v11, v25, v12
	v_add_f32_e32 v24, v22, v10
	v_add_f32_e32 v25, v20, v11
	ds_read2_b64 v[10:13], v16 offset0:64 offset1:80
	v_add_f32_e32 v23, v40, v23
	v_add_f32_e32 v37, v41, v37
	;; [unrolled: 1-line block ×3, first 2 shown]
	s_waitcnt lgkmcnt(0)
	v_mul_f32_e32 v20, v29, v11
	v_mul_f32_e32 v21, v28, v11
	v_fma_f32 v20, v28, v10, -v20
	v_fmac_f32_e32 v21, v29, v10
	v_add_f32_e32 v39, v23, v20
	v_add_f32_e32 v37, v37, v21
	v_mul_f32_e32 v20, v29, v13
	v_mul_f32_e32 v21, v28, v13
	v_fma_f32 v20, v28, v12, -v20
	v_fmac_f32_e32 v21, v29, v12
	v_add_f32_e32 v27, v27, v20
	v_add_f32_e32 v26, v26, v21
	ds_read_b128 v[20:23], v17 offset:1040
	s_waitcnt lgkmcnt(0)
	v_mul_f32_e32 v28, v21, v11
	v_mul_f32_e32 v11, v20, v11
	v_fmac_f32_e32 v11, v21, v10
	v_fma_f32 v28, v20, v10, -v28
	v_add_f32_e32 v29, v38, v11
	v_mul_f32_e32 v10, v21, v13
	v_mul_f32_e32 v11, v20, v13
	v_fma_f32 v10, v20, v12, -v10
	v_fmac_f32_e32 v11, v21, v12
	v_add_f32_e32 v20, v24, v10
	v_add_f32_e32 v21, v25, v11
	ds_read2_b64 v[10:13], v16 offset0:96 offset1:112
	v_add_f32_e32 v28, v36, v28
	s_waitcnt lgkmcnt(0)
	v_mul_f32_e32 v24, v31, v11
	v_mul_f32_e32 v36, v31, v13
	v_fma_f32 v24, v30, v10, -v24
	v_mul_f32_e32 v25, v30, v11
	v_fma_f32 v36, v30, v12, -v36
	v_mul_f32_e32 v30, v30, v13
	v_fmac_f32_e32 v30, v31, v12
	v_add_f32_e32 v26, v26, v30
	v_mul_f32_e32 v30, v23, v11
	v_mul_f32_e32 v11, v22, v11
	v_fmac_f32_e32 v11, v23, v10
	v_fmac_f32_e32 v25, v31, v10
	v_fma_f32 v30, v22, v10, -v30
	v_add_f32_e32 v29, v29, v11
	v_mul_f32_e32 v10, v23, v13
	v_mul_f32_e32 v11, v22, v13
	v_fma_f32 v10, v22, v12, -v10
	v_fmac_f32_e32 v11, v23, v12
	v_add_f32_e32 v28, v28, v30
	v_add_f32_e32 v30, v20, v10
	;; [unrolled: 1-line block ×3, first 2 shown]
	ds_read2_b64 v[10:13], v16 offset0:128 offset1:144
	v_add_f32_e32 v24, v39, v24
	v_add_f32_e32 v25, v37, v25
	;; [unrolled: 1-line block ×3, first 2 shown]
	s_waitcnt lgkmcnt(0)
	v_mul_f32_e32 v20, v33, v11
	v_mul_f32_e32 v21, v32, v11
	v_fma_f32 v20, v32, v10, -v20
	v_fmac_f32_e32 v21, v33, v10
	v_add_f32_e32 v24, v24, v20
	v_add_f32_e32 v25, v25, v21
	v_mul_f32_e32 v20, v33, v13
	v_mul_f32_e32 v21, v32, v13
	v_fma_f32 v20, v32, v12, -v20
	v_fmac_f32_e32 v21, v33, v12
	v_add_f32_e32 v27, v27, v20
	v_add_f32_e32 v26, v26, v21
	ds_read_b128 v[20:23], v17 offset:1056
	s_waitcnt lgkmcnt(0)
	v_mul_f32_e32 v32, v21, v11
	v_mul_f32_e32 v11, v20, v11
	v_fmac_f32_e32 v11, v21, v10
	v_fma_f32 v32, v20, v10, -v32
	v_add_f32_e32 v29, v29, v11
	v_mul_f32_e32 v10, v21, v13
	v_mul_f32_e32 v11, v20, v13
	v_fma_f32 v10, v20, v12, -v10
	v_fmac_f32_e32 v11, v21, v12
	v_add_f32_e32 v20, v30, v10
	v_add_f32_e32 v21, v31, v11
	ds_read2_b64 v[10:13], v16 offset0:160 offset1:176
	v_add_f32_e32 v28, v28, v32
	s_waitcnt lgkmcnt(0)
	v_mul_f32_e32 v30, v35, v11
	v_fma_f32 v30, v34, v10, -v30
	v_add_f32_e32 v24, v24, v30
	v_mul_f32_e32 v30, v35, v13
	v_fma_f32 v30, v34, v12, -v30
	v_mul_f32_e32 v31, v34, v11
	v_add_f32_e32 v27, v27, v30
	v_mul_f32_e32 v30, v23, v11
	v_mul_f32_e32 v11, v22, v11
	v_fmac_f32_e32 v11, v23, v10
	v_fmac_f32_e32 v31, v35, v10
	v_fma_f32 v30, v22, v10, -v30
	v_add_f32_e32 v29, v29, v11
	v_mul_f32_e32 v10, v23, v13
	v_mul_f32_e32 v11, v22, v13
	v_add_f32_e32 v25, v25, v31
	v_mul_f32_e32 v31, v34, v13
	v_fma_f32 v10, v22, v12, -v10
	v_fmac_f32_e32 v11, v23, v12
	v_fmac_f32_e32 v31, v35, v12
	v_add_f32_e32 v20, v20, v10
	v_add_f32_e32 v21, v21, v11
	ds_read2_b64 v[10:13], v16 offset0:192 offset1:208
	v_add_f32_e32 v28, v28, v30
	v_add_f32_e32 v26, v26, v31
	s_waitcnt lgkmcnt(0)
	v_mul_f32_e32 v22, v3, v11
	v_fma_f32 v22, v2, v10, -v22
	v_mul_f32_e32 v23, v2, v11
	v_add_f32_e32 v30, v24, v22
	v_mul_f32_e32 v22, v3, v13
	v_fmac_f32_e32 v23, v3, v10
	v_fma_f32 v22, v2, v12, -v22
	v_mul_f32_e32 v2, v2, v13
	v_add_f32_e32 v31, v25, v23
	v_fmac_f32_e32 v2, v3, v12
	v_add_f32_e32 v3, v27, v22
	ds_read_b128 v[22:25], v17 offset:1072
	v_add_f32_e32 v2, v26, v2
	s_waitcnt lgkmcnt(0)
	v_mul_f32_e32 v26, v23, v11
	v_mul_f32_e32 v11, v22, v11
	v_fma_f32 v26, v22, v10, -v26
	v_fmac_f32_e32 v11, v23, v10
	v_add_f32_e32 v10, v28, v26
	v_add_f32_e32 v32, v29, v11
	ds_read2_b64 v[26:29], v16 offset0:224 offset1:240
	v_mul_f32_e32 v11, v23, v13
	v_fma_f32 v11, v22, v12, -v11
	v_mul_f32_e32 v13, v22, v13
	v_add_f32_e32 v20, v20, v11
	s_waitcnt lgkmcnt(0)
	v_mul_f32_e32 v11, v5, v27
	v_fmac_f32_e32 v13, v23, v12
	v_fma_f32 v11, v4, v26, -v11
	v_add_f32_e32 v33, v21, v13
	v_add_f32_e32 v13, v30, v11
	v_mul_f32_e32 v11, v5, v29
	v_mul_f32_e32 v12, v4, v27
	v_fma_f32 v11, v4, v28, -v11
	v_mul_f32_e32 v4, v4, v29
	v_fmac_f32_e32 v12, v5, v26
	v_fmac_f32_e32 v4, v5, v28
	v_add_f32_e32 v23, v31, v12
	v_add_f32_e32 v12, v3, v11
	;; [unrolled: 1-line block ×3, first 2 shown]
	v_mul_f32_e32 v2, v25, v27
	v_mul_f32_e32 v3, v24, v27
	v_fma_f32 v2, v24, v26, -v2
	v_fmac_f32_e32 v3, v25, v26
	v_add_f32_e32 v11, v10, v2
	v_add_f32_e32 v21, v32, v3
	v_mul_f32_e32 v2, v25, v29
	v_mul_f32_e32 v3, v24, v29
	v_fma_f32 v2, v24, v28, -v2
	v_fmac_f32_e32 v3, v25, v28
	v_add_f32_e32 v10, v20, v2
	v_add_f32_e32 v20, v33, v3
	s_barrier
	s_cbranch_scc0 .LBB786_2
	s_branch .LBB786_4
.LBB786_3:
	v_mov_b32_e32 v23, 0
	v_mov_b32_e32 v13, 0
	;; [unrolled: 1-line block ×8, first 2 shown]
.LBB786_4:
	s_load_dword s8, s[4:5], 0x40
	v_add_u32_e32 v4, s7, v1
	s_waitcnt lgkmcnt(0)
	v_mov_b32_e32 v3, s11
	v_add_u32_e32 v0, s6, v0
	v_mad_i64_i32 v[1:2], s[0:1], v4, s8, 0
	v_cmp_le_i32_e64 s[0:1], v4, v0
	v_lshlrev_b64 v[1:2], 3, v[1:2]
	v_add_co_u32_e32 v5, vcc, s10, v1
	v_addc_co_u32_e32 v6, vcc, v3, v2, vcc
	v_cmp_gt_i32_e32 vcc, s12, v0
	s_and_b64 s[0:1], s[0:1], vcc
	s_and_saveexec_b64 s[2:3], s[0:1]
	s_cbranch_execz .LBB786_6
; %bb.5:
	v_ashrrev_i32_e32 v1, 31, v0
	v_lshlrev_b64 v[1:2], 3, v[0:1]
	v_add_co_u32_e64 v1, s[0:1], v5, v1
	v_addc_co_u32_e64 v2, s[0:1], v6, v2, s[0:1]
	v_cmp_ne_u32_e64 s[0:1], v4, v0
	v_cndmask_b32_e64 v14, 0, v23, s[0:1]
	flat_store_dwordx2 v[1:2], v[13:14]
.LBB786_6:
	s_or_b64 exec, exec, s[2:3]
	v_add_u32_e32 v2, 16, v0
	v_cmp_le_i32_e64 s[2:3], v4, v2
	v_cmp_gt_i32_e64 s[0:1], s12, v2
	s_and_b64 s[2:3], s[2:3], s[0:1]
	s_and_saveexec_b64 s[4:5], s[2:3]
	s_cbranch_execz .LBB786_8
; %bb.7:
	v_ashrrev_i32_e32 v3, 31, v2
	v_lshlrev_b64 v[7:8], 3, v[2:3]
	v_add_co_u32_e64 v5, s[2:3], v5, v7
	v_addc_co_u32_e64 v6, s[2:3], v6, v8, s[2:3]
	v_cmp_ne_u32_e64 s[2:3], v4, v2
	v_cndmask_b32_e64 v13, 0, v22, s[2:3]
	flat_store_dwordx2 v[5:6], v[12:13]
.LBB786_8:
	s_or_b64 exec, exec, s[4:5]
	v_add_u32_e32 v3, 16, v4
	v_mad_i64_i32 v[5:6], s[2:3], v3, s8, 0
	v_mov_b32_e32 v1, s11
	v_lshlrev_b64 v[5:6], 3, v[5:6]
	v_add_co_u32_e64 v5, s[2:3], s10, v5
	v_addc_co_u32_e64 v6, s[2:3], v1, v6, s[2:3]
	v_cmp_le_i32_e64 s[2:3], v3, v0
	s_and_b64 s[4:5], s[2:3], vcc
	s_and_saveexec_b64 s[2:3], s[4:5]
	s_cbranch_execz .LBB786_10
; %bb.9:
	v_ashrrev_i32_e32 v1, 31, v0
	v_lshlrev_b64 v[7:8], 3, v[0:1]
	v_add_co_u32_e32 v7, vcc, v5, v7
	v_addc_co_u32_e32 v8, vcc, v6, v8, vcc
	v_cmp_ne_u32_e32 vcc, v3, v0
	v_cndmask_b32_e32 v12, 0, v21, vcc
	flat_store_dwordx2 v[7:8], v[11:12]
.LBB786_10:
	s_or_b64 exec, exec, s[2:3]
	v_cmp_le_i32_e32 vcc, v3, v2
	s_and_b64 s[0:1], vcc, s[0:1]
	s_and_saveexec_b64 s[2:3], s[0:1]
	s_cbranch_execz .LBB786_12
; %bb.11:
	v_ashrrev_i32_e32 v3, 31, v2
	v_lshlrev_b64 v[1:2], 3, v[2:3]
	v_add_co_u32_e32 v1, vcc, v5, v1
	v_addc_co_u32_e32 v2, vcc, v6, v2, vcc
	v_cmp_ne_u32_e32 vcc, v4, v0
	v_cndmask_b32_e32 v11, 0, v20, vcc
	flat_store_dwordx2 v[1:2], v[10:11]
.LBB786_12:
	s_endpgm
	.section	.rodata,"a",@progbits
	.p2align	6, 0x0
	.amdhsa_kernel _ZL37rocblas_syrkx_herkx_restricted_kernelIi19rocblas_complex_numIfELi16ELi32ELi8ELi1ELi0ELb1ELc78ELc76EKPKS1_KPS1_EviT_PT9_S7_lS9_S7_lPT10_S7_li
		.amdhsa_group_segment_fixed_size 4096
		.amdhsa_private_segment_fixed_size 0
		.amdhsa_kernarg_size 84
		.amdhsa_user_sgpr_count 6
		.amdhsa_user_sgpr_private_segment_buffer 1
		.amdhsa_user_sgpr_dispatch_ptr 0
		.amdhsa_user_sgpr_queue_ptr 0
		.amdhsa_user_sgpr_kernarg_segment_ptr 1
		.amdhsa_user_sgpr_dispatch_id 0
		.amdhsa_user_sgpr_flat_scratch_init 0
		.amdhsa_user_sgpr_private_segment_size 0
		.amdhsa_uses_dynamic_stack 0
		.amdhsa_system_sgpr_private_segment_wavefront_offset 0
		.amdhsa_system_sgpr_workgroup_id_x 1
		.amdhsa_system_sgpr_workgroup_id_y 1
		.amdhsa_system_sgpr_workgroup_id_z 1
		.amdhsa_system_sgpr_workgroup_info 0
		.amdhsa_system_vgpr_workitem_id 1
		.amdhsa_next_free_vgpr 44
		.amdhsa_next_free_sgpr 20
		.amdhsa_reserve_vcc 1
		.amdhsa_reserve_flat_scratch 0
		.amdhsa_float_round_mode_32 0
		.amdhsa_float_round_mode_16_64 0
		.amdhsa_float_denorm_mode_32 3
		.amdhsa_float_denorm_mode_16_64 3
		.amdhsa_dx10_clamp 1
		.amdhsa_ieee_mode 1
		.amdhsa_fp16_overflow 0
		.amdhsa_exception_fp_ieee_invalid_op 0
		.amdhsa_exception_fp_denorm_src 0
		.amdhsa_exception_fp_ieee_div_zero 0
		.amdhsa_exception_fp_ieee_overflow 0
		.amdhsa_exception_fp_ieee_underflow 0
		.amdhsa_exception_fp_ieee_inexact 0
		.amdhsa_exception_int_div_zero 0
	.end_amdhsa_kernel
	.section	.text._ZL37rocblas_syrkx_herkx_restricted_kernelIi19rocblas_complex_numIfELi16ELi32ELi8ELi1ELi0ELb1ELc78ELc76EKPKS1_KPS1_EviT_PT9_S7_lS9_S7_lPT10_S7_li,"axG",@progbits,_ZL37rocblas_syrkx_herkx_restricted_kernelIi19rocblas_complex_numIfELi16ELi32ELi8ELi1ELi0ELb1ELc78ELc76EKPKS1_KPS1_EviT_PT9_S7_lS9_S7_lPT10_S7_li,comdat
.Lfunc_end786:
	.size	_ZL37rocblas_syrkx_herkx_restricted_kernelIi19rocblas_complex_numIfELi16ELi32ELi8ELi1ELi0ELb1ELc78ELc76EKPKS1_KPS1_EviT_PT9_S7_lS9_S7_lPT10_S7_li, .Lfunc_end786-_ZL37rocblas_syrkx_herkx_restricted_kernelIi19rocblas_complex_numIfELi16ELi32ELi8ELi1ELi0ELb1ELc78ELc76EKPKS1_KPS1_EviT_PT9_S7_lS9_S7_lPT10_S7_li
                                        ; -- End function
	.set _ZL37rocblas_syrkx_herkx_restricted_kernelIi19rocblas_complex_numIfELi16ELi32ELi8ELi1ELi0ELb1ELc78ELc76EKPKS1_KPS1_EviT_PT9_S7_lS9_S7_lPT10_S7_li.num_vgpr, 44
	.set _ZL37rocblas_syrkx_herkx_restricted_kernelIi19rocblas_complex_numIfELi16ELi32ELi8ELi1ELi0ELb1ELc78ELc76EKPKS1_KPS1_EviT_PT9_S7_lS9_S7_lPT10_S7_li.num_agpr, 0
	.set _ZL37rocblas_syrkx_herkx_restricted_kernelIi19rocblas_complex_numIfELi16ELi32ELi8ELi1ELi0ELb1ELc78ELc76EKPKS1_KPS1_EviT_PT9_S7_lS9_S7_lPT10_S7_li.numbered_sgpr, 20
	.set _ZL37rocblas_syrkx_herkx_restricted_kernelIi19rocblas_complex_numIfELi16ELi32ELi8ELi1ELi0ELb1ELc78ELc76EKPKS1_KPS1_EviT_PT9_S7_lS9_S7_lPT10_S7_li.num_named_barrier, 0
	.set _ZL37rocblas_syrkx_herkx_restricted_kernelIi19rocblas_complex_numIfELi16ELi32ELi8ELi1ELi0ELb1ELc78ELc76EKPKS1_KPS1_EviT_PT9_S7_lS9_S7_lPT10_S7_li.private_seg_size, 0
	.set _ZL37rocblas_syrkx_herkx_restricted_kernelIi19rocblas_complex_numIfELi16ELi32ELi8ELi1ELi0ELb1ELc78ELc76EKPKS1_KPS1_EviT_PT9_S7_lS9_S7_lPT10_S7_li.uses_vcc, 1
	.set _ZL37rocblas_syrkx_herkx_restricted_kernelIi19rocblas_complex_numIfELi16ELi32ELi8ELi1ELi0ELb1ELc78ELc76EKPKS1_KPS1_EviT_PT9_S7_lS9_S7_lPT10_S7_li.uses_flat_scratch, 0
	.set _ZL37rocblas_syrkx_herkx_restricted_kernelIi19rocblas_complex_numIfELi16ELi32ELi8ELi1ELi0ELb1ELc78ELc76EKPKS1_KPS1_EviT_PT9_S7_lS9_S7_lPT10_S7_li.has_dyn_sized_stack, 0
	.set _ZL37rocblas_syrkx_herkx_restricted_kernelIi19rocblas_complex_numIfELi16ELi32ELi8ELi1ELi0ELb1ELc78ELc76EKPKS1_KPS1_EviT_PT9_S7_lS9_S7_lPT10_S7_li.has_recursion, 0
	.set _ZL37rocblas_syrkx_herkx_restricted_kernelIi19rocblas_complex_numIfELi16ELi32ELi8ELi1ELi0ELb1ELc78ELc76EKPKS1_KPS1_EviT_PT9_S7_lS9_S7_lPT10_S7_li.has_indirect_call, 0
	.section	.AMDGPU.csdata,"",@progbits
; Kernel info:
; codeLenInByte = 1904
; TotalNumSgprs: 24
; NumVgprs: 44
; ScratchSize: 0
; MemoryBound: 0
; FloatMode: 240
; IeeeMode: 1
; LDSByteSize: 4096 bytes/workgroup (compile time only)
; SGPRBlocks: 2
; VGPRBlocks: 10
; NumSGPRsForWavesPerEU: 24
; NumVGPRsForWavesPerEU: 44
; Occupancy: 5
; WaveLimiterHint : 1
; COMPUTE_PGM_RSRC2:SCRATCH_EN: 0
; COMPUTE_PGM_RSRC2:USER_SGPR: 6
; COMPUTE_PGM_RSRC2:TRAP_HANDLER: 0
; COMPUTE_PGM_RSRC2:TGID_X_EN: 1
; COMPUTE_PGM_RSRC2:TGID_Y_EN: 1
; COMPUTE_PGM_RSRC2:TGID_Z_EN: 1
; COMPUTE_PGM_RSRC2:TIDIG_COMP_CNT: 1
	.section	.text._ZL37rocblas_syrkx_herkx_restricted_kernelIi19rocblas_complex_numIfELi16ELi32ELi8ELi1ELi0ELb1ELc84ELc85EKPKS1_KPS1_EviT_PT9_S7_lS9_S7_lPT10_S7_li,"axG",@progbits,_ZL37rocblas_syrkx_herkx_restricted_kernelIi19rocblas_complex_numIfELi16ELi32ELi8ELi1ELi0ELb1ELc84ELc85EKPKS1_KPS1_EviT_PT9_S7_lS9_S7_lPT10_S7_li,comdat
	.globl	_ZL37rocblas_syrkx_herkx_restricted_kernelIi19rocblas_complex_numIfELi16ELi32ELi8ELi1ELi0ELb1ELc84ELc85EKPKS1_KPS1_EviT_PT9_S7_lS9_S7_lPT10_S7_li ; -- Begin function _ZL37rocblas_syrkx_herkx_restricted_kernelIi19rocblas_complex_numIfELi16ELi32ELi8ELi1ELi0ELb1ELc84ELc85EKPKS1_KPS1_EviT_PT9_S7_lS9_S7_lPT10_S7_li
	.p2align	8
	.type	_ZL37rocblas_syrkx_herkx_restricted_kernelIi19rocblas_complex_numIfELi16ELi32ELi8ELi1ELi0ELb1ELc84ELc85EKPKS1_KPS1_EviT_PT9_S7_lS9_S7_lPT10_S7_li,@function
_ZL37rocblas_syrkx_herkx_restricted_kernelIi19rocblas_complex_numIfELi16ELi32ELi8ELi1ELi0ELb1ELc84ELc85EKPKS1_KPS1_EviT_PT9_S7_lS9_S7_lPT10_S7_li: ; @_ZL37rocblas_syrkx_herkx_restricted_kernelIi19rocblas_complex_numIfELi16ELi32ELi8ELi1ELi0ELb1ELc84ELc85EKPKS1_KPS1_EviT_PT9_S7_lS9_S7_lPT10_S7_li
; %bb.0:
	s_load_dwordx2 s[10:11], s[4:5], 0x38
	s_load_dwordx2 s[2:3], s[4:5], 0x0
	s_mov_b32 s9, 0
	s_lshl_b64 s[0:1], s[8:9], 3
	s_waitcnt lgkmcnt(0)
	s_add_u32 s10, s10, s0
	s_addc_u32 s11, s11, s1
	s_load_dwordx2 s[10:11], s[10:11], 0x0
	s_lshl_b32 s6, s6, 5
	s_lshl_b32 s7, s7, 5
	s_cmp_lt_i32 s3, 1
	s_cbranch_scc1 .LBB787_3
; %bb.1:
	v_lshl_add_u32 v4, v1, 4, v0
	s_load_dwordx2 s[12:13], s[4:5], 0x8
	s_load_dword s8, s[4:5], 0x10
	s_load_dwordx2 s[14:15], s[4:5], 0x20
	s_load_dword s16, s[4:5], 0x28
	v_and_b32_e32 v7, 31, v4
	v_lshrrev_b32_e32 v6, 3, v4
	v_and_b32_e32 v9, 7, v0
	v_lshrrev_b32_e32 v4, 5, v4
	v_lshlrev_b32_e32 v8, 3, v7
	s_waitcnt lgkmcnt(0)
	s_add_u32 s12, s12, s0
	v_lshl_or_b32 v15, v4, 8, v8
	v_lshlrev_b32_e32 v8, 3, v9
	s_addc_u32 s13, s13, s1
	v_add_u32_e32 v2, s7, v6
	v_mov_b32_e32 v10, 0
	v_lshl_or_b32 v6, v6, 6, v8
	s_add_u32 s0, s14, s0
	v_mov_b32_e32 v5, v10
	v_add_u32_e32 v16, 0x800, v6
	v_add_u32_e32 v6, s6, v7
	s_addc_u32 s1, s15, s1
	v_mad_i64_i32 v[4:5], s[14:15], s8, v6, v[4:5]
	s_load_dwordx2 s[12:13], s[12:13], 0x0
	v_mad_i64_i32 v[2:3], s[14:15], s16, v2, v[9:10]
	s_load_dwordx2 s[0:1], s[0:1], 0x0
	v_lshlrev_b64 v[4:5], 3, v[4:5]
	v_mov_b32_e32 v6, 0x800
	v_lshl_add_u32 v18, v1, 6, v6
	s_waitcnt lgkmcnt(0)
	v_mov_b32_e32 v7, s13
	v_add_co_u32_e32 v6, vcc, s12, v4
	v_lshlrev_b64 v[2:3], 3, v[2:3]
	v_addc_co_u32_e32 v7, vcc, v7, v5, vcc
	v_mov_b32_e32 v4, s1
	v_add_co_u32_e32 v8, vcc, s0, v2
	v_lshlrev_b32_e32 v17, 3, v0
	v_addc_co_u32_e32 v9, vcc, v4, v3, vcc
	v_mov_b32_e32 v11, v10
	v_mov_b32_e32 v19, v10
	;; [unrolled: 1-line block ×7, first 2 shown]
.LBB787_2:                              ; =>This Inner Loop Header: Depth=1
	flat_load_dwordx2 v[2:3], v[6:7]
	v_add_co_u32_e32 v6, vcc, 64, v6
	v_addc_co_u32_e32 v7, vcc, 0, v7, vcc
	s_add_i32 s9, s9, 8
	s_cmp_ge_i32 s9, s3
	s_waitcnt vmcnt(0) lgkmcnt(0)
	ds_write_b64 v15, v[2:3]
	flat_load_dwordx2 v[2:3], v[8:9]
	v_add_co_u32_e32 v8, vcc, 64, v8
	v_addc_co_u32_e32 v9, vcc, 0, v9, vcc
	s_waitcnt vmcnt(0) lgkmcnt(0)
	ds_write_b64 v16, v[2:3]
	s_waitcnt lgkmcnt(0)
	s_barrier
	ds_read_b128 v[22:25], v18
	ds_read_b128 v[26:29], v18 offset:16
	ds_read_b128 v[30:33], v18 offset:32
	;; [unrolled: 1-line block ×3, first 2 shown]
	ds_read2_b64 v[34:37], v17 offset1:16
	s_waitcnt lgkmcnt(0)
	v_mul_f32_e32 v38, v23, v35
	v_mul_f32_e32 v39, v22, v35
	v_fma_f32 v38, v22, v34, -v38
	v_fmac_f32_e32 v39, v23, v34
	v_add_f32_e32 v14, v14, v38
	v_add_f32_e32 v38, v21, v39
	v_mul_f32_e32 v21, v23, v37
	v_fma_f32 v21, v22, v36, -v21
	v_mul_f32_e32 v22, v22, v37
	v_fmac_f32_e32 v22, v23, v36
	v_add_f32_e32 v39, v13, v21
	v_add_f32_e32 v40, v20, v22
	ds_read_b128 v[20:23], v18 offset:1024
	s_waitcnt lgkmcnt(0)
	v_mul_f32_e32 v13, v21, v35
	v_fma_f32 v13, v20, v34, -v13
	v_mul_f32_e32 v35, v20, v35
	v_fmac_f32_e32 v35, v21, v34
	v_add_f32_e32 v34, v12, v13
	v_mul_f32_e32 v12, v21, v37
	v_mul_f32_e32 v13, v20, v37
	v_fma_f32 v12, v20, v36, -v12
	v_fmac_f32_e32 v13, v21, v36
	v_add_f32_e32 v20, v11, v12
	v_add_f32_e32 v21, v10, v13
	ds_read2_b64 v[10:13], v17 offset0:32 offset1:48
	v_add_f32_e32 v19, v19, v35
	s_waitcnt lgkmcnt(0)
	v_mul_f32_e32 v35, v25, v11
	v_mul_f32_e32 v36, v24, v11
	v_fma_f32 v35, v24, v10, -v35
	v_fmac_f32_e32 v36, v25, v10
	v_add_f32_e32 v14, v14, v35
	v_add_f32_e32 v35, v38, v36
	v_mul_f32_e32 v36, v25, v13
	v_fma_f32 v36, v24, v12, -v36
	v_mul_f32_e32 v24, v24, v13
	v_fmac_f32_e32 v24, v25, v12
	v_add_f32_e32 v25, v39, v36
	v_mul_f32_e32 v36, v23, v11
	v_mul_f32_e32 v11, v22, v11
	v_fma_f32 v36, v22, v10, -v36
	v_fmac_f32_e32 v11, v23, v10
	v_add_f32_e32 v34, v34, v36
	v_add_f32_e32 v36, v19, v11
	v_mul_f32_e32 v10, v23, v13
	v_mul_f32_e32 v11, v22, v13
	v_fma_f32 v10, v22, v12, -v10
	v_fmac_f32_e32 v11, v23, v12
	v_add_f32_e32 v23, v20, v10
	v_add_f32_e32 v37, v21, v11
	ds_read2_b64 v[10:13], v17 offset0:64 offset1:80
	v_add_f32_e32 v24, v40, v24
	s_waitcnt lgkmcnt(0)
	v_mul_f32_e32 v19, v27, v11
	v_mul_f32_e32 v20, v26, v11
	v_fma_f32 v19, v26, v10, -v19
	v_fmac_f32_e32 v20, v27, v10
	v_add_f32_e32 v14, v14, v19
	v_add_f32_e32 v35, v35, v20
	v_mul_f32_e32 v19, v27, v13
	v_mul_f32_e32 v20, v26, v13
	v_fma_f32 v19, v26, v12, -v19
	v_fmac_f32_e32 v20, v27, v12
	v_add_f32_e32 v25, v25, v19
	v_add_f32_e32 v24, v24, v20
	ds_read_b128 v[19:22], v18 offset:1040
	s_waitcnt lgkmcnt(0)
	v_mul_f32_e32 v26, v20, v11
	v_mul_f32_e32 v11, v19, v11
	v_fmac_f32_e32 v11, v20, v10
	v_fma_f32 v26, v19, v10, -v26
	v_add_f32_e32 v27, v36, v11
	v_mul_f32_e32 v10, v20, v13
	v_mul_f32_e32 v11, v19, v13
	v_fma_f32 v10, v19, v12, -v10
	v_fmac_f32_e32 v11, v20, v12
	v_add_f32_e32 v19, v23, v10
	v_add_f32_e32 v20, v37, v11
	ds_read2_b64 v[10:13], v17 offset0:96 offset1:112
	v_add_f32_e32 v26, v34, v26
	s_waitcnt lgkmcnt(0)
	v_mul_f32_e32 v23, v29, v11
	v_mul_f32_e32 v34, v28, v11
	v_fma_f32 v23, v28, v10, -v23
	v_fmac_f32_e32 v34, v29, v10
	v_add_f32_e32 v14, v14, v23
	v_add_f32_e32 v23, v35, v34
	v_mul_f32_e32 v34, v29, v13
	v_fma_f32 v34, v28, v12, -v34
	v_mul_f32_e32 v28, v28, v13
	v_fmac_f32_e32 v28, v29, v12
	v_add_f32_e32 v24, v24, v28
	v_mul_f32_e32 v28, v22, v11
	v_mul_f32_e32 v11, v21, v11
	v_fmac_f32_e32 v11, v22, v10
	v_fma_f32 v28, v21, v10, -v28
	v_add_f32_e32 v27, v27, v11
	v_mul_f32_e32 v10, v22, v13
	v_mul_f32_e32 v11, v21, v13
	v_fma_f32 v10, v21, v12, -v10
	v_fmac_f32_e32 v11, v22, v12
	v_add_f32_e32 v26, v26, v28
	v_add_f32_e32 v28, v19, v10
	;; [unrolled: 1-line block ×3, first 2 shown]
	ds_read2_b64 v[10:13], v17 offset0:128 offset1:144
	v_add_f32_e32 v25, v25, v34
	s_waitcnt lgkmcnt(0)
	v_mul_f32_e32 v19, v31, v11
	v_mul_f32_e32 v20, v30, v11
	v_fma_f32 v19, v30, v10, -v19
	v_fmac_f32_e32 v20, v31, v10
	v_add_f32_e32 v14, v14, v19
	v_add_f32_e32 v23, v23, v20
	v_mul_f32_e32 v19, v31, v13
	v_mul_f32_e32 v20, v30, v13
	v_fma_f32 v19, v30, v12, -v19
	v_fmac_f32_e32 v20, v31, v12
	v_add_f32_e32 v25, v25, v19
	v_add_f32_e32 v24, v24, v20
	ds_read_b128 v[19:22], v18 offset:1056
	s_waitcnt lgkmcnt(0)
	v_mul_f32_e32 v30, v20, v11
	v_mul_f32_e32 v11, v19, v11
	v_fmac_f32_e32 v11, v20, v10
	v_fma_f32 v30, v19, v10, -v30
	v_add_f32_e32 v27, v27, v11
	v_mul_f32_e32 v10, v20, v13
	v_mul_f32_e32 v11, v19, v13
	v_fma_f32 v10, v19, v12, -v10
	v_fmac_f32_e32 v11, v20, v12
	v_add_f32_e32 v19, v28, v10
	v_add_f32_e32 v20, v29, v11
	ds_read2_b64 v[10:13], v17 offset0:160 offset1:176
	v_add_f32_e32 v26, v26, v30
	s_waitcnt lgkmcnt(0)
	v_mul_f32_e32 v28, v33, v11
	v_fma_f32 v28, v32, v10, -v28
	v_add_f32_e32 v14, v14, v28
	v_mul_f32_e32 v28, v33, v13
	v_fma_f32 v28, v32, v12, -v28
	v_mul_f32_e32 v29, v32, v11
	v_add_f32_e32 v25, v25, v28
	v_mul_f32_e32 v28, v22, v11
	v_mul_f32_e32 v11, v21, v11
	v_fmac_f32_e32 v11, v22, v10
	v_fmac_f32_e32 v29, v33, v10
	v_fma_f32 v28, v21, v10, -v28
	v_add_f32_e32 v27, v27, v11
	v_mul_f32_e32 v10, v22, v13
	v_mul_f32_e32 v11, v21, v13
	v_add_f32_e32 v23, v23, v29
	v_mul_f32_e32 v29, v32, v13
	v_fma_f32 v10, v21, v12, -v10
	v_fmac_f32_e32 v11, v22, v12
	v_fmac_f32_e32 v29, v33, v12
	v_add_f32_e32 v26, v26, v28
	v_add_f32_e32 v19, v19, v10
	;; [unrolled: 1-line block ×3, first 2 shown]
	ds_read2_b64 v[10:13], v17 offset0:192 offset1:208
	v_add_f32_e32 v24, v24, v29
	s_waitcnt lgkmcnt(0)
	v_mul_f32_e32 v20, v3, v11
	v_fma_f32 v20, v2, v10, -v20
	v_mul_f32_e32 v21, v2, v11
	v_add_f32_e32 v14, v14, v20
	v_mul_f32_e32 v20, v3, v13
	v_fmac_f32_e32 v21, v3, v10
	v_fma_f32 v20, v2, v12, -v20
	v_mul_f32_e32 v2, v2, v13
	v_add_f32_e32 v29, v23, v21
	v_fmac_f32_e32 v2, v3, v12
	v_add_f32_e32 v3, v25, v20
	ds_read_b128 v[20:23], v18 offset:1072
	v_add_f32_e32 v2, v24, v2
	s_waitcnt lgkmcnt(0)
	v_mul_f32_e32 v24, v21, v11
	v_fma_f32 v24, v20, v10, -v24
	v_mul_f32_e32 v11, v20, v11
	v_fmac_f32_e32 v11, v21, v10
	v_add_f32_e32 v10, v26, v24
	v_mul_f32_e32 v24, v21, v13
	v_fma_f32 v24, v20, v12, -v24
	v_add_f32_e32 v11, v27, v11
	v_add_f32_e32 v30, v19, v24
	ds_read2_b64 v[24:27], v17 offset0:224 offset1:240
	v_mul_f32_e32 v13, v20, v13
	v_fmac_f32_e32 v13, v21, v12
	v_add_f32_e32 v28, v28, v13
	s_waitcnt lgkmcnt(0)
	v_mul_f32_e32 v12, v5, v25
	v_fma_f32 v12, v4, v24, -v12
	v_add_f32_e32 v14, v14, v12
	v_mul_f32_e32 v12, v5, v27
	v_mul_f32_e32 v13, v4, v25
	v_fma_f32 v12, v4, v26, -v12
	v_mul_f32_e32 v4, v4, v27
	v_fmac_f32_e32 v13, v5, v24
	v_fmac_f32_e32 v4, v5, v26
	v_add_f32_e32 v21, v29, v13
	v_add_f32_e32 v13, v3, v12
	;; [unrolled: 1-line block ×3, first 2 shown]
	v_mul_f32_e32 v2, v23, v25
	v_mul_f32_e32 v3, v22, v25
	v_fma_f32 v2, v22, v24, -v2
	v_fmac_f32_e32 v3, v23, v24
	v_add_f32_e32 v12, v10, v2
	v_add_f32_e32 v19, v11, v3
	v_mul_f32_e32 v2, v23, v27
	v_mul_f32_e32 v3, v22, v27
	v_fma_f32 v2, v22, v26, -v2
	v_fmac_f32_e32 v3, v23, v26
	v_add_f32_e32 v11, v30, v2
	v_add_f32_e32 v10, v28, v3
	s_barrier
	s_cbranch_scc0 .LBB787_2
	s_branch .LBB787_4
.LBB787_3:
	v_mov_b32_e32 v21, 0
	v_mov_b32_e32 v14, 0
	;; [unrolled: 1-line block ×8, first 2 shown]
.LBB787_4:
	s_load_dword s3, s[4:5], 0x40
	v_add_u32_e32 v4, s7, v1
	s_waitcnt lgkmcnt(0)
	v_mov_b32_e32 v3, s11
	v_add_u32_e32 v0, s6, v0
	v_cmp_gt_i32_e32 vcc, s2, v4
	v_mad_i64_i32 v[1:2], s[0:1], v4, s3, 0
	v_lshlrev_b64 v[1:2], 3, v[1:2]
	v_add_co_u32_e64 v5, s[0:1], s10, v1
	v_addc_co_u32_e64 v6, s[0:1], v3, v2, s[0:1]
	v_cmp_le_i32_e64 s[0:1], v0, v4
	s_and_b64 s[0:1], vcc, s[0:1]
	s_and_saveexec_b64 s[4:5], s[0:1]
	s_cbranch_execz .LBB787_6
; %bb.5:
	v_ashrrev_i32_e32 v1, 31, v0
	v_lshlrev_b64 v[1:2], 3, v[0:1]
	v_add_co_u32_e64 v1, s[0:1], v5, v1
	v_addc_co_u32_e64 v2, s[0:1], v6, v2, s[0:1]
	v_cmp_ne_u32_e64 s[0:1], v4, v0
	v_cndmask_b32_e64 v15, 0, v21, s[0:1]
	flat_store_dwordx2 v[1:2], v[14:15]
.LBB787_6:
	s_or_b64 exec, exec, s[4:5]
	v_add_u32_e32 v2, 16, v0
	v_cmp_le_i32_e64 s[0:1], v2, v4
	s_and_b64 s[4:5], vcc, s[0:1]
	s_and_saveexec_b64 s[0:1], s[4:5]
	s_cbranch_execz .LBB787_8
; %bb.7:
	v_ashrrev_i32_e32 v3, 31, v2
	v_lshlrev_b64 v[7:8], 3, v[2:3]
	v_add_co_u32_e32 v5, vcc, v5, v7
	v_addc_co_u32_e32 v6, vcc, v6, v8, vcc
	v_cmp_ne_u32_e32 vcc, v4, v2
	v_cndmask_b32_e32 v14, 0, v20, vcc
	flat_store_dwordx2 v[5:6], v[13:14]
.LBB787_8:
	s_or_b64 exec, exec, s[0:1]
	v_add_u32_e32 v3, 16, v4
	v_mad_i64_i32 v[5:6], s[0:1], v3, s3, 0
	v_mov_b32_e32 v1, s11
	v_cmp_gt_i32_e32 vcc, s2, v3
	v_lshlrev_b64 v[5:6], 3, v[5:6]
	v_add_co_u32_e64 v5, s[0:1], s10, v5
	v_addc_co_u32_e64 v6, s[0:1], v1, v6, s[0:1]
	v_cmp_le_i32_e64 s[0:1], v0, v3
	s_and_b64 s[0:1], vcc, s[0:1]
	s_and_saveexec_b64 s[2:3], s[0:1]
	s_cbranch_execz .LBB787_10
; %bb.9:
	v_ashrrev_i32_e32 v1, 31, v0
	v_lshlrev_b64 v[7:8], 3, v[0:1]
	v_add_co_u32_e64 v7, s[0:1], v5, v7
	v_addc_co_u32_e64 v8, s[0:1], v6, v8, s[0:1]
	v_cmp_ne_u32_e64 s[0:1], v3, v0
	v_cndmask_b32_e64 v13, 0, v19, s[0:1]
	flat_store_dwordx2 v[7:8], v[12:13]
.LBB787_10:
	s_or_b64 exec, exec, s[2:3]
	v_cmp_le_i32_e64 s[0:1], v2, v3
	s_and_b64 s[0:1], vcc, s[0:1]
	s_and_saveexec_b64 s[2:3], s[0:1]
	s_cbranch_execz .LBB787_12
; %bb.11:
	v_ashrrev_i32_e32 v3, 31, v2
	v_lshlrev_b64 v[1:2], 3, v[2:3]
	v_add_co_u32_e32 v1, vcc, v5, v1
	v_addc_co_u32_e32 v2, vcc, v6, v2, vcc
	v_cmp_ne_u32_e32 vcc, v4, v0
	v_cndmask_b32_e32 v12, 0, v10, vcc
	flat_store_dwordx2 v[1:2], v[11:12]
.LBB787_12:
	s_endpgm
	.section	.rodata,"a",@progbits
	.p2align	6, 0x0
	.amdhsa_kernel _ZL37rocblas_syrkx_herkx_restricted_kernelIi19rocblas_complex_numIfELi16ELi32ELi8ELi1ELi0ELb1ELc84ELc85EKPKS1_KPS1_EviT_PT9_S7_lS9_S7_lPT10_S7_li
		.amdhsa_group_segment_fixed_size 4096
		.amdhsa_private_segment_fixed_size 0
		.amdhsa_kernarg_size 84
		.amdhsa_user_sgpr_count 6
		.amdhsa_user_sgpr_private_segment_buffer 1
		.amdhsa_user_sgpr_dispatch_ptr 0
		.amdhsa_user_sgpr_queue_ptr 0
		.amdhsa_user_sgpr_kernarg_segment_ptr 1
		.amdhsa_user_sgpr_dispatch_id 0
		.amdhsa_user_sgpr_flat_scratch_init 0
		.amdhsa_user_sgpr_private_segment_size 0
		.amdhsa_uses_dynamic_stack 0
		.amdhsa_system_sgpr_private_segment_wavefront_offset 0
		.amdhsa_system_sgpr_workgroup_id_x 1
		.amdhsa_system_sgpr_workgroup_id_y 1
		.amdhsa_system_sgpr_workgroup_id_z 1
		.amdhsa_system_sgpr_workgroup_info 0
		.amdhsa_system_vgpr_workitem_id 1
		.amdhsa_next_free_vgpr 41
		.amdhsa_next_free_sgpr 17
		.amdhsa_reserve_vcc 1
		.amdhsa_reserve_flat_scratch 0
		.amdhsa_float_round_mode_32 0
		.amdhsa_float_round_mode_16_64 0
		.amdhsa_float_denorm_mode_32 3
		.amdhsa_float_denorm_mode_16_64 3
		.amdhsa_dx10_clamp 1
		.amdhsa_ieee_mode 1
		.amdhsa_fp16_overflow 0
		.amdhsa_exception_fp_ieee_invalid_op 0
		.amdhsa_exception_fp_denorm_src 0
		.amdhsa_exception_fp_ieee_div_zero 0
		.amdhsa_exception_fp_ieee_overflow 0
		.amdhsa_exception_fp_ieee_underflow 0
		.amdhsa_exception_fp_ieee_inexact 0
		.amdhsa_exception_int_div_zero 0
	.end_amdhsa_kernel
	.section	.text._ZL37rocblas_syrkx_herkx_restricted_kernelIi19rocblas_complex_numIfELi16ELi32ELi8ELi1ELi0ELb1ELc84ELc85EKPKS1_KPS1_EviT_PT9_S7_lS9_S7_lPT10_S7_li,"axG",@progbits,_ZL37rocblas_syrkx_herkx_restricted_kernelIi19rocblas_complex_numIfELi16ELi32ELi8ELi1ELi0ELb1ELc84ELc85EKPKS1_KPS1_EviT_PT9_S7_lS9_S7_lPT10_S7_li,comdat
.Lfunc_end787:
	.size	_ZL37rocblas_syrkx_herkx_restricted_kernelIi19rocblas_complex_numIfELi16ELi32ELi8ELi1ELi0ELb1ELc84ELc85EKPKS1_KPS1_EviT_PT9_S7_lS9_S7_lPT10_S7_li, .Lfunc_end787-_ZL37rocblas_syrkx_herkx_restricted_kernelIi19rocblas_complex_numIfELi16ELi32ELi8ELi1ELi0ELb1ELc84ELc85EKPKS1_KPS1_EviT_PT9_S7_lS9_S7_lPT10_S7_li
                                        ; -- End function
	.set _ZL37rocblas_syrkx_herkx_restricted_kernelIi19rocblas_complex_numIfELi16ELi32ELi8ELi1ELi0ELb1ELc84ELc85EKPKS1_KPS1_EviT_PT9_S7_lS9_S7_lPT10_S7_li.num_vgpr, 41
	.set _ZL37rocblas_syrkx_herkx_restricted_kernelIi19rocblas_complex_numIfELi16ELi32ELi8ELi1ELi0ELb1ELc84ELc85EKPKS1_KPS1_EviT_PT9_S7_lS9_S7_lPT10_S7_li.num_agpr, 0
	.set _ZL37rocblas_syrkx_herkx_restricted_kernelIi19rocblas_complex_numIfELi16ELi32ELi8ELi1ELi0ELb1ELc84ELc85EKPKS1_KPS1_EviT_PT9_S7_lS9_S7_lPT10_S7_li.numbered_sgpr, 17
	.set _ZL37rocblas_syrkx_herkx_restricted_kernelIi19rocblas_complex_numIfELi16ELi32ELi8ELi1ELi0ELb1ELc84ELc85EKPKS1_KPS1_EviT_PT9_S7_lS9_S7_lPT10_S7_li.num_named_barrier, 0
	.set _ZL37rocblas_syrkx_herkx_restricted_kernelIi19rocblas_complex_numIfELi16ELi32ELi8ELi1ELi0ELb1ELc84ELc85EKPKS1_KPS1_EviT_PT9_S7_lS9_S7_lPT10_S7_li.private_seg_size, 0
	.set _ZL37rocblas_syrkx_herkx_restricted_kernelIi19rocblas_complex_numIfELi16ELi32ELi8ELi1ELi0ELb1ELc84ELc85EKPKS1_KPS1_EviT_PT9_S7_lS9_S7_lPT10_S7_li.uses_vcc, 1
	.set _ZL37rocblas_syrkx_herkx_restricted_kernelIi19rocblas_complex_numIfELi16ELi32ELi8ELi1ELi0ELb1ELc84ELc85EKPKS1_KPS1_EviT_PT9_S7_lS9_S7_lPT10_S7_li.uses_flat_scratch, 0
	.set _ZL37rocblas_syrkx_herkx_restricted_kernelIi19rocblas_complex_numIfELi16ELi32ELi8ELi1ELi0ELb1ELc84ELc85EKPKS1_KPS1_EviT_PT9_S7_lS9_S7_lPT10_S7_li.has_dyn_sized_stack, 0
	.set _ZL37rocblas_syrkx_herkx_restricted_kernelIi19rocblas_complex_numIfELi16ELi32ELi8ELi1ELi0ELb1ELc84ELc85EKPKS1_KPS1_EviT_PT9_S7_lS9_S7_lPT10_S7_li.has_recursion, 0
	.set _ZL37rocblas_syrkx_herkx_restricted_kernelIi19rocblas_complex_numIfELi16ELi32ELi8ELi1ELi0ELb1ELc84ELc85EKPKS1_KPS1_EviT_PT9_S7_lS9_S7_lPT10_S7_li.has_indirect_call, 0
	.section	.AMDGPU.csdata,"",@progbits
; Kernel info:
; codeLenInByte = 1876
; TotalNumSgprs: 21
; NumVgprs: 41
; ScratchSize: 0
; MemoryBound: 0
; FloatMode: 240
; IeeeMode: 1
; LDSByteSize: 4096 bytes/workgroup (compile time only)
; SGPRBlocks: 2
; VGPRBlocks: 10
; NumSGPRsForWavesPerEU: 21
; NumVGPRsForWavesPerEU: 41
; Occupancy: 5
; WaveLimiterHint : 1
; COMPUTE_PGM_RSRC2:SCRATCH_EN: 0
; COMPUTE_PGM_RSRC2:USER_SGPR: 6
; COMPUTE_PGM_RSRC2:TRAP_HANDLER: 0
; COMPUTE_PGM_RSRC2:TGID_X_EN: 1
; COMPUTE_PGM_RSRC2:TGID_Y_EN: 1
; COMPUTE_PGM_RSRC2:TGID_Z_EN: 1
; COMPUTE_PGM_RSRC2:TIDIG_COMP_CNT: 1
	.section	.text._ZL37rocblas_syrkx_herkx_restricted_kernelIi19rocblas_complex_numIfELi16ELi32ELi8ELi1ELi0ELb1ELc67ELc85EKPKS1_KPS1_EviT_PT9_S7_lS9_S7_lPT10_S7_li,"axG",@progbits,_ZL37rocblas_syrkx_herkx_restricted_kernelIi19rocblas_complex_numIfELi16ELi32ELi8ELi1ELi0ELb1ELc67ELc85EKPKS1_KPS1_EviT_PT9_S7_lS9_S7_lPT10_S7_li,comdat
	.globl	_ZL37rocblas_syrkx_herkx_restricted_kernelIi19rocblas_complex_numIfELi16ELi32ELi8ELi1ELi0ELb1ELc67ELc85EKPKS1_KPS1_EviT_PT9_S7_lS9_S7_lPT10_S7_li ; -- Begin function _ZL37rocblas_syrkx_herkx_restricted_kernelIi19rocblas_complex_numIfELi16ELi32ELi8ELi1ELi0ELb1ELc67ELc85EKPKS1_KPS1_EviT_PT9_S7_lS9_S7_lPT10_S7_li
	.p2align	8
	.type	_ZL37rocblas_syrkx_herkx_restricted_kernelIi19rocblas_complex_numIfELi16ELi32ELi8ELi1ELi0ELb1ELc67ELc85EKPKS1_KPS1_EviT_PT9_S7_lS9_S7_lPT10_S7_li,@function
_ZL37rocblas_syrkx_herkx_restricted_kernelIi19rocblas_complex_numIfELi16ELi32ELi8ELi1ELi0ELb1ELc67ELc85EKPKS1_KPS1_EviT_PT9_S7_lS9_S7_lPT10_S7_li: ; @_ZL37rocblas_syrkx_herkx_restricted_kernelIi19rocblas_complex_numIfELi16ELi32ELi8ELi1ELi0ELb1ELc67ELc85EKPKS1_KPS1_EviT_PT9_S7_lS9_S7_lPT10_S7_li
; %bb.0:
	s_load_dwordx2 s[10:11], s[4:5], 0x38
	s_load_dwordx2 s[2:3], s[4:5], 0x0
	s_mov_b32 s9, 0
	s_lshl_b64 s[0:1], s[8:9], 3
	s_waitcnt lgkmcnt(0)
	s_add_u32 s10, s10, s0
	s_addc_u32 s11, s11, s1
	s_load_dwordx2 s[10:11], s[10:11], 0x0
	s_lshl_b32 s6, s6, 5
	s_lshl_b32 s7, s7, 5
	s_cmp_lt_i32 s3, 1
	s_cbranch_scc1 .LBB788_3
; %bb.1:
	v_lshl_add_u32 v4, v1, 4, v0
	s_load_dwordx2 s[12:13], s[4:5], 0x8
	s_load_dword s8, s[4:5], 0x10
	s_load_dwordx2 s[14:15], s[4:5], 0x20
	s_load_dword s16, s[4:5], 0x28
	v_and_b32_e32 v7, 31, v4
	v_lshrrev_b32_e32 v6, 3, v4
	v_and_b32_e32 v9, 7, v0
	v_lshrrev_b32_e32 v4, 5, v4
	v_lshlrev_b32_e32 v8, 3, v7
	s_waitcnt lgkmcnt(0)
	s_add_u32 s12, s12, s0
	v_lshl_or_b32 v15, v4, 8, v8
	v_lshlrev_b32_e32 v8, 3, v9
	s_addc_u32 s13, s13, s1
	v_add_u32_e32 v2, s7, v6
	v_mov_b32_e32 v10, 0
	v_lshl_or_b32 v6, v6, 6, v8
	s_add_u32 s0, s14, s0
	v_mov_b32_e32 v5, v10
	v_add_u32_e32 v16, 0x800, v6
	v_add_u32_e32 v6, s6, v7
	s_addc_u32 s1, s15, s1
	v_mad_i64_i32 v[4:5], s[14:15], s8, v6, v[4:5]
	s_load_dwordx2 s[12:13], s[12:13], 0x0
	v_mad_i64_i32 v[2:3], s[14:15], s16, v2, v[9:10]
	s_load_dwordx2 s[0:1], s[0:1], 0x0
	v_lshlrev_b64 v[4:5], 3, v[4:5]
	v_mov_b32_e32 v6, 0x800
	v_lshl_add_u32 v18, v1, 6, v6
	s_waitcnt lgkmcnt(0)
	v_mov_b32_e32 v7, s13
	v_add_co_u32_e32 v6, vcc, s12, v4
	v_lshlrev_b64 v[2:3], 3, v[2:3]
	v_addc_co_u32_e32 v7, vcc, v7, v5, vcc
	v_mov_b32_e32 v4, s1
	v_add_co_u32_e32 v8, vcc, s0, v2
	v_lshlrev_b32_e32 v17, 3, v0
	v_addc_co_u32_e32 v9, vcc, v4, v3, vcc
	v_mov_b32_e32 v11, v10
	v_mov_b32_e32 v19, v10
	;; [unrolled: 1-line block ×7, first 2 shown]
.LBB788_2:                              ; =>This Inner Loop Header: Depth=1
	flat_load_dwordx2 v[2:3], v[6:7]
	v_add_co_u32_e32 v6, vcc, 64, v6
	v_addc_co_u32_e32 v7, vcc, 0, v7, vcc
	s_add_i32 s9, s9, 8
	s_cmp_ge_i32 s9, s3
	s_waitcnt vmcnt(0) lgkmcnt(0)
	v_xor_b32_e32 v3, 0x80000000, v3
	ds_write_b64 v15, v[2:3]
	flat_load_dwordx2 v[2:3], v[8:9]
	v_add_co_u32_e32 v8, vcc, 64, v8
	v_addc_co_u32_e32 v9, vcc, 0, v9, vcc
	s_waitcnt vmcnt(0) lgkmcnt(0)
	ds_write_b64 v16, v[2:3]
	s_waitcnt lgkmcnt(0)
	s_barrier
	ds_read_b128 v[22:25], v18
	ds_read_b128 v[26:29], v18 offset:16
	ds_read_b128 v[30:33], v18 offset:32
	;; [unrolled: 1-line block ×3, first 2 shown]
	ds_read2_b64 v[34:37], v17 offset1:16
	s_waitcnt lgkmcnt(0)
	v_mul_f32_e32 v38, v23, v35
	v_mul_f32_e32 v39, v22, v35
	v_fma_f32 v38, v22, v34, -v38
	v_fmac_f32_e32 v39, v23, v34
	v_add_f32_e32 v14, v14, v38
	v_add_f32_e32 v38, v21, v39
	v_mul_f32_e32 v21, v23, v37
	v_fma_f32 v21, v22, v36, -v21
	v_mul_f32_e32 v22, v22, v37
	v_fmac_f32_e32 v22, v23, v36
	v_add_f32_e32 v39, v13, v21
	v_add_f32_e32 v40, v20, v22
	ds_read_b128 v[20:23], v18 offset:1024
	s_waitcnt lgkmcnt(0)
	v_mul_f32_e32 v13, v21, v35
	v_fma_f32 v13, v20, v34, -v13
	v_mul_f32_e32 v35, v20, v35
	v_fmac_f32_e32 v35, v21, v34
	v_add_f32_e32 v34, v12, v13
	v_mul_f32_e32 v12, v21, v37
	v_mul_f32_e32 v13, v20, v37
	v_fma_f32 v12, v20, v36, -v12
	v_fmac_f32_e32 v13, v21, v36
	v_add_f32_e32 v20, v11, v12
	v_add_f32_e32 v21, v10, v13
	ds_read2_b64 v[10:13], v17 offset0:32 offset1:48
	v_add_f32_e32 v19, v19, v35
	s_waitcnt lgkmcnt(0)
	v_mul_f32_e32 v35, v25, v11
	v_mul_f32_e32 v36, v24, v11
	v_fma_f32 v35, v24, v10, -v35
	v_fmac_f32_e32 v36, v25, v10
	v_add_f32_e32 v14, v14, v35
	v_add_f32_e32 v35, v38, v36
	v_mul_f32_e32 v36, v25, v13
	v_fma_f32 v36, v24, v12, -v36
	v_mul_f32_e32 v24, v24, v13
	v_fmac_f32_e32 v24, v25, v12
	v_add_f32_e32 v25, v39, v36
	v_mul_f32_e32 v36, v23, v11
	v_mul_f32_e32 v11, v22, v11
	v_fma_f32 v36, v22, v10, -v36
	v_fmac_f32_e32 v11, v23, v10
	v_add_f32_e32 v34, v34, v36
	v_add_f32_e32 v36, v19, v11
	v_mul_f32_e32 v10, v23, v13
	v_mul_f32_e32 v11, v22, v13
	v_fma_f32 v10, v22, v12, -v10
	v_fmac_f32_e32 v11, v23, v12
	v_add_f32_e32 v23, v20, v10
	v_add_f32_e32 v37, v21, v11
	ds_read2_b64 v[10:13], v17 offset0:64 offset1:80
	v_add_f32_e32 v24, v40, v24
	s_waitcnt lgkmcnt(0)
	v_mul_f32_e32 v19, v27, v11
	v_mul_f32_e32 v20, v26, v11
	v_fma_f32 v19, v26, v10, -v19
	v_fmac_f32_e32 v20, v27, v10
	v_add_f32_e32 v14, v14, v19
	v_add_f32_e32 v35, v35, v20
	v_mul_f32_e32 v19, v27, v13
	v_mul_f32_e32 v20, v26, v13
	v_fma_f32 v19, v26, v12, -v19
	v_fmac_f32_e32 v20, v27, v12
	v_add_f32_e32 v25, v25, v19
	v_add_f32_e32 v24, v24, v20
	ds_read_b128 v[19:22], v18 offset:1040
	s_waitcnt lgkmcnt(0)
	v_mul_f32_e32 v26, v20, v11
	v_mul_f32_e32 v11, v19, v11
	v_fmac_f32_e32 v11, v20, v10
	v_fma_f32 v26, v19, v10, -v26
	v_add_f32_e32 v27, v36, v11
	v_mul_f32_e32 v10, v20, v13
	v_mul_f32_e32 v11, v19, v13
	v_fma_f32 v10, v19, v12, -v10
	v_fmac_f32_e32 v11, v20, v12
	v_add_f32_e32 v19, v23, v10
	v_add_f32_e32 v20, v37, v11
	ds_read2_b64 v[10:13], v17 offset0:96 offset1:112
	v_add_f32_e32 v26, v34, v26
	s_waitcnt lgkmcnt(0)
	v_mul_f32_e32 v23, v29, v11
	v_mul_f32_e32 v34, v28, v11
	v_fma_f32 v23, v28, v10, -v23
	v_fmac_f32_e32 v34, v29, v10
	v_add_f32_e32 v14, v14, v23
	v_add_f32_e32 v23, v35, v34
	v_mul_f32_e32 v34, v29, v13
	v_fma_f32 v34, v28, v12, -v34
	v_mul_f32_e32 v28, v28, v13
	v_fmac_f32_e32 v28, v29, v12
	v_add_f32_e32 v24, v24, v28
	v_mul_f32_e32 v28, v22, v11
	v_mul_f32_e32 v11, v21, v11
	v_fmac_f32_e32 v11, v22, v10
	v_fma_f32 v28, v21, v10, -v28
	v_add_f32_e32 v27, v27, v11
	v_mul_f32_e32 v10, v22, v13
	v_mul_f32_e32 v11, v21, v13
	v_fma_f32 v10, v21, v12, -v10
	v_fmac_f32_e32 v11, v22, v12
	v_add_f32_e32 v26, v26, v28
	v_add_f32_e32 v28, v19, v10
	v_add_f32_e32 v29, v20, v11
	ds_read2_b64 v[10:13], v17 offset0:128 offset1:144
	v_add_f32_e32 v25, v25, v34
	s_waitcnt lgkmcnt(0)
	v_mul_f32_e32 v19, v31, v11
	v_mul_f32_e32 v20, v30, v11
	v_fma_f32 v19, v30, v10, -v19
	v_fmac_f32_e32 v20, v31, v10
	v_add_f32_e32 v14, v14, v19
	v_add_f32_e32 v23, v23, v20
	v_mul_f32_e32 v19, v31, v13
	v_mul_f32_e32 v20, v30, v13
	v_fma_f32 v19, v30, v12, -v19
	v_fmac_f32_e32 v20, v31, v12
	v_add_f32_e32 v25, v25, v19
	v_add_f32_e32 v24, v24, v20
	ds_read_b128 v[19:22], v18 offset:1056
	s_waitcnt lgkmcnt(0)
	v_mul_f32_e32 v30, v20, v11
	v_mul_f32_e32 v11, v19, v11
	v_fmac_f32_e32 v11, v20, v10
	v_fma_f32 v30, v19, v10, -v30
	v_add_f32_e32 v27, v27, v11
	v_mul_f32_e32 v10, v20, v13
	v_mul_f32_e32 v11, v19, v13
	v_fma_f32 v10, v19, v12, -v10
	v_fmac_f32_e32 v11, v20, v12
	v_add_f32_e32 v19, v28, v10
	v_add_f32_e32 v20, v29, v11
	ds_read2_b64 v[10:13], v17 offset0:160 offset1:176
	v_add_f32_e32 v26, v26, v30
	s_waitcnt lgkmcnt(0)
	v_mul_f32_e32 v28, v33, v11
	v_fma_f32 v28, v32, v10, -v28
	v_add_f32_e32 v14, v14, v28
	v_mul_f32_e32 v28, v33, v13
	v_fma_f32 v28, v32, v12, -v28
	v_mul_f32_e32 v29, v32, v11
	v_add_f32_e32 v25, v25, v28
	v_mul_f32_e32 v28, v22, v11
	v_mul_f32_e32 v11, v21, v11
	v_fmac_f32_e32 v11, v22, v10
	v_fmac_f32_e32 v29, v33, v10
	v_fma_f32 v28, v21, v10, -v28
	v_add_f32_e32 v27, v27, v11
	v_mul_f32_e32 v10, v22, v13
	v_mul_f32_e32 v11, v21, v13
	v_add_f32_e32 v23, v23, v29
	v_mul_f32_e32 v29, v32, v13
	v_fma_f32 v10, v21, v12, -v10
	v_fmac_f32_e32 v11, v22, v12
	v_fmac_f32_e32 v29, v33, v12
	v_add_f32_e32 v26, v26, v28
	v_add_f32_e32 v19, v19, v10
	;; [unrolled: 1-line block ×3, first 2 shown]
	ds_read2_b64 v[10:13], v17 offset0:192 offset1:208
	v_add_f32_e32 v24, v24, v29
	s_waitcnt lgkmcnt(0)
	v_mul_f32_e32 v20, v3, v11
	v_fma_f32 v20, v2, v10, -v20
	v_mul_f32_e32 v21, v2, v11
	v_add_f32_e32 v14, v14, v20
	v_mul_f32_e32 v20, v3, v13
	v_fmac_f32_e32 v21, v3, v10
	v_fma_f32 v20, v2, v12, -v20
	v_mul_f32_e32 v2, v2, v13
	v_add_f32_e32 v29, v23, v21
	v_fmac_f32_e32 v2, v3, v12
	v_add_f32_e32 v3, v25, v20
	ds_read_b128 v[20:23], v18 offset:1072
	v_add_f32_e32 v2, v24, v2
	s_waitcnt lgkmcnt(0)
	v_mul_f32_e32 v24, v21, v11
	v_fma_f32 v24, v20, v10, -v24
	v_mul_f32_e32 v11, v20, v11
	v_fmac_f32_e32 v11, v21, v10
	v_add_f32_e32 v10, v26, v24
	v_mul_f32_e32 v24, v21, v13
	v_fma_f32 v24, v20, v12, -v24
	v_add_f32_e32 v11, v27, v11
	v_add_f32_e32 v30, v19, v24
	ds_read2_b64 v[24:27], v17 offset0:224 offset1:240
	v_mul_f32_e32 v13, v20, v13
	v_fmac_f32_e32 v13, v21, v12
	v_add_f32_e32 v28, v28, v13
	s_waitcnt lgkmcnt(0)
	v_mul_f32_e32 v12, v5, v25
	v_fma_f32 v12, v4, v24, -v12
	v_add_f32_e32 v14, v14, v12
	v_mul_f32_e32 v12, v5, v27
	v_mul_f32_e32 v13, v4, v25
	v_fma_f32 v12, v4, v26, -v12
	v_mul_f32_e32 v4, v4, v27
	v_fmac_f32_e32 v13, v5, v24
	v_fmac_f32_e32 v4, v5, v26
	v_add_f32_e32 v21, v29, v13
	v_add_f32_e32 v13, v3, v12
	;; [unrolled: 1-line block ×3, first 2 shown]
	v_mul_f32_e32 v2, v23, v25
	v_mul_f32_e32 v3, v22, v25
	v_fma_f32 v2, v22, v24, -v2
	v_fmac_f32_e32 v3, v23, v24
	v_add_f32_e32 v12, v10, v2
	v_add_f32_e32 v19, v11, v3
	v_mul_f32_e32 v2, v23, v27
	v_mul_f32_e32 v3, v22, v27
	v_fma_f32 v2, v22, v26, -v2
	v_fmac_f32_e32 v3, v23, v26
	v_add_f32_e32 v11, v30, v2
	v_add_f32_e32 v10, v28, v3
	s_barrier
	s_cbranch_scc0 .LBB788_2
	s_branch .LBB788_4
.LBB788_3:
	v_mov_b32_e32 v21, 0
	v_mov_b32_e32 v14, 0
	;; [unrolled: 1-line block ×8, first 2 shown]
.LBB788_4:
	s_load_dword s3, s[4:5], 0x40
	v_add_u32_e32 v4, s7, v1
	s_waitcnt lgkmcnt(0)
	v_mov_b32_e32 v3, s11
	v_add_u32_e32 v0, s6, v0
	v_cmp_gt_i32_e32 vcc, s2, v4
	v_mad_i64_i32 v[1:2], s[0:1], v4, s3, 0
	v_lshlrev_b64 v[1:2], 3, v[1:2]
	v_add_co_u32_e64 v5, s[0:1], s10, v1
	v_addc_co_u32_e64 v6, s[0:1], v3, v2, s[0:1]
	v_cmp_le_i32_e64 s[0:1], v0, v4
	s_and_b64 s[0:1], vcc, s[0:1]
	s_and_saveexec_b64 s[4:5], s[0:1]
	s_cbranch_execz .LBB788_6
; %bb.5:
	v_ashrrev_i32_e32 v1, 31, v0
	v_lshlrev_b64 v[1:2], 3, v[0:1]
	v_add_co_u32_e64 v1, s[0:1], v5, v1
	v_addc_co_u32_e64 v2, s[0:1], v6, v2, s[0:1]
	v_cmp_ne_u32_e64 s[0:1], v4, v0
	v_cndmask_b32_e64 v15, 0, v21, s[0:1]
	flat_store_dwordx2 v[1:2], v[14:15]
.LBB788_6:
	s_or_b64 exec, exec, s[4:5]
	v_add_u32_e32 v2, 16, v0
	v_cmp_le_i32_e64 s[0:1], v2, v4
	s_and_b64 s[4:5], vcc, s[0:1]
	s_and_saveexec_b64 s[0:1], s[4:5]
	s_cbranch_execz .LBB788_8
; %bb.7:
	v_ashrrev_i32_e32 v3, 31, v2
	v_lshlrev_b64 v[7:8], 3, v[2:3]
	v_add_co_u32_e32 v5, vcc, v5, v7
	v_addc_co_u32_e32 v6, vcc, v6, v8, vcc
	v_cmp_ne_u32_e32 vcc, v4, v2
	v_cndmask_b32_e32 v14, 0, v20, vcc
	flat_store_dwordx2 v[5:6], v[13:14]
.LBB788_8:
	s_or_b64 exec, exec, s[0:1]
	v_add_u32_e32 v3, 16, v4
	v_mad_i64_i32 v[5:6], s[0:1], v3, s3, 0
	v_mov_b32_e32 v1, s11
	v_cmp_gt_i32_e32 vcc, s2, v3
	v_lshlrev_b64 v[5:6], 3, v[5:6]
	v_add_co_u32_e64 v5, s[0:1], s10, v5
	v_addc_co_u32_e64 v6, s[0:1], v1, v6, s[0:1]
	v_cmp_le_i32_e64 s[0:1], v0, v3
	s_and_b64 s[0:1], vcc, s[0:1]
	s_and_saveexec_b64 s[2:3], s[0:1]
	s_cbranch_execz .LBB788_10
; %bb.9:
	v_ashrrev_i32_e32 v1, 31, v0
	v_lshlrev_b64 v[7:8], 3, v[0:1]
	v_add_co_u32_e64 v7, s[0:1], v5, v7
	v_addc_co_u32_e64 v8, s[0:1], v6, v8, s[0:1]
	v_cmp_ne_u32_e64 s[0:1], v3, v0
	v_cndmask_b32_e64 v13, 0, v19, s[0:1]
	flat_store_dwordx2 v[7:8], v[12:13]
.LBB788_10:
	s_or_b64 exec, exec, s[2:3]
	v_cmp_le_i32_e64 s[0:1], v2, v3
	s_and_b64 s[0:1], vcc, s[0:1]
	s_and_saveexec_b64 s[2:3], s[0:1]
	s_cbranch_execz .LBB788_12
; %bb.11:
	v_ashrrev_i32_e32 v3, 31, v2
	v_lshlrev_b64 v[1:2], 3, v[2:3]
	v_add_co_u32_e32 v1, vcc, v5, v1
	v_addc_co_u32_e32 v2, vcc, v6, v2, vcc
	v_cmp_ne_u32_e32 vcc, v4, v0
	v_cndmask_b32_e32 v12, 0, v10, vcc
	flat_store_dwordx2 v[1:2], v[11:12]
.LBB788_12:
	s_endpgm
	.section	.rodata,"a",@progbits
	.p2align	6, 0x0
	.amdhsa_kernel _ZL37rocblas_syrkx_herkx_restricted_kernelIi19rocblas_complex_numIfELi16ELi32ELi8ELi1ELi0ELb1ELc67ELc85EKPKS1_KPS1_EviT_PT9_S7_lS9_S7_lPT10_S7_li
		.amdhsa_group_segment_fixed_size 4096
		.amdhsa_private_segment_fixed_size 0
		.amdhsa_kernarg_size 84
		.amdhsa_user_sgpr_count 6
		.amdhsa_user_sgpr_private_segment_buffer 1
		.amdhsa_user_sgpr_dispatch_ptr 0
		.amdhsa_user_sgpr_queue_ptr 0
		.amdhsa_user_sgpr_kernarg_segment_ptr 1
		.amdhsa_user_sgpr_dispatch_id 0
		.amdhsa_user_sgpr_flat_scratch_init 0
		.amdhsa_user_sgpr_private_segment_size 0
		.amdhsa_uses_dynamic_stack 0
		.amdhsa_system_sgpr_private_segment_wavefront_offset 0
		.amdhsa_system_sgpr_workgroup_id_x 1
		.amdhsa_system_sgpr_workgroup_id_y 1
		.amdhsa_system_sgpr_workgroup_id_z 1
		.amdhsa_system_sgpr_workgroup_info 0
		.amdhsa_system_vgpr_workitem_id 1
		.amdhsa_next_free_vgpr 41
		.amdhsa_next_free_sgpr 17
		.amdhsa_reserve_vcc 1
		.amdhsa_reserve_flat_scratch 0
		.amdhsa_float_round_mode_32 0
		.amdhsa_float_round_mode_16_64 0
		.amdhsa_float_denorm_mode_32 3
		.amdhsa_float_denorm_mode_16_64 3
		.amdhsa_dx10_clamp 1
		.amdhsa_ieee_mode 1
		.amdhsa_fp16_overflow 0
		.amdhsa_exception_fp_ieee_invalid_op 0
		.amdhsa_exception_fp_denorm_src 0
		.amdhsa_exception_fp_ieee_div_zero 0
		.amdhsa_exception_fp_ieee_overflow 0
		.amdhsa_exception_fp_ieee_underflow 0
		.amdhsa_exception_fp_ieee_inexact 0
		.amdhsa_exception_int_div_zero 0
	.end_amdhsa_kernel
	.section	.text._ZL37rocblas_syrkx_herkx_restricted_kernelIi19rocblas_complex_numIfELi16ELi32ELi8ELi1ELi0ELb1ELc67ELc85EKPKS1_KPS1_EviT_PT9_S7_lS9_S7_lPT10_S7_li,"axG",@progbits,_ZL37rocblas_syrkx_herkx_restricted_kernelIi19rocblas_complex_numIfELi16ELi32ELi8ELi1ELi0ELb1ELc67ELc85EKPKS1_KPS1_EviT_PT9_S7_lS9_S7_lPT10_S7_li,comdat
.Lfunc_end788:
	.size	_ZL37rocblas_syrkx_herkx_restricted_kernelIi19rocblas_complex_numIfELi16ELi32ELi8ELi1ELi0ELb1ELc67ELc85EKPKS1_KPS1_EviT_PT9_S7_lS9_S7_lPT10_S7_li, .Lfunc_end788-_ZL37rocblas_syrkx_herkx_restricted_kernelIi19rocblas_complex_numIfELi16ELi32ELi8ELi1ELi0ELb1ELc67ELc85EKPKS1_KPS1_EviT_PT9_S7_lS9_S7_lPT10_S7_li
                                        ; -- End function
	.set _ZL37rocblas_syrkx_herkx_restricted_kernelIi19rocblas_complex_numIfELi16ELi32ELi8ELi1ELi0ELb1ELc67ELc85EKPKS1_KPS1_EviT_PT9_S7_lS9_S7_lPT10_S7_li.num_vgpr, 41
	.set _ZL37rocblas_syrkx_herkx_restricted_kernelIi19rocblas_complex_numIfELi16ELi32ELi8ELi1ELi0ELb1ELc67ELc85EKPKS1_KPS1_EviT_PT9_S7_lS9_S7_lPT10_S7_li.num_agpr, 0
	.set _ZL37rocblas_syrkx_herkx_restricted_kernelIi19rocblas_complex_numIfELi16ELi32ELi8ELi1ELi0ELb1ELc67ELc85EKPKS1_KPS1_EviT_PT9_S7_lS9_S7_lPT10_S7_li.numbered_sgpr, 17
	.set _ZL37rocblas_syrkx_herkx_restricted_kernelIi19rocblas_complex_numIfELi16ELi32ELi8ELi1ELi0ELb1ELc67ELc85EKPKS1_KPS1_EviT_PT9_S7_lS9_S7_lPT10_S7_li.num_named_barrier, 0
	.set _ZL37rocblas_syrkx_herkx_restricted_kernelIi19rocblas_complex_numIfELi16ELi32ELi8ELi1ELi0ELb1ELc67ELc85EKPKS1_KPS1_EviT_PT9_S7_lS9_S7_lPT10_S7_li.private_seg_size, 0
	.set _ZL37rocblas_syrkx_herkx_restricted_kernelIi19rocblas_complex_numIfELi16ELi32ELi8ELi1ELi0ELb1ELc67ELc85EKPKS1_KPS1_EviT_PT9_S7_lS9_S7_lPT10_S7_li.uses_vcc, 1
	.set _ZL37rocblas_syrkx_herkx_restricted_kernelIi19rocblas_complex_numIfELi16ELi32ELi8ELi1ELi0ELb1ELc67ELc85EKPKS1_KPS1_EviT_PT9_S7_lS9_S7_lPT10_S7_li.uses_flat_scratch, 0
	.set _ZL37rocblas_syrkx_herkx_restricted_kernelIi19rocblas_complex_numIfELi16ELi32ELi8ELi1ELi0ELb1ELc67ELc85EKPKS1_KPS1_EviT_PT9_S7_lS9_S7_lPT10_S7_li.has_dyn_sized_stack, 0
	.set _ZL37rocblas_syrkx_herkx_restricted_kernelIi19rocblas_complex_numIfELi16ELi32ELi8ELi1ELi0ELb1ELc67ELc85EKPKS1_KPS1_EviT_PT9_S7_lS9_S7_lPT10_S7_li.has_recursion, 0
	.set _ZL37rocblas_syrkx_herkx_restricted_kernelIi19rocblas_complex_numIfELi16ELi32ELi8ELi1ELi0ELb1ELc67ELc85EKPKS1_KPS1_EviT_PT9_S7_lS9_S7_lPT10_S7_li.has_indirect_call, 0
	.section	.AMDGPU.csdata,"",@progbits
; Kernel info:
; codeLenInByte = 1884
; TotalNumSgprs: 21
; NumVgprs: 41
; ScratchSize: 0
; MemoryBound: 0
; FloatMode: 240
; IeeeMode: 1
; LDSByteSize: 4096 bytes/workgroup (compile time only)
; SGPRBlocks: 2
; VGPRBlocks: 10
; NumSGPRsForWavesPerEU: 21
; NumVGPRsForWavesPerEU: 41
; Occupancy: 5
; WaveLimiterHint : 1
; COMPUTE_PGM_RSRC2:SCRATCH_EN: 0
; COMPUTE_PGM_RSRC2:USER_SGPR: 6
; COMPUTE_PGM_RSRC2:TRAP_HANDLER: 0
; COMPUTE_PGM_RSRC2:TGID_X_EN: 1
; COMPUTE_PGM_RSRC2:TGID_Y_EN: 1
; COMPUTE_PGM_RSRC2:TGID_Z_EN: 1
; COMPUTE_PGM_RSRC2:TIDIG_COMP_CNT: 1
	.section	.text._ZL37rocblas_syrkx_herkx_restricted_kernelIi19rocblas_complex_numIfELi16ELi32ELi8ELi1ELi0ELb1ELc78ELc85EKPKS1_KPS1_EviT_PT9_S7_lS9_S7_lPT10_S7_li,"axG",@progbits,_ZL37rocblas_syrkx_herkx_restricted_kernelIi19rocblas_complex_numIfELi16ELi32ELi8ELi1ELi0ELb1ELc78ELc85EKPKS1_KPS1_EviT_PT9_S7_lS9_S7_lPT10_S7_li,comdat
	.globl	_ZL37rocblas_syrkx_herkx_restricted_kernelIi19rocblas_complex_numIfELi16ELi32ELi8ELi1ELi0ELb1ELc78ELc85EKPKS1_KPS1_EviT_PT9_S7_lS9_S7_lPT10_S7_li ; -- Begin function _ZL37rocblas_syrkx_herkx_restricted_kernelIi19rocblas_complex_numIfELi16ELi32ELi8ELi1ELi0ELb1ELc78ELc85EKPKS1_KPS1_EviT_PT9_S7_lS9_S7_lPT10_S7_li
	.p2align	8
	.type	_ZL37rocblas_syrkx_herkx_restricted_kernelIi19rocblas_complex_numIfELi16ELi32ELi8ELi1ELi0ELb1ELc78ELc85EKPKS1_KPS1_EviT_PT9_S7_lS9_S7_lPT10_S7_li,@function
_ZL37rocblas_syrkx_herkx_restricted_kernelIi19rocblas_complex_numIfELi16ELi32ELi8ELi1ELi0ELb1ELc78ELc85EKPKS1_KPS1_EviT_PT9_S7_lS9_S7_lPT10_S7_li: ; @_ZL37rocblas_syrkx_herkx_restricted_kernelIi19rocblas_complex_numIfELi16ELi32ELi8ELi1ELi0ELb1ELc78ELc85EKPKS1_KPS1_EviT_PT9_S7_lS9_S7_lPT10_S7_li
; %bb.0:
	s_load_dwordx2 s[10:11], s[4:5], 0x38
	s_load_dwordx2 s[2:3], s[4:5], 0x0
	s_mov_b32 s9, 0
	s_lshl_b64 s[0:1], s[8:9], 3
	s_waitcnt lgkmcnt(0)
	s_add_u32 s10, s10, s0
	s_addc_u32 s11, s11, s1
	s_load_dwordx2 s[10:11], s[10:11], 0x0
	s_lshl_b32 s8, s6, 5
	s_lshl_b32 s12, s7, 5
	s_cmp_lt_i32 s3, 1
	s_cbranch_scc1 .LBB789_3
; %bb.1:
	s_load_dword s6, s[4:5], 0x10
	s_load_dword s14, s[4:5], 0x28
	s_load_dwordx2 s[16:17], s[4:5], 0x20
	s_load_dwordx2 s[18:19], s[4:5], 0x8
	v_lshl_add_u32 v5, v1, 4, v0
	s_waitcnt lgkmcnt(0)
	s_ashr_i32 s7, s6, 31
	s_ashr_i32 s15, s14, 31
	v_lshrrev_b32_e32 v6, 3, v5
	s_add_u32 s18, s18, s0
	s_addc_u32 s19, s19, s1
	s_add_u32 s0, s16, s0
	v_add_u32_e32 v2, s12, v6
	s_addc_u32 s1, s17, s1
	v_and_b32_e32 v4, 7, v0
	v_ashrrev_i32_e32 v3, 31, v2
	s_load_dwordx2 s[16:17], s[0:1], 0x0
	v_mad_i64_i32 v[2:3], s[0:1], s14, v4, v[2:3]
	v_lshlrev_b32_e32 v4, 3, v4
	v_lshrrev_b32_e32 v7, 5, v5
	v_and_b32_e32 v5, 31, v5
	v_lshl_or_b32 v4, v6, 6, v4
	v_add_u32_e32 v15, 0x800, v4
	v_add_u32_e32 v4, s8, v5
	v_lshlrev_b32_e32 v8, 3, v5
	v_ashrrev_i32_e32 v5, 31, v4
	v_mad_i64_i32 v[4:5], s[0:1], s6, v7, v[4:5]
	s_load_dwordx2 s[18:19], s[18:19], 0x0
	v_mov_b32_e32 v6, 0x800
	v_lshlrev_b64 v[4:5], 3, v[4:5]
	v_lshl_or_b32 v14, v7, 8, v8
	v_lshl_add_u32 v17, v1, 6, v6
	s_waitcnt lgkmcnt(0)
	v_mov_b32_e32 v7, s19
	v_add_co_u32_e32 v6, vcc, s18, v4
	v_lshlrev_b64 v[2:3], 3, v[2:3]
	v_addc_co_u32_e32 v7, vcc, v7, v5, vcc
	s_lshl_b64 s[0:1], s[6:7], 6
	v_mov_b32_e32 v4, s17
	v_add_co_u32_e32 v8, vcc, s16, v2
	s_lshl_b64 s[6:7], s[14:15], 6
	v_lshlrev_b32_e32 v16, 3, v0
	v_addc_co_u32_e32 v9, vcc, v4, v3, vcc
	v_mov_b32_e32 v20, 0
	v_mov_b32_e32 v18, s1
	;; [unrolled: 1-line block ×10, first 2 shown]
.LBB789_2:                              ; =>This Inner Loop Header: Depth=1
	flat_load_dwordx2 v[2:3], v[6:7]
	v_add_co_u32_e32 v6, vcc, s0, v6
	v_addc_co_u32_e32 v7, vcc, v7, v18, vcc
	s_add_i32 s9, s9, 8
	s_cmp_ge_i32 s9, s3
	s_waitcnt vmcnt(0) lgkmcnt(0)
	ds_write_b64 v14, v[2:3]
	flat_load_dwordx2 v[2:3], v[8:9]
	v_add_co_u32_e32 v8, vcc, s6, v8
	v_addc_co_u32_e32 v9, vcc, v9, v19, vcc
	s_waitcnt vmcnt(0) lgkmcnt(0)
	v_xor_b32_e32 v3, 0x80000000, v3
	ds_write_b64 v15, v[2:3]
	s_waitcnt lgkmcnt(0)
	s_barrier
	ds_read_b128 v[24:27], v17
	ds_read_b128 v[28:31], v17 offset:16
	ds_read_b128 v[32:35], v17 offset:32
	;; [unrolled: 1-line block ×3, first 2 shown]
	ds_read2_b64 v[36:39], v16 offset1:16
	s_waitcnt lgkmcnt(0)
	v_mul_f32_e32 v41, v24, v37
	v_mul_f32_e32 v40, v25, v37
	v_fmac_f32_e32 v41, v25, v36
	v_fma_f32 v40, v24, v36, -v40
	v_add_f32_e32 v41, v23, v41
	v_mul_f32_e32 v23, v24, v39
	v_add_f32_e32 v40, v13, v40
	v_mul_f32_e32 v13, v25, v39
	v_fmac_f32_e32 v23, v25, v38
	v_fma_f32 v13, v24, v38, -v13
	v_add_f32_e32 v43, v22, v23
	ds_read_b128 v[22:25], v17 offset:1024
	v_add_f32_e32 v42, v12, v13
	s_waitcnt lgkmcnt(0)
	v_mul_f32_e32 v12, v23, v37
	v_fma_f32 v12, v22, v36, -v12
	v_mul_f32_e32 v13, v22, v37
	v_fmac_f32_e32 v13, v23, v36
	v_add_f32_e32 v36, v11, v12
	v_mul_f32_e32 v11, v23, v39
	v_mul_f32_e32 v12, v22, v39
	v_fma_f32 v11, v22, v38, -v11
	v_fmac_f32_e32 v12, v23, v38
	v_add_f32_e32 v21, v21, v13
	v_add_f32_e32 v22, v10, v11
	;; [unrolled: 1-line block ×3, first 2 shown]
	ds_read2_b64 v[10:13], v16 offset0:32 offset1:48
	s_waitcnt lgkmcnt(0)
	v_mul_f32_e32 v23, v27, v11
	v_mul_f32_e32 v38, v27, v13
	v_fma_f32 v23, v26, v10, -v23
	v_mul_f32_e32 v37, v26, v11
	v_fma_f32 v38, v26, v12, -v38
	v_mul_f32_e32 v26, v26, v13
	v_fmac_f32_e32 v37, v27, v10
	v_fmac_f32_e32 v26, v27, v12
	v_add_f32_e32 v27, v42, v38
	v_mul_f32_e32 v38, v25, v11
	v_mul_f32_e32 v11, v24, v11
	v_fma_f32 v38, v24, v10, -v38
	v_fmac_f32_e32 v11, v25, v10
	v_add_f32_e32 v36, v36, v38
	v_add_f32_e32 v38, v21, v11
	v_mul_f32_e32 v10, v25, v13
	v_mul_f32_e32 v11, v24, v13
	v_fma_f32 v10, v24, v12, -v10
	v_fmac_f32_e32 v11, v25, v12
	v_add_f32_e32 v24, v22, v10
	v_add_f32_e32 v25, v20, v11
	ds_read2_b64 v[10:13], v16 offset0:64 offset1:80
	v_add_f32_e32 v23, v40, v23
	v_add_f32_e32 v37, v41, v37
	;; [unrolled: 1-line block ×3, first 2 shown]
	s_waitcnt lgkmcnt(0)
	v_mul_f32_e32 v20, v29, v11
	v_mul_f32_e32 v21, v28, v11
	v_fma_f32 v20, v28, v10, -v20
	v_fmac_f32_e32 v21, v29, v10
	v_add_f32_e32 v39, v23, v20
	v_add_f32_e32 v37, v37, v21
	v_mul_f32_e32 v20, v29, v13
	v_mul_f32_e32 v21, v28, v13
	v_fma_f32 v20, v28, v12, -v20
	v_fmac_f32_e32 v21, v29, v12
	v_add_f32_e32 v27, v27, v20
	v_add_f32_e32 v26, v26, v21
	ds_read_b128 v[20:23], v17 offset:1040
	s_waitcnt lgkmcnt(0)
	v_mul_f32_e32 v28, v21, v11
	v_mul_f32_e32 v11, v20, v11
	v_fmac_f32_e32 v11, v21, v10
	v_fma_f32 v28, v20, v10, -v28
	v_add_f32_e32 v29, v38, v11
	v_mul_f32_e32 v10, v21, v13
	v_mul_f32_e32 v11, v20, v13
	v_fma_f32 v10, v20, v12, -v10
	v_fmac_f32_e32 v11, v21, v12
	v_add_f32_e32 v20, v24, v10
	v_add_f32_e32 v21, v25, v11
	ds_read2_b64 v[10:13], v16 offset0:96 offset1:112
	v_add_f32_e32 v28, v36, v28
	s_waitcnt lgkmcnt(0)
	v_mul_f32_e32 v24, v31, v11
	v_mul_f32_e32 v36, v31, v13
	v_fma_f32 v24, v30, v10, -v24
	v_mul_f32_e32 v25, v30, v11
	v_fma_f32 v36, v30, v12, -v36
	v_mul_f32_e32 v30, v30, v13
	v_fmac_f32_e32 v30, v31, v12
	v_add_f32_e32 v26, v26, v30
	v_mul_f32_e32 v30, v23, v11
	v_mul_f32_e32 v11, v22, v11
	v_fmac_f32_e32 v11, v23, v10
	v_fmac_f32_e32 v25, v31, v10
	v_fma_f32 v30, v22, v10, -v30
	v_add_f32_e32 v29, v29, v11
	v_mul_f32_e32 v10, v23, v13
	v_mul_f32_e32 v11, v22, v13
	v_fma_f32 v10, v22, v12, -v10
	v_fmac_f32_e32 v11, v23, v12
	v_add_f32_e32 v28, v28, v30
	v_add_f32_e32 v30, v20, v10
	;; [unrolled: 1-line block ×3, first 2 shown]
	ds_read2_b64 v[10:13], v16 offset0:128 offset1:144
	v_add_f32_e32 v24, v39, v24
	v_add_f32_e32 v25, v37, v25
	;; [unrolled: 1-line block ×3, first 2 shown]
	s_waitcnt lgkmcnt(0)
	v_mul_f32_e32 v20, v33, v11
	v_mul_f32_e32 v21, v32, v11
	v_fma_f32 v20, v32, v10, -v20
	v_fmac_f32_e32 v21, v33, v10
	v_add_f32_e32 v24, v24, v20
	v_add_f32_e32 v25, v25, v21
	v_mul_f32_e32 v20, v33, v13
	v_mul_f32_e32 v21, v32, v13
	v_fma_f32 v20, v32, v12, -v20
	v_fmac_f32_e32 v21, v33, v12
	v_add_f32_e32 v27, v27, v20
	v_add_f32_e32 v26, v26, v21
	ds_read_b128 v[20:23], v17 offset:1056
	s_waitcnt lgkmcnt(0)
	v_mul_f32_e32 v32, v21, v11
	v_mul_f32_e32 v11, v20, v11
	v_fmac_f32_e32 v11, v21, v10
	v_fma_f32 v32, v20, v10, -v32
	v_add_f32_e32 v29, v29, v11
	v_mul_f32_e32 v10, v21, v13
	v_mul_f32_e32 v11, v20, v13
	v_fma_f32 v10, v20, v12, -v10
	v_fmac_f32_e32 v11, v21, v12
	v_add_f32_e32 v20, v30, v10
	v_add_f32_e32 v21, v31, v11
	ds_read2_b64 v[10:13], v16 offset0:160 offset1:176
	v_add_f32_e32 v28, v28, v32
	s_waitcnt lgkmcnt(0)
	v_mul_f32_e32 v30, v35, v11
	v_fma_f32 v30, v34, v10, -v30
	v_add_f32_e32 v24, v24, v30
	v_mul_f32_e32 v30, v35, v13
	v_fma_f32 v30, v34, v12, -v30
	v_mul_f32_e32 v31, v34, v11
	v_add_f32_e32 v27, v27, v30
	v_mul_f32_e32 v30, v23, v11
	v_mul_f32_e32 v11, v22, v11
	v_fmac_f32_e32 v11, v23, v10
	v_fmac_f32_e32 v31, v35, v10
	v_fma_f32 v30, v22, v10, -v30
	v_add_f32_e32 v29, v29, v11
	v_mul_f32_e32 v10, v23, v13
	v_mul_f32_e32 v11, v22, v13
	v_add_f32_e32 v25, v25, v31
	v_mul_f32_e32 v31, v34, v13
	v_fma_f32 v10, v22, v12, -v10
	v_fmac_f32_e32 v11, v23, v12
	v_fmac_f32_e32 v31, v35, v12
	v_add_f32_e32 v20, v20, v10
	v_add_f32_e32 v21, v21, v11
	ds_read2_b64 v[10:13], v16 offset0:192 offset1:208
	v_add_f32_e32 v28, v28, v30
	v_add_f32_e32 v26, v26, v31
	s_waitcnt lgkmcnt(0)
	v_mul_f32_e32 v22, v3, v11
	v_fma_f32 v22, v2, v10, -v22
	v_mul_f32_e32 v23, v2, v11
	v_add_f32_e32 v30, v24, v22
	v_mul_f32_e32 v22, v3, v13
	v_fmac_f32_e32 v23, v3, v10
	v_fma_f32 v22, v2, v12, -v22
	v_mul_f32_e32 v2, v2, v13
	v_add_f32_e32 v31, v25, v23
	v_fmac_f32_e32 v2, v3, v12
	v_add_f32_e32 v3, v27, v22
	ds_read_b128 v[22:25], v17 offset:1072
	v_add_f32_e32 v2, v26, v2
	s_waitcnt lgkmcnt(0)
	v_mul_f32_e32 v26, v23, v11
	v_mul_f32_e32 v11, v22, v11
	v_fma_f32 v26, v22, v10, -v26
	v_fmac_f32_e32 v11, v23, v10
	v_add_f32_e32 v10, v28, v26
	v_add_f32_e32 v32, v29, v11
	ds_read2_b64 v[26:29], v16 offset0:224 offset1:240
	v_mul_f32_e32 v11, v23, v13
	v_fma_f32 v11, v22, v12, -v11
	v_mul_f32_e32 v13, v22, v13
	v_add_f32_e32 v20, v20, v11
	s_waitcnt lgkmcnt(0)
	v_mul_f32_e32 v11, v5, v27
	v_fmac_f32_e32 v13, v23, v12
	v_fma_f32 v11, v4, v26, -v11
	v_add_f32_e32 v33, v21, v13
	v_add_f32_e32 v13, v30, v11
	v_mul_f32_e32 v11, v5, v29
	v_mul_f32_e32 v12, v4, v27
	v_fma_f32 v11, v4, v28, -v11
	v_mul_f32_e32 v4, v4, v29
	v_fmac_f32_e32 v12, v5, v26
	v_fmac_f32_e32 v4, v5, v28
	v_add_f32_e32 v23, v31, v12
	v_add_f32_e32 v12, v3, v11
	;; [unrolled: 1-line block ×3, first 2 shown]
	v_mul_f32_e32 v2, v25, v27
	v_mul_f32_e32 v3, v24, v27
	v_fma_f32 v2, v24, v26, -v2
	v_fmac_f32_e32 v3, v25, v26
	v_add_f32_e32 v11, v10, v2
	v_add_f32_e32 v21, v32, v3
	v_mul_f32_e32 v2, v25, v29
	v_mul_f32_e32 v3, v24, v29
	v_fma_f32 v2, v24, v28, -v2
	v_fmac_f32_e32 v3, v25, v28
	v_add_f32_e32 v10, v20, v2
	v_add_f32_e32 v20, v33, v3
	s_barrier
	s_cbranch_scc0 .LBB789_2
	s_branch .LBB789_4
.LBB789_3:
	v_mov_b32_e32 v23, 0
	v_mov_b32_e32 v13, 0
	;; [unrolled: 1-line block ×8, first 2 shown]
.LBB789_4:
	s_load_dword s3, s[4:5], 0x40
	v_add_u32_e32 v4, s12, v1
	s_waitcnt lgkmcnt(0)
	v_mov_b32_e32 v3, s11
	v_add_u32_e32 v0, s8, v0
	v_cmp_gt_i32_e32 vcc, s2, v4
	v_mad_i64_i32 v[1:2], s[0:1], v4, s3, 0
	v_lshlrev_b64 v[1:2], 3, v[1:2]
	v_add_co_u32_e64 v5, s[0:1], s10, v1
	v_addc_co_u32_e64 v6, s[0:1], v3, v2, s[0:1]
	v_cmp_le_i32_e64 s[0:1], v0, v4
	s_and_b64 s[0:1], vcc, s[0:1]
	s_and_saveexec_b64 s[4:5], s[0:1]
	s_cbranch_execz .LBB789_6
; %bb.5:
	v_ashrrev_i32_e32 v1, 31, v0
	v_lshlrev_b64 v[1:2], 3, v[0:1]
	v_add_co_u32_e64 v1, s[0:1], v5, v1
	v_addc_co_u32_e64 v2, s[0:1], v6, v2, s[0:1]
	v_cmp_ne_u32_e64 s[0:1], v4, v0
	v_cndmask_b32_e64 v14, 0, v23, s[0:1]
	flat_store_dwordx2 v[1:2], v[13:14]
.LBB789_6:
	s_or_b64 exec, exec, s[4:5]
	v_add_u32_e32 v2, 16, v0
	v_cmp_le_i32_e64 s[0:1], v2, v4
	s_and_b64 s[4:5], vcc, s[0:1]
	s_and_saveexec_b64 s[0:1], s[4:5]
	s_cbranch_execz .LBB789_8
; %bb.7:
	v_ashrrev_i32_e32 v3, 31, v2
	v_lshlrev_b64 v[7:8], 3, v[2:3]
	v_add_co_u32_e32 v5, vcc, v5, v7
	v_addc_co_u32_e32 v6, vcc, v6, v8, vcc
	v_cmp_ne_u32_e32 vcc, v4, v2
	v_cndmask_b32_e32 v13, 0, v22, vcc
	flat_store_dwordx2 v[5:6], v[12:13]
.LBB789_8:
	s_or_b64 exec, exec, s[0:1]
	v_add_u32_e32 v3, 16, v4
	v_mad_i64_i32 v[5:6], s[0:1], v3, s3, 0
	v_mov_b32_e32 v1, s11
	v_cmp_gt_i32_e32 vcc, s2, v3
	v_lshlrev_b64 v[5:6], 3, v[5:6]
	v_add_co_u32_e64 v5, s[0:1], s10, v5
	v_addc_co_u32_e64 v6, s[0:1], v1, v6, s[0:1]
	v_cmp_le_i32_e64 s[0:1], v0, v3
	s_and_b64 s[0:1], vcc, s[0:1]
	s_and_saveexec_b64 s[2:3], s[0:1]
	s_cbranch_execz .LBB789_10
; %bb.9:
	v_ashrrev_i32_e32 v1, 31, v0
	v_lshlrev_b64 v[7:8], 3, v[0:1]
	v_add_co_u32_e64 v7, s[0:1], v5, v7
	v_addc_co_u32_e64 v8, s[0:1], v6, v8, s[0:1]
	v_cmp_ne_u32_e64 s[0:1], v3, v0
	v_cndmask_b32_e64 v12, 0, v21, s[0:1]
	flat_store_dwordx2 v[7:8], v[11:12]
.LBB789_10:
	s_or_b64 exec, exec, s[2:3]
	v_cmp_le_i32_e64 s[0:1], v2, v3
	s_and_b64 s[0:1], vcc, s[0:1]
	s_and_saveexec_b64 s[2:3], s[0:1]
	s_cbranch_execz .LBB789_12
; %bb.11:
	v_ashrrev_i32_e32 v3, 31, v2
	v_lshlrev_b64 v[1:2], 3, v[2:3]
	v_add_co_u32_e32 v1, vcc, v5, v1
	v_addc_co_u32_e32 v2, vcc, v6, v2, vcc
	v_cmp_ne_u32_e32 vcc, v4, v0
	v_cndmask_b32_e32 v11, 0, v20, vcc
	flat_store_dwordx2 v[1:2], v[10:11]
.LBB789_12:
	s_endpgm
	.section	.rodata,"a",@progbits
	.p2align	6, 0x0
	.amdhsa_kernel _ZL37rocblas_syrkx_herkx_restricted_kernelIi19rocblas_complex_numIfELi16ELi32ELi8ELi1ELi0ELb1ELc78ELc85EKPKS1_KPS1_EviT_PT9_S7_lS9_S7_lPT10_S7_li
		.amdhsa_group_segment_fixed_size 4096
		.amdhsa_private_segment_fixed_size 0
		.amdhsa_kernarg_size 84
		.amdhsa_user_sgpr_count 6
		.amdhsa_user_sgpr_private_segment_buffer 1
		.amdhsa_user_sgpr_dispatch_ptr 0
		.amdhsa_user_sgpr_queue_ptr 0
		.amdhsa_user_sgpr_kernarg_segment_ptr 1
		.amdhsa_user_sgpr_dispatch_id 0
		.amdhsa_user_sgpr_flat_scratch_init 0
		.amdhsa_user_sgpr_private_segment_size 0
		.amdhsa_uses_dynamic_stack 0
		.amdhsa_system_sgpr_private_segment_wavefront_offset 0
		.amdhsa_system_sgpr_workgroup_id_x 1
		.amdhsa_system_sgpr_workgroup_id_y 1
		.amdhsa_system_sgpr_workgroup_id_z 1
		.amdhsa_system_sgpr_workgroup_info 0
		.amdhsa_system_vgpr_workitem_id 1
		.amdhsa_next_free_vgpr 44
		.amdhsa_next_free_sgpr 20
		.amdhsa_reserve_vcc 1
		.amdhsa_reserve_flat_scratch 0
		.amdhsa_float_round_mode_32 0
		.amdhsa_float_round_mode_16_64 0
		.amdhsa_float_denorm_mode_32 3
		.amdhsa_float_denorm_mode_16_64 3
		.amdhsa_dx10_clamp 1
		.amdhsa_ieee_mode 1
		.amdhsa_fp16_overflow 0
		.amdhsa_exception_fp_ieee_invalid_op 0
		.amdhsa_exception_fp_denorm_src 0
		.amdhsa_exception_fp_ieee_div_zero 0
		.amdhsa_exception_fp_ieee_overflow 0
		.amdhsa_exception_fp_ieee_underflow 0
		.amdhsa_exception_fp_ieee_inexact 0
		.amdhsa_exception_int_div_zero 0
	.end_amdhsa_kernel
	.section	.text._ZL37rocblas_syrkx_herkx_restricted_kernelIi19rocblas_complex_numIfELi16ELi32ELi8ELi1ELi0ELb1ELc78ELc85EKPKS1_KPS1_EviT_PT9_S7_lS9_S7_lPT10_S7_li,"axG",@progbits,_ZL37rocblas_syrkx_herkx_restricted_kernelIi19rocblas_complex_numIfELi16ELi32ELi8ELi1ELi0ELb1ELc78ELc85EKPKS1_KPS1_EviT_PT9_S7_lS9_S7_lPT10_S7_li,comdat
.Lfunc_end789:
	.size	_ZL37rocblas_syrkx_herkx_restricted_kernelIi19rocblas_complex_numIfELi16ELi32ELi8ELi1ELi0ELb1ELc78ELc85EKPKS1_KPS1_EviT_PT9_S7_lS9_S7_lPT10_S7_li, .Lfunc_end789-_ZL37rocblas_syrkx_herkx_restricted_kernelIi19rocblas_complex_numIfELi16ELi32ELi8ELi1ELi0ELb1ELc78ELc85EKPKS1_KPS1_EviT_PT9_S7_lS9_S7_lPT10_S7_li
                                        ; -- End function
	.set _ZL37rocblas_syrkx_herkx_restricted_kernelIi19rocblas_complex_numIfELi16ELi32ELi8ELi1ELi0ELb1ELc78ELc85EKPKS1_KPS1_EviT_PT9_S7_lS9_S7_lPT10_S7_li.num_vgpr, 44
	.set _ZL37rocblas_syrkx_herkx_restricted_kernelIi19rocblas_complex_numIfELi16ELi32ELi8ELi1ELi0ELb1ELc78ELc85EKPKS1_KPS1_EviT_PT9_S7_lS9_S7_lPT10_S7_li.num_agpr, 0
	.set _ZL37rocblas_syrkx_herkx_restricted_kernelIi19rocblas_complex_numIfELi16ELi32ELi8ELi1ELi0ELb1ELc78ELc85EKPKS1_KPS1_EviT_PT9_S7_lS9_S7_lPT10_S7_li.numbered_sgpr, 20
	.set _ZL37rocblas_syrkx_herkx_restricted_kernelIi19rocblas_complex_numIfELi16ELi32ELi8ELi1ELi0ELb1ELc78ELc85EKPKS1_KPS1_EviT_PT9_S7_lS9_S7_lPT10_S7_li.num_named_barrier, 0
	.set _ZL37rocblas_syrkx_herkx_restricted_kernelIi19rocblas_complex_numIfELi16ELi32ELi8ELi1ELi0ELb1ELc78ELc85EKPKS1_KPS1_EviT_PT9_S7_lS9_S7_lPT10_S7_li.private_seg_size, 0
	.set _ZL37rocblas_syrkx_herkx_restricted_kernelIi19rocblas_complex_numIfELi16ELi32ELi8ELi1ELi0ELb1ELc78ELc85EKPKS1_KPS1_EviT_PT9_S7_lS9_S7_lPT10_S7_li.uses_vcc, 1
	.set _ZL37rocblas_syrkx_herkx_restricted_kernelIi19rocblas_complex_numIfELi16ELi32ELi8ELi1ELi0ELb1ELc78ELc85EKPKS1_KPS1_EviT_PT9_S7_lS9_S7_lPT10_S7_li.uses_flat_scratch, 0
	.set _ZL37rocblas_syrkx_herkx_restricted_kernelIi19rocblas_complex_numIfELi16ELi32ELi8ELi1ELi0ELb1ELc78ELc85EKPKS1_KPS1_EviT_PT9_S7_lS9_S7_lPT10_S7_li.has_dyn_sized_stack, 0
	.set _ZL37rocblas_syrkx_herkx_restricted_kernelIi19rocblas_complex_numIfELi16ELi32ELi8ELi1ELi0ELb1ELc78ELc85EKPKS1_KPS1_EviT_PT9_S7_lS9_S7_lPT10_S7_li.has_recursion, 0
	.set _ZL37rocblas_syrkx_herkx_restricted_kernelIi19rocblas_complex_numIfELi16ELi32ELi8ELi1ELi0ELb1ELc78ELc85EKPKS1_KPS1_EviT_PT9_S7_lS9_S7_lPT10_S7_li.has_indirect_call, 0
	.section	.AMDGPU.csdata,"",@progbits
; Kernel info:
; codeLenInByte = 1912
; TotalNumSgprs: 24
; NumVgprs: 44
; ScratchSize: 0
; MemoryBound: 0
; FloatMode: 240
; IeeeMode: 1
; LDSByteSize: 4096 bytes/workgroup (compile time only)
; SGPRBlocks: 2
; VGPRBlocks: 10
; NumSGPRsForWavesPerEU: 24
; NumVGPRsForWavesPerEU: 44
; Occupancy: 5
; WaveLimiterHint : 1
; COMPUTE_PGM_RSRC2:SCRATCH_EN: 0
; COMPUTE_PGM_RSRC2:USER_SGPR: 6
; COMPUTE_PGM_RSRC2:TRAP_HANDLER: 0
; COMPUTE_PGM_RSRC2:TGID_X_EN: 1
; COMPUTE_PGM_RSRC2:TGID_Y_EN: 1
; COMPUTE_PGM_RSRC2:TGID_Z_EN: 1
; COMPUTE_PGM_RSRC2:TIDIG_COMP_CNT: 1
	.section	.text._ZL37rocblas_syrkx_herkx_restricted_kernelIi19rocblas_complex_numIfELi16ELi32ELi8ELin1ELi0ELb1ELc84ELc76EKPKS1_KPS1_EviT_PT9_S7_lS9_S7_lPT10_S7_li,"axG",@progbits,_ZL37rocblas_syrkx_herkx_restricted_kernelIi19rocblas_complex_numIfELi16ELi32ELi8ELin1ELi0ELb1ELc84ELc76EKPKS1_KPS1_EviT_PT9_S7_lS9_S7_lPT10_S7_li,comdat
	.globl	_ZL37rocblas_syrkx_herkx_restricted_kernelIi19rocblas_complex_numIfELi16ELi32ELi8ELin1ELi0ELb1ELc84ELc76EKPKS1_KPS1_EviT_PT9_S7_lS9_S7_lPT10_S7_li ; -- Begin function _ZL37rocblas_syrkx_herkx_restricted_kernelIi19rocblas_complex_numIfELi16ELi32ELi8ELin1ELi0ELb1ELc84ELc76EKPKS1_KPS1_EviT_PT9_S7_lS9_S7_lPT10_S7_li
	.p2align	8
	.type	_ZL37rocblas_syrkx_herkx_restricted_kernelIi19rocblas_complex_numIfELi16ELi32ELi8ELin1ELi0ELb1ELc84ELc76EKPKS1_KPS1_EviT_PT9_S7_lS9_S7_lPT10_S7_li,@function
_ZL37rocblas_syrkx_herkx_restricted_kernelIi19rocblas_complex_numIfELi16ELi32ELi8ELin1ELi0ELb1ELc84ELc76EKPKS1_KPS1_EviT_PT9_S7_lS9_S7_lPT10_S7_li: ; @_ZL37rocblas_syrkx_herkx_restricted_kernelIi19rocblas_complex_numIfELi16ELi32ELi8ELin1ELi0ELb1ELc84ELc76EKPKS1_KPS1_EviT_PT9_S7_lS9_S7_lPT10_S7_li
; %bb.0:
	s_load_dwordx2 s[2:3], s[4:5], 0x38
	s_load_dwordx2 s[12:13], s[4:5], 0x0
	s_mov_b32 s9, 0
	s_lshl_b64 s[0:1], s[8:9], 3
	s_waitcnt lgkmcnt(0)
	s_add_u32 s2, s2, s0
	s_addc_u32 s3, s3, s1
	s_load_dwordx2 s[10:11], s[2:3], 0x0
	s_lshl_b32 s2, s6, 5
	s_lshl_b32 s3, s7, 5
	s_cmp_lt_i32 s13, 1
	s_cbranch_scc1 .LBB790_3
; %bb.1:
	v_lshl_add_u32 v4, v1, 4, v0
	s_load_dwordx2 s[6:7], s[4:5], 0x8
	s_load_dword s8, s[4:5], 0x10
	s_load_dwordx2 s[14:15], s[4:5], 0x20
	s_load_dword s16, s[4:5], 0x28
	v_and_b32_e32 v7, 31, v4
	v_lshrrev_b32_e32 v6, 3, v4
	v_and_b32_e32 v9, 7, v0
	v_lshrrev_b32_e32 v4, 5, v4
	v_lshlrev_b32_e32 v8, 3, v7
	s_waitcnt lgkmcnt(0)
	s_add_u32 s6, s6, s0
	v_lshl_or_b32 v11, v4, 8, v8
	v_lshlrev_b32_e32 v8, 3, v9
	s_addc_u32 s7, s7, s1
	v_add_u32_e32 v2, s3, v6
	v_mov_b32_e32 v10, 0
	v_lshl_or_b32 v6, v6, 6, v8
	s_add_u32 s0, s14, s0
	v_mov_b32_e32 v5, v10
	v_add_u32_e32 v12, 0x800, v6
	v_add_u32_e32 v6, s2, v7
	s_addc_u32 s1, s15, s1
	v_mad_i64_i32 v[4:5], s[14:15], s8, v6, v[4:5]
	s_load_dwordx2 s[6:7], s[6:7], 0x0
	v_mad_i64_i32 v[2:3], s[14:15], s16, v2, v[9:10]
	s_load_dwordx2 s[0:1], s[0:1], 0x0
	v_lshlrev_b64 v[4:5], 3, v[4:5]
	v_mov_b32_e32 v6, 0x800
	v_lshl_add_u32 v14, v1, 6, v6
	s_waitcnt lgkmcnt(0)
	v_mov_b32_e32 v7, s7
	v_add_co_u32_e32 v6, vcc, s6, v4
	v_lshlrev_b64 v[2:3], 3, v[2:3]
	v_addc_co_u32_e32 v7, vcc, v7, v5, vcc
	v_mov_b32_e32 v4, s1
	v_add_co_u32_e32 v8, vcc, s0, v2
	v_lshlrev_b32_e32 v13, 3, v0
	v_addc_co_u32_e32 v9, vcc, v4, v3, vcc
	v_mov_b32_e32 v15, v10
	v_mov_b32_e32 v16, v10
	;; [unrolled: 1-line block ×7, first 2 shown]
.LBB790_2:                              ; =>This Inner Loop Header: Depth=1
	flat_load_dwordx2 v[2:3], v[6:7]
	v_add_co_u32_e32 v6, vcc, 64, v6
	v_addc_co_u32_e32 v7, vcc, 0, v7, vcc
	s_add_i32 s9, s9, 8
	s_cmp_ge_i32 s9, s13
	s_waitcnt vmcnt(0) lgkmcnt(0)
	ds_write_b64 v11, v[2:3]
	flat_load_dwordx2 v[2:3], v[8:9]
	v_add_co_u32_e32 v8, vcc, 64, v8
	v_addc_co_u32_e32 v9, vcc, 0, v9, vcc
	s_waitcnt vmcnt(0) lgkmcnt(0)
	ds_write_b64 v12, v[2:3]
	s_waitcnt lgkmcnt(0)
	s_barrier
	ds_read_b128 v[22:25], v14
	ds_read_b128 v[26:29], v14 offset:16
	ds_read_b128 v[30:33], v14 offset:32
	;; [unrolled: 1-line block ×3, first 2 shown]
	ds_read2_b64 v[34:37], v13 offset1:16
	s_waitcnt lgkmcnt(0)
	v_mul_f32_e32 v38, v23, v35
	v_mul_f32_e32 v39, v22, v35
	v_fma_f32 v38, v22, v34, -v38
	v_fmac_f32_e32 v39, v23, v34
	v_add_f32_e32 v38, v20, v38
	v_add_f32_e32 v39, v21, v39
	v_mul_f32_e32 v20, v23, v37
	v_mul_f32_e32 v21, v22, v37
	v_fma_f32 v20, v22, v36, -v20
	v_fmac_f32_e32 v21, v23, v36
	v_add_f32_e32 v22, v19, v20
	v_add_f32_e32 v23, v18, v21
	ds_read_b128 v[18:21], v14 offset:1024
	s_waitcnt lgkmcnt(0)
	v_mul_f32_e32 v40, v19, v35
	v_mul_f32_e32 v35, v18, v35
	v_fma_f32 v40, v18, v34, -v40
	v_fmac_f32_e32 v35, v19, v34
	v_add_f32_e32 v34, v17, v40
	v_add_f32_e32 v35, v16, v35
	v_mul_f32_e32 v16, v19, v37
	v_mul_f32_e32 v17, v18, v37
	v_fma_f32 v16, v18, v36, -v16
	v_fmac_f32_e32 v17, v19, v36
	v_add_f32_e32 v19, v15, v16
	v_add_f32_e32 v10, v10, v17
	ds_read2_b64 v[15:18], v13 offset0:32 offset1:48
	s_waitcnt lgkmcnt(0)
	v_mul_f32_e32 v36, v25, v16
	v_fma_f32 v36, v24, v15, -v36
	v_add_f32_e32 v36, v38, v36
	v_mul_f32_e32 v38, v25, v18
	v_mul_f32_e32 v37, v24, v16
	v_fma_f32 v38, v24, v17, -v38
	v_mul_f32_e32 v24, v24, v18
	v_fmac_f32_e32 v24, v25, v17
	v_add_f32_e32 v23, v23, v24
	v_mul_f32_e32 v24, v21, v16
	v_mul_f32_e32 v16, v20, v16
	v_fmac_f32_e32 v16, v21, v15
	v_fmac_f32_e32 v37, v25, v15
	v_fma_f32 v24, v20, v15, -v24
	v_add_f32_e32 v25, v35, v16
	v_mul_f32_e32 v15, v21, v18
	v_mul_f32_e32 v16, v20, v18
	v_fma_f32 v15, v20, v17, -v15
	v_fmac_f32_e32 v16, v21, v17
	v_add_f32_e32 v24, v34, v24
	v_add_f32_e32 v34, v19, v15
	;; [unrolled: 1-line block ×3, first 2 shown]
	ds_read2_b64 v[15:18], v13 offset0:64 offset1:80
	v_add_f32_e32 v37, v39, v37
	v_add_f32_e32 v22, v22, v38
	s_waitcnt lgkmcnt(0)
	v_mul_f32_e32 v19, v27, v16
	v_mul_f32_e32 v20, v26, v16
	v_fma_f32 v19, v26, v15, -v19
	v_fmac_f32_e32 v20, v27, v15
	v_add_f32_e32 v35, v36, v19
	v_add_f32_e32 v36, v37, v20
	v_mul_f32_e32 v19, v27, v18
	v_mul_f32_e32 v20, v26, v18
	v_fma_f32 v19, v26, v17, -v19
	v_fmac_f32_e32 v20, v27, v17
	v_add_f32_e32 v26, v22, v19
	v_add_f32_e32 v23, v23, v20
	ds_read_b128 v[19:22], v14 offset:1040
	s_waitcnt lgkmcnt(0)
	v_mul_f32_e32 v27, v20, v16
	v_mul_f32_e32 v16, v19, v16
	v_fmac_f32_e32 v16, v20, v15
	v_fma_f32 v27, v19, v15, -v27
	v_add_f32_e32 v25, v25, v16
	v_mul_f32_e32 v15, v20, v18
	v_mul_f32_e32 v16, v19, v18
	v_fma_f32 v15, v19, v17, -v15
	v_fmac_f32_e32 v16, v20, v17
	v_add_f32_e32 v19, v34, v15
	v_add_f32_e32 v10, v10, v16
	ds_read2_b64 v[15:18], v13 offset0:96 offset1:112
	v_add_f32_e32 v24, v24, v27
	s_waitcnt lgkmcnt(0)
	v_mul_f32_e32 v20, v29, v16
	v_mul_f32_e32 v34, v29, v18
	v_fma_f32 v20, v28, v15, -v20
	v_mul_f32_e32 v27, v28, v16
	v_fma_f32 v34, v28, v17, -v34
	v_mul_f32_e32 v28, v28, v18
	v_fmac_f32_e32 v28, v29, v17
	v_add_f32_e32 v23, v23, v28
	v_mul_f32_e32 v28, v22, v16
	v_mul_f32_e32 v16, v21, v16
	v_fmac_f32_e32 v16, v22, v15
	v_fmac_f32_e32 v27, v29, v15
	v_fma_f32 v28, v21, v15, -v28
	v_add_f32_e32 v25, v25, v16
	v_mul_f32_e32 v15, v22, v18
	v_mul_f32_e32 v16, v21, v18
	v_fma_f32 v15, v21, v17, -v15
	v_fmac_f32_e32 v16, v22, v17
	v_add_f32_e32 v24, v24, v28
	v_add_f32_e32 v28, v19, v15
	;; [unrolled: 1-line block ×3, first 2 shown]
	ds_read2_b64 v[15:18], v13 offset0:128 offset1:144
	v_add_f32_e32 v20, v35, v20
	v_add_f32_e32 v27, v36, v27
	;; [unrolled: 1-line block ×3, first 2 shown]
	s_waitcnt lgkmcnt(0)
	v_mul_f32_e32 v19, v31, v16
	v_fma_f32 v19, v30, v15, -v19
	v_mul_f32_e32 v21, v30, v16
	v_add_f32_e32 v29, v20, v19
	v_mul_f32_e32 v19, v31, v18
	v_mul_f32_e32 v20, v30, v18
	v_fmac_f32_e32 v21, v31, v15
	v_fma_f32 v19, v30, v17, -v19
	v_fmac_f32_e32 v20, v31, v17
	v_add_f32_e32 v27, v27, v21
	v_add_f32_e32 v26, v26, v19
	;; [unrolled: 1-line block ×3, first 2 shown]
	ds_read_b128 v[19:22], v14 offset:1056
	s_waitcnt lgkmcnt(0)
	v_mul_f32_e32 v30, v20, v16
	v_mul_f32_e32 v16, v19, v16
	v_fmac_f32_e32 v16, v20, v15
	v_fma_f32 v30, v19, v15, -v30
	v_add_f32_e32 v25, v25, v16
	v_mul_f32_e32 v15, v20, v18
	v_mul_f32_e32 v16, v19, v18
	v_fma_f32 v15, v19, v17, -v15
	v_fmac_f32_e32 v16, v20, v17
	v_add_f32_e32 v19, v28, v15
	v_add_f32_e32 v10, v10, v16
	ds_read2_b64 v[15:18], v13 offset0:160 offset1:176
	v_add_f32_e32 v24, v24, v30
	s_waitcnt lgkmcnt(0)
	v_mul_f32_e32 v28, v32, v16
	v_fmac_f32_e32 v28, v33, v15
	v_add_f32_e32 v27, v27, v28
	v_mul_f32_e32 v28, v33, v18
	v_fma_f32 v28, v32, v17, -v28
	v_mul_f32_e32 v20, v33, v16
	v_add_f32_e32 v26, v26, v28
	v_mul_f32_e32 v28, v22, v16
	v_mul_f32_e32 v16, v21, v16
	v_fmac_f32_e32 v16, v22, v15
	v_fma_f32 v20, v32, v15, -v20
	v_fma_f32 v28, v21, v15, -v28
	v_add_f32_e32 v25, v25, v16
	v_mul_f32_e32 v15, v22, v18
	v_mul_f32_e32 v16, v21, v18
	v_add_f32_e32 v20, v29, v20
	v_mul_f32_e32 v29, v32, v18
	v_fma_f32 v15, v21, v17, -v15
	v_fmac_f32_e32 v16, v22, v17
	v_fmac_f32_e32 v29, v33, v17
	v_add_f32_e32 v19, v19, v15
	v_add_f32_e32 v10, v10, v16
	ds_read2_b64 v[15:18], v13 offset0:192 offset1:208
	v_add_f32_e32 v24, v24, v28
	v_add_f32_e32 v23, v23, v29
	s_waitcnt lgkmcnt(0)
	v_mul_f32_e32 v21, v3, v16
	v_fma_f32 v21, v2, v15, -v21
	v_add_f32_e32 v28, v20, v21
	v_mul_f32_e32 v20, v3, v18
	v_mul_f32_e32 v22, v2, v16
	v_fma_f32 v20, v2, v17, -v20
	v_mul_f32_e32 v2, v2, v18
	v_fmac_f32_e32 v22, v3, v15
	v_fmac_f32_e32 v2, v3, v17
	v_add_f32_e32 v29, v27, v22
	v_add_f32_e32 v3, v26, v20
	;; [unrolled: 1-line block ×3, first 2 shown]
	ds_read_b128 v[20:23], v14 offset:1072
	s_waitcnt lgkmcnt(0)
	v_mul_f32_e32 v26, v21, v16
	v_fma_f32 v26, v20, v15, -v26
	v_mul_f32_e32 v16, v20, v16
	v_fmac_f32_e32 v16, v21, v15
	v_add_f32_e32 v15, v24, v26
	v_mul_f32_e32 v24, v21, v18
	v_fma_f32 v24, v20, v17, -v24
	v_add_f32_e32 v16, v25, v16
	v_add_f32_e32 v30, v19, v24
	ds_read2_b64 v[24:27], v13 offset0:224 offset1:240
	v_mul_f32_e32 v18, v20, v18
	v_fmac_f32_e32 v18, v21, v17
	v_add_f32_e32 v10, v10, v18
	s_waitcnt lgkmcnt(0)
	v_mul_f32_e32 v17, v5, v25
	v_fma_f32 v17, v4, v24, -v17
	v_add_f32_e32 v20, v28, v17
	v_mul_f32_e32 v17, v5, v27
	v_mul_f32_e32 v18, v4, v25
	v_fma_f32 v17, v4, v26, -v17
	v_mul_f32_e32 v4, v4, v27
	v_fmac_f32_e32 v18, v5, v24
	v_fmac_f32_e32 v4, v5, v26
	v_add_f32_e32 v21, v29, v18
	v_add_f32_e32 v19, v3, v17
	;; [unrolled: 1-line block ×3, first 2 shown]
	v_mul_f32_e32 v2, v23, v25
	v_mul_f32_e32 v3, v22, v25
	v_fma_f32 v2, v22, v24, -v2
	v_fmac_f32_e32 v3, v23, v24
	v_add_f32_e32 v17, v15, v2
	v_add_f32_e32 v16, v16, v3
	v_mul_f32_e32 v2, v23, v27
	v_mul_f32_e32 v3, v22, v27
	v_fma_f32 v2, v22, v26, -v2
	v_fmac_f32_e32 v3, v23, v26
	v_add_f32_e32 v15, v30, v2
	v_add_f32_e32 v10, v10, v3
	s_barrier
	s_cbranch_scc0 .LBB790_2
	s_branch .LBB790_4
.LBB790_3:
	v_mov_b32_e32 v20, 0
	v_mov_b32_e32 v21, 0
	;; [unrolled: 1-line block ×8, first 2 shown]
.LBB790_4:
	s_load_dword s6, s[4:5], 0x40
	v_add_u32_e32 v5, s3, v1
	s_waitcnt lgkmcnt(0)
	v_mov_b32_e32 v3, s11
	v_add_u32_e32 v0, s2, v0
	v_mad_i64_i32 v[1:2], s[0:1], v5, s6, 0
	v_cmp_le_i32_e64 s[0:1], v5, v0
	v_lshlrev_b64 v[1:2], 3, v[1:2]
	v_add_co_u32_e32 v4, vcc, s10, v1
	v_addc_co_u32_e32 v6, vcc, v3, v2, vcc
	v_cmp_gt_i32_e32 vcc, s12, v0
	s_and_b64 s[0:1], s[0:1], vcc
	s_and_saveexec_b64 s[2:3], s[0:1]
	s_cbranch_execz .LBB790_7
; %bb.5:
	v_ashrrev_i32_e32 v1, 31, v0
	v_lshlrev_b64 v[1:2], 3, v[0:1]
	v_xor_b32_e32 v7, 0x80000000, v20
	v_add_co_u32_e64 v1, s[0:1], v4, v1
	v_addc_co_u32_e64 v2, s[0:1], v6, v2, s[0:1]
	v_xor_b32_e32 v8, 0x80000000, v21
	v_cmp_eq_u32_e64 s[0:1], v5, v0
	flat_store_dwordx2 v[1:2], v[7:8]
	s_and_b64 exec, exec, s[0:1]
	s_cbranch_execz .LBB790_7
; %bb.6:
	v_mov_b32_e32 v3, 0
	flat_store_dword v[1:2], v3 offset:4
.LBB790_7:
	s_or_b64 exec, exec, s[2:3]
	v_add_u32_e32 v2, 16, v0
	v_cmp_le_i32_e64 s[2:3], v5, v2
	v_cmp_gt_i32_e64 s[0:1], s12, v2
	s_and_b64 s[2:3], s[2:3], s[0:1]
	s_and_saveexec_b64 s[4:5], s[2:3]
	s_cbranch_execz .LBB790_10
; %bb.8:
	v_ashrrev_i32_e32 v3, 31, v2
	v_lshlrev_b64 v[11:12], 3, v[2:3]
	v_xor_b32_e32 v7, 0x80000000, v19
	v_add_co_u32_e64 v3, s[2:3], v4, v11
	v_addc_co_u32_e64 v4, s[2:3], v6, v12, s[2:3]
	v_xor_b32_e32 v8, 0x80000000, v18
	v_cmp_eq_u32_e64 s[2:3], v5, v2
	flat_store_dwordx2 v[3:4], v[7:8]
	s_and_b64 exec, exec, s[2:3]
	s_cbranch_execz .LBB790_10
; %bb.9:
	v_mov_b32_e32 v1, 0
	flat_store_dword v[3:4], v1 offset:4
.LBB790_10:
	s_or_b64 exec, exec, s[4:5]
	v_add_u32_e32 v8, 16, v5
	v_mad_i64_i32 v[3:4], s[2:3], v8, s6, 0
	v_mov_b32_e32 v1, s11
	v_lshlrev_b64 v[3:4], 3, v[3:4]
	v_add_co_u32_e64 v6, s[2:3], s10, v3
	v_addc_co_u32_e64 v7, s[2:3], v1, v4, s[2:3]
	v_cmp_le_i32_e64 s[2:3], v8, v0
	s_and_b64 s[4:5], s[2:3], vcc
	s_and_saveexec_b64 s[2:3], s[4:5]
	s_cbranch_execz .LBB790_13
; %bb.11:
	v_ashrrev_i32_e32 v1, 31, v0
	v_lshlrev_b64 v[3:4], 3, v[0:1]
	v_xor_b32_e32 v11, 0x80000000, v17
	v_add_co_u32_e32 v3, vcc, v6, v3
	v_addc_co_u32_e32 v4, vcc, v7, v4, vcc
	v_xor_b32_e32 v12, 0x80000000, v16
	v_cmp_eq_u32_e32 vcc, v8, v0
	flat_store_dwordx2 v[3:4], v[11:12]
	s_and_b64 exec, exec, vcc
	s_cbranch_execz .LBB790_13
; %bb.12:
	v_mov_b32_e32 v1, 0
	flat_store_dword v[3:4], v1 offset:4
.LBB790_13:
	s_or_b64 exec, exec, s[2:3]
	v_cmp_le_i32_e32 vcc, v8, v2
	s_and_b64 s[0:1], vcc, s[0:1]
	s_and_saveexec_b64 s[2:3], s[0:1]
	s_cbranch_execz .LBB790_16
; %bb.14:
	v_ashrrev_i32_e32 v3, 31, v2
	v_lshlrev_b64 v[1:2], 3, v[2:3]
	v_xor_b32_e32 v8, 0x80000000, v15
	v_add_co_u32_e32 v1, vcc, v6, v1
	v_addc_co_u32_e32 v2, vcc, v7, v2, vcc
	v_xor_b32_e32 v9, 0x80000000, v10
	v_cmp_eq_u32_e32 vcc, v5, v0
	flat_store_dwordx2 v[1:2], v[8:9]
	s_and_b64 exec, exec, vcc
	s_cbranch_execz .LBB790_16
; %bb.15:
	v_mov_b32_e32 v0, 0
	flat_store_dword v[1:2], v0 offset:4
.LBB790_16:
	s_endpgm
	.section	.rodata,"a",@progbits
	.p2align	6, 0x0
	.amdhsa_kernel _ZL37rocblas_syrkx_herkx_restricted_kernelIi19rocblas_complex_numIfELi16ELi32ELi8ELin1ELi0ELb1ELc84ELc76EKPKS1_KPS1_EviT_PT9_S7_lS9_S7_lPT10_S7_li
		.amdhsa_group_segment_fixed_size 4096
		.amdhsa_private_segment_fixed_size 0
		.amdhsa_kernarg_size 84
		.amdhsa_user_sgpr_count 6
		.amdhsa_user_sgpr_private_segment_buffer 1
		.amdhsa_user_sgpr_dispatch_ptr 0
		.amdhsa_user_sgpr_queue_ptr 0
		.amdhsa_user_sgpr_kernarg_segment_ptr 1
		.amdhsa_user_sgpr_dispatch_id 0
		.amdhsa_user_sgpr_flat_scratch_init 0
		.amdhsa_user_sgpr_private_segment_size 0
		.amdhsa_uses_dynamic_stack 0
		.amdhsa_system_sgpr_private_segment_wavefront_offset 0
		.amdhsa_system_sgpr_workgroup_id_x 1
		.amdhsa_system_sgpr_workgroup_id_y 1
		.amdhsa_system_sgpr_workgroup_id_z 1
		.amdhsa_system_sgpr_workgroup_info 0
		.amdhsa_system_vgpr_workitem_id 1
		.amdhsa_next_free_vgpr 41
		.amdhsa_next_free_sgpr 17
		.amdhsa_reserve_vcc 1
		.amdhsa_reserve_flat_scratch 0
		.amdhsa_float_round_mode_32 0
		.amdhsa_float_round_mode_16_64 0
		.amdhsa_float_denorm_mode_32 3
		.amdhsa_float_denorm_mode_16_64 3
		.amdhsa_dx10_clamp 1
		.amdhsa_ieee_mode 1
		.amdhsa_fp16_overflow 0
		.amdhsa_exception_fp_ieee_invalid_op 0
		.amdhsa_exception_fp_denorm_src 0
		.amdhsa_exception_fp_ieee_div_zero 0
		.amdhsa_exception_fp_ieee_overflow 0
		.amdhsa_exception_fp_ieee_underflow 0
		.amdhsa_exception_fp_ieee_inexact 0
		.amdhsa_exception_int_div_zero 0
	.end_amdhsa_kernel
	.section	.text._ZL37rocblas_syrkx_herkx_restricted_kernelIi19rocblas_complex_numIfELi16ELi32ELi8ELin1ELi0ELb1ELc84ELc76EKPKS1_KPS1_EviT_PT9_S7_lS9_S7_lPT10_S7_li,"axG",@progbits,_ZL37rocblas_syrkx_herkx_restricted_kernelIi19rocblas_complex_numIfELi16ELi32ELi8ELin1ELi0ELb1ELc84ELc76EKPKS1_KPS1_EviT_PT9_S7_lS9_S7_lPT10_S7_li,comdat
.Lfunc_end790:
	.size	_ZL37rocblas_syrkx_herkx_restricted_kernelIi19rocblas_complex_numIfELi16ELi32ELi8ELin1ELi0ELb1ELc84ELc76EKPKS1_KPS1_EviT_PT9_S7_lS9_S7_lPT10_S7_li, .Lfunc_end790-_ZL37rocblas_syrkx_herkx_restricted_kernelIi19rocblas_complex_numIfELi16ELi32ELi8ELin1ELi0ELb1ELc84ELc76EKPKS1_KPS1_EviT_PT9_S7_lS9_S7_lPT10_S7_li
                                        ; -- End function
	.set _ZL37rocblas_syrkx_herkx_restricted_kernelIi19rocblas_complex_numIfELi16ELi32ELi8ELin1ELi0ELb1ELc84ELc76EKPKS1_KPS1_EviT_PT9_S7_lS9_S7_lPT10_S7_li.num_vgpr, 41
	.set _ZL37rocblas_syrkx_herkx_restricted_kernelIi19rocblas_complex_numIfELi16ELi32ELi8ELin1ELi0ELb1ELc84ELc76EKPKS1_KPS1_EviT_PT9_S7_lS9_S7_lPT10_S7_li.num_agpr, 0
	.set _ZL37rocblas_syrkx_herkx_restricted_kernelIi19rocblas_complex_numIfELi16ELi32ELi8ELin1ELi0ELb1ELc84ELc76EKPKS1_KPS1_EviT_PT9_S7_lS9_S7_lPT10_S7_li.numbered_sgpr, 17
	.set _ZL37rocblas_syrkx_herkx_restricted_kernelIi19rocblas_complex_numIfELi16ELi32ELi8ELin1ELi0ELb1ELc84ELc76EKPKS1_KPS1_EviT_PT9_S7_lS9_S7_lPT10_S7_li.num_named_barrier, 0
	.set _ZL37rocblas_syrkx_herkx_restricted_kernelIi19rocblas_complex_numIfELi16ELi32ELi8ELin1ELi0ELb1ELc84ELc76EKPKS1_KPS1_EviT_PT9_S7_lS9_S7_lPT10_S7_li.private_seg_size, 0
	.set _ZL37rocblas_syrkx_herkx_restricted_kernelIi19rocblas_complex_numIfELi16ELi32ELi8ELin1ELi0ELb1ELc84ELc76EKPKS1_KPS1_EviT_PT9_S7_lS9_S7_lPT10_S7_li.uses_vcc, 1
	.set _ZL37rocblas_syrkx_herkx_restricted_kernelIi19rocblas_complex_numIfELi16ELi32ELi8ELin1ELi0ELb1ELc84ELc76EKPKS1_KPS1_EviT_PT9_S7_lS9_S7_lPT10_S7_li.uses_flat_scratch, 0
	.set _ZL37rocblas_syrkx_herkx_restricted_kernelIi19rocblas_complex_numIfELi16ELi32ELi8ELin1ELi0ELb1ELc84ELc76EKPKS1_KPS1_EviT_PT9_S7_lS9_S7_lPT10_S7_li.has_dyn_sized_stack, 0
	.set _ZL37rocblas_syrkx_herkx_restricted_kernelIi19rocblas_complex_numIfELi16ELi32ELi8ELin1ELi0ELb1ELc84ELc76EKPKS1_KPS1_EviT_PT9_S7_lS9_S7_lPT10_S7_li.has_recursion, 0
	.set _ZL37rocblas_syrkx_herkx_restricted_kernelIi19rocblas_complex_numIfELi16ELi32ELi8ELin1ELi0ELb1ELc84ELc76EKPKS1_KPS1_EviT_PT9_S7_lS9_S7_lPT10_S7_li.has_indirect_call, 0
	.section	.AMDGPU.csdata,"",@progbits
; Kernel info:
; codeLenInByte = 1988
; TotalNumSgprs: 21
; NumVgprs: 41
; ScratchSize: 0
; MemoryBound: 0
; FloatMode: 240
; IeeeMode: 1
; LDSByteSize: 4096 bytes/workgroup (compile time only)
; SGPRBlocks: 2
; VGPRBlocks: 10
; NumSGPRsForWavesPerEU: 21
; NumVGPRsForWavesPerEU: 41
; Occupancy: 5
; WaveLimiterHint : 1
; COMPUTE_PGM_RSRC2:SCRATCH_EN: 0
; COMPUTE_PGM_RSRC2:USER_SGPR: 6
; COMPUTE_PGM_RSRC2:TRAP_HANDLER: 0
; COMPUTE_PGM_RSRC2:TGID_X_EN: 1
; COMPUTE_PGM_RSRC2:TGID_Y_EN: 1
; COMPUTE_PGM_RSRC2:TGID_Z_EN: 1
; COMPUTE_PGM_RSRC2:TIDIG_COMP_CNT: 1
	.section	.text._ZL37rocblas_syrkx_herkx_restricted_kernelIi19rocblas_complex_numIfELi16ELi32ELi8ELin1ELi0ELb1ELc67ELc76EKPKS1_KPS1_EviT_PT9_S7_lS9_S7_lPT10_S7_li,"axG",@progbits,_ZL37rocblas_syrkx_herkx_restricted_kernelIi19rocblas_complex_numIfELi16ELi32ELi8ELin1ELi0ELb1ELc67ELc76EKPKS1_KPS1_EviT_PT9_S7_lS9_S7_lPT10_S7_li,comdat
	.globl	_ZL37rocblas_syrkx_herkx_restricted_kernelIi19rocblas_complex_numIfELi16ELi32ELi8ELin1ELi0ELb1ELc67ELc76EKPKS1_KPS1_EviT_PT9_S7_lS9_S7_lPT10_S7_li ; -- Begin function _ZL37rocblas_syrkx_herkx_restricted_kernelIi19rocblas_complex_numIfELi16ELi32ELi8ELin1ELi0ELb1ELc67ELc76EKPKS1_KPS1_EviT_PT9_S7_lS9_S7_lPT10_S7_li
	.p2align	8
	.type	_ZL37rocblas_syrkx_herkx_restricted_kernelIi19rocblas_complex_numIfELi16ELi32ELi8ELin1ELi0ELb1ELc67ELc76EKPKS1_KPS1_EviT_PT9_S7_lS9_S7_lPT10_S7_li,@function
_ZL37rocblas_syrkx_herkx_restricted_kernelIi19rocblas_complex_numIfELi16ELi32ELi8ELin1ELi0ELb1ELc67ELc76EKPKS1_KPS1_EviT_PT9_S7_lS9_S7_lPT10_S7_li: ; @_ZL37rocblas_syrkx_herkx_restricted_kernelIi19rocblas_complex_numIfELi16ELi32ELi8ELin1ELi0ELb1ELc67ELc76EKPKS1_KPS1_EviT_PT9_S7_lS9_S7_lPT10_S7_li
; %bb.0:
	s_load_dwordx2 s[2:3], s[4:5], 0x38
	s_load_dwordx2 s[12:13], s[4:5], 0x0
	s_mov_b32 s9, 0
	s_lshl_b64 s[0:1], s[8:9], 3
	s_waitcnt lgkmcnt(0)
	s_add_u32 s2, s2, s0
	s_addc_u32 s3, s3, s1
	s_load_dwordx2 s[10:11], s[2:3], 0x0
	s_lshl_b32 s2, s6, 5
	s_lshl_b32 s3, s7, 5
	s_cmp_lt_i32 s13, 1
	s_cbranch_scc1 .LBB791_3
; %bb.1:
	v_lshl_add_u32 v4, v1, 4, v0
	s_load_dwordx2 s[6:7], s[4:5], 0x8
	s_load_dword s8, s[4:5], 0x10
	s_load_dwordx2 s[14:15], s[4:5], 0x20
	s_load_dword s16, s[4:5], 0x28
	v_and_b32_e32 v7, 31, v4
	v_lshrrev_b32_e32 v6, 3, v4
	v_and_b32_e32 v9, 7, v0
	v_lshrrev_b32_e32 v4, 5, v4
	v_lshlrev_b32_e32 v8, 3, v7
	s_waitcnt lgkmcnt(0)
	s_add_u32 s6, s6, s0
	v_lshl_or_b32 v11, v4, 8, v8
	v_lshlrev_b32_e32 v8, 3, v9
	s_addc_u32 s7, s7, s1
	v_add_u32_e32 v2, s3, v6
	v_mov_b32_e32 v10, 0
	v_lshl_or_b32 v6, v6, 6, v8
	s_add_u32 s0, s14, s0
	v_mov_b32_e32 v5, v10
	v_add_u32_e32 v12, 0x800, v6
	v_add_u32_e32 v6, s2, v7
	s_addc_u32 s1, s15, s1
	v_mad_i64_i32 v[4:5], s[14:15], s8, v6, v[4:5]
	s_load_dwordx2 s[6:7], s[6:7], 0x0
	v_mad_i64_i32 v[2:3], s[14:15], s16, v2, v[9:10]
	s_load_dwordx2 s[0:1], s[0:1], 0x0
	v_lshlrev_b64 v[4:5], 3, v[4:5]
	v_mov_b32_e32 v6, 0x800
	v_lshl_add_u32 v14, v1, 6, v6
	s_waitcnt lgkmcnt(0)
	v_mov_b32_e32 v7, s7
	v_add_co_u32_e32 v6, vcc, s6, v4
	v_lshlrev_b64 v[2:3], 3, v[2:3]
	v_addc_co_u32_e32 v7, vcc, v7, v5, vcc
	v_mov_b32_e32 v4, s1
	v_add_co_u32_e32 v8, vcc, s0, v2
	v_lshlrev_b32_e32 v13, 3, v0
	v_addc_co_u32_e32 v9, vcc, v4, v3, vcc
	v_mov_b32_e32 v15, v10
	v_mov_b32_e32 v16, v10
	;; [unrolled: 1-line block ×7, first 2 shown]
.LBB791_2:                              ; =>This Inner Loop Header: Depth=1
	flat_load_dwordx2 v[2:3], v[6:7]
	v_add_co_u32_e32 v6, vcc, 64, v6
	v_addc_co_u32_e32 v7, vcc, 0, v7, vcc
	s_add_i32 s9, s9, 8
	s_cmp_ge_i32 s9, s13
	s_waitcnt vmcnt(0) lgkmcnt(0)
	v_xor_b32_e32 v3, 0x80000000, v3
	ds_write_b64 v11, v[2:3]
	flat_load_dwordx2 v[2:3], v[8:9]
	v_add_co_u32_e32 v8, vcc, 64, v8
	v_addc_co_u32_e32 v9, vcc, 0, v9, vcc
	s_waitcnt vmcnt(0) lgkmcnt(0)
	ds_write_b64 v12, v[2:3]
	s_waitcnt lgkmcnt(0)
	s_barrier
	ds_read_b128 v[22:25], v14
	ds_read_b128 v[26:29], v14 offset:16
	ds_read_b128 v[30:33], v14 offset:32
	;; [unrolled: 1-line block ×3, first 2 shown]
	ds_read2_b64 v[34:37], v13 offset1:16
	s_waitcnt lgkmcnt(0)
	v_mul_f32_e32 v38, v23, v35
	v_mul_f32_e32 v39, v22, v35
	v_fma_f32 v38, v22, v34, -v38
	v_fmac_f32_e32 v39, v23, v34
	v_add_f32_e32 v38, v20, v38
	v_add_f32_e32 v39, v21, v39
	v_mul_f32_e32 v20, v23, v37
	v_mul_f32_e32 v21, v22, v37
	v_fma_f32 v20, v22, v36, -v20
	v_fmac_f32_e32 v21, v23, v36
	v_add_f32_e32 v22, v19, v20
	v_add_f32_e32 v23, v18, v21
	ds_read_b128 v[18:21], v14 offset:1024
	s_waitcnt lgkmcnt(0)
	v_mul_f32_e32 v40, v19, v35
	v_mul_f32_e32 v35, v18, v35
	v_fma_f32 v40, v18, v34, -v40
	v_fmac_f32_e32 v35, v19, v34
	v_add_f32_e32 v34, v17, v40
	v_add_f32_e32 v35, v16, v35
	v_mul_f32_e32 v16, v19, v37
	v_mul_f32_e32 v17, v18, v37
	v_fma_f32 v16, v18, v36, -v16
	v_fmac_f32_e32 v17, v19, v36
	v_add_f32_e32 v19, v15, v16
	v_add_f32_e32 v10, v10, v17
	ds_read2_b64 v[15:18], v13 offset0:32 offset1:48
	s_waitcnt lgkmcnt(0)
	v_mul_f32_e32 v36, v25, v16
	v_fma_f32 v36, v24, v15, -v36
	v_add_f32_e32 v36, v38, v36
	v_mul_f32_e32 v38, v25, v18
	v_mul_f32_e32 v37, v24, v16
	v_fma_f32 v38, v24, v17, -v38
	v_mul_f32_e32 v24, v24, v18
	v_fmac_f32_e32 v24, v25, v17
	v_add_f32_e32 v23, v23, v24
	v_mul_f32_e32 v24, v21, v16
	v_mul_f32_e32 v16, v20, v16
	v_fmac_f32_e32 v16, v21, v15
	v_fmac_f32_e32 v37, v25, v15
	v_fma_f32 v24, v20, v15, -v24
	v_add_f32_e32 v25, v35, v16
	v_mul_f32_e32 v15, v21, v18
	v_mul_f32_e32 v16, v20, v18
	v_fma_f32 v15, v20, v17, -v15
	v_fmac_f32_e32 v16, v21, v17
	v_add_f32_e32 v24, v34, v24
	v_add_f32_e32 v34, v19, v15
	;; [unrolled: 1-line block ×3, first 2 shown]
	ds_read2_b64 v[15:18], v13 offset0:64 offset1:80
	v_add_f32_e32 v37, v39, v37
	v_add_f32_e32 v22, v22, v38
	s_waitcnt lgkmcnt(0)
	v_mul_f32_e32 v19, v27, v16
	v_mul_f32_e32 v20, v26, v16
	v_fma_f32 v19, v26, v15, -v19
	v_fmac_f32_e32 v20, v27, v15
	v_add_f32_e32 v35, v36, v19
	v_add_f32_e32 v36, v37, v20
	v_mul_f32_e32 v19, v27, v18
	v_mul_f32_e32 v20, v26, v18
	v_fma_f32 v19, v26, v17, -v19
	v_fmac_f32_e32 v20, v27, v17
	v_add_f32_e32 v26, v22, v19
	v_add_f32_e32 v23, v23, v20
	ds_read_b128 v[19:22], v14 offset:1040
	s_waitcnt lgkmcnt(0)
	v_mul_f32_e32 v27, v20, v16
	v_mul_f32_e32 v16, v19, v16
	v_fmac_f32_e32 v16, v20, v15
	v_fma_f32 v27, v19, v15, -v27
	v_add_f32_e32 v25, v25, v16
	v_mul_f32_e32 v15, v20, v18
	v_mul_f32_e32 v16, v19, v18
	v_fma_f32 v15, v19, v17, -v15
	v_fmac_f32_e32 v16, v20, v17
	v_add_f32_e32 v19, v34, v15
	v_add_f32_e32 v10, v10, v16
	ds_read2_b64 v[15:18], v13 offset0:96 offset1:112
	v_add_f32_e32 v24, v24, v27
	s_waitcnt lgkmcnt(0)
	v_mul_f32_e32 v20, v29, v16
	v_mul_f32_e32 v34, v29, v18
	v_fma_f32 v20, v28, v15, -v20
	v_mul_f32_e32 v27, v28, v16
	v_fma_f32 v34, v28, v17, -v34
	v_mul_f32_e32 v28, v28, v18
	v_fmac_f32_e32 v28, v29, v17
	v_add_f32_e32 v23, v23, v28
	v_mul_f32_e32 v28, v22, v16
	v_mul_f32_e32 v16, v21, v16
	v_fmac_f32_e32 v16, v22, v15
	v_fmac_f32_e32 v27, v29, v15
	v_fma_f32 v28, v21, v15, -v28
	v_add_f32_e32 v25, v25, v16
	v_mul_f32_e32 v15, v22, v18
	v_mul_f32_e32 v16, v21, v18
	v_fma_f32 v15, v21, v17, -v15
	v_fmac_f32_e32 v16, v22, v17
	v_add_f32_e32 v24, v24, v28
	v_add_f32_e32 v28, v19, v15
	;; [unrolled: 1-line block ×3, first 2 shown]
	ds_read2_b64 v[15:18], v13 offset0:128 offset1:144
	v_add_f32_e32 v20, v35, v20
	v_add_f32_e32 v27, v36, v27
	;; [unrolled: 1-line block ×3, first 2 shown]
	s_waitcnt lgkmcnt(0)
	v_mul_f32_e32 v19, v31, v16
	v_fma_f32 v19, v30, v15, -v19
	v_mul_f32_e32 v21, v30, v16
	v_add_f32_e32 v29, v20, v19
	v_mul_f32_e32 v19, v31, v18
	v_mul_f32_e32 v20, v30, v18
	v_fmac_f32_e32 v21, v31, v15
	v_fma_f32 v19, v30, v17, -v19
	v_fmac_f32_e32 v20, v31, v17
	v_add_f32_e32 v27, v27, v21
	v_add_f32_e32 v26, v26, v19
	;; [unrolled: 1-line block ×3, first 2 shown]
	ds_read_b128 v[19:22], v14 offset:1056
	s_waitcnt lgkmcnt(0)
	v_mul_f32_e32 v30, v20, v16
	v_mul_f32_e32 v16, v19, v16
	v_fmac_f32_e32 v16, v20, v15
	v_fma_f32 v30, v19, v15, -v30
	v_add_f32_e32 v25, v25, v16
	v_mul_f32_e32 v15, v20, v18
	v_mul_f32_e32 v16, v19, v18
	v_fma_f32 v15, v19, v17, -v15
	v_fmac_f32_e32 v16, v20, v17
	v_add_f32_e32 v19, v28, v15
	v_add_f32_e32 v10, v10, v16
	ds_read2_b64 v[15:18], v13 offset0:160 offset1:176
	v_add_f32_e32 v24, v24, v30
	s_waitcnt lgkmcnt(0)
	v_mul_f32_e32 v28, v32, v16
	v_fmac_f32_e32 v28, v33, v15
	v_add_f32_e32 v27, v27, v28
	v_mul_f32_e32 v28, v33, v18
	v_fma_f32 v28, v32, v17, -v28
	v_mul_f32_e32 v20, v33, v16
	v_add_f32_e32 v26, v26, v28
	v_mul_f32_e32 v28, v22, v16
	v_mul_f32_e32 v16, v21, v16
	v_fmac_f32_e32 v16, v22, v15
	v_fma_f32 v20, v32, v15, -v20
	v_fma_f32 v28, v21, v15, -v28
	v_add_f32_e32 v25, v25, v16
	v_mul_f32_e32 v15, v22, v18
	v_mul_f32_e32 v16, v21, v18
	v_add_f32_e32 v20, v29, v20
	v_mul_f32_e32 v29, v32, v18
	v_fma_f32 v15, v21, v17, -v15
	v_fmac_f32_e32 v16, v22, v17
	v_fmac_f32_e32 v29, v33, v17
	v_add_f32_e32 v19, v19, v15
	v_add_f32_e32 v10, v10, v16
	ds_read2_b64 v[15:18], v13 offset0:192 offset1:208
	v_add_f32_e32 v24, v24, v28
	v_add_f32_e32 v23, v23, v29
	s_waitcnt lgkmcnt(0)
	v_mul_f32_e32 v21, v3, v16
	v_fma_f32 v21, v2, v15, -v21
	v_add_f32_e32 v28, v20, v21
	v_mul_f32_e32 v20, v3, v18
	v_mul_f32_e32 v22, v2, v16
	v_fma_f32 v20, v2, v17, -v20
	v_mul_f32_e32 v2, v2, v18
	v_fmac_f32_e32 v22, v3, v15
	v_fmac_f32_e32 v2, v3, v17
	v_add_f32_e32 v29, v27, v22
	v_add_f32_e32 v3, v26, v20
	;; [unrolled: 1-line block ×3, first 2 shown]
	ds_read_b128 v[20:23], v14 offset:1072
	s_waitcnt lgkmcnt(0)
	v_mul_f32_e32 v26, v21, v16
	v_fma_f32 v26, v20, v15, -v26
	v_mul_f32_e32 v16, v20, v16
	v_fmac_f32_e32 v16, v21, v15
	v_add_f32_e32 v15, v24, v26
	v_mul_f32_e32 v24, v21, v18
	v_fma_f32 v24, v20, v17, -v24
	v_add_f32_e32 v16, v25, v16
	v_add_f32_e32 v30, v19, v24
	ds_read2_b64 v[24:27], v13 offset0:224 offset1:240
	v_mul_f32_e32 v18, v20, v18
	v_fmac_f32_e32 v18, v21, v17
	v_add_f32_e32 v10, v10, v18
	s_waitcnt lgkmcnt(0)
	v_mul_f32_e32 v17, v5, v25
	v_fma_f32 v17, v4, v24, -v17
	v_add_f32_e32 v20, v28, v17
	v_mul_f32_e32 v17, v5, v27
	v_mul_f32_e32 v18, v4, v25
	v_fma_f32 v17, v4, v26, -v17
	v_mul_f32_e32 v4, v4, v27
	v_fmac_f32_e32 v18, v5, v24
	v_fmac_f32_e32 v4, v5, v26
	v_add_f32_e32 v21, v29, v18
	v_add_f32_e32 v19, v3, v17
	;; [unrolled: 1-line block ×3, first 2 shown]
	v_mul_f32_e32 v2, v23, v25
	v_mul_f32_e32 v3, v22, v25
	v_fma_f32 v2, v22, v24, -v2
	v_fmac_f32_e32 v3, v23, v24
	v_add_f32_e32 v17, v15, v2
	v_add_f32_e32 v16, v16, v3
	v_mul_f32_e32 v2, v23, v27
	v_mul_f32_e32 v3, v22, v27
	v_fma_f32 v2, v22, v26, -v2
	v_fmac_f32_e32 v3, v23, v26
	v_add_f32_e32 v15, v30, v2
	v_add_f32_e32 v10, v10, v3
	s_barrier
	s_cbranch_scc0 .LBB791_2
	s_branch .LBB791_4
.LBB791_3:
	v_mov_b32_e32 v20, 0
	v_mov_b32_e32 v21, 0
	;; [unrolled: 1-line block ×8, first 2 shown]
.LBB791_4:
	s_load_dword s6, s[4:5], 0x40
	v_add_u32_e32 v5, s3, v1
	s_waitcnt lgkmcnt(0)
	v_mov_b32_e32 v3, s11
	v_add_u32_e32 v0, s2, v0
	v_mad_i64_i32 v[1:2], s[0:1], v5, s6, 0
	v_cmp_le_i32_e64 s[0:1], v5, v0
	v_lshlrev_b64 v[1:2], 3, v[1:2]
	v_add_co_u32_e32 v4, vcc, s10, v1
	v_addc_co_u32_e32 v6, vcc, v3, v2, vcc
	v_cmp_gt_i32_e32 vcc, s12, v0
	s_and_b64 s[0:1], s[0:1], vcc
	s_and_saveexec_b64 s[2:3], s[0:1]
	s_cbranch_execz .LBB791_7
; %bb.5:
	v_ashrrev_i32_e32 v1, 31, v0
	v_lshlrev_b64 v[1:2], 3, v[0:1]
	v_xor_b32_e32 v7, 0x80000000, v20
	v_add_co_u32_e64 v1, s[0:1], v4, v1
	v_addc_co_u32_e64 v2, s[0:1], v6, v2, s[0:1]
	v_xor_b32_e32 v8, 0x80000000, v21
	v_cmp_eq_u32_e64 s[0:1], v5, v0
	flat_store_dwordx2 v[1:2], v[7:8]
	s_and_b64 exec, exec, s[0:1]
	s_cbranch_execz .LBB791_7
; %bb.6:
	v_mov_b32_e32 v3, 0
	flat_store_dword v[1:2], v3 offset:4
.LBB791_7:
	s_or_b64 exec, exec, s[2:3]
	v_add_u32_e32 v2, 16, v0
	v_cmp_le_i32_e64 s[2:3], v5, v2
	v_cmp_gt_i32_e64 s[0:1], s12, v2
	s_and_b64 s[2:3], s[2:3], s[0:1]
	s_and_saveexec_b64 s[4:5], s[2:3]
	s_cbranch_execz .LBB791_10
; %bb.8:
	v_ashrrev_i32_e32 v3, 31, v2
	v_lshlrev_b64 v[11:12], 3, v[2:3]
	v_xor_b32_e32 v7, 0x80000000, v19
	v_add_co_u32_e64 v3, s[2:3], v4, v11
	v_addc_co_u32_e64 v4, s[2:3], v6, v12, s[2:3]
	v_xor_b32_e32 v8, 0x80000000, v18
	v_cmp_eq_u32_e64 s[2:3], v5, v2
	flat_store_dwordx2 v[3:4], v[7:8]
	s_and_b64 exec, exec, s[2:3]
	s_cbranch_execz .LBB791_10
; %bb.9:
	v_mov_b32_e32 v1, 0
	flat_store_dword v[3:4], v1 offset:4
.LBB791_10:
	s_or_b64 exec, exec, s[4:5]
	v_add_u32_e32 v8, 16, v5
	v_mad_i64_i32 v[3:4], s[2:3], v8, s6, 0
	v_mov_b32_e32 v1, s11
	v_lshlrev_b64 v[3:4], 3, v[3:4]
	v_add_co_u32_e64 v6, s[2:3], s10, v3
	v_addc_co_u32_e64 v7, s[2:3], v1, v4, s[2:3]
	v_cmp_le_i32_e64 s[2:3], v8, v0
	s_and_b64 s[4:5], s[2:3], vcc
	s_and_saveexec_b64 s[2:3], s[4:5]
	s_cbranch_execz .LBB791_13
; %bb.11:
	v_ashrrev_i32_e32 v1, 31, v0
	v_lshlrev_b64 v[3:4], 3, v[0:1]
	v_xor_b32_e32 v11, 0x80000000, v17
	v_add_co_u32_e32 v3, vcc, v6, v3
	v_addc_co_u32_e32 v4, vcc, v7, v4, vcc
	v_xor_b32_e32 v12, 0x80000000, v16
	v_cmp_eq_u32_e32 vcc, v8, v0
	flat_store_dwordx2 v[3:4], v[11:12]
	s_and_b64 exec, exec, vcc
	s_cbranch_execz .LBB791_13
; %bb.12:
	v_mov_b32_e32 v1, 0
	flat_store_dword v[3:4], v1 offset:4
.LBB791_13:
	s_or_b64 exec, exec, s[2:3]
	v_cmp_le_i32_e32 vcc, v8, v2
	s_and_b64 s[0:1], vcc, s[0:1]
	s_and_saveexec_b64 s[2:3], s[0:1]
	s_cbranch_execz .LBB791_16
; %bb.14:
	v_ashrrev_i32_e32 v3, 31, v2
	v_lshlrev_b64 v[1:2], 3, v[2:3]
	v_xor_b32_e32 v8, 0x80000000, v15
	v_add_co_u32_e32 v1, vcc, v6, v1
	v_addc_co_u32_e32 v2, vcc, v7, v2, vcc
	v_xor_b32_e32 v9, 0x80000000, v10
	v_cmp_eq_u32_e32 vcc, v5, v0
	flat_store_dwordx2 v[1:2], v[8:9]
	s_and_b64 exec, exec, vcc
	s_cbranch_execz .LBB791_16
; %bb.15:
	v_mov_b32_e32 v0, 0
	flat_store_dword v[1:2], v0 offset:4
.LBB791_16:
	s_endpgm
	.section	.rodata,"a",@progbits
	.p2align	6, 0x0
	.amdhsa_kernel _ZL37rocblas_syrkx_herkx_restricted_kernelIi19rocblas_complex_numIfELi16ELi32ELi8ELin1ELi0ELb1ELc67ELc76EKPKS1_KPS1_EviT_PT9_S7_lS9_S7_lPT10_S7_li
		.amdhsa_group_segment_fixed_size 4096
		.amdhsa_private_segment_fixed_size 0
		.amdhsa_kernarg_size 84
		.amdhsa_user_sgpr_count 6
		.amdhsa_user_sgpr_private_segment_buffer 1
		.amdhsa_user_sgpr_dispatch_ptr 0
		.amdhsa_user_sgpr_queue_ptr 0
		.amdhsa_user_sgpr_kernarg_segment_ptr 1
		.amdhsa_user_sgpr_dispatch_id 0
		.amdhsa_user_sgpr_flat_scratch_init 0
		.amdhsa_user_sgpr_private_segment_size 0
		.amdhsa_uses_dynamic_stack 0
		.amdhsa_system_sgpr_private_segment_wavefront_offset 0
		.amdhsa_system_sgpr_workgroup_id_x 1
		.amdhsa_system_sgpr_workgroup_id_y 1
		.amdhsa_system_sgpr_workgroup_id_z 1
		.amdhsa_system_sgpr_workgroup_info 0
		.amdhsa_system_vgpr_workitem_id 1
		.amdhsa_next_free_vgpr 41
		.amdhsa_next_free_sgpr 17
		.amdhsa_reserve_vcc 1
		.amdhsa_reserve_flat_scratch 0
		.amdhsa_float_round_mode_32 0
		.amdhsa_float_round_mode_16_64 0
		.amdhsa_float_denorm_mode_32 3
		.amdhsa_float_denorm_mode_16_64 3
		.amdhsa_dx10_clamp 1
		.amdhsa_ieee_mode 1
		.amdhsa_fp16_overflow 0
		.amdhsa_exception_fp_ieee_invalid_op 0
		.amdhsa_exception_fp_denorm_src 0
		.amdhsa_exception_fp_ieee_div_zero 0
		.amdhsa_exception_fp_ieee_overflow 0
		.amdhsa_exception_fp_ieee_underflow 0
		.amdhsa_exception_fp_ieee_inexact 0
		.amdhsa_exception_int_div_zero 0
	.end_amdhsa_kernel
	.section	.text._ZL37rocblas_syrkx_herkx_restricted_kernelIi19rocblas_complex_numIfELi16ELi32ELi8ELin1ELi0ELb1ELc67ELc76EKPKS1_KPS1_EviT_PT9_S7_lS9_S7_lPT10_S7_li,"axG",@progbits,_ZL37rocblas_syrkx_herkx_restricted_kernelIi19rocblas_complex_numIfELi16ELi32ELi8ELin1ELi0ELb1ELc67ELc76EKPKS1_KPS1_EviT_PT9_S7_lS9_S7_lPT10_S7_li,comdat
.Lfunc_end791:
	.size	_ZL37rocblas_syrkx_herkx_restricted_kernelIi19rocblas_complex_numIfELi16ELi32ELi8ELin1ELi0ELb1ELc67ELc76EKPKS1_KPS1_EviT_PT9_S7_lS9_S7_lPT10_S7_li, .Lfunc_end791-_ZL37rocblas_syrkx_herkx_restricted_kernelIi19rocblas_complex_numIfELi16ELi32ELi8ELin1ELi0ELb1ELc67ELc76EKPKS1_KPS1_EviT_PT9_S7_lS9_S7_lPT10_S7_li
                                        ; -- End function
	.set _ZL37rocblas_syrkx_herkx_restricted_kernelIi19rocblas_complex_numIfELi16ELi32ELi8ELin1ELi0ELb1ELc67ELc76EKPKS1_KPS1_EviT_PT9_S7_lS9_S7_lPT10_S7_li.num_vgpr, 41
	.set _ZL37rocblas_syrkx_herkx_restricted_kernelIi19rocblas_complex_numIfELi16ELi32ELi8ELin1ELi0ELb1ELc67ELc76EKPKS1_KPS1_EviT_PT9_S7_lS9_S7_lPT10_S7_li.num_agpr, 0
	.set _ZL37rocblas_syrkx_herkx_restricted_kernelIi19rocblas_complex_numIfELi16ELi32ELi8ELin1ELi0ELb1ELc67ELc76EKPKS1_KPS1_EviT_PT9_S7_lS9_S7_lPT10_S7_li.numbered_sgpr, 17
	.set _ZL37rocblas_syrkx_herkx_restricted_kernelIi19rocblas_complex_numIfELi16ELi32ELi8ELin1ELi0ELb1ELc67ELc76EKPKS1_KPS1_EviT_PT9_S7_lS9_S7_lPT10_S7_li.num_named_barrier, 0
	.set _ZL37rocblas_syrkx_herkx_restricted_kernelIi19rocblas_complex_numIfELi16ELi32ELi8ELin1ELi0ELb1ELc67ELc76EKPKS1_KPS1_EviT_PT9_S7_lS9_S7_lPT10_S7_li.private_seg_size, 0
	.set _ZL37rocblas_syrkx_herkx_restricted_kernelIi19rocblas_complex_numIfELi16ELi32ELi8ELin1ELi0ELb1ELc67ELc76EKPKS1_KPS1_EviT_PT9_S7_lS9_S7_lPT10_S7_li.uses_vcc, 1
	.set _ZL37rocblas_syrkx_herkx_restricted_kernelIi19rocblas_complex_numIfELi16ELi32ELi8ELin1ELi0ELb1ELc67ELc76EKPKS1_KPS1_EviT_PT9_S7_lS9_S7_lPT10_S7_li.uses_flat_scratch, 0
	.set _ZL37rocblas_syrkx_herkx_restricted_kernelIi19rocblas_complex_numIfELi16ELi32ELi8ELin1ELi0ELb1ELc67ELc76EKPKS1_KPS1_EviT_PT9_S7_lS9_S7_lPT10_S7_li.has_dyn_sized_stack, 0
	.set _ZL37rocblas_syrkx_herkx_restricted_kernelIi19rocblas_complex_numIfELi16ELi32ELi8ELin1ELi0ELb1ELc67ELc76EKPKS1_KPS1_EviT_PT9_S7_lS9_S7_lPT10_S7_li.has_recursion, 0
	.set _ZL37rocblas_syrkx_herkx_restricted_kernelIi19rocblas_complex_numIfELi16ELi32ELi8ELin1ELi0ELb1ELc67ELc76EKPKS1_KPS1_EviT_PT9_S7_lS9_S7_lPT10_S7_li.has_indirect_call, 0
	.section	.AMDGPU.csdata,"",@progbits
; Kernel info:
; codeLenInByte = 1996
; TotalNumSgprs: 21
; NumVgprs: 41
; ScratchSize: 0
; MemoryBound: 0
; FloatMode: 240
; IeeeMode: 1
; LDSByteSize: 4096 bytes/workgroup (compile time only)
; SGPRBlocks: 2
; VGPRBlocks: 10
; NumSGPRsForWavesPerEU: 21
; NumVGPRsForWavesPerEU: 41
; Occupancy: 5
; WaveLimiterHint : 1
; COMPUTE_PGM_RSRC2:SCRATCH_EN: 0
; COMPUTE_PGM_RSRC2:USER_SGPR: 6
; COMPUTE_PGM_RSRC2:TRAP_HANDLER: 0
; COMPUTE_PGM_RSRC2:TGID_X_EN: 1
; COMPUTE_PGM_RSRC2:TGID_Y_EN: 1
; COMPUTE_PGM_RSRC2:TGID_Z_EN: 1
; COMPUTE_PGM_RSRC2:TIDIG_COMP_CNT: 1
	.section	.text._ZL37rocblas_syrkx_herkx_restricted_kernelIi19rocblas_complex_numIfELi16ELi32ELi8ELin1ELi0ELb1ELc78ELc76EKPKS1_KPS1_EviT_PT9_S7_lS9_S7_lPT10_S7_li,"axG",@progbits,_ZL37rocblas_syrkx_herkx_restricted_kernelIi19rocblas_complex_numIfELi16ELi32ELi8ELin1ELi0ELb1ELc78ELc76EKPKS1_KPS1_EviT_PT9_S7_lS9_S7_lPT10_S7_li,comdat
	.globl	_ZL37rocblas_syrkx_herkx_restricted_kernelIi19rocblas_complex_numIfELi16ELi32ELi8ELin1ELi0ELb1ELc78ELc76EKPKS1_KPS1_EviT_PT9_S7_lS9_S7_lPT10_S7_li ; -- Begin function _ZL37rocblas_syrkx_herkx_restricted_kernelIi19rocblas_complex_numIfELi16ELi32ELi8ELin1ELi0ELb1ELc78ELc76EKPKS1_KPS1_EviT_PT9_S7_lS9_S7_lPT10_S7_li
	.p2align	8
	.type	_ZL37rocblas_syrkx_herkx_restricted_kernelIi19rocblas_complex_numIfELi16ELi32ELi8ELin1ELi0ELb1ELc78ELc76EKPKS1_KPS1_EviT_PT9_S7_lS9_S7_lPT10_S7_li,@function
_ZL37rocblas_syrkx_herkx_restricted_kernelIi19rocblas_complex_numIfELi16ELi32ELi8ELin1ELi0ELb1ELc78ELc76EKPKS1_KPS1_EviT_PT9_S7_lS9_S7_lPT10_S7_li: ; @_ZL37rocblas_syrkx_herkx_restricted_kernelIi19rocblas_complex_numIfELi16ELi32ELi8ELin1ELi0ELb1ELc78ELc76EKPKS1_KPS1_EviT_PT9_S7_lS9_S7_lPT10_S7_li
; %bb.0:
	s_load_dwordx2 s[2:3], s[4:5], 0x38
	s_load_dwordx2 s[12:13], s[4:5], 0x0
	s_mov_b32 s9, 0
	s_lshl_b64 s[0:1], s[8:9], 3
	s_waitcnt lgkmcnt(0)
	s_add_u32 s2, s2, s0
	s_addc_u32 s3, s3, s1
	s_load_dwordx2 s[10:11], s[2:3], 0x0
	s_lshl_b32 s6, s6, 5
	s_lshl_b32 s7, s7, 5
	s_cmp_lt_i32 s13, 1
	s_cbranch_scc1 .LBB792_3
; %bb.1:
	s_load_dword s2, s[4:5], 0x10
	s_load_dword s14, s[4:5], 0x28
	s_load_dwordx2 s[16:17], s[4:5], 0x20
	s_load_dwordx2 s[18:19], s[4:5], 0x8
	v_lshl_add_u32 v5, v1, 4, v0
	s_waitcnt lgkmcnt(0)
	s_ashr_i32 s3, s2, 31
	s_ashr_i32 s15, s14, 31
	v_lshrrev_b32_e32 v6, 3, v5
	s_add_u32 s18, s18, s0
	s_addc_u32 s19, s19, s1
	s_add_u32 s0, s16, s0
	v_add_u32_e32 v2, s7, v6
	s_addc_u32 s1, s17, s1
	v_and_b32_e32 v4, 7, v0
	v_ashrrev_i32_e32 v3, 31, v2
	s_load_dwordx2 s[16:17], s[0:1], 0x0
	v_mad_i64_i32 v[2:3], s[0:1], s14, v4, v[2:3]
	v_lshlrev_b32_e32 v4, 3, v4
	v_lshrrev_b32_e32 v7, 5, v5
	v_and_b32_e32 v5, 31, v5
	v_lshl_or_b32 v4, v6, 6, v4
	v_add_u32_e32 v11, 0x800, v4
	v_add_u32_e32 v4, s6, v5
	v_lshlrev_b32_e32 v8, 3, v5
	v_ashrrev_i32_e32 v5, 31, v4
	v_mad_i64_i32 v[4:5], s[0:1], s2, v7, v[4:5]
	s_load_dwordx2 s[18:19], s[18:19], 0x0
	v_mov_b32_e32 v6, 0x800
	v_lshlrev_b64 v[4:5], 3, v[4:5]
	v_lshl_or_b32 v10, v7, 8, v8
	v_lshl_add_u32 v13, v1, 6, v6
	s_waitcnt lgkmcnt(0)
	v_mov_b32_e32 v7, s19
	v_add_co_u32_e32 v6, vcc, s18, v4
	v_lshlrev_b64 v[2:3], 3, v[2:3]
	v_addc_co_u32_e32 v7, vcc, v7, v5, vcc
	s_lshl_b64 s[0:1], s[2:3], 6
	v_mov_b32_e32 v4, s17
	v_add_co_u32_e32 v8, vcc, s16, v2
	s_lshl_b64 s[2:3], s[14:15], 6
	v_lshlrev_b32_e32 v12, 3, v0
	v_addc_co_u32_e32 v9, vcc, v4, v3, vcc
	v_mov_b32_e32 v16, 0
	v_mov_b32_e32 v14, s1
	;; [unrolled: 1-line block ×10, first 2 shown]
.LBB792_2:                              ; =>This Inner Loop Header: Depth=1
	flat_load_dwordx2 v[2:3], v[6:7]
	v_add_co_u32_e32 v6, vcc, s0, v6
	v_addc_co_u32_e32 v7, vcc, v7, v14, vcc
	s_add_i32 s9, s9, 8
	s_cmp_ge_i32 s9, s13
	s_waitcnt vmcnt(0) lgkmcnt(0)
	ds_write_b64 v10, v[2:3]
	flat_load_dwordx2 v[2:3], v[8:9]
	v_add_co_u32_e32 v8, vcc, s2, v8
	v_addc_co_u32_e32 v9, vcc, v9, v15, vcc
	s_waitcnt vmcnt(0) lgkmcnt(0)
	v_xor_b32_e32 v3, 0x80000000, v3
	ds_write_b64 v11, v[2:3]
	s_waitcnt lgkmcnt(0)
	s_barrier
	ds_read_b128 v[24:27], v13
	ds_read_b128 v[28:31], v13 offset:16
	ds_read_b128 v[32:35], v13 offset:32
	;; [unrolled: 1-line block ×3, first 2 shown]
	ds_read2_b64 v[36:39], v12 offset1:16
	s_waitcnt lgkmcnt(0)
	v_mul_f32_e32 v40, v25, v37
	v_mul_f32_e32 v41, v24, v37
	v_fma_f32 v40, v24, v36, -v40
	v_fmac_f32_e32 v41, v25, v36
	v_add_f32_e32 v40, v22, v40
	v_add_f32_e32 v41, v23, v41
	v_mul_f32_e32 v22, v25, v39
	v_mul_f32_e32 v23, v24, v39
	v_fma_f32 v22, v24, v38, -v22
	v_fmac_f32_e32 v23, v25, v38
	v_add_f32_e32 v24, v21, v22
	v_add_f32_e32 v25, v20, v23
	ds_read_b128 v[20:23], v13 offset:1024
	s_waitcnt lgkmcnt(0)
	v_mul_f32_e32 v42, v21, v37
	v_mul_f32_e32 v37, v20, v37
	v_fma_f32 v42, v20, v36, -v42
	v_fmac_f32_e32 v37, v21, v36
	v_add_f32_e32 v36, v19, v42
	v_add_f32_e32 v37, v18, v37
	v_mul_f32_e32 v18, v21, v39
	v_mul_f32_e32 v19, v20, v39
	v_fma_f32 v18, v20, v38, -v18
	v_fmac_f32_e32 v19, v21, v38
	v_add_f32_e32 v20, v17, v18
	v_add_f32_e32 v21, v16, v19
	ds_read2_b64 v[16:19], v12 offset0:32 offset1:48
	s_waitcnt lgkmcnt(0)
	v_mul_f32_e32 v38, v27, v17
	v_fma_f32 v38, v26, v16, -v38
	v_add_f32_e32 v38, v40, v38
	v_mul_f32_e32 v40, v27, v19
	v_mul_f32_e32 v39, v26, v17
	v_fma_f32 v40, v26, v18, -v40
	v_mul_f32_e32 v26, v26, v19
	v_fmac_f32_e32 v26, v27, v18
	v_add_f32_e32 v25, v25, v26
	v_mul_f32_e32 v26, v23, v17
	v_mul_f32_e32 v17, v22, v17
	v_fmac_f32_e32 v17, v23, v16
	v_fmac_f32_e32 v39, v27, v16
	v_fma_f32 v26, v22, v16, -v26
	v_add_f32_e32 v27, v37, v17
	v_mul_f32_e32 v16, v23, v19
	v_mul_f32_e32 v17, v22, v19
	v_fma_f32 v16, v22, v18, -v16
	v_fmac_f32_e32 v17, v23, v18
	v_add_f32_e32 v26, v36, v26
	v_add_f32_e32 v36, v20, v16
	;; [unrolled: 1-line block ×3, first 2 shown]
	ds_read2_b64 v[16:19], v12 offset0:64 offset1:80
	v_add_f32_e32 v39, v41, v39
	v_add_f32_e32 v24, v24, v40
	s_waitcnt lgkmcnt(0)
	v_mul_f32_e32 v20, v29, v17
	v_mul_f32_e32 v21, v28, v17
	v_fma_f32 v20, v28, v16, -v20
	v_fmac_f32_e32 v21, v29, v16
	v_add_f32_e32 v38, v38, v20
	v_add_f32_e32 v39, v39, v21
	v_mul_f32_e32 v20, v29, v19
	v_mul_f32_e32 v21, v28, v19
	v_fma_f32 v20, v28, v18, -v20
	v_fmac_f32_e32 v21, v29, v18
	v_add_f32_e32 v24, v24, v20
	v_add_f32_e32 v25, v25, v21
	ds_read_b128 v[20:23], v13 offset:1040
	s_waitcnt lgkmcnt(0)
	v_mul_f32_e32 v28, v21, v17
	v_mul_f32_e32 v17, v20, v17
	v_fmac_f32_e32 v17, v21, v16
	v_fma_f32 v28, v20, v16, -v28
	v_add_f32_e32 v27, v27, v17
	v_mul_f32_e32 v16, v21, v19
	v_mul_f32_e32 v17, v20, v19
	v_fma_f32 v16, v20, v18, -v16
	v_fmac_f32_e32 v17, v21, v18
	v_add_f32_e32 v20, v36, v16
	v_add_f32_e32 v21, v37, v17
	ds_read2_b64 v[16:19], v12 offset0:96 offset1:112
	v_add_f32_e32 v26, v26, v28
	s_waitcnt lgkmcnt(0)
	v_mul_f32_e32 v28, v31, v17
	v_mul_f32_e32 v36, v31, v19
	v_fma_f32 v28, v30, v16, -v28
	v_mul_f32_e32 v29, v30, v17
	v_fma_f32 v36, v30, v18, -v36
	v_mul_f32_e32 v30, v30, v19
	v_fmac_f32_e32 v30, v31, v18
	v_add_f32_e32 v25, v25, v30
	v_mul_f32_e32 v30, v23, v17
	v_mul_f32_e32 v17, v22, v17
	v_fmac_f32_e32 v17, v23, v16
	v_fmac_f32_e32 v29, v31, v16
	v_fma_f32 v30, v22, v16, -v30
	v_add_f32_e32 v27, v27, v17
	v_mul_f32_e32 v16, v23, v19
	v_mul_f32_e32 v17, v22, v19
	v_fma_f32 v16, v22, v18, -v16
	v_fmac_f32_e32 v17, v23, v18
	v_add_f32_e32 v26, v26, v30
	v_add_f32_e32 v30, v20, v16
	;; [unrolled: 1-line block ×3, first 2 shown]
	ds_read2_b64 v[16:19], v12 offset0:128 offset1:144
	v_add_f32_e32 v28, v38, v28
	v_add_f32_e32 v29, v39, v29
	;; [unrolled: 1-line block ×3, first 2 shown]
	s_waitcnt lgkmcnt(0)
	v_mul_f32_e32 v20, v33, v17
	v_mul_f32_e32 v21, v32, v17
	v_fma_f32 v20, v32, v16, -v20
	v_fmac_f32_e32 v21, v33, v16
	v_add_f32_e32 v28, v28, v20
	v_add_f32_e32 v29, v29, v21
	v_mul_f32_e32 v20, v33, v19
	v_mul_f32_e32 v21, v32, v19
	v_fma_f32 v20, v32, v18, -v20
	v_fmac_f32_e32 v21, v33, v18
	v_add_f32_e32 v24, v24, v20
	v_add_f32_e32 v25, v25, v21
	ds_read_b128 v[20:23], v13 offset:1056
	s_waitcnt lgkmcnt(0)
	v_mul_f32_e32 v32, v21, v17
	v_mul_f32_e32 v17, v20, v17
	v_fmac_f32_e32 v17, v21, v16
	v_fma_f32 v32, v20, v16, -v32
	v_add_f32_e32 v27, v27, v17
	v_mul_f32_e32 v16, v21, v19
	v_mul_f32_e32 v17, v20, v19
	v_fma_f32 v16, v20, v18, -v16
	v_fmac_f32_e32 v17, v21, v18
	v_add_f32_e32 v20, v30, v16
	v_add_f32_e32 v21, v31, v17
	ds_read2_b64 v[16:19], v12 offset0:160 offset1:176
	v_add_f32_e32 v26, v26, v32
	s_waitcnt lgkmcnt(0)
	v_mul_f32_e32 v30, v35, v17
	v_fma_f32 v30, v34, v16, -v30
	v_add_f32_e32 v28, v28, v30
	v_mul_f32_e32 v30, v35, v19
	v_fma_f32 v30, v34, v18, -v30
	v_mul_f32_e32 v31, v34, v17
	v_add_f32_e32 v24, v24, v30
	v_mul_f32_e32 v30, v23, v17
	v_mul_f32_e32 v17, v22, v17
	v_fmac_f32_e32 v17, v23, v16
	v_fmac_f32_e32 v31, v35, v16
	v_fma_f32 v30, v22, v16, -v30
	v_add_f32_e32 v27, v27, v17
	v_mul_f32_e32 v16, v23, v19
	v_mul_f32_e32 v17, v22, v19
	v_add_f32_e32 v29, v29, v31
	v_mul_f32_e32 v31, v34, v19
	v_fma_f32 v16, v22, v18, -v16
	v_fmac_f32_e32 v17, v23, v18
	v_fmac_f32_e32 v31, v35, v18
	v_add_f32_e32 v20, v20, v16
	v_add_f32_e32 v21, v21, v17
	ds_read2_b64 v[16:19], v12 offset0:192 offset1:208
	v_add_f32_e32 v26, v26, v30
	v_add_f32_e32 v25, v25, v31
	s_waitcnt lgkmcnt(0)
	v_mul_f32_e32 v22, v3, v17
	v_fma_f32 v22, v2, v16, -v22
	v_add_f32_e32 v30, v28, v22
	v_mul_f32_e32 v22, v3, v19
	v_mul_f32_e32 v23, v2, v17
	v_fma_f32 v22, v2, v18, -v22
	v_mul_f32_e32 v2, v2, v19
	v_fmac_f32_e32 v23, v3, v16
	v_fmac_f32_e32 v2, v3, v18
	v_add_f32_e32 v31, v29, v23
	v_add_f32_e32 v3, v24, v22
	;; [unrolled: 1-line block ×3, first 2 shown]
	ds_read_b128 v[22:25], v13 offset:1072
	s_waitcnt lgkmcnt(0)
	v_mul_f32_e32 v28, v23, v17
	v_fma_f32 v28, v22, v16, -v28
	v_mul_f32_e32 v17, v22, v17
	v_fmac_f32_e32 v17, v23, v16
	v_add_f32_e32 v16, v26, v28
	v_mul_f32_e32 v26, v23, v19
	v_fma_f32 v26, v22, v18, -v26
	v_add_f32_e32 v17, v27, v17
	v_add_f32_e32 v32, v20, v26
	ds_read2_b64 v[26:29], v12 offset0:224 offset1:240
	v_mul_f32_e32 v19, v22, v19
	v_fmac_f32_e32 v19, v23, v18
	v_add_f32_e32 v33, v21, v19
	s_waitcnt lgkmcnt(0)
	v_mul_f32_e32 v18, v5, v27
	v_fma_f32 v18, v4, v26, -v18
	v_add_f32_e32 v22, v30, v18
	v_mul_f32_e32 v18, v5, v29
	v_mul_f32_e32 v19, v4, v27
	v_fma_f32 v18, v4, v28, -v18
	v_mul_f32_e32 v4, v4, v29
	v_fmac_f32_e32 v4, v5, v28
	v_add_f32_e32 v21, v3, v18
	v_add_f32_e32 v20, v2, v4
	v_mul_f32_e32 v2, v25, v27
	v_mul_f32_e32 v3, v24, v27
	v_fmac_f32_e32 v19, v5, v26
	v_fma_f32 v2, v24, v26, -v2
	v_fmac_f32_e32 v3, v25, v26
	v_add_f32_e32 v23, v31, v19
	v_add_f32_e32 v19, v16, v2
	;; [unrolled: 1-line block ×3, first 2 shown]
	v_mul_f32_e32 v2, v25, v29
	v_mul_f32_e32 v3, v24, v29
	v_fma_f32 v2, v24, v28, -v2
	v_fmac_f32_e32 v3, v25, v28
	v_add_f32_e32 v17, v32, v2
	v_add_f32_e32 v16, v33, v3
	s_barrier
	s_cbranch_scc0 .LBB792_2
	s_branch .LBB792_4
.LBB792_3:
	v_mov_b32_e32 v22, 0
	v_mov_b32_e32 v23, 0
	;; [unrolled: 1-line block ×8, first 2 shown]
.LBB792_4:
	s_load_dword s8, s[4:5], 0x40
	v_add_u32_e32 v5, s7, v1
	s_waitcnt lgkmcnt(0)
	v_mov_b32_e32 v3, s11
	v_add_u32_e32 v0, s6, v0
	v_mad_i64_i32 v[1:2], s[0:1], v5, s8, 0
	v_cmp_le_i32_e64 s[0:1], v5, v0
	v_lshlrev_b64 v[1:2], 3, v[1:2]
	v_add_co_u32_e32 v4, vcc, s10, v1
	v_addc_co_u32_e32 v6, vcc, v3, v2, vcc
	v_cmp_gt_i32_e32 vcc, s12, v0
	s_and_b64 s[0:1], s[0:1], vcc
	s_and_saveexec_b64 s[2:3], s[0:1]
	s_cbranch_execz .LBB792_7
; %bb.5:
	v_ashrrev_i32_e32 v1, 31, v0
	v_lshlrev_b64 v[1:2], 3, v[0:1]
	v_xor_b32_e32 v7, 0x80000000, v22
	v_add_co_u32_e64 v1, s[0:1], v4, v1
	v_addc_co_u32_e64 v2, s[0:1], v6, v2, s[0:1]
	v_xor_b32_e32 v8, 0x80000000, v23
	v_cmp_eq_u32_e64 s[0:1], v5, v0
	flat_store_dwordx2 v[1:2], v[7:8]
	s_and_b64 exec, exec, s[0:1]
	s_cbranch_execz .LBB792_7
; %bb.6:
	v_mov_b32_e32 v3, 0
	flat_store_dword v[1:2], v3 offset:4
.LBB792_7:
	s_or_b64 exec, exec, s[2:3]
	v_add_u32_e32 v2, 16, v0
	v_cmp_le_i32_e64 s[2:3], v5, v2
	v_cmp_gt_i32_e64 s[0:1], s12, v2
	s_and_b64 s[2:3], s[2:3], s[0:1]
	s_and_saveexec_b64 s[4:5], s[2:3]
	s_cbranch_execz .LBB792_10
; %bb.8:
	v_ashrrev_i32_e32 v3, 31, v2
	v_lshlrev_b64 v[9:10], 3, v[2:3]
	v_xor_b32_e32 v7, 0x80000000, v21
	v_add_co_u32_e64 v3, s[2:3], v4, v9
	v_addc_co_u32_e64 v4, s[2:3], v6, v10, s[2:3]
	v_xor_b32_e32 v8, 0x80000000, v20
	v_cmp_eq_u32_e64 s[2:3], v5, v2
	flat_store_dwordx2 v[3:4], v[7:8]
	s_and_b64 exec, exec, s[2:3]
	s_cbranch_execz .LBB792_10
; %bb.9:
	v_mov_b32_e32 v1, 0
	flat_store_dword v[3:4], v1 offset:4
.LBB792_10:
	s_or_b64 exec, exec, s[4:5]
	v_add_u32_e32 v8, 16, v5
	v_mad_i64_i32 v[3:4], s[2:3], v8, s8, 0
	v_mov_b32_e32 v1, s11
	v_lshlrev_b64 v[3:4], 3, v[3:4]
	v_add_co_u32_e64 v6, s[2:3], s10, v3
	v_addc_co_u32_e64 v7, s[2:3], v1, v4, s[2:3]
	v_cmp_le_i32_e64 s[2:3], v8, v0
	s_and_b64 s[4:5], s[2:3], vcc
	s_and_saveexec_b64 s[2:3], s[4:5]
	s_cbranch_execz .LBB792_13
; %bb.11:
	v_ashrrev_i32_e32 v1, 31, v0
	v_lshlrev_b64 v[3:4], 3, v[0:1]
	v_xor_b32_e32 v9, 0x80000000, v19
	v_add_co_u32_e32 v3, vcc, v6, v3
	v_addc_co_u32_e32 v4, vcc, v7, v4, vcc
	v_xor_b32_e32 v10, 0x80000000, v18
	v_cmp_eq_u32_e32 vcc, v8, v0
	flat_store_dwordx2 v[3:4], v[9:10]
	s_and_b64 exec, exec, vcc
	s_cbranch_execz .LBB792_13
; %bb.12:
	v_mov_b32_e32 v1, 0
	flat_store_dword v[3:4], v1 offset:4
.LBB792_13:
	s_or_b64 exec, exec, s[2:3]
	v_cmp_le_i32_e32 vcc, v8, v2
	s_and_b64 s[0:1], vcc, s[0:1]
	s_and_saveexec_b64 s[2:3], s[0:1]
	s_cbranch_execz .LBB792_16
; %bb.14:
	v_ashrrev_i32_e32 v3, 31, v2
	v_lshlrev_b64 v[1:2], 3, v[2:3]
	v_xor_b32_e32 v8, 0x80000000, v17
	v_add_co_u32_e32 v1, vcc, v6, v1
	v_addc_co_u32_e32 v2, vcc, v7, v2, vcc
	v_xor_b32_e32 v9, 0x80000000, v16
	v_cmp_eq_u32_e32 vcc, v5, v0
	flat_store_dwordx2 v[1:2], v[8:9]
	s_and_b64 exec, exec, vcc
	s_cbranch_execz .LBB792_16
; %bb.15:
	v_mov_b32_e32 v0, 0
	flat_store_dword v[1:2], v0 offset:4
.LBB792_16:
	s_endpgm
	.section	.rodata,"a",@progbits
	.p2align	6, 0x0
	.amdhsa_kernel _ZL37rocblas_syrkx_herkx_restricted_kernelIi19rocblas_complex_numIfELi16ELi32ELi8ELin1ELi0ELb1ELc78ELc76EKPKS1_KPS1_EviT_PT9_S7_lS9_S7_lPT10_S7_li
		.amdhsa_group_segment_fixed_size 4096
		.amdhsa_private_segment_fixed_size 0
		.amdhsa_kernarg_size 84
		.amdhsa_user_sgpr_count 6
		.amdhsa_user_sgpr_private_segment_buffer 1
		.amdhsa_user_sgpr_dispatch_ptr 0
		.amdhsa_user_sgpr_queue_ptr 0
		.amdhsa_user_sgpr_kernarg_segment_ptr 1
		.amdhsa_user_sgpr_dispatch_id 0
		.amdhsa_user_sgpr_flat_scratch_init 0
		.amdhsa_user_sgpr_private_segment_size 0
		.amdhsa_uses_dynamic_stack 0
		.amdhsa_system_sgpr_private_segment_wavefront_offset 0
		.amdhsa_system_sgpr_workgroup_id_x 1
		.amdhsa_system_sgpr_workgroup_id_y 1
		.amdhsa_system_sgpr_workgroup_id_z 1
		.amdhsa_system_sgpr_workgroup_info 0
		.amdhsa_system_vgpr_workitem_id 1
		.amdhsa_next_free_vgpr 43
		.amdhsa_next_free_sgpr 20
		.amdhsa_reserve_vcc 1
		.amdhsa_reserve_flat_scratch 0
		.amdhsa_float_round_mode_32 0
		.amdhsa_float_round_mode_16_64 0
		.amdhsa_float_denorm_mode_32 3
		.amdhsa_float_denorm_mode_16_64 3
		.amdhsa_dx10_clamp 1
		.amdhsa_ieee_mode 1
		.amdhsa_fp16_overflow 0
		.amdhsa_exception_fp_ieee_invalid_op 0
		.amdhsa_exception_fp_denorm_src 0
		.amdhsa_exception_fp_ieee_div_zero 0
		.amdhsa_exception_fp_ieee_overflow 0
		.amdhsa_exception_fp_ieee_underflow 0
		.amdhsa_exception_fp_ieee_inexact 0
		.amdhsa_exception_int_div_zero 0
	.end_amdhsa_kernel
	.section	.text._ZL37rocblas_syrkx_herkx_restricted_kernelIi19rocblas_complex_numIfELi16ELi32ELi8ELin1ELi0ELb1ELc78ELc76EKPKS1_KPS1_EviT_PT9_S7_lS9_S7_lPT10_S7_li,"axG",@progbits,_ZL37rocblas_syrkx_herkx_restricted_kernelIi19rocblas_complex_numIfELi16ELi32ELi8ELin1ELi0ELb1ELc78ELc76EKPKS1_KPS1_EviT_PT9_S7_lS9_S7_lPT10_S7_li,comdat
.Lfunc_end792:
	.size	_ZL37rocblas_syrkx_herkx_restricted_kernelIi19rocblas_complex_numIfELi16ELi32ELi8ELin1ELi0ELb1ELc78ELc76EKPKS1_KPS1_EviT_PT9_S7_lS9_S7_lPT10_S7_li, .Lfunc_end792-_ZL37rocblas_syrkx_herkx_restricted_kernelIi19rocblas_complex_numIfELi16ELi32ELi8ELin1ELi0ELb1ELc78ELc76EKPKS1_KPS1_EviT_PT9_S7_lS9_S7_lPT10_S7_li
                                        ; -- End function
	.set _ZL37rocblas_syrkx_herkx_restricted_kernelIi19rocblas_complex_numIfELi16ELi32ELi8ELin1ELi0ELb1ELc78ELc76EKPKS1_KPS1_EviT_PT9_S7_lS9_S7_lPT10_S7_li.num_vgpr, 43
	.set _ZL37rocblas_syrkx_herkx_restricted_kernelIi19rocblas_complex_numIfELi16ELi32ELi8ELin1ELi0ELb1ELc78ELc76EKPKS1_KPS1_EviT_PT9_S7_lS9_S7_lPT10_S7_li.num_agpr, 0
	.set _ZL37rocblas_syrkx_herkx_restricted_kernelIi19rocblas_complex_numIfELi16ELi32ELi8ELin1ELi0ELb1ELc78ELc76EKPKS1_KPS1_EviT_PT9_S7_lS9_S7_lPT10_S7_li.numbered_sgpr, 20
	.set _ZL37rocblas_syrkx_herkx_restricted_kernelIi19rocblas_complex_numIfELi16ELi32ELi8ELin1ELi0ELb1ELc78ELc76EKPKS1_KPS1_EviT_PT9_S7_lS9_S7_lPT10_S7_li.num_named_barrier, 0
	.set _ZL37rocblas_syrkx_herkx_restricted_kernelIi19rocblas_complex_numIfELi16ELi32ELi8ELin1ELi0ELb1ELc78ELc76EKPKS1_KPS1_EviT_PT9_S7_lS9_S7_lPT10_S7_li.private_seg_size, 0
	.set _ZL37rocblas_syrkx_herkx_restricted_kernelIi19rocblas_complex_numIfELi16ELi32ELi8ELin1ELi0ELb1ELc78ELc76EKPKS1_KPS1_EviT_PT9_S7_lS9_S7_lPT10_S7_li.uses_vcc, 1
	.set _ZL37rocblas_syrkx_herkx_restricted_kernelIi19rocblas_complex_numIfELi16ELi32ELi8ELin1ELi0ELb1ELc78ELc76EKPKS1_KPS1_EviT_PT9_S7_lS9_S7_lPT10_S7_li.uses_flat_scratch, 0
	.set _ZL37rocblas_syrkx_herkx_restricted_kernelIi19rocblas_complex_numIfELi16ELi32ELi8ELin1ELi0ELb1ELc78ELc76EKPKS1_KPS1_EviT_PT9_S7_lS9_S7_lPT10_S7_li.has_dyn_sized_stack, 0
	.set _ZL37rocblas_syrkx_herkx_restricted_kernelIi19rocblas_complex_numIfELi16ELi32ELi8ELin1ELi0ELb1ELc78ELc76EKPKS1_KPS1_EviT_PT9_S7_lS9_S7_lPT10_S7_li.has_recursion, 0
	.set _ZL37rocblas_syrkx_herkx_restricted_kernelIi19rocblas_complex_numIfELi16ELi32ELi8ELin1ELi0ELb1ELc78ELc76EKPKS1_KPS1_EviT_PT9_S7_lS9_S7_lPT10_S7_li.has_indirect_call, 0
	.section	.AMDGPU.csdata,"",@progbits
; Kernel info:
; codeLenInByte = 2024
; TotalNumSgprs: 24
; NumVgprs: 43
; ScratchSize: 0
; MemoryBound: 0
; FloatMode: 240
; IeeeMode: 1
; LDSByteSize: 4096 bytes/workgroup (compile time only)
; SGPRBlocks: 2
; VGPRBlocks: 10
; NumSGPRsForWavesPerEU: 24
; NumVGPRsForWavesPerEU: 43
; Occupancy: 5
; WaveLimiterHint : 1
; COMPUTE_PGM_RSRC2:SCRATCH_EN: 0
; COMPUTE_PGM_RSRC2:USER_SGPR: 6
; COMPUTE_PGM_RSRC2:TRAP_HANDLER: 0
; COMPUTE_PGM_RSRC2:TGID_X_EN: 1
; COMPUTE_PGM_RSRC2:TGID_Y_EN: 1
; COMPUTE_PGM_RSRC2:TGID_Z_EN: 1
; COMPUTE_PGM_RSRC2:TIDIG_COMP_CNT: 1
	.section	.text._ZL37rocblas_syrkx_herkx_restricted_kernelIi19rocblas_complex_numIfELi16ELi32ELi8ELin1ELi0ELb1ELc84ELc85EKPKS1_KPS1_EviT_PT9_S7_lS9_S7_lPT10_S7_li,"axG",@progbits,_ZL37rocblas_syrkx_herkx_restricted_kernelIi19rocblas_complex_numIfELi16ELi32ELi8ELin1ELi0ELb1ELc84ELc85EKPKS1_KPS1_EviT_PT9_S7_lS9_S7_lPT10_S7_li,comdat
	.globl	_ZL37rocblas_syrkx_herkx_restricted_kernelIi19rocblas_complex_numIfELi16ELi32ELi8ELin1ELi0ELb1ELc84ELc85EKPKS1_KPS1_EviT_PT9_S7_lS9_S7_lPT10_S7_li ; -- Begin function _ZL37rocblas_syrkx_herkx_restricted_kernelIi19rocblas_complex_numIfELi16ELi32ELi8ELin1ELi0ELb1ELc84ELc85EKPKS1_KPS1_EviT_PT9_S7_lS9_S7_lPT10_S7_li
	.p2align	8
	.type	_ZL37rocblas_syrkx_herkx_restricted_kernelIi19rocblas_complex_numIfELi16ELi32ELi8ELin1ELi0ELb1ELc84ELc85EKPKS1_KPS1_EviT_PT9_S7_lS9_S7_lPT10_S7_li,@function
_ZL37rocblas_syrkx_herkx_restricted_kernelIi19rocblas_complex_numIfELi16ELi32ELi8ELin1ELi0ELb1ELc84ELc85EKPKS1_KPS1_EviT_PT9_S7_lS9_S7_lPT10_S7_li: ; @_ZL37rocblas_syrkx_herkx_restricted_kernelIi19rocblas_complex_numIfELi16ELi32ELi8ELin1ELi0ELb1ELc84ELc85EKPKS1_KPS1_EviT_PT9_S7_lS9_S7_lPT10_S7_li
; %bb.0:
	s_load_dwordx2 s[10:11], s[4:5], 0x38
	s_load_dwordx2 s[2:3], s[4:5], 0x0
	s_mov_b32 s9, 0
	s_lshl_b64 s[0:1], s[8:9], 3
	s_waitcnt lgkmcnt(0)
	s_add_u32 s10, s10, s0
	s_addc_u32 s11, s11, s1
	s_load_dwordx2 s[10:11], s[10:11], 0x0
	s_lshl_b32 s6, s6, 5
	s_lshl_b32 s7, s7, 5
	s_cmp_lt_i32 s3, 1
	s_cbranch_scc1 .LBB793_3
; %bb.1:
	v_lshl_add_u32 v4, v1, 4, v0
	s_load_dwordx2 s[12:13], s[4:5], 0x8
	s_load_dword s8, s[4:5], 0x10
	s_load_dwordx2 s[14:15], s[4:5], 0x20
	s_load_dword s16, s[4:5], 0x28
	v_and_b32_e32 v7, 31, v4
	v_lshrrev_b32_e32 v6, 3, v4
	v_and_b32_e32 v9, 7, v0
	v_lshrrev_b32_e32 v4, 5, v4
	v_lshlrev_b32_e32 v8, 3, v7
	s_waitcnt lgkmcnt(0)
	s_add_u32 s12, s12, s0
	v_lshl_or_b32 v11, v4, 8, v8
	v_lshlrev_b32_e32 v8, 3, v9
	s_addc_u32 s13, s13, s1
	v_add_u32_e32 v2, s7, v6
	v_mov_b32_e32 v10, 0
	v_lshl_or_b32 v6, v6, 6, v8
	s_add_u32 s0, s14, s0
	v_mov_b32_e32 v5, v10
	v_add_u32_e32 v12, 0x800, v6
	v_add_u32_e32 v6, s6, v7
	s_addc_u32 s1, s15, s1
	v_mad_i64_i32 v[4:5], s[14:15], s8, v6, v[4:5]
	s_load_dwordx2 s[12:13], s[12:13], 0x0
	v_mad_i64_i32 v[2:3], s[14:15], s16, v2, v[9:10]
	s_load_dwordx2 s[0:1], s[0:1], 0x0
	v_lshlrev_b64 v[4:5], 3, v[4:5]
	v_mov_b32_e32 v6, 0x800
	v_lshl_add_u32 v14, v1, 6, v6
	s_waitcnt lgkmcnt(0)
	v_mov_b32_e32 v7, s13
	v_add_co_u32_e32 v6, vcc, s12, v4
	v_lshlrev_b64 v[2:3], 3, v[2:3]
	v_addc_co_u32_e32 v7, vcc, v7, v5, vcc
	v_mov_b32_e32 v4, s1
	v_add_co_u32_e32 v8, vcc, s0, v2
	v_lshlrev_b32_e32 v13, 3, v0
	v_addc_co_u32_e32 v9, vcc, v4, v3, vcc
	v_mov_b32_e32 v15, v10
	v_mov_b32_e32 v16, v10
	;; [unrolled: 1-line block ×7, first 2 shown]
.LBB793_2:                              ; =>This Inner Loop Header: Depth=1
	flat_load_dwordx2 v[2:3], v[6:7]
	v_add_co_u32_e32 v6, vcc, 64, v6
	v_addc_co_u32_e32 v7, vcc, 0, v7, vcc
	s_add_i32 s9, s9, 8
	s_cmp_ge_i32 s9, s3
	s_waitcnt vmcnt(0) lgkmcnt(0)
	ds_write_b64 v11, v[2:3]
	flat_load_dwordx2 v[2:3], v[8:9]
	v_add_co_u32_e32 v8, vcc, 64, v8
	v_addc_co_u32_e32 v9, vcc, 0, v9, vcc
	s_waitcnt vmcnt(0) lgkmcnt(0)
	ds_write_b64 v12, v[2:3]
	s_waitcnt lgkmcnt(0)
	s_barrier
	ds_read_b128 v[22:25], v14
	ds_read_b128 v[26:29], v14 offset:16
	ds_read_b128 v[30:33], v14 offset:32
	;; [unrolled: 1-line block ×3, first 2 shown]
	ds_read2_b64 v[34:37], v13 offset1:16
	s_waitcnt lgkmcnt(0)
	v_mul_f32_e32 v38, v23, v35
	v_mul_f32_e32 v39, v22, v35
	v_fma_f32 v38, v22, v34, -v38
	v_fmac_f32_e32 v39, v23, v34
	v_add_f32_e32 v38, v20, v38
	v_add_f32_e32 v39, v21, v39
	v_mul_f32_e32 v20, v23, v37
	v_mul_f32_e32 v21, v22, v37
	v_fma_f32 v20, v22, v36, -v20
	v_fmac_f32_e32 v21, v23, v36
	v_add_f32_e32 v22, v19, v20
	v_add_f32_e32 v23, v18, v21
	ds_read_b128 v[18:21], v14 offset:1024
	s_waitcnt lgkmcnt(0)
	v_mul_f32_e32 v40, v19, v35
	v_mul_f32_e32 v35, v18, v35
	v_fma_f32 v40, v18, v34, -v40
	v_fmac_f32_e32 v35, v19, v34
	v_add_f32_e32 v34, v17, v40
	v_add_f32_e32 v35, v16, v35
	v_mul_f32_e32 v16, v19, v37
	v_mul_f32_e32 v17, v18, v37
	v_fma_f32 v16, v18, v36, -v16
	v_fmac_f32_e32 v17, v19, v36
	v_add_f32_e32 v19, v15, v16
	v_add_f32_e32 v10, v10, v17
	ds_read2_b64 v[15:18], v13 offset0:32 offset1:48
	s_waitcnt lgkmcnt(0)
	v_mul_f32_e32 v36, v25, v16
	v_fma_f32 v36, v24, v15, -v36
	v_add_f32_e32 v36, v38, v36
	v_mul_f32_e32 v38, v25, v18
	v_mul_f32_e32 v37, v24, v16
	v_fma_f32 v38, v24, v17, -v38
	v_mul_f32_e32 v24, v24, v18
	v_fmac_f32_e32 v24, v25, v17
	v_add_f32_e32 v23, v23, v24
	v_mul_f32_e32 v24, v21, v16
	v_mul_f32_e32 v16, v20, v16
	v_fmac_f32_e32 v16, v21, v15
	v_fmac_f32_e32 v37, v25, v15
	v_fma_f32 v24, v20, v15, -v24
	v_add_f32_e32 v25, v35, v16
	v_mul_f32_e32 v15, v21, v18
	v_mul_f32_e32 v16, v20, v18
	v_fma_f32 v15, v20, v17, -v15
	v_fmac_f32_e32 v16, v21, v17
	v_add_f32_e32 v24, v34, v24
	v_add_f32_e32 v34, v19, v15
	;; [unrolled: 1-line block ×3, first 2 shown]
	ds_read2_b64 v[15:18], v13 offset0:64 offset1:80
	v_add_f32_e32 v37, v39, v37
	v_add_f32_e32 v22, v22, v38
	s_waitcnt lgkmcnt(0)
	v_mul_f32_e32 v19, v27, v16
	v_mul_f32_e32 v20, v26, v16
	v_fma_f32 v19, v26, v15, -v19
	v_fmac_f32_e32 v20, v27, v15
	v_add_f32_e32 v35, v36, v19
	v_add_f32_e32 v36, v37, v20
	v_mul_f32_e32 v19, v27, v18
	v_mul_f32_e32 v20, v26, v18
	v_fma_f32 v19, v26, v17, -v19
	v_fmac_f32_e32 v20, v27, v17
	v_add_f32_e32 v26, v22, v19
	v_add_f32_e32 v23, v23, v20
	ds_read_b128 v[19:22], v14 offset:1040
	s_waitcnt lgkmcnt(0)
	v_mul_f32_e32 v27, v20, v16
	v_mul_f32_e32 v16, v19, v16
	v_fmac_f32_e32 v16, v20, v15
	v_fma_f32 v27, v19, v15, -v27
	v_add_f32_e32 v25, v25, v16
	v_mul_f32_e32 v15, v20, v18
	v_mul_f32_e32 v16, v19, v18
	v_fma_f32 v15, v19, v17, -v15
	v_fmac_f32_e32 v16, v20, v17
	v_add_f32_e32 v19, v34, v15
	v_add_f32_e32 v10, v10, v16
	ds_read2_b64 v[15:18], v13 offset0:96 offset1:112
	v_add_f32_e32 v24, v24, v27
	s_waitcnt lgkmcnt(0)
	v_mul_f32_e32 v20, v29, v16
	v_mul_f32_e32 v34, v29, v18
	v_fma_f32 v20, v28, v15, -v20
	v_mul_f32_e32 v27, v28, v16
	v_fma_f32 v34, v28, v17, -v34
	v_mul_f32_e32 v28, v28, v18
	v_fmac_f32_e32 v28, v29, v17
	v_add_f32_e32 v23, v23, v28
	v_mul_f32_e32 v28, v22, v16
	v_mul_f32_e32 v16, v21, v16
	v_fmac_f32_e32 v16, v22, v15
	v_fmac_f32_e32 v27, v29, v15
	v_fma_f32 v28, v21, v15, -v28
	v_add_f32_e32 v25, v25, v16
	v_mul_f32_e32 v15, v22, v18
	v_mul_f32_e32 v16, v21, v18
	v_fma_f32 v15, v21, v17, -v15
	v_fmac_f32_e32 v16, v22, v17
	v_add_f32_e32 v24, v24, v28
	v_add_f32_e32 v28, v19, v15
	v_add_f32_e32 v10, v10, v16
	ds_read2_b64 v[15:18], v13 offset0:128 offset1:144
	v_add_f32_e32 v20, v35, v20
	v_add_f32_e32 v27, v36, v27
	;; [unrolled: 1-line block ×3, first 2 shown]
	s_waitcnt lgkmcnt(0)
	v_mul_f32_e32 v19, v31, v16
	v_fma_f32 v19, v30, v15, -v19
	v_mul_f32_e32 v21, v30, v16
	v_add_f32_e32 v29, v20, v19
	v_mul_f32_e32 v19, v31, v18
	v_mul_f32_e32 v20, v30, v18
	v_fmac_f32_e32 v21, v31, v15
	v_fma_f32 v19, v30, v17, -v19
	v_fmac_f32_e32 v20, v31, v17
	v_add_f32_e32 v27, v27, v21
	v_add_f32_e32 v26, v26, v19
	;; [unrolled: 1-line block ×3, first 2 shown]
	ds_read_b128 v[19:22], v14 offset:1056
	s_waitcnt lgkmcnt(0)
	v_mul_f32_e32 v30, v20, v16
	v_mul_f32_e32 v16, v19, v16
	v_fmac_f32_e32 v16, v20, v15
	v_fma_f32 v30, v19, v15, -v30
	v_add_f32_e32 v25, v25, v16
	v_mul_f32_e32 v15, v20, v18
	v_mul_f32_e32 v16, v19, v18
	v_fma_f32 v15, v19, v17, -v15
	v_fmac_f32_e32 v16, v20, v17
	v_add_f32_e32 v19, v28, v15
	v_add_f32_e32 v10, v10, v16
	ds_read2_b64 v[15:18], v13 offset0:160 offset1:176
	v_add_f32_e32 v24, v24, v30
	s_waitcnt lgkmcnt(0)
	v_mul_f32_e32 v28, v32, v16
	v_fmac_f32_e32 v28, v33, v15
	v_add_f32_e32 v27, v27, v28
	v_mul_f32_e32 v28, v33, v18
	v_fma_f32 v28, v32, v17, -v28
	v_mul_f32_e32 v20, v33, v16
	v_add_f32_e32 v26, v26, v28
	v_mul_f32_e32 v28, v22, v16
	v_mul_f32_e32 v16, v21, v16
	v_fmac_f32_e32 v16, v22, v15
	v_fma_f32 v20, v32, v15, -v20
	v_fma_f32 v28, v21, v15, -v28
	v_add_f32_e32 v25, v25, v16
	v_mul_f32_e32 v15, v22, v18
	v_mul_f32_e32 v16, v21, v18
	v_add_f32_e32 v20, v29, v20
	v_mul_f32_e32 v29, v32, v18
	v_fma_f32 v15, v21, v17, -v15
	v_fmac_f32_e32 v16, v22, v17
	v_fmac_f32_e32 v29, v33, v17
	v_add_f32_e32 v19, v19, v15
	v_add_f32_e32 v10, v10, v16
	ds_read2_b64 v[15:18], v13 offset0:192 offset1:208
	v_add_f32_e32 v24, v24, v28
	v_add_f32_e32 v23, v23, v29
	s_waitcnt lgkmcnt(0)
	v_mul_f32_e32 v21, v3, v16
	v_fma_f32 v21, v2, v15, -v21
	v_add_f32_e32 v28, v20, v21
	v_mul_f32_e32 v20, v3, v18
	v_mul_f32_e32 v22, v2, v16
	v_fma_f32 v20, v2, v17, -v20
	v_mul_f32_e32 v2, v2, v18
	v_fmac_f32_e32 v22, v3, v15
	v_fmac_f32_e32 v2, v3, v17
	v_add_f32_e32 v29, v27, v22
	v_add_f32_e32 v3, v26, v20
	;; [unrolled: 1-line block ×3, first 2 shown]
	ds_read_b128 v[20:23], v14 offset:1072
	s_waitcnt lgkmcnt(0)
	v_mul_f32_e32 v26, v21, v16
	v_fma_f32 v26, v20, v15, -v26
	v_mul_f32_e32 v16, v20, v16
	v_fmac_f32_e32 v16, v21, v15
	v_add_f32_e32 v15, v24, v26
	v_mul_f32_e32 v24, v21, v18
	v_fma_f32 v24, v20, v17, -v24
	v_add_f32_e32 v16, v25, v16
	v_add_f32_e32 v30, v19, v24
	ds_read2_b64 v[24:27], v13 offset0:224 offset1:240
	v_mul_f32_e32 v18, v20, v18
	v_fmac_f32_e32 v18, v21, v17
	v_add_f32_e32 v10, v10, v18
	s_waitcnt lgkmcnt(0)
	v_mul_f32_e32 v17, v5, v25
	v_fma_f32 v17, v4, v24, -v17
	v_add_f32_e32 v20, v28, v17
	v_mul_f32_e32 v17, v5, v27
	v_mul_f32_e32 v18, v4, v25
	v_fma_f32 v17, v4, v26, -v17
	v_mul_f32_e32 v4, v4, v27
	v_fmac_f32_e32 v18, v5, v24
	v_fmac_f32_e32 v4, v5, v26
	v_add_f32_e32 v21, v29, v18
	v_add_f32_e32 v19, v3, v17
	;; [unrolled: 1-line block ×3, first 2 shown]
	v_mul_f32_e32 v2, v23, v25
	v_mul_f32_e32 v3, v22, v25
	v_fma_f32 v2, v22, v24, -v2
	v_fmac_f32_e32 v3, v23, v24
	v_add_f32_e32 v17, v15, v2
	v_add_f32_e32 v16, v16, v3
	v_mul_f32_e32 v2, v23, v27
	v_mul_f32_e32 v3, v22, v27
	v_fma_f32 v2, v22, v26, -v2
	v_fmac_f32_e32 v3, v23, v26
	v_add_f32_e32 v15, v30, v2
	v_add_f32_e32 v10, v10, v3
	s_barrier
	s_cbranch_scc0 .LBB793_2
	s_branch .LBB793_4
.LBB793_3:
	v_mov_b32_e32 v20, 0
	v_mov_b32_e32 v21, 0
	;; [unrolled: 1-line block ×8, first 2 shown]
.LBB793_4:
	s_load_dword s3, s[4:5], 0x40
	v_add_u32_e32 v5, s7, v1
	s_waitcnt lgkmcnt(0)
	v_mov_b32_e32 v3, s11
	v_add_u32_e32 v0, s6, v0
	v_cmp_gt_i32_e32 vcc, s2, v5
	v_mad_i64_i32 v[1:2], s[0:1], v5, s3, 0
	v_lshlrev_b64 v[1:2], 3, v[1:2]
	v_add_co_u32_e64 v4, s[0:1], s10, v1
	v_addc_co_u32_e64 v6, s[0:1], v3, v2, s[0:1]
	v_cmp_le_i32_e64 s[0:1], v0, v5
	s_and_b64 s[0:1], vcc, s[0:1]
	s_and_saveexec_b64 s[4:5], s[0:1]
	s_cbranch_execz .LBB793_7
; %bb.5:
	v_ashrrev_i32_e32 v1, 31, v0
	v_lshlrev_b64 v[1:2], 3, v[0:1]
	v_xor_b32_e32 v7, 0x80000000, v20
	v_add_co_u32_e64 v1, s[0:1], v4, v1
	v_addc_co_u32_e64 v2, s[0:1], v6, v2, s[0:1]
	v_xor_b32_e32 v8, 0x80000000, v21
	v_cmp_eq_u32_e64 s[0:1], v5, v0
	flat_store_dwordx2 v[1:2], v[7:8]
	s_and_b64 exec, exec, s[0:1]
	s_cbranch_execz .LBB793_7
; %bb.6:
	v_mov_b32_e32 v3, 0
	flat_store_dword v[1:2], v3 offset:4
.LBB793_7:
	s_or_b64 exec, exec, s[4:5]
	v_add_u32_e32 v2, 16, v0
	v_cmp_le_i32_e64 s[0:1], v2, v5
	s_and_b64 s[4:5], vcc, s[0:1]
	s_and_saveexec_b64 s[0:1], s[4:5]
	s_cbranch_execz .LBB793_10
; %bb.8:
	v_ashrrev_i32_e32 v3, 31, v2
	v_lshlrev_b64 v[11:12], 3, v[2:3]
	v_xor_b32_e32 v7, 0x80000000, v19
	v_add_co_u32_e32 v3, vcc, v4, v11
	v_addc_co_u32_e32 v4, vcc, v6, v12, vcc
	v_xor_b32_e32 v8, 0x80000000, v18
	v_cmp_eq_u32_e32 vcc, v5, v2
	flat_store_dwordx2 v[3:4], v[7:8]
	s_and_b64 exec, exec, vcc
	s_cbranch_execz .LBB793_10
; %bb.9:
	v_mov_b32_e32 v1, 0
	flat_store_dword v[3:4], v1 offset:4
.LBB793_10:
	s_or_b64 exec, exec, s[0:1]
	v_add_u32_e32 v8, 16, v5
	v_mad_i64_i32 v[3:4], s[0:1], v8, s3, 0
	v_mov_b32_e32 v1, s11
	v_cmp_gt_i32_e32 vcc, s2, v8
	v_lshlrev_b64 v[3:4], 3, v[3:4]
	v_add_co_u32_e64 v6, s[0:1], s10, v3
	v_addc_co_u32_e64 v7, s[0:1], v1, v4, s[0:1]
	v_cmp_le_i32_e64 s[0:1], v0, v8
	s_and_b64 s[0:1], vcc, s[0:1]
	s_and_saveexec_b64 s[2:3], s[0:1]
	s_cbranch_execz .LBB793_13
; %bb.11:
	v_ashrrev_i32_e32 v1, 31, v0
	v_lshlrev_b64 v[3:4], 3, v[0:1]
	v_xor_b32_e32 v11, 0x80000000, v17
	v_add_co_u32_e64 v3, s[0:1], v6, v3
	v_addc_co_u32_e64 v4, s[0:1], v7, v4, s[0:1]
	v_xor_b32_e32 v12, 0x80000000, v16
	v_cmp_eq_u32_e64 s[0:1], v8, v0
	flat_store_dwordx2 v[3:4], v[11:12]
	s_and_b64 exec, exec, s[0:1]
	s_cbranch_execz .LBB793_13
; %bb.12:
	v_mov_b32_e32 v1, 0
	flat_store_dword v[3:4], v1 offset:4
.LBB793_13:
	s_or_b64 exec, exec, s[2:3]
	v_cmp_le_i32_e64 s[0:1], v2, v8
	s_and_b64 s[0:1], vcc, s[0:1]
	s_and_saveexec_b64 s[2:3], s[0:1]
	s_cbranch_execz .LBB793_16
; %bb.14:
	v_ashrrev_i32_e32 v3, 31, v2
	v_lshlrev_b64 v[1:2], 3, v[2:3]
	v_xor_b32_e32 v8, 0x80000000, v15
	v_add_co_u32_e32 v1, vcc, v6, v1
	v_addc_co_u32_e32 v2, vcc, v7, v2, vcc
	v_xor_b32_e32 v9, 0x80000000, v10
	v_cmp_eq_u32_e32 vcc, v5, v0
	flat_store_dwordx2 v[1:2], v[8:9]
	s_and_b64 exec, exec, vcc
	s_cbranch_execz .LBB793_16
; %bb.15:
	v_mov_b32_e32 v0, 0
	flat_store_dword v[1:2], v0 offset:4
.LBB793_16:
	s_endpgm
	.section	.rodata,"a",@progbits
	.p2align	6, 0x0
	.amdhsa_kernel _ZL37rocblas_syrkx_herkx_restricted_kernelIi19rocblas_complex_numIfELi16ELi32ELi8ELin1ELi0ELb1ELc84ELc85EKPKS1_KPS1_EviT_PT9_S7_lS9_S7_lPT10_S7_li
		.amdhsa_group_segment_fixed_size 4096
		.amdhsa_private_segment_fixed_size 0
		.amdhsa_kernarg_size 84
		.amdhsa_user_sgpr_count 6
		.amdhsa_user_sgpr_private_segment_buffer 1
		.amdhsa_user_sgpr_dispatch_ptr 0
		.amdhsa_user_sgpr_queue_ptr 0
		.amdhsa_user_sgpr_kernarg_segment_ptr 1
		.amdhsa_user_sgpr_dispatch_id 0
		.amdhsa_user_sgpr_flat_scratch_init 0
		.amdhsa_user_sgpr_private_segment_size 0
		.amdhsa_uses_dynamic_stack 0
		.amdhsa_system_sgpr_private_segment_wavefront_offset 0
		.amdhsa_system_sgpr_workgroup_id_x 1
		.amdhsa_system_sgpr_workgroup_id_y 1
		.amdhsa_system_sgpr_workgroup_id_z 1
		.amdhsa_system_sgpr_workgroup_info 0
		.amdhsa_system_vgpr_workitem_id 1
		.amdhsa_next_free_vgpr 41
		.amdhsa_next_free_sgpr 17
		.amdhsa_reserve_vcc 1
		.amdhsa_reserve_flat_scratch 0
		.amdhsa_float_round_mode_32 0
		.amdhsa_float_round_mode_16_64 0
		.amdhsa_float_denorm_mode_32 3
		.amdhsa_float_denorm_mode_16_64 3
		.amdhsa_dx10_clamp 1
		.amdhsa_ieee_mode 1
		.amdhsa_fp16_overflow 0
		.amdhsa_exception_fp_ieee_invalid_op 0
		.amdhsa_exception_fp_denorm_src 0
		.amdhsa_exception_fp_ieee_div_zero 0
		.amdhsa_exception_fp_ieee_overflow 0
		.amdhsa_exception_fp_ieee_underflow 0
		.amdhsa_exception_fp_ieee_inexact 0
		.amdhsa_exception_int_div_zero 0
	.end_amdhsa_kernel
	.section	.text._ZL37rocblas_syrkx_herkx_restricted_kernelIi19rocblas_complex_numIfELi16ELi32ELi8ELin1ELi0ELb1ELc84ELc85EKPKS1_KPS1_EviT_PT9_S7_lS9_S7_lPT10_S7_li,"axG",@progbits,_ZL37rocblas_syrkx_herkx_restricted_kernelIi19rocblas_complex_numIfELi16ELi32ELi8ELin1ELi0ELb1ELc84ELc85EKPKS1_KPS1_EviT_PT9_S7_lS9_S7_lPT10_S7_li,comdat
.Lfunc_end793:
	.size	_ZL37rocblas_syrkx_herkx_restricted_kernelIi19rocblas_complex_numIfELi16ELi32ELi8ELin1ELi0ELb1ELc84ELc85EKPKS1_KPS1_EviT_PT9_S7_lS9_S7_lPT10_S7_li, .Lfunc_end793-_ZL37rocblas_syrkx_herkx_restricted_kernelIi19rocblas_complex_numIfELi16ELi32ELi8ELin1ELi0ELb1ELc84ELc85EKPKS1_KPS1_EviT_PT9_S7_lS9_S7_lPT10_S7_li
                                        ; -- End function
	.set _ZL37rocblas_syrkx_herkx_restricted_kernelIi19rocblas_complex_numIfELi16ELi32ELi8ELin1ELi0ELb1ELc84ELc85EKPKS1_KPS1_EviT_PT9_S7_lS9_S7_lPT10_S7_li.num_vgpr, 41
	.set _ZL37rocblas_syrkx_herkx_restricted_kernelIi19rocblas_complex_numIfELi16ELi32ELi8ELin1ELi0ELb1ELc84ELc85EKPKS1_KPS1_EviT_PT9_S7_lS9_S7_lPT10_S7_li.num_agpr, 0
	.set _ZL37rocblas_syrkx_herkx_restricted_kernelIi19rocblas_complex_numIfELi16ELi32ELi8ELin1ELi0ELb1ELc84ELc85EKPKS1_KPS1_EviT_PT9_S7_lS9_S7_lPT10_S7_li.numbered_sgpr, 17
	.set _ZL37rocblas_syrkx_herkx_restricted_kernelIi19rocblas_complex_numIfELi16ELi32ELi8ELin1ELi0ELb1ELc84ELc85EKPKS1_KPS1_EviT_PT9_S7_lS9_S7_lPT10_S7_li.num_named_barrier, 0
	.set _ZL37rocblas_syrkx_herkx_restricted_kernelIi19rocblas_complex_numIfELi16ELi32ELi8ELin1ELi0ELb1ELc84ELc85EKPKS1_KPS1_EviT_PT9_S7_lS9_S7_lPT10_S7_li.private_seg_size, 0
	.set _ZL37rocblas_syrkx_herkx_restricted_kernelIi19rocblas_complex_numIfELi16ELi32ELi8ELin1ELi0ELb1ELc84ELc85EKPKS1_KPS1_EviT_PT9_S7_lS9_S7_lPT10_S7_li.uses_vcc, 1
	.set _ZL37rocblas_syrkx_herkx_restricted_kernelIi19rocblas_complex_numIfELi16ELi32ELi8ELin1ELi0ELb1ELc84ELc85EKPKS1_KPS1_EviT_PT9_S7_lS9_S7_lPT10_S7_li.uses_flat_scratch, 0
	.set _ZL37rocblas_syrkx_herkx_restricted_kernelIi19rocblas_complex_numIfELi16ELi32ELi8ELin1ELi0ELb1ELc84ELc85EKPKS1_KPS1_EviT_PT9_S7_lS9_S7_lPT10_S7_li.has_dyn_sized_stack, 0
	.set _ZL37rocblas_syrkx_herkx_restricted_kernelIi19rocblas_complex_numIfELi16ELi32ELi8ELin1ELi0ELb1ELc84ELc85EKPKS1_KPS1_EviT_PT9_S7_lS9_S7_lPT10_S7_li.has_recursion, 0
	.set _ZL37rocblas_syrkx_herkx_restricted_kernelIi19rocblas_complex_numIfELi16ELi32ELi8ELin1ELi0ELb1ELc84ELc85EKPKS1_KPS1_EviT_PT9_S7_lS9_S7_lPT10_S7_li.has_indirect_call, 0
	.section	.AMDGPU.csdata,"",@progbits
; Kernel info:
; codeLenInByte = 1996
; TotalNumSgprs: 21
; NumVgprs: 41
; ScratchSize: 0
; MemoryBound: 0
; FloatMode: 240
; IeeeMode: 1
; LDSByteSize: 4096 bytes/workgroup (compile time only)
; SGPRBlocks: 2
; VGPRBlocks: 10
; NumSGPRsForWavesPerEU: 21
; NumVGPRsForWavesPerEU: 41
; Occupancy: 5
; WaveLimiterHint : 1
; COMPUTE_PGM_RSRC2:SCRATCH_EN: 0
; COMPUTE_PGM_RSRC2:USER_SGPR: 6
; COMPUTE_PGM_RSRC2:TRAP_HANDLER: 0
; COMPUTE_PGM_RSRC2:TGID_X_EN: 1
; COMPUTE_PGM_RSRC2:TGID_Y_EN: 1
; COMPUTE_PGM_RSRC2:TGID_Z_EN: 1
; COMPUTE_PGM_RSRC2:TIDIG_COMP_CNT: 1
	.section	.text._ZL37rocblas_syrkx_herkx_restricted_kernelIi19rocblas_complex_numIfELi16ELi32ELi8ELin1ELi0ELb1ELc67ELc85EKPKS1_KPS1_EviT_PT9_S7_lS9_S7_lPT10_S7_li,"axG",@progbits,_ZL37rocblas_syrkx_herkx_restricted_kernelIi19rocblas_complex_numIfELi16ELi32ELi8ELin1ELi0ELb1ELc67ELc85EKPKS1_KPS1_EviT_PT9_S7_lS9_S7_lPT10_S7_li,comdat
	.globl	_ZL37rocblas_syrkx_herkx_restricted_kernelIi19rocblas_complex_numIfELi16ELi32ELi8ELin1ELi0ELb1ELc67ELc85EKPKS1_KPS1_EviT_PT9_S7_lS9_S7_lPT10_S7_li ; -- Begin function _ZL37rocblas_syrkx_herkx_restricted_kernelIi19rocblas_complex_numIfELi16ELi32ELi8ELin1ELi0ELb1ELc67ELc85EKPKS1_KPS1_EviT_PT9_S7_lS9_S7_lPT10_S7_li
	.p2align	8
	.type	_ZL37rocblas_syrkx_herkx_restricted_kernelIi19rocblas_complex_numIfELi16ELi32ELi8ELin1ELi0ELb1ELc67ELc85EKPKS1_KPS1_EviT_PT9_S7_lS9_S7_lPT10_S7_li,@function
_ZL37rocblas_syrkx_herkx_restricted_kernelIi19rocblas_complex_numIfELi16ELi32ELi8ELin1ELi0ELb1ELc67ELc85EKPKS1_KPS1_EviT_PT9_S7_lS9_S7_lPT10_S7_li: ; @_ZL37rocblas_syrkx_herkx_restricted_kernelIi19rocblas_complex_numIfELi16ELi32ELi8ELin1ELi0ELb1ELc67ELc85EKPKS1_KPS1_EviT_PT9_S7_lS9_S7_lPT10_S7_li
; %bb.0:
	s_load_dwordx2 s[10:11], s[4:5], 0x38
	s_load_dwordx2 s[2:3], s[4:5], 0x0
	s_mov_b32 s9, 0
	s_lshl_b64 s[0:1], s[8:9], 3
	s_waitcnt lgkmcnt(0)
	s_add_u32 s10, s10, s0
	s_addc_u32 s11, s11, s1
	s_load_dwordx2 s[10:11], s[10:11], 0x0
	s_lshl_b32 s6, s6, 5
	s_lshl_b32 s7, s7, 5
	s_cmp_lt_i32 s3, 1
	s_cbranch_scc1 .LBB794_3
; %bb.1:
	v_lshl_add_u32 v4, v1, 4, v0
	s_load_dwordx2 s[12:13], s[4:5], 0x8
	s_load_dword s8, s[4:5], 0x10
	s_load_dwordx2 s[14:15], s[4:5], 0x20
	s_load_dword s16, s[4:5], 0x28
	v_and_b32_e32 v7, 31, v4
	v_lshrrev_b32_e32 v6, 3, v4
	v_and_b32_e32 v9, 7, v0
	v_lshrrev_b32_e32 v4, 5, v4
	v_lshlrev_b32_e32 v8, 3, v7
	s_waitcnt lgkmcnt(0)
	s_add_u32 s12, s12, s0
	v_lshl_or_b32 v11, v4, 8, v8
	v_lshlrev_b32_e32 v8, 3, v9
	s_addc_u32 s13, s13, s1
	v_add_u32_e32 v2, s7, v6
	v_mov_b32_e32 v10, 0
	v_lshl_or_b32 v6, v6, 6, v8
	s_add_u32 s0, s14, s0
	v_mov_b32_e32 v5, v10
	v_add_u32_e32 v12, 0x800, v6
	v_add_u32_e32 v6, s6, v7
	s_addc_u32 s1, s15, s1
	v_mad_i64_i32 v[4:5], s[14:15], s8, v6, v[4:5]
	s_load_dwordx2 s[12:13], s[12:13], 0x0
	v_mad_i64_i32 v[2:3], s[14:15], s16, v2, v[9:10]
	s_load_dwordx2 s[0:1], s[0:1], 0x0
	v_lshlrev_b64 v[4:5], 3, v[4:5]
	v_mov_b32_e32 v6, 0x800
	v_lshl_add_u32 v14, v1, 6, v6
	s_waitcnt lgkmcnt(0)
	v_mov_b32_e32 v7, s13
	v_add_co_u32_e32 v6, vcc, s12, v4
	v_lshlrev_b64 v[2:3], 3, v[2:3]
	v_addc_co_u32_e32 v7, vcc, v7, v5, vcc
	v_mov_b32_e32 v4, s1
	v_add_co_u32_e32 v8, vcc, s0, v2
	v_lshlrev_b32_e32 v13, 3, v0
	v_addc_co_u32_e32 v9, vcc, v4, v3, vcc
	v_mov_b32_e32 v15, v10
	v_mov_b32_e32 v16, v10
	;; [unrolled: 1-line block ×7, first 2 shown]
.LBB794_2:                              ; =>This Inner Loop Header: Depth=1
	flat_load_dwordx2 v[2:3], v[6:7]
	v_add_co_u32_e32 v6, vcc, 64, v6
	v_addc_co_u32_e32 v7, vcc, 0, v7, vcc
	s_add_i32 s9, s9, 8
	s_cmp_ge_i32 s9, s3
	s_waitcnt vmcnt(0) lgkmcnt(0)
	v_xor_b32_e32 v3, 0x80000000, v3
	ds_write_b64 v11, v[2:3]
	flat_load_dwordx2 v[2:3], v[8:9]
	v_add_co_u32_e32 v8, vcc, 64, v8
	v_addc_co_u32_e32 v9, vcc, 0, v9, vcc
	s_waitcnt vmcnt(0) lgkmcnt(0)
	ds_write_b64 v12, v[2:3]
	s_waitcnt lgkmcnt(0)
	s_barrier
	ds_read_b128 v[22:25], v14
	ds_read_b128 v[26:29], v14 offset:16
	ds_read_b128 v[30:33], v14 offset:32
	;; [unrolled: 1-line block ×3, first 2 shown]
	ds_read2_b64 v[34:37], v13 offset1:16
	s_waitcnt lgkmcnt(0)
	v_mul_f32_e32 v38, v23, v35
	v_mul_f32_e32 v39, v22, v35
	v_fma_f32 v38, v22, v34, -v38
	v_fmac_f32_e32 v39, v23, v34
	v_add_f32_e32 v38, v20, v38
	v_add_f32_e32 v39, v21, v39
	v_mul_f32_e32 v20, v23, v37
	v_mul_f32_e32 v21, v22, v37
	v_fma_f32 v20, v22, v36, -v20
	v_fmac_f32_e32 v21, v23, v36
	v_add_f32_e32 v22, v19, v20
	v_add_f32_e32 v23, v18, v21
	ds_read_b128 v[18:21], v14 offset:1024
	s_waitcnt lgkmcnt(0)
	v_mul_f32_e32 v40, v19, v35
	v_mul_f32_e32 v35, v18, v35
	v_fma_f32 v40, v18, v34, -v40
	v_fmac_f32_e32 v35, v19, v34
	v_add_f32_e32 v34, v17, v40
	v_add_f32_e32 v35, v16, v35
	v_mul_f32_e32 v16, v19, v37
	v_mul_f32_e32 v17, v18, v37
	v_fma_f32 v16, v18, v36, -v16
	v_fmac_f32_e32 v17, v19, v36
	v_add_f32_e32 v19, v15, v16
	v_add_f32_e32 v10, v10, v17
	ds_read2_b64 v[15:18], v13 offset0:32 offset1:48
	s_waitcnt lgkmcnt(0)
	v_mul_f32_e32 v36, v25, v16
	v_fma_f32 v36, v24, v15, -v36
	v_add_f32_e32 v36, v38, v36
	v_mul_f32_e32 v38, v25, v18
	v_mul_f32_e32 v37, v24, v16
	v_fma_f32 v38, v24, v17, -v38
	v_mul_f32_e32 v24, v24, v18
	v_fmac_f32_e32 v24, v25, v17
	v_add_f32_e32 v23, v23, v24
	v_mul_f32_e32 v24, v21, v16
	v_mul_f32_e32 v16, v20, v16
	v_fmac_f32_e32 v16, v21, v15
	v_fmac_f32_e32 v37, v25, v15
	v_fma_f32 v24, v20, v15, -v24
	v_add_f32_e32 v25, v35, v16
	v_mul_f32_e32 v15, v21, v18
	v_mul_f32_e32 v16, v20, v18
	v_fma_f32 v15, v20, v17, -v15
	v_fmac_f32_e32 v16, v21, v17
	v_add_f32_e32 v24, v34, v24
	v_add_f32_e32 v34, v19, v15
	;; [unrolled: 1-line block ×3, first 2 shown]
	ds_read2_b64 v[15:18], v13 offset0:64 offset1:80
	v_add_f32_e32 v37, v39, v37
	v_add_f32_e32 v22, v22, v38
	s_waitcnt lgkmcnt(0)
	v_mul_f32_e32 v19, v27, v16
	v_mul_f32_e32 v20, v26, v16
	v_fma_f32 v19, v26, v15, -v19
	v_fmac_f32_e32 v20, v27, v15
	v_add_f32_e32 v35, v36, v19
	v_add_f32_e32 v36, v37, v20
	v_mul_f32_e32 v19, v27, v18
	v_mul_f32_e32 v20, v26, v18
	v_fma_f32 v19, v26, v17, -v19
	v_fmac_f32_e32 v20, v27, v17
	v_add_f32_e32 v26, v22, v19
	v_add_f32_e32 v23, v23, v20
	ds_read_b128 v[19:22], v14 offset:1040
	s_waitcnt lgkmcnt(0)
	v_mul_f32_e32 v27, v20, v16
	v_mul_f32_e32 v16, v19, v16
	v_fmac_f32_e32 v16, v20, v15
	v_fma_f32 v27, v19, v15, -v27
	v_add_f32_e32 v25, v25, v16
	v_mul_f32_e32 v15, v20, v18
	v_mul_f32_e32 v16, v19, v18
	v_fma_f32 v15, v19, v17, -v15
	v_fmac_f32_e32 v16, v20, v17
	v_add_f32_e32 v19, v34, v15
	v_add_f32_e32 v10, v10, v16
	ds_read2_b64 v[15:18], v13 offset0:96 offset1:112
	v_add_f32_e32 v24, v24, v27
	s_waitcnt lgkmcnt(0)
	v_mul_f32_e32 v20, v29, v16
	v_mul_f32_e32 v34, v29, v18
	v_fma_f32 v20, v28, v15, -v20
	v_mul_f32_e32 v27, v28, v16
	v_fma_f32 v34, v28, v17, -v34
	v_mul_f32_e32 v28, v28, v18
	v_fmac_f32_e32 v28, v29, v17
	v_add_f32_e32 v23, v23, v28
	v_mul_f32_e32 v28, v22, v16
	v_mul_f32_e32 v16, v21, v16
	v_fmac_f32_e32 v16, v22, v15
	v_fmac_f32_e32 v27, v29, v15
	v_fma_f32 v28, v21, v15, -v28
	v_add_f32_e32 v25, v25, v16
	v_mul_f32_e32 v15, v22, v18
	v_mul_f32_e32 v16, v21, v18
	v_fma_f32 v15, v21, v17, -v15
	v_fmac_f32_e32 v16, v22, v17
	v_add_f32_e32 v24, v24, v28
	v_add_f32_e32 v28, v19, v15
	;; [unrolled: 1-line block ×3, first 2 shown]
	ds_read2_b64 v[15:18], v13 offset0:128 offset1:144
	v_add_f32_e32 v20, v35, v20
	v_add_f32_e32 v27, v36, v27
	;; [unrolled: 1-line block ×3, first 2 shown]
	s_waitcnt lgkmcnt(0)
	v_mul_f32_e32 v19, v31, v16
	v_fma_f32 v19, v30, v15, -v19
	v_mul_f32_e32 v21, v30, v16
	v_add_f32_e32 v29, v20, v19
	v_mul_f32_e32 v19, v31, v18
	v_mul_f32_e32 v20, v30, v18
	v_fmac_f32_e32 v21, v31, v15
	v_fma_f32 v19, v30, v17, -v19
	v_fmac_f32_e32 v20, v31, v17
	v_add_f32_e32 v27, v27, v21
	v_add_f32_e32 v26, v26, v19
	;; [unrolled: 1-line block ×3, first 2 shown]
	ds_read_b128 v[19:22], v14 offset:1056
	s_waitcnt lgkmcnt(0)
	v_mul_f32_e32 v30, v20, v16
	v_mul_f32_e32 v16, v19, v16
	v_fmac_f32_e32 v16, v20, v15
	v_fma_f32 v30, v19, v15, -v30
	v_add_f32_e32 v25, v25, v16
	v_mul_f32_e32 v15, v20, v18
	v_mul_f32_e32 v16, v19, v18
	v_fma_f32 v15, v19, v17, -v15
	v_fmac_f32_e32 v16, v20, v17
	v_add_f32_e32 v19, v28, v15
	v_add_f32_e32 v10, v10, v16
	ds_read2_b64 v[15:18], v13 offset0:160 offset1:176
	v_add_f32_e32 v24, v24, v30
	s_waitcnt lgkmcnt(0)
	v_mul_f32_e32 v28, v32, v16
	v_fmac_f32_e32 v28, v33, v15
	v_add_f32_e32 v27, v27, v28
	v_mul_f32_e32 v28, v33, v18
	v_fma_f32 v28, v32, v17, -v28
	v_mul_f32_e32 v20, v33, v16
	v_add_f32_e32 v26, v26, v28
	v_mul_f32_e32 v28, v22, v16
	v_mul_f32_e32 v16, v21, v16
	v_fmac_f32_e32 v16, v22, v15
	v_fma_f32 v20, v32, v15, -v20
	v_fma_f32 v28, v21, v15, -v28
	v_add_f32_e32 v25, v25, v16
	v_mul_f32_e32 v15, v22, v18
	v_mul_f32_e32 v16, v21, v18
	v_add_f32_e32 v20, v29, v20
	v_mul_f32_e32 v29, v32, v18
	v_fma_f32 v15, v21, v17, -v15
	v_fmac_f32_e32 v16, v22, v17
	v_fmac_f32_e32 v29, v33, v17
	v_add_f32_e32 v19, v19, v15
	v_add_f32_e32 v10, v10, v16
	ds_read2_b64 v[15:18], v13 offset0:192 offset1:208
	v_add_f32_e32 v24, v24, v28
	v_add_f32_e32 v23, v23, v29
	s_waitcnt lgkmcnt(0)
	v_mul_f32_e32 v21, v3, v16
	v_fma_f32 v21, v2, v15, -v21
	v_add_f32_e32 v28, v20, v21
	v_mul_f32_e32 v20, v3, v18
	v_mul_f32_e32 v22, v2, v16
	v_fma_f32 v20, v2, v17, -v20
	v_mul_f32_e32 v2, v2, v18
	v_fmac_f32_e32 v22, v3, v15
	v_fmac_f32_e32 v2, v3, v17
	v_add_f32_e32 v29, v27, v22
	v_add_f32_e32 v3, v26, v20
	v_add_f32_e32 v2, v23, v2
	ds_read_b128 v[20:23], v14 offset:1072
	s_waitcnt lgkmcnt(0)
	v_mul_f32_e32 v26, v21, v16
	v_fma_f32 v26, v20, v15, -v26
	v_mul_f32_e32 v16, v20, v16
	v_fmac_f32_e32 v16, v21, v15
	v_add_f32_e32 v15, v24, v26
	v_mul_f32_e32 v24, v21, v18
	v_fma_f32 v24, v20, v17, -v24
	v_add_f32_e32 v16, v25, v16
	v_add_f32_e32 v30, v19, v24
	ds_read2_b64 v[24:27], v13 offset0:224 offset1:240
	v_mul_f32_e32 v18, v20, v18
	v_fmac_f32_e32 v18, v21, v17
	v_add_f32_e32 v10, v10, v18
	s_waitcnt lgkmcnt(0)
	v_mul_f32_e32 v17, v5, v25
	v_fma_f32 v17, v4, v24, -v17
	v_add_f32_e32 v20, v28, v17
	v_mul_f32_e32 v17, v5, v27
	v_mul_f32_e32 v18, v4, v25
	v_fma_f32 v17, v4, v26, -v17
	v_mul_f32_e32 v4, v4, v27
	v_fmac_f32_e32 v18, v5, v24
	v_fmac_f32_e32 v4, v5, v26
	v_add_f32_e32 v21, v29, v18
	v_add_f32_e32 v19, v3, v17
	;; [unrolled: 1-line block ×3, first 2 shown]
	v_mul_f32_e32 v2, v23, v25
	v_mul_f32_e32 v3, v22, v25
	v_fma_f32 v2, v22, v24, -v2
	v_fmac_f32_e32 v3, v23, v24
	v_add_f32_e32 v17, v15, v2
	v_add_f32_e32 v16, v16, v3
	v_mul_f32_e32 v2, v23, v27
	v_mul_f32_e32 v3, v22, v27
	v_fma_f32 v2, v22, v26, -v2
	v_fmac_f32_e32 v3, v23, v26
	v_add_f32_e32 v15, v30, v2
	v_add_f32_e32 v10, v10, v3
	s_barrier
	s_cbranch_scc0 .LBB794_2
	s_branch .LBB794_4
.LBB794_3:
	v_mov_b32_e32 v20, 0
	v_mov_b32_e32 v21, 0
	;; [unrolled: 1-line block ×8, first 2 shown]
.LBB794_4:
	s_load_dword s3, s[4:5], 0x40
	v_add_u32_e32 v5, s7, v1
	s_waitcnt lgkmcnt(0)
	v_mov_b32_e32 v3, s11
	v_add_u32_e32 v0, s6, v0
	v_cmp_gt_i32_e32 vcc, s2, v5
	v_mad_i64_i32 v[1:2], s[0:1], v5, s3, 0
	v_lshlrev_b64 v[1:2], 3, v[1:2]
	v_add_co_u32_e64 v4, s[0:1], s10, v1
	v_addc_co_u32_e64 v6, s[0:1], v3, v2, s[0:1]
	v_cmp_le_i32_e64 s[0:1], v0, v5
	s_and_b64 s[0:1], vcc, s[0:1]
	s_and_saveexec_b64 s[4:5], s[0:1]
	s_cbranch_execz .LBB794_7
; %bb.5:
	v_ashrrev_i32_e32 v1, 31, v0
	v_lshlrev_b64 v[1:2], 3, v[0:1]
	v_xor_b32_e32 v7, 0x80000000, v20
	v_add_co_u32_e64 v1, s[0:1], v4, v1
	v_addc_co_u32_e64 v2, s[0:1], v6, v2, s[0:1]
	v_xor_b32_e32 v8, 0x80000000, v21
	v_cmp_eq_u32_e64 s[0:1], v5, v0
	flat_store_dwordx2 v[1:2], v[7:8]
	s_and_b64 exec, exec, s[0:1]
	s_cbranch_execz .LBB794_7
; %bb.6:
	v_mov_b32_e32 v3, 0
	flat_store_dword v[1:2], v3 offset:4
.LBB794_7:
	s_or_b64 exec, exec, s[4:5]
	v_add_u32_e32 v2, 16, v0
	v_cmp_le_i32_e64 s[0:1], v2, v5
	s_and_b64 s[4:5], vcc, s[0:1]
	s_and_saveexec_b64 s[0:1], s[4:5]
	s_cbranch_execz .LBB794_10
; %bb.8:
	v_ashrrev_i32_e32 v3, 31, v2
	v_lshlrev_b64 v[11:12], 3, v[2:3]
	v_xor_b32_e32 v7, 0x80000000, v19
	v_add_co_u32_e32 v3, vcc, v4, v11
	v_addc_co_u32_e32 v4, vcc, v6, v12, vcc
	v_xor_b32_e32 v8, 0x80000000, v18
	v_cmp_eq_u32_e32 vcc, v5, v2
	flat_store_dwordx2 v[3:4], v[7:8]
	s_and_b64 exec, exec, vcc
	s_cbranch_execz .LBB794_10
; %bb.9:
	v_mov_b32_e32 v1, 0
	flat_store_dword v[3:4], v1 offset:4
.LBB794_10:
	s_or_b64 exec, exec, s[0:1]
	v_add_u32_e32 v8, 16, v5
	v_mad_i64_i32 v[3:4], s[0:1], v8, s3, 0
	v_mov_b32_e32 v1, s11
	v_cmp_gt_i32_e32 vcc, s2, v8
	v_lshlrev_b64 v[3:4], 3, v[3:4]
	v_add_co_u32_e64 v6, s[0:1], s10, v3
	v_addc_co_u32_e64 v7, s[0:1], v1, v4, s[0:1]
	v_cmp_le_i32_e64 s[0:1], v0, v8
	s_and_b64 s[0:1], vcc, s[0:1]
	s_and_saveexec_b64 s[2:3], s[0:1]
	s_cbranch_execz .LBB794_13
; %bb.11:
	v_ashrrev_i32_e32 v1, 31, v0
	v_lshlrev_b64 v[3:4], 3, v[0:1]
	v_xor_b32_e32 v11, 0x80000000, v17
	v_add_co_u32_e64 v3, s[0:1], v6, v3
	v_addc_co_u32_e64 v4, s[0:1], v7, v4, s[0:1]
	v_xor_b32_e32 v12, 0x80000000, v16
	v_cmp_eq_u32_e64 s[0:1], v8, v0
	flat_store_dwordx2 v[3:4], v[11:12]
	s_and_b64 exec, exec, s[0:1]
	s_cbranch_execz .LBB794_13
; %bb.12:
	v_mov_b32_e32 v1, 0
	flat_store_dword v[3:4], v1 offset:4
.LBB794_13:
	s_or_b64 exec, exec, s[2:3]
	v_cmp_le_i32_e64 s[0:1], v2, v8
	s_and_b64 s[0:1], vcc, s[0:1]
	s_and_saveexec_b64 s[2:3], s[0:1]
	s_cbranch_execz .LBB794_16
; %bb.14:
	v_ashrrev_i32_e32 v3, 31, v2
	v_lshlrev_b64 v[1:2], 3, v[2:3]
	v_xor_b32_e32 v8, 0x80000000, v15
	v_add_co_u32_e32 v1, vcc, v6, v1
	v_addc_co_u32_e32 v2, vcc, v7, v2, vcc
	v_xor_b32_e32 v9, 0x80000000, v10
	v_cmp_eq_u32_e32 vcc, v5, v0
	flat_store_dwordx2 v[1:2], v[8:9]
	s_and_b64 exec, exec, vcc
	s_cbranch_execz .LBB794_16
; %bb.15:
	v_mov_b32_e32 v0, 0
	flat_store_dword v[1:2], v0 offset:4
.LBB794_16:
	s_endpgm
	.section	.rodata,"a",@progbits
	.p2align	6, 0x0
	.amdhsa_kernel _ZL37rocblas_syrkx_herkx_restricted_kernelIi19rocblas_complex_numIfELi16ELi32ELi8ELin1ELi0ELb1ELc67ELc85EKPKS1_KPS1_EviT_PT9_S7_lS9_S7_lPT10_S7_li
		.amdhsa_group_segment_fixed_size 4096
		.amdhsa_private_segment_fixed_size 0
		.amdhsa_kernarg_size 84
		.amdhsa_user_sgpr_count 6
		.amdhsa_user_sgpr_private_segment_buffer 1
		.amdhsa_user_sgpr_dispatch_ptr 0
		.amdhsa_user_sgpr_queue_ptr 0
		.amdhsa_user_sgpr_kernarg_segment_ptr 1
		.amdhsa_user_sgpr_dispatch_id 0
		.amdhsa_user_sgpr_flat_scratch_init 0
		.amdhsa_user_sgpr_private_segment_size 0
		.amdhsa_uses_dynamic_stack 0
		.amdhsa_system_sgpr_private_segment_wavefront_offset 0
		.amdhsa_system_sgpr_workgroup_id_x 1
		.amdhsa_system_sgpr_workgroup_id_y 1
		.amdhsa_system_sgpr_workgroup_id_z 1
		.amdhsa_system_sgpr_workgroup_info 0
		.amdhsa_system_vgpr_workitem_id 1
		.amdhsa_next_free_vgpr 41
		.amdhsa_next_free_sgpr 17
		.amdhsa_reserve_vcc 1
		.amdhsa_reserve_flat_scratch 0
		.amdhsa_float_round_mode_32 0
		.amdhsa_float_round_mode_16_64 0
		.amdhsa_float_denorm_mode_32 3
		.amdhsa_float_denorm_mode_16_64 3
		.amdhsa_dx10_clamp 1
		.amdhsa_ieee_mode 1
		.amdhsa_fp16_overflow 0
		.amdhsa_exception_fp_ieee_invalid_op 0
		.amdhsa_exception_fp_denorm_src 0
		.amdhsa_exception_fp_ieee_div_zero 0
		.amdhsa_exception_fp_ieee_overflow 0
		.amdhsa_exception_fp_ieee_underflow 0
		.amdhsa_exception_fp_ieee_inexact 0
		.amdhsa_exception_int_div_zero 0
	.end_amdhsa_kernel
	.section	.text._ZL37rocblas_syrkx_herkx_restricted_kernelIi19rocblas_complex_numIfELi16ELi32ELi8ELin1ELi0ELb1ELc67ELc85EKPKS1_KPS1_EviT_PT9_S7_lS9_S7_lPT10_S7_li,"axG",@progbits,_ZL37rocblas_syrkx_herkx_restricted_kernelIi19rocblas_complex_numIfELi16ELi32ELi8ELin1ELi0ELb1ELc67ELc85EKPKS1_KPS1_EviT_PT9_S7_lS9_S7_lPT10_S7_li,comdat
.Lfunc_end794:
	.size	_ZL37rocblas_syrkx_herkx_restricted_kernelIi19rocblas_complex_numIfELi16ELi32ELi8ELin1ELi0ELb1ELc67ELc85EKPKS1_KPS1_EviT_PT9_S7_lS9_S7_lPT10_S7_li, .Lfunc_end794-_ZL37rocblas_syrkx_herkx_restricted_kernelIi19rocblas_complex_numIfELi16ELi32ELi8ELin1ELi0ELb1ELc67ELc85EKPKS1_KPS1_EviT_PT9_S7_lS9_S7_lPT10_S7_li
                                        ; -- End function
	.set _ZL37rocblas_syrkx_herkx_restricted_kernelIi19rocblas_complex_numIfELi16ELi32ELi8ELin1ELi0ELb1ELc67ELc85EKPKS1_KPS1_EviT_PT9_S7_lS9_S7_lPT10_S7_li.num_vgpr, 41
	.set _ZL37rocblas_syrkx_herkx_restricted_kernelIi19rocblas_complex_numIfELi16ELi32ELi8ELin1ELi0ELb1ELc67ELc85EKPKS1_KPS1_EviT_PT9_S7_lS9_S7_lPT10_S7_li.num_agpr, 0
	.set _ZL37rocblas_syrkx_herkx_restricted_kernelIi19rocblas_complex_numIfELi16ELi32ELi8ELin1ELi0ELb1ELc67ELc85EKPKS1_KPS1_EviT_PT9_S7_lS9_S7_lPT10_S7_li.numbered_sgpr, 17
	.set _ZL37rocblas_syrkx_herkx_restricted_kernelIi19rocblas_complex_numIfELi16ELi32ELi8ELin1ELi0ELb1ELc67ELc85EKPKS1_KPS1_EviT_PT9_S7_lS9_S7_lPT10_S7_li.num_named_barrier, 0
	.set _ZL37rocblas_syrkx_herkx_restricted_kernelIi19rocblas_complex_numIfELi16ELi32ELi8ELin1ELi0ELb1ELc67ELc85EKPKS1_KPS1_EviT_PT9_S7_lS9_S7_lPT10_S7_li.private_seg_size, 0
	.set _ZL37rocblas_syrkx_herkx_restricted_kernelIi19rocblas_complex_numIfELi16ELi32ELi8ELin1ELi0ELb1ELc67ELc85EKPKS1_KPS1_EviT_PT9_S7_lS9_S7_lPT10_S7_li.uses_vcc, 1
	.set _ZL37rocblas_syrkx_herkx_restricted_kernelIi19rocblas_complex_numIfELi16ELi32ELi8ELin1ELi0ELb1ELc67ELc85EKPKS1_KPS1_EviT_PT9_S7_lS9_S7_lPT10_S7_li.uses_flat_scratch, 0
	.set _ZL37rocblas_syrkx_herkx_restricted_kernelIi19rocblas_complex_numIfELi16ELi32ELi8ELin1ELi0ELb1ELc67ELc85EKPKS1_KPS1_EviT_PT9_S7_lS9_S7_lPT10_S7_li.has_dyn_sized_stack, 0
	.set _ZL37rocblas_syrkx_herkx_restricted_kernelIi19rocblas_complex_numIfELi16ELi32ELi8ELin1ELi0ELb1ELc67ELc85EKPKS1_KPS1_EviT_PT9_S7_lS9_S7_lPT10_S7_li.has_recursion, 0
	.set _ZL37rocblas_syrkx_herkx_restricted_kernelIi19rocblas_complex_numIfELi16ELi32ELi8ELin1ELi0ELb1ELc67ELc85EKPKS1_KPS1_EviT_PT9_S7_lS9_S7_lPT10_S7_li.has_indirect_call, 0
	.section	.AMDGPU.csdata,"",@progbits
; Kernel info:
; codeLenInByte = 2004
; TotalNumSgprs: 21
; NumVgprs: 41
; ScratchSize: 0
; MemoryBound: 0
; FloatMode: 240
; IeeeMode: 1
; LDSByteSize: 4096 bytes/workgroup (compile time only)
; SGPRBlocks: 2
; VGPRBlocks: 10
; NumSGPRsForWavesPerEU: 21
; NumVGPRsForWavesPerEU: 41
; Occupancy: 5
; WaveLimiterHint : 1
; COMPUTE_PGM_RSRC2:SCRATCH_EN: 0
; COMPUTE_PGM_RSRC2:USER_SGPR: 6
; COMPUTE_PGM_RSRC2:TRAP_HANDLER: 0
; COMPUTE_PGM_RSRC2:TGID_X_EN: 1
; COMPUTE_PGM_RSRC2:TGID_Y_EN: 1
; COMPUTE_PGM_RSRC2:TGID_Z_EN: 1
; COMPUTE_PGM_RSRC2:TIDIG_COMP_CNT: 1
	.section	.text._ZL37rocblas_syrkx_herkx_restricted_kernelIi19rocblas_complex_numIfELi16ELi32ELi8ELin1ELi0ELb1ELc78ELc85EKPKS1_KPS1_EviT_PT9_S7_lS9_S7_lPT10_S7_li,"axG",@progbits,_ZL37rocblas_syrkx_herkx_restricted_kernelIi19rocblas_complex_numIfELi16ELi32ELi8ELin1ELi0ELb1ELc78ELc85EKPKS1_KPS1_EviT_PT9_S7_lS9_S7_lPT10_S7_li,comdat
	.globl	_ZL37rocblas_syrkx_herkx_restricted_kernelIi19rocblas_complex_numIfELi16ELi32ELi8ELin1ELi0ELb1ELc78ELc85EKPKS1_KPS1_EviT_PT9_S7_lS9_S7_lPT10_S7_li ; -- Begin function _ZL37rocblas_syrkx_herkx_restricted_kernelIi19rocblas_complex_numIfELi16ELi32ELi8ELin1ELi0ELb1ELc78ELc85EKPKS1_KPS1_EviT_PT9_S7_lS9_S7_lPT10_S7_li
	.p2align	8
	.type	_ZL37rocblas_syrkx_herkx_restricted_kernelIi19rocblas_complex_numIfELi16ELi32ELi8ELin1ELi0ELb1ELc78ELc85EKPKS1_KPS1_EviT_PT9_S7_lS9_S7_lPT10_S7_li,@function
_ZL37rocblas_syrkx_herkx_restricted_kernelIi19rocblas_complex_numIfELi16ELi32ELi8ELin1ELi0ELb1ELc78ELc85EKPKS1_KPS1_EviT_PT9_S7_lS9_S7_lPT10_S7_li: ; @_ZL37rocblas_syrkx_herkx_restricted_kernelIi19rocblas_complex_numIfELi16ELi32ELi8ELin1ELi0ELb1ELc78ELc85EKPKS1_KPS1_EviT_PT9_S7_lS9_S7_lPT10_S7_li
; %bb.0:
	s_load_dwordx2 s[10:11], s[4:5], 0x38
	s_load_dwordx2 s[2:3], s[4:5], 0x0
	s_mov_b32 s9, 0
	s_lshl_b64 s[0:1], s[8:9], 3
	s_waitcnt lgkmcnt(0)
	s_add_u32 s10, s10, s0
	s_addc_u32 s11, s11, s1
	s_load_dwordx2 s[10:11], s[10:11], 0x0
	s_lshl_b32 s8, s6, 5
	s_lshl_b32 s12, s7, 5
	s_cmp_lt_i32 s3, 1
	s_cbranch_scc1 .LBB795_3
; %bb.1:
	s_load_dword s6, s[4:5], 0x10
	s_load_dword s14, s[4:5], 0x28
	s_load_dwordx2 s[16:17], s[4:5], 0x20
	s_load_dwordx2 s[18:19], s[4:5], 0x8
	v_lshl_add_u32 v5, v1, 4, v0
	s_waitcnt lgkmcnt(0)
	s_ashr_i32 s7, s6, 31
	s_ashr_i32 s15, s14, 31
	v_lshrrev_b32_e32 v6, 3, v5
	s_add_u32 s18, s18, s0
	s_addc_u32 s19, s19, s1
	s_add_u32 s0, s16, s0
	v_add_u32_e32 v2, s12, v6
	s_addc_u32 s1, s17, s1
	v_and_b32_e32 v4, 7, v0
	v_ashrrev_i32_e32 v3, 31, v2
	s_load_dwordx2 s[16:17], s[0:1], 0x0
	v_mad_i64_i32 v[2:3], s[0:1], s14, v4, v[2:3]
	v_lshlrev_b32_e32 v4, 3, v4
	v_lshrrev_b32_e32 v7, 5, v5
	v_and_b32_e32 v5, 31, v5
	v_lshl_or_b32 v4, v6, 6, v4
	v_add_u32_e32 v11, 0x800, v4
	v_add_u32_e32 v4, s8, v5
	v_lshlrev_b32_e32 v8, 3, v5
	v_ashrrev_i32_e32 v5, 31, v4
	v_mad_i64_i32 v[4:5], s[0:1], s6, v7, v[4:5]
	s_load_dwordx2 s[18:19], s[18:19], 0x0
	v_mov_b32_e32 v6, 0x800
	v_lshlrev_b64 v[4:5], 3, v[4:5]
	v_lshl_or_b32 v10, v7, 8, v8
	v_lshl_add_u32 v13, v1, 6, v6
	s_waitcnt lgkmcnt(0)
	v_mov_b32_e32 v7, s19
	v_add_co_u32_e32 v6, vcc, s18, v4
	v_lshlrev_b64 v[2:3], 3, v[2:3]
	v_addc_co_u32_e32 v7, vcc, v7, v5, vcc
	s_lshl_b64 s[0:1], s[6:7], 6
	v_mov_b32_e32 v4, s17
	v_add_co_u32_e32 v8, vcc, s16, v2
	s_lshl_b64 s[6:7], s[14:15], 6
	v_lshlrev_b32_e32 v12, 3, v0
	v_addc_co_u32_e32 v9, vcc, v4, v3, vcc
	v_mov_b32_e32 v16, 0
	v_mov_b32_e32 v14, s1
	;; [unrolled: 1-line block ×10, first 2 shown]
.LBB795_2:                              ; =>This Inner Loop Header: Depth=1
	flat_load_dwordx2 v[2:3], v[6:7]
	v_add_co_u32_e32 v6, vcc, s0, v6
	v_addc_co_u32_e32 v7, vcc, v7, v14, vcc
	s_add_i32 s9, s9, 8
	s_cmp_ge_i32 s9, s3
	s_waitcnt vmcnt(0) lgkmcnt(0)
	ds_write_b64 v10, v[2:3]
	flat_load_dwordx2 v[2:3], v[8:9]
	v_add_co_u32_e32 v8, vcc, s6, v8
	v_addc_co_u32_e32 v9, vcc, v9, v15, vcc
	s_waitcnt vmcnt(0) lgkmcnt(0)
	v_xor_b32_e32 v3, 0x80000000, v3
	ds_write_b64 v11, v[2:3]
	s_waitcnt lgkmcnt(0)
	s_barrier
	ds_read_b128 v[24:27], v13
	ds_read_b128 v[28:31], v13 offset:16
	ds_read_b128 v[32:35], v13 offset:32
	;; [unrolled: 1-line block ×3, first 2 shown]
	ds_read2_b64 v[36:39], v12 offset1:16
	s_waitcnt lgkmcnt(0)
	v_mul_f32_e32 v40, v25, v37
	v_mul_f32_e32 v41, v24, v37
	v_fma_f32 v40, v24, v36, -v40
	v_fmac_f32_e32 v41, v25, v36
	v_add_f32_e32 v40, v22, v40
	v_add_f32_e32 v41, v23, v41
	v_mul_f32_e32 v22, v25, v39
	v_mul_f32_e32 v23, v24, v39
	v_fma_f32 v22, v24, v38, -v22
	v_fmac_f32_e32 v23, v25, v38
	v_add_f32_e32 v24, v21, v22
	v_add_f32_e32 v25, v20, v23
	ds_read_b128 v[20:23], v13 offset:1024
	s_waitcnt lgkmcnt(0)
	v_mul_f32_e32 v42, v21, v37
	v_mul_f32_e32 v37, v20, v37
	v_fma_f32 v42, v20, v36, -v42
	v_fmac_f32_e32 v37, v21, v36
	v_add_f32_e32 v36, v19, v42
	v_add_f32_e32 v37, v18, v37
	v_mul_f32_e32 v18, v21, v39
	v_mul_f32_e32 v19, v20, v39
	v_fma_f32 v18, v20, v38, -v18
	v_fmac_f32_e32 v19, v21, v38
	v_add_f32_e32 v20, v17, v18
	v_add_f32_e32 v21, v16, v19
	ds_read2_b64 v[16:19], v12 offset0:32 offset1:48
	s_waitcnt lgkmcnt(0)
	v_mul_f32_e32 v38, v27, v17
	v_fma_f32 v38, v26, v16, -v38
	v_add_f32_e32 v38, v40, v38
	v_mul_f32_e32 v40, v27, v19
	v_mul_f32_e32 v39, v26, v17
	v_fma_f32 v40, v26, v18, -v40
	v_mul_f32_e32 v26, v26, v19
	v_fmac_f32_e32 v26, v27, v18
	v_add_f32_e32 v25, v25, v26
	v_mul_f32_e32 v26, v23, v17
	v_mul_f32_e32 v17, v22, v17
	v_fmac_f32_e32 v17, v23, v16
	v_fmac_f32_e32 v39, v27, v16
	v_fma_f32 v26, v22, v16, -v26
	v_add_f32_e32 v27, v37, v17
	v_mul_f32_e32 v16, v23, v19
	v_mul_f32_e32 v17, v22, v19
	v_fma_f32 v16, v22, v18, -v16
	v_fmac_f32_e32 v17, v23, v18
	v_add_f32_e32 v26, v36, v26
	v_add_f32_e32 v36, v20, v16
	;; [unrolled: 1-line block ×3, first 2 shown]
	ds_read2_b64 v[16:19], v12 offset0:64 offset1:80
	v_add_f32_e32 v39, v41, v39
	v_add_f32_e32 v24, v24, v40
	s_waitcnt lgkmcnt(0)
	v_mul_f32_e32 v20, v29, v17
	v_mul_f32_e32 v21, v28, v17
	v_fma_f32 v20, v28, v16, -v20
	v_fmac_f32_e32 v21, v29, v16
	v_add_f32_e32 v38, v38, v20
	v_add_f32_e32 v39, v39, v21
	v_mul_f32_e32 v20, v29, v19
	v_mul_f32_e32 v21, v28, v19
	v_fma_f32 v20, v28, v18, -v20
	v_fmac_f32_e32 v21, v29, v18
	v_add_f32_e32 v24, v24, v20
	v_add_f32_e32 v25, v25, v21
	ds_read_b128 v[20:23], v13 offset:1040
	s_waitcnt lgkmcnt(0)
	v_mul_f32_e32 v28, v21, v17
	v_mul_f32_e32 v17, v20, v17
	v_fmac_f32_e32 v17, v21, v16
	v_fma_f32 v28, v20, v16, -v28
	v_add_f32_e32 v27, v27, v17
	v_mul_f32_e32 v16, v21, v19
	v_mul_f32_e32 v17, v20, v19
	v_fma_f32 v16, v20, v18, -v16
	v_fmac_f32_e32 v17, v21, v18
	v_add_f32_e32 v20, v36, v16
	v_add_f32_e32 v21, v37, v17
	ds_read2_b64 v[16:19], v12 offset0:96 offset1:112
	v_add_f32_e32 v26, v26, v28
	s_waitcnt lgkmcnt(0)
	v_mul_f32_e32 v28, v31, v17
	v_mul_f32_e32 v36, v31, v19
	v_fma_f32 v28, v30, v16, -v28
	v_mul_f32_e32 v29, v30, v17
	v_fma_f32 v36, v30, v18, -v36
	v_mul_f32_e32 v30, v30, v19
	v_fmac_f32_e32 v30, v31, v18
	v_add_f32_e32 v25, v25, v30
	v_mul_f32_e32 v30, v23, v17
	v_mul_f32_e32 v17, v22, v17
	v_fmac_f32_e32 v17, v23, v16
	v_fmac_f32_e32 v29, v31, v16
	v_fma_f32 v30, v22, v16, -v30
	v_add_f32_e32 v27, v27, v17
	v_mul_f32_e32 v16, v23, v19
	v_mul_f32_e32 v17, v22, v19
	v_fma_f32 v16, v22, v18, -v16
	v_fmac_f32_e32 v17, v23, v18
	v_add_f32_e32 v26, v26, v30
	v_add_f32_e32 v30, v20, v16
	;; [unrolled: 1-line block ×3, first 2 shown]
	ds_read2_b64 v[16:19], v12 offset0:128 offset1:144
	v_add_f32_e32 v28, v38, v28
	v_add_f32_e32 v29, v39, v29
	;; [unrolled: 1-line block ×3, first 2 shown]
	s_waitcnt lgkmcnt(0)
	v_mul_f32_e32 v20, v33, v17
	v_mul_f32_e32 v21, v32, v17
	v_fma_f32 v20, v32, v16, -v20
	v_fmac_f32_e32 v21, v33, v16
	v_add_f32_e32 v28, v28, v20
	v_add_f32_e32 v29, v29, v21
	v_mul_f32_e32 v20, v33, v19
	v_mul_f32_e32 v21, v32, v19
	v_fma_f32 v20, v32, v18, -v20
	v_fmac_f32_e32 v21, v33, v18
	v_add_f32_e32 v24, v24, v20
	v_add_f32_e32 v25, v25, v21
	ds_read_b128 v[20:23], v13 offset:1056
	s_waitcnt lgkmcnt(0)
	v_mul_f32_e32 v32, v21, v17
	v_mul_f32_e32 v17, v20, v17
	v_fmac_f32_e32 v17, v21, v16
	v_fma_f32 v32, v20, v16, -v32
	v_add_f32_e32 v27, v27, v17
	v_mul_f32_e32 v16, v21, v19
	v_mul_f32_e32 v17, v20, v19
	v_fma_f32 v16, v20, v18, -v16
	v_fmac_f32_e32 v17, v21, v18
	v_add_f32_e32 v20, v30, v16
	v_add_f32_e32 v21, v31, v17
	ds_read2_b64 v[16:19], v12 offset0:160 offset1:176
	v_add_f32_e32 v26, v26, v32
	s_waitcnt lgkmcnt(0)
	v_mul_f32_e32 v30, v35, v17
	v_fma_f32 v30, v34, v16, -v30
	v_add_f32_e32 v28, v28, v30
	v_mul_f32_e32 v30, v35, v19
	v_fma_f32 v30, v34, v18, -v30
	v_mul_f32_e32 v31, v34, v17
	v_add_f32_e32 v24, v24, v30
	v_mul_f32_e32 v30, v23, v17
	v_mul_f32_e32 v17, v22, v17
	v_fmac_f32_e32 v17, v23, v16
	v_fmac_f32_e32 v31, v35, v16
	v_fma_f32 v30, v22, v16, -v30
	v_add_f32_e32 v27, v27, v17
	v_mul_f32_e32 v16, v23, v19
	v_mul_f32_e32 v17, v22, v19
	v_add_f32_e32 v29, v29, v31
	v_mul_f32_e32 v31, v34, v19
	v_fma_f32 v16, v22, v18, -v16
	v_fmac_f32_e32 v17, v23, v18
	v_fmac_f32_e32 v31, v35, v18
	v_add_f32_e32 v20, v20, v16
	v_add_f32_e32 v21, v21, v17
	ds_read2_b64 v[16:19], v12 offset0:192 offset1:208
	v_add_f32_e32 v26, v26, v30
	v_add_f32_e32 v25, v25, v31
	s_waitcnt lgkmcnt(0)
	v_mul_f32_e32 v22, v3, v17
	v_fma_f32 v22, v2, v16, -v22
	v_add_f32_e32 v30, v28, v22
	v_mul_f32_e32 v22, v3, v19
	v_mul_f32_e32 v23, v2, v17
	v_fma_f32 v22, v2, v18, -v22
	v_mul_f32_e32 v2, v2, v19
	v_fmac_f32_e32 v23, v3, v16
	v_fmac_f32_e32 v2, v3, v18
	v_add_f32_e32 v31, v29, v23
	v_add_f32_e32 v3, v24, v22
	;; [unrolled: 1-line block ×3, first 2 shown]
	ds_read_b128 v[22:25], v13 offset:1072
	s_waitcnt lgkmcnt(0)
	v_mul_f32_e32 v28, v23, v17
	v_fma_f32 v28, v22, v16, -v28
	v_mul_f32_e32 v17, v22, v17
	v_fmac_f32_e32 v17, v23, v16
	v_add_f32_e32 v16, v26, v28
	v_mul_f32_e32 v26, v23, v19
	v_fma_f32 v26, v22, v18, -v26
	v_add_f32_e32 v17, v27, v17
	v_add_f32_e32 v32, v20, v26
	ds_read2_b64 v[26:29], v12 offset0:224 offset1:240
	v_mul_f32_e32 v19, v22, v19
	v_fmac_f32_e32 v19, v23, v18
	v_add_f32_e32 v33, v21, v19
	s_waitcnt lgkmcnt(0)
	v_mul_f32_e32 v18, v5, v27
	v_fma_f32 v18, v4, v26, -v18
	v_add_f32_e32 v22, v30, v18
	v_mul_f32_e32 v18, v5, v29
	v_mul_f32_e32 v19, v4, v27
	v_fma_f32 v18, v4, v28, -v18
	v_mul_f32_e32 v4, v4, v29
	v_fmac_f32_e32 v4, v5, v28
	v_add_f32_e32 v21, v3, v18
	v_add_f32_e32 v20, v2, v4
	v_mul_f32_e32 v2, v25, v27
	v_mul_f32_e32 v3, v24, v27
	v_fmac_f32_e32 v19, v5, v26
	v_fma_f32 v2, v24, v26, -v2
	v_fmac_f32_e32 v3, v25, v26
	v_add_f32_e32 v23, v31, v19
	v_add_f32_e32 v19, v16, v2
	;; [unrolled: 1-line block ×3, first 2 shown]
	v_mul_f32_e32 v2, v25, v29
	v_mul_f32_e32 v3, v24, v29
	v_fma_f32 v2, v24, v28, -v2
	v_fmac_f32_e32 v3, v25, v28
	v_add_f32_e32 v17, v32, v2
	v_add_f32_e32 v16, v33, v3
	s_barrier
	s_cbranch_scc0 .LBB795_2
	s_branch .LBB795_4
.LBB795_3:
	v_mov_b32_e32 v22, 0
	v_mov_b32_e32 v23, 0
	;; [unrolled: 1-line block ×8, first 2 shown]
.LBB795_4:
	s_load_dword s3, s[4:5], 0x40
	v_add_u32_e32 v5, s12, v1
	s_waitcnt lgkmcnt(0)
	v_mov_b32_e32 v3, s11
	v_add_u32_e32 v0, s8, v0
	v_cmp_gt_i32_e32 vcc, s2, v5
	v_mad_i64_i32 v[1:2], s[0:1], v5, s3, 0
	v_lshlrev_b64 v[1:2], 3, v[1:2]
	v_add_co_u32_e64 v4, s[0:1], s10, v1
	v_addc_co_u32_e64 v6, s[0:1], v3, v2, s[0:1]
	v_cmp_le_i32_e64 s[0:1], v0, v5
	s_and_b64 s[0:1], vcc, s[0:1]
	s_and_saveexec_b64 s[4:5], s[0:1]
	s_cbranch_execz .LBB795_7
; %bb.5:
	v_ashrrev_i32_e32 v1, 31, v0
	v_lshlrev_b64 v[1:2], 3, v[0:1]
	v_xor_b32_e32 v7, 0x80000000, v22
	v_add_co_u32_e64 v1, s[0:1], v4, v1
	v_addc_co_u32_e64 v2, s[0:1], v6, v2, s[0:1]
	v_xor_b32_e32 v8, 0x80000000, v23
	v_cmp_eq_u32_e64 s[0:1], v5, v0
	flat_store_dwordx2 v[1:2], v[7:8]
	s_and_b64 exec, exec, s[0:1]
	s_cbranch_execz .LBB795_7
; %bb.6:
	v_mov_b32_e32 v3, 0
	flat_store_dword v[1:2], v3 offset:4
.LBB795_7:
	s_or_b64 exec, exec, s[4:5]
	v_add_u32_e32 v2, 16, v0
	v_cmp_le_i32_e64 s[0:1], v2, v5
	s_and_b64 s[4:5], vcc, s[0:1]
	s_and_saveexec_b64 s[0:1], s[4:5]
	s_cbranch_execz .LBB795_10
; %bb.8:
	v_ashrrev_i32_e32 v3, 31, v2
	v_lshlrev_b64 v[9:10], 3, v[2:3]
	v_xor_b32_e32 v7, 0x80000000, v21
	v_add_co_u32_e32 v3, vcc, v4, v9
	v_addc_co_u32_e32 v4, vcc, v6, v10, vcc
	v_xor_b32_e32 v8, 0x80000000, v20
	v_cmp_eq_u32_e32 vcc, v5, v2
	flat_store_dwordx2 v[3:4], v[7:8]
	s_and_b64 exec, exec, vcc
	s_cbranch_execz .LBB795_10
; %bb.9:
	v_mov_b32_e32 v1, 0
	flat_store_dword v[3:4], v1 offset:4
.LBB795_10:
	s_or_b64 exec, exec, s[0:1]
	v_add_u32_e32 v8, 16, v5
	v_mad_i64_i32 v[3:4], s[0:1], v8, s3, 0
	v_mov_b32_e32 v1, s11
	v_cmp_gt_i32_e32 vcc, s2, v8
	v_lshlrev_b64 v[3:4], 3, v[3:4]
	v_add_co_u32_e64 v6, s[0:1], s10, v3
	v_addc_co_u32_e64 v7, s[0:1], v1, v4, s[0:1]
	v_cmp_le_i32_e64 s[0:1], v0, v8
	s_and_b64 s[0:1], vcc, s[0:1]
	s_and_saveexec_b64 s[2:3], s[0:1]
	s_cbranch_execz .LBB795_13
; %bb.11:
	v_ashrrev_i32_e32 v1, 31, v0
	v_lshlrev_b64 v[3:4], 3, v[0:1]
	v_xor_b32_e32 v9, 0x80000000, v19
	v_add_co_u32_e64 v3, s[0:1], v6, v3
	v_addc_co_u32_e64 v4, s[0:1], v7, v4, s[0:1]
	v_xor_b32_e32 v10, 0x80000000, v18
	v_cmp_eq_u32_e64 s[0:1], v8, v0
	flat_store_dwordx2 v[3:4], v[9:10]
	s_and_b64 exec, exec, s[0:1]
	s_cbranch_execz .LBB795_13
; %bb.12:
	v_mov_b32_e32 v1, 0
	flat_store_dword v[3:4], v1 offset:4
.LBB795_13:
	s_or_b64 exec, exec, s[2:3]
	v_cmp_le_i32_e64 s[0:1], v2, v8
	s_and_b64 s[0:1], vcc, s[0:1]
	s_and_saveexec_b64 s[2:3], s[0:1]
	s_cbranch_execz .LBB795_16
; %bb.14:
	v_ashrrev_i32_e32 v3, 31, v2
	v_lshlrev_b64 v[1:2], 3, v[2:3]
	v_xor_b32_e32 v8, 0x80000000, v17
	v_add_co_u32_e32 v1, vcc, v6, v1
	v_addc_co_u32_e32 v2, vcc, v7, v2, vcc
	v_xor_b32_e32 v9, 0x80000000, v16
	v_cmp_eq_u32_e32 vcc, v5, v0
	flat_store_dwordx2 v[1:2], v[8:9]
	s_and_b64 exec, exec, vcc
	s_cbranch_execz .LBB795_16
; %bb.15:
	v_mov_b32_e32 v0, 0
	flat_store_dword v[1:2], v0 offset:4
.LBB795_16:
	s_endpgm
	.section	.rodata,"a",@progbits
	.p2align	6, 0x0
	.amdhsa_kernel _ZL37rocblas_syrkx_herkx_restricted_kernelIi19rocblas_complex_numIfELi16ELi32ELi8ELin1ELi0ELb1ELc78ELc85EKPKS1_KPS1_EviT_PT9_S7_lS9_S7_lPT10_S7_li
		.amdhsa_group_segment_fixed_size 4096
		.amdhsa_private_segment_fixed_size 0
		.amdhsa_kernarg_size 84
		.amdhsa_user_sgpr_count 6
		.amdhsa_user_sgpr_private_segment_buffer 1
		.amdhsa_user_sgpr_dispatch_ptr 0
		.amdhsa_user_sgpr_queue_ptr 0
		.amdhsa_user_sgpr_kernarg_segment_ptr 1
		.amdhsa_user_sgpr_dispatch_id 0
		.amdhsa_user_sgpr_flat_scratch_init 0
		.amdhsa_user_sgpr_private_segment_size 0
		.amdhsa_uses_dynamic_stack 0
		.amdhsa_system_sgpr_private_segment_wavefront_offset 0
		.amdhsa_system_sgpr_workgroup_id_x 1
		.amdhsa_system_sgpr_workgroup_id_y 1
		.amdhsa_system_sgpr_workgroup_id_z 1
		.amdhsa_system_sgpr_workgroup_info 0
		.amdhsa_system_vgpr_workitem_id 1
		.amdhsa_next_free_vgpr 43
		.amdhsa_next_free_sgpr 20
		.amdhsa_reserve_vcc 1
		.amdhsa_reserve_flat_scratch 0
		.amdhsa_float_round_mode_32 0
		.amdhsa_float_round_mode_16_64 0
		.amdhsa_float_denorm_mode_32 3
		.amdhsa_float_denorm_mode_16_64 3
		.amdhsa_dx10_clamp 1
		.amdhsa_ieee_mode 1
		.amdhsa_fp16_overflow 0
		.amdhsa_exception_fp_ieee_invalid_op 0
		.amdhsa_exception_fp_denorm_src 0
		.amdhsa_exception_fp_ieee_div_zero 0
		.amdhsa_exception_fp_ieee_overflow 0
		.amdhsa_exception_fp_ieee_underflow 0
		.amdhsa_exception_fp_ieee_inexact 0
		.amdhsa_exception_int_div_zero 0
	.end_amdhsa_kernel
	.section	.text._ZL37rocblas_syrkx_herkx_restricted_kernelIi19rocblas_complex_numIfELi16ELi32ELi8ELin1ELi0ELb1ELc78ELc85EKPKS1_KPS1_EviT_PT9_S7_lS9_S7_lPT10_S7_li,"axG",@progbits,_ZL37rocblas_syrkx_herkx_restricted_kernelIi19rocblas_complex_numIfELi16ELi32ELi8ELin1ELi0ELb1ELc78ELc85EKPKS1_KPS1_EviT_PT9_S7_lS9_S7_lPT10_S7_li,comdat
.Lfunc_end795:
	.size	_ZL37rocblas_syrkx_herkx_restricted_kernelIi19rocblas_complex_numIfELi16ELi32ELi8ELin1ELi0ELb1ELc78ELc85EKPKS1_KPS1_EviT_PT9_S7_lS9_S7_lPT10_S7_li, .Lfunc_end795-_ZL37rocblas_syrkx_herkx_restricted_kernelIi19rocblas_complex_numIfELi16ELi32ELi8ELin1ELi0ELb1ELc78ELc85EKPKS1_KPS1_EviT_PT9_S7_lS9_S7_lPT10_S7_li
                                        ; -- End function
	.set _ZL37rocblas_syrkx_herkx_restricted_kernelIi19rocblas_complex_numIfELi16ELi32ELi8ELin1ELi0ELb1ELc78ELc85EKPKS1_KPS1_EviT_PT9_S7_lS9_S7_lPT10_S7_li.num_vgpr, 43
	.set _ZL37rocblas_syrkx_herkx_restricted_kernelIi19rocblas_complex_numIfELi16ELi32ELi8ELin1ELi0ELb1ELc78ELc85EKPKS1_KPS1_EviT_PT9_S7_lS9_S7_lPT10_S7_li.num_agpr, 0
	.set _ZL37rocblas_syrkx_herkx_restricted_kernelIi19rocblas_complex_numIfELi16ELi32ELi8ELin1ELi0ELb1ELc78ELc85EKPKS1_KPS1_EviT_PT9_S7_lS9_S7_lPT10_S7_li.numbered_sgpr, 20
	.set _ZL37rocblas_syrkx_herkx_restricted_kernelIi19rocblas_complex_numIfELi16ELi32ELi8ELin1ELi0ELb1ELc78ELc85EKPKS1_KPS1_EviT_PT9_S7_lS9_S7_lPT10_S7_li.num_named_barrier, 0
	.set _ZL37rocblas_syrkx_herkx_restricted_kernelIi19rocblas_complex_numIfELi16ELi32ELi8ELin1ELi0ELb1ELc78ELc85EKPKS1_KPS1_EviT_PT9_S7_lS9_S7_lPT10_S7_li.private_seg_size, 0
	.set _ZL37rocblas_syrkx_herkx_restricted_kernelIi19rocblas_complex_numIfELi16ELi32ELi8ELin1ELi0ELb1ELc78ELc85EKPKS1_KPS1_EviT_PT9_S7_lS9_S7_lPT10_S7_li.uses_vcc, 1
	.set _ZL37rocblas_syrkx_herkx_restricted_kernelIi19rocblas_complex_numIfELi16ELi32ELi8ELin1ELi0ELb1ELc78ELc85EKPKS1_KPS1_EviT_PT9_S7_lS9_S7_lPT10_S7_li.uses_flat_scratch, 0
	.set _ZL37rocblas_syrkx_herkx_restricted_kernelIi19rocblas_complex_numIfELi16ELi32ELi8ELin1ELi0ELb1ELc78ELc85EKPKS1_KPS1_EviT_PT9_S7_lS9_S7_lPT10_S7_li.has_dyn_sized_stack, 0
	.set _ZL37rocblas_syrkx_herkx_restricted_kernelIi19rocblas_complex_numIfELi16ELi32ELi8ELin1ELi0ELb1ELc78ELc85EKPKS1_KPS1_EviT_PT9_S7_lS9_S7_lPT10_S7_li.has_recursion, 0
	.set _ZL37rocblas_syrkx_herkx_restricted_kernelIi19rocblas_complex_numIfELi16ELi32ELi8ELin1ELi0ELb1ELc78ELc85EKPKS1_KPS1_EviT_PT9_S7_lS9_S7_lPT10_S7_li.has_indirect_call, 0
	.section	.AMDGPU.csdata,"",@progbits
; Kernel info:
; codeLenInByte = 2032
; TotalNumSgprs: 24
; NumVgprs: 43
; ScratchSize: 0
; MemoryBound: 0
; FloatMode: 240
; IeeeMode: 1
; LDSByteSize: 4096 bytes/workgroup (compile time only)
; SGPRBlocks: 2
; VGPRBlocks: 10
; NumSGPRsForWavesPerEU: 24
; NumVGPRsForWavesPerEU: 43
; Occupancy: 5
; WaveLimiterHint : 1
; COMPUTE_PGM_RSRC2:SCRATCH_EN: 0
; COMPUTE_PGM_RSRC2:USER_SGPR: 6
; COMPUTE_PGM_RSRC2:TRAP_HANDLER: 0
; COMPUTE_PGM_RSRC2:TGID_X_EN: 1
; COMPUTE_PGM_RSRC2:TGID_Y_EN: 1
; COMPUTE_PGM_RSRC2:TGID_Z_EN: 1
; COMPUTE_PGM_RSRC2:TIDIG_COMP_CNT: 1
	.section	.text._ZL37rocblas_syrkx_herkx_restricted_kernelIi19rocblas_complex_numIfELi16ELi32ELi8ELb1ELb1ELc84ELc76EKPKS1_KPS1_EviT_T0_PT8_S7_lSA_S7_lS8_PT9_S7_li,"axG",@progbits,_ZL37rocblas_syrkx_herkx_restricted_kernelIi19rocblas_complex_numIfELi16ELi32ELi8ELb1ELb1ELc84ELc76EKPKS1_KPS1_EviT_T0_PT8_S7_lSA_S7_lS8_PT9_S7_li,comdat
	.globl	_ZL37rocblas_syrkx_herkx_restricted_kernelIi19rocblas_complex_numIfELi16ELi32ELi8ELb1ELb1ELc84ELc76EKPKS1_KPS1_EviT_T0_PT8_S7_lSA_S7_lS8_PT9_S7_li ; -- Begin function _ZL37rocblas_syrkx_herkx_restricted_kernelIi19rocblas_complex_numIfELi16ELi32ELi8ELb1ELb1ELc84ELc76EKPKS1_KPS1_EviT_T0_PT8_S7_lSA_S7_lS8_PT9_S7_li
	.p2align	8
	.type	_ZL37rocblas_syrkx_herkx_restricted_kernelIi19rocblas_complex_numIfELi16ELi32ELi8ELb1ELb1ELc84ELc76EKPKS1_KPS1_EviT_T0_PT8_S7_lSA_S7_lS8_PT9_S7_li,@function
_ZL37rocblas_syrkx_herkx_restricted_kernelIi19rocblas_complex_numIfELi16ELi32ELi8ELb1ELb1ELc84ELc76EKPKS1_KPS1_EviT_T0_PT8_S7_lSA_S7_lS8_PT9_S7_li: ; @_ZL37rocblas_syrkx_herkx_restricted_kernelIi19rocblas_complex_numIfELi16ELi32ELi8ELb1ELb1ELc84ELc76EKPKS1_KPS1_EviT_T0_PT8_S7_lSA_S7_lS8_PT9_S7_li
; %bb.0:
	s_load_dwordx2 s[2:3], s[4:5], 0x48
	s_load_dwordx2 s[16:17], s[4:5], 0x0
	s_load_dwordx4 s[12:15], s[4:5], 0x8
	s_mov_b32 s9, 0
	s_lshl_b64 s[0:1], s[8:9], 3
	s_waitcnt lgkmcnt(0)
	s_add_u32 s2, s2, s0
	s_addc_u32 s3, s3, s1
	s_load_dwordx2 s[10:11], s[2:3], 0x0
	s_lshl_b32 s2, s6, 5
	s_lshl_b32 s3, s7, 5
	s_cmp_lt_i32 s17, 1
	s_cbranch_scc1 .LBB796_3
; %bb.1:
	s_load_dword s8, s[4:5], 0x18
	s_load_dwordx2 s[6:7], s[4:5], 0x28
	s_load_dword s18, s[4:5], 0x30
	v_lshl_add_u32 v3, v1, 4, v0
	v_and_b32_e32 v7, 31, v3
	s_add_u32 s14, s14, s0
	v_lshrrev_b32_e32 v2, 5, v3
	v_and_b32_e32 v9, 7, v0
	v_lshlrev_b32_e32 v8, 3, v7
	s_addc_u32 s15, s15, s1
	v_lshrrev_b32_e32 v6, 3, v3
	v_lshl_or_b32 v11, v2, 8, v8
	v_lshlrev_b32_e32 v8, 3, v9
	s_waitcnt lgkmcnt(0)
	s_add_u32 s0, s6, s0
	v_add_u32_e32 v3, s3, v6
	v_mov_b32_e32 v10, 0
	v_lshl_or_b32 v6, v6, 6, v8
	s_addc_u32 s1, s7, s1
	v_mad_i64_i32 v[4:5], s[6:7], s18, v3, v[9:10]
	v_mov_b32_e32 v3, v10
	v_add_u32_e32 v12, 0x800, v6
	v_add_u32_e32 v6, s2, v7
	v_mad_i64_i32 v[2:3], s[6:7], s8, v6, v[2:3]
	s_load_dwordx2 s[14:15], s[14:15], 0x0
	v_mov_b32_e32 v6, 0x800
	s_load_dwordx2 s[0:1], s[0:1], 0x0
	v_lshlrev_b64 v[2:3], 3, v[2:3]
	v_lshl_add_u32 v14, v1, 6, v6
	s_waitcnt lgkmcnt(0)
	v_mov_b32_e32 v7, s15
	v_add_co_u32_e32 v6, vcc, s14, v2
	v_addc_co_u32_e32 v7, vcc, v7, v3, vcc
	v_lshlrev_b64 v[2:3], 3, v[4:5]
	v_mov_b32_e32 v4, s1
	v_add_co_u32_e32 v8, vcc, s0, v2
	v_lshlrev_b32_e32 v13, 3, v0
	v_addc_co_u32_e32 v9, vcc, v4, v3, vcc
	v_mov_b32_e32 v15, v10
	v_mov_b32_e32 v17, v10
	;; [unrolled: 1-line block ×7, first 2 shown]
.LBB796_2:                              ; =>This Inner Loop Header: Depth=1
	flat_load_dwordx2 v[2:3], v[6:7]
	v_add_co_u32_e32 v6, vcc, 64, v6
	v_addc_co_u32_e32 v7, vcc, 0, v7, vcc
	s_add_i32 s9, s9, 8
	s_cmp_ge_i32 s9, s17
	s_waitcnt vmcnt(0) lgkmcnt(0)
	ds_write_b64 v11, v[2:3]
	flat_load_dwordx2 v[2:3], v[8:9]
	v_add_co_u32_e32 v8, vcc, 64, v8
	v_addc_co_u32_e32 v9, vcc, 0, v9, vcc
	s_waitcnt vmcnt(0) lgkmcnt(0)
	ds_write_b64 v12, v[2:3]
	s_waitcnt lgkmcnt(0)
	s_barrier
	ds_read_b128 v[22:25], v14
	ds_read_b128 v[26:29], v14 offset:16
	ds_read_b128 v[30:33], v14 offset:32
	;; [unrolled: 1-line block ×3, first 2 shown]
	ds_read2_b64 v[34:37], v13 offset1:16
	s_waitcnt lgkmcnt(0)
	v_mul_f32_e32 v38, v23, v35
	v_mul_f32_e32 v39, v22, v35
	v_fma_f32 v38, v22, v34, -v38
	v_fmac_f32_e32 v39, v23, v34
	v_add_f32_e32 v38, v20, v38
	v_add_f32_e32 v39, v21, v39
	v_mul_f32_e32 v20, v23, v37
	v_mul_f32_e32 v21, v22, v37
	v_fma_f32 v20, v22, v36, -v20
	v_fmac_f32_e32 v21, v23, v36
	v_add_f32_e32 v22, v18, v20
	v_add_f32_e32 v23, v19, v21
	ds_read_b128 v[18:21], v14 offset:1024
	s_waitcnt lgkmcnt(0)
	v_mul_f32_e32 v40, v19, v35
	v_mul_f32_e32 v35, v18, v35
	v_fma_f32 v40, v18, v34, -v40
	v_fmac_f32_e32 v35, v19, v34
	v_add_f32_e32 v34, v16, v40
	v_add_f32_e32 v35, v17, v35
	v_mul_f32_e32 v16, v19, v37
	v_mul_f32_e32 v17, v18, v37
	v_fma_f32 v16, v18, v36, -v16
	v_fmac_f32_e32 v17, v19, v36
	v_add_f32_e32 v19, v15, v16
	v_add_f32_e32 v10, v10, v17
	ds_read2_b64 v[15:18], v13 offset0:32 offset1:48
	s_waitcnt lgkmcnt(0)
	v_mul_f32_e32 v36, v25, v16
	v_fma_f32 v36, v24, v15, -v36
	v_add_f32_e32 v36, v38, v36
	v_mul_f32_e32 v38, v25, v18
	v_mul_f32_e32 v37, v24, v16
	v_fma_f32 v38, v24, v17, -v38
	v_mul_f32_e32 v24, v24, v18
	v_fmac_f32_e32 v24, v25, v17
	v_add_f32_e32 v23, v23, v24
	v_mul_f32_e32 v24, v21, v16
	v_mul_f32_e32 v16, v20, v16
	v_fmac_f32_e32 v16, v21, v15
	v_fmac_f32_e32 v37, v25, v15
	v_fma_f32 v24, v20, v15, -v24
	v_add_f32_e32 v25, v35, v16
	v_mul_f32_e32 v15, v21, v18
	v_mul_f32_e32 v16, v20, v18
	v_fma_f32 v15, v20, v17, -v15
	v_fmac_f32_e32 v16, v21, v17
	v_add_f32_e32 v24, v34, v24
	v_add_f32_e32 v34, v19, v15
	;; [unrolled: 1-line block ×3, first 2 shown]
	ds_read2_b64 v[15:18], v13 offset0:64 offset1:80
	v_add_f32_e32 v37, v39, v37
	v_add_f32_e32 v22, v22, v38
	s_waitcnt lgkmcnt(0)
	v_mul_f32_e32 v19, v27, v16
	v_mul_f32_e32 v20, v26, v16
	v_fma_f32 v19, v26, v15, -v19
	v_fmac_f32_e32 v20, v27, v15
	v_add_f32_e32 v35, v36, v19
	v_add_f32_e32 v36, v37, v20
	v_mul_f32_e32 v19, v27, v18
	v_mul_f32_e32 v20, v26, v18
	v_fma_f32 v19, v26, v17, -v19
	v_fmac_f32_e32 v20, v27, v17
	v_add_f32_e32 v26, v22, v19
	v_add_f32_e32 v23, v23, v20
	ds_read_b128 v[19:22], v14 offset:1040
	s_waitcnt lgkmcnt(0)
	v_mul_f32_e32 v27, v20, v16
	v_mul_f32_e32 v16, v19, v16
	v_fmac_f32_e32 v16, v20, v15
	v_fma_f32 v27, v19, v15, -v27
	v_add_f32_e32 v25, v25, v16
	v_mul_f32_e32 v15, v20, v18
	v_mul_f32_e32 v16, v19, v18
	v_fma_f32 v15, v19, v17, -v15
	v_fmac_f32_e32 v16, v20, v17
	v_add_f32_e32 v19, v34, v15
	v_add_f32_e32 v10, v10, v16
	ds_read2_b64 v[15:18], v13 offset0:96 offset1:112
	v_add_f32_e32 v24, v24, v27
	s_waitcnt lgkmcnt(0)
	v_mul_f32_e32 v20, v29, v16
	v_mul_f32_e32 v34, v29, v18
	v_fma_f32 v20, v28, v15, -v20
	v_mul_f32_e32 v27, v28, v16
	v_fma_f32 v34, v28, v17, -v34
	v_mul_f32_e32 v28, v28, v18
	v_fmac_f32_e32 v28, v29, v17
	v_add_f32_e32 v23, v23, v28
	v_mul_f32_e32 v28, v22, v16
	v_mul_f32_e32 v16, v21, v16
	v_fmac_f32_e32 v16, v22, v15
	v_fmac_f32_e32 v27, v29, v15
	v_fma_f32 v28, v21, v15, -v28
	v_add_f32_e32 v25, v25, v16
	v_mul_f32_e32 v15, v22, v18
	v_mul_f32_e32 v16, v21, v18
	v_fma_f32 v15, v21, v17, -v15
	v_fmac_f32_e32 v16, v22, v17
	v_add_f32_e32 v24, v24, v28
	v_add_f32_e32 v28, v19, v15
	;; [unrolled: 1-line block ×3, first 2 shown]
	ds_read2_b64 v[15:18], v13 offset0:128 offset1:144
	v_add_f32_e32 v20, v35, v20
	v_add_f32_e32 v27, v36, v27
	;; [unrolled: 1-line block ×3, first 2 shown]
	s_waitcnt lgkmcnt(0)
	v_mul_f32_e32 v19, v31, v16
	v_fma_f32 v19, v30, v15, -v19
	v_mul_f32_e32 v21, v30, v16
	v_add_f32_e32 v29, v20, v19
	v_mul_f32_e32 v19, v31, v18
	v_mul_f32_e32 v20, v30, v18
	v_fmac_f32_e32 v21, v31, v15
	v_fma_f32 v19, v30, v17, -v19
	v_fmac_f32_e32 v20, v31, v17
	v_add_f32_e32 v27, v27, v21
	v_add_f32_e32 v26, v26, v19
	v_add_f32_e32 v23, v23, v20
	ds_read_b128 v[19:22], v14 offset:1056
	s_waitcnt lgkmcnt(0)
	v_mul_f32_e32 v30, v20, v16
	v_mul_f32_e32 v16, v19, v16
	v_fmac_f32_e32 v16, v20, v15
	v_fma_f32 v30, v19, v15, -v30
	v_add_f32_e32 v25, v25, v16
	v_mul_f32_e32 v15, v20, v18
	v_mul_f32_e32 v16, v19, v18
	v_fma_f32 v15, v19, v17, -v15
	v_fmac_f32_e32 v16, v20, v17
	v_add_f32_e32 v19, v28, v15
	v_add_f32_e32 v10, v10, v16
	ds_read2_b64 v[15:18], v13 offset0:160 offset1:176
	v_add_f32_e32 v24, v24, v30
	s_waitcnt lgkmcnt(0)
	v_mul_f32_e32 v28, v32, v16
	v_fmac_f32_e32 v28, v33, v15
	v_add_f32_e32 v27, v27, v28
	v_mul_f32_e32 v28, v33, v18
	v_fma_f32 v28, v32, v17, -v28
	v_mul_f32_e32 v20, v33, v16
	v_add_f32_e32 v26, v26, v28
	v_mul_f32_e32 v28, v22, v16
	v_mul_f32_e32 v16, v21, v16
	v_fmac_f32_e32 v16, v22, v15
	v_fma_f32 v20, v32, v15, -v20
	v_fma_f32 v28, v21, v15, -v28
	v_add_f32_e32 v25, v25, v16
	v_mul_f32_e32 v15, v22, v18
	v_mul_f32_e32 v16, v21, v18
	v_add_f32_e32 v20, v29, v20
	v_mul_f32_e32 v29, v32, v18
	v_fma_f32 v15, v21, v17, -v15
	v_fmac_f32_e32 v16, v22, v17
	v_fmac_f32_e32 v29, v33, v17
	v_add_f32_e32 v19, v19, v15
	v_add_f32_e32 v10, v10, v16
	ds_read2_b64 v[15:18], v13 offset0:192 offset1:208
	v_add_f32_e32 v24, v24, v28
	v_add_f32_e32 v23, v23, v29
	s_waitcnt lgkmcnt(0)
	v_mul_f32_e32 v21, v3, v16
	v_fma_f32 v21, v2, v15, -v21
	v_add_f32_e32 v28, v20, v21
	v_mul_f32_e32 v20, v3, v18
	v_mul_f32_e32 v22, v2, v16
	v_fma_f32 v20, v2, v17, -v20
	v_mul_f32_e32 v2, v2, v18
	v_fmac_f32_e32 v22, v3, v15
	v_fmac_f32_e32 v2, v3, v17
	v_add_f32_e32 v29, v27, v22
	v_add_f32_e32 v3, v26, v20
	v_add_f32_e32 v2, v23, v2
	ds_read_b128 v[20:23], v14 offset:1072
	s_waitcnt lgkmcnt(0)
	v_mul_f32_e32 v26, v21, v16
	v_mul_f32_e32 v16, v20, v16
	v_fma_f32 v26, v20, v15, -v26
	v_fmac_f32_e32 v16, v21, v15
	v_add_f32_e32 v15, v24, v26
	v_add_f32_e32 v30, v25, v16
	ds_read2_b64 v[24:27], v13 offset0:224 offset1:240
	v_mul_f32_e32 v16, v21, v18
	v_fma_f32 v16, v20, v17, -v16
	v_add_f32_e32 v31, v19, v16
	v_mul_f32_e32 v18, v20, v18
	s_waitcnt lgkmcnt(0)
	v_mul_f32_e32 v16, v5, v25
	v_fma_f32 v16, v4, v24, -v16
	v_add_f32_e32 v20, v28, v16
	v_mul_f32_e32 v16, v5, v27
	v_fmac_f32_e32 v18, v21, v17
	v_mul_f32_e32 v17, v4, v25
	v_fma_f32 v16, v4, v26, -v16
	v_mul_f32_e32 v4, v4, v27
	v_fmac_f32_e32 v4, v5, v26
	v_add_f32_e32 v10, v10, v18
	v_add_f32_e32 v18, v3, v16
	;; [unrolled: 1-line block ×3, first 2 shown]
	v_mul_f32_e32 v2, v23, v25
	v_mul_f32_e32 v3, v22, v25
	v_fmac_f32_e32 v17, v5, v24
	v_fma_f32 v2, v22, v24, -v2
	v_fmac_f32_e32 v3, v23, v24
	v_add_f32_e32 v21, v29, v17
	v_add_f32_e32 v16, v15, v2
	;; [unrolled: 1-line block ×3, first 2 shown]
	v_mul_f32_e32 v2, v23, v27
	v_mul_f32_e32 v3, v22, v27
	v_fma_f32 v2, v22, v26, -v2
	v_fmac_f32_e32 v3, v23, v26
	v_add_f32_e32 v15, v31, v2
	v_add_f32_e32 v10, v10, v3
	s_barrier
	s_cbranch_scc0 .LBB796_2
	s_branch .LBB796_4
.LBB796_3:
	v_mov_b32_e32 v20, 0
	v_mov_b32_e32 v21, 0
	;; [unrolled: 1-line block ×8, first 2 shown]
.LBB796_4:
	s_load_dword s6, s[4:5], 0x50
	v_add_u32_e32 v5, s3, v1
	s_waitcnt lgkmcnt(0)
	v_mov_b32_e32 v3, s11
	v_add_u32_e32 v0, s2, v0
	v_mad_i64_i32 v[1:2], s[0:1], v5, s6, 0
	v_cmp_le_i32_e64 s[0:1], v5, v0
	v_lshlrev_b64 v[1:2], 3, v[1:2]
	v_add_co_u32_e32 v4, vcc, s10, v1
	v_addc_co_u32_e32 v6, vcc, v3, v2, vcc
	v_cmp_gt_i32_e32 vcc, s16, v0
	s_and_b64 s[0:1], s[0:1], vcc
	s_and_saveexec_b64 s[2:3], s[0:1]
	s_cbranch_execz .LBB796_7
; %bb.5:
	v_mul_f32_e32 v1, s13, v21
	v_fma_f32 v7, v20, s12, -v1
	v_ashrrev_i32_e32 v1, 31, v0
	v_lshlrev_b64 v[1:2], 3, v[0:1]
	v_mul_f32_e32 v8, s12, v21
	v_add_co_u32_e64 v1, s[0:1], v4, v1
	v_addc_co_u32_e64 v2, s[0:1], v6, v2, s[0:1]
	v_fmac_f32_e32 v8, s13, v20
	v_cmp_eq_u32_e64 s[0:1], v5, v0
	flat_store_dwordx2 v[1:2], v[7:8]
	s_and_b64 exec, exec, s[0:1]
	s_cbranch_execz .LBB796_7
; %bb.6:
	v_mov_b32_e32 v3, 0
	flat_store_dword v[1:2], v3 offset:4
.LBB796_7:
	s_or_b64 exec, exec, s[2:3]
	v_add_u32_e32 v2, 16, v0
	v_cmp_le_i32_e64 s[2:3], v5, v2
	v_cmp_gt_i32_e64 s[0:1], s16, v2
	s_and_b64 s[2:3], s[2:3], s[0:1]
	s_and_saveexec_b64 s[4:5], s[2:3]
	s_cbranch_execz .LBB796_10
; %bb.8:
	v_ashrrev_i32_e32 v3, 31, v2
	v_lshlrev_b64 v[11:12], 3, v[2:3]
	v_mul_f32_e32 v1, s13, v19
	v_add_co_u32_e64 v3, s[2:3], v4, v11
	v_mul_f32_e32 v8, s12, v19
	v_addc_co_u32_e64 v4, s[2:3], v6, v12, s[2:3]
	v_fma_f32 v7, v18, s12, -v1
	v_fmac_f32_e32 v8, s13, v18
	v_cmp_eq_u32_e64 s[2:3], v5, v2
	flat_store_dwordx2 v[3:4], v[7:8]
	s_and_b64 exec, exec, s[2:3]
	s_cbranch_execz .LBB796_10
; %bb.9:
	v_mov_b32_e32 v1, 0
	flat_store_dword v[3:4], v1 offset:4
.LBB796_10:
	s_or_b64 exec, exec, s[4:5]
	v_add_u32_e32 v8, 16, v5
	v_mad_i64_i32 v[3:4], s[2:3], v8, s6, 0
	v_mov_b32_e32 v1, s11
	v_lshlrev_b64 v[3:4], 3, v[3:4]
	v_add_co_u32_e64 v6, s[2:3], s10, v3
	v_addc_co_u32_e64 v7, s[2:3], v1, v4, s[2:3]
	v_cmp_le_i32_e64 s[2:3], v8, v0
	s_and_b64 s[4:5], s[2:3], vcc
	s_and_saveexec_b64 s[2:3], s[4:5]
	s_cbranch_execz .LBB796_13
; %bb.11:
	v_mul_f32_e32 v1, s13, v17
	v_fma_f32 v11, v16, s12, -v1
	v_ashrrev_i32_e32 v1, 31, v0
	v_lshlrev_b64 v[3:4], 3, v[0:1]
	v_mul_f32_e32 v12, s12, v17
	v_add_co_u32_e32 v3, vcc, v6, v3
	v_addc_co_u32_e32 v4, vcc, v7, v4, vcc
	v_fmac_f32_e32 v12, s13, v16
	v_cmp_eq_u32_e32 vcc, v8, v0
	flat_store_dwordx2 v[3:4], v[11:12]
	s_and_b64 exec, exec, vcc
	s_cbranch_execz .LBB796_13
; %bb.12:
	v_mov_b32_e32 v1, 0
	flat_store_dword v[3:4], v1 offset:4
.LBB796_13:
	s_or_b64 exec, exec, s[2:3]
	v_cmp_le_i32_e32 vcc, v8, v2
	s_and_b64 s[0:1], vcc, s[0:1]
	s_and_saveexec_b64 s[2:3], s[0:1]
	s_cbranch_execz .LBB796_16
; %bb.14:
	v_mul_f32_e32 v1, s13, v10
	v_ashrrev_i32_e32 v3, 31, v2
	v_fma_f32 v8, v15, s12, -v1
	v_lshlrev_b64 v[1:2], 3, v[2:3]
	v_mul_f32_e32 v9, s12, v10
	v_add_co_u32_e32 v1, vcc, v6, v1
	v_addc_co_u32_e32 v2, vcc, v7, v2, vcc
	v_fmac_f32_e32 v9, s13, v15
	v_cmp_eq_u32_e32 vcc, v5, v0
	flat_store_dwordx2 v[1:2], v[8:9]
	s_and_b64 exec, exec, vcc
	s_cbranch_execz .LBB796_16
; %bb.15:
	v_mov_b32_e32 v0, 0
	flat_store_dword v[1:2], v0 offset:4
.LBB796_16:
	s_endpgm
	.section	.rodata,"a",@progbits
	.p2align	6, 0x0
	.amdhsa_kernel _ZL37rocblas_syrkx_herkx_restricted_kernelIi19rocblas_complex_numIfELi16ELi32ELi8ELb1ELb1ELc84ELc76EKPKS1_KPS1_EviT_T0_PT8_S7_lSA_S7_lS8_PT9_S7_li
		.amdhsa_group_segment_fixed_size 4096
		.amdhsa_private_segment_fixed_size 0
		.amdhsa_kernarg_size 100
		.amdhsa_user_sgpr_count 6
		.amdhsa_user_sgpr_private_segment_buffer 1
		.amdhsa_user_sgpr_dispatch_ptr 0
		.amdhsa_user_sgpr_queue_ptr 0
		.amdhsa_user_sgpr_kernarg_segment_ptr 1
		.amdhsa_user_sgpr_dispatch_id 0
		.amdhsa_user_sgpr_flat_scratch_init 0
		.amdhsa_user_sgpr_private_segment_size 0
		.amdhsa_uses_dynamic_stack 0
		.amdhsa_system_sgpr_private_segment_wavefront_offset 0
		.amdhsa_system_sgpr_workgroup_id_x 1
		.amdhsa_system_sgpr_workgroup_id_y 1
		.amdhsa_system_sgpr_workgroup_id_z 1
		.amdhsa_system_sgpr_workgroup_info 0
		.amdhsa_system_vgpr_workitem_id 1
		.amdhsa_next_free_vgpr 41
		.amdhsa_next_free_sgpr 19
		.amdhsa_reserve_vcc 1
		.amdhsa_reserve_flat_scratch 0
		.amdhsa_float_round_mode_32 0
		.amdhsa_float_round_mode_16_64 0
		.amdhsa_float_denorm_mode_32 3
		.amdhsa_float_denorm_mode_16_64 3
		.amdhsa_dx10_clamp 1
		.amdhsa_ieee_mode 1
		.amdhsa_fp16_overflow 0
		.amdhsa_exception_fp_ieee_invalid_op 0
		.amdhsa_exception_fp_denorm_src 0
		.amdhsa_exception_fp_ieee_div_zero 0
		.amdhsa_exception_fp_ieee_overflow 0
		.amdhsa_exception_fp_ieee_underflow 0
		.amdhsa_exception_fp_ieee_inexact 0
		.amdhsa_exception_int_div_zero 0
	.end_amdhsa_kernel
	.section	.text._ZL37rocblas_syrkx_herkx_restricted_kernelIi19rocblas_complex_numIfELi16ELi32ELi8ELb1ELb1ELc84ELc76EKPKS1_KPS1_EviT_T0_PT8_S7_lSA_S7_lS8_PT9_S7_li,"axG",@progbits,_ZL37rocblas_syrkx_herkx_restricted_kernelIi19rocblas_complex_numIfELi16ELi32ELi8ELb1ELb1ELc84ELc76EKPKS1_KPS1_EviT_T0_PT8_S7_lSA_S7_lS8_PT9_S7_li,comdat
.Lfunc_end796:
	.size	_ZL37rocblas_syrkx_herkx_restricted_kernelIi19rocblas_complex_numIfELi16ELi32ELi8ELb1ELb1ELc84ELc76EKPKS1_KPS1_EviT_T0_PT8_S7_lSA_S7_lS8_PT9_S7_li, .Lfunc_end796-_ZL37rocblas_syrkx_herkx_restricted_kernelIi19rocblas_complex_numIfELi16ELi32ELi8ELb1ELb1ELc84ELc76EKPKS1_KPS1_EviT_T0_PT8_S7_lSA_S7_lS8_PT9_S7_li
                                        ; -- End function
	.set _ZL37rocblas_syrkx_herkx_restricted_kernelIi19rocblas_complex_numIfELi16ELi32ELi8ELb1ELb1ELc84ELc76EKPKS1_KPS1_EviT_T0_PT8_S7_lSA_S7_lS8_PT9_S7_li.num_vgpr, 41
	.set _ZL37rocblas_syrkx_herkx_restricted_kernelIi19rocblas_complex_numIfELi16ELi32ELi8ELb1ELb1ELc84ELc76EKPKS1_KPS1_EviT_T0_PT8_S7_lSA_S7_lS8_PT9_S7_li.num_agpr, 0
	.set _ZL37rocblas_syrkx_herkx_restricted_kernelIi19rocblas_complex_numIfELi16ELi32ELi8ELb1ELb1ELc84ELc76EKPKS1_KPS1_EviT_T0_PT8_S7_lSA_S7_lS8_PT9_S7_li.numbered_sgpr, 19
	.set _ZL37rocblas_syrkx_herkx_restricted_kernelIi19rocblas_complex_numIfELi16ELi32ELi8ELb1ELb1ELc84ELc76EKPKS1_KPS1_EviT_T0_PT8_S7_lSA_S7_lS8_PT9_S7_li.num_named_barrier, 0
	.set _ZL37rocblas_syrkx_herkx_restricted_kernelIi19rocblas_complex_numIfELi16ELi32ELi8ELb1ELb1ELc84ELc76EKPKS1_KPS1_EviT_T0_PT8_S7_lSA_S7_lS8_PT9_S7_li.private_seg_size, 0
	.set _ZL37rocblas_syrkx_herkx_restricted_kernelIi19rocblas_complex_numIfELi16ELi32ELi8ELb1ELb1ELc84ELc76EKPKS1_KPS1_EviT_T0_PT8_S7_lSA_S7_lS8_PT9_S7_li.uses_vcc, 1
	.set _ZL37rocblas_syrkx_herkx_restricted_kernelIi19rocblas_complex_numIfELi16ELi32ELi8ELb1ELb1ELc84ELc76EKPKS1_KPS1_EviT_T0_PT8_S7_lSA_S7_lS8_PT9_S7_li.uses_flat_scratch, 0
	.set _ZL37rocblas_syrkx_herkx_restricted_kernelIi19rocblas_complex_numIfELi16ELi32ELi8ELb1ELb1ELc84ELc76EKPKS1_KPS1_EviT_T0_PT8_S7_lSA_S7_lS8_PT9_S7_li.has_dyn_sized_stack, 0
	.set _ZL37rocblas_syrkx_herkx_restricted_kernelIi19rocblas_complex_numIfELi16ELi32ELi8ELb1ELb1ELc84ELc76EKPKS1_KPS1_EviT_T0_PT8_S7_lSA_S7_lS8_PT9_S7_li.has_recursion, 0
	.set _ZL37rocblas_syrkx_herkx_restricted_kernelIi19rocblas_complex_numIfELi16ELi32ELi8ELb1ELb1ELc84ELc76EKPKS1_KPS1_EviT_T0_PT8_S7_lSA_S7_lS8_PT9_S7_li.has_indirect_call, 0
	.section	.AMDGPU.csdata,"",@progbits
; Kernel info:
; codeLenInByte = 2004
; TotalNumSgprs: 23
; NumVgprs: 41
; ScratchSize: 0
; MemoryBound: 0
; FloatMode: 240
; IeeeMode: 1
; LDSByteSize: 4096 bytes/workgroup (compile time only)
; SGPRBlocks: 2
; VGPRBlocks: 10
; NumSGPRsForWavesPerEU: 23
; NumVGPRsForWavesPerEU: 41
; Occupancy: 5
; WaveLimiterHint : 1
; COMPUTE_PGM_RSRC2:SCRATCH_EN: 0
; COMPUTE_PGM_RSRC2:USER_SGPR: 6
; COMPUTE_PGM_RSRC2:TRAP_HANDLER: 0
; COMPUTE_PGM_RSRC2:TGID_X_EN: 1
; COMPUTE_PGM_RSRC2:TGID_Y_EN: 1
; COMPUTE_PGM_RSRC2:TGID_Z_EN: 1
; COMPUTE_PGM_RSRC2:TIDIG_COMP_CNT: 1
	.section	.text._ZL37rocblas_syrkx_herkx_restricted_kernelIi19rocblas_complex_numIfELi16ELi32ELi8ELb1ELb1ELc67ELc76EKPKS1_KPS1_EviT_T0_PT8_S7_lSA_S7_lS8_PT9_S7_li,"axG",@progbits,_ZL37rocblas_syrkx_herkx_restricted_kernelIi19rocblas_complex_numIfELi16ELi32ELi8ELb1ELb1ELc67ELc76EKPKS1_KPS1_EviT_T0_PT8_S7_lSA_S7_lS8_PT9_S7_li,comdat
	.globl	_ZL37rocblas_syrkx_herkx_restricted_kernelIi19rocblas_complex_numIfELi16ELi32ELi8ELb1ELb1ELc67ELc76EKPKS1_KPS1_EviT_T0_PT8_S7_lSA_S7_lS8_PT9_S7_li ; -- Begin function _ZL37rocblas_syrkx_herkx_restricted_kernelIi19rocblas_complex_numIfELi16ELi32ELi8ELb1ELb1ELc67ELc76EKPKS1_KPS1_EviT_T0_PT8_S7_lSA_S7_lS8_PT9_S7_li
	.p2align	8
	.type	_ZL37rocblas_syrkx_herkx_restricted_kernelIi19rocblas_complex_numIfELi16ELi32ELi8ELb1ELb1ELc67ELc76EKPKS1_KPS1_EviT_T0_PT8_S7_lSA_S7_lS8_PT9_S7_li,@function
_ZL37rocblas_syrkx_herkx_restricted_kernelIi19rocblas_complex_numIfELi16ELi32ELi8ELb1ELb1ELc67ELc76EKPKS1_KPS1_EviT_T0_PT8_S7_lSA_S7_lS8_PT9_S7_li: ; @_ZL37rocblas_syrkx_herkx_restricted_kernelIi19rocblas_complex_numIfELi16ELi32ELi8ELb1ELb1ELc67ELc76EKPKS1_KPS1_EviT_T0_PT8_S7_lSA_S7_lS8_PT9_S7_li
; %bb.0:
	s_load_dwordx2 s[2:3], s[4:5], 0x48
	s_load_dwordx2 s[16:17], s[4:5], 0x0
	s_load_dwordx4 s[12:15], s[4:5], 0x8
	s_mov_b32 s9, 0
	s_lshl_b64 s[0:1], s[8:9], 3
	s_waitcnt lgkmcnt(0)
	s_add_u32 s2, s2, s0
	s_addc_u32 s3, s3, s1
	s_load_dwordx2 s[10:11], s[2:3], 0x0
	s_lshl_b32 s2, s6, 5
	s_lshl_b32 s3, s7, 5
	s_cmp_lt_i32 s17, 1
	s_cbranch_scc1 .LBB797_3
; %bb.1:
	s_load_dword s8, s[4:5], 0x18
	s_load_dwordx2 s[6:7], s[4:5], 0x28
	s_load_dword s18, s[4:5], 0x30
	v_lshl_add_u32 v3, v1, 4, v0
	v_and_b32_e32 v7, 31, v3
	s_add_u32 s14, s14, s0
	v_lshrrev_b32_e32 v2, 5, v3
	v_and_b32_e32 v9, 7, v0
	v_lshlrev_b32_e32 v8, 3, v7
	s_addc_u32 s15, s15, s1
	v_lshrrev_b32_e32 v6, 3, v3
	v_lshl_or_b32 v11, v2, 8, v8
	v_lshlrev_b32_e32 v8, 3, v9
	s_waitcnt lgkmcnt(0)
	s_add_u32 s0, s6, s0
	v_add_u32_e32 v3, s3, v6
	v_mov_b32_e32 v10, 0
	v_lshl_or_b32 v6, v6, 6, v8
	s_addc_u32 s1, s7, s1
	v_mad_i64_i32 v[4:5], s[6:7], s18, v3, v[9:10]
	v_mov_b32_e32 v3, v10
	v_add_u32_e32 v12, 0x800, v6
	v_add_u32_e32 v6, s2, v7
	v_mad_i64_i32 v[2:3], s[6:7], s8, v6, v[2:3]
	s_load_dwordx2 s[14:15], s[14:15], 0x0
	v_mov_b32_e32 v6, 0x800
	s_load_dwordx2 s[0:1], s[0:1], 0x0
	v_lshlrev_b64 v[2:3], 3, v[2:3]
	v_lshl_add_u32 v14, v1, 6, v6
	s_waitcnt lgkmcnt(0)
	v_mov_b32_e32 v7, s15
	v_add_co_u32_e32 v6, vcc, s14, v2
	v_addc_co_u32_e32 v7, vcc, v7, v3, vcc
	v_lshlrev_b64 v[2:3], 3, v[4:5]
	v_mov_b32_e32 v4, s1
	v_add_co_u32_e32 v8, vcc, s0, v2
	v_lshlrev_b32_e32 v13, 3, v0
	v_addc_co_u32_e32 v9, vcc, v4, v3, vcc
	v_mov_b32_e32 v15, v10
	v_mov_b32_e32 v17, v10
	v_mov_b32_e32 v16, v10
	v_mov_b32_e32 v19, v10
	v_mov_b32_e32 v18, v10
	v_mov_b32_e32 v21, v10
	v_mov_b32_e32 v20, v10
.LBB797_2:                              ; =>This Inner Loop Header: Depth=1
	flat_load_dwordx2 v[2:3], v[6:7]
	v_add_co_u32_e32 v6, vcc, 64, v6
	v_addc_co_u32_e32 v7, vcc, 0, v7, vcc
	s_add_i32 s9, s9, 8
	s_cmp_ge_i32 s9, s17
	s_waitcnt vmcnt(0) lgkmcnt(0)
	v_xor_b32_e32 v3, 0x80000000, v3
	ds_write_b64 v11, v[2:3]
	flat_load_dwordx2 v[2:3], v[8:9]
	v_add_co_u32_e32 v8, vcc, 64, v8
	v_addc_co_u32_e32 v9, vcc, 0, v9, vcc
	s_waitcnt vmcnt(0) lgkmcnt(0)
	ds_write_b64 v12, v[2:3]
	s_waitcnt lgkmcnt(0)
	s_barrier
	ds_read_b128 v[22:25], v14
	ds_read_b128 v[26:29], v14 offset:16
	ds_read_b128 v[30:33], v14 offset:32
	;; [unrolled: 1-line block ×3, first 2 shown]
	ds_read2_b64 v[34:37], v13 offset1:16
	s_waitcnt lgkmcnt(0)
	v_mul_f32_e32 v38, v23, v35
	v_mul_f32_e32 v39, v22, v35
	v_fma_f32 v38, v22, v34, -v38
	v_fmac_f32_e32 v39, v23, v34
	v_add_f32_e32 v38, v20, v38
	v_add_f32_e32 v39, v21, v39
	v_mul_f32_e32 v20, v23, v37
	v_mul_f32_e32 v21, v22, v37
	v_fma_f32 v20, v22, v36, -v20
	v_fmac_f32_e32 v21, v23, v36
	v_add_f32_e32 v22, v18, v20
	v_add_f32_e32 v23, v19, v21
	ds_read_b128 v[18:21], v14 offset:1024
	s_waitcnt lgkmcnt(0)
	v_mul_f32_e32 v40, v19, v35
	v_mul_f32_e32 v35, v18, v35
	v_fma_f32 v40, v18, v34, -v40
	v_fmac_f32_e32 v35, v19, v34
	v_add_f32_e32 v34, v16, v40
	v_add_f32_e32 v35, v17, v35
	v_mul_f32_e32 v16, v19, v37
	v_mul_f32_e32 v17, v18, v37
	v_fma_f32 v16, v18, v36, -v16
	v_fmac_f32_e32 v17, v19, v36
	v_add_f32_e32 v19, v15, v16
	v_add_f32_e32 v10, v10, v17
	ds_read2_b64 v[15:18], v13 offset0:32 offset1:48
	s_waitcnt lgkmcnt(0)
	v_mul_f32_e32 v36, v25, v16
	v_fma_f32 v36, v24, v15, -v36
	v_add_f32_e32 v36, v38, v36
	v_mul_f32_e32 v38, v25, v18
	v_mul_f32_e32 v37, v24, v16
	v_fma_f32 v38, v24, v17, -v38
	v_mul_f32_e32 v24, v24, v18
	v_fmac_f32_e32 v24, v25, v17
	v_add_f32_e32 v23, v23, v24
	v_mul_f32_e32 v24, v21, v16
	v_mul_f32_e32 v16, v20, v16
	v_fmac_f32_e32 v16, v21, v15
	v_fmac_f32_e32 v37, v25, v15
	v_fma_f32 v24, v20, v15, -v24
	v_add_f32_e32 v25, v35, v16
	v_mul_f32_e32 v15, v21, v18
	v_mul_f32_e32 v16, v20, v18
	v_fma_f32 v15, v20, v17, -v15
	v_fmac_f32_e32 v16, v21, v17
	v_add_f32_e32 v24, v34, v24
	v_add_f32_e32 v34, v19, v15
	;; [unrolled: 1-line block ×3, first 2 shown]
	ds_read2_b64 v[15:18], v13 offset0:64 offset1:80
	v_add_f32_e32 v37, v39, v37
	v_add_f32_e32 v22, v22, v38
	s_waitcnt lgkmcnt(0)
	v_mul_f32_e32 v19, v27, v16
	v_mul_f32_e32 v20, v26, v16
	v_fma_f32 v19, v26, v15, -v19
	v_fmac_f32_e32 v20, v27, v15
	v_add_f32_e32 v35, v36, v19
	v_add_f32_e32 v36, v37, v20
	v_mul_f32_e32 v19, v27, v18
	v_mul_f32_e32 v20, v26, v18
	v_fma_f32 v19, v26, v17, -v19
	v_fmac_f32_e32 v20, v27, v17
	v_add_f32_e32 v26, v22, v19
	v_add_f32_e32 v23, v23, v20
	ds_read_b128 v[19:22], v14 offset:1040
	s_waitcnt lgkmcnt(0)
	v_mul_f32_e32 v27, v20, v16
	v_mul_f32_e32 v16, v19, v16
	v_fmac_f32_e32 v16, v20, v15
	v_fma_f32 v27, v19, v15, -v27
	v_add_f32_e32 v25, v25, v16
	v_mul_f32_e32 v15, v20, v18
	v_mul_f32_e32 v16, v19, v18
	v_fma_f32 v15, v19, v17, -v15
	v_fmac_f32_e32 v16, v20, v17
	v_add_f32_e32 v19, v34, v15
	v_add_f32_e32 v10, v10, v16
	ds_read2_b64 v[15:18], v13 offset0:96 offset1:112
	v_add_f32_e32 v24, v24, v27
	s_waitcnt lgkmcnt(0)
	v_mul_f32_e32 v20, v29, v16
	v_mul_f32_e32 v34, v29, v18
	v_fma_f32 v20, v28, v15, -v20
	v_mul_f32_e32 v27, v28, v16
	v_fma_f32 v34, v28, v17, -v34
	v_mul_f32_e32 v28, v28, v18
	v_fmac_f32_e32 v28, v29, v17
	v_add_f32_e32 v23, v23, v28
	v_mul_f32_e32 v28, v22, v16
	v_mul_f32_e32 v16, v21, v16
	v_fmac_f32_e32 v16, v22, v15
	v_fmac_f32_e32 v27, v29, v15
	v_fma_f32 v28, v21, v15, -v28
	v_add_f32_e32 v25, v25, v16
	v_mul_f32_e32 v15, v22, v18
	v_mul_f32_e32 v16, v21, v18
	v_fma_f32 v15, v21, v17, -v15
	v_fmac_f32_e32 v16, v22, v17
	v_add_f32_e32 v24, v24, v28
	v_add_f32_e32 v28, v19, v15
	;; [unrolled: 1-line block ×3, first 2 shown]
	ds_read2_b64 v[15:18], v13 offset0:128 offset1:144
	v_add_f32_e32 v20, v35, v20
	v_add_f32_e32 v27, v36, v27
	;; [unrolled: 1-line block ×3, first 2 shown]
	s_waitcnt lgkmcnt(0)
	v_mul_f32_e32 v19, v31, v16
	v_fma_f32 v19, v30, v15, -v19
	v_mul_f32_e32 v21, v30, v16
	v_add_f32_e32 v29, v20, v19
	v_mul_f32_e32 v19, v31, v18
	v_mul_f32_e32 v20, v30, v18
	v_fmac_f32_e32 v21, v31, v15
	v_fma_f32 v19, v30, v17, -v19
	v_fmac_f32_e32 v20, v31, v17
	v_add_f32_e32 v27, v27, v21
	v_add_f32_e32 v26, v26, v19
	v_add_f32_e32 v23, v23, v20
	ds_read_b128 v[19:22], v14 offset:1056
	s_waitcnt lgkmcnt(0)
	v_mul_f32_e32 v30, v20, v16
	v_mul_f32_e32 v16, v19, v16
	v_fmac_f32_e32 v16, v20, v15
	v_fma_f32 v30, v19, v15, -v30
	v_add_f32_e32 v25, v25, v16
	v_mul_f32_e32 v15, v20, v18
	v_mul_f32_e32 v16, v19, v18
	v_fma_f32 v15, v19, v17, -v15
	v_fmac_f32_e32 v16, v20, v17
	v_add_f32_e32 v19, v28, v15
	v_add_f32_e32 v10, v10, v16
	ds_read2_b64 v[15:18], v13 offset0:160 offset1:176
	v_add_f32_e32 v24, v24, v30
	s_waitcnt lgkmcnt(0)
	v_mul_f32_e32 v28, v32, v16
	v_fmac_f32_e32 v28, v33, v15
	v_add_f32_e32 v27, v27, v28
	v_mul_f32_e32 v28, v33, v18
	v_fma_f32 v28, v32, v17, -v28
	v_mul_f32_e32 v20, v33, v16
	v_add_f32_e32 v26, v26, v28
	v_mul_f32_e32 v28, v22, v16
	v_mul_f32_e32 v16, v21, v16
	v_fmac_f32_e32 v16, v22, v15
	v_fma_f32 v20, v32, v15, -v20
	v_fma_f32 v28, v21, v15, -v28
	v_add_f32_e32 v25, v25, v16
	v_mul_f32_e32 v15, v22, v18
	v_mul_f32_e32 v16, v21, v18
	v_add_f32_e32 v20, v29, v20
	v_mul_f32_e32 v29, v32, v18
	v_fma_f32 v15, v21, v17, -v15
	v_fmac_f32_e32 v16, v22, v17
	v_fmac_f32_e32 v29, v33, v17
	v_add_f32_e32 v19, v19, v15
	v_add_f32_e32 v10, v10, v16
	ds_read2_b64 v[15:18], v13 offset0:192 offset1:208
	v_add_f32_e32 v24, v24, v28
	v_add_f32_e32 v23, v23, v29
	s_waitcnt lgkmcnt(0)
	v_mul_f32_e32 v21, v3, v16
	v_fma_f32 v21, v2, v15, -v21
	v_add_f32_e32 v28, v20, v21
	v_mul_f32_e32 v20, v3, v18
	v_mul_f32_e32 v22, v2, v16
	v_fma_f32 v20, v2, v17, -v20
	v_mul_f32_e32 v2, v2, v18
	v_fmac_f32_e32 v22, v3, v15
	v_fmac_f32_e32 v2, v3, v17
	v_add_f32_e32 v29, v27, v22
	v_add_f32_e32 v3, v26, v20
	;; [unrolled: 1-line block ×3, first 2 shown]
	ds_read_b128 v[20:23], v14 offset:1072
	s_waitcnt lgkmcnt(0)
	v_mul_f32_e32 v26, v21, v16
	v_mul_f32_e32 v16, v20, v16
	v_fma_f32 v26, v20, v15, -v26
	v_fmac_f32_e32 v16, v21, v15
	v_add_f32_e32 v15, v24, v26
	v_add_f32_e32 v30, v25, v16
	ds_read2_b64 v[24:27], v13 offset0:224 offset1:240
	v_mul_f32_e32 v16, v21, v18
	v_fma_f32 v16, v20, v17, -v16
	v_add_f32_e32 v31, v19, v16
	v_mul_f32_e32 v18, v20, v18
	s_waitcnt lgkmcnt(0)
	v_mul_f32_e32 v16, v5, v25
	v_fma_f32 v16, v4, v24, -v16
	v_add_f32_e32 v20, v28, v16
	v_mul_f32_e32 v16, v5, v27
	v_fmac_f32_e32 v18, v21, v17
	v_mul_f32_e32 v17, v4, v25
	v_fma_f32 v16, v4, v26, -v16
	v_mul_f32_e32 v4, v4, v27
	v_fmac_f32_e32 v4, v5, v26
	v_add_f32_e32 v10, v10, v18
	v_add_f32_e32 v18, v3, v16
	;; [unrolled: 1-line block ×3, first 2 shown]
	v_mul_f32_e32 v2, v23, v25
	v_mul_f32_e32 v3, v22, v25
	v_fmac_f32_e32 v17, v5, v24
	v_fma_f32 v2, v22, v24, -v2
	v_fmac_f32_e32 v3, v23, v24
	v_add_f32_e32 v21, v29, v17
	v_add_f32_e32 v16, v15, v2
	;; [unrolled: 1-line block ×3, first 2 shown]
	v_mul_f32_e32 v2, v23, v27
	v_mul_f32_e32 v3, v22, v27
	v_fma_f32 v2, v22, v26, -v2
	v_fmac_f32_e32 v3, v23, v26
	v_add_f32_e32 v15, v31, v2
	v_add_f32_e32 v10, v10, v3
	s_barrier
	s_cbranch_scc0 .LBB797_2
	s_branch .LBB797_4
.LBB797_3:
	v_mov_b32_e32 v20, 0
	v_mov_b32_e32 v21, 0
	;; [unrolled: 1-line block ×8, first 2 shown]
.LBB797_4:
	s_load_dword s6, s[4:5], 0x50
	v_add_u32_e32 v5, s3, v1
	s_waitcnt lgkmcnt(0)
	v_mov_b32_e32 v3, s11
	v_add_u32_e32 v0, s2, v0
	v_mad_i64_i32 v[1:2], s[0:1], v5, s6, 0
	v_cmp_le_i32_e64 s[0:1], v5, v0
	v_lshlrev_b64 v[1:2], 3, v[1:2]
	v_add_co_u32_e32 v4, vcc, s10, v1
	v_addc_co_u32_e32 v6, vcc, v3, v2, vcc
	v_cmp_gt_i32_e32 vcc, s16, v0
	s_and_b64 s[0:1], s[0:1], vcc
	s_and_saveexec_b64 s[2:3], s[0:1]
	s_cbranch_execz .LBB797_7
; %bb.5:
	v_mul_f32_e32 v1, s13, v21
	v_fma_f32 v7, v20, s12, -v1
	v_ashrrev_i32_e32 v1, 31, v0
	v_lshlrev_b64 v[1:2], 3, v[0:1]
	v_mul_f32_e32 v8, s12, v21
	v_add_co_u32_e64 v1, s[0:1], v4, v1
	v_addc_co_u32_e64 v2, s[0:1], v6, v2, s[0:1]
	v_fmac_f32_e32 v8, s13, v20
	v_cmp_eq_u32_e64 s[0:1], v5, v0
	flat_store_dwordx2 v[1:2], v[7:8]
	s_and_b64 exec, exec, s[0:1]
	s_cbranch_execz .LBB797_7
; %bb.6:
	v_mov_b32_e32 v3, 0
	flat_store_dword v[1:2], v3 offset:4
.LBB797_7:
	s_or_b64 exec, exec, s[2:3]
	v_add_u32_e32 v2, 16, v0
	v_cmp_le_i32_e64 s[2:3], v5, v2
	v_cmp_gt_i32_e64 s[0:1], s16, v2
	s_and_b64 s[2:3], s[2:3], s[0:1]
	s_and_saveexec_b64 s[4:5], s[2:3]
	s_cbranch_execz .LBB797_10
; %bb.8:
	v_ashrrev_i32_e32 v3, 31, v2
	v_lshlrev_b64 v[11:12], 3, v[2:3]
	v_mul_f32_e32 v1, s13, v19
	v_add_co_u32_e64 v3, s[2:3], v4, v11
	v_mul_f32_e32 v8, s12, v19
	v_addc_co_u32_e64 v4, s[2:3], v6, v12, s[2:3]
	v_fma_f32 v7, v18, s12, -v1
	v_fmac_f32_e32 v8, s13, v18
	v_cmp_eq_u32_e64 s[2:3], v5, v2
	flat_store_dwordx2 v[3:4], v[7:8]
	s_and_b64 exec, exec, s[2:3]
	s_cbranch_execz .LBB797_10
; %bb.9:
	v_mov_b32_e32 v1, 0
	flat_store_dword v[3:4], v1 offset:4
.LBB797_10:
	s_or_b64 exec, exec, s[4:5]
	v_add_u32_e32 v8, 16, v5
	v_mad_i64_i32 v[3:4], s[2:3], v8, s6, 0
	v_mov_b32_e32 v1, s11
	v_lshlrev_b64 v[3:4], 3, v[3:4]
	v_add_co_u32_e64 v6, s[2:3], s10, v3
	v_addc_co_u32_e64 v7, s[2:3], v1, v4, s[2:3]
	v_cmp_le_i32_e64 s[2:3], v8, v0
	s_and_b64 s[4:5], s[2:3], vcc
	s_and_saveexec_b64 s[2:3], s[4:5]
	s_cbranch_execz .LBB797_13
; %bb.11:
	v_mul_f32_e32 v1, s13, v17
	v_fma_f32 v11, v16, s12, -v1
	v_ashrrev_i32_e32 v1, 31, v0
	v_lshlrev_b64 v[3:4], 3, v[0:1]
	v_mul_f32_e32 v12, s12, v17
	v_add_co_u32_e32 v3, vcc, v6, v3
	v_addc_co_u32_e32 v4, vcc, v7, v4, vcc
	v_fmac_f32_e32 v12, s13, v16
	v_cmp_eq_u32_e32 vcc, v8, v0
	flat_store_dwordx2 v[3:4], v[11:12]
	s_and_b64 exec, exec, vcc
	s_cbranch_execz .LBB797_13
; %bb.12:
	v_mov_b32_e32 v1, 0
	flat_store_dword v[3:4], v1 offset:4
.LBB797_13:
	s_or_b64 exec, exec, s[2:3]
	v_cmp_le_i32_e32 vcc, v8, v2
	s_and_b64 s[0:1], vcc, s[0:1]
	s_and_saveexec_b64 s[2:3], s[0:1]
	s_cbranch_execz .LBB797_16
; %bb.14:
	v_mul_f32_e32 v1, s13, v10
	v_ashrrev_i32_e32 v3, 31, v2
	v_fma_f32 v8, v15, s12, -v1
	v_lshlrev_b64 v[1:2], 3, v[2:3]
	v_mul_f32_e32 v9, s12, v10
	v_add_co_u32_e32 v1, vcc, v6, v1
	v_addc_co_u32_e32 v2, vcc, v7, v2, vcc
	v_fmac_f32_e32 v9, s13, v15
	v_cmp_eq_u32_e32 vcc, v5, v0
	flat_store_dwordx2 v[1:2], v[8:9]
	s_and_b64 exec, exec, vcc
	s_cbranch_execz .LBB797_16
; %bb.15:
	v_mov_b32_e32 v0, 0
	flat_store_dword v[1:2], v0 offset:4
.LBB797_16:
	s_endpgm
	.section	.rodata,"a",@progbits
	.p2align	6, 0x0
	.amdhsa_kernel _ZL37rocblas_syrkx_herkx_restricted_kernelIi19rocblas_complex_numIfELi16ELi32ELi8ELb1ELb1ELc67ELc76EKPKS1_KPS1_EviT_T0_PT8_S7_lSA_S7_lS8_PT9_S7_li
		.amdhsa_group_segment_fixed_size 4096
		.amdhsa_private_segment_fixed_size 0
		.amdhsa_kernarg_size 100
		.amdhsa_user_sgpr_count 6
		.amdhsa_user_sgpr_private_segment_buffer 1
		.amdhsa_user_sgpr_dispatch_ptr 0
		.amdhsa_user_sgpr_queue_ptr 0
		.amdhsa_user_sgpr_kernarg_segment_ptr 1
		.amdhsa_user_sgpr_dispatch_id 0
		.amdhsa_user_sgpr_flat_scratch_init 0
		.amdhsa_user_sgpr_private_segment_size 0
		.amdhsa_uses_dynamic_stack 0
		.amdhsa_system_sgpr_private_segment_wavefront_offset 0
		.amdhsa_system_sgpr_workgroup_id_x 1
		.amdhsa_system_sgpr_workgroup_id_y 1
		.amdhsa_system_sgpr_workgroup_id_z 1
		.amdhsa_system_sgpr_workgroup_info 0
		.amdhsa_system_vgpr_workitem_id 1
		.amdhsa_next_free_vgpr 41
		.amdhsa_next_free_sgpr 19
		.amdhsa_reserve_vcc 1
		.amdhsa_reserve_flat_scratch 0
		.amdhsa_float_round_mode_32 0
		.amdhsa_float_round_mode_16_64 0
		.amdhsa_float_denorm_mode_32 3
		.amdhsa_float_denorm_mode_16_64 3
		.amdhsa_dx10_clamp 1
		.amdhsa_ieee_mode 1
		.amdhsa_fp16_overflow 0
		.amdhsa_exception_fp_ieee_invalid_op 0
		.amdhsa_exception_fp_denorm_src 0
		.amdhsa_exception_fp_ieee_div_zero 0
		.amdhsa_exception_fp_ieee_overflow 0
		.amdhsa_exception_fp_ieee_underflow 0
		.amdhsa_exception_fp_ieee_inexact 0
		.amdhsa_exception_int_div_zero 0
	.end_amdhsa_kernel
	.section	.text._ZL37rocblas_syrkx_herkx_restricted_kernelIi19rocblas_complex_numIfELi16ELi32ELi8ELb1ELb1ELc67ELc76EKPKS1_KPS1_EviT_T0_PT8_S7_lSA_S7_lS8_PT9_S7_li,"axG",@progbits,_ZL37rocblas_syrkx_herkx_restricted_kernelIi19rocblas_complex_numIfELi16ELi32ELi8ELb1ELb1ELc67ELc76EKPKS1_KPS1_EviT_T0_PT8_S7_lSA_S7_lS8_PT9_S7_li,comdat
.Lfunc_end797:
	.size	_ZL37rocblas_syrkx_herkx_restricted_kernelIi19rocblas_complex_numIfELi16ELi32ELi8ELb1ELb1ELc67ELc76EKPKS1_KPS1_EviT_T0_PT8_S7_lSA_S7_lS8_PT9_S7_li, .Lfunc_end797-_ZL37rocblas_syrkx_herkx_restricted_kernelIi19rocblas_complex_numIfELi16ELi32ELi8ELb1ELb1ELc67ELc76EKPKS1_KPS1_EviT_T0_PT8_S7_lSA_S7_lS8_PT9_S7_li
                                        ; -- End function
	.set _ZL37rocblas_syrkx_herkx_restricted_kernelIi19rocblas_complex_numIfELi16ELi32ELi8ELb1ELb1ELc67ELc76EKPKS1_KPS1_EviT_T0_PT8_S7_lSA_S7_lS8_PT9_S7_li.num_vgpr, 41
	.set _ZL37rocblas_syrkx_herkx_restricted_kernelIi19rocblas_complex_numIfELi16ELi32ELi8ELb1ELb1ELc67ELc76EKPKS1_KPS1_EviT_T0_PT8_S7_lSA_S7_lS8_PT9_S7_li.num_agpr, 0
	.set _ZL37rocblas_syrkx_herkx_restricted_kernelIi19rocblas_complex_numIfELi16ELi32ELi8ELb1ELb1ELc67ELc76EKPKS1_KPS1_EviT_T0_PT8_S7_lSA_S7_lS8_PT9_S7_li.numbered_sgpr, 19
	.set _ZL37rocblas_syrkx_herkx_restricted_kernelIi19rocblas_complex_numIfELi16ELi32ELi8ELb1ELb1ELc67ELc76EKPKS1_KPS1_EviT_T0_PT8_S7_lSA_S7_lS8_PT9_S7_li.num_named_barrier, 0
	.set _ZL37rocblas_syrkx_herkx_restricted_kernelIi19rocblas_complex_numIfELi16ELi32ELi8ELb1ELb1ELc67ELc76EKPKS1_KPS1_EviT_T0_PT8_S7_lSA_S7_lS8_PT9_S7_li.private_seg_size, 0
	.set _ZL37rocblas_syrkx_herkx_restricted_kernelIi19rocblas_complex_numIfELi16ELi32ELi8ELb1ELb1ELc67ELc76EKPKS1_KPS1_EviT_T0_PT8_S7_lSA_S7_lS8_PT9_S7_li.uses_vcc, 1
	.set _ZL37rocblas_syrkx_herkx_restricted_kernelIi19rocblas_complex_numIfELi16ELi32ELi8ELb1ELb1ELc67ELc76EKPKS1_KPS1_EviT_T0_PT8_S7_lSA_S7_lS8_PT9_S7_li.uses_flat_scratch, 0
	.set _ZL37rocblas_syrkx_herkx_restricted_kernelIi19rocblas_complex_numIfELi16ELi32ELi8ELb1ELb1ELc67ELc76EKPKS1_KPS1_EviT_T0_PT8_S7_lSA_S7_lS8_PT9_S7_li.has_dyn_sized_stack, 0
	.set _ZL37rocblas_syrkx_herkx_restricted_kernelIi19rocblas_complex_numIfELi16ELi32ELi8ELb1ELb1ELc67ELc76EKPKS1_KPS1_EviT_T0_PT8_S7_lSA_S7_lS8_PT9_S7_li.has_recursion, 0
	.set _ZL37rocblas_syrkx_herkx_restricted_kernelIi19rocblas_complex_numIfELi16ELi32ELi8ELb1ELb1ELc67ELc76EKPKS1_KPS1_EviT_T0_PT8_S7_lSA_S7_lS8_PT9_S7_li.has_indirect_call, 0
	.section	.AMDGPU.csdata,"",@progbits
; Kernel info:
; codeLenInByte = 2012
; TotalNumSgprs: 23
; NumVgprs: 41
; ScratchSize: 0
; MemoryBound: 0
; FloatMode: 240
; IeeeMode: 1
; LDSByteSize: 4096 bytes/workgroup (compile time only)
; SGPRBlocks: 2
; VGPRBlocks: 10
; NumSGPRsForWavesPerEU: 23
; NumVGPRsForWavesPerEU: 41
; Occupancy: 5
; WaveLimiterHint : 1
; COMPUTE_PGM_RSRC2:SCRATCH_EN: 0
; COMPUTE_PGM_RSRC2:USER_SGPR: 6
; COMPUTE_PGM_RSRC2:TRAP_HANDLER: 0
; COMPUTE_PGM_RSRC2:TGID_X_EN: 1
; COMPUTE_PGM_RSRC2:TGID_Y_EN: 1
; COMPUTE_PGM_RSRC2:TGID_Z_EN: 1
; COMPUTE_PGM_RSRC2:TIDIG_COMP_CNT: 1
	.section	.text._ZL37rocblas_syrkx_herkx_restricted_kernelIi19rocblas_complex_numIfELi16ELi32ELi8ELb1ELb1ELc78ELc76EKPKS1_KPS1_EviT_T0_PT8_S7_lSA_S7_lS8_PT9_S7_li,"axG",@progbits,_ZL37rocblas_syrkx_herkx_restricted_kernelIi19rocblas_complex_numIfELi16ELi32ELi8ELb1ELb1ELc78ELc76EKPKS1_KPS1_EviT_T0_PT8_S7_lSA_S7_lS8_PT9_S7_li,comdat
	.globl	_ZL37rocblas_syrkx_herkx_restricted_kernelIi19rocblas_complex_numIfELi16ELi32ELi8ELb1ELb1ELc78ELc76EKPKS1_KPS1_EviT_T0_PT8_S7_lSA_S7_lS8_PT9_S7_li ; -- Begin function _ZL37rocblas_syrkx_herkx_restricted_kernelIi19rocblas_complex_numIfELi16ELi32ELi8ELb1ELb1ELc78ELc76EKPKS1_KPS1_EviT_T0_PT8_S7_lSA_S7_lS8_PT9_S7_li
	.p2align	8
	.type	_ZL37rocblas_syrkx_herkx_restricted_kernelIi19rocblas_complex_numIfELi16ELi32ELi8ELb1ELb1ELc78ELc76EKPKS1_KPS1_EviT_T0_PT8_S7_lSA_S7_lS8_PT9_S7_li,@function
_ZL37rocblas_syrkx_herkx_restricted_kernelIi19rocblas_complex_numIfELi16ELi32ELi8ELb1ELb1ELc78ELc76EKPKS1_KPS1_EviT_T0_PT8_S7_lSA_S7_lS8_PT9_S7_li: ; @_ZL37rocblas_syrkx_herkx_restricted_kernelIi19rocblas_complex_numIfELi16ELi32ELi8ELb1ELb1ELc78ELc76EKPKS1_KPS1_EviT_T0_PT8_S7_lSA_S7_lS8_PT9_S7_li
; %bb.0:
	s_load_dwordx2 s[2:3], s[4:5], 0x48
	s_load_dwordx2 s[16:17], s[4:5], 0x0
	s_load_dwordx4 s[12:15], s[4:5], 0x8
	s_mov_b32 s9, 0
	s_lshl_b64 s[0:1], s[8:9], 3
	s_waitcnt lgkmcnt(0)
	s_add_u32 s2, s2, s0
	s_addc_u32 s3, s3, s1
	s_load_dwordx2 s[10:11], s[2:3], 0x0
	s_lshl_b32 s6, s6, 5
	s_lshl_b32 s7, s7, 5
	s_cmp_lt_i32 s17, 1
	s_cbranch_scc1 .LBB798_3
; %bb.1:
	s_load_dword s2, s[4:5], 0x18
	s_load_dword s18, s[4:5], 0x30
	s_load_dwordx2 s[20:21], s[4:5], 0x28
	v_lshl_add_u32 v2, v1, 4, v0
	v_lshrrev_b32_e32 v4, 3, v2
	s_waitcnt lgkmcnt(0)
	s_ashr_i32 s3, s2, 31
	s_ashr_i32 s19, s18, 31
	s_add_u32 s14, s14, s0
	s_addc_u32 s15, s15, s1
	s_add_u32 s0, s20, s0
	v_lshrrev_b32_e32 v6, 5, v2
	v_and_b32_e32 v7, 31, v2
	v_add_u32_e32 v2, s7, v4
	s_addc_u32 s1, s21, s1
	v_and_b32_e32 v5, 7, v0
	v_ashrrev_i32_e32 v3, 31, v2
	s_load_dwordx2 s[20:21], s[0:1], 0x0
	v_mad_i64_i32 v[2:3], s[0:1], s18, v5, v[2:3]
	v_lshlrev_b32_e32 v5, 3, v5
	v_lshl_or_b32 v4, v4, 6, v5
	v_add_u32_e32 v11, 0x800, v4
	v_add_u32_e32 v4, s6, v7
	v_ashrrev_i32_e32 v5, 31, v4
	v_mad_i64_i32 v[4:5], s[0:1], s2, v6, v[4:5]
	s_load_dwordx2 s[14:15], s[14:15], 0x0
	v_lshlrev_b32_e32 v8, 3, v7
	v_lshlrev_b64 v[4:5], 3, v[4:5]
	v_lshl_or_b32 v10, v6, 8, v8
	v_mov_b32_e32 v6, 0x800
	v_lshl_add_u32 v13, v1, 6, v6
	s_waitcnt lgkmcnt(0)
	v_mov_b32_e32 v7, s15
	v_add_co_u32_e32 v6, vcc, s14, v4
	v_lshlrev_b64 v[2:3], 3, v[2:3]
	v_addc_co_u32_e32 v7, vcc, v7, v5, vcc
	s_lshl_b64 s[0:1], s[2:3], 6
	v_mov_b32_e32 v4, s21
	v_add_co_u32_e32 v8, vcc, s20, v2
	s_lshl_b64 s[2:3], s[18:19], 6
	v_lshlrev_b32_e32 v12, 3, v0
	v_addc_co_u32_e32 v9, vcc, v4, v3, vcc
	v_mov_b32_e32 v16, 0
	v_mov_b32_e32 v14, s1
	;; [unrolled: 1-line block ×10, first 2 shown]
.LBB798_2:                              ; =>This Inner Loop Header: Depth=1
	flat_load_dwordx2 v[2:3], v[6:7]
	v_add_co_u32_e32 v6, vcc, s0, v6
	v_addc_co_u32_e32 v7, vcc, v7, v14, vcc
	s_add_i32 s9, s9, 8
	s_cmp_ge_i32 s9, s17
	s_waitcnt vmcnt(0) lgkmcnt(0)
	ds_write_b64 v10, v[2:3]
	flat_load_dwordx2 v[2:3], v[8:9]
	v_add_co_u32_e32 v8, vcc, s2, v8
	v_addc_co_u32_e32 v9, vcc, v9, v15, vcc
	s_waitcnt vmcnt(0) lgkmcnt(0)
	v_xor_b32_e32 v3, 0x80000000, v3
	ds_write_b64 v11, v[2:3]
	s_waitcnt lgkmcnt(0)
	s_barrier
	ds_read_b128 v[24:27], v13
	ds_read_b128 v[28:31], v13 offset:16
	ds_read_b128 v[32:35], v13 offset:32
	;; [unrolled: 1-line block ×3, first 2 shown]
	ds_read2_b64 v[36:39], v12 offset1:16
	s_waitcnt lgkmcnt(0)
	v_mul_f32_e32 v40, v25, v37
	v_mul_f32_e32 v41, v24, v37
	v_fma_f32 v40, v24, v36, -v40
	v_fmac_f32_e32 v41, v25, v36
	v_add_f32_e32 v40, v22, v40
	v_add_f32_e32 v41, v23, v41
	v_mul_f32_e32 v22, v25, v39
	v_mul_f32_e32 v23, v24, v39
	v_fma_f32 v22, v24, v38, -v22
	v_fmac_f32_e32 v23, v25, v38
	v_add_f32_e32 v24, v20, v22
	v_add_f32_e32 v25, v21, v23
	ds_read_b128 v[20:23], v13 offset:1024
	s_waitcnt lgkmcnt(0)
	v_mul_f32_e32 v42, v21, v37
	v_mul_f32_e32 v37, v20, v37
	v_fma_f32 v42, v20, v36, -v42
	v_fmac_f32_e32 v37, v21, v36
	v_add_f32_e32 v36, v18, v42
	v_add_f32_e32 v37, v19, v37
	v_mul_f32_e32 v18, v21, v39
	v_mul_f32_e32 v19, v20, v39
	v_fma_f32 v18, v20, v38, -v18
	v_fmac_f32_e32 v19, v21, v38
	v_add_f32_e32 v20, v17, v18
	v_add_f32_e32 v21, v16, v19
	ds_read2_b64 v[16:19], v12 offset0:32 offset1:48
	s_waitcnt lgkmcnt(0)
	v_mul_f32_e32 v38, v27, v17
	v_fma_f32 v38, v26, v16, -v38
	v_add_f32_e32 v38, v40, v38
	v_mul_f32_e32 v40, v27, v19
	v_mul_f32_e32 v39, v26, v17
	v_fma_f32 v40, v26, v18, -v40
	v_mul_f32_e32 v26, v26, v19
	v_fmac_f32_e32 v26, v27, v18
	v_add_f32_e32 v25, v25, v26
	v_mul_f32_e32 v26, v23, v17
	v_mul_f32_e32 v17, v22, v17
	v_fmac_f32_e32 v17, v23, v16
	v_fmac_f32_e32 v39, v27, v16
	v_fma_f32 v26, v22, v16, -v26
	v_add_f32_e32 v27, v37, v17
	v_mul_f32_e32 v16, v23, v19
	v_mul_f32_e32 v17, v22, v19
	v_fma_f32 v16, v22, v18, -v16
	v_fmac_f32_e32 v17, v23, v18
	v_add_f32_e32 v26, v36, v26
	v_add_f32_e32 v36, v20, v16
	;; [unrolled: 1-line block ×3, first 2 shown]
	ds_read2_b64 v[16:19], v12 offset0:64 offset1:80
	v_add_f32_e32 v39, v41, v39
	v_add_f32_e32 v24, v24, v40
	s_waitcnt lgkmcnt(0)
	v_mul_f32_e32 v20, v29, v17
	v_mul_f32_e32 v21, v28, v17
	v_fma_f32 v20, v28, v16, -v20
	v_fmac_f32_e32 v21, v29, v16
	v_add_f32_e32 v38, v38, v20
	v_add_f32_e32 v39, v39, v21
	v_mul_f32_e32 v20, v29, v19
	v_mul_f32_e32 v21, v28, v19
	v_fma_f32 v20, v28, v18, -v20
	v_fmac_f32_e32 v21, v29, v18
	v_add_f32_e32 v24, v24, v20
	v_add_f32_e32 v25, v25, v21
	ds_read_b128 v[20:23], v13 offset:1040
	s_waitcnt lgkmcnt(0)
	v_mul_f32_e32 v28, v21, v17
	v_mul_f32_e32 v17, v20, v17
	v_fmac_f32_e32 v17, v21, v16
	v_fma_f32 v28, v20, v16, -v28
	v_add_f32_e32 v27, v27, v17
	v_mul_f32_e32 v16, v21, v19
	v_mul_f32_e32 v17, v20, v19
	v_fma_f32 v16, v20, v18, -v16
	v_fmac_f32_e32 v17, v21, v18
	v_add_f32_e32 v20, v36, v16
	v_add_f32_e32 v21, v37, v17
	ds_read2_b64 v[16:19], v12 offset0:96 offset1:112
	v_add_f32_e32 v26, v26, v28
	s_waitcnt lgkmcnt(0)
	v_mul_f32_e32 v28, v31, v17
	v_mul_f32_e32 v36, v31, v19
	v_fma_f32 v28, v30, v16, -v28
	v_mul_f32_e32 v29, v30, v17
	v_fma_f32 v36, v30, v18, -v36
	v_mul_f32_e32 v30, v30, v19
	v_fmac_f32_e32 v30, v31, v18
	v_add_f32_e32 v25, v25, v30
	v_mul_f32_e32 v30, v23, v17
	v_mul_f32_e32 v17, v22, v17
	v_fmac_f32_e32 v17, v23, v16
	v_fmac_f32_e32 v29, v31, v16
	v_fma_f32 v30, v22, v16, -v30
	v_add_f32_e32 v27, v27, v17
	v_mul_f32_e32 v16, v23, v19
	v_mul_f32_e32 v17, v22, v19
	v_fma_f32 v16, v22, v18, -v16
	v_fmac_f32_e32 v17, v23, v18
	v_add_f32_e32 v26, v26, v30
	v_add_f32_e32 v30, v20, v16
	;; [unrolled: 1-line block ×3, first 2 shown]
	ds_read2_b64 v[16:19], v12 offset0:128 offset1:144
	v_add_f32_e32 v28, v38, v28
	v_add_f32_e32 v29, v39, v29
	;; [unrolled: 1-line block ×3, first 2 shown]
	s_waitcnt lgkmcnt(0)
	v_mul_f32_e32 v20, v33, v17
	v_mul_f32_e32 v21, v32, v17
	v_fma_f32 v20, v32, v16, -v20
	v_fmac_f32_e32 v21, v33, v16
	v_add_f32_e32 v28, v28, v20
	v_add_f32_e32 v29, v29, v21
	v_mul_f32_e32 v20, v33, v19
	v_mul_f32_e32 v21, v32, v19
	v_fma_f32 v20, v32, v18, -v20
	v_fmac_f32_e32 v21, v33, v18
	v_add_f32_e32 v24, v24, v20
	v_add_f32_e32 v25, v25, v21
	ds_read_b128 v[20:23], v13 offset:1056
	s_waitcnt lgkmcnt(0)
	v_mul_f32_e32 v32, v21, v17
	v_mul_f32_e32 v17, v20, v17
	v_fmac_f32_e32 v17, v21, v16
	v_fma_f32 v32, v20, v16, -v32
	v_add_f32_e32 v27, v27, v17
	v_mul_f32_e32 v16, v21, v19
	v_mul_f32_e32 v17, v20, v19
	v_fma_f32 v16, v20, v18, -v16
	v_fmac_f32_e32 v17, v21, v18
	v_add_f32_e32 v20, v30, v16
	v_add_f32_e32 v21, v31, v17
	ds_read2_b64 v[16:19], v12 offset0:160 offset1:176
	v_add_f32_e32 v26, v26, v32
	s_waitcnt lgkmcnt(0)
	v_mul_f32_e32 v30, v35, v17
	v_fma_f32 v30, v34, v16, -v30
	v_add_f32_e32 v28, v28, v30
	v_mul_f32_e32 v30, v35, v19
	v_fma_f32 v30, v34, v18, -v30
	v_mul_f32_e32 v31, v34, v17
	v_add_f32_e32 v24, v24, v30
	v_mul_f32_e32 v30, v23, v17
	v_mul_f32_e32 v17, v22, v17
	v_fmac_f32_e32 v17, v23, v16
	v_fmac_f32_e32 v31, v35, v16
	v_fma_f32 v30, v22, v16, -v30
	v_add_f32_e32 v27, v27, v17
	v_mul_f32_e32 v16, v23, v19
	v_mul_f32_e32 v17, v22, v19
	v_add_f32_e32 v29, v29, v31
	v_mul_f32_e32 v31, v34, v19
	v_fma_f32 v16, v22, v18, -v16
	v_fmac_f32_e32 v17, v23, v18
	v_fmac_f32_e32 v31, v35, v18
	v_add_f32_e32 v20, v20, v16
	v_add_f32_e32 v21, v21, v17
	ds_read2_b64 v[16:19], v12 offset0:192 offset1:208
	v_add_f32_e32 v26, v26, v30
	v_add_f32_e32 v25, v25, v31
	s_waitcnt lgkmcnt(0)
	v_mul_f32_e32 v22, v3, v17
	v_fma_f32 v22, v2, v16, -v22
	v_add_f32_e32 v30, v28, v22
	v_mul_f32_e32 v22, v3, v19
	v_mul_f32_e32 v23, v2, v17
	v_fma_f32 v22, v2, v18, -v22
	v_mul_f32_e32 v2, v2, v19
	v_fmac_f32_e32 v23, v3, v16
	v_fmac_f32_e32 v2, v3, v18
	v_add_f32_e32 v31, v29, v23
	v_add_f32_e32 v3, v24, v22
	;; [unrolled: 1-line block ×3, first 2 shown]
	ds_read_b128 v[22:25], v13 offset:1072
	s_waitcnt lgkmcnt(0)
	v_mul_f32_e32 v28, v23, v17
	v_fma_f32 v28, v22, v16, -v28
	v_mul_f32_e32 v17, v22, v17
	v_fmac_f32_e32 v17, v23, v16
	v_add_f32_e32 v16, v26, v28
	v_mul_f32_e32 v26, v23, v19
	v_fma_f32 v26, v22, v18, -v26
	v_add_f32_e32 v17, v27, v17
	v_add_f32_e32 v32, v20, v26
	ds_read2_b64 v[26:29], v12 offset0:224 offset1:240
	v_mul_f32_e32 v19, v22, v19
	v_fmac_f32_e32 v19, v23, v18
	v_add_f32_e32 v33, v21, v19
	s_waitcnt lgkmcnt(0)
	v_mul_f32_e32 v18, v5, v27
	v_fma_f32 v18, v4, v26, -v18
	v_add_f32_e32 v22, v30, v18
	v_mul_f32_e32 v18, v5, v29
	v_mul_f32_e32 v19, v4, v27
	v_fma_f32 v18, v4, v28, -v18
	v_mul_f32_e32 v4, v4, v29
	v_fmac_f32_e32 v4, v5, v28
	v_add_f32_e32 v20, v3, v18
	v_add_f32_e32 v21, v2, v4
	v_mul_f32_e32 v2, v25, v27
	v_mul_f32_e32 v3, v24, v27
	v_fmac_f32_e32 v19, v5, v26
	v_fma_f32 v2, v24, v26, -v2
	v_fmac_f32_e32 v3, v25, v26
	v_add_f32_e32 v23, v31, v19
	v_add_f32_e32 v18, v16, v2
	;; [unrolled: 1-line block ×3, first 2 shown]
	v_mul_f32_e32 v2, v25, v29
	v_mul_f32_e32 v3, v24, v29
	v_fma_f32 v2, v24, v28, -v2
	v_fmac_f32_e32 v3, v25, v28
	v_add_f32_e32 v17, v32, v2
	v_add_f32_e32 v16, v33, v3
	s_barrier
	s_cbranch_scc0 .LBB798_2
	s_branch .LBB798_4
.LBB798_3:
	v_mov_b32_e32 v22, 0
	v_mov_b32_e32 v23, 0
	;; [unrolled: 1-line block ×8, first 2 shown]
.LBB798_4:
	s_load_dword s8, s[4:5], 0x50
	v_add_u32_e32 v5, s7, v1
	s_waitcnt lgkmcnt(0)
	v_mov_b32_e32 v3, s11
	v_add_u32_e32 v0, s6, v0
	v_mad_i64_i32 v[1:2], s[0:1], v5, s8, 0
	v_cmp_le_i32_e64 s[0:1], v5, v0
	v_lshlrev_b64 v[1:2], 3, v[1:2]
	v_add_co_u32_e32 v4, vcc, s10, v1
	v_addc_co_u32_e32 v6, vcc, v3, v2, vcc
	v_cmp_gt_i32_e32 vcc, s16, v0
	s_and_b64 s[0:1], s[0:1], vcc
	s_and_saveexec_b64 s[2:3], s[0:1]
	s_cbranch_execz .LBB798_7
; %bb.5:
	v_mul_f32_e32 v1, s13, v23
	v_fma_f32 v7, v22, s12, -v1
	v_ashrrev_i32_e32 v1, 31, v0
	v_lshlrev_b64 v[1:2], 3, v[0:1]
	v_mul_f32_e32 v8, s12, v23
	v_add_co_u32_e64 v1, s[0:1], v4, v1
	v_addc_co_u32_e64 v2, s[0:1], v6, v2, s[0:1]
	v_fmac_f32_e32 v8, s13, v22
	v_cmp_eq_u32_e64 s[0:1], v5, v0
	flat_store_dwordx2 v[1:2], v[7:8]
	s_and_b64 exec, exec, s[0:1]
	s_cbranch_execz .LBB798_7
; %bb.6:
	v_mov_b32_e32 v3, 0
	flat_store_dword v[1:2], v3 offset:4
.LBB798_7:
	s_or_b64 exec, exec, s[2:3]
	v_add_u32_e32 v2, 16, v0
	v_cmp_le_i32_e64 s[2:3], v5, v2
	v_cmp_gt_i32_e64 s[0:1], s16, v2
	s_and_b64 s[2:3], s[2:3], s[0:1]
	s_and_saveexec_b64 s[4:5], s[2:3]
	s_cbranch_execz .LBB798_10
; %bb.8:
	v_ashrrev_i32_e32 v3, 31, v2
	v_lshlrev_b64 v[9:10], 3, v[2:3]
	v_mul_f32_e32 v1, s13, v21
	v_add_co_u32_e64 v3, s[2:3], v4, v9
	v_mul_f32_e32 v8, s12, v21
	v_addc_co_u32_e64 v4, s[2:3], v6, v10, s[2:3]
	v_fma_f32 v7, v20, s12, -v1
	v_fmac_f32_e32 v8, s13, v20
	v_cmp_eq_u32_e64 s[2:3], v5, v2
	flat_store_dwordx2 v[3:4], v[7:8]
	s_and_b64 exec, exec, s[2:3]
	s_cbranch_execz .LBB798_10
; %bb.9:
	v_mov_b32_e32 v1, 0
	flat_store_dword v[3:4], v1 offset:4
.LBB798_10:
	s_or_b64 exec, exec, s[4:5]
	v_add_u32_e32 v8, 16, v5
	v_mad_i64_i32 v[3:4], s[2:3], v8, s8, 0
	v_mov_b32_e32 v1, s11
	v_lshlrev_b64 v[3:4], 3, v[3:4]
	v_add_co_u32_e64 v6, s[2:3], s10, v3
	v_addc_co_u32_e64 v7, s[2:3], v1, v4, s[2:3]
	v_cmp_le_i32_e64 s[2:3], v8, v0
	s_and_b64 s[4:5], s[2:3], vcc
	s_and_saveexec_b64 s[2:3], s[4:5]
	s_cbranch_execz .LBB798_13
; %bb.11:
	v_mul_f32_e32 v1, s13, v19
	v_fma_f32 v9, v18, s12, -v1
	v_ashrrev_i32_e32 v1, 31, v0
	v_lshlrev_b64 v[3:4], 3, v[0:1]
	v_mul_f32_e32 v10, s12, v19
	v_add_co_u32_e32 v3, vcc, v6, v3
	v_addc_co_u32_e32 v4, vcc, v7, v4, vcc
	v_fmac_f32_e32 v10, s13, v18
	v_cmp_eq_u32_e32 vcc, v8, v0
	flat_store_dwordx2 v[3:4], v[9:10]
	s_and_b64 exec, exec, vcc
	s_cbranch_execz .LBB798_13
; %bb.12:
	v_mov_b32_e32 v1, 0
	flat_store_dword v[3:4], v1 offset:4
.LBB798_13:
	s_or_b64 exec, exec, s[2:3]
	v_cmp_le_i32_e32 vcc, v8, v2
	s_and_b64 s[0:1], vcc, s[0:1]
	s_and_saveexec_b64 s[2:3], s[0:1]
	s_cbranch_execz .LBB798_16
; %bb.14:
	v_mul_f32_e32 v1, s13, v16
	v_ashrrev_i32_e32 v3, 31, v2
	v_fma_f32 v8, v17, s12, -v1
	v_lshlrev_b64 v[1:2], 3, v[2:3]
	v_mul_f32_e32 v9, s12, v16
	v_add_co_u32_e32 v1, vcc, v6, v1
	v_addc_co_u32_e32 v2, vcc, v7, v2, vcc
	v_fmac_f32_e32 v9, s13, v17
	v_cmp_eq_u32_e32 vcc, v5, v0
	flat_store_dwordx2 v[1:2], v[8:9]
	s_and_b64 exec, exec, vcc
	s_cbranch_execz .LBB798_16
; %bb.15:
	v_mov_b32_e32 v0, 0
	flat_store_dword v[1:2], v0 offset:4
.LBB798_16:
	s_endpgm
	.section	.rodata,"a",@progbits
	.p2align	6, 0x0
	.amdhsa_kernel _ZL37rocblas_syrkx_herkx_restricted_kernelIi19rocblas_complex_numIfELi16ELi32ELi8ELb1ELb1ELc78ELc76EKPKS1_KPS1_EviT_T0_PT8_S7_lSA_S7_lS8_PT9_S7_li
		.amdhsa_group_segment_fixed_size 4096
		.amdhsa_private_segment_fixed_size 0
		.amdhsa_kernarg_size 100
		.amdhsa_user_sgpr_count 6
		.amdhsa_user_sgpr_private_segment_buffer 1
		.amdhsa_user_sgpr_dispatch_ptr 0
		.amdhsa_user_sgpr_queue_ptr 0
		.amdhsa_user_sgpr_kernarg_segment_ptr 1
		.amdhsa_user_sgpr_dispatch_id 0
		.amdhsa_user_sgpr_flat_scratch_init 0
		.amdhsa_user_sgpr_private_segment_size 0
		.amdhsa_uses_dynamic_stack 0
		.amdhsa_system_sgpr_private_segment_wavefront_offset 0
		.amdhsa_system_sgpr_workgroup_id_x 1
		.amdhsa_system_sgpr_workgroup_id_y 1
		.amdhsa_system_sgpr_workgroup_id_z 1
		.amdhsa_system_sgpr_workgroup_info 0
		.amdhsa_system_vgpr_workitem_id 1
		.amdhsa_next_free_vgpr 43
		.amdhsa_next_free_sgpr 22
		.amdhsa_reserve_vcc 1
		.amdhsa_reserve_flat_scratch 0
		.amdhsa_float_round_mode_32 0
		.amdhsa_float_round_mode_16_64 0
		.amdhsa_float_denorm_mode_32 3
		.amdhsa_float_denorm_mode_16_64 3
		.amdhsa_dx10_clamp 1
		.amdhsa_ieee_mode 1
		.amdhsa_fp16_overflow 0
		.amdhsa_exception_fp_ieee_invalid_op 0
		.amdhsa_exception_fp_denorm_src 0
		.amdhsa_exception_fp_ieee_div_zero 0
		.amdhsa_exception_fp_ieee_overflow 0
		.amdhsa_exception_fp_ieee_underflow 0
		.amdhsa_exception_fp_ieee_inexact 0
		.amdhsa_exception_int_div_zero 0
	.end_amdhsa_kernel
	.section	.text._ZL37rocblas_syrkx_herkx_restricted_kernelIi19rocblas_complex_numIfELi16ELi32ELi8ELb1ELb1ELc78ELc76EKPKS1_KPS1_EviT_T0_PT8_S7_lSA_S7_lS8_PT9_S7_li,"axG",@progbits,_ZL37rocblas_syrkx_herkx_restricted_kernelIi19rocblas_complex_numIfELi16ELi32ELi8ELb1ELb1ELc78ELc76EKPKS1_KPS1_EviT_T0_PT8_S7_lSA_S7_lS8_PT9_S7_li,comdat
.Lfunc_end798:
	.size	_ZL37rocblas_syrkx_herkx_restricted_kernelIi19rocblas_complex_numIfELi16ELi32ELi8ELb1ELb1ELc78ELc76EKPKS1_KPS1_EviT_T0_PT8_S7_lSA_S7_lS8_PT9_S7_li, .Lfunc_end798-_ZL37rocblas_syrkx_herkx_restricted_kernelIi19rocblas_complex_numIfELi16ELi32ELi8ELb1ELb1ELc78ELc76EKPKS1_KPS1_EviT_T0_PT8_S7_lSA_S7_lS8_PT9_S7_li
                                        ; -- End function
	.set _ZL37rocblas_syrkx_herkx_restricted_kernelIi19rocblas_complex_numIfELi16ELi32ELi8ELb1ELb1ELc78ELc76EKPKS1_KPS1_EviT_T0_PT8_S7_lSA_S7_lS8_PT9_S7_li.num_vgpr, 43
	.set _ZL37rocblas_syrkx_herkx_restricted_kernelIi19rocblas_complex_numIfELi16ELi32ELi8ELb1ELb1ELc78ELc76EKPKS1_KPS1_EviT_T0_PT8_S7_lSA_S7_lS8_PT9_S7_li.num_agpr, 0
	.set _ZL37rocblas_syrkx_herkx_restricted_kernelIi19rocblas_complex_numIfELi16ELi32ELi8ELb1ELb1ELc78ELc76EKPKS1_KPS1_EviT_T0_PT8_S7_lSA_S7_lS8_PT9_S7_li.numbered_sgpr, 22
	.set _ZL37rocblas_syrkx_herkx_restricted_kernelIi19rocblas_complex_numIfELi16ELi32ELi8ELb1ELb1ELc78ELc76EKPKS1_KPS1_EviT_T0_PT8_S7_lSA_S7_lS8_PT9_S7_li.num_named_barrier, 0
	.set _ZL37rocblas_syrkx_herkx_restricted_kernelIi19rocblas_complex_numIfELi16ELi32ELi8ELb1ELb1ELc78ELc76EKPKS1_KPS1_EviT_T0_PT8_S7_lSA_S7_lS8_PT9_S7_li.private_seg_size, 0
	.set _ZL37rocblas_syrkx_herkx_restricted_kernelIi19rocblas_complex_numIfELi16ELi32ELi8ELb1ELb1ELc78ELc76EKPKS1_KPS1_EviT_T0_PT8_S7_lSA_S7_lS8_PT9_S7_li.uses_vcc, 1
	.set _ZL37rocblas_syrkx_herkx_restricted_kernelIi19rocblas_complex_numIfELi16ELi32ELi8ELb1ELb1ELc78ELc76EKPKS1_KPS1_EviT_T0_PT8_S7_lSA_S7_lS8_PT9_S7_li.uses_flat_scratch, 0
	.set _ZL37rocblas_syrkx_herkx_restricted_kernelIi19rocblas_complex_numIfELi16ELi32ELi8ELb1ELb1ELc78ELc76EKPKS1_KPS1_EviT_T0_PT8_S7_lSA_S7_lS8_PT9_S7_li.has_dyn_sized_stack, 0
	.set _ZL37rocblas_syrkx_herkx_restricted_kernelIi19rocblas_complex_numIfELi16ELi32ELi8ELb1ELb1ELc78ELc76EKPKS1_KPS1_EviT_T0_PT8_S7_lSA_S7_lS8_PT9_S7_li.has_recursion, 0
	.set _ZL37rocblas_syrkx_herkx_restricted_kernelIi19rocblas_complex_numIfELi16ELi32ELi8ELb1ELb1ELc78ELc76EKPKS1_KPS1_EviT_T0_PT8_S7_lSA_S7_lS8_PT9_S7_li.has_indirect_call, 0
	.section	.AMDGPU.csdata,"",@progbits
; Kernel info:
; codeLenInByte = 2040
; TotalNumSgprs: 26
; NumVgprs: 43
; ScratchSize: 0
; MemoryBound: 0
; FloatMode: 240
; IeeeMode: 1
; LDSByteSize: 4096 bytes/workgroup (compile time only)
; SGPRBlocks: 3
; VGPRBlocks: 10
; NumSGPRsForWavesPerEU: 26
; NumVGPRsForWavesPerEU: 43
; Occupancy: 5
; WaveLimiterHint : 1
; COMPUTE_PGM_RSRC2:SCRATCH_EN: 0
; COMPUTE_PGM_RSRC2:USER_SGPR: 6
; COMPUTE_PGM_RSRC2:TRAP_HANDLER: 0
; COMPUTE_PGM_RSRC2:TGID_X_EN: 1
; COMPUTE_PGM_RSRC2:TGID_Y_EN: 1
; COMPUTE_PGM_RSRC2:TGID_Z_EN: 1
; COMPUTE_PGM_RSRC2:TIDIG_COMP_CNT: 1
	.section	.text._ZL37rocblas_syrkx_herkx_restricted_kernelIi19rocblas_complex_numIfELi16ELi32ELi8ELb1ELb1ELc84ELc85EKPKS1_KPS1_EviT_T0_PT8_S7_lSA_S7_lS8_PT9_S7_li,"axG",@progbits,_ZL37rocblas_syrkx_herkx_restricted_kernelIi19rocblas_complex_numIfELi16ELi32ELi8ELb1ELb1ELc84ELc85EKPKS1_KPS1_EviT_T0_PT8_S7_lSA_S7_lS8_PT9_S7_li,comdat
	.globl	_ZL37rocblas_syrkx_herkx_restricted_kernelIi19rocblas_complex_numIfELi16ELi32ELi8ELb1ELb1ELc84ELc85EKPKS1_KPS1_EviT_T0_PT8_S7_lSA_S7_lS8_PT9_S7_li ; -- Begin function _ZL37rocblas_syrkx_herkx_restricted_kernelIi19rocblas_complex_numIfELi16ELi32ELi8ELb1ELb1ELc84ELc85EKPKS1_KPS1_EviT_T0_PT8_S7_lSA_S7_lS8_PT9_S7_li
	.p2align	8
	.type	_ZL37rocblas_syrkx_herkx_restricted_kernelIi19rocblas_complex_numIfELi16ELi32ELi8ELb1ELb1ELc84ELc85EKPKS1_KPS1_EviT_T0_PT8_S7_lSA_S7_lS8_PT9_S7_li,@function
_ZL37rocblas_syrkx_herkx_restricted_kernelIi19rocblas_complex_numIfELi16ELi32ELi8ELb1ELb1ELc84ELc85EKPKS1_KPS1_EviT_T0_PT8_S7_lSA_S7_lS8_PT9_S7_li: ; @_ZL37rocblas_syrkx_herkx_restricted_kernelIi19rocblas_complex_numIfELi16ELi32ELi8ELb1ELb1ELc84ELc85EKPKS1_KPS1_EviT_T0_PT8_S7_lSA_S7_lS8_PT9_S7_li
; %bb.0:
	s_load_dwordx2 s[10:11], s[4:5], 0x48
	s_load_dwordx2 s[2:3], s[4:5], 0x0
	s_load_dwordx4 s[12:15], s[4:5], 0x8
	s_mov_b32 s9, 0
	s_lshl_b64 s[0:1], s[8:9], 3
	s_waitcnt lgkmcnt(0)
	s_add_u32 s10, s10, s0
	s_addc_u32 s11, s11, s1
	s_load_dwordx2 s[10:11], s[10:11], 0x0
	s_lshl_b32 s6, s6, 5
	s_lshl_b32 s7, s7, 5
	s_cmp_lt_i32 s3, 1
	s_cbranch_scc1 .LBB799_3
; %bb.1:
	s_load_dword s8, s[4:5], 0x18
	s_load_dwordx2 s[16:17], s[4:5], 0x28
	s_load_dword s18, s[4:5], 0x30
	v_lshl_add_u32 v3, v1, 4, v0
	v_and_b32_e32 v7, 31, v3
	s_add_u32 s14, s14, s0
	v_lshrrev_b32_e32 v2, 5, v3
	v_and_b32_e32 v9, 7, v0
	v_lshlrev_b32_e32 v8, 3, v7
	s_addc_u32 s15, s15, s1
	v_lshrrev_b32_e32 v6, 3, v3
	v_lshl_or_b32 v11, v2, 8, v8
	v_lshlrev_b32_e32 v8, 3, v9
	s_waitcnt lgkmcnt(0)
	s_add_u32 s0, s16, s0
	v_add_u32_e32 v3, s7, v6
	v_mov_b32_e32 v10, 0
	v_lshl_or_b32 v6, v6, 6, v8
	s_addc_u32 s1, s17, s1
	v_mad_i64_i32 v[4:5], s[16:17], s18, v3, v[9:10]
	v_mov_b32_e32 v3, v10
	v_add_u32_e32 v12, 0x800, v6
	v_add_u32_e32 v6, s6, v7
	v_mad_i64_i32 v[2:3], s[16:17], s8, v6, v[2:3]
	s_load_dwordx2 s[14:15], s[14:15], 0x0
	v_mov_b32_e32 v6, 0x800
	s_load_dwordx2 s[0:1], s[0:1], 0x0
	v_lshlrev_b64 v[2:3], 3, v[2:3]
	v_lshl_add_u32 v14, v1, 6, v6
	s_waitcnt lgkmcnt(0)
	v_mov_b32_e32 v7, s15
	v_add_co_u32_e32 v6, vcc, s14, v2
	v_addc_co_u32_e32 v7, vcc, v7, v3, vcc
	v_lshlrev_b64 v[2:3], 3, v[4:5]
	v_mov_b32_e32 v4, s1
	v_add_co_u32_e32 v8, vcc, s0, v2
	v_lshlrev_b32_e32 v13, 3, v0
	v_addc_co_u32_e32 v9, vcc, v4, v3, vcc
	v_mov_b32_e32 v15, v10
	v_mov_b32_e32 v17, v10
	;; [unrolled: 1-line block ×7, first 2 shown]
.LBB799_2:                              ; =>This Inner Loop Header: Depth=1
	flat_load_dwordx2 v[2:3], v[6:7]
	v_add_co_u32_e32 v6, vcc, 64, v6
	v_addc_co_u32_e32 v7, vcc, 0, v7, vcc
	s_add_i32 s9, s9, 8
	s_cmp_ge_i32 s9, s3
	s_waitcnt vmcnt(0) lgkmcnt(0)
	ds_write_b64 v11, v[2:3]
	flat_load_dwordx2 v[2:3], v[8:9]
	v_add_co_u32_e32 v8, vcc, 64, v8
	v_addc_co_u32_e32 v9, vcc, 0, v9, vcc
	s_waitcnt vmcnt(0) lgkmcnt(0)
	ds_write_b64 v12, v[2:3]
	s_waitcnt lgkmcnt(0)
	s_barrier
	ds_read_b128 v[22:25], v14
	ds_read_b128 v[26:29], v14 offset:16
	ds_read_b128 v[30:33], v14 offset:32
	;; [unrolled: 1-line block ×3, first 2 shown]
	ds_read2_b64 v[34:37], v13 offset1:16
	s_waitcnt lgkmcnt(0)
	v_mul_f32_e32 v38, v23, v35
	v_mul_f32_e32 v39, v22, v35
	v_fma_f32 v38, v22, v34, -v38
	v_fmac_f32_e32 v39, v23, v34
	v_add_f32_e32 v38, v20, v38
	v_add_f32_e32 v39, v21, v39
	v_mul_f32_e32 v20, v23, v37
	v_mul_f32_e32 v21, v22, v37
	v_fma_f32 v20, v22, v36, -v20
	v_fmac_f32_e32 v21, v23, v36
	v_add_f32_e32 v22, v18, v20
	v_add_f32_e32 v23, v19, v21
	ds_read_b128 v[18:21], v14 offset:1024
	s_waitcnt lgkmcnt(0)
	v_mul_f32_e32 v40, v19, v35
	v_mul_f32_e32 v35, v18, v35
	v_fma_f32 v40, v18, v34, -v40
	v_fmac_f32_e32 v35, v19, v34
	v_add_f32_e32 v34, v16, v40
	v_add_f32_e32 v35, v17, v35
	v_mul_f32_e32 v16, v19, v37
	v_mul_f32_e32 v17, v18, v37
	v_fma_f32 v16, v18, v36, -v16
	v_fmac_f32_e32 v17, v19, v36
	v_add_f32_e32 v19, v15, v16
	v_add_f32_e32 v10, v10, v17
	ds_read2_b64 v[15:18], v13 offset0:32 offset1:48
	s_waitcnt lgkmcnt(0)
	v_mul_f32_e32 v36, v25, v16
	v_fma_f32 v36, v24, v15, -v36
	v_add_f32_e32 v36, v38, v36
	v_mul_f32_e32 v38, v25, v18
	v_mul_f32_e32 v37, v24, v16
	v_fma_f32 v38, v24, v17, -v38
	v_mul_f32_e32 v24, v24, v18
	v_fmac_f32_e32 v24, v25, v17
	v_add_f32_e32 v23, v23, v24
	v_mul_f32_e32 v24, v21, v16
	v_mul_f32_e32 v16, v20, v16
	v_fmac_f32_e32 v16, v21, v15
	v_fmac_f32_e32 v37, v25, v15
	v_fma_f32 v24, v20, v15, -v24
	v_add_f32_e32 v25, v35, v16
	v_mul_f32_e32 v15, v21, v18
	v_mul_f32_e32 v16, v20, v18
	v_fma_f32 v15, v20, v17, -v15
	v_fmac_f32_e32 v16, v21, v17
	v_add_f32_e32 v24, v34, v24
	v_add_f32_e32 v34, v19, v15
	;; [unrolled: 1-line block ×3, first 2 shown]
	ds_read2_b64 v[15:18], v13 offset0:64 offset1:80
	v_add_f32_e32 v37, v39, v37
	v_add_f32_e32 v22, v22, v38
	s_waitcnt lgkmcnt(0)
	v_mul_f32_e32 v19, v27, v16
	v_mul_f32_e32 v20, v26, v16
	v_fma_f32 v19, v26, v15, -v19
	v_fmac_f32_e32 v20, v27, v15
	v_add_f32_e32 v35, v36, v19
	v_add_f32_e32 v36, v37, v20
	v_mul_f32_e32 v19, v27, v18
	v_mul_f32_e32 v20, v26, v18
	v_fma_f32 v19, v26, v17, -v19
	v_fmac_f32_e32 v20, v27, v17
	v_add_f32_e32 v26, v22, v19
	v_add_f32_e32 v23, v23, v20
	ds_read_b128 v[19:22], v14 offset:1040
	s_waitcnt lgkmcnt(0)
	v_mul_f32_e32 v27, v20, v16
	v_mul_f32_e32 v16, v19, v16
	v_fmac_f32_e32 v16, v20, v15
	v_fma_f32 v27, v19, v15, -v27
	v_add_f32_e32 v25, v25, v16
	v_mul_f32_e32 v15, v20, v18
	v_mul_f32_e32 v16, v19, v18
	v_fma_f32 v15, v19, v17, -v15
	v_fmac_f32_e32 v16, v20, v17
	v_add_f32_e32 v19, v34, v15
	v_add_f32_e32 v10, v10, v16
	ds_read2_b64 v[15:18], v13 offset0:96 offset1:112
	v_add_f32_e32 v24, v24, v27
	s_waitcnt lgkmcnt(0)
	v_mul_f32_e32 v20, v29, v16
	v_mul_f32_e32 v34, v29, v18
	v_fma_f32 v20, v28, v15, -v20
	v_mul_f32_e32 v27, v28, v16
	v_fma_f32 v34, v28, v17, -v34
	v_mul_f32_e32 v28, v28, v18
	v_fmac_f32_e32 v28, v29, v17
	v_add_f32_e32 v23, v23, v28
	v_mul_f32_e32 v28, v22, v16
	v_mul_f32_e32 v16, v21, v16
	v_fmac_f32_e32 v16, v22, v15
	v_fmac_f32_e32 v27, v29, v15
	v_fma_f32 v28, v21, v15, -v28
	v_add_f32_e32 v25, v25, v16
	v_mul_f32_e32 v15, v22, v18
	v_mul_f32_e32 v16, v21, v18
	v_fma_f32 v15, v21, v17, -v15
	v_fmac_f32_e32 v16, v22, v17
	v_add_f32_e32 v24, v24, v28
	v_add_f32_e32 v28, v19, v15
	;; [unrolled: 1-line block ×3, first 2 shown]
	ds_read2_b64 v[15:18], v13 offset0:128 offset1:144
	v_add_f32_e32 v20, v35, v20
	v_add_f32_e32 v27, v36, v27
	;; [unrolled: 1-line block ×3, first 2 shown]
	s_waitcnt lgkmcnt(0)
	v_mul_f32_e32 v19, v31, v16
	v_fma_f32 v19, v30, v15, -v19
	v_mul_f32_e32 v21, v30, v16
	v_add_f32_e32 v29, v20, v19
	v_mul_f32_e32 v19, v31, v18
	v_mul_f32_e32 v20, v30, v18
	v_fmac_f32_e32 v21, v31, v15
	v_fma_f32 v19, v30, v17, -v19
	v_fmac_f32_e32 v20, v31, v17
	v_add_f32_e32 v27, v27, v21
	v_add_f32_e32 v26, v26, v19
	v_add_f32_e32 v23, v23, v20
	ds_read_b128 v[19:22], v14 offset:1056
	s_waitcnt lgkmcnt(0)
	v_mul_f32_e32 v30, v20, v16
	v_mul_f32_e32 v16, v19, v16
	v_fmac_f32_e32 v16, v20, v15
	v_fma_f32 v30, v19, v15, -v30
	v_add_f32_e32 v25, v25, v16
	v_mul_f32_e32 v15, v20, v18
	v_mul_f32_e32 v16, v19, v18
	v_fma_f32 v15, v19, v17, -v15
	v_fmac_f32_e32 v16, v20, v17
	v_add_f32_e32 v19, v28, v15
	v_add_f32_e32 v10, v10, v16
	ds_read2_b64 v[15:18], v13 offset0:160 offset1:176
	v_add_f32_e32 v24, v24, v30
	s_waitcnt lgkmcnt(0)
	v_mul_f32_e32 v28, v32, v16
	v_fmac_f32_e32 v28, v33, v15
	v_add_f32_e32 v27, v27, v28
	v_mul_f32_e32 v28, v33, v18
	v_fma_f32 v28, v32, v17, -v28
	v_mul_f32_e32 v20, v33, v16
	v_add_f32_e32 v26, v26, v28
	v_mul_f32_e32 v28, v22, v16
	v_mul_f32_e32 v16, v21, v16
	v_fmac_f32_e32 v16, v22, v15
	v_fma_f32 v20, v32, v15, -v20
	v_fma_f32 v28, v21, v15, -v28
	v_add_f32_e32 v25, v25, v16
	v_mul_f32_e32 v15, v22, v18
	v_mul_f32_e32 v16, v21, v18
	v_add_f32_e32 v20, v29, v20
	v_mul_f32_e32 v29, v32, v18
	v_fma_f32 v15, v21, v17, -v15
	v_fmac_f32_e32 v16, v22, v17
	v_fmac_f32_e32 v29, v33, v17
	v_add_f32_e32 v19, v19, v15
	v_add_f32_e32 v10, v10, v16
	ds_read2_b64 v[15:18], v13 offset0:192 offset1:208
	v_add_f32_e32 v24, v24, v28
	v_add_f32_e32 v23, v23, v29
	s_waitcnt lgkmcnt(0)
	v_mul_f32_e32 v21, v3, v16
	v_fma_f32 v21, v2, v15, -v21
	v_add_f32_e32 v28, v20, v21
	v_mul_f32_e32 v20, v3, v18
	v_mul_f32_e32 v22, v2, v16
	v_fma_f32 v20, v2, v17, -v20
	v_mul_f32_e32 v2, v2, v18
	v_fmac_f32_e32 v22, v3, v15
	v_fmac_f32_e32 v2, v3, v17
	v_add_f32_e32 v29, v27, v22
	v_add_f32_e32 v3, v26, v20
	;; [unrolled: 1-line block ×3, first 2 shown]
	ds_read_b128 v[20:23], v14 offset:1072
	s_waitcnt lgkmcnt(0)
	v_mul_f32_e32 v26, v21, v16
	v_mul_f32_e32 v16, v20, v16
	v_fma_f32 v26, v20, v15, -v26
	v_fmac_f32_e32 v16, v21, v15
	v_add_f32_e32 v15, v24, v26
	v_add_f32_e32 v30, v25, v16
	ds_read2_b64 v[24:27], v13 offset0:224 offset1:240
	v_mul_f32_e32 v16, v21, v18
	v_fma_f32 v16, v20, v17, -v16
	v_add_f32_e32 v31, v19, v16
	v_mul_f32_e32 v18, v20, v18
	s_waitcnt lgkmcnt(0)
	v_mul_f32_e32 v16, v5, v25
	v_fma_f32 v16, v4, v24, -v16
	v_add_f32_e32 v20, v28, v16
	v_mul_f32_e32 v16, v5, v27
	v_fmac_f32_e32 v18, v21, v17
	v_mul_f32_e32 v17, v4, v25
	v_fma_f32 v16, v4, v26, -v16
	v_mul_f32_e32 v4, v4, v27
	v_fmac_f32_e32 v4, v5, v26
	v_add_f32_e32 v10, v10, v18
	v_add_f32_e32 v18, v3, v16
	;; [unrolled: 1-line block ×3, first 2 shown]
	v_mul_f32_e32 v2, v23, v25
	v_mul_f32_e32 v3, v22, v25
	v_fmac_f32_e32 v17, v5, v24
	v_fma_f32 v2, v22, v24, -v2
	v_fmac_f32_e32 v3, v23, v24
	v_add_f32_e32 v21, v29, v17
	v_add_f32_e32 v16, v15, v2
	;; [unrolled: 1-line block ×3, first 2 shown]
	v_mul_f32_e32 v2, v23, v27
	v_mul_f32_e32 v3, v22, v27
	v_fma_f32 v2, v22, v26, -v2
	v_fmac_f32_e32 v3, v23, v26
	v_add_f32_e32 v15, v31, v2
	v_add_f32_e32 v10, v10, v3
	s_barrier
	s_cbranch_scc0 .LBB799_2
	s_branch .LBB799_4
.LBB799_3:
	v_mov_b32_e32 v20, 0
	v_mov_b32_e32 v21, 0
	;; [unrolled: 1-line block ×8, first 2 shown]
.LBB799_4:
	s_load_dword s3, s[4:5], 0x50
	v_add_u32_e32 v5, s7, v1
	s_waitcnt lgkmcnt(0)
	v_mov_b32_e32 v3, s11
	v_add_u32_e32 v0, s6, v0
	v_cmp_gt_i32_e32 vcc, s2, v5
	v_mad_i64_i32 v[1:2], s[0:1], v5, s3, 0
	v_lshlrev_b64 v[1:2], 3, v[1:2]
	v_add_co_u32_e64 v4, s[0:1], s10, v1
	v_addc_co_u32_e64 v6, s[0:1], v3, v2, s[0:1]
	v_cmp_le_i32_e64 s[0:1], v0, v5
	s_and_b64 s[0:1], vcc, s[0:1]
	s_and_saveexec_b64 s[4:5], s[0:1]
	s_cbranch_execz .LBB799_7
; %bb.5:
	v_mul_f32_e32 v1, s13, v21
	v_fma_f32 v7, v20, s12, -v1
	v_ashrrev_i32_e32 v1, 31, v0
	v_lshlrev_b64 v[1:2], 3, v[0:1]
	v_mul_f32_e32 v8, s12, v21
	v_add_co_u32_e64 v1, s[0:1], v4, v1
	v_addc_co_u32_e64 v2, s[0:1], v6, v2, s[0:1]
	v_fmac_f32_e32 v8, s13, v20
	v_cmp_eq_u32_e64 s[0:1], v5, v0
	flat_store_dwordx2 v[1:2], v[7:8]
	s_and_b64 exec, exec, s[0:1]
	s_cbranch_execz .LBB799_7
; %bb.6:
	v_mov_b32_e32 v3, 0
	flat_store_dword v[1:2], v3 offset:4
.LBB799_7:
	s_or_b64 exec, exec, s[4:5]
	v_add_u32_e32 v2, 16, v0
	v_cmp_le_i32_e64 s[0:1], v2, v5
	s_and_b64 s[4:5], vcc, s[0:1]
	s_and_saveexec_b64 s[0:1], s[4:5]
	s_cbranch_execz .LBB799_10
; %bb.8:
	v_ashrrev_i32_e32 v3, 31, v2
	v_lshlrev_b64 v[11:12], 3, v[2:3]
	v_mul_f32_e32 v1, s13, v19
	v_add_co_u32_e32 v3, vcc, v4, v11
	v_mul_f32_e32 v8, s12, v19
	v_addc_co_u32_e32 v4, vcc, v6, v12, vcc
	v_fma_f32 v7, v18, s12, -v1
	v_fmac_f32_e32 v8, s13, v18
	v_cmp_eq_u32_e32 vcc, v5, v2
	flat_store_dwordx2 v[3:4], v[7:8]
	s_and_b64 exec, exec, vcc
	s_cbranch_execz .LBB799_10
; %bb.9:
	v_mov_b32_e32 v1, 0
	flat_store_dword v[3:4], v1 offset:4
.LBB799_10:
	s_or_b64 exec, exec, s[0:1]
	v_add_u32_e32 v8, 16, v5
	v_mad_i64_i32 v[3:4], s[0:1], v8, s3, 0
	v_mov_b32_e32 v1, s11
	v_cmp_gt_i32_e32 vcc, s2, v8
	v_lshlrev_b64 v[3:4], 3, v[3:4]
	v_add_co_u32_e64 v6, s[0:1], s10, v3
	v_addc_co_u32_e64 v7, s[0:1], v1, v4, s[0:1]
	v_cmp_le_i32_e64 s[0:1], v0, v8
	s_and_b64 s[0:1], vcc, s[0:1]
	s_and_saveexec_b64 s[2:3], s[0:1]
	s_cbranch_execz .LBB799_13
; %bb.11:
	v_mul_f32_e32 v1, s13, v17
	v_fma_f32 v11, v16, s12, -v1
	v_ashrrev_i32_e32 v1, 31, v0
	v_lshlrev_b64 v[3:4], 3, v[0:1]
	v_mul_f32_e32 v12, s12, v17
	v_add_co_u32_e64 v3, s[0:1], v6, v3
	v_addc_co_u32_e64 v4, s[0:1], v7, v4, s[0:1]
	v_fmac_f32_e32 v12, s13, v16
	v_cmp_eq_u32_e64 s[0:1], v8, v0
	flat_store_dwordx2 v[3:4], v[11:12]
	s_and_b64 exec, exec, s[0:1]
	s_cbranch_execz .LBB799_13
; %bb.12:
	v_mov_b32_e32 v1, 0
	flat_store_dword v[3:4], v1 offset:4
.LBB799_13:
	s_or_b64 exec, exec, s[2:3]
	v_cmp_le_i32_e64 s[0:1], v2, v8
	s_and_b64 s[0:1], vcc, s[0:1]
	s_and_saveexec_b64 s[2:3], s[0:1]
	s_cbranch_execz .LBB799_16
; %bb.14:
	v_mul_f32_e32 v1, s13, v10
	v_ashrrev_i32_e32 v3, 31, v2
	v_fma_f32 v8, v15, s12, -v1
	v_lshlrev_b64 v[1:2], 3, v[2:3]
	v_mul_f32_e32 v9, s12, v10
	v_add_co_u32_e32 v1, vcc, v6, v1
	v_addc_co_u32_e32 v2, vcc, v7, v2, vcc
	v_fmac_f32_e32 v9, s13, v15
	v_cmp_eq_u32_e32 vcc, v5, v0
	flat_store_dwordx2 v[1:2], v[8:9]
	s_and_b64 exec, exec, vcc
	s_cbranch_execz .LBB799_16
; %bb.15:
	v_mov_b32_e32 v0, 0
	flat_store_dword v[1:2], v0 offset:4
.LBB799_16:
	s_endpgm
	.section	.rodata,"a",@progbits
	.p2align	6, 0x0
	.amdhsa_kernel _ZL37rocblas_syrkx_herkx_restricted_kernelIi19rocblas_complex_numIfELi16ELi32ELi8ELb1ELb1ELc84ELc85EKPKS1_KPS1_EviT_T0_PT8_S7_lSA_S7_lS8_PT9_S7_li
		.amdhsa_group_segment_fixed_size 4096
		.amdhsa_private_segment_fixed_size 0
		.amdhsa_kernarg_size 100
		.amdhsa_user_sgpr_count 6
		.amdhsa_user_sgpr_private_segment_buffer 1
		.amdhsa_user_sgpr_dispatch_ptr 0
		.amdhsa_user_sgpr_queue_ptr 0
		.amdhsa_user_sgpr_kernarg_segment_ptr 1
		.amdhsa_user_sgpr_dispatch_id 0
		.amdhsa_user_sgpr_flat_scratch_init 0
		.amdhsa_user_sgpr_private_segment_size 0
		.amdhsa_uses_dynamic_stack 0
		.amdhsa_system_sgpr_private_segment_wavefront_offset 0
		.amdhsa_system_sgpr_workgroup_id_x 1
		.amdhsa_system_sgpr_workgroup_id_y 1
		.amdhsa_system_sgpr_workgroup_id_z 1
		.amdhsa_system_sgpr_workgroup_info 0
		.amdhsa_system_vgpr_workitem_id 1
		.amdhsa_next_free_vgpr 41
		.amdhsa_next_free_sgpr 19
		.amdhsa_reserve_vcc 1
		.amdhsa_reserve_flat_scratch 0
		.amdhsa_float_round_mode_32 0
		.amdhsa_float_round_mode_16_64 0
		.amdhsa_float_denorm_mode_32 3
		.amdhsa_float_denorm_mode_16_64 3
		.amdhsa_dx10_clamp 1
		.amdhsa_ieee_mode 1
		.amdhsa_fp16_overflow 0
		.amdhsa_exception_fp_ieee_invalid_op 0
		.amdhsa_exception_fp_denorm_src 0
		.amdhsa_exception_fp_ieee_div_zero 0
		.amdhsa_exception_fp_ieee_overflow 0
		.amdhsa_exception_fp_ieee_underflow 0
		.amdhsa_exception_fp_ieee_inexact 0
		.amdhsa_exception_int_div_zero 0
	.end_amdhsa_kernel
	.section	.text._ZL37rocblas_syrkx_herkx_restricted_kernelIi19rocblas_complex_numIfELi16ELi32ELi8ELb1ELb1ELc84ELc85EKPKS1_KPS1_EviT_T0_PT8_S7_lSA_S7_lS8_PT9_S7_li,"axG",@progbits,_ZL37rocblas_syrkx_herkx_restricted_kernelIi19rocblas_complex_numIfELi16ELi32ELi8ELb1ELb1ELc84ELc85EKPKS1_KPS1_EviT_T0_PT8_S7_lSA_S7_lS8_PT9_S7_li,comdat
.Lfunc_end799:
	.size	_ZL37rocblas_syrkx_herkx_restricted_kernelIi19rocblas_complex_numIfELi16ELi32ELi8ELb1ELb1ELc84ELc85EKPKS1_KPS1_EviT_T0_PT8_S7_lSA_S7_lS8_PT9_S7_li, .Lfunc_end799-_ZL37rocblas_syrkx_herkx_restricted_kernelIi19rocblas_complex_numIfELi16ELi32ELi8ELb1ELb1ELc84ELc85EKPKS1_KPS1_EviT_T0_PT8_S7_lSA_S7_lS8_PT9_S7_li
                                        ; -- End function
	.set _ZL37rocblas_syrkx_herkx_restricted_kernelIi19rocblas_complex_numIfELi16ELi32ELi8ELb1ELb1ELc84ELc85EKPKS1_KPS1_EviT_T0_PT8_S7_lSA_S7_lS8_PT9_S7_li.num_vgpr, 41
	.set _ZL37rocblas_syrkx_herkx_restricted_kernelIi19rocblas_complex_numIfELi16ELi32ELi8ELb1ELb1ELc84ELc85EKPKS1_KPS1_EviT_T0_PT8_S7_lSA_S7_lS8_PT9_S7_li.num_agpr, 0
	.set _ZL37rocblas_syrkx_herkx_restricted_kernelIi19rocblas_complex_numIfELi16ELi32ELi8ELb1ELb1ELc84ELc85EKPKS1_KPS1_EviT_T0_PT8_S7_lSA_S7_lS8_PT9_S7_li.numbered_sgpr, 19
	.set _ZL37rocblas_syrkx_herkx_restricted_kernelIi19rocblas_complex_numIfELi16ELi32ELi8ELb1ELb1ELc84ELc85EKPKS1_KPS1_EviT_T0_PT8_S7_lSA_S7_lS8_PT9_S7_li.num_named_barrier, 0
	.set _ZL37rocblas_syrkx_herkx_restricted_kernelIi19rocblas_complex_numIfELi16ELi32ELi8ELb1ELb1ELc84ELc85EKPKS1_KPS1_EviT_T0_PT8_S7_lSA_S7_lS8_PT9_S7_li.private_seg_size, 0
	.set _ZL37rocblas_syrkx_herkx_restricted_kernelIi19rocblas_complex_numIfELi16ELi32ELi8ELb1ELb1ELc84ELc85EKPKS1_KPS1_EviT_T0_PT8_S7_lSA_S7_lS8_PT9_S7_li.uses_vcc, 1
	.set _ZL37rocblas_syrkx_herkx_restricted_kernelIi19rocblas_complex_numIfELi16ELi32ELi8ELb1ELb1ELc84ELc85EKPKS1_KPS1_EviT_T0_PT8_S7_lSA_S7_lS8_PT9_S7_li.uses_flat_scratch, 0
	.set _ZL37rocblas_syrkx_herkx_restricted_kernelIi19rocblas_complex_numIfELi16ELi32ELi8ELb1ELb1ELc84ELc85EKPKS1_KPS1_EviT_T0_PT8_S7_lSA_S7_lS8_PT9_S7_li.has_dyn_sized_stack, 0
	.set _ZL37rocblas_syrkx_herkx_restricted_kernelIi19rocblas_complex_numIfELi16ELi32ELi8ELb1ELb1ELc84ELc85EKPKS1_KPS1_EviT_T0_PT8_S7_lSA_S7_lS8_PT9_S7_li.has_recursion, 0
	.set _ZL37rocblas_syrkx_herkx_restricted_kernelIi19rocblas_complex_numIfELi16ELi32ELi8ELb1ELb1ELc84ELc85EKPKS1_KPS1_EviT_T0_PT8_S7_lSA_S7_lS8_PT9_S7_li.has_indirect_call, 0
	.section	.AMDGPU.csdata,"",@progbits
; Kernel info:
; codeLenInByte = 2012
; TotalNumSgprs: 23
; NumVgprs: 41
; ScratchSize: 0
; MemoryBound: 0
; FloatMode: 240
; IeeeMode: 1
; LDSByteSize: 4096 bytes/workgroup (compile time only)
; SGPRBlocks: 2
; VGPRBlocks: 10
; NumSGPRsForWavesPerEU: 23
; NumVGPRsForWavesPerEU: 41
; Occupancy: 5
; WaveLimiterHint : 1
; COMPUTE_PGM_RSRC2:SCRATCH_EN: 0
; COMPUTE_PGM_RSRC2:USER_SGPR: 6
; COMPUTE_PGM_RSRC2:TRAP_HANDLER: 0
; COMPUTE_PGM_RSRC2:TGID_X_EN: 1
; COMPUTE_PGM_RSRC2:TGID_Y_EN: 1
; COMPUTE_PGM_RSRC2:TGID_Z_EN: 1
; COMPUTE_PGM_RSRC2:TIDIG_COMP_CNT: 1
	.section	.text._ZL37rocblas_syrkx_herkx_restricted_kernelIi19rocblas_complex_numIfELi16ELi32ELi8ELb1ELb1ELc67ELc85EKPKS1_KPS1_EviT_T0_PT8_S7_lSA_S7_lS8_PT9_S7_li,"axG",@progbits,_ZL37rocblas_syrkx_herkx_restricted_kernelIi19rocblas_complex_numIfELi16ELi32ELi8ELb1ELb1ELc67ELc85EKPKS1_KPS1_EviT_T0_PT8_S7_lSA_S7_lS8_PT9_S7_li,comdat
	.globl	_ZL37rocblas_syrkx_herkx_restricted_kernelIi19rocblas_complex_numIfELi16ELi32ELi8ELb1ELb1ELc67ELc85EKPKS1_KPS1_EviT_T0_PT8_S7_lSA_S7_lS8_PT9_S7_li ; -- Begin function _ZL37rocblas_syrkx_herkx_restricted_kernelIi19rocblas_complex_numIfELi16ELi32ELi8ELb1ELb1ELc67ELc85EKPKS1_KPS1_EviT_T0_PT8_S7_lSA_S7_lS8_PT9_S7_li
	.p2align	8
	.type	_ZL37rocblas_syrkx_herkx_restricted_kernelIi19rocblas_complex_numIfELi16ELi32ELi8ELb1ELb1ELc67ELc85EKPKS1_KPS1_EviT_T0_PT8_S7_lSA_S7_lS8_PT9_S7_li,@function
_ZL37rocblas_syrkx_herkx_restricted_kernelIi19rocblas_complex_numIfELi16ELi32ELi8ELb1ELb1ELc67ELc85EKPKS1_KPS1_EviT_T0_PT8_S7_lSA_S7_lS8_PT9_S7_li: ; @_ZL37rocblas_syrkx_herkx_restricted_kernelIi19rocblas_complex_numIfELi16ELi32ELi8ELb1ELb1ELc67ELc85EKPKS1_KPS1_EviT_T0_PT8_S7_lSA_S7_lS8_PT9_S7_li
; %bb.0:
	s_load_dwordx2 s[10:11], s[4:5], 0x48
	s_load_dwordx2 s[2:3], s[4:5], 0x0
	s_load_dwordx4 s[12:15], s[4:5], 0x8
	s_mov_b32 s9, 0
	s_lshl_b64 s[0:1], s[8:9], 3
	s_waitcnt lgkmcnt(0)
	s_add_u32 s10, s10, s0
	s_addc_u32 s11, s11, s1
	s_load_dwordx2 s[10:11], s[10:11], 0x0
	s_lshl_b32 s6, s6, 5
	s_lshl_b32 s7, s7, 5
	s_cmp_lt_i32 s3, 1
	s_cbranch_scc1 .LBB800_3
; %bb.1:
	s_load_dword s8, s[4:5], 0x18
	s_load_dwordx2 s[16:17], s[4:5], 0x28
	s_load_dword s18, s[4:5], 0x30
	v_lshl_add_u32 v3, v1, 4, v0
	v_and_b32_e32 v7, 31, v3
	s_add_u32 s14, s14, s0
	v_lshrrev_b32_e32 v2, 5, v3
	v_and_b32_e32 v9, 7, v0
	v_lshlrev_b32_e32 v8, 3, v7
	s_addc_u32 s15, s15, s1
	v_lshrrev_b32_e32 v6, 3, v3
	v_lshl_or_b32 v11, v2, 8, v8
	v_lshlrev_b32_e32 v8, 3, v9
	s_waitcnt lgkmcnt(0)
	s_add_u32 s0, s16, s0
	v_add_u32_e32 v3, s7, v6
	v_mov_b32_e32 v10, 0
	v_lshl_or_b32 v6, v6, 6, v8
	s_addc_u32 s1, s17, s1
	v_mad_i64_i32 v[4:5], s[16:17], s18, v3, v[9:10]
	v_mov_b32_e32 v3, v10
	v_add_u32_e32 v12, 0x800, v6
	v_add_u32_e32 v6, s6, v7
	v_mad_i64_i32 v[2:3], s[16:17], s8, v6, v[2:3]
	s_load_dwordx2 s[14:15], s[14:15], 0x0
	v_mov_b32_e32 v6, 0x800
	s_load_dwordx2 s[0:1], s[0:1], 0x0
	v_lshlrev_b64 v[2:3], 3, v[2:3]
	v_lshl_add_u32 v14, v1, 6, v6
	s_waitcnt lgkmcnt(0)
	v_mov_b32_e32 v7, s15
	v_add_co_u32_e32 v6, vcc, s14, v2
	v_addc_co_u32_e32 v7, vcc, v7, v3, vcc
	v_lshlrev_b64 v[2:3], 3, v[4:5]
	v_mov_b32_e32 v4, s1
	v_add_co_u32_e32 v8, vcc, s0, v2
	v_lshlrev_b32_e32 v13, 3, v0
	v_addc_co_u32_e32 v9, vcc, v4, v3, vcc
	v_mov_b32_e32 v15, v10
	v_mov_b32_e32 v17, v10
	;; [unrolled: 1-line block ×7, first 2 shown]
.LBB800_2:                              ; =>This Inner Loop Header: Depth=1
	flat_load_dwordx2 v[2:3], v[6:7]
	v_add_co_u32_e32 v6, vcc, 64, v6
	v_addc_co_u32_e32 v7, vcc, 0, v7, vcc
	s_add_i32 s9, s9, 8
	s_cmp_ge_i32 s9, s3
	s_waitcnt vmcnt(0) lgkmcnt(0)
	v_xor_b32_e32 v3, 0x80000000, v3
	ds_write_b64 v11, v[2:3]
	flat_load_dwordx2 v[2:3], v[8:9]
	v_add_co_u32_e32 v8, vcc, 64, v8
	v_addc_co_u32_e32 v9, vcc, 0, v9, vcc
	s_waitcnt vmcnt(0) lgkmcnt(0)
	ds_write_b64 v12, v[2:3]
	s_waitcnt lgkmcnt(0)
	s_barrier
	ds_read_b128 v[22:25], v14
	ds_read_b128 v[26:29], v14 offset:16
	ds_read_b128 v[30:33], v14 offset:32
	;; [unrolled: 1-line block ×3, first 2 shown]
	ds_read2_b64 v[34:37], v13 offset1:16
	s_waitcnt lgkmcnt(0)
	v_mul_f32_e32 v38, v23, v35
	v_mul_f32_e32 v39, v22, v35
	v_fma_f32 v38, v22, v34, -v38
	v_fmac_f32_e32 v39, v23, v34
	v_add_f32_e32 v38, v20, v38
	v_add_f32_e32 v39, v21, v39
	v_mul_f32_e32 v20, v23, v37
	v_mul_f32_e32 v21, v22, v37
	v_fma_f32 v20, v22, v36, -v20
	v_fmac_f32_e32 v21, v23, v36
	v_add_f32_e32 v22, v18, v20
	v_add_f32_e32 v23, v19, v21
	ds_read_b128 v[18:21], v14 offset:1024
	s_waitcnt lgkmcnt(0)
	v_mul_f32_e32 v40, v19, v35
	v_mul_f32_e32 v35, v18, v35
	v_fma_f32 v40, v18, v34, -v40
	v_fmac_f32_e32 v35, v19, v34
	v_add_f32_e32 v34, v16, v40
	v_add_f32_e32 v35, v17, v35
	v_mul_f32_e32 v16, v19, v37
	v_mul_f32_e32 v17, v18, v37
	v_fma_f32 v16, v18, v36, -v16
	v_fmac_f32_e32 v17, v19, v36
	v_add_f32_e32 v19, v15, v16
	v_add_f32_e32 v10, v10, v17
	ds_read2_b64 v[15:18], v13 offset0:32 offset1:48
	s_waitcnt lgkmcnt(0)
	v_mul_f32_e32 v36, v25, v16
	v_fma_f32 v36, v24, v15, -v36
	v_add_f32_e32 v36, v38, v36
	v_mul_f32_e32 v38, v25, v18
	v_mul_f32_e32 v37, v24, v16
	v_fma_f32 v38, v24, v17, -v38
	v_mul_f32_e32 v24, v24, v18
	v_fmac_f32_e32 v24, v25, v17
	v_add_f32_e32 v23, v23, v24
	v_mul_f32_e32 v24, v21, v16
	v_mul_f32_e32 v16, v20, v16
	v_fmac_f32_e32 v16, v21, v15
	v_fmac_f32_e32 v37, v25, v15
	v_fma_f32 v24, v20, v15, -v24
	v_add_f32_e32 v25, v35, v16
	v_mul_f32_e32 v15, v21, v18
	v_mul_f32_e32 v16, v20, v18
	v_fma_f32 v15, v20, v17, -v15
	v_fmac_f32_e32 v16, v21, v17
	v_add_f32_e32 v24, v34, v24
	v_add_f32_e32 v34, v19, v15
	;; [unrolled: 1-line block ×3, first 2 shown]
	ds_read2_b64 v[15:18], v13 offset0:64 offset1:80
	v_add_f32_e32 v37, v39, v37
	v_add_f32_e32 v22, v22, v38
	s_waitcnt lgkmcnt(0)
	v_mul_f32_e32 v19, v27, v16
	v_mul_f32_e32 v20, v26, v16
	v_fma_f32 v19, v26, v15, -v19
	v_fmac_f32_e32 v20, v27, v15
	v_add_f32_e32 v35, v36, v19
	v_add_f32_e32 v36, v37, v20
	v_mul_f32_e32 v19, v27, v18
	v_mul_f32_e32 v20, v26, v18
	v_fma_f32 v19, v26, v17, -v19
	v_fmac_f32_e32 v20, v27, v17
	v_add_f32_e32 v26, v22, v19
	v_add_f32_e32 v23, v23, v20
	ds_read_b128 v[19:22], v14 offset:1040
	s_waitcnt lgkmcnt(0)
	v_mul_f32_e32 v27, v20, v16
	v_mul_f32_e32 v16, v19, v16
	v_fmac_f32_e32 v16, v20, v15
	v_fma_f32 v27, v19, v15, -v27
	v_add_f32_e32 v25, v25, v16
	v_mul_f32_e32 v15, v20, v18
	v_mul_f32_e32 v16, v19, v18
	v_fma_f32 v15, v19, v17, -v15
	v_fmac_f32_e32 v16, v20, v17
	v_add_f32_e32 v19, v34, v15
	v_add_f32_e32 v10, v10, v16
	ds_read2_b64 v[15:18], v13 offset0:96 offset1:112
	v_add_f32_e32 v24, v24, v27
	s_waitcnt lgkmcnt(0)
	v_mul_f32_e32 v20, v29, v16
	v_mul_f32_e32 v34, v29, v18
	v_fma_f32 v20, v28, v15, -v20
	v_mul_f32_e32 v27, v28, v16
	v_fma_f32 v34, v28, v17, -v34
	v_mul_f32_e32 v28, v28, v18
	v_fmac_f32_e32 v28, v29, v17
	v_add_f32_e32 v23, v23, v28
	v_mul_f32_e32 v28, v22, v16
	v_mul_f32_e32 v16, v21, v16
	v_fmac_f32_e32 v16, v22, v15
	v_fmac_f32_e32 v27, v29, v15
	v_fma_f32 v28, v21, v15, -v28
	v_add_f32_e32 v25, v25, v16
	v_mul_f32_e32 v15, v22, v18
	v_mul_f32_e32 v16, v21, v18
	v_fma_f32 v15, v21, v17, -v15
	v_fmac_f32_e32 v16, v22, v17
	v_add_f32_e32 v24, v24, v28
	v_add_f32_e32 v28, v19, v15
	;; [unrolled: 1-line block ×3, first 2 shown]
	ds_read2_b64 v[15:18], v13 offset0:128 offset1:144
	v_add_f32_e32 v20, v35, v20
	v_add_f32_e32 v27, v36, v27
	v_add_f32_e32 v26, v26, v34
	s_waitcnt lgkmcnt(0)
	v_mul_f32_e32 v19, v31, v16
	v_fma_f32 v19, v30, v15, -v19
	v_mul_f32_e32 v21, v30, v16
	v_add_f32_e32 v29, v20, v19
	v_mul_f32_e32 v19, v31, v18
	v_mul_f32_e32 v20, v30, v18
	v_fmac_f32_e32 v21, v31, v15
	v_fma_f32 v19, v30, v17, -v19
	v_fmac_f32_e32 v20, v31, v17
	v_add_f32_e32 v27, v27, v21
	v_add_f32_e32 v26, v26, v19
	;; [unrolled: 1-line block ×3, first 2 shown]
	ds_read_b128 v[19:22], v14 offset:1056
	s_waitcnt lgkmcnt(0)
	v_mul_f32_e32 v30, v20, v16
	v_mul_f32_e32 v16, v19, v16
	v_fmac_f32_e32 v16, v20, v15
	v_fma_f32 v30, v19, v15, -v30
	v_add_f32_e32 v25, v25, v16
	v_mul_f32_e32 v15, v20, v18
	v_mul_f32_e32 v16, v19, v18
	v_fma_f32 v15, v19, v17, -v15
	v_fmac_f32_e32 v16, v20, v17
	v_add_f32_e32 v19, v28, v15
	v_add_f32_e32 v10, v10, v16
	ds_read2_b64 v[15:18], v13 offset0:160 offset1:176
	v_add_f32_e32 v24, v24, v30
	s_waitcnt lgkmcnt(0)
	v_mul_f32_e32 v28, v32, v16
	v_fmac_f32_e32 v28, v33, v15
	v_add_f32_e32 v27, v27, v28
	v_mul_f32_e32 v28, v33, v18
	v_fma_f32 v28, v32, v17, -v28
	v_mul_f32_e32 v20, v33, v16
	v_add_f32_e32 v26, v26, v28
	v_mul_f32_e32 v28, v22, v16
	v_mul_f32_e32 v16, v21, v16
	v_fmac_f32_e32 v16, v22, v15
	v_fma_f32 v20, v32, v15, -v20
	v_fma_f32 v28, v21, v15, -v28
	v_add_f32_e32 v25, v25, v16
	v_mul_f32_e32 v15, v22, v18
	v_mul_f32_e32 v16, v21, v18
	v_add_f32_e32 v20, v29, v20
	v_mul_f32_e32 v29, v32, v18
	v_fma_f32 v15, v21, v17, -v15
	v_fmac_f32_e32 v16, v22, v17
	v_fmac_f32_e32 v29, v33, v17
	v_add_f32_e32 v19, v19, v15
	v_add_f32_e32 v10, v10, v16
	ds_read2_b64 v[15:18], v13 offset0:192 offset1:208
	v_add_f32_e32 v24, v24, v28
	v_add_f32_e32 v23, v23, v29
	s_waitcnt lgkmcnt(0)
	v_mul_f32_e32 v21, v3, v16
	v_fma_f32 v21, v2, v15, -v21
	v_add_f32_e32 v28, v20, v21
	v_mul_f32_e32 v20, v3, v18
	v_mul_f32_e32 v22, v2, v16
	v_fma_f32 v20, v2, v17, -v20
	v_mul_f32_e32 v2, v2, v18
	v_fmac_f32_e32 v22, v3, v15
	v_fmac_f32_e32 v2, v3, v17
	v_add_f32_e32 v29, v27, v22
	v_add_f32_e32 v3, v26, v20
	;; [unrolled: 1-line block ×3, first 2 shown]
	ds_read_b128 v[20:23], v14 offset:1072
	s_waitcnt lgkmcnt(0)
	v_mul_f32_e32 v26, v21, v16
	v_mul_f32_e32 v16, v20, v16
	v_fma_f32 v26, v20, v15, -v26
	v_fmac_f32_e32 v16, v21, v15
	v_add_f32_e32 v15, v24, v26
	v_add_f32_e32 v30, v25, v16
	ds_read2_b64 v[24:27], v13 offset0:224 offset1:240
	v_mul_f32_e32 v16, v21, v18
	v_fma_f32 v16, v20, v17, -v16
	v_add_f32_e32 v31, v19, v16
	v_mul_f32_e32 v18, v20, v18
	s_waitcnt lgkmcnt(0)
	v_mul_f32_e32 v16, v5, v25
	v_fma_f32 v16, v4, v24, -v16
	v_add_f32_e32 v20, v28, v16
	v_mul_f32_e32 v16, v5, v27
	v_fmac_f32_e32 v18, v21, v17
	v_mul_f32_e32 v17, v4, v25
	v_fma_f32 v16, v4, v26, -v16
	v_mul_f32_e32 v4, v4, v27
	v_fmac_f32_e32 v4, v5, v26
	v_add_f32_e32 v10, v10, v18
	v_add_f32_e32 v18, v3, v16
	;; [unrolled: 1-line block ×3, first 2 shown]
	v_mul_f32_e32 v2, v23, v25
	v_mul_f32_e32 v3, v22, v25
	v_fmac_f32_e32 v17, v5, v24
	v_fma_f32 v2, v22, v24, -v2
	v_fmac_f32_e32 v3, v23, v24
	v_add_f32_e32 v21, v29, v17
	v_add_f32_e32 v16, v15, v2
	;; [unrolled: 1-line block ×3, first 2 shown]
	v_mul_f32_e32 v2, v23, v27
	v_mul_f32_e32 v3, v22, v27
	v_fma_f32 v2, v22, v26, -v2
	v_fmac_f32_e32 v3, v23, v26
	v_add_f32_e32 v15, v31, v2
	v_add_f32_e32 v10, v10, v3
	s_barrier
	s_cbranch_scc0 .LBB800_2
	s_branch .LBB800_4
.LBB800_3:
	v_mov_b32_e32 v20, 0
	v_mov_b32_e32 v21, 0
	v_mov_b32_e32 v18, 0
	v_mov_b32_e32 v19, 0
	v_mov_b32_e32 v16, 0
	v_mov_b32_e32 v17, 0
	v_mov_b32_e32 v15, 0
	v_mov_b32_e32 v10, 0
.LBB800_4:
	s_load_dword s3, s[4:5], 0x50
	v_add_u32_e32 v5, s7, v1
	s_waitcnt lgkmcnt(0)
	v_mov_b32_e32 v3, s11
	v_add_u32_e32 v0, s6, v0
	v_cmp_gt_i32_e32 vcc, s2, v5
	v_mad_i64_i32 v[1:2], s[0:1], v5, s3, 0
	v_lshlrev_b64 v[1:2], 3, v[1:2]
	v_add_co_u32_e64 v4, s[0:1], s10, v1
	v_addc_co_u32_e64 v6, s[0:1], v3, v2, s[0:1]
	v_cmp_le_i32_e64 s[0:1], v0, v5
	s_and_b64 s[0:1], vcc, s[0:1]
	s_and_saveexec_b64 s[4:5], s[0:1]
	s_cbranch_execz .LBB800_7
; %bb.5:
	v_mul_f32_e32 v1, s13, v21
	v_fma_f32 v7, v20, s12, -v1
	v_ashrrev_i32_e32 v1, 31, v0
	v_lshlrev_b64 v[1:2], 3, v[0:1]
	v_mul_f32_e32 v8, s12, v21
	v_add_co_u32_e64 v1, s[0:1], v4, v1
	v_addc_co_u32_e64 v2, s[0:1], v6, v2, s[0:1]
	v_fmac_f32_e32 v8, s13, v20
	v_cmp_eq_u32_e64 s[0:1], v5, v0
	flat_store_dwordx2 v[1:2], v[7:8]
	s_and_b64 exec, exec, s[0:1]
	s_cbranch_execz .LBB800_7
; %bb.6:
	v_mov_b32_e32 v3, 0
	flat_store_dword v[1:2], v3 offset:4
.LBB800_7:
	s_or_b64 exec, exec, s[4:5]
	v_add_u32_e32 v2, 16, v0
	v_cmp_le_i32_e64 s[0:1], v2, v5
	s_and_b64 s[4:5], vcc, s[0:1]
	s_and_saveexec_b64 s[0:1], s[4:5]
	s_cbranch_execz .LBB800_10
; %bb.8:
	v_ashrrev_i32_e32 v3, 31, v2
	v_lshlrev_b64 v[11:12], 3, v[2:3]
	v_mul_f32_e32 v1, s13, v19
	v_add_co_u32_e32 v3, vcc, v4, v11
	v_mul_f32_e32 v8, s12, v19
	v_addc_co_u32_e32 v4, vcc, v6, v12, vcc
	v_fma_f32 v7, v18, s12, -v1
	v_fmac_f32_e32 v8, s13, v18
	v_cmp_eq_u32_e32 vcc, v5, v2
	flat_store_dwordx2 v[3:4], v[7:8]
	s_and_b64 exec, exec, vcc
	s_cbranch_execz .LBB800_10
; %bb.9:
	v_mov_b32_e32 v1, 0
	flat_store_dword v[3:4], v1 offset:4
.LBB800_10:
	s_or_b64 exec, exec, s[0:1]
	v_add_u32_e32 v8, 16, v5
	v_mad_i64_i32 v[3:4], s[0:1], v8, s3, 0
	v_mov_b32_e32 v1, s11
	v_cmp_gt_i32_e32 vcc, s2, v8
	v_lshlrev_b64 v[3:4], 3, v[3:4]
	v_add_co_u32_e64 v6, s[0:1], s10, v3
	v_addc_co_u32_e64 v7, s[0:1], v1, v4, s[0:1]
	v_cmp_le_i32_e64 s[0:1], v0, v8
	s_and_b64 s[0:1], vcc, s[0:1]
	s_and_saveexec_b64 s[2:3], s[0:1]
	s_cbranch_execz .LBB800_13
; %bb.11:
	v_mul_f32_e32 v1, s13, v17
	v_fma_f32 v11, v16, s12, -v1
	v_ashrrev_i32_e32 v1, 31, v0
	v_lshlrev_b64 v[3:4], 3, v[0:1]
	v_mul_f32_e32 v12, s12, v17
	v_add_co_u32_e64 v3, s[0:1], v6, v3
	v_addc_co_u32_e64 v4, s[0:1], v7, v4, s[0:1]
	v_fmac_f32_e32 v12, s13, v16
	v_cmp_eq_u32_e64 s[0:1], v8, v0
	flat_store_dwordx2 v[3:4], v[11:12]
	s_and_b64 exec, exec, s[0:1]
	s_cbranch_execz .LBB800_13
; %bb.12:
	v_mov_b32_e32 v1, 0
	flat_store_dword v[3:4], v1 offset:4
.LBB800_13:
	s_or_b64 exec, exec, s[2:3]
	v_cmp_le_i32_e64 s[0:1], v2, v8
	s_and_b64 s[0:1], vcc, s[0:1]
	s_and_saveexec_b64 s[2:3], s[0:1]
	s_cbranch_execz .LBB800_16
; %bb.14:
	v_mul_f32_e32 v1, s13, v10
	v_ashrrev_i32_e32 v3, 31, v2
	v_fma_f32 v8, v15, s12, -v1
	v_lshlrev_b64 v[1:2], 3, v[2:3]
	v_mul_f32_e32 v9, s12, v10
	v_add_co_u32_e32 v1, vcc, v6, v1
	v_addc_co_u32_e32 v2, vcc, v7, v2, vcc
	v_fmac_f32_e32 v9, s13, v15
	v_cmp_eq_u32_e32 vcc, v5, v0
	flat_store_dwordx2 v[1:2], v[8:9]
	s_and_b64 exec, exec, vcc
	s_cbranch_execz .LBB800_16
; %bb.15:
	v_mov_b32_e32 v0, 0
	flat_store_dword v[1:2], v0 offset:4
.LBB800_16:
	s_endpgm
	.section	.rodata,"a",@progbits
	.p2align	6, 0x0
	.amdhsa_kernel _ZL37rocblas_syrkx_herkx_restricted_kernelIi19rocblas_complex_numIfELi16ELi32ELi8ELb1ELb1ELc67ELc85EKPKS1_KPS1_EviT_T0_PT8_S7_lSA_S7_lS8_PT9_S7_li
		.amdhsa_group_segment_fixed_size 4096
		.amdhsa_private_segment_fixed_size 0
		.amdhsa_kernarg_size 100
		.amdhsa_user_sgpr_count 6
		.amdhsa_user_sgpr_private_segment_buffer 1
		.amdhsa_user_sgpr_dispatch_ptr 0
		.amdhsa_user_sgpr_queue_ptr 0
		.amdhsa_user_sgpr_kernarg_segment_ptr 1
		.amdhsa_user_sgpr_dispatch_id 0
		.amdhsa_user_sgpr_flat_scratch_init 0
		.amdhsa_user_sgpr_private_segment_size 0
		.amdhsa_uses_dynamic_stack 0
		.amdhsa_system_sgpr_private_segment_wavefront_offset 0
		.amdhsa_system_sgpr_workgroup_id_x 1
		.amdhsa_system_sgpr_workgroup_id_y 1
		.amdhsa_system_sgpr_workgroup_id_z 1
		.amdhsa_system_sgpr_workgroup_info 0
		.amdhsa_system_vgpr_workitem_id 1
		.amdhsa_next_free_vgpr 41
		.amdhsa_next_free_sgpr 19
		.amdhsa_reserve_vcc 1
		.amdhsa_reserve_flat_scratch 0
		.amdhsa_float_round_mode_32 0
		.amdhsa_float_round_mode_16_64 0
		.amdhsa_float_denorm_mode_32 3
		.amdhsa_float_denorm_mode_16_64 3
		.amdhsa_dx10_clamp 1
		.amdhsa_ieee_mode 1
		.amdhsa_fp16_overflow 0
		.amdhsa_exception_fp_ieee_invalid_op 0
		.amdhsa_exception_fp_denorm_src 0
		.amdhsa_exception_fp_ieee_div_zero 0
		.amdhsa_exception_fp_ieee_overflow 0
		.amdhsa_exception_fp_ieee_underflow 0
		.amdhsa_exception_fp_ieee_inexact 0
		.amdhsa_exception_int_div_zero 0
	.end_amdhsa_kernel
	.section	.text._ZL37rocblas_syrkx_herkx_restricted_kernelIi19rocblas_complex_numIfELi16ELi32ELi8ELb1ELb1ELc67ELc85EKPKS1_KPS1_EviT_T0_PT8_S7_lSA_S7_lS8_PT9_S7_li,"axG",@progbits,_ZL37rocblas_syrkx_herkx_restricted_kernelIi19rocblas_complex_numIfELi16ELi32ELi8ELb1ELb1ELc67ELc85EKPKS1_KPS1_EviT_T0_PT8_S7_lSA_S7_lS8_PT9_S7_li,comdat
.Lfunc_end800:
	.size	_ZL37rocblas_syrkx_herkx_restricted_kernelIi19rocblas_complex_numIfELi16ELi32ELi8ELb1ELb1ELc67ELc85EKPKS1_KPS1_EviT_T0_PT8_S7_lSA_S7_lS8_PT9_S7_li, .Lfunc_end800-_ZL37rocblas_syrkx_herkx_restricted_kernelIi19rocblas_complex_numIfELi16ELi32ELi8ELb1ELb1ELc67ELc85EKPKS1_KPS1_EviT_T0_PT8_S7_lSA_S7_lS8_PT9_S7_li
                                        ; -- End function
	.set _ZL37rocblas_syrkx_herkx_restricted_kernelIi19rocblas_complex_numIfELi16ELi32ELi8ELb1ELb1ELc67ELc85EKPKS1_KPS1_EviT_T0_PT8_S7_lSA_S7_lS8_PT9_S7_li.num_vgpr, 41
	.set _ZL37rocblas_syrkx_herkx_restricted_kernelIi19rocblas_complex_numIfELi16ELi32ELi8ELb1ELb1ELc67ELc85EKPKS1_KPS1_EviT_T0_PT8_S7_lSA_S7_lS8_PT9_S7_li.num_agpr, 0
	.set _ZL37rocblas_syrkx_herkx_restricted_kernelIi19rocblas_complex_numIfELi16ELi32ELi8ELb1ELb1ELc67ELc85EKPKS1_KPS1_EviT_T0_PT8_S7_lSA_S7_lS8_PT9_S7_li.numbered_sgpr, 19
	.set _ZL37rocblas_syrkx_herkx_restricted_kernelIi19rocblas_complex_numIfELi16ELi32ELi8ELb1ELb1ELc67ELc85EKPKS1_KPS1_EviT_T0_PT8_S7_lSA_S7_lS8_PT9_S7_li.num_named_barrier, 0
	.set _ZL37rocblas_syrkx_herkx_restricted_kernelIi19rocblas_complex_numIfELi16ELi32ELi8ELb1ELb1ELc67ELc85EKPKS1_KPS1_EviT_T0_PT8_S7_lSA_S7_lS8_PT9_S7_li.private_seg_size, 0
	.set _ZL37rocblas_syrkx_herkx_restricted_kernelIi19rocblas_complex_numIfELi16ELi32ELi8ELb1ELb1ELc67ELc85EKPKS1_KPS1_EviT_T0_PT8_S7_lSA_S7_lS8_PT9_S7_li.uses_vcc, 1
	.set _ZL37rocblas_syrkx_herkx_restricted_kernelIi19rocblas_complex_numIfELi16ELi32ELi8ELb1ELb1ELc67ELc85EKPKS1_KPS1_EviT_T0_PT8_S7_lSA_S7_lS8_PT9_S7_li.uses_flat_scratch, 0
	.set _ZL37rocblas_syrkx_herkx_restricted_kernelIi19rocblas_complex_numIfELi16ELi32ELi8ELb1ELb1ELc67ELc85EKPKS1_KPS1_EviT_T0_PT8_S7_lSA_S7_lS8_PT9_S7_li.has_dyn_sized_stack, 0
	.set _ZL37rocblas_syrkx_herkx_restricted_kernelIi19rocblas_complex_numIfELi16ELi32ELi8ELb1ELb1ELc67ELc85EKPKS1_KPS1_EviT_T0_PT8_S7_lSA_S7_lS8_PT9_S7_li.has_recursion, 0
	.set _ZL37rocblas_syrkx_herkx_restricted_kernelIi19rocblas_complex_numIfELi16ELi32ELi8ELb1ELb1ELc67ELc85EKPKS1_KPS1_EviT_T0_PT8_S7_lSA_S7_lS8_PT9_S7_li.has_indirect_call, 0
	.section	.AMDGPU.csdata,"",@progbits
; Kernel info:
; codeLenInByte = 2020
; TotalNumSgprs: 23
; NumVgprs: 41
; ScratchSize: 0
; MemoryBound: 0
; FloatMode: 240
; IeeeMode: 1
; LDSByteSize: 4096 bytes/workgroup (compile time only)
; SGPRBlocks: 2
; VGPRBlocks: 10
; NumSGPRsForWavesPerEU: 23
; NumVGPRsForWavesPerEU: 41
; Occupancy: 5
; WaveLimiterHint : 1
; COMPUTE_PGM_RSRC2:SCRATCH_EN: 0
; COMPUTE_PGM_RSRC2:USER_SGPR: 6
; COMPUTE_PGM_RSRC2:TRAP_HANDLER: 0
; COMPUTE_PGM_RSRC2:TGID_X_EN: 1
; COMPUTE_PGM_RSRC2:TGID_Y_EN: 1
; COMPUTE_PGM_RSRC2:TGID_Z_EN: 1
; COMPUTE_PGM_RSRC2:TIDIG_COMP_CNT: 1
	.section	.text._ZL37rocblas_syrkx_herkx_restricted_kernelIi19rocblas_complex_numIfELi16ELi32ELi8ELb1ELb1ELc78ELc85EKPKS1_KPS1_EviT_T0_PT8_S7_lSA_S7_lS8_PT9_S7_li,"axG",@progbits,_ZL37rocblas_syrkx_herkx_restricted_kernelIi19rocblas_complex_numIfELi16ELi32ELi8ELb1ELb1ELc78ELc85EKPKS1_KPS1_EviT_T0_PT8_S7_lSA_S7_lS8_PT9_S7_li,comdat
	.globl	_ZL37rocblas_syrkx_herkx_restricted_kernelIi19rocblas_complex_numIfELi16ELi32ELi8ELb1ELb1ELc78ELc85EKPKS1_KPS1_EviT_T0_PT8_S7_lSA_S7_lS8_PT9_S7_li ; -- Begin function _ZL37rocblas_syrkx_herkx_restricted_kernelIi19rocblas_complex_numIfELi16ELi32ELi8ELb1ELb1ELc78ELc85EKPKS1_KPS1_EviT_T0_PT8_S7_lSA_S7_lS8_PT9_S7_li
	.p2align	8
	.type	_ZL37rocblas_syrkx_herkx_restricted_kernelIi19rocblas_complex_numIfELi16ELi32ELi8ELb1ELb1ELc78ELc85EKPKS1_KPS1_EviT_T0_PT8_S7_lSA_S7_lS8_PT9_S7_li,@function
_ZL37rocblas_syrkx_herkx_restricted_kernelIi19rocblas_complex_numIfELi16ELi32ELi8ELb1ELb1ELc78ELc85EKPKS1_KPS1_EviT_T0_PT8_S7_lSA_S7_lS8_PT9_S7_li: ; @_ZL37rocblas_syrkx_herkx_restricted_kernelIi19rocblas_complex_numIfELi16ELi32ELi8ELb1ELb1ELc78ELc85EKPKS1_KPS1_EviT_T0_PT8_S7_lSA_S7_lS8_PT9_S7_li
; %bb.0:
	s_load_dwordx2 s[10:11], s[4:5], 0x48
	s_load_dwordx2 s[2:3], s[4:5], 0x0
	s_load_dwordx4 s[12:15], s[4:5], 0x8
	s_mov_b32 s9, 0
	s_lshl_b64 s[0:1], s[8:9], 3
	s_waitcnt lgkmcnt(0)
	s_add_u32 s10, s10, s0
	s_addc_u32 s11, s11, s1
	s_load_dwordx2 s[10:11], s[10:11], 0x0
	s_lshl_b32 s8, s6, 5
	s_lshl_b32 s16, s7, 5
	s_cmp_lt_i32 s3, 1
	s_cbranch_scc1 .LBB801_3
; %bb.1:
	s_load_dword s6, s[4:5], 0x18
	s_load_dword s18, s[4:5], 0x30
	s_load_dwordx2 s[20:21], s[4:5], 0x28
	v_lshl_add_u32 v2, v1, 4, v0
	v_lshrrev_b32_e32 v4, 3, v2
	s_waitcnt lgkmcnt(0)
	s_ashr_i32 s7, s6, 31
	s_ashr_i32 s19, s18, 31
	s_add_u32 s14, s14, s0
	s_addc_u32 s15, s15, s1
	s_add_u32 s0, s20, s0
	v_lshrrev_b32_e32 v6, 5, v2
	v_and_b32_e32 v7, 31, v2
	v_add_u32_e32 v2, s16, v4
	s_addc_u32 s1, s21, s1
	v_and_b32_e32 v5, 7, v0
	v_ashrrev_i32_e32 v3, 31, v2
	s_load_dwordx2 s[20:21], s[0:1], 0x0
	v_mad_i64_i32 v[2:3], s[0:1], s18, v5, v[2:3]
	v_lshlrev_b32_e32 v5, 3, v5
	v_lshl_or_b32 v4, v4, 6, v5
	v_add_u32_e32 v11, 0x800, v4
	v_add_u32_e32 v4, s8, v7
	v_ashrrev_i32_e32 v5, 31, v4
	v_mad_i64_i32 v[4:5], s[0:1], s6, v6, v[4:5]
	s_load_dwordx2 s[14:15], s[14:15], 0x0
	v_lshlrev_b32_e32 v8, 3, v7
	v_lshlrev_b64 v[4:5], 3, v[4:5]
	v_lshl_or_b32 v10, v6, 8, v8
	v_mov_b32_e32 v6, 0x800
	v_lshl_add_u32 v13, v1, 6, v6
	s_waitcnt lgkmcnt(0)
	v_mov_b32_e32 v7, s15
	v_add_co_u32_e32 v6, vcc, s14, v4
	v_lshlrev_b64 v[2:3], 3, v[2:3]
	v_addc_co_u32_e32 v7, vcc, v7, v5, vcc
	s_lshl_b64 s[0:1], s[6:7], 6
	v_mov_b32_e32 v4, s21
	v_add_co_u32_e32 v8, vcc, s20, v2
	s_lshl_b64 s[6:7], s[18:19], 6
	v_lshlrev_b32_e32 v12, 3, v0
	v_addc_co_u32_e32 v9, vcc, v4, v3, vcc
	v_mov_b32_e32 v16, 0
	v_mov_b32_e32 v14, s1
	;; [unrolled: 1-line block ×10, first 2 shown]
.LBB801_2:                              ; =>This Inner Loop Header: Depth=1
	flat_load_dwordx2 v[2:3], v[6:7]
	v_add_co_u32_e32 v6, vcc, s0, v6
	v_addc_co_u32_e32 v7, vcc, v7, v14, vcc
	s_add_i32 s9, s9, 8
	s_cmp_ge_i32 s9, s3
	s_waitcnt vmcnt(0) lgkmcnt(0)
	ds_write_b64 v10, v[2:3]
	flat_load_dwordx2 v[2:3], v[8:9]
	v_add_co_u32_e32 v8, vcc, s6, v8
	v_addc_co_u32_e32 v9, vcc, v9, v15, vcc
	s_waitcnt vmcnt(0) lgkmcnt(0)
	v_xor_b32_e32 v3, 0x80000000, v3
	ds_write_b64 v11, v[2:3]
	s_waitcnt lgkmcnt(0)
	s_barrier
	ds_read_b128 v[24:27], v13
	ds_read_b128 v[28:31], v13 offset:16
	ds_read_b128 v[32:35], v13 offset:32
	;; [unrolled: 1-line block ×3, first 2 shown]
	ds_read2_b64 v[36:39], v12 offset1:16
	s_waitcnt lgkmcnt(0)
	v_mul_f32_e32 v40, v25, v37
	v_mul_f32_e32 v41, v24, v37
	v_fma_f32 v40, v24, v36, -v40
	v_fmac_f32_e32 v41, v25, v36
	v_add_f32_e32 v40, v22, v40
	v_add_f32_e32 v41, v23, v41
	v_mul_f32_e32 v22, v25, v39
	v_mul_f32_e32 v23, v24, v39
	v_fma_f32 v22, v24, v38, -v22
	v_fmac_f32_e32 v23, v25, v38
	v_add_f32_e32 v24, v20, v22
	v_add_f32_e32 v25, v21, v23
	ds_read_b128 v[20:23], v13 offset:1024
	s_waitcnt lgkmcnt(0)
	v_mul_f32_e32 v42, v21, v37
	v_mul_f32_e32 v37, v20, v37
	v_fma_f32 v42, v20, v36, -v42
	v_fmac_f32_e32 v37, v21, v36
	v_add_f32_e32 v36, v18, v42
	v_add_f32_e32 v37, v19, v37
	v_mul_f32_e32 v18, v21, v39
	v_mul_f32_e32 v19, v20, v39
	v_fma_f32 v18, v20, v38, -v18
	v_fmac_f32_e32 v19, v21, v38
	v_add_f32_e32 v20, v17, v18
	v_add_f32_e32 v21, v16, v19
	ds_read2_b64 v[16:19], v12 offset0:32 offset1:48
	s_waitcnt lgkmcnt(0)
	v_mul_f32_e32 v38, v27, v17
	v_fma_f32 v38, v26, v16, -v38
	v_add_f32_e32 v38, v40, v38
	v_mul_f32_e32 v40, v27, v19
	v_mul_f32_e32 v39, v26, v17
	v_fma_f32 v40, v26, v18, -v40
	v_mul_f32_e32 v26, v26, v19
	v_fmac_f32_e32 v26, v27, v18
	v_add_f32_e32 v25, v25, v26
	v_mul_f32_e32 v26, v23, v17
	v_mul_f32_e32 v17, v22, v17
	v_fmac_f32_e32 v17, v23, v16
	v_fmac_f32_e32 v39, v27, v16
	v_fma_f32 v26, v22, v16, -v26
	v_add_f32_e32 v27, v37, v17
	v_mul_f32_e32 v16, v23, v19
	v_mul_f32_e32 v17, v22, v19
	v_fma_f32 v16, v22, v18, -v16
	v_fmac_f32_e32 v17, v23, v18
	v_add_f32_e32 v26, v36, v26
	v_add_f32_e32 v36, v20, v16
	;; [unrolled: 1-line block ×3, first 2 shown]
	ds_read2_b64 v[16:19], v12 offset0:64 offset1:80
	v_add_f32_e32 v39, v41, v39
	v_add_f32_e32 v24, v24, v40
	s_waitcnt lgkmcnt(0)
	v_mul_f32_e32 v20, v29, v17
	v_mul_f32_e32 v21, v28, v17
	v_fma_f32 v20, v28, v16, -v20
	v_fmac_f32_e32 v21, v29, v16
	v_add_f32_e32 v38, v38, v20
	v_add_f32_e32 v39, v39, v21
	v_mul_f32_e32 v20, v29, v19
	v_mul_f32_e32 v21, v28, v19
	v_fma_f32 v20, v28, v18, -v20
	v_fmac_f32_e32 v21, v29, v18
	v_add_f32_e32 v24, v24, v20
	v_add_f32_e32 v25, v25, v21
	ds_read_b128 v[20:23], v13 offset:1040
	s_waitcnt lgkmcnt(0)
	v_mul_f32_e32 v28, v21, v17
	v_mul_f32_e32 v17, v20, v17
	v_fmac_f32_e32 v17, v21, v16
	v_fma_f32 v28, v20, v16, -v28
	v_add_f32_e32 v27, v27, v17
	v_mul_f32_e32 v16, v21, v19
	v_mul_f32_e32 v17, v20, v19
	v_fma_f32 v16, v20, v18, -v16
	v_fmac_f32_e32 v17, v21, v18
	v_add_f32_e32 v20, v36, v16
	v_add_f32_e32 v21, v37, v17
	ds_read2_b64 v[16:19], v12 offset0:96 offset1:112
	v_add_f32_e32 v26, v26, v28
	s_waitcnt lgkmcnt(0)
	v_mul_f32_e32 v28, v31, v17
	v_mul_f32_e32 v36, v31, v19
	v_fma_f32 v28, v30, v16, -v28
	v_mul_f32_e32 v29, v30, v17
	v_fma_f32 v36, v30, v18, -v36
	v_mul_f32_e32 v30, v30, v19
	v_fmac_f32_e32 v30, v31, v18
	v_add_f32_e32 v25, v25, v30
	v_mul_f32_e32 v30, v23, v17
	v_mul_f32_e32 v17, v22, v17
	v_fmac_f32_e32 v17, v23, v16
	v_fmac_f32_e32 v29, v31, v16
	v_fma_f32 v30, v22, v16, -v30
	v_add_f32_e32 v27, v27, v17
	v_mul_f32_e32 v16, v23, v19
	v_mul_f32_e32 v17, v22, v19
	v_fma_f32 v16, v22, v18, -v16
	v_fmac_f32_e32 v17, v23, v18
	v_add_f32_e32 v26, v26, v30
	v_add_f32_e32 v30, v20, v16
	;; [unrolled: 1-line block ×3, first 2 shown]
	ds_read2_b64 v[16:19], v12 offset0:128 offset1:144
	v_add_f32_e32 v28, v38, v28
	v_add_f32_e32 v29, v39, v29
	;; [unrolled: 1-line block ×3, first 2 shown]
	s_waitcnt lgkmcnt(0)
	v_mul_f32_e32 v20, v33, v17
	v_mul_f32_e32 v21, v32, v17
	v_fma_f32 v20, v32, v16, -v20
	v_fmac_f32_e32 v21, v33, v16
	v_add_f32_e32 v28, v28, v20
	v_add_f32_e32 v29, v29, v21
	v_mul_f32_e32 v20, v33, v19
	v_mul_f32_e32 v21, v32, v19
	v_fma_f32 v20, v32, v18, -v20
	v_fmac_f32_e32 v21, v33, v18
	v_add_f32_e32 v24, v24, v20
	v_add_f32_e32 v25, v25, v21
	ds_read_b128 v[20:23], v13 offset:1056
	s_waitcnt lgkmcnt(0)
	v_mul_f32_e32 v32, v21, v17
	v_mul_f32_e32 v17, v20, v17
	v_fmac_f32_e32 v17, v21, v16
	v_fma_f32 v32, v20, v16, -v32
	v_add_f32_e32 v27, v27, v17
	v_mul_f32_e32 v16, v21, v19
	v_mul_f32_e32 v17, v20, v19
	v_fma_f32 v16, v20, v18, -v16
	v_fmac_f32_e32 v17, v21, v18
	v_add_f32_e32 v20, v30, v16
	v_add_f32_e32 v21, v31, v17
	ds_read2_b64 v[16:19], v12 offset0:160 offset1:176
	v_add_f32_e32 v26, v26, v32
	s_waitcnt lgkmcnt(0)
	v_mul_f32_e32 v30, v35, v17
	v_fma_f32 v30, v34, v16, -v30
	v_add_f32_e32 v28, v28, v30
	v_mul_f32_e32 v30, v35, v19
	v_fma_f32 v30, v34, v18, -v30
	v_mul_f32_e32 v31, v34, v17
	v_add_f32_e32 v24, v24, v30
	v_mul_f32_e32 v30, v23, v17
	v_mul_f32_e32 v17, v22, v17
	v_fmac_f32_e32 v17, v23, v16
	v_fmac_f32_e32 v31, v35, v16
	v_fma_f32 v30, v22, v16, -v30
	v_add_f32_e32 v27, v27, v17
	v_mul_f32_e32 v16, v23, v19
	v_mul_f32_e32 v17, v22, v19
	v_add_f32_e32 v29, v29, v31
	v_mul_f32_e32 v31, v34, v19
	v_fma_f32 v16, v22, v18, -v16
	v_fmac_f32_e32 v17, v23, v18
	v_fmac_f32_e32 v31, v35, v18
	v_add_f32_e32 v20, v20, v16
	v_add_f32_e32 v21, v21, v17
	ds_read2_b64 v[16:19], v12 offset0:192 offset1:208
	v_add_f32_e32 v26, v26, v30
	v_add_f32_e32 v25, v25, v31
	s_waitcnt lgkmcnt(0)
	v_mul_f32_e32 v22, v3, v17
	v_fma_f32 v22, v2, v16, -v22
	v_add_f32_e32 v30, v28, v22
	v_mul_f32_e32 v22, v3, v19
	v_mul_f32_e32 v23, v2, v17
	v_fma_f32 v22, v2, v18, -v22
	v_mul_f32_e32 v2, v2, v19
	v_fmac_f32_e32 v23, v3, v16
	v_fmac_f32_e32 v2, v3, v18
	v_add_f32_e32 v31, v29, v23
	v_add_f32_e32 v3, v24, v22
	v_add_f32_e32 v2, v25, v2
	ds_read_b128 v[22:25], v13 offset:1072
	s_waitcnt lgkmcnt(0)
	v_mul_f32_e32 v28, v23, v17
	v_fma_f32 v28, v22, v16, -v28
	v_mul_f32_e32 v17, v22, v17
	v_fmac_f32_e32 v17, v23, v16
	v_add_f32_e32 v16, v26, v28
	v_mul_f32_e32 v26, v23, v19
	v_fma_f32 v26, v22, v18, -v26
	v_add_f32_e32 v17, v27, v17
	v_add_f32_e32 v32, v20, v26
	ds_read2_b64 v[26:29], v12 offset0:224 offset1:240
	v_mul_f32_e32 v19, v22, v19
	v_fmac_f32_e32 v19, v23, v18
	v_add_f32_e32 v33, v21, v19
	s_waitcnt lgkmcnt(0)
	v_mul_f32_e32 v18, v5, v27
	v_fma_f32 v18, v4, v26, -v18
	v_add_f32_e32 v22, v30, v18
	v_mul_f32_e32 v18, v5, v29
	v_mul_f32_e32 v19, v4, v27
	v_fma_f32 v18, v4, v28, -v18
	v_mul_f32_e32 v4, v4, v29
	v_fmac_f32_e32 v4, v5, v28
	v_add_f32_e32 v20, v3, v18
	v_add_f32_e32 v21, v2, v4
	v_mul_f32_e32 v2, v25, v27
	v_mul_f32_e32 v3, v24, v27
	v_fmac_f32_e32 v19, v5, v26
	v_fma_f32 v2, v24, v26, -v2
	v_fmac_f32_e32 v3, v25, v26
	v_add_f32_e32 v23, v31, v19
	v_add_f32_e32 v18, v16, v2
	;; [unrolled: 1-line block ×3, first 2 shown]
	v_mul_f32_e32 v2, v25, v29
	v_mul_f32_e32 v3, v24, v29
	v_fma_f32 v2, v24, v28, -v2
	v_fmac_f32_e32 v3, v25, v28
	v_add_f32_e32 v17, v32, v2
	v_add_f32_e32 v16, v33, v3
	s_barrier
	s_cbranch_scc0 .LBB801_2
	s_branch .LBB801_4
.LBB801_3:
	v_mov_b32_e32 v22, 0
	v_mov_b32_e32 v23, 0
	;; [unrolled: 1-line block ×8, first 2 shown]
.LBB801_4:
	s_load_dword s3, s[4:5], 0x50
	v_add_u32_e32 v5, s16, v1
	s_waitcnt lgkmcnt(0)
	v_mov_b32_e32 v3, s11
	v_add_u32_e32 v0, s8, v0
	v_cmp_gt_i32_e32 vcc, s2, v5
	v_mad_i64_i32 v[1:2], s[0:1], v5, s3, 0
	v_lshlrev_b64 v[1:2], 3, v[1:2]
	v_add_co_u32_e64 v4, s[0:1], s10, v1
	v_addc_co_u32_e64 v6, s[0:1], v3, v2, s[0:1]
	v_cmp_le_i32_e64 s[0:1], v0, v5
	s_and_b64 s[0:1], vcc, s[0:1]
	s_and_saveexec_b64 s[4:5], s[0:1]
	s_cbranch_execz .LBB801_7
; %bb.5:
	v_mul_f32_e32 v1, s13, v23
	v_fma_f32 v7, v22, s12, -v1
	v_ashrrev_i32_e32 v1, 31, v0
	v_lshlrev_b64 v[1:2], 3, v[0:1]
	v_mul_f32_e32 v8, s12, v23
	v_add_co_u32_e64 v1, s[0:1], v4, v1
	v_addc_co_u32_e64 v2, s[0:1], v6, v2, s[0:1]
	v_fmac_f32_e32 v8, s13, v22
	v_cmp_eq_u32_e64 s[0:1], v5, v0
	flat_store_dwordx2 v[1:2], v[7:8]
	s_and_b64 exec, exec, s[0:1]
	s_cbranch_execz .LBB801_7
; %bb.6:
	v_mov_b32_e32 v3, 0
	flat_store_dword v[1:2], v3 offset:4
.LBB801_7:
	s_or_b64 exec, exec, s[4:5]
	v_add_u32_e32 v2, 16, v0
	v_cmp_le_i32_e64 s[0:1], v2, v5
	s_and_b64 s[4:5], vcc, s[0:1]
	s_and_saveexec_b64 s[0:1], s[4:5]
	s_cbranch_execz .LBB801_10
; %bb.8:
	v_ashrrev_i32_e32 v3, 31, v2
	v_lshlrev_b64 v[9:10], 3, v[2:3]
	v_mul_f32_e32 v1, s13, v21
	v_add_co_u32_e32 v3, vcc, v4, v9
	v_mul_f32_e32 v8, s12, v21
	v_addc_co_u32_e32 v4, vcc, v6, v10, vcc
	v_fma_f32 v7, v20, s12, -v1
	v_fmac_f32_e32 v8, s13, v20
	v_cmp_eq_u32_e32 vcc, v5, v2
	flat_store_dwordx2 v[3:4], v[7:8]
	s_and_b64 exec, exec, vcc
	s_cbranch_execz .LBB801_10
; %bb.9:
	v_mov_b32_e32 v1, 0
	flat_store_dword v[3:4], v1 offset:4
.LBB801_10:
	s_or_b64 exec, exec, s[0:1]
	v_add_u32_e32 v8, 16, v5
	v_mad_i64_i32 v[3:4], s[0:1], v8, s3, 0
	v_mov_b32_e32 v1, s11
	v_cmp_gt_i32_e32 vcc, s2, v8
	v_lshlrev_b64 v[3:4], 3, v[3:4]
	v_add_co_u32_e64 v6, s[0:1], s10, v3
	v_addc_co_u32_e64 v7, s[0:1], v1, v4, s[0:1]
	v_cmp_le_i32_e64 s[0:1], v0, v8
	s_and_b64 s[0:1], vcc, s[0:1]
	s_and_saveexec_b64 s[2:3], s[0:1]
	s_cbranch_execz .LBB801_13
; %bb.11:
	v_mul_f32_e32 v1, s13, v19
	v_fma_f32 v9, v18, s12, -v1
	v_ashrrev_i32_e32 v1, 31, v0
	v_lshlrev_b64 v[3:4], 3, v[0:1]
	v_mul_f32_e32 v10, s12, v19
	v_add_co_u32_e64 v3, s[0:1], v6, v3
	v_addc_co_u32_e64 v4, s[0:1], v7, v4, s[0:1]
	v_fmac_f32_e32 v10, s13, v18
	v_cmp_eq_u32_e64 s[0:1], v8, v0
	flat_store_dwordx2 v[3:4], v[9:10]
	s_and_b64 exec, exec, s[0:1]
	s_cbranch_execz .LBB801_13
; %bb.12:
	v_mov_b32_e32 v1, 0
	flat_store_dword v[3:4], v1 offset:4
.LBB801_13:
	s_or_b64 exec, exec, s[2:3]
	v_cmp_le_i32_e64 s[0:1], v2, v8
	s_and_b64 s[0:1], vcc, s[0:1]
	s_and_saveexec_b64 s[2:3], s[0:1]
	s_cbranch_execz .LBB801_16
; %bb.14:
	v_mul_f32_e32 v1, s13, v16
	v_ashrrev_i32_e32 v3, 31, v2
	v_fma_f32 v8, v17, s12, -v1
	v_lshlrev_b64 v[1:2], 3, v[2:3]
	v_mul_f32_e32 v9, s12, v16
	v_add_co_u32_e32 v1, vcc, v6, v1
	v_addc_co_u32_e32 v2, vcc, v7, v2, vcc
	v_fmac_f32_e32 v9, s13, v17
	v_cmp_eq_u32_e32 vcc, v5, v0
	flat_store_dwordx2 v[1:2], v[8:9]
	s_and_b64 exec, exec, vcc
	s_cbranch_execz .LBB801_16
; %bb.15:
	v_mov_b32_e32 v0, 0
	flat_store_dword v[1:2], v0 offset:4
.LBB801_16:
	s_endpgm
	.section	.rodata,"a",@progbits
	.p2align	6, 0x0
	.amdhsa_kernel _ZL37rocblas_syrkx_herkx_restricted_kernelIi19rocblas_complex_numIfELi16ELi32ELi8ELb1ELb1ELc78ELc85EKPKS1_KPS1_EviT_T0_PT8_S7_lSA_S7_lS8_PT9_S7_li
		.amdhsa_group_segment_fixed_size 4096
		.amdhsa_private_segment_fixed_size 0
		.amdhsa_kernarg_size 100
		.amdhsa_user_sgpr_count 6
		.amdhsa_user_sgpr_private_segment_buffer 1
		.amdhsa_user_sgpr_dispatch_ptr 0
		.amdhsa_user_sgpr_queue_ptr 0
		.amdhsa_user_sgpr_kernarg_segment_ptr 1
		.amdhsa_user_sgpr_dispatch_id 0
		.amdhsa_user_sgpr_flat_scratch_init 0
		.amdhsa_user_sgpr_private_segment_size 0
		.amdhsa_uses_dynamic_stack 0
		.amdhsa_system_sgpr_private_segment_wavefront_offset 0
		.amdhsa_system_sgpr_workgroup_id_x 1
		.amdhsa_system_sgpr_workgroup_id_y 1
		.amdhsa_system_sgpr_workgroup_id_z 1
		.amdhsa_system_sgpr_workgroup_info 0
		.amdhsa_system_vgpr_workitem_id 1
		.amdhsa_next_free_vgpr 43
		.amdhsa_next_free_sgpr 22
		.amdhsa_reserve_vcc 1
		.amdhsa_reserve_flat_scratch 0
		.amdhsa_float_round_mode_32 0
		.amdhsa_float_round_mode_16_64 0
		.amdhsa_float_denorm_mode_32 3
		.amdhsa_float_denorm_mode_16_64 3
		.amdhsa_dx10_clamp 1
		.amdhsa_ieee_mode 1
		.amdhsa_fp16_overflow 0
		.amdhsa_exception_fp_ieee_invalid_op 0
		.amdhsa_exception_fp_denorm_src 0
		.amdhsa_exception_fp_ieee_div_zero 0
		.amdhsa_exception_fp_ieee_overflow 0
		.amdhsa_exception_fp_ieee_underflow 0
		.amdhsa_exception_fp_ieee_inexact 0
		.amdhsa_exception_int_div_zero 0
	.end_amdhsa_kernel
	.section	.text._ZL37rocblas_syrkx_herkx_restricted_kernelIi19rocblas_complex_numIfELi16ELi32ELi8ELb1ELb1ELc78ELc85EKPKS1_KPS1_EviT_T0_PT8_S7_lSA_S7_lS8_PT9_S7_li,"axG",@progbits,_ZL37rocblas_syrkx_herkx_restricted_kernelIi19rocblas_complex_numIfELi16ELi32ELi8ELb1ELb1ELc78ELc85EKPKS1_KPS1_EviT_T0_PT8_S7_lSA_S7_lS8_PT9_S7_li,comdat
.Lfunc_end801:
	.size	_ZL37rocblas_syrkx_herkx_restricted_kernelIi19rocblas_complex_numIfELi16ELi32ELi8ELb1ELb1ELc78ELc85EKPKS1_KPS1_EviT_T0_PT8_S7_lSA_S7_lS8_PT9_S7_li, .Lfunc_end801-_ZL37rocblas_syrkx_herkx_restricted_kernelIi19rocblas_complex_numIfELi16ELi32ELi8ELb1ELb1ELc78ELc85EKPKS1_KPS1_EviT_T0_PT8_S7_lSA_S7_lS8_PT9_S7_li
                                        ; -- End function
	.set _ZL37rocblas_syrkx_herkx_restricted_kernelIi19rocblas_complex_numIfELi16ELi32ELi8ELb1ELb1ELc78ELc85EKPKS1_KPS1_EviT_T0_PT8_S7_lSA_S7_lS8_PT9_S7_li.num_vgpr, 43
	.set _ZL37rocblas_syrkx_herkx_restricted_kernelIi19rocblas_complex_numIfELi16ELi32ELi8ELb1ELb1ELc78ELc85EKPKS1_KPS1_EviT_T0_PT8_S7_lSA_S7_lS8_PT9_S7_li.num_agpr, 0
	.set _ZL37rocblas_syrkx_herkx_restricted_kernelIi19rocblas_complex_numIfELi16ELi32ELi8ELb1ELb1ELc78ELc85EKPKS1_KPS1_EviT_T0_PT8_S7_lSA_S7_lS8_PT9_S7_li.numbered_sgpr, 22
	.set _ZL37rocblas_syrkx_herkx_restricted_kernelIi19rocblas_complex_numIfELi16ELi32ELi8ELb1ELb1ELc78ELc85EKPKS1_KPS1_EviT_T0_PT8_S7_lSA_S7_lS8_PT9_S7_li.num_named_barrier, 0
	.set _ZL37rocblas_syrkx_herkx_restricted_kernelIi19rocblas_complex_numIfELi16ELi32ELi8ELb1ELb1ELc78ELc85EKPKS1_KPS1_EviT_T0_PT8_S7_lSA_S7_lS8_PT9_S7_li.private_seg_size, 0
	.set _ZL37rocblas_syrkx_herkx_restricted_kernelIi19rocblas_complex_numIfELi16ELi32ELi8ELb1ELb1ELc78ELc85EKPKS1_KPS1_EviT_T0_PT8_S7_lSA_S7_lS8_PT9_S7_li.uses_vcc, 1
	.set _ZL37rocblas_syrkx_herkx_restricted_kernelIi19rocblas_complex_numIfELi16ELi32ELi8ELb1ELb1ELc78ELc85EKPKS1_KPS1_EviT_T0_PT8_S7_lSA_S7_lS8_PT9_S7_li.uses_flat_scratch, 0
	.set _ZL37rocblas_syrkx_herkx_restricted_kernelIi19rocblas_complex_numIfELi16ELi32ELi8ELb1ELb1ELc78ELc85EKPKS1_KPS1_EviT_T0_PT8_S7_lSA_S7_lS8_PT9_S7_li.has_dyn_sized_stack, 0
	.set _ZL37rocblas_syrkx_herkx_restricted_kernelIi19rocblas_complex_numIfELi16ELi32ELi8ELb1ELb1ELc78ELc85EKPKS1_KPS1_EviT_T0_PT8_S7_lSA_S7_lS8_PT9_S7_li.has_recursion, 0
	.set _ZL37rocblas_syrkx_herkx_restricted_kernelIi19rocblas_complex_numIfELi16ELi32ELi8ELb1ELb1ELc78ELc85EKPKS1_KPS1_EviT_T0_PT8_S7_lSA_S7_lS8_PT9_S7_li.has_indirect_call, 0
	.section	.AMDGPU.csdata,"",@progbits
; Kernel info:
; codeLenInByte = 2048
; TotalNumSgprs: 26
; NumVgprs: 43
; ScratchSize: 0
; MemoryBound: 0
; FloatMode: 240
; IeeeMode: 1
; LDSByteSize: 4096 bytes/workgroup (compile time only)
; SGPRBlocks: 3
; VGPRBlocks: 10
; NumSGPRsForWavesPerEU: 26
; NumVGPRsForWavesPerEU: 43
; Occupancy: 5
; WaveLimiterHint : 1
; COMPUTE_PGM_RSRC2:SCRATCH_EN: 0
; COMPUTE_PGM_RSRC2:USER_SGPR: 6
; COMPUTE_PGM_RSRC2:TRAP_HANDLER: 0
; COMPUTE_PGM_RSRC2:TGID_X_EN: 1
; COMPUTE_PGM_RSRC2:TGID_Y_EN: 1
; COMPUTE_PGM_RSRC2:TGID_Z_EN: 1
; COMPUTE_PGM_RSRC2:TIDIG_COMP_CNT: 1
	.section	.text._ZL37rocblas_syrkx_herkx_restricted_kernelIi19rocblas_complex_numIfELi16ELi32ELi8ELb0ELb1ELc84ELc76EKPKS1_KPS1_EviT_T0_PT8_S7_lSA_S7_lS8_PT9_S7_li,"axG",@progbits,_ZL37rocblas_syrkx_herkx_restricted_kernelIi19rocblas_complex_numIfELi16ELi32ELi8ELb0ELb1ELc84ELc76EKPKS1_KPS1_EviT_T0_PT8_S7_lSA_S7_lS8_PT9_S7_li,comdat
	.globl	_ZL37rocblas_syrkx_herkx_restricted_kernelIi19rocblas_complex_numIfELi16ELi32ELi8ELb0ELb1ELc84ELc76EKPKS1_KPS1_EviT_T0_PT8_S7_lSA_S7_lS8_PT9_S7_li ; -- Begin function _ZL37rocblas_syrkx_herkx_restricted_kernelIi19rocblas_complex_numIfELi16ELi32ELi8ELb0ELb1ELc84ELc76EKPKS1_KPS1_EviT_T0_PT8_S7_lSA_S7_lS8_PT9_S7_li
	.p2align	8
	.type	_ZL37rocblas_syrkx_herkx_restricted_kernelIi19rocblas_complex_numIfELi16ELi32ELi8ELb0ELb1ELc84ELc76EKPKS1_KPS1_EviT_T0_PT8_S7_lSA_S7_lS8_PT9_S7_li,@function
_ZL37rocblas_syrkx_herkx_restricted_kernelIi19rocblas_complex_numIfELi16ELi32ELi8ELb0ELb1ELc84ELc76EKPKS1_KPS1_EviT_T0_PT8_S7_lSA_S7_lS8_PT9_S7_li: ; @_ZL37rocblas_syrkx_herkx_restricted_kernelIi19rocblas_complex_numIfELi16ELi32ELi8ELb0ELb1ELc84ELc76EKPKS1_KPS1_EviT_T0_PT8_S7_lSA_S7_lS8_PT9_S7_li
; %bb.0:
	s_load_dwordx4 s[12:15], s[4:5], 0x40
	s_load_dwordx2 s[20:21], s[4:5], 0x0
	s_load_dwordx4 s[16:19], s[4:5], 0x8
	s_mov_b32 s9, 0
	s_lshl_b64 s[0:1], s[8:9], 3
	s_waitcnt lgkmcnt(0)
	s_add_u32 s2, s14, s0
	s_addc_u32 s3, s15, s1
	s_load_dwordx2 s[10:11], s[2:3], 0x0
	s_lshl_b32 s2, s6, 5
	s_lshl_b32 s3, s7, 5
	s_cmp_lt_i32 s21, 1
	s_cbranch_scc1 .LBB802_3
; %bb.1:
	s_load_dword s8, s[4:5], 0x18
	s_load_dwordx2 s[6:7], s[4:5], 0x28
	s_load_dword s22, s[4:5], 0x30
	v_lshl_add_u32 v3, v1, 4, v0
	v_and_b32_e32 v7, 31, v3
	s_add_u32 s14, s18, s0
	v_lshrrev_b32_e32 v2, 5, v3
	v_and_b32_e32 v9, 7, v0
	v_lshlrev_b32_e32 v8, 3, v7
	s_addc_u32 s15, s19, s1
	v_lshrrev_b32_e32 v6, 3, v3
	v_lshl_or_b32 v11, v2, 8, v8
	v_lshlrev_b32_e32 v8, 3, v9
	s_waitcnt lgkmcnt(0)
	s_add_u32 s0, s6, s0
	v_add_u32_e32 v3, s3, v6
	v_mov_b32_e32 v10, 0
	v_lshl_or_b32 v6, v6, 6, v8
	s_addc_u32 s1, s7, s1
	v_mad_i64_i32 v[4:5], s[6:7], s22, v3, v[9:10]
	v_mov_b32_e32 v3, v10
	v_add_u32_e32 v12, 0x800, v6
	v_add_u32_e32 v6, s2, v7
	v_mad_i64_i32 v[2:3], s[6:7], s8, v6, v[2:3]
	s_load_dwordx2 s[14:15], s[14:15], 0x0
	v_mov_b32_e32 v6, 0x800
	s_load_dwordx2 s[0:1], s[0:1], 0x0
	v_lshlrev_b64 v[2:3], 3, v[2:3]
	v_lshl_add_u32 v14, v1, 6, v6
	s_waitcnt lgkmcnt(0)
	v_mov_b32_e32 v7, s15
	v_add_co_u32_e32 v6, vcc, s14, v2
	v_addc_co_u32_e32 v7, vcc, v7, v3, vcc
	v_lshlrev_b64 v[2:3], 3, v[4:5]
	v_mov_b32_e32 v4, s1
	v_add_co_u32_e32 v8, vcc, s0, v2
	v_lshlrev_b32_e32 v13, 3, v0
	v_addc_co_u32_e32 v9, vcc, v4, v3, vcc
	v_mov_b32_e32 v15, v10
	v_mov_b32_e32 v17, v10
	;; [unrolled: 1-line block ×7, first 2 shown]
.LBB802_2:                              ; =>This Inner Loop Header: Depth=1
	flat_load_dwordx2 v[2:3], v[6:7]
	v_add_co_u32_e32 v6, vcc, 64, v6
	v_addc_co_u32_e32 v7, vcc, 0, v7, vcc
	s_add_i32 s9, s9, 8
	s_cmp_ge_i32 s9, s21
	s_waitcnt vmcnt(0) lgkmcnt(0)
	ds_write_b64 v11, v[2:3]
	flat_load_dwordx2 v[2:3], v[8:9]
	v_add_co_u32_e32 v8, vcc, 64, v8
	v_addc_co_u32_e32 v9, vcc, 0, v9, vcc
	s_waitcnt vmcnt(0) lgkmcnt(0)
	ds_write_b64 v12, v[2:3]
	s_waitcnt lgkmcnt(0)
	s_barrier
	ds_read_b128 v[22:25], v14
	ds_read_b128 v[26:29], v14 offset:16
	ds_read_b128 v[30:33], v14 offset:32
	;; [unrolled: 1-line block ×3, first 2 shown]
	ds_read2_b64 v[34:37], v13 offset1:16
	s_waitcnt lgkmcnt(0)
	v_mul_f32_e32 v38, v23, v35
	v_mul_f32_e32 v39, v22, v35
	v_fma_f32 v38, v22, v34, -v38
	v_fmac_f32_e32 v39, v23, v34
	v_add_f32_e32 v38, v20, v38
	v_add_f32_e32 v39, v21, v39
	v_mul_f32_e32 v20, v23, v37
	v_mul_f32_e32 v21, v22, v37
	v_fma_f32 v20, v22, v36, -v20
	v_fmac_f32_e32 v21, v23, v36
	v_add_f32_e32 v22, v18, v20
	v_add_f32_e32 v23, v19, v21
	ds_read_b128 v[18:21], v14 offset:1024
	s_waitcnt lgkmcnt(0)
	v_mul_f32_e32 v40, v19, v35
	v_mul_f32_e32 v35, v18, v35
	v_fma_f32 v40, v18, v34, -v40
	v_fmac_f32_e32 v35, v19, v34
	v_add_f32_e32 v34, v16, v40
	v_add_f32_e32 v35, v17, v35
	v_mul_f32_e32 v16, v19, v37
	v_mul_f32_e32 v17, v18, v37
	v_fma_f32 v16, v18, v36, -v16
	v_fmac_f32_e32 v17, v19, v36
	v_add_f32_e32 v19, v15, v16
	v_add_f32_e32 v10, v10, v17
	ds_read2_b64 v[15:18], v13 offset0:32 offset1:48
	s_waitcnt lgkmcnt(0)
	v_mul_f32_e32 v36, v25, v16
	v_fma_f32 v36, v24, v15, -v36
	v_add_f32_e32 v36, v38, v36
	v_mul_f32_e32 v38, v25, v18
	v_mul_f32_e32 v37, v24, v16
	v_fma_f32 v38, v24, v17, -v38
	v_mul_f32_e32 v24, v24, v18
	v_fmac_f32_e32 v24, v25, v17
	v_add_f32_e32 v23, v23, v24
	v_mul_f32_e32 v24, v21, v16
	v_mul_f32_e32 v16, v20, v16
	v_fmac_f32_e32 v16, v21, v15
	v_fmac_f32_e32 v37, v25, v15
	v_fma_f32 v24, v20, v15, -v24
	v_add_f32_e32 v25, v35, v16
	v_mul_f32_e32 v15, v21, v18
	v_mul_f32_e32 v16, v20, v18
	v_fma_f32 v15, v20, v17, -v15
	v_fmac_f32_e32 v16, v21, v17
	v_add_f32_e32 v24, v34, v24
	v_add_f32_e32 v34, v19, v15
	;; [unrolled: 1-line block ×3, first 2 shown]
	ds_read2_b64 v[15:18], v13 offset0:64 offset1:80
	v_add_f32_e32 v37, v39, v37
	v_add_f32_e32 v22, v22, v38
	s_waitcnt lgkmcnt(0)
	v_mul_f32_e32 v19, v27, v16
	v_mul_f32_e32 v20, v26, v16
	v_fma_f32 v19, v26, v15, -v19
	v_fmac_f32_e32 v20, v27, v15
	v_add_f32_e32 v35, v36, v19
	v_add_f32_e32 v36, v37, v20
	v_mul_f32_e32 v19, v27, v18
	v_mul_f32_e32 v20, v26, v18
	v_fma_f32 v19, v26, v17, -v19
	v_fmac_f32_e32 v20, v27, v17
	v_add_f32_e32 v26, v22, v19
	v_add_f32_e32 v23, v23, v20
	ds_read_b128 v[19:22], v14 offset:1040
	s_waitcnt lgkmcnt(0)
	v_mul_f32_e32 v27, v20, v16
	v_mul_f32_e32 v16, v19, v16
	v_fmac_f32_e32 v16, v20, v15
	v_fma_f32 v27, v19, v15, -v27
	v_add_f32_e32 v25, v25, v16
	v_mul_f32_e32 v15, v20, v18
	v_mul_f32_e32 v16, v19, v18
	v_fma_f32 v15, v19, v17, -v15
	v_fmac_f32_e32 v16, v20, v17
	v_add_f32_e32 v19, v34, v15
	v_add_f32_e32 v10, v10, v16
	ds_read2_b64 v[15:18], v13 offset0:96 offset1:112
	v_add_f32_e32 v24, v24, v27
	s_waitcnt lgkmcnt(0)
	v_mul_f32_e32 v20, v29, v16
	v_mul_f32_e32 v34, v29, v18
	v_fma_f32 v20, v28, v15, -v20
	v_mul_f32_e32 v27, v28, v16
	v_fma_f32 v34, v28, v17, -v34
	v_mul_f32_e32 v28, v28, v18
	v_fmac_f32_e32 v28, v29, v17
	v_add_f32_e32 v23, v23, v28
	v_mul_f32_e32 v28, v22, v16
	v_mul_f32_e32 v16, v21, v16
	v_fmac_f32_e32 v16, v22, v15
	v_fmac_f32_e32 v27, v29, v15
	v_fma_f32 v28, v21, v15, -v28
	v_add_f32_e32 v25, v25, v16
	v_mul_f32_e32 v15, v22, v18
	v_mul_f32_e32 v16, v21, v18
	v_fma_f32 v15, v21, v17, -v15
	v_fmac_f32_e32 v16, v22, v17
	v_add_f32_e32 v24, v24, v28
	v_add_f32_e32 v28, v19, v15
	;; [unrolled: 1-line block ×3, first 2 shown]
	ds_read2_b64 v[15:18], v13 offset0:128 offset1:144
	v_add_f32_e32 v20, v35, v20
	v_add_f32_e32 v27, v36, v27
	;; [unrolled: 1-line block ×3, first 2 shown]
	s_waitcnt lgkmcnt(0)
	v_mul_f32_e32 v19, v31, v16
	v_fma_f32 v19, v30, v15, -v19
	v_mul_f32_e32 v21, v30, v16
	v_add_f32_e32 v29, v20, v19
	v_mul_f32_e32 v19, v31, v18
	v_mul_f32_e32 v20, v30, v18
	v_fmac_f32_e32 v21, v31, v15
	v_fma_f32 v19, v30, v17, -v19
	v_fmac_f32_e32 v20, v31, v17
	v_add_f32_e32 v27, v27, v21
	v_add_f32_e32 v26, v26, v19
	;; [unrolled: 1-line block ×3, first 2 shown]
	ds_read_b128 v[19:22], v14 offset:1056
	s_waitcnt lgkmcnt(0)
	v_mul_f32_e32 v30, v20, v16
	v_mul_f32_e32 v16, v19, v16
	v_fmac_f32_e32 v16, v20, v15
	v_fma_f32 v30, v19, v15, -v30
	v_add_f32_e32 v25, v25, v16
	v_mul_f32_e32 v15, v20, v18
	v_mul_f32_e32 v16, v19, v18
	v_fma_f32 v15, v19, v17, -v15
	v_fmac_f32_e32 v16, v20, v17
	v_add_f32_e32 v19, v28, v15
	v_add_f32_e32 v10, v10, v16
	ds_read2_b64 v[15:18], v13 offset0:160 offset1:176
	v_add_f32_e32 v24, v24, v30
	s_waitcnt lgkmcnt(0)
	v_mul_f32_e32 v28, v32, v16
	v_fmac_f32_e32 v28, v33, v15
	v_add_f32_e32 v27, v27, v28
	v_mul_f32_e32 v28, v33, v18
	v_fma_f32 v28, v32, v17, -v28
	v_mul_f32_e32 v20, v33, v16
	v_add_f32_e32 v26, v26, v28
	v_mul_f32_e32 v28, v22, v16
	v_mul_f32_e32 v16, v21, v16
	v_fmac_f32_e32 v16, v22, v15
	v_fma_f32 v20, v32, v15, -v20
	v_fma_f32 v28, v21, v15, -v28
	v_add_f32_e32 v25, v25, v16
	v_mul_f32_e32 v15, v22, v18
	v_mul_f32_e32 v16, v21, v18
	v_add_f32_e32 v20, v29, v20
	v_mul_f32_e32 v29, v32, v18
	v_fma_f32 v15, v21, v17, -v15
	v_fmac_f32_e32 v16, v22, v17
	v_fmac_f32_e32 v29, v33, v17
	v_add_f32_e32 v19, v19, v15
	v_add_f32_e32 v10, v10, v16
	ds_read2_b64 v[15:18], v13 offset0:192 offset1:208
	v_add_f32_e32 v24, v24, v28
	v_add_f32_e32 v23, v23, v29
	s_waitcnt lgkmcnt(0)
	v_mul_f32_e32 v21, v3, v16
	v_fma_f32 v21, v2, v15, -v21
	v_add_f32_e32 v28, v20, v21
	v_mul_f32_e32 v20, v3, v18
	v_mul_f32_e32 v22, v2, v16
	v_fma_f32 v20, v2, v17, -v20
	v_mul_f32_e32 v2, v2, v18
	v_fmac_f32_e32 v22, v3, v15
	v_fmac_f32_e32 v2, v3, v17
	v_add_f32_e32 v29, v27, v22
	v_add_f32_e32 v3, v26, v20
	;; [unrolled: 1-line block ×3, first 2 shown]
	ds_read_b128 v[20:23], v14 offset:1072
	s_waitcnt lgkmcnt(0)
	v_mul_f32_e32 v26, v21, v16
	v_mul_f32_e32 v16, v20, v16
	v_fma_f32 v26, v20, v15, -v26
	v_fmac_f32_e32 v16, v21, v15
	v_add_f32_e32 v15, v24, v26
	v_add_f32_e32 v30, v25, v16
	ds_read2_b64 v[24:27], v13 offset0:224 offset1:240
	v_mul_f32_e32 v16, v21, v18
	v_fma_f32 v16, v20, v17, -v16
	v_add_f32_e32 v31, v19, v16
	v_mul_f32_e32 v18, v20, v18
	s_waitcnt lgkmcnt(0)
	v_mul_f32_e32 v16, v5, v25
	v_fma_f32 v16, v4, v24, -v16
	v_add_f32_e32 v20, v28, v16
	v_mul_f32_e32 v16, v5, v27
	v_fmac_f32_e32 v18, v21, v17
	v_mul_f32_e32 v17, v4, v25
	v_fma_f32 v16, v4, v26, -v16
	v_mul_f32_e32 v4, v4, v27
	v_fmac_f32_e32 v4, v5, v26
	v_add_f32_e32 v10, v10, v18
	v_add_f32_e32 v18, v3, v16
	;; [unrolled: 1-line block ×3, first 2 shown]
	v_mul_f32_e32 v2, v23, v25
	v_mul_f32_e32 v3, v22, v25
	v_fmac_f32_e32 v17, v5, v24
	v_fma_f32 v2, v22, v24, -v2
	v_fmac_f32_e32 v3, v23, v24
	v_add_f32_e32 v21, v29, v17
	v_add_f32_e32 v16, v15, v2
	;; [unrolled: 1-line block ×3, first 2 shown]
	v_mul_f32_e32 v2, v23, v27
	v_mul_f32_e32 v3, v22, v27
	v_fma_f32 v2, v22, v26, -v2
	v_fmac_f32_e32 v3, v23, v26
	v_add_f32_e32 v15, v31, v2
	v_add_f32_e32 v10, v10, v3
	s_barrier
	s_cbranch_scc0 .LBB802_2
	s_branch .LBB802_4
.LBB802_3:
	v_mov_b32_e32 v20, 0
	v_mov_b32_e32 v21, 0
	;; [unrolled: 1-line block ×8, first 2 shown]
.LBB802_4:
	s_load_dword s6, s[4:5], 0x50
	v_add_u32_e32 v5, s3, v1
	s_waitcnt lgkmcnt(0)
	v_mov_b32_e32 v3, s11
	v_add_u32_e32 v0, s2, v0
	v_mad_i64_i32 v[1:2], s[0:1], v5, s6, 0
	v_cmp_le_i32_e64 s[0:1], v5, v0
	v_lshlrev_b64 v[1:2], 3, v[1:2]
	v_add_co_u32_e32 v4, vcc, s10, v1
	v_addc_co_u32_e32 v6, vcc, v3, v2, vcc
	v_cmp_gt_i32_e32 vcc, s20, v0
	s_and_b64 s[0:1], s[0:1], vcc
	s_and_saveexec_b64 s[2:3], s[0:1]
	s_cbranch_execz .LBB802_7
; %bb.5:
	v_ashrrev_i32_e32 v1, 31, v0
	v_lshlrev_b64 v[1:2], 3, v[0:1]
	v_mul_f32_e32 v3, s17, v21
	v_add_co_u32_e64 v1, s[0:1], v4, v1
	v_addc_co_u32_e64 v2, s[0:1], v6, v2, s[0:1]
	flat_load_dwordx2 v[7:8], v[1:2]
	v_mul_f32_e32 v9, s16, v21
	v_fma_f32 v3, v20, s16, -v3
	v_fmac_f32_e32 v9, s17, v20
	v_cmp_eq_u32_e64 s[0:1], v5, v0
	s_waitcnt vmcnt(0) lgkmcnt(0)
	v_mul_f32_e32 v11, s13, v8
	v_mul_f32_e32 v8, s12, v8
	v_fma_f32 v11, v7, s12, -v11
	v_fmac_f32_e32 v8, s13, v7
	v_add_f32_e32 v7, v3, v11
	v_add_f32_e32 v8, v9, v8
	flat_store_dwordx2 v[1:2], v[7:8]
	s_and_b64 exec, exec, s[0:1]
	s_cbranch_execz .LBB802_7
; %bb.6:
	v_mov_b32_e32 v3, 0
	flat_store_dword v[1:2], v3 offset:4
.LBB802_7:
	s_or_b64 exec, exec, s[2:3]
	v_add_u32_e32 v2, 16, v0
	v_cmp_le_i32_e64 s[2:3], v5, v2
	v_cmp_gt_i32_e64 s[0:1], s20, v2
	s_and_b64 s[2:3], s[2:3], s[0:1]
	s_and_saveexec_b64 s[4:5], s[2:3]
	s_cbranch_execz .LBB802_10
; %bb.8:
	v_ashrrev_i32_e32 v3, 31, v2
	v_lshlrev_b64 v[7:8], 3, v[2:3]
	v_mul_f32_e32 v1, s17, v19
	v_add_co_u32_e64 v3, s[2:3], v4, v7
	v_addc_co_u32_e64 v4, s[2:3], v6, v8, s[2:3]
	flat_load_dwordx2 v[6:7], v[3:4]
	v_mul_f32_e32 v8, s16, v19
	v_fma_f32 v1, v18, s16, -v1
	v_fmac_f32_e32 v8, s17, v18
	v_cmp_eq_u32_e64 s[2:3], v5, v2
	s_waitcnt vmcnt(0) lgkmcnt(0)
	v_mul_f32_e32 v9, s13, v7
	v_mul_f32_e32 v7, s12, v7
	v_fma_f32 v9, v6, s12, -v9
	v_fmac_f32_e32 v7, s13, v6
	v_add_f32_e32 v6, v1, v9
	v_add_f32_e32 v7, v8, v7
	flat_store_dwordx2 v[3:4], v[6:7]
	s_and_b64 exec, exec, s[2:3]
	s_cbranch_execz .LBB802_10
; %bb.9:
	v_mov_b32_e32 v1, 0
	flat_store_dword v[3:4], v1 offset:4
.LBB802_10:
	s_or_b64 exec, exec, s[4:5]
	v_add_u32_e32 v8, 16, v5
	v_mad_i64_i32 v[3:4], s[2:3], v8, s6, 0
	v_mov_b32_e32 v1, s11
	v_lshlrev_b64 v[3:4], 3, v[3:4]
	v_add_co_u32_e64 v6, s[2:3], s10, v3
	v_addc_co_u32_e64 v7, s[2:3], v1, v4, s[2:3]
	v_cmp_le_i32_e64 s[2:3], v8, v0
	s_and_b64 s[4:5], s[2:3], vcc
	s_and_saveexec_b64 s[2:3], s[4:5]
	s_cbranch_execz .LBB802_13
; %bb.11:
	v_ashrrev_i32_e32 v1, 31, v0
	v_lshlrev_b64 v[3:4], 3, v[0:1]
	v_mul_f32_e32 v1, s17, v17
	v_add_co_u32_e32 v3, vcc, v6, v3
	v_addc_co_u32_e32 v4, vcc, v7, v4, vcc
	flat_load_dwordx2 v[11:12], v[3:4]
	v_mul_f32_e32 v9, s16, v17
	v_fma_f32 v1, v16, s16, -v1
	v_fmac_f32_e32 v9, s17, v16
	v_cmp_eq_u32_e32 vcc, v8, v0
	s_waitcnt vmcnt(0) lgkmcnt(0)
	v_mul_f32_e32 v13, s13, v12
	v_mul_f32_e32 v12, s12, v12
	v_fma_f32 v13, v11, s12, -v13
	v_fmac_f32_e32 v12, s13, v11
	v_add_f32_e32 v11, v1, v13
	v_add_f32_e32 v12, v9, v12
	flat_store_dwordx2 v[3:4], v[11:12]
	s_and_b64 exec, exec, vcc
	s_cbranch_execz .LBB802_13
; %bb.12:
	v_mov_b32_e32 v1, 0
	flat_store_dword v[3:4], v1 offset:4
.LBB802_13:
	s_or_b64 exec, exec, s[2:3]
	v_cmp_le_i32_e32 vcc, v8, v2
	s_and_b64 s[0:1], vcc, s[0:1]
	s_and_saveexec_b64 s[2:3], s[0:1]
	s_cbranch_execz .LBB802_16
; %bb.14:
	v_ashrrev_i32_e32 v3, 31, v2
	v_lshlrev_b64 v[1:2], 3, v[2:3]
	v_add_co_u32_e32 v1, vcc, v6, v1
	v_addc_co_u32_e32 v2, vcc, v7, v2, vcc
	flat_load_dwordx2 v[3:4], v[1:2]
	v_mul_f32_e32 v6, s17, v10
	v_mul_f32_e32 v7, s16, v10
	v_fma_f32 v6, v15, s16, -v6
	v_fmac_f32_e32 v7, s17, v15
	v_cmp_eq_u32_e32 vcc, v5, v0
	s_waitcnt vmcnt(0) lgkmcnt(0)
	v_mul_f32_e32 v8, s13, v4
	v_mul_f32_e32 v4, s12, v4
	v_fma_f32 v8, v3, s12, -v8
	v_fmac_f32_e32 v4, s13, v3
	v_add_f32_e32 v3, v6, v8
	v_add_f32_e32 v4, v7, v4
	flat_store_dwordx2 v[1:2], v[3:4]
	s_and_b64 exec, exec, vcc
	s_cbranch_execz .LBB802_16
; %bb.15:
	v_mov_b32_e32 v0, 0
	flat_store_dword v[1:2], v0 offset:4
.LBB802_16:
	s_endpgm
	.section	.rodata,"a",@progbits
	.p2align	6, 0x0
	.amdhsa_kernel _ZL37rocblas_syrkx_herkx_restricted_kernelIi19rocblas_complex_numIfELi16ELi32ELi8ELb0ELb1ELc84ELc76EKPKS1_KPS1_EviT_T0_PT8_S7_lSA_S7_lS8_PT9_S7_li
		.amdhsa_group_segment_fixed_size 4096
		.amdhsa_private_segment_fixed_size 0
		.amdhsa_kernarg_size 100
		.amdhsa_user_sgpr_count 6
		.amdhsa_user_sgpr_private_segment_buffer 1
		.amdhsa_user_sgpr_dispatch_ptr 0
		.amdhsa_user_sgpr_queue_ptr 0
		.amdhsa_user_sgpr_kernarg_segment_ptr 1
		.amdhsa_user_sgpr_dispatch_id 0
		.amdhsa_user_sgpr_flat_scratch_init 0
		.amdhsa_user_sgpr_private_segment_size 0
		.amdhsa_uses_dynamic_stack 0
		.amdhsa_system_sgpr_private_segment_wavefront_offset 0
		.amdhsa_system_sgpr_workgroup_id_x 1
		.amdhsa_system_sgpr_workgroup_id_y 1
		.amdhsa_system_sgpr_workgroup_id_z 1
		.amdhsa_system_sgpr_workgroup_info 0
		.amdhsa_system_vgpr_workitem_id 1
		.amdhsa_next_free_vgpr 41
		.amdhsa_next_free_sgpr 23
		.amdhsa_reserve_vcc 1
		.amdhsa_reserve_flat_scratch 0
		.amdhsa_float_round_mode_32 0
		.amdhsa_float_round_mode_16_64 0
		.amdhsa_float_denorm_mode_32 3
		.amdhsa_float_denorm_mode_16_64 3
		.amdhsa_dx10_clamp 1
		.amdhsa_ieee_mode 1
		.amdhsa_fp16_overflow 0
		.amdhsa_exception_fp_ieee_invalid_op 0
		.amdhsa_exception_fp_denorm_src 0
		.amdhsa_exception_fp_ieee_div_zero 0
		.amdhsa_exception_fp_ieee_overflow 0
		.amdhsa_exception_fp_ieee_underflow 0
		.amdhsa_exception_fp_ieee_inexact 0
		.amdhsa_exception_int_div_zero 0
	.end_amdhsa_kernel
	.section	.text._ZL37rocblas_syrkx_herkx_restricted_kernelIi19rocblas_complex_numIfELi16ELi32ELi8ELb0ELb1ELc84ELc76EKPKS1_KPS1_EviT_T0_PT8_S7_lSA_S7_lS8_PT9_S7_li,"axG",@progbits,_ZL37rocblas_syrkx_herkx_restricted_kernelIi19rocblas_complex_numIfELi16ELi32ELi8ELb0ELb1ELc84ELc76EKPKS1_KPS1_EviT_T0_PT8_S7_lSA_S7_lS8_PT9_S7_li,comdat
.Lfunc_end802:
	.size	_ZL37rocblas_syrkx_herkx_restricted_kernelIi19rocblas_complex_numIfELi16ELi32ELi8ELb0ELb1ELc84ELc76EKPKS1_KPS1_EviT_T0_PT8_S7_lSA_S7_lS8_PT9_S7_li, .Lfunc_end802-_ZL37rocblas_syrkx_herkx_restricted_kernelIi19rocblas_complex_numIfELi16ELi32ELi8ELb0ELb1ELc84ELc76EKPKS1_KPS1_EviT_T0_PT8_S7_lSA_S7_lS8_PT9_S7_li
                                        ; -- End function
	.set _ZL37rocblas_syrkx_herkx_restricted_kernelIi19rocblas_complex_numIfELi16ELi32ELi8ELb0ELb1ELc84ELc76EKPKS1_KPS1_EviT_T0_PT8_S7_lSA_S7_lS8_PT9_S7_li.num_vgpr, 41
	.set _ZL37rocblas_syrkx_herkx_restricted_kernelIi19rocblas_complex_numIfELi16ELi32ELi8ELb0ELb1ELc84ELc76EKPKS1_KPS1_EviT_T0_PT8_S7_lSA_S7_lS8_PT9_S7_li.num_agpr, 0
	.set _ZL37rocblas_syrkx_herkx_restricted_kernelIi19rocblas_complex_numIfELi16ELi32ELi8ELb0ELb1ELc84ELc76EKPKS1_KPS1_EviT_T0_PT8_S7_lSA_S7_lS8_PT9_S7_li.numbered_sgpr, 23
	.set _ZL37rocblas_syrkx_herkx_restricted_kernelIi19rocblas_complex_numIfELi16ELi32ELi8ELb0ELb1ELc84ELc76EKPKS1_KPS1_EviT_T0_PT8_S7_lSA_S7_lS8_PT9_S7_li.num_named_barrier, 0
	.set _ZL37rocblas_syrkx_herkx_restricted_kernelIi19rocblas_complex_numIfELi16ELi32ELi8ELb0ELb1ELc84ELc76EKPKS1_KPS1_EviT_T0_PT8_S7_lSA_S7_lS8_PT9_S7_li.private_seg_size, 0
	.set _ZL37rocblas_syrkx_herkx_restricted_kernelIi19rocblas_complex_numIfELi16ELi32ELi8ELb0ELb1ELc84ELc76EKPKS1_KPS1_EviT_T0_PT8_S7_lSA_S7_lS8_PT9_S7_li.uses_vcc, 1
	.set _ZL37rocblas_syrkx_herkx_restricted_kernelIi19rocblas_complex_numIfELi16ELi32ELi8ELb0ELb1ELc84ELc76EKPKS1_KPS1_EviT_T0_PT8_S7_lSA_S7_lS8_PT9_S7_li.uses_flat_scratch, 0
	.set _ZL37rocblas_syrkx_herkx_restricted_kernelIi19rocblas_complex_numIfELi16ELi32ELi8ELb0ELb1ELc84ELc76EKPKS1_KPS1_EviT_T0_PT8_S7_lSA_S7_lS8_PT9_S7_li.has_dyn_sized_stack, 0
	.set _ZL37rocblas_syrkx_herkx_restricted_kernelIi19rocblas_complex_numIfELi16ELi32ELi8ELb0ELb1ELc84ELc76EKPKS1_KPS1_EviT_T0_PT8_S7_lSA_S7_lS8_PT9_S7_li.has_recursion, 0
	.set _ZL37rocblas_syrkx_herkx_restricted_kernelIi19rocblas_complex_numIfELi16ELi32ELi8ELb0ELb1ELc84ELc76EKPKS1_KPS1_EviT_T0_PT8_S7_lSA_S7_lS8_PT9_S7_li.has_indirect_call, 0
	.section	.AMDGPU.csdata,"",@progbits
; Kernel info:
; codeLenInByte = 2164
; TotalNumSgprs: 27
; NumVgprs: 41
; ScratchSize: 0
; MemoryBound: 0
; FloatMode: 240
; IeeeMode: 1
; LDSByteSize: 4096 bytes/workgroup (compile time only)
; SGPRBlocks: 3
; VGPRBlocks: 10
; NumSGPRsForWavesPerEU: 27
; NumVGPRsForWavesPerEU: 41
; Occupancy: 5
; WaveLimiterHint : 1
; COMPUTE_PGM_RSRC2:SCRATCH_EN: 0
; COMPUTE_PGM_RSRC2:USER_SGPR: 6
; COMPUTE_PGM_RSRC2:TRAP_HANDLER: 0
; COMPUTE_PGM_RSRC2:TGID_X_EN: 1
; COMPUTE_PGM_RSRC2:TGID_Y_EN: 1
; COMPUTE_PGM_RSRC2:TGID_Z_EN: 1
; COMPUTE_PGM_RSRC2:TIDIG_COMP_CNT: 1
	.section	.text._ZL37rocblas_syrkx_herkx_restricted_kernelIi19rocblas_complex_numIfELi16ELi32ELi8ELb0ELb1ELc67ELc76EKPKS1_KPS1_EviT_T0_PT8_S7_lSA_S7_lS8_PT9_S7_li,"axG",@progbits,_ZL37rocblas_syrkx_herkx_restricted_kernelIi19rocblas_complex_numIfELi16ELi32ELi8ELb0ELb1ELc67ELc76EKPKS1_KPS1_EviT_T0_PT8_S7_lSA_S7_lS8_PT9_S7_li,comdat
	.globl	_ZL37rocblas_syrkx_herkx_restricted_kernelIi19rocblas_complex_numIfELi16ELi32ELi8ELb0ELb1ELc67ELc76EKPKS1_KPS1_EviT_T0_PT8_S7_lSA_S7_lS8_PT9_S7_li ; -- Begin function _ZL37rocblas_syrkx_herkx_restricted_kernelIi19rocblas_complex_numIfELi16ELi32ELi8ELb0ELb1ELc67ELc76EKPKS1_KPS1_EviT_T0_PT8_S7_lSA_S7_lS8_PT9_S7_li
	.p2align	8
	.type	_ZL37rocblas_syrkx_herkx_restricted_kernelIi19rocblas_complex_numIfELi16ELi32ELi8ELb0ELb1ELc67ELc76EKPKS1_KPS1_EviT_T0_PT8_S7_lSA_S7_lS8_PT9_S7_li,@function
_ZL37rocblas_syrkx_herkx_restricted_kernelIi19rocblas_complex_numIfELi16ELi32ELi8ELb0ELb1ELc67ELc76EKPKS1_KPS1_EviT_T0_PT8_S7_lSA_S7_lS8_PT9_S7_li: ; @_ZL37rocblas_syrkx_herkx_restricted_kernelIi19rocblas_complex_numIfELi16ELi32ELi8ELb0ELb1ELc67ELc76EKPKS1_KPS1_EviT_T0_PT8_S7_lSA_S7_lS8_PT9_S7_li
; %bb.0:
	s_load_dwordx4 s[12:15], s[4:5], 0x40
	s_load_dwordx2 s[20:21], s[4:5], 0x0
	s_load_dwordx4 s[16:19], s[4:5], 0x8
	s_mov_b32 s9, 0
	s_lshl_b64 s[0:1], s[8:9], 3
	s_waitcnt lgkmcnt(0)
	s_add_u32 s2, s14, s0
	s_addc_u32 s3, s15, s1
	s_load_dwordx2 s[10:11], s[2:3], 0x0
	s_lshl_b32 s2, s6, 5
	s_lshl_b32 s3, s7, 5
	s_cmp_lt_i32 s21, 1
	s_cbranch_scc1 .LBB803_3
; %bb.1:
	s_load_dword s8, s[4:5], 0x18
	s_load_dwordx2 s[6:7], s[4:5], 0x28
	s_load_dword s22, s[4:5], 0x30
	v_lshl_add_u32 v3, v1, 4, v0
	v_and_b32_e32 v7, 31, v3
	s_add_u32 s14, s18, s0
	v_lshrrev_b32_e32 v2, 5, v3
	v_and_b32_e32 v9, 7, v0
	v_lshlrev_b32_e32 v8, 3, v7
	s_addc_u32 s15, s19, s1
	v_lshrrev_b32_e32 v6, 3, v3
	v_lshl_or_b32 v11, v2, 8, v8
	v_lshlrev_b32_e32 v8, 3, v9
	s_waitcnt lgkmcnt(0)
	s_add_u32 s0, s6, s0
	v_add_u32_e32 v3, s3, v6
	v_mov_b32_e32 v10, 0
	v_lshl_or_b32 v6, v6, 6, v8
	s_addc_u32 s1, s7, s1
	v_mad_i64_i32 v[4:5], s[6:7], s22, v3, v[9:10]
	v_mov_b32_e32 v3, v10
	v_add_u32_e32 v12, 0x800, v6
	v_add_u32_e32 v6, s2, v7
	v_mad_i64_i32 v[2:3], s[6:7], s8, v6, v[2:3]
	s_load_dwordx2 s[14:15], s[14:15], 0x0
	v_mov_b32_e32 v6, 0x800
	s_load_dwordx2 s[0:1], s[0:1], 0x0
	v_lshlrev_b64 v[2:3], 3, v[2:3]
	v_lshl_add_u32 v14, v1, 6, v6
	s_waitcnt lgkmcnt(0)
	v_mov_b32_e32 v7, s15
	v_add_co_u32_e32 v6, vcc, s14, v2
	v_addc_co_u32_e32 v7, vcc, v7, v3, vcc
	v_lshlrev_b64 v[2:3], 3, v[4:5]
	v_mov_b32_e32 v4, s1
	v_add_co_u32_e32 v8, vcc, s0, v2
	v_lshlrev_b32_e32 v13, 3, v0
	v_addc_co_u32_e32 v9, vcc, v4, v3, vcc
	v_mov_b32_e32 v15, v10
	v_mov_b32_e32 v17, v10
	;; [unrolled: 1-line block ×7, first 2 shown]
.LBB803_2:                              ; =>This Inner Loop Header: Depth=1
	flat_load_dwordx2 v[2:3], v[6:7]
	v_add_co_u32_e32 v6, vcc, 64, v6
	v_addc_co_u32_e32 v7, vcc, 0, v7, vcc
	s_add_i32 s9, s9, 8
	s_cmp_ge_i32 s9, s21
	s_waitcnt vmcnt(0) lgkmcnt(0)
	v_xor_b32_e32 v3, 0x80000000, v3
	ds_write_b64 v11, v[2:3]
	flat_load_dwordx2 v[2:3], v[8:9]
	v_add_co_u32_e32 v8, vcc, 64, v8
	v_addc_co_u32_e32 v9, vcc, 0, v9, vcc
	s_waitcnt vmcnt(0) lgkmcnt(0)
	ds_write_b64 v12, v[2:3]
	s_waitcnt lgkmcnt(0)
	s_barrier
	ds_read_b128 v[22:25], v14
	ds_read_b128 v[26:29], v14 offset:16
	ds_read_b128 v[30:33], v14 offset:32
	;; [unrolled: 1-line block ×3, first 2 shown]
	ds_read2_b64 v[34:37], v13 offset1:16
	s_waitcnt lgkmcnt(0)
	v_mul_f32_e32 v38, v23, v35
	v_mul_f32_e32 v39, v22, v35
	v_fma_f32 v38, v22, v34, -v38
	v_fmac_f32_e32 v39, v23, v34
	v_add_f32_e32 v38, v20, v38
	v_add_f32_e32 v39, v21, v39
	v_mul_f32_e32 v20, v23, v37
	v_mul_f32_e32 v21, v22, v37
	v_fma_f32 v20, v22, v36, -v20
	v_fmac_f32_e32 v21, v23, v36
	v_add_f32_e32 v22, v18, v20
	v_add_f32_e32 v23, v19, v21
	ds_read_b128 v[18:21], v14 offset:1024
	s_waitcnt lgkmcnt(0)
	v_mul_f32_e32 v40, v19, v35
	v_mul_f32_e32 v35, v18, v35
	v_fma_f32 v40, v18, v34, -v40
	v_fmac_f32_e32 v35, v19, v34
	v_add_f32_e32 v34, v16, v40
	v_add_f32_e32 v35, v17, v35
	v_mul_f32_e32 v16, v19, v37
	v_mul_f32_e32 v17, v18, v37
	v_fma_f32 v16, v18, v36, -v16
	v_fmac_f32_e32 v17, v19, v36
	v_add_f32_e32 v19, v15, v16
	v_add_f32_e32 v10, v10, v17
	ds_read2_b64 v[15:18], v13 offset0:32 offset1:48
	s_waitcnt lgkmcnt(0)
	v_mul_f32_e32 v36, v25, v16
	v_fma_f32 v36, v24, v15, -v36
	v_add_f32_e32 v36, v38, v36
	v_mul_f32_e32 v38, v25, v18
	v_mul_f32_e32 v37, v24, v16
	v_fma_f32 v38, v24, v17, -v38
	v_mul_f32_e32 v24, v24, v18
	v_fmac_f32_e32 v24, v25, v17
	v_add_f32_e32 v23, v23, v24
	v_mul_f32_e32 v24, v21, v16
	v_mul_f32_e32 v16, v20, v16
	v_fmac_f32_e32 v16, v21, v15
	v_fmac_f32_e32 v37, v25, v15
	v_fma_f32 v24, v20, v15, -v24
	v_add_f32_e32 v25, v35, v16
	v_mul_f32_e32 v15, v21, v18
	v_mul_f32_e32 v16, v20, v18
	v_fma_f32 v15, v20, v17, -v15
	v_fmac_f32_e32 v16, v21, v17
	v_add_f32_e32 v24, v34, v24
	v_add_f32_e32 v34, v19, v15
	;; [unrolled: 1-line block ×3, first 2 shown]
	ds_read2_b64 v[15:18], v13 offset0:64 offset1:80
	v_add_f32_e32 v37, v39, v37
	v_add_f32_e32 v22, v22, v38
	s_waitcnt lgkmcnt(0)
	v_mul_f32_e32 v19, v27, v16
	v_mul_f32_e32 v20, v26, v16
	v_fma_f32 v19, v26, v15, -v19
	v_fmac_f32_e32 v20, v27, v15
	v_add_f32_e32 v35, v36, v19
	v_add_f32_e32 v36, v37, v20
	v_mul_f32_e32 v19, v27, v18
	v_mul_f32_e32 v20, v26, v18
	v_fma_f32 v19, v26, v17, -v19
	v_fmac_f32_e32 v20, v27, v17
	v_add_f32_e32 v26, v22, v19
	v_add_f32_e32 v23, v23, v20
	ds_read_b128 v[19:22], v14 offset:1040
	s_waitcnt lgkmcnt(0)
	v_mul_f32_e32 v27, v20, v16
	v_mul_f32_e32 v16, v19, v16
	v_fmac_f32_e32 v16, v20, v15
	v_fma_f32 v27, v19, v15, -v27
	v_add_f32_e32 v25, v25, v16
	v_mul_f32_e32 v15, v20, v18
	v_mul_f32_e32 v16, v19, v18
	v_fma_f32 v15, v19, v17, -v15
	v_fmac_f32_e32 v16, v20, v17
	v_add_f32_e32 v19, v34, v15
	v_add_f32_e32 v10, v10, v16
	ds_read2_b64 v[15:18], v13 offset0:96 offset1:112
	v_add_f32_e32 v24, v24, v27
	s_waitcnt lgkmcnt(0)
	v_mul_f32_e32 v20, v29, v16
	v_mul_f32_e32 v34, v29, v18
	v_fma_f32 v20, v28, v15, -v20
	v_mul_f32_e32 v27, v28, v16
	v_fma_f32 v34, v28, v17, -v34
	v_mul_f32_e32 v28, v28, v18
	v_fmac_f32_e32 v28, v29, v17
	v_add_f32_e32 v23, v23, v28
	v_mul_f32_e32 v28, v22, v16
	v_mul_f32_e32 v16, v21, v16
	v_fmac_f32_e32 v16, v22, v15
	v_fmac_f32_e32 v27, v29, v15
	v_fma_f32 v28, v21, v15, -v28
	v_add_f32_e32 v25, v25, v16
	v_mul_f32_e32 v15, v22, v18
	v_mul_f32_e32 v16, v21, v18
	v_fma_f32 v15, v21, v17, -v15
	v_fmac_f32_e32 v16, v22, v17
	v_add_f32_e32 v24, v24, v28
	v_add_f32_e32 v28, v19, v15
	;; [unrolled: 1-line block ×3, first 2 shown]
	ds_read2_b64 v[15:18], v13 offset0:128 offset1:144
	v_add_f32_e32 v20, v35, v20
	v_add_f32_e32 v27, v36, v27
	;; [unrolled: 1-line block ×3, first 2 shown]
	s_waitcnt lgkmcnt(0)
	v_mul_f32_e32 v19, v31, v16
	v_fma_f32 v19, v30, v15, -v19
	v_mul_f32_e32 v21, v30, v16
	v_add_f32_e32 v29, v20, v19
	v_mul_f32_e32 v19, v31, v18
	v_mul_f32_e32 v20, v30, v18
	v_fmac_f32_e32 v21, v31, v15
	v_fma_f32 v19, v30, v17, -v19
	v_fmac_f32_e32 v20, v31, v17
	v_add_f32_e32 v27, v27, v21
	v_add_f32_e32 v26, v26, v19
	v_add_f32_e32 v23, v23, v20
	ds_read_b128 v[19:22], v14 offset:1056
	s_waitcnt lgkmcnt(0)
	v_mul_f32_e32 v30, v20, v16
	v_mul_f32_e32 v16, v19, v16
	v_fmac_f32_e32 v16, v20, v15
	v_fma_f32 v30, v19, v15, -v30
	v_add_f32_e32 v25, v25, v16
	v_mul_f32_e32 v15, v20, v18
	v_mul_f32_e32 v16, v19, v18
	v_fma_f32 v15, v19, v17, -v15
	v_fmac_f32_e32 v16, v20, v17
	v_add_f32_e32 v19, v28, v15
	v_add_f32_e32 v10, v10, v16
	ds_read2_b64 v[15:18], v13 offset0:160 offset1:176
	v_add_f32_e32 v24, v24, v30
	s_waitcnt lgkmcnt(0)
	v_mul_f32_e32 v28, v32, v16
	v_fmac_f32_e32 v28, v33, v15
	v_add_f32_e32 v27, v27, v28
	v_mul_f32_e32 v28, v33, v18
	v_fma_f32 v28, v32, v17, -v28
	v_mul_f32_e32 v20, v33, v16
	v_add_f32_e32 v26, v26, v28
	v_mul_f32_e32 v28, v22, v16
	v_mul_f32_e32 v16, v21, v16
	v_fmac_f32_e32 v16, v22, v15
	v_fma_f32 v20, v32, v15, -v20
	v_fma_f32 v28, v21, v15, -v28
	v_add_f32_e32 v25, v25, v16
	v_mul_f32_e32 v15, v22, v18
	v_mul_f32_e32 v16, v21, v18
	v_add_f32_e32 v20, v29, v20
	v_mul_f32_e32 v29, v32, v18
	v_fma_f32 v15, v21, v17, -v15
	v_fmac_f32_e32 v16, v22, v17
	v_fmac_f32_e32 v29, v33, v17
	v_add_f32_e32 v19, v19, v15
	v_add_f32_e32 v10, v10, v16
	ds_read2_b64 v[15:18], v13 offset0:192 offset1:208
	v_add_f32_e32 v24, v24, v28
	v_add_f32_e32 v23, v23, v29
	s_waitcnt lgkmcnt(0)
	v_mul_f32_e32 v21, v3, v16
	v_fma_f32 v21, v2, v15, -v21
	v_add_f32_e32 v28, v20, v21
	v_mul_f32_e32 v20, v3, v18
	v_mul_f32_e32 v22, v2, v16
	v_fma_f32 v20, v2, v17, -v20
	v_mul_f32_e32 v2, v2, v18
	v_fmac_f32_e32 v22, v3, v15
	v_fmac_f32_e32 v2, v3, v17
	v_add_f32_e32 v29, v27, v22
	v_add_f32_e32 v3, v26, v20
	;; [unrolled: 1-line block ×3, first 2 shown]
	ds_read_b128 v[20:23], v14 offset:1072
	s_waitcnt lgkmcnt(0)
	v_mul_f32_e32 v26, v21, v16
	v_mul_f32_e32 v16, v20, v16
	v_fma_f32 v26, v20, v15, -v26
	v_fmac_f32_e32 v16, v21, v15
	v_add_f32_e32 v15, v24, v26
	v_add_f32_e32 v30, v25, v16
	ds_read2_b64 v[24:27], v13 offset0:224 offset1:240
	v_mul_f32_e32 v16, v21, v18
	v_fma_f32 v16, v20, v17, -v16
	v_add_f32_e32 v31, v19, v16
	v_mul_f32_e32 v18, v20, v18
	s_waitcnt lgkmcnt(0)
	v_mul_f32_e32 v16, v5, v25
	v_fma_f32 v16, v4, v24, -v16
	v_add_f32_e32 v20, v28, v16
	v_mul_f32_e32 v16, v5, v27
	v_fmac_f32_e32 v18, v21, v17
	v_mul_f32_e32 v17, v4, v25
	v_fma_f32 v16, v4, v26, -v16
	v_mul_f32_e32 v4, v4, v27
	v_fmac_f32_e32 v4, v5, v26
	v_add_f32_e32 v10, v10, v18
	v_add_f32_e32 v18, v3, v16
	v_add_f32_e32 v19, v2, v4
	v_mul_f32_e32 v2, v23, v25
	v_mul_f32_e32 v3, v22, v25
	v_fmac_f32_e32 v17, v5, v24
	v_fma_f32 v2, v22, v24, -v2
	v_fmac_f32_e32 v3, v23, v24
	v_add_f32_e32 v21, v29, v17
	v_add_f32_e32 v16, v15, v2
	v_add_f32_e32 v17, v30, v3
	v_mul_f32_e32 v2, v23, v27
	v_mul_f32_e32 v3, v22, v27
	v_fma_f32 v2, v22, v26, -v2
	v_fmac_f32_e32 v3, v23, v26
	v_add_f32_e32 v15, v31, v2
	v_add_f32_e32 v10, v10, v3
	s_barrier
	s_cbranch_scc0 .LBB803_2
	s_branch .LBB803_4
.LBB803_3:
	v_mov_b32_e32 v20, 0
	v_mov_b32_e32 v21, 0
	;; [unrolled: 1-line block ×8, first 2 shown]
.LBB803_4:
	s_load_dword s6, s[4:5], 0x50
	v_add_u32_e32 v5, s3, v1
	s_waitcnt lgkmcnt(0)
	v_mov_b32_e32 v3, s11
	v_add_u32_e32 v0, s2, v0
	v_mad_i64_i32 v[1:2], s[0:1], v5, s6, 0
	v_cmp_le_i32_e64 s[0:1], v5, v0
	v_lshlrev_b64 v[1:2], 3, v[1:2]
	v_add_co_u32_e32 v4, vcc, s10, v1
	v_addc_co_u32_e32 v6, vcc, v3, v2, vcc
	v_cmp_gt_i32_e32 vcc, s20, v0
	s_and_b64 s[0:1], s[0:1], vcc
	s_and_saveexec_b64 s[2:3], s[0:1]
	s_cbranch_execz .LBB803_7
; %bb.5:
	v_ashrrev_i32_e32 v1, 31, v0
	v_lshlrev_b64 v[1:2], 3, v[0:1]
	v_mul_f32_e32 v3, s17, v21
	v_add_co_u32_e64 v1, s[0:1], v4, v1
	v_addc_co_u32_e64 v2, s[0:1], v6, v2, s[0:1]
	flat_load_dwordx2 v[7:8], v[1:2]
	v_mul_f32_e32 v9, s16, v21
	v_fma_f32 v3, v20, s16, -v3
	v_fmac_f32_e32 v9, s17, v20
	v_cmp_eq_u32_e64 s[0:1], v5, v0
	s_waitcnt vmcnt(0) lgkmcnt(0)
	v_mul_f32_e32 v11, s13, v8
	v_mul_f32_e32 v8, s12, v8
	v_fma_f32 v11, v7, s12, -v11
	v_fmac_f32_e32 v8, s13, v7
	v_add_f32_e32 v7, v3, v11
	v_add_f32_e32 v8, v9, v8
	flat_store_dwordx2 v[1:2], v[7:8]
	s_and_b64 exec, exec, s[0:1]
	s_cbranch_execz .LBB803_7
; %bb.6:
	v_mov_b32_e32 v3, 0
	flat_store_dword v[1:2], v3 offset:4
.LBB803_7:
	s_or_b64 exec, exec, s[2:3]
	v_add_u32_e32 v2, 16, v0
	v_cmp_le_i32_e64 s[2:3], v5, v2
	v_cmp_gt_i32_e64 s[0:1], s20, v2
	s_and_b64 s[2:3], s[2:3], s[0:1]
	s_and_saveexec_b64 s[4:5], s[2:3]
	s_cbranch_execz .LBB803_10
; %bb.8:
	v_ashrrev_i32_e32 v3, 31, v2
	v_lshlrev_b64 v[7:8], 3, v[2:3]
	v_mul_f32_e32 v1, s17, v19
	v_add_co_u32_e64 v3, s[2:3], v4, v7
	v_addc_co_u32_e64 v4, s[2:3], v6, v8, s[2:3]
	flat_load_dwordx2 v[6:7], v[3:4]
	v_mul_f32_e32 v8, s16, v19
	v_fma_f32 v1, v18, s16, -v1
	v_fmac_f32_e32 v8, s17, v18
	v_cmp_eq_u32_e64 s[2:3], v5, v2
	s_waitcnt vmcnt(0) lgkmcnt(0)
	v_mul_f32_e32 v9, s13, v7
	v_mul_f32_e32 v7, s12, v7
	v_fma_f32 v9, v6, s12, -v9
	v_fmac_f32_e32 v7, s13, v6
	v_add_f32_e32 v6, v1, v9
	v_add_f32_e32 v7, v8, v7
	flat_store_dwordx2 v[3:4], v[6:7]
	s_and_b64 exec, exec, s[2:3]
	s_cbranch_execz .LBB803_10
; %bb.9:
	v_mov_b32_e32 v1, 0
	flat_store_dword v[3:4], v1 offset:4
.LBB803_10:
	s_or_b64 exec, exec, s[4:5]
	v_add_u32_e32 v8, 16, v5
	v_mad_i64_i32 v[3:4], s[2:3], v8, s6, 0
	v_mov_b32_e32 v1, s11
	v_lshlrev_b64 v[3:4], 3, v[3:4]
	v_add_co_u32_e64 v6, s[2:3], s10, v3
	v_addc_co_u32_e64 v7, s[2:3], v1, v4, s[2:3]
	v_cmp_le_i32_e64 s[2:3], v8, v0
	s_and_b64 s[4:5], s[2:3], vcc
	s_and_saveexec_b64 s[2:3], s[4:5]
	s_cbranch_execz .LBB803_13
; %bb.11:
	v_ashrrev_i32_e32 v1, 31, v0
	v_lshlrev_b64 v[3:4], 3, v[0:1]
	v_mul_f32_e32 v1, s17, v17
	v_add_co_u32_e32 v3, vcc, v6, v3
	v_addc_co_u32_e32 v4, vcc, v7, v4, vcc
	flat_load_dwordx2 v[11:12], v[3:4]
	v_mul_f32_e32 v9, s16, v17
	v_fma_f32 v1, v16, s16, -v1
	v_fmac_f32_e32 v9, s17, v16
	v_cmp_eq_u32_e32 vcc, v8, v0
	s_waitcnt vmcnt(0) lgkmcnt(0)
	v_mul_f32_e32 v13, s13, v12
	v_mul_f32_e32 v12, s12, v12
	v_fma_f32 v13, v11, s12, -v13
	v_fmac_f32_e32 v12, s13, v11
	v_add_f32_e32 v11, v1, v13
	v_add_f32_e32 v12, v9, v12
	flat_store_dwordx2 v[3:4], v[11:12]
	s_and_b64 exec, exec, vcc
	s_cbranch_execz .LBB803_13
; %bb.12:
	v_mov_b32_e32 v1, 0
	flat_store_dword v[3:4], v1 offset:4
.LBB803_13:
	s_or_b64 exec, exec, s[2:3]
	v_cmp_le_i32_e32 vcc, v8, v2
	s_and_b64 s[0:1], vcc, s[0:1]
	s_and_saveexec_b64 s[2:3], s[0:1]
	s_cbranch_execz .LBB803_16
; %bb.14:
	v_ashrrev_i32_e32 v3, 31, v2
	v_lshlrev_b64 v[1:2], 3, v[2:3]
	v_add_co_u32_e32 v1, vcc, v6, v1
	v_addc_co_u32_e32 v2, vcc, v7, v2, vcc
	flat_load_dwordx2 v[3:4], v[1:2]
	v_mul_f32_e32 v6, s17, v10
	v_mul_f32_e32 v7, s16, v10
	v_fma_f32 v6, v15, s16, -v6
	v_fmac_f32_e32 v7, s17, v15
	v_cmp_eq_u32_e32 vcc, v5, v0
	s_waitcnt vmcnt(0) lgkmcnt(0)
	v_mul_f32_e32 v8, s13, v4
	v_mul_f32_e32 v4, s12, v4
	v_fma_f32 v8, v3, s12, -v8
	v_fmac_f32_e32 v4, s13, v3
	v_add_f32_e32 v3, v6, v8
	v_add_f32_e32 v4, v7, v4
	flat_store_dwordx2 v[1:2], v[3:4]
	s_and_b64 exec, exec, vcc
	s_cbranch_execz .LBB803_16
; %bb.15:
	v_mov_b32_e32 v0, 0
	flat_store_dword v[1:2], v0 offset:4
.LBB803_16:
	s_endpgm
	.section	.rodata,"a",@progbits
	.p2align	6, 0x0
	.amdhsa_kernel _ZL37rocblas_syrkx_herkx_restricted_kernelIi19rocblas_complex_numIfELi16ELi32ELi8ELb0ELb1ELc67ELc76EKPKS1_KPS1_EviT_T0_PT8_S7_lSA_S7_lS8_PT9_S7_li
		.amdhsa_group_segment_fixed_size 4096
		.amdhsa_private_segment_fixed_size 0
		.amdhsa_kernarg_size 100
		.amdhsa_user_sgpr_count 6
		.amdhsa_user_sgpr_private_segment_buffer 1
		.amdhsa_user_sgpr_dispatch_ptr 0
		.amdhsa_user_sgpr_queue_ptr 0
		.amdhsa_user_sgpr_kernarg_segment_ptr 1
		.amdhsa_user_sgpr_dispatch_id 0
		.amdhsa_user_sgpr_flat_scratch_init 0
		.amdhsa_user_sgpr_private_segment_size 0
		.amdhsa_uses_dynamic_stack 0
		.amdhsa_system_sgpr_private_segment_wavefront_offset 0
		.amdhsa_system_sgpr_workgroup_id_x 1
		.amdhsa_system_sgpr_workgroup_id_y 1
		.amdhsa_system_sgpr_workgroup_id_z 1
		.amdhsa_system_sgpr_workgroup_info 0
		.amdhsa_system_vgpr_workitem_id 1
		.amdhsa_next_free_vgpr 41
		.amdhsa_next_free_sgpr 23
		.amdhsa_reserve_vcc 1
		.amdhsa_reserve_flat_scratch 0
		.amdhsa_float_round_mode_32 0
		.amdhsa_float_round_mode_16_64 0
		.amdhsa_float_denorm_mode_32 3
		.amdhsa_float_denorm_mode_16_64 3
		.amdhsa_dx10_clamp 1
		.amdhsa_ieee_mode 1
		.amdhsa_fp16_overflow 0
		.amdhsa_exception_fp_ieee_invalid_op 0
		.amdhsa_exception_fp_denorm_src 0
		.amdhsa_exception_fp_ieee_div_zero 0
		.amdhsa_exception_fp_ieee_overflow 0
		.amdhsa_exception_fp_ieee_underflow 0
		.amdhsa_exception_fp_ieee_inexact 0
		.amdhsa_exception_int_div_zero 0
	.end_amdhsa_kernel
	.section	.text._ZL37rocblas_syrkx_herkx_restricted_kernelIi19rocblas_complex_numIfELi16ELi32ELi8ELb0ELb1ELc67ELc76EKPKS1_KPS1_EviT_T0_PT8_S7_lSA_S7_lS8_PT9_S7_li,"axG",@progbits,_ZL37rocblas_syrkx_herkx_restricted_kernelIi19rocblas_complex_numIfELi16ELi32ELi8ELb0ELb1ELc67ELc76EKPKS1_KPS1_EviT_T0_PT8_S7_lSA_S7_lS8_PT9_S7_li,comdat
.Lfunc_end803:
	.size	_ZL37rocblas_syrkx_herkx_restricted_kernelIi19rocblas_complex_numIfELi16ELi32ELi8ELb0ELb1ELc67ELc76EKPKS1_KPS1_EviT_T0_PT8_S7_lSA_S7_lS8_PT9_S7_li, .Lfunc_end803-_ZL37rocblas_syrkx_herkx_restricted_kernelIi19rocblas_complex_numIfELi16ELi32ELi8ELb0ELb1ELc67ELc76EKPKS1_KPS1_EviT_T0_PT8_S7_lSA_S7_lS8_PT9_S7_li
                                        ; -- End function
	.set _ZL37rocblas_syrkx_herkx_restricted_kernelIi19rocblas_complex_numIfELi16ELi32ELi8ELb0ELb1ELc67ELc76EKPKS1_KPS1_EviT_T0_PT8_S7_lSA_S7_lS8_PT9_S7_li.num_vgpr, 41
	.set _ZL37rocblas_syrkx_herkx_restricted_kernelIi19rocblas_complex_numIfELi16ELi32ELi8ELb0ELb1ELc67ELc76EKPKS1_KPS1_EviT_T0_PT8_S7_lSA_S7_lS8_PT9_S7_li.num_agpr, 0
	.set _ZL37rocblas_syrkx_herkx_restricted_kernelIi19rocblas_complex_numIfELi16ELi32ELi8ELb0ELb1ELc67ELc76EKPKS1_KPS1_EviT_T0_PT8_S7_lSA_S7_lS8_PT9_S7_li.numbered_sgpr, 23
	.set _ZL37rocblas_syrkx_herkx_restricted_kernelIi19rocblas_complex_numIfELi16ELi32ELi8ELb0ELb1ELc67ELc76EKPKS1_KPS1_EviT_T0_PT8_S7_lSA_S7_lS8_PT9_S7_li.num_named_barrier, 0
	.set _ZL37rocblas_syrkx_herkx_restricted_kernelIi19rocblas_complex_numIfELi16ELi32ELi8ELb0ELb1ELc67ELc76EKPKS1_KPS1_EviT_T0_PT8_S7_lSA_S7_lS8_PT9_S7_li.private_seg_size, 0
	.set _ZL37rocblas_syrkx_herkx_restricted_kernelIi19rocblas_complex_numIfELi16ELi32ELi8ELb0ELb1ELc67ELc76EKPKS1_KPS1_EviT_T0_PT8_S7_lSA_S7_lS8_PT9_S7_li.uses_vcc, 1
	.set _ZL37rocblas_syrkx_herkx_restricted_kernelIi19rocblas_complex_numIfELi16ELi32ELi8ELb0ELb1ELc67ELc76EKPKS1_KPS1_EviT_T0_PT8_S7_lSA_S7_lS8_PT9_S7_li.uses_flat_scratch, 0
	.set _ZL37rocblas_syrkx_herkx_restricted_kernelIi19rocblas_complex_numIfELi16ELi32ELi8ELb0ELb1ELc67ELc76EKPKS1_KPS1_EviT_T0_PT8_S7_lSA_S7_lS8_PT9_S7_li.has_dyn_sized_stack, 0
	.set _ZL37rocblas_syrkx_herkx_restricted_kernelIi19rocblas_complex_numIfELi16ELi32ELi8ELb0ELb1ELc67ELc76EKPKS1_KPS1_EviT_T0_PT8_S7_lSA_S7_lS8_PT9_S7_li.has_recursion, 0
	.set _ZL37rocblas_syrkx_herkx_restricted_kernelIi19rocblas_complex_numIfELi16ELi32ELi8ELb0ELb1ELc67ELc76EKPKS1_KPS1_EviT_T0_PT8_S7_lSA_S7_lS8_PT9_S7_li.has_indirect_call, 0
	.section	.AMDGPU.csdata,"",@progbits
; Kernel info:
; codeLenInByte = 2172
; TotalNumSgprs: 27
; NumVgprs: 41
; ScratchSize: 0
; MemoryBound: 0
; FloatMode: 240
; IeeeMode: 1
; LDSByteSize: 4096 bytes/workgroup (compile time only)
; SGPRBlocks: 3
; VGPRBlocks: 10
; NumSGPRsForWavesPerEU: 27
; NumVGPRsForWavesPerEU: 41
; Occupancy: 5
; WaveLimiterHint : 1
; COMPUTE_PGM_RSRC2:SCRATCH_EN: 0
; COMPUTE_PGM_RSRC2:USER_SGPR: 6
; COMPUTE_PGM_RSRC2:TRAP_HANDLER: 0
; COMPUTE_PGM_RSRC2:TGID_X_EN: 1
; COMPUTE_PGM_RSRC2:TGID_Y_EN: 1
; COMPUTE_PGM_RSRC2:TGID_Z_EN: 1
; COMPUTE_PGM_RSRC2:TIDIG_COMP_CNT: 1
	.section	.text._ZL37rocblas_syrkx_herkx_restricted_kernelIi19rocblas_complex_numIfELi16ELi32ELi8ELb0ELb1ELc78ELc76EKPKS1_KPS1_EviT_T0_PT8_S7_lSA_S7_lS8_PT9_S7_li,"axG",@progbits,_ZL37rocblas_syrkx_herkx_restricted_kernelIi19rocblas_complex_numIfELi16ELi32ELi8ELb0ELb1ELc78ELc76EKPKS1_KPS1_EviT_T0_PT8_S7_lSA_S7_lS8_PT9_S7_li,comdat
	.globl	_ZL37rocblas_syrkx_herkx_restricted_kernelIi19rocblas_complex_numIfELi16ELi32ELi8ELb0ELb1ELc78ELc76EKPKS1_KPS1_EviT_T0_PT8_S7_lSA_S7_lS8_PT9_S7_li ; -- Begin function _ZL37rocblas_syrkx_herkx_restricted_kernelIi19rocblas_complex_numIfELi16ELi32ELi8ELb0ELb1ELc78ELc76EKPKS1_KPS1_EviT_T0_PT8_S7_lSA_S7_lS8_PT9_S7_li
	.p2align	8
	.type	_ZL37rocblas_syrkx_herkx_restricted_kernelIi19rocblas_complex_numIfELi16ELi32ELi8ELb0ELb1ELc78ELc76EKPKS1_KPS1_EviT_T0_PT8_S7_lSA_S7_lS8_PT9_S7_li,@function
_ZL37rocblas_syrkx_herkx_restricted_kernelIi19rocblas_complex_numIfELi16ELi32ELi8ELb0ELb1ELc78ELc76EKPKS1_KPS1_EviT_T0_PT8_S7_lSA_S7_lS8_PT9_S7_li: ; @_ZL37rocblas_syrkx_herkx_restricted_kernelIi19rocblas_complex_numIfELi16ELi32ELi8ELb0ELb1ELc78ELc76EKPKS1_KPS1_EviT_T0_PT8_S7_lSA_S7_lS8_PT9_S7_li
; %bb.0:
	s_load_dwordx4 s[12:15], s[4:5], 0x40
	s_load_dwordx2 s[20:21], s[4:5], 0x0
	s_load_dwordx4 s[16:19], s[4:5], 0x8
	s_mov_b32 s9, 0
	s_lshl_b64 s[0:1], s[8:9], 3
	s_waitcnt lgkmcnt(0)
	s_add_u32 s2, s14, s0
	s_addc_u32 s3, s15, s1
	s_load_dwordx2 s[10:11], s[2:3], 0x0
	s_lshl_b32 s6, s6, 5
	s_lshl_b32 s7, s7, 5
	s_cmp_lt_i32 s21, 1
	s_cbranch_scc1 .LBB804_3
; %bb.1:
	s_load_dword s2, s[4:5], 0x18
	s_load_dword s14, s[4:5], 0x30
	s_load_dwordx2 s[22:23], s[4:5], 0x28
	v_lshl_add_u32 v2, v1, 4, v0
	v_lshrrev_b32_e32 v4, 3, v2
	s_waitcnt lgkmcnt(0)
	s_ashr_i32 s3, s2, 31
	s_ashr_i32 s15, s14, 31
	s_add_u32 s18, s18, s0
	s_addc_u32 s19, s19, s1
	s_add_u32 s0, s22, s0
	v_lshrrev_b32_e32 v6, 5, v2
	v_and_b32_e32 v7, 31, v2
	v_add_u32_e32 v2, s7, v4
	s_addc_u32 s1, s23, s1
	v_and_b32_e32 v5, 7, v0
	v_ashrrev_i32_e32 v3, 31, v2
	s_load_dwordx2 s[22:23], s[0:1], 0x0
	v_mad_i64_i32 v[2:3], s[0:1], s14, v5, v[2:3]
	v_lshlrev_b32_e32 v5, 3, v5
	v_lshl_or_b32 v4, v4, 6, v5
	v_add_u32_e32 v11, 0x800, v4
	v_add_u32_e32 v4, s6, v7
	v_ashrrev_i32_e32 v5, 31, v4
	v_mad_i64_i32 v[4:5], s[0:1], s2, v6, v[4:5]
	s_load_dwordx2 s[18:19], s[18:19], 0x0
	v_lshlrev_b32_e32 v8, 3, v7
	v_lshlrev_b64 v[4:5], 3, v[4:5]
	v_lshl_or_b32 v10, v6, 8, v8
	v_mov_b32_e32 v6, 0x800
	v_lshl_add_u32 v13, v1, 6, v6
	s_waitcnt lgkmcnt(0)
	v_mov_b32_e32 v7, s19
	v_add_co_u32_e32 v6, vcc, s18, v4
	v_lshlrev_b64 v[2:3], 3, v[2:3]
	v_addc_co_u32_e32 v7, vcc, v7, v5, vcc
	s_lshl_b64 s[0:1], s[2:3], 6
	v_mov_b32_e32 v4, s23
	v_add_co_u32_e32 v8, vcc, s22, v2
	s_lshl_b64 s[2:3], s[14:15], 6
	v_lshlrev_b32_e32 v12, 3, v0
	v_addc_co_u32_e32 v9, vcc, v4, v3, vcc
	v_mov_b32_e32 v16, 0
	v_mov_b32_e32 v14, s1
	;; [unrolled: 1-line block ×10, first 2 shown]
.LBB804_2:                              ; =>This Inner Loop Header: Depth=1
	flat_load_dwordx2 v[2:3], v[6:7]
	v_add_co_u32_e32 v6, vcc, s0, v6
	v_addc_co_u32_e32 v7, vcc, v7, v14, vcc
	s_add_i32 s9, s9, 8
	s_cmp_ge_i32 s9, s21
	s_waitcnt vmcnt(0) lgkmcnt(0)
	ds_write_b64 v10, v[2:3]
	flat_load_dwordx2 v[2:3], v[8:9]
	v_add_co_u32_e32 v8, vcc, s2, v8
	v_addc_co_u32_e32 v9, vcc, v9, v15, vcc
	s_waitcnt vmcnt(0) lgkmcnt(0)
	v_xor_b32_e32 v3, 0x80000000, v3
	ds_write_b64 v11, v[2:3]
	s_waitcnt lgkmcnt(0)
	s_barrier
	ds_read_b128 v[24:27], v13
	ds_read_b128 v[28:31], v13 offset:16
	ds_read_b128 v[32:35], v13 offset:32
	ds_read_b128 v[2:5], v13 offset:48
	ds_read2_b64 v[36:39], v12 offset1:16
	s_waitcnt lgkmcnt(0)
	v_mul_f32_e32 v40, v25, v37
	v_mul_f32_e32 v41, v24, v37
	v_fma_f32 v40, v24, v36, -v40
	v_fmac_f32_e32 v41, v25, v36
	v_add_f32_e32 v40, v22, v40
	v_add_f32_e32 v41, v23, v41
	v_mul_f32_e32 v22, v25, v39
	v_mul_f32_e32 v23, v24, v39
	v_fma_f32 v22, v24, v38, -v22
	v_fmac_f32_e32 v23, v25, v38
	v_add_f32_e32 v24, v20, v22
	v_add_f32_e32 v25, v21, v23
	ds_read_b128 v[20:23], v13 offset:1024
	s_waitcnt lgkmcnt(0)
	v_mul_f32_e32 v42, v21, v37
	v_mul_f32_e32 v37, v20, v37
	v_fma_f32 v42, v20, v36, -v42
	v_fmac_f32_e32 v37, v21, v36
	v_add_f32_e32 v36, v18, v42
	v_add_f32_e32 v37, v19, v37
	v_mul_f32_e32 v18, v21, v39
	v_mul_f32_e32 v19, v20, v39
	v_fma_f32 v18, v20, v38, -v18
	v_fmac_f32_e32 v19, v21, v38
	v_add_f32_e32 v20, v17, v18
	v_add_f32_e32 v21, v16, v19
	ds_read2_b64 v[16:19], v12 offset0:32 offset1:48
	s_waitcnt lgkmcnt(0)
	v_mul_f32_e32 v38, v27, v17
	v_fma_f32 v38, v26, v16, -v38
	v_add_f32_e32 v38, v40, v38
	v_mul_f32_e32 v40, v27, v19
	v_mul_f32_e32 v39, v26, v17
	v_fma_f32 v40, v26, v18, -v40
	v_mul_f32_e32 v26, v26, v19
	v_fmac_f32_e32 v26, v27, v18
	v_add_f32_e32 v25, v25, v26
	v_mul_f32_e32 v26, v23, v17
	v_mul_f32_e32 v17, v22, v17
	v_fmac_f32_e32 v17, v23, v16
	v_fmac_f32_e32 v39, v27, v16
	v_fma_f32 v26, v22, v16, -v26
	v_add_f32_e32 v27, v37, v17
	v_mul_f32_e32 v16, v23, v19
	v_mul_f32_e32 v17, v22, v19
	v_fma_f32 v16, v22, v18, -v16
	v_fmac_f32_e32 v17, v23, v18
	v_add_f32_e32 v26, v36, v26
	v_add_f32_e32 v36, v20, v16
	;; [unrolled: 1-line block ×3, first 2 shown]
	ds_read2_b64 v[16:19], v12 offset0:64 offset1:80
	v_add_f32_e32 v39, v41, v39
	v_add_f32_e32 v24, v24, v40
	s_waitcnt lgkmcnt(0)
	v_mul_f32_e32 v20, v29, v17
	v_mul_f32_e32 v21, v28, v17
	v_fma_f32 v20, v28, v16, -v20
	v_fmac_f32_e32 v21, v29, v16
	v_add_f32_e32 v38, v38, v20
	v_add_f32_e32 v39, v39, v21
	v_mul_f32_e32 v20, v29, v19
	v_mul_f32_e32 v21, v28, v19
	v_fma_f32 v20, v28, v18, -v20
	v_fmac_f32_e32 v21, v29, v18
	v_add_f32_e32 v24, v24, v20
	v_add_f32_e32 v25, v25, v21
	ds_read_b128 v[20:23], v13 offset:1040
	s_waitcnt lgkmcnt(0)
	v_mul_f32_e32 v28, v21, v17
	v_mul_f32_e32 v17, v20, v17
	v_fmac_f32_e32 v17, v21, v16
	v_fma_f32 v28, v20, v16, -v28
	v_add_f32_e32 v27, v27, v17
	v_mul_f32_e32 v16, v21, v19
	v_mul_f32_e32 v17, v20, v19
	v_fma_f32 v16, v20, v18, -v16
	v_fmac_f32_e32 v17, v21, v18
	v_add_f32_e32 v20, v36, v16
	v_add_f32_e32 v21, v37, v17
	ds_read2_b64 v[16:19], v12 offset0:96 offset1:112
	v_add_f32_e32 v26, v26, v28
	s_waitcnt lgkmcnt(0)
	v_mul_f32_e32 v28, v31, v17
	v_mul_f32_e32 v36, v31, v19
	v_fma_f32 v28, v30, v16, -v28
	v_mul_f32_e32 v29, v30, v17
	v_fma_f32 v36, v30, v18, -v36
	v_mul_f32_e32 v30, v30, v19
	v_fmac_f32_e32 v30, v31, v18
	v_add_f32_e32 v25, v25, v30
	v_mul_f32_e32 v30, v23, v17
	v_mul_f32_e32 v17, v22, v17
	v_fmac_f32_e32 v17, v23, v16
	v_fmac_f32_e32 v29, v31, v16
	v_fma_f32 v30, v22, v16, -v30
	v_add_f32_e32 v27, v27, v17
	v_mul_f32_e32 v16, v23, v19
	v_mul_f32_e32 v17, v22, v19
	v_fma_f32 v16, v22, v18, -v16
	v_fmac_f32_e32 v17, v23, v18
	v_add_f32_e32 v26, v26, v30
	v_add_f32_e32 v30, v20, v16
	;; [unrolled: 1-line block ×3, first 2 shown]
	ds_read2_b64 v[16:19], v12 offset0:128 offset1:144
	v_add_f32_e32 v28, v38, v28
	v_add_f32_e32 v29, v39, v29
	v_add_f32_e32 v24, v24, v36
	s_waitcnt lgkmcnt(0)
	v_mul_f32_e32 v20, v33, v17
	v_mul_f32_e32 v21, v32, v17
	v_fma_f32 v20, v32, v16, -v20
	v_fmac_f32_e32 v21, v33, v16
	v_add_f32_e32 v28, v28, v20
	v_add_f32_e32 v29, v29, v21
	v_mul_f32_e32 v20, v33, v19
	v_mul_f32_e32 v21, v32, v19
	v_fma_f32 v20, v32, v18, -v20
	v_fmac_f32_e32 v21, v33, v18
	v_add_f32_e32 v24, v24, v20
	v_add_f32_e32 v25, v25, v21
	ds_read_b128 v[20:23], v13 offset:1056
	s_waitcnt lgkmcnt(0)
	v_mul_f32_e32 v32, v21, v17
	v_mul_f32_e32 v17, v20, v17
	v_fmac_f32_e32 v17, v21, v16
	v_fma_f32 v32, v20, v16, -v32
	v_add_f32_e32 v27, v27, v17
	v_mul_f32_e32 v16, v21, v19
	v_mul_f32_e32 v17, v20, v19
	v_fma_f32 v16, v20, v18, -v16
	v_fmac_f32_e32 v17, v21, v18
	v_add_f32_e32 v20, v30, v16
	v_add_f32_e32 v21, v31, v17
	ds_read2_b64 v[16:19], v12 offset0:160 offset1:176
	v_add_f32_e32 v26, v26, v32
	s_waitcnt lgkmcnt(0)
	v_mul_f32_e32 v30, v35, v17
	v_fma_f32 v30, v34, v16, -v30
	v_add_f32_e32 v28, v28, v30
	v_mul_f32_e32 v30, v35, v19
	v_fma_f32 v30, v34, v18, -v30
	v_mul_f32_e32 v31, v34, v17
	v_add_f32_e32 v24, v24, v30
	v_mul_f32_e32 v30, v23, v17
	v_mul_f32_e32 v17, v22, v17
	v_fmac_f32_e32 v17, v23, v16
	v_fmac_f32_e32 v31, v35, v16
	v_fma_f32 v30, v22, v16, -v30
	v_add_f32_e32 v27, v27, v17
	v_mul_f32_e32 v16, v23, v19
	v_mul_f32_e32 v17, v22, v19
	v_add_f32_e32 v29, v29, v31
	v_mul_f32_e32 v31, v34, v19
	v_fma_f32 v16, v22, v18, -v16
	v_fmac_f32_e32 v17, v23, v18
	v_fmac_f32_e32 v31, v35, v18
	v_add_f32_e32 v20, v20, v16
	v_add_f32_e32 v21, v21, v17
	ds_read2_b64 v[16:19], v12 offset0:192 offset1:208
	v_add_f32_e32 v26, v26, v30
	v_add_f32_e32 v25, v25, v31
	s_waitcnt lgkmcnt(0)
	v_mul_f32_e32 v22, v3, v17
	v_fma_f32 v22, v2, v16, -v22
	v_add_f32_e32 v30, v28, v22
	v_mul_f32_e32 v22, v3, v19
	v_mul_f32_e32 v23, v2, v17
	v_fma_f32 v22, v2, v18, -v22
	v_mul_f32_e32 v2, v2, v19
	v_fmac_f32_e32 v23, v3, v16
	v_fmac_f32_e32 v2, v3, v18
	v_add_f32_e32 v31, v29, v23
	v_add_f32_e32 v3, v24, v22
	;; [unrolled: 1-line block ×3, first 2 shown]
	ds_read_b128 v[22:25], v13 offset:1072
	s_waitcnt lgkmcnt(0)
	v_mul_f32_e32 v28, v23, v17
	v_fma_f32 v28, v22, v16, -v28
	v_mul_f32_e32 v17, v22, v17
	v_fmac_f32_e32 v17, v23, v16
	v_add_f32_e32 v16, v26, v28
	v_mul_f32_e32 v26, v23, v19
	v_fma_f32 v26, v22, v18, -v26
	v_add_f32_e32 v17, v27, v17
	v_add_f32_e32 v32, v20, v26
	ds_read2_b64 v[26:29], v12 offset0:224 offset1:240
	v_mul_f32_e32 v19, v22, v19
	v_fmac_f32_e32 v19, v23, v18
	v_add_f32_e32 v33, v21, v19
	s_waitcnt lgkmcnt(0)
	v_mul_f32_e32 v18, v5, v27
	v_fma_f32 v18, v4, v26, -v18
	v_add_f32_e32 v22, v30, v18
	v_mul_f32_e32 v18, v5, v29
	v_mul_f32_e32 v19, v4, v27
	v_fma_f32 v18, v4, v28, -v18
	v_mul_f32_e32 v4, v4, v29
	v_fmac_f32_e32 v4, v5, v28
	v_add_f32_e32 v20, v3, v18
	v_add_f32_e32 v21, v2, v4
	v_mul_f32_e32 v2, v25, v27
	v_mul_f32_e32 v3, v24, v27
	v_fmac_f32_e32 v19, v5, v26
	v_fma_f32 v2, v24, v26, -v2
	v_fmac_f32_e32 v3, v25, v26
	v_add_f32_e32 v23, v31, v19
	v_add_f32_e32 v18, v16, v2
	;; [unrolled: 1-line block ×3, first 2 shown]
	v_mul_f32_e32 v2, v25, v29
	v_mul_f32_e32 v3, v24, v29
	v_fma_f32 v2, v24, v28, -v2
	v_fmac_f32_e32 v3, v25, v28
	v_add_f32_e32 v17, v32, v2
	v_add_f32_e32 v16, v33, v3
	s_barrier
	s_cbranch_scc0 .LBB804_2
	s_branch .LBB804_4
.LBB804_3:
	v_mov_b32_e32 v22, 0
	v_mov_b32_e32 v23, 0
	;; [unrolled: 1-line block ×8, first 2 shown]
.LBB804_4:
	s_load_dword s8, s[4:5], 0x50
	v_add_u32_e32 v5, s7, v1
	s_waitcnt lgkmcnt(0)
	v_mov_b32_e32 v3, s11
	v_add_u32_e32 v0, s6, v0
	v_mad_i64_i32 v[1:2], s[0:1], v5, s8, 0
	v_cmp_le_i32_e64 s[0:1], v5, v0
	v_lshlrev_b64 v[1:2], 3, v[1:2]
	v_add_co_u32_e32 v4, vcc, s10, v1
	v_addc_co_u32_e32 v6, vcc, v3, v2, vcc
	v_cmp_gt_i32_e32 vcc, s20, v0
	s_and_b64 s[0:1], s[0:1], vcc
	s_and_saveexec_b64 s[2:3], s[0:1]
	s_cbranch_execz .LBB804_7
; %bb.5:
	v_ashrrev_i32_e32 v1, 31, v0
	v_lshlrev_b64 v[1:2], 3, v[0:1]
	v_mul_f32_e32 v3, s17, v23
	v_add_co_u32_e64 v1, s[0:1], v4, v1
	v_addc_co_u32_e64 v2, s[0:1], v6, v2, s[0:1]
	flat_load_dwordx2 v[7:8], v[1:2]
	v_mul_f32_e32 v9, s16, v23
	v_fma_f32 v3, v22, s16, -v3
	v_fmac_f32_e32 v9, s17, v22
	v_cmp_eq_u32_e64 s[0:1], v5, v0
	s_waitcnt vmcnt(0) lgkmcnt(0)
	v_mul_f32_e32 v10, s13, v8
	v_mul_f32_e32 v8, s12, v8
	v_fma_f32 v10, v7, s12, -v10
	v_fmac_f32_e32 v8, s13, v7
	v_add_f32_e32 v7, v3, v10
	v_add_f32_e32 v8, v9, v8
	flat_store_dwordx2 v[1:2], v[7:8]
	s_and_b64 exec, exec, s[0:1]
	s_cbranch_execz .LBB804_7
; %bb.6:
	v_mov_b32_e32 v3, 0
	flat_store_dword v[1:2], v3 offset:4
.LBB804_7:
	s_or_b64 exec, exec, s[2:3]
	v_add_u32_e32 v2, 16, v0
	v_cmp_le_i32_e64 s[2:3], v5, v2
	v_cmp_gt_i32_e64 s[0:1], s20, v2
	s_and_b64 s[2:3], s[2:3], s[0:1]
	s_and_saveexec_b64 s[4:5], s[2:3]
	s_cbranch_execz .LBB804_10
; %bb.8:
	v_ashrrev_i32_e32 v3, 31, v2
	v_lshlrev_b64 v[7:8], 3, v[2:3]
	v_mul_f32_e32 v1, s17, v21
	v_add_co_u32_e64 v3, s[2:3], v4, v7
	v_addc_co_u32_e64 v4, s[2:3], v6, v8, s[2:3]
	flat_load_dwordx2 v[6:7], v[3:4]
	v_mul_f32_e32 v8, s16, v21
	v_fma_f32 v1, v20, s16, -v1
	v_fmac_f32_e32 v8, s17, v20
	v_cmp_eq_u32_e64 s[2:3], v5, v2
	s_waitcnt vmcnt(0) lgkmcnt(0)
	v_mul_f32_e32 v9, s13, v7
	v_mul_f32_e32 v7, s12, v7
	v_fma_f32 v9, v6, s12, -v9
	v_fmac_f32_e32 v7, s13, v6
	v_add_f32_e32 v6, v1, v9
	v_add_f32_e32 v7, v8, v7
	flat_store_dwordx2 v[3:4], v[6:7]
	s_and_b64 exec, exec, s[2:3]
	s_cbranch_execz .LBB804_10
; %bb.9:
	v_mov_b32_e32 v1, 0
	flat_store_dword v[3:4], v1 offset:4
.LBB804_10:
	s_or_b64 exec, exec, s[4:5]
	v_add_u32_e32 v8, 16, v5
	v_mad_i64_i32 v[3:4], s[2:3], v8, s8, 0
	v_mov_b32_e32 v1, s11
	v_lshlrev_b64 v[3:4], 3, v[3:4]
	v_add_co_u32_e64 v6, s[2:3], s10, v3
	v_addc_co_u32_e64 v7, s[2:3], v1, v4, s[2:3]
	v_cmp_le_i32_e64 s[2:3], v8, v0
	s_and_b64 s[4:5], s[2:3], vcc
	s_and_saveexec_b64 s[2:3], s[4:5]
	s_cbranch_execz .LBB804_13
; %bb.11:
	v_ashrrev_i32_e32 v1, 31, v0
	v_lshlrev_b64 v[3:4], 3, v[0:1]
	v_mul_f32_e32 v1, s17, v19
	v_add_co_u32_e32 v3, vcc, v6, v3
	v_addc_co_u32_e32 v4, vcc, v7, v4, vcc
	flat_load_dwordx2 v[9:10], v[3:4]
	v_mul_f32_e32 v11, s16, v19
	v_fma_f32 v1, v18, s16, -v1
	v_fmac_f32_e32 v11, s17, v18
	v_cmp_eq_u32_e32 vcc, v8, v0
	s_waitcnt vmcnt(0) lgkmcnt(0)
	v_mul_f32_e32 v12, s13, v10
	v_mul_f32_e32 v10, s12, v10
	v_fma_f32 v12, v9, s12, -v12
	v_fmac_f32_e32 v10, s13, v9
	v_add_f32_e32 v9, v1, v12
	v_add_f32_e32 v10, v11, v10
	flat_store_dwordx2 v[3:4], v[9:10]
	s_and_b64 exec, exec, vcc
	s_cbranch_execz .LBB804_13
; %bb.12:
	v_mov_b32_e32 v1, 0
	flat_store_dword v[3:4], v1 offset:4
.LBB804_13:
	s_or_b64 exec, exec, s[2:3]
	v_cmp_le_i32_e32 vcc, v8, v2
	s_and_b64 s[0:1], vcc, s[0:1]
	s_and_saveexec_b64 s[2:3], s[0:1]
	s_cbranch_execz .LBB804_16
; %bb.14:
	v_ashrrev_i32_e32 v3, 31, v2
	v_lshlrev_b64 v[1:2], 3, v[2:3]
	v_add_co_u32_e32 v1, vcc, v6, v1
	v_addc_co_u32_e32 v2, vcc, v7, v2, vcc
	flat_load_dwordx2 v[3:4], v[1:2]
	v_mul_f32_e32 v6, s17, v16
	v_mul_f32_e32 v7, s16, v16
	v_fma_f32 v6, v17, s16, -v6
	v_fmac_f32_e32 v7, s17, v17
	v_cmp_eq_u32_e32 vcc, v5, v0
	s_waitcnt vmcnt(0) lgkmcnt(0)
	v_mul_f32_e32 v8, s13, v4
	v_mul_f32_e32 v4, s12, v4
	v_fma_f32 v8, v3, s12, -v8
	v_fmac_f32_e32 v4, s13, v3
	v_add_f32_e32 v3, v6, v8
	v_add_f32_e32 v4, v7, v4
	flat_store_dwordx2 v[1:2], v[3:4]
	s_and_b64 exec, exec, vcc
	s_cbranch_execz .LBB804_16
; %bb.15:
	v_mov_b32_e32 v0, 0
	flat_store_dword v[1:2], v0 offset:4
.LBB804_16:
	s_endpgm
	.section	.rodata,"a",@progbits
	.p2align	6, 0x0
	.amdhsa_kernel _ZL37rocblas_syrkx_herkx_restricted_kernelIi19rocblas_complex_numIfELi16ELi32ELi8ELb0ELb1ELc78ELc76EKPKS1_KPS1_EviT_T0_PT8_S7_lSA_S7_lS8_PT9_S7_li
		.amdhsa_group_segment_fixed_size 4096
		.amdhsa_private_segment_fixed_size 0
		.amdhsa_kernarg_size 100
		.amdhsa_user_sgpr_count 6
		.amdhsa_user_sgpr_private_segment_buffer 1
		.amdhsa_user_sgpr_dispatch_ptr 0
		.amdhsa_user_sgpr_queue_ptr 0
		.amdhsa_user_sgpr_kernarg_segment_ptr 1
		.amdhsa_user_sgpr_dispatch_id 0
		.amdhsa_user_sgpr_flat_scratch_init 0
		.amdhsa_user_sgpr_private_segment_size 0
		.amdhsa_uses_dynamic_stack 0
		.amdhsa_system_sgpr_private_segment_wavefront_offset 0
		.amdhsa_system_sgpr_workgroup_id_x 1
		.amdhsa_system_sgpr_workgroup_id_y 1
		.amdhsa_system_sgpr_workgroup_id_z 1
		.amdhsa_system_sgpr_workgroup_info 0
		.amdhsa_system_vgpr_workitem_id 1
		.amdhsa_next_free_vgpr 43
		.amdhsa_next_free_sgpr 24
		.amdhsa_reserve_vcc 1
		.amdhsa_reserve_flat_scratch 0
		.amdhsa_float_round_mode_32 0
		.amdhsa_float_round_mode_16_64 0
		.amdhsa_float_denorm_mode_32 3
		.amdhsa_float_denorm_mode_16_64 3
		.amdhsa_dx10_clamp 1
		.amdhsa_ieee_mode 1
		.amdhsa_fp16_overflow 0
		.amdhsa_exception_fp_ieee_invalid_op 0
		.amdhsa_exception_fp_denorm_src 0
		.amdhsa_exception_fp_ieee_div_zero 0
		.amdhsa_exception_fp_ieee_overflow 0
		.amdhsa_exception_fp_ieee_underflow 0
		.amdhsa_exception_fp_ieee_inexact 0
		.amdhsa_exception_int_div_zero 0
	.end_amdhsa_kernel
	.section	.text._ZL37rocblas_syrkx_herkx_restricted_kernelIi19rocblas_complex_numIfELi16ELi32ELi8ELb0ELb1ELc78ELc76EKPKS1_KPS1_EviT_T0_PT8_S7_lSA_S7_lS8_PT9_S7_li,"axG",@progbits,_ZL37rocblas_syrkx_herkx_restricted_kernelIi19rocblas_complex_numIfELi16ELi32ELi8ELb0ELb1ELc78ELc76EKPKS1_KPS1_EviT_T0_PT8_S7_lSA_S7_lS8_PT9_S7_li,comdat
.Lfunc_end804:
	.size	_ZL37rocblas_syrkx_herkx_restricted_kernelIi19rocblas_complex_numIfELi16ELi32ELi8ELb0ELb1ELc78ELc76EKPKS1_KPS1_EviT_T0_PT8_S7_lSA_S7_lS8_PT9_S7_li, .Lfunc_end804-_ZL37rocblas_syrkx_herkx_restricted_kernelIi19rocblas_complex_numIfELi16ELi32ELi8ELb0ELb1ELc78ELc76EKPKS1_KPS1_EviT_T0_PT8_S7_lSA_S7_lS8_PT9_S7_li
                                        ; -- End function
	.set _ZL37rocblas_syrkx_herkx_restricted_kernelIi19rocblas_complex_numIfELi16ELi32ELi8ELb0ELb1ELc78ELc76EKPKS1_KPS1_EviT_T0_PT8_S7_lSA_S7_lS8_PT9_S7_li.num_vgpr, 43
	.set _ZL37rocblas_syrkx_herkx_restricted_kernelIi19rocblas_complex_numIfELi16ELi32ELi8ELb0ELb1ELc78ELc76EKPKS1_KPS1_EviT_T0_PT8_S7_lSA_S7_lS8_PT9_S7_li.num_agpr, 0
	.set _ZL37rocblas_syrkx_herkx_restricted_kernelIi19rocblas_complex_numIfELi16ELi32ELi8ELb0ELb1ELc78ELc76EKPKS1_KPS1_EviT_T0_PT8_S7_lSA_S7_lS8_PT9_S7_li.numbered_sgpr, 24
	.set _ZL37rocblas_syrkx_herkx_restricted_kernelIi19rocblas_complex_numIfELi16ELi32ELi8ELb0ELb1ELc78ELc76EKPKS1_KPS1_EviT_T0_PT8_S7_lSA_S7_lS8_PT9_S7_li.num_named_barrier, 0
	.set _ZL37rocblas_syrkx_herkx_restricted_kernelIi19rocblas_complex_numIfELi16ELi32ELi8ELb0ELb1ELc78ELc76EKPKS1_KPS1_EviT_T0_PT8_S7_lSA_S7_lS8_PT9_S7_li.private_seg_size, 0
	.set _ZL37rocblas_syrkx_herkx_restricted_kernelIi19rocblas_complex_numIfELi16ELi32ELi8ELb0ELb1ELc78ELc76EKPKS1_KPS1_EviT_T0_PT8_S7_lSA_S7_lS8_PT9_S7_li.uses_vcc, 1
	.set _ZL37rocblas_syrkx_herkx_restricted_kernelIi19rocblas_complex_numIfELi16ELi32ELi8ELb0ELb1ELc78ELc76EKPKS1_KPS1_EviT_T0_PT8_S7_lSA_S7_lS8_PT9_S7_li.uses_flat_scratch, 0
	.set _ZL37rocblas_syrkx_herkx_restricted_kernelIi19rocblas_complex_numIfELi16ELi32ELi8ELb0ELb1ELc78ELc76EKPKS1_KPS1_EviT_T0_PT8_S7_lSA_S7_lS8_PT9_S7_li.has_dyn_sized_stack, 0
	.set _ZL37rocblas_syrkx_herkx_restricted_kernelIi19rocblas_complex_numIfELi16ELi32ELi8ELb0ELb1ELc78ELc76EKPKS1_KPS1_EviT_T0_PT8_S7_lSA_S7_lS8_PT9_S7_li.has_recursion, 0
	.set _ZL37rocblas_syrkx_herkx_restricted_kernelIi19rocblas_complex_numIfELi16ELi32ELi8ELb0ELb1ELc78ELc76EKPKS1_KPS1_EviT_T0_PT8_S7_lSA_S7_lS8_PT9_S7_li.has_indirect_call, 0
	.section	.AMDGPU.csdata,"",@progbits
; Kernel info:
; codeLenInByte = 2200
; TotalNumSgprs: 28
; NumVgprs: 43
; ScratchSize: 0
; MemoryBound: 0
; FloatMode: 240
; IeeeMode: 1
; LDSByteSize: 4096 bytes/workgroup (compile time only)
; SGPRBlocks: 3
; VGPRBlocks: 10
; NumSGPRsForWavesPerEU: 28
; NumVGPRsForWavesPerEU: 43
; Occupancy: 5
; WaveLimiterHint : 1
; COMPUTE_PGM_RSRC2:SCRATCH_EN: 0
; COMPUTE_PGM_RSRC2:USER_SGPR: 6
; COMPUTE_PGM_RSRC2:TRAP_HANDLER: 0
; COMPUTE_PGM_RSRC2:TGID_X_EN: 1
; COMPUTE_PGM_RSRC2:TGID_Y_EN: 1
; COMPUTE_PGM_RSRC2:TGID_Z_EN: 1
; COMPUTE_PGM_RSRC2:TIDIG_COMP_CNT: 1
	.section	.text._ZL37rocblas_syrkx_herkx_restricted_kernelIi19rocblas_complex_numIfELi16ELi32ELi8ELb0ELb1ELc84ELc85EKPKS1_KPS1_EviT_T0_PT8_S7_lSA_S7_lS8_PT9_S7_li,"axG",@progbits,_ZL37rocblas_syrkx_herkx_restricted_kernelIi19rocblas_complex_numIfELi16ELi32ELi8ELb0ELb1ELc84ELc85EKPKS1_KPS1_EviT_T0_PT8_S7_lSA_S7_lS8_PT9_S7_li,comdat
	.globl	_ZL37rocblas_syrkx_herkx_restricted_kernelIi19rocblas_complex_numIfELi16ELi32ELi8ELb0ELb1ELc84ELc85EKPKS1_KPS1_EviT_T0_PT8_S7_lSA_S7_lS8_PT9_S7_li ; -- Begin function _ZL37rocblas_syrkx_herkx_restricted_kernelIi19rocblas_complex_numIfELi16ELi32ELi8ELb0ELb1ELc84ELc85EKPKS1_KPS1_EviT_T0_PT8_S7_lSA_S7_lS8_PT9_S7_li
	.p2align	8
	.type	_ZL37rocblas_syrkx_herkx_restricted_kernelIi19rocblas_complex_numIfELi16ELi32ELi8ELb0ELb1ELc84ELc85EKPKS1_KPS1_EviT_T0_PT8_S7_lSA_S7_lS8_PT9_S7_li,@function
_ZL37rocblas_syrkx_herkx_restricted_kernelIi19rocblas_complex_numIfELi16ELi32ELi8ELb0ELb1ELc84ELc85EKPKS1_KPS1_EviT_T0_PT8_S7_lSA_S7_lS8_PT9_S7_li: ; @_ZL37rocblas_syrkx_herkx_restricted_kernelIi19rocblas_complex_numIfELi16ELi32ELi8ELb0ELb1ELc84ELc85EKPKS1_KPS1_EviT_T0_PT8_S7_lSA_S7_lS8_PT9_S7_li
; %bb.0:
	s_load_dwordx4 s[12:15], s[4:5], 0x40
	s_load_dwordx2 s[2:3], s[4:5], 0x0
	s_load_dwordx4 s[16:19], s[4:5], 0x8
	s_mov_b32 s9, 0
	s_lshl_b64 s[0:1], s[8:9], 3
	s_waitcnt lgkmcnt(0)
	s_add_u32 s10, s14, s0
	s_addc_u32 s11, s15, s1
	s_load_dwordx2 s[10:11], s[10:11], 0x0
	s_lshl_b32 s6, s6, 5
	s_lshl_b32 s7, s7, 5
	s_cmp_lt_i32 s3, 1
	s_cbranch_scc1 .LBB805_3
; %bb.1:
	s_load_dword s8, s[4:5], 0x18
	s_load_dwordx2 s[14:15], s[4:5], 0x28
	s_load_dword s20, s[4:5], 0x30
	v_lshl_add_u32 v3, v1, 4, v0
	v_and_b32_e32 v7, 31, v3
	s_add_u32 s18, s18, s0
	v_lshrrev_b32_e32 v2, 5, v3
	v_and_b32_e32 v9, 7, v0
	v_lshlrev_b32_e32 v8, 3, v7
	s_addc_u32 s19, s19, s1
	v_lshrrev_b32_e32 v6, 3, v3
	v_lshl_or_b32 v11, v2, 8, v8
	v_lshlrev_b32_e32 v8, 3, v9
	s_waitcnt lgkmcnt(0)
	s_add_u32 s0, s14, s0
	v_add_u32_e32 v3, s7, v6
	v_mov_b32_e32 v10, 0
	v_lshl_or_b32 v6, v6, 6, v8
	s_addc_u32 s1, s15, s1
	v_mad_i64_i32 v[4:5], s[14:15], s20, v3, v[9:10]
	v_mov_b32_e32 v3, v10
	v_add_u32_e32 v12, 0x800, v6
	v_add_u32_e32 v6, s6, v7
	v_mad_i64_i32 v[2:3], s[14:15], s8, v6, v[2:3]
	s_load_dwordx2 s[18:19], s[18:19], 0x0
	v_mov_b32_e32 v6, 0x800
	s_load_dwordx2 s[0:1], s[0:1], 0x0
	v_lshlrev_b64 v[2:3], 3, v[2:3]
	v_lshl_add_u32 v14, v1, 6, v6
	s_waitcnt lgkmcnt(0)
	v_mov_b32_e32 v7, s19
	v_add_co_u32_e32 v6, vcc, s18, v2
	v_addc_co_u32_e32 v7, vcc, v7, v3, vcc
	v_lshlrev_b64 v[2:3], 3, v[4:5]
	v_mov_b32_e32 v4, s1
	v_add_co_u32_e32 v8, vcc, s0, v2
	v_lshlrev_b32_e32 v13, 3, v0
	v_addc_co_u32_e32 v9, vcc, v4, v3, vcc
	v_mov_b32_e32 v15, v10
	v_mov_b32_e32 v17, v10
	;; [unrolled: 1-line block ×7, first 2 shown]
.LBB805_2:                              ; =>This Inner Loop Header: Depth=1
	flat_load_dwordx2 v[2:3], v[6:7]
	v_add_co_u32_e32 v6, vcc, 64, v6
	v_addc_co_u32_e32 v7, vcc, 0, v7, vcc
	s_add_i32 s9, s9, 8
	s_cmp_ge_i32 s9, s3
	s_waitcnt vmcnt(0) lgkmcnt(0)
	ds_write_b64 v11, v[2:3]
	flat_load_dwordx2 v[2:3], v[8:9]
	v_add_co_u32_e32 v8, vcc, 64, v8
	v_addc_co_u32_e32 v9, vcc, 0, v9, vcc
	s_waitcnt vmcnt(0) lgkmcnt(0)
	ds_write_b64 v12, v[2:3]
	s_waitcnt lgkmcnt(0)
	s_barrier
	ds_read_b128 v[22:25], v14
	ds_read_b128 v[26:29], v14 offset:16
	ds_read_b128 v[30:33], v14 offset:32
	;; [unrolled: 1-line block ×3, first 2 shown]
	ds_read2_b64 v[34:37], v13 offset1:16
	s_waitcnt lgkmcnt(0)
	v_mul_f32_e32 v38, v23, v35
	v_mul_f32_e32 v39, v22, v35
	v_fma_f32 v38, v22, v34, -v38
	v_fmac_f32_e32 v39, v23, v34
	v_add_f32_e32 v38, v20, v38
	v_add_f32_e32 v39, v21, v39
	v_mul_f32_e32 v20, v23, v37
	v_mul_f32_e32 v21, v22, v37
	v_fma_f32 v20, v22, v36, -v20
	v_fmac_f32_e32 v21, v23, v36
	v_add_f32_e32 v22, v18, v20
	v_add_f32_e32 v23, v19, v21
	ds_read_b128 v[18:21], v14 offset:1024
	s_waitcnt lgkmcnt(0)
	v_mul_f32_e32 v40, v19, v35
	v_mul_f32_e32 v35, v18, v35
	v_fma_f32 v40, v18, v34, -v40
	v_fmac_f32_e32 v35, v19, v34
	v_add_f32_e32 v34, v16, v40
	v_add_f32_e32 v35, v17, v35
	v_mul_f32_e32 v16, v19, v37
	v_mul_f32_e32 v17, v18, v37
	v_fma_f32 v16, v18, v36, -v16
	v_fmac_f32_e32 v17, v19, v36
	v_add_f32_e32 v19, v15, v16
	v_add_f32_e32 v10, v10, v17
	ds_read2_b64 v[15:18], v13 offset0:32 offset1:48
	s_waitcnt lgkmcnt(0)
	v_mul_f32_e32 v36, v25, v16
	v_fma_f32 v36, v24, v15, -v36
	v_add_f32_e32 v36, v38, v36
	v_mul_f32_e32 v38, v25, v18
	v_mul_f32_e32 v37, v24, v16
	v_fma_f32 v38, v24, v17, -v38
	v_mul_f32_e32 v24, v24, v18
	v_fmac_f32_e32 v24, v25, v17
	v_add_f32_e32 v23, v23, v24
	v_mul_f32_e32 v24, v21, v16
	v_mul_f32_e32 v16, v20, v16
	v_fmac_f32_e32 v16, v21, v15
	v_fmac_f32_e32 v37, v25, v15
	v_fma_f32 v24, v20, v15, -v24
	v_add_f32_e32 v25, v35, v16
	v_mul_f32_e32 v15, v21, v18
	v_mul_f32_e32 v16, v20, v18
	v_fma_f32 v15, v20, v17, -v15
	v_fmac_f32_e32 v16, v21, v17
	v_add_f32_e32 v24, v34, v24
	v_add_f32_e32 v34, v19, v15
	;; [unrolled: 1-line block ×3, first 2 shown]
	ds_read2_b64 v[15:18], v13 offset0:64 offset1:80
	v_add_f32_e32 v37, v39, v37
	v_add_f32_e32 v22, v22, v38
	s_waitcnt lgkmcnt(0)
	v_mul_f32_e32 v19, v27, v16
	v_mul_f32_e32 v20, v26, v16
	v_fma_f32 v19, v26, v15, -v19
	v_fmac_f32_e32 v20, v27, v15
	v_add_f32_e32 v35, v36, v19
	v_add_f32_e32 v36, v37, v20
	v_mul_f32_e32 v19, v27, v18
	v_mul_f32_e32 v20, v26, v18
	v_fma_f32 v19, v26, v17, -v19
	v_fmac_f32_e32 v20, v27, v17
	v_add_f32_e32 v26, v22, v19
	v_add_f32_e32 v23, v23, v20
	ds_read_b128 v[19:22], v14 offset:1040
	s_waitcnt lgkmcnt(0)
	v_mul_f32_e32 v27, v20, v16
	v_mul_f32_e32 v16, v19, v16
	v_fmac_f32_e32 v16, v20, v15
	v_fma_f32 v27, v19, v15, -v27
	v_add_f32_e32 v25, v25, v16
	v_mul_f32_e32 v15, v20, v18
	v_mul_f32_e32 v16, v19, v18
	v_fma_f32 v15, v19, v17, -v15
	v_fmac_f32_e32 v16, v20, v17
	v_add_f32_e32 v19, v34, v15
	v_add_f32_e32 v10, v10, v16
	ds_read2_b64 v[15:18], v13 offset0:96 offset1:112
	v_add_f32_e32 v24, v24, v27
	s_waitcnt lgkmcnt(0)
	v_mul_f32_e32 v20, v29, v16
	v_mul_f32_e32 v34, v29, v18
	v_fma_f32 v20, v28, v15, -v20
	v_mul_f32_e32 v27, v28, v16
	v_fma_f32 v34, v28, v17, -v34
	v_mul_f32_e32 v28, v28, v18
	v_fmac_f32_e32 v28, v29, v17
	v_add_f32_e32 v23, v23, v28
	v_mul_f32_e32 v28, v22, v16
	v_mul_f32_e32 v16, v21, v16
	v_fmac_f32_e32 v16, v22, v15
	v_fmac_f32_e32 v27, v29, v15
	v_fma_f32 v28, v21, v15, -v28
	v_add_f32_e32 v25, v25, v16
	v_mul_f32_e32 v15, v22, v18
	v_mul_f32_e32 v16, v21, v18
	v_fma_f32 v15, v21, v17, -v15
	v_fmac_f32_e32 v16, v22, v17
	v_add_f32_e32 v24, v24, v28
	v_add_f32_e32 v28, v19, v15
	;; [unrolled: 1-line block ×3, first 2 shown]
	ds_read2_b64 v[15:18], v13 offset0:128 offset1:144
	v_add_f32_e32 v20, v35, v20
	v_add_f32_e32 v27, v36, v27
	;; [unrolled: 1-line block ×3, first 2 shown]
	s_waitcnt lgkmcnt(0)
	v_mul_f32_e32 v19, v31, v16
	v_fma_f32 v19, v30, v15, -v19
	v_mul_f32_e32 v21, v30, v16
	v_add_f32_e32 v29, v20, v19
	v_mul_f32_e32 v19, v31, v18
	v_mul_f32_e32 v20, v30, v18
	v_fmac_f32_e32 v21, v31, v15
	v_fma_f32 v19, v30, v17, -v19
	v_fmac_f32_e32 v20, v31, v17
	v_add_f32_e32 v27, v27, v21
	v_add_f32_e32 v26, v26, v19
	;; [unrolled: 1-line block ×3, first 2 shown]
	ds_read_b128 v[19:22], v14 offset:1056
	s_waitcnt lgkmcnt(0)
	v_mul_f32_e32 v30, v20, v16
	v_mul_f32_e32 v16, v19, v16
	v_fmac_f32_e32 v16, v20, v15
	v_fma_f32 v30, v19, v15, -v30
	v_add_f32_e32 v25, v25, v16
	v_mul_f32_e32 v15, v20, v18
	v_mul_f32_e32 v16, v19, v18
	v_fma_f32 v15, v19, v17, -v15
	v_fmac_f32_e32 v16, v20, v17
	v_add_f32_e32 v19, v28, v15
	v_add_f32_e32 v10, v10, v16
	ds_read2_b64 v[15:18], v13 offset0:160 offset1:176
	v_add_f32_e32 v24, v24, v30
	s_waitcnt lgkmcnt(0)
	v_mul_f32_e32 v28, v32, v16
	v_fmac_f32_e32 v28, v33, v15
	v_add_f32_e32 v27, v27, v28
	v_mul_f32_e32 v28, v33, v18
	v_fma_f32 v28, v32, v17, -v28
	v_mul_f32_e32 v20, v33, v16
	v_add_f32_e32 v26, v26, v28
	v_mul_f32_e32 v28, v22, v16
	v_mul_f32_e32 v16, v21, v16
	v_fmac_f32_e32 v16, v22, v15
	v_fma_f32 v20, v32, v15, -v20
	v_fma_f32 v28, v21, v15, -v28
	v_add_f32_e32 v25, v25, v16
	v_mul_f32_e32 v15, v22, v18
	v_mul_f32_e32 v16, v21, v18
	v_add_f32_e32 v20, v29, v20
	v_mul_f32_e32 v29, v32, v18
	v_fma_f32 v15, v21, v17, -v15
	v_fmac_f32_e32 v16, v22, v17
	v_fmac_f32_e32 v29, v33, v17
	v_add_f32_e32 v19, v19, v15
	v_add_f32_e32 v10, v10, v16
	ds_read2_b64 v[15:18], v13 offset0:192 offset1:208
	v_add_f32_e32 v24, v24, v28
	v_add_f32_e32 v23, v23, v29
	s_waitcnt lgkmcnt(0)
	v_mul_f32_e32 v21, v3, v16
	v_fma_f32 v21, v2, v15, -v21
	v_add_f32_e32 v28, v20, v21
	v_mul_f32_e32 v20, v3, v18
	v_mul_f32_e32 v22, v2, v16
	v_fma_f32 v20, v2, v17, -v20
	v_mul_f32_e32 v2, v2, v18
	v_fmac_f32_e32 v22, v3, v15
	v_fmac_f32_e32 v2, v3, v17
	v_add_f32_e32 v29, v27, v22
	v_add_f32_e32 v3, v26, v20
	;; [unrolled: 1-line block ×3, first 2 shown]
	ds_read_b128 v[20:23], v14 offset:1072
	s_waitcnt lgkmcnt(0)
	v_mul_f32_e32 v26, v21, v16
	v_mul_f32_e32 v16, v20, v16
	v_fma_f32 v26, v20, v15, -v26
	v_fmac_f32_e32 v16, v21, v15
	v_add_f32_e32 v15, v24, v26
	v_add_f32_e32 v30, v25, v16
	ds_read2_b64 v[24:27], v13 offset0:224 offset1:240
	v_mul_f32_e32 v16, v21, v18
	v_fma_f32 v16, v20, v17, -v16
	v_add_f32_e32 v31, v19, v16
	v_mul_f32_e32 v18, v20, v18
	s_waitcnt lgkmcnt(0)
	v_mul_f32_e32 v16, v5, v25
	v_fma_f32 v16, v4, v24, -v16
	v_add_f32_e32 v20, v28, v16
	v_mul_f32_e32 v16, v5, v27
	v_fmac_f32_e32 v18, v21, v17
	v_mul_f32_e32 v17, v4, v25
	v_fma_f32 v16, v4, v26, -v16
	v_mul_f32_e32 v4, v4, v27
	v_fmac_f32_e32 v4, v5, v26
	v_add_f32_e32 v10, v10, v18
	v_add_f32_e32 v18, v3, v16
	;; [unrolled: 1-line block ×3, first 2 shown]
	v_mul_f32_e32 v2, v23, v25
	v_mul_f32_e32 v3, v22, v25
	v_fmac_f32_e32 v17, v5, v24
	v_fma_f32 v2, v22, v24, -v2
	v_fmac_f32_e32 v3, v23, v24
	v_add_f32_e32 v21, v29, v17
	v_add_f32_e32 v16, v15, v2
	;; [unrolled: 1-line block ×3, first 2 shown]
	v_mul_f32_e32 v2, v23, v27
	v_mul_f32_e32 v3, v22, v27
	v_fma_f32 v2, v22, v26, -v2
	v_fmac_f32_e32 v3, v23, v26
	v_add_f32_e32 v15, v31, v2
	v_add_f32_e32 v10, v10, v3
	s_barrier
	s_cbranch_scc0 .LBB805_2
	s_branch .LBB805_4
.LBB805_3:
	v_mov_b32_e32 v20, 0
	v_mov_b32_e32 v21, 0
	;; [unrolled: 1-line block ×8, first 2 shown]
.LBB805_4:
	s_load_dword s3, s[4:5], 0x50
	v_add_u32_e32 v5, s7, v1
	s_waitcnt lgkmcnt(0)
	v_mov_b32_e32 v3, s11
	v_add_u32_e32 v0, s6, v0
	v_cmp_gt_i32_e32 vcc, s2, v5
	v_mad_i64_i32 v[1:2], s[0:1], v5, s3, 0
	v_lshlrev_b64 v[1:2], 3, v[1:2]
	v_add_co_u32_e64 v4, s[0:1], s10, v1
	v_addc_co_u32_e64 v6, s[0:1], v3, v2, s[0:1]
	v_cmp_le_i32_e64 s[0:1], v0, v5
	s_and_b64 s[0:1], vcc, s[0:1]
	s_and_saveexec_b64 s[4:5], s[0:1]
	s_cbranch_execz .LBB805_7
; %bb.5:
	v_ashrrev_i32_e32 v1, 31, v0
	v_lshlrev_b64 v[1:2], 3, v[0:1]
	v_mul_f32_e32 v3, s17, v21
	v_add_co_u32_e64 v1, s[0:1], v4, v1
	v_addc_co_u32_e64 v2, s[0:1], v6, v2, s[0:1]
	flat_load_dwordx2 v[7:8], v[1:2]
	v_mul_f32_e32 v9, s16, v21
	v_fma_f32 v3, v20, s16, -v3
	v_fmac_f32_e32 v9, s17, v20
	v_cmp_eq_u32_e64 s[0:1], v5, v0
	s_waitcnt vmcnt(0) lgkmcnt(0)
	v_mul_f32_e32 v11, s13, v8
	v_mul_f32_e32 v8, s12, v8
	v_fma_f32 v11, v7, s12, -v11
	v_fmac_f32_e32 v8, s13, v7
	v_add_f32_e32 v7, v3, v11
	v_add_f32_e32 v8, v9, v8
	flat_store_dwordx2 v[1:2], v[7:8]
	s_and_b64 exec, exec, s[0:1]
	s_cbranch_execz .LBB805_7
; %bb.6:
	v_mov_b32_e32 v3, 0
	flat_store_dword v[1:2], v3 offset:4
.LBB805_7:
	s_or_b64 exec, exec, s[4:5]
	v_add_u32_e32 v2, 16, v0
	v_cmp_le_i32_e64 s[0:1], v2, v5
	s_and_b64 s[4:5], vcc, s[0:1]
	s_and_saveexec_b64 s[0:1], s[4:5]
	s_cbranch_execz .LBB805_10
; %bb.8:
	v_ashrrev_i32_e32 v3, 31, v2
	v_lshlrev_b64 v[7:8], 3, v[2:3]
	v_mul_f32_e32 v1, s17, v19
	v_add_co_u32_e32 v3, vcc, v4, v7
	v_addc_co_u32_e32 v4, vcc, v6, v8, vcc
	flat_load_dwordx2 v[6:7], v[3:4]
	v_mul_f32_e32 v8, s16, v19
	v_fma_f32 v1, v18, s16, -v1
	v_fmac_f32_e32 v8, s17, v18
	v_cmp_eq_u32_e32 vcc, v5, v2
	s_waitcnt vmcnt(0) lgkmcnt(0)
	v_mul_f32_e32 v9, s13, v7
	v_mul_f32_e32 v7, s12, v7
	v_fma_f32 v9, v6, s12, -v9
	v_fmac_f32_e32 v7, s13, v6
	v_add_f32_e32 v6, v1, v9
	v_add_f32_e32 v7, v8, v7
	flat_store_dwordx2 v[3:4], v[6:7]
	s_and_b64 exec, exec, vcc
	s_cbranch_execz .LBB805_10
; %bb.9:
	v_mov_b32_e32 v1, 0
	flat_store_dword v[3:4], v1 offset:4
.LBB805_10:
	s_or_b64 exec, exec, s[0:1]
	v_add_u32_e32 v8, 16, v5
	v_mad_i64_i32 v[3:4], s[0:1], v8, s3, 0
	v_mov_b32_e32 v1, s11
	v_cmp_gt_i32_e32 vcc, s2, v8
	v_lshlrev_b64 v[3:4], 3, v[3:4]
	v_add_co_u32_e64 v6, s[0:1], s10, v3
	v_addc_co_u32_e64 v7, s[0:1], v1, v4, s[0:1]
	v_cmp_le_i32_e64 s[0:1], v0, v8
	s_and_b64 s[0:1], vcc, s[0:1]
	s_and_saveexec_b64 s[2:3], s[0:1]
	s_cbranch_execz .LBB805_13
; %bb.11:
	v_ashrrev_i32_e32 v1, 31, v0
	v_lshlrev_b64 v[3:4], 3, v[0:1]
	v_mul_f32_e32 v1, s17, v17
	v_add_co_u32_e64 v3, s[0:1], v6, v3
	v_addc_co_u32_e64 v4, s[0:1], v7, v4, s[0:1]
	flat_load_dwordx2 v[11:12], v[3:4]
	v_mul_f32_e32 v9, s16, v17
	v_fma_f32 v1, v16, s16, -v1
	v_fmac_f32_e32 v9, s17, v16
	v_cmp_eq_u32_e64 s[0:1], v8, v0
	s_waitcnt vmcnt(0) lgkmcnt(0)
	v_mul_f32_e32 v13, s13, v12
	v_mul_f32_e32 v12, s12, v12
	v_fma_f32 v13, v11, s12, -v13
	v_fmac_f32_e32 v12, s13, v11
	v_add_f32_e32 v11, v1, v13
	v_add_f32_e32 v12, v9, v12
	flat_store_dwordx2 v[3:4], v[11:12]
	s_and_b64 exec, exec, s[0:1]
	s_cbranch_execz .LBB805_13
; %bb.12:
	v_mov_b32_e32 v1, 0
	flat_store_dword v[3:4], v1 offset:4
.LBB805_13:
	s_or_b64 exec, exec, s[2:3]
	v_cmp_le_i32_e64 s[0:1], v2, v8
	s_and_b64 s[0:1], vcc, s[0:1]
	s_and_saveexec_b64 s[2:3], s[0:1]
	s_cbranch_execz .LBB805_16
; %bb.14:
	v_ashrrev_i32_e32 v3, 31, v2
	v_lshlrev_b64 v[1:2], 3, v[2:3]
	v_add_co_u32_e32 v1, vcc, v6, v1
	v_addc_co_u32_e32 v2, vcc, v7, v2, vcc
	flat_load_dwordx2 v[3:4], v[1:2]
	v_mul_f32_e32 v6, s17, v10
	v_mul_f32_e32 v7, s16, v10
	v_fma_f32 v6, v15, s16, -v6
	v_fmac_f32_e32 v7, s17, v15
	v_cmp_eq_u32_e32 vcc, v5, v0
	s_waitcnt vmcnt(0) lgkmcnt(0)
	v_mul_f32_e32 v8, s13, v4
	v_mul_f32_e32 v4, s12, v4
	v_fma_f32 v8, v3, s12, -v8
	v_fmac_f32_e32 v4, s13, v3
	v_add_f32_e32 v3, v6, v8
	v_add_f32_e32 v4, v7, v4
	flat_store_dwordx2 v[1:2], v[3:4]
	s_and_b64 exec, exec, vcc
	s_cbranch_execz .LBB805_16
; %bb.15:
	v_mov_b32_e32 v0, 0
	flat_store_dword v[1:2], v0 offset:4
.LBB805_16:
	s_endpgm
	.section	.rodata,"a",@progbits
	.p2align	6, 0x0
	.amdhsa_kernel _ZL37rocblas_syrkx_herkx_restricted_kernelIi19rocblas_complex_numIfELi16ELi32ELi8ELb0ELb1ELc84ELc85EKPKS1_KPS1_EviT_T0_PT8_S7_lSA_S7_lS8_PT9_S7_li
		.amdhsa_group_segment_fixed_size 4096
		.amdhsa_private_segment_fixed_size 0
		.amdhsa_kernarg_size 100
		.amdhsa_user_sgpr_count 6
		.amdhsa_user_sgpr_private_segment_buffer 1
		.amdhsa_user_sgpr_dispatch_ptr 0
		.amdhsa_user_sgpr_queue_ptr 0
		.amdhsa_user_sgpr_kernarg_segment_ptr 1
		.amdhsa_user_sgpr_dispatch_id 0
		.amdhsa_user_sgpr_flat_scratch_init 0
		.amdhsa_user_sgpr_private_segment_size 0
		.amdhsa_uses_dynamic_stack 0
		.amdhsa_system_sgpr_private_segment_wavefront_offset 0
		.amdhsa_system_sgpr_workgroup_id_x 1
		.amdhsa_system_sgpr_workgroup_id_y 1
		.amdhsa_system_sgpr_workgroup_id_z 1
		.amdhsa_system_sgpr_workgroup_info 0
		.amdhsa_system_vgpr_workitem_id 1
		.amdhsa_next_free_vgpr 41
		.amdhsa_next_free_sgpr 21
		.amdhsa_reserve_vcc 1
		.amdhsa_reserve_flat_scratch 0
		.amdhsa_float_round_mode_32 0
		.amdhsa_float_round_mode_16_64 0
		.amdhsa_float_denorm_mode_32 3
		.amdhsa_float_denorm_mode_16_64 3
		.amdhsa_dx10_clamp 1
		.amdhsa_ieee_mode 1
		.amdhsa_fp16_overflow 0
		.amdhsa_exception_fp_ieee_invalid_op 0
		.amdhsa_exception_fp_denorm_src 0
		.amdhsa_exception_fp_ieee_div_zero 0
		.amdhsa_exception_fp_ieee_overflow 0
		.amdhsa_exception_fp_ieee_underflow 0
		.amdhsa_exception_fp_ieee_inexact 0
		.amdhsa_exception_int_div_zero 0
	.end_amdhsa_kernel
	.section	.text._ZL37rocblas_syrkx_herkx_restricted_kernelIi19rocblas_complex_numIfELi16ELi32ELi8ELb0ELb1ELc84ELc85EKPKS1_KPS1_EviT_T0_PT8_S7_lSA_S7_lS8_PT9_S7_li,"axG",@progbits,_ZL37rocblas_syrkx_herkx_restricted_kernelIi19rocblas_complex_numIfELi16ELi32ELi8ELb0ELb1ELc84ELc85EKPKS1_KPS1_EviT_T0_PT8_S7_lSA_S7_lS8_PT9_S7_li,comdat
.Lfunc_end805:
	.size	_ZL37rocblas_syrkx_herkx_restricted_kernelIi19rocblas_complex_numIfELi16ELi32ELi8ELb0ELb1ELc84ELc85EKPKS1_KPS1_EviT_T0_PT8_S7_lSA_S7_lS8_PT9_S7_li, .Lfunc_end805-_ZL37rocblas_syrkx_herkx_restricted_kernelIi19rocblas_complex_numIfELi16ELi32ELi8ELb0ELb1ELc84ELc85EKPKS1_KPS1_EviT_T0_PT8_S7_lSA_S7_lS8_PT9_S7_li
                                        ; -- End function
	.set _ZL37rocblas_syrkx_herkx_restricted_kernelIi19rocblas_complex_numIfELi16ELi32ELi8ELb0ELb1ELc84ELc85EKPKS1_KPS1_EviT_T0_PT8_S7_lSA_S7_lS8_PT9_S7_li.num_vgpr, 41
	.set _ZL37rocblas_syrkx_herkx_restricted_kernelIi19rocblas_complex_numIfELi16ELi32ELi8ELb0ELb1ELc84ELc85EKPKS1_KPS1_EviT_T0_PT8_S7_lSA_S7_lS8_PT9_S7_li.num_agpr, 0
	.set _ZL37rocblas_syrkx_herkx_restricted_kernelIi19rocblas_complex_numIfELi16ELi32ELi8ELb0ELb1ELc84ELc85EKPKS1_KPS1_EviT_T0_PT8_S7_lSA_S7_lS8_PT9_S7_li.numbered_sgpr, 21
	.set _ZL37rocblas_syrkx_herkx_restricted_kernelIi19rocblas_complex_numIfELi16ELi32ELi8ELb0ELb1ELc84ELc85EKPKS1_KPS1_EviT_T0_PT8_S7_lSA_S7_lS8_PT9_S7_li.num_named_barrier, 0
	.set _ZL37rocblas_syrkx_herkx_restricted_kernelIi19rocblas_complex_numIfELi16ELi32ELi8ELb0ELb1ELc84ELc85EKPKS1_KPS1_EviT_T0_PT8_S7_lSA_S7_lS8_PT9_S7_li.private_seg_size, 0
	.set _ZL37rocblas_syrkx_herkx_restricted_kernelIi19rocblas_complex_numIfELi16ELi32ELi8ELb0ELb1ELc84ELc85EKPKS1_KPS1_EviT_T0_PT8_S7_lSA_S7_lS8_PT9_S7_li.uses_vcc, 1
	.set _ZL37rocblas_syrkx_herkx_restricted_kernelIi19rocblas_complex_numIfELi16ELi32ELi8ELb0ELb1ELc84ELc85EKPKS1_KPS1_EviT_T0_PT8_S7_lSA_S7_lS8_PT9_S7_li.uses_flat_scratch, 0
	.set _ZL37rocblas_syrkx_herkx_restricted_kernelIi19rocblas_complex_numIfELi16ELi32ELi8ELb0ELb1ELc84ELc85EKPKS1_KPS1_EviT_T0_PT8_S7_lSA_S7_lS8_PT9_S7_li.has_dyn_sized_stack, 0
	.set _ZL37rocblas_syrkx_herkx_restricted_kernelIi19rocblas_complex_numIfELi16ELi32ELi8ELb0ELb1ELc84ELc85EKPKS1_KPS1_EviT_T0_PT8_S7_lSA_S7_lS8_PT9_S7_li.has_recursion, 0
	.set _ZL37rocblas_syrkx_herkx_restricted_kernelIi19rocblas_complex_numIfELi16ELi32ELi8ELb0ELb1ELc84ELc85EKPKS1_KPS1_EviT_T0_PT8_S7_lSA_S7_lS8_PT9_S7_li.has_indirect_call, 0
	.section	.AMDGPU.csdata,"",@progbits
; Kernel info:
; codeLenInByte = 2172
; TotalNumSgprs: 25
; NumVgprs: 41
; ScratchSize: 0
; MemoryBound: 0
; FloatMode: 240
; IeeeMode: 1
; LDSByteSize: 4096 bytes/workgroup (compile time only)
; SGPRBlocks: 3
; VGPRBlocks: 10
; NumSGPRsForWavesPerEU: 25
; NumVGPRsForWavesPerEU: 41
; Occupancy: 5
; WaveLimiterHint : 1
; COMPUTE_PGM_RSRC2:SCRATCH_EN: 0
; COMPUTE_PGM_RSRC2:USER_SGPR: 6
; COMPUTE_PGM_RSRC2:TRAP_HANDLER: 0
; COMPUTE_PGM_RSRC2:TGID_X_EN: 1
; COMPUTE_PGM_RSRC2:TGID_Y_EN: 1
; COMPUTE_PGM_RSRC2:TGID_Z_EN: 1
; COMPUTE_PGM_RSRC2:TIDIG_COMP_CNT: 1
	.section	.text._ZL37rocblas_syrkx_herkx_restricted_kernelIi19rocblas_complex_numIfELi16ELi32ELi8ELb0ELb1ELc67ELc85EKPKS1_KPS1_EviT_T0_PT8_S7_lSA_S7_lS8_PT9_S7_li,"axG",@progbits,_ZL37rocblas_syrkx_herkx_restricted_kernelIi19rocblas_complex_numIfELi16ELi32ELi8ELb0ELb1ELc67ELc85EKPKS1_KPS1_EviT_T0_PT8_S7_lSA_S7_lS8_PT9_S7_li,comdat
	.globl	_ZL37rocblas_syrkx_herkx_restricted_kernelIi19rocblas_complex_numIfELi16ELi32ELi8ELb0ELb1ELc67ELc85EKPKS1_KPS1_EviT_T0_PT8_S7_lSA_S7_lS8_PT9_S7_li ; -- Begin function _ZL37rocblas_syrkx_herkx_restricted_kernelIi19rocblas_complex_numIfELi16ELi32ELi8ELb0ELb1ELc67ELc85EKPKS1_KPS1_EviT_T0_PT8_S7_lSA_S7_lS8_PT9_S7_li
	.p2align	8
	.type	_ZL37rocblas_syrkx_herkx_restricted_kernelIi19rocblas_complex_numIfELi16ELi32ELi8ELb0ELb1ELc67ELc85EKPKS1_KPS1_EviT_T0_PT8_S7_lSA_S7_lS8_PT9_S7_li,@function
_ZL37rocblas_syrkx_herkx_restricted_kernelIi19rocblas_complex_numIfELi16ELi32ELi8ELb0ELb1ELc67ELc85EKPKS1_KPS1_EviT_T0_PT8_S7_lSA_S7_lS8_PT9_S7_li: ; @_ZL37rocblas_syrkx_herkx_restricted_kernelIi19rocblas_complex_numIfELi16ELi32ELi8ELb0ELb1ELc67ELc85EKPKS1_KPS1_EviT_T0_PT8_S7_lSA_S7_lS8_PT9_S7_li
; %bb.0:
	s_load_dwordx4 s[12:15], s[4:5], 0x40
	s_load_dwordx2 s[2:3], s[4:5], 0x0
	s_load_dwordx4 s[16:19], s[4:5], 0x8
	s_mov_b32 s9, 0
	s_lshl_b64 s[0:1], s[8:9], 3
	s_waitcnt lgkmcnt(0)
	s_add_u32 s10, s14, s0
	s_addc_u32 s11, s15, s1
	s_load_dwordx2 s[10:11], s[10:11], 0x0
	s_lshl_b32 s6, s6, 5
	s_lshl_b32 s7, s7, 5
	s_cmp_lt_i32 s3, 1
	s_cbranch_scc1 .LBB806_3
; %bb.1:
	s_load_dword s8, s[4:5], 0x18
	s_load_dwordx2 s[14:15], s[4:5], 0x28
	s_load_dword s20, s[4:5], 0x30
	v_lshl_add_u32 v3, v1, 4, v0
	v_and_b32_e32 v7, 31, v3
	s_add_u32 s18, s18, s0
	v_lshrrev_b32_e32 v2, 5, v3
	v_and_b32_e32 v9, 7, v0
	v_lshlrev_b32_e32 v8, 3, v7
	s_addc_u32 s19, s19, s1
	v_lshrrev_b32_e32 v6, 3, v3
	v_lshl_or_b32 v11, v2, 8, v8
	v_lshlrev_b32_e32 v8, 3, v9
	s_waitcnt lgkmcnt(0)
	s_add_u32 s0, s14, s0
	v_add_u32_e32 v3, s7, v6
	v_mov_b32_e32 v10, 0
	v_lshl_or_b32 v6, v6, 6, v8
	s_addc_u32 s1, s15, s1
	v_mad_i64_i32 v[4:5], s[14:15], s20, v3, v[9:10]
	v_mov_b32_e32 v3, v10
	v_add_u32_e32 v12, 0x800, v6
	v_add_u32_e32 v6, s6, v7
	v_mad_i64_i32 v[2:3], s[14:15], s8, v6, v[2:3]
	s_load_dwordx2 s[18:19], s[18:19], 0x0
	v_mov_b32_e32 v6, 0x800
	s_load_dwordx2 s[0:1], s[0:1], 0x0
	v_lshlrev_b64 v[2:3], 3, v[2:3]
	v_lshl_add_u32 v14, v1, 6, v6
	s_waitcnt lgkmcnt(0)
	v_mov_b32_e32 v7, s19
	v_add_co_u32_e32 v6, vcc, s18, v2
	v_addc_co_u32_e32 v7, vcc, v7, v3, vcc
	v_lshlrev_b64 v[2:3], 3, v[4:5]
	v_mov_b32_e32 v4, s1
	v_add_co_u32_e32 v8, vcc, s0, v2
	v_lshlrev_b32_e32 v13, 3, v0
	v_addc_co_u32_e32 v9, vcc, v4, v3, vcc
	v_mov_b32_e32 v15, v10
	v_mov_b32_e32 v17, v10
	;; [unrolled: 1-line block ×7, first 2 shown]
.LBB806_2:                              ; =>This Inner Loop Header: Depth=1
	flat_load_dwordx2 v[2:3], v[6:7]
	v_add_co_u32_e32 v6, vcc, 64, v6
	v_addc_co_u32_e32 v7, vcc, 0, v7, vcc
	s_add_i32 s9, s9, 8
	s_cmp_ge_i32 s9, s3
	s_waitcnt vmcnt(0) lgkmcnt(0)
	v_xor_b32_e32 v3, 0x80000000, v3
	ds_write_b64 v11, v[2:3]
	flat_load_dwordx2 v[2:3], v[8:9]
	v_add_co_u32_e32 v8, vcc, 64, v8
	v_addc_co_u32_e32 v9, vcc, 0, v9, vcc
	s_waitcnt vmcnt(0) lgkmcnt(0)
	ds_write_b64 v12, v[2:3]
	s_waitcnt lgkmcnt(0)
	s_barrier
	ds_read_b128 v[22:25], v14
	ds_read_b128 v[26:29], v14 offset:16
	ds_read_b128 v[30:33], v14 offset:32
	;; [unrolled: 1-line block ×3, first 2 shown]
	ds_read2_b64 v[34:37], v13 offset1:16
	s_waitcnt lgkmcnt(0)
	v_mul_f32_e32 v38, v23, v35
	v_mul_f32_e32 v39, v22, v35
	v_fma_f32 v38, v22, v34, -v38
	v_fmac_f32_e32 v39, v23, v34
	v_add_f32_e32 v38, v20, v38
	v_add_f32_e32 v39, v21, v39
	v_mul_f32_e32 v20, v23, v37
	v_mul_f32_e32 v21, v22, v37
	v_fma_f32 v20, v22, v36, -v20
	v_fmac_f32_e32 v21, v23, v36
	v_add_f32_e32 v22, v18, v20
	v_add_f32_e32 v23, v19, v21
	ds_read_b128 v[18:21], v14 offset:1024
	s_waitcnt lgkmcnt(0)
	v_mul_f32_e32 v40, v19, v35
	v_mul_f32_e32 v35, v18, v35
	v_fma_f32 v40, v18, v34, -v40
	v_fmac_f32_e32 v35, v19, v34
	v_add_f32_e32 v34, v16, v40
	v_add_f32_e32 v35, v17, v35
	v_mul_f32_e32 v16, v19, v37
	v_mul_f32_e32 v17, v18, v37
	v_fma_f32 v16, v18, v36, -v16
	v_fmac_f32_e32 v17, v19, v36
	v_add_f32_e32 v19, v15, v16
	v_add_f32_e32 v10, v10, v17
	ds_read2_b64 v[15:18], v13 offset0:32 offset1:48
	s_waitcnt lgkmcnt(0)
	v_mul_f32_e32 v36, v25, v16
	v_fma_f32 v36, v24, v15, -v36
	v_add_f32_e32 v36, v38, v36
	v_mul_f32_e32 v38, v25, v18
	v_mul_f32_e32 v37, v24, v16
	v_fma_f32 v38, v24, v17, -v38
	v_mul_f32_e32 v24, v24, v18
	v_fmac_f32_e32 v24, v25, v17
	v_add_f32_e32 v23, v23, v24
	v_mul_f32_e32 v24, v21, v16
	v_mul_f32_e32 v16, v20, v16
	v_fmac_f32_e32 v16, v21, v15
	v_fmac_f32_e32 v37, v25, v15
	v_fma_f32 v24, v20, v15, -v24
	v_add_f32_e32 v25, v35, v16
	v_mul_f32_e32 v15, v21, v18
	v_mul_f32_e32 v16, v20, v18
	v_fma_f32 v15, v20, v17, -v15
	v_fmac_f32_e32 v16, v21, v17
	v_add_f32_e32 v24, v34, v24
	v_add_f32_e32 v34, v19, v15
	;; [unrolled: 1-line block ×3, first 2 shown]
	ds_read2_b64 v[15:18], v13 offset0:64 offset1:80
	v_add_f32_e32 v37, v39, v37
	v_add_f32_e32 v22, v22, v38
	s_waitcnt lgkmcnt(0)
	v_mul_f32_e32 v19, v27, v16
	v_mul_f32_e32 v20, v26, v16
	v_fma_f32 v19, v26, v15, -v19
	v_fmac_f32_e32 v20, v27, v15
	v_add_f32_e32 v35, v36, v19
	v_add_f32_e32 v36, v37, v20
	v_mul_f32_e32 v19, v27, v18
	v_mul_f32_e32 v20, v26, v18
	v_fma_f32 v19, v26, v17, -v19
	v_fmac_f32_e32 v20, v27, v17
	v_add_f32_e32 v26, v22, v19
	v_add_f32_e32 v23, v23, v20
	ds_read_b128 v[19:22], v14 offset:1040
	s_waitcnt lgkmcnt(0)
	v_mul_f32_e32 v27, v20, v16
	v_mul_f32_e32 v16, v19, v16
	v_fmac_f32_e32 v16, v20, v15
	v_fma_f32 v27, v19, v15, -v27
	v_add_f32_e32 v25, v25, v16
	v_mul_f32_e32 v15, v20, v18
	v_mul_f32_e32 v16, v19, v18
	v_fma_f32 v15, v19, v17, -v15
	v_fmac_f32_e32 v16, v20, v17
	v_add_f32_e32 v19, v34, v15
	v_add_f32_e32 v10, v10, v16
	ds_read2_b64 v[15:18], v13 offset0:96 offset1:112
	v_add_f32_e32 v24, v24, v27
	s_waitcnt lgkmcnt(0)
	v_mul_f32_e32 v20, v29, v16
	v_mul_f32_e32 v34, v29, v18
	v_fma_f32 v20, v28, v15, -v20
	v_mul_f32_e32 v27, v28, v16
	v_fma_f32 v34, v28, v17, -v34
	v_mul_f32_e32 v28, v28, v18
	v_fmac_f32_e32 v28, v29, v17
	v_add_f32_e32 v23, v23, v28
	v_mul_f32_e32 v28, v22, v16
	v_mul_f32_e32 v16, v21, v16
	v_fmac_f32_e32 v16, v22, v15
	v_fmac_f32_e32 v27, v29, v15
	v_fma_f32 v28, v21, v15, -v28
	v_add_f32_e32 v25, v25, v16
	v_mul_f32_e32 v15, v22, v18
	v_mul_f32_e32 v16, v21, v18
	v_fma_f32 v15, v21, v17, -v15
	v_fmac_f32_e32 v16, v22, v17
	v_add_f32_e32 v24, v24, v28
	v_add_f32_e32 v28, v19, v15
	;; [unrolled: 1-line block ×3, first 2 shown]
	ds_read2_b64 v[15:18], v13 offset0:128 offset1:144
	v_add_f32_e32 v20, v35, v20
	v_add_f32_e32 v27, v36, v27
	;; [unrolled: 1-line block ×3, first 2 shown]
	s_waitcnt lgkmcnt(0)
	v_mul_f32_e32 v19, v31, v16
	v_fma_f32 v19, v30, v15, -v19
	v_mul_f32_e32 v21, v30, v16
	v_add_f32_e32 v29, v20, v19
	v_mul_f32_e32 v19, v31, v18
	v_mul_f32_e32 v20, v30, v18
	v_fmac_f32_e32 v21, v31, v15
	v_fma_f32 v19, v30, v17, -v19
	v_fmac_f32_e32 v20, v31, v17
	v_add_f32_e32 v27, v27, v21
	v_add_f32_e32 v26, v26, v19
	;; [unrolled: 1-line block ×3, first 2 shown]
	ds_read_b128 v[19:22], v14 offset:1056
	s_waitcnt lgkmcnt(0)
	v_mul_f32_e32 v30, v20, v16
	v_mul_f32_e32 v16, v19, v16
	v_fmac_f32_e32 v16, v20, v15
	v_fma_f32 v30, v19, v15, -v30
	v_add_f32_e32 v25, v25, v16
	v_mul_f32_e32 v15, v20, v18
	v_mul_f32_e32 v16, v19, v18
	v_fma_f32 v15, v19, v17, -v15
	v_fmac_f32_e32 v16, v20, v17
	v_add_f32_e32 v19, v28, v15
	v_add_f32_e32 v10, v10, v16
	ds_read2_b64 v[15:18], v13 offset0:160 offset1:176
	v_add_f32_e32 v24, v24, v30
	s_waitcnt lgkmcnt(0)
	v_mul_f32_e32 v28, v32, v16
	v_fmac_f32_e32 v28, v33, v15
	v_add_f32_e32 v27, v27, v28
	v_mul_f32_e32 v28, v33, v18
	v_fma_f32 v28, v32, v17, -v28
	v_mul_f32_e32 v20, v33, v16
	v_add_f32_e32 v26, v26, v28
	v_mul_f32_e32 v28, v22, v16
	v_mul_f32_e32 v16, v21, v16
	v_fmac_f32_e32 v16, v22, v15
	v_fma_f32 v20, v32, v15, -v20
	v_fma_f32 v28, v21, v15, -v28
	v_add_f32_e32 v25, v25, v16
	v_mul_f32_e32 v15, v22, v18
	v_mul_f32_e32 v16, v21, v18
	v_add_f32_e32 v20, v29, v20
	v_mul_f32_e32 v29, v32, v18
	v_fma_f32 v15, v21, v17, -v15
	v_fmac_f32_e32 v16, v22, v17
	v_fmac_f32_e32 v29, v33, v17
	v_add_f32_e32 v19, v19, v15
	v_add_f32_e32 v10, v10, v16
	ds_read2_b64 v[15:18], v13 offset0:192 offset1:208
	v_add_f32_e32 v24, v24, v28
	v_add_f32_e32 v23, v23, v29
	s_waitcnt lgkmcnt(0)
	v_mul_f32_e32 v21, v3, v16
	v_fma_f32 v21, v2, v15, -v21
	v_add_f32_e32 v28, v20, v21
	v_mul_f32_e32 v20, v3, v18
	v_mul_f32_e32 v22, v2, v16
	v_fma_f32 v20, v2, v17, -v20
	v_mul_f32_e32 v2, v2, v18
	v_fmac_f32_e32 v22, v3, v15
	v_fmac_f32_e32 v2, v3, v17
	v_add_f32_e32 v29, v27, v22
	v_add_f32_e32 v3, v26, v20
	;; [unrolled: 1-line block ×3, first 2 shown]
	ds_read_b128 v[20:23], v14 offset:1072
	s_waitcnt lgkmcnt(0)
	v_mul_f32_e32 v26, v21, v16
	v_mul_f32_e32 v16, v20, v16
	v_fma_f32 v26, v20, v15, -v26
	v_fmac_f32_e32 v16, v21, v15
	v_add_f32_e32 v15, v24, v26
	v_add_f32_e32 v30, v25, v16
	ds_read2_b64 v[24:27], v13 offset0:224 offset1:240
	v_mul_f32_e32 v16, v21, v18
	v_fma_f32 v16, v20, v17, -v16
	v_add_f32_e32 v31, v19, v16
	v_mul_f32_e32 v18, v20, v18
	s_waitcnt lgkmcnt(0)
	v_mul_f32_e32 v16, v5, v25
	v_fma_f32 v16, v4, v24, -v16
	v_add_f32_e32 v20, v28, v16
	v_mul_f32_e32 v16, v5, v27
	v_fmac_f32_e32 v18, v21, v17
	v_mul_f32_e32 v17, v4, v25
	v_fma_f32 v16, v4, v26, -v16
	v_mul_f32_e32 v4, v4, v27
	v_fmac_f32_e32 v4, v5, v26
	v_add_f32_e32 v10, v10, v18
	v_add_f32_e32 v18, v3, v16
	;; [unrolled: 1-line block ×3, first 2 shown]
	v_mul_f32_e32 v2, v23, v25
	v_mul_f32_e32 v3, v22, v25
	v_fmac_f32_e32 v17, v5, v24
	v_fma_f32 v2, v22, v24, -v2
	v_fmac_f32_e32 v3, v23, v24
	v_add_f32_e32 v21, v29, v17
	v_add_f32_e32 v16, v15, v2
	;; [unrolled: 1-line block ×3, first 2 shown]
	v_mul_f32_e32 v2, v23, v27
	v_mul_f32_e32 v3, v22, v27
	v_fma_f32 v2, v22, v26, -v2
	v_fmac_f32_e32 v3, v23, v26
	v_add_f32_e32 v15, v31, v2
	v_add_f32_e32 v10, v10, v3
	s_barrier
	s_cbranch_scc0 .LBB806_2
	s_branch .LBB806_4
.LBB806_3:
	v_mov_b32_e32 v20, 0
	v_mov_b32_e32 v21, 0
	;; [unrolled: 1-line block ×8, first 2 shown]
.LBB806_4:
	s_load_dword s3, s[4:5], 0x50
	v_add_u32_e32 v5, s7, v1
	s_waitcnt lgkmcnt(0)
	v_mov_b32_e32 v3, s11
	v_add_u32_e32 v0, s6, v0
	v_cmp_gt_i32_e32 vcc, s2, v5
	v_mad_i64_i32 v[1:2], s[0:1], v5, s3, 0
	v_lshlrev_b64 v[1:2], 3, v[1:2]
	v_add_co_u32_e64 v4, s[0:1], s10, v1
	v_addc_co_u32_e64 v6, s[0:1], v3, v2, s[0:1]
	v_cmp_le_i32_e64 s[0:1], v0, v5
	s_and_b64 s[0:1], vcc, s[0:1]
	s_and_saveexec_b64 s[4:5], s[0:1]
	s_cbranch_execz .LBB806_7
; %bb.5:
	v_ashrrev_i32_e32 v1, 31, v0
	v_lshlrev_b64 v[1:2], 3, v[0:1]
	v_mul_f32_e32 v3, s17, v21
	v_add_co_u32_e64 v1, s[0:1], v4, v1
	v_addc_co_u32_e64 v2, s[0:1], v6, v2, s[0:1]
	flat_load_dwordx2 v[7:8], v[1:2]
	v_mul_f32_e32 v9, s16, v21
	v_fma_f32 v3, v20, s16, -v3
	v_fmac_f32_e32 v9, s17, v20
	v_cmp_eq_u32_e64 s[0:1], v5, v0
	s_waitcnt vmcnt(0) lgkmcnt(0)
	v_mul_f32_e32 v11, s13, v8
	v_mul_f32_e32 v8, s12, v8
	v_fma_f32 v11, v7, s12, -v11
	v_fmac_f32_e32 v8, s13, v7
	v_add_f32_e32 v7, v3, v11
	v_add_f32_e32 v8, v9, v8
	flat_store_dwordx2 v[1:2], v[7:8]
	s_and_b64 exec, exec, s[0:1]
	s_cbranch_execz .LBB806_7
; %bb.6:
	v_mov_b32_e32 v3, 0
	flat_store_dword v[1:2], v3 offset:4
.LBB806_7:
	s_or_b64 exec, exec, s[4:5]
	v_add_u32_e32 v2, 16, v0
	v_cmp_le_i32_e64 s[0:1], v2, v5
	s_and_b64 s[4:5], vcc, s[0:1]
	s_and_saveexec_b64 s[0:1], s[4:5]
	s_cbranch_execz .LBB806_10
; %bb.8:
	v_ashrrev_i32_e32 v3, 31, v2
	v_lshlrev_b64 v[7:8], 3, v[2:3]
	v_mul_f32_e32 v1, s17, v19
	v_add_co_u32_e32 v3, vcc, v4, v7
	v_addc_co_u32_e32 v4, vcc, v6, v8, vcc
	flat_load_dwordx2 v[6:7], v[3:4]
	v_mul_f32_e32 v8, s16, v19
	v_fma_f32 v1, v18, s16, -v1
	v_fmac_f32_e32 v8, s17, v18
	v_cmp_eq_u32_e32 vcc, v5, v2
	s_waitcnt vmcnt(0) lgkmcnt(0)
	v_mul_f32_e32 v9, s13, v7
	v_mul_f32_e32 v7, s12, v7
	v_fma_f32 v9, v6, s12, -v9
	v_fmac_f32_e32 v7, s13, v6
	v_add_f32_e32 v6, v1, v9
	v_add_f32_e32 v7, v8, v7
	flat_store_dwordx2 v[3:4], v[6:7]
	s_and_b64 exec, exec, vcc
	s_cbranch_execz .LBB806_10
; %bb.9:
	v_mov_b32_e32 v1, 0
	flat_store_dword v[3:4], v1 offset:4
.LBB806_10:
	s_or_b64 exec, exec, s[0:1]
	v_add_u32_e32 v8, 16, v5
	v_mad_i64_i32 v[3:4], s[0:1], v8, s3, 0
	v_mov_b32_e32 v1, s11
	v_cmp_gt_i32_e32 vcc, s2, v8
	v_lshlrev_b64 v[3:4], 3, v[3:4]
	v_add_co_u32_e64 v6, s[0:1], s10, v3
	v_addc_co_u32_e64 v7, s[0:1], v1, v4, s[0:1]
	v_cmp_le_i32_e64 s[0:1], v0, v8
	s_and_b64 s[0:1], vcc, s[0:1]
	s_and_saveexec_b64 s[2:3], s[0:1]
	s_cbranch_execz .LBB806_13
; %bb.11:
	v_ashrrev_i32_e32 v1, 31, v0
	v_lshlrev_b64 v[3:4], 3, v[0:1]
	v_mul_f32_e32 v1, s17, v17
	v_add_co_u32_e64 v3, s[0:1], v6, v3
	v_addc_co_u32_e64 v4, s[0:1], v7, v4, s[0:1]
	flat_load_dwordx2 v[11:12], v[3:4]
	v_mul_f32_e32 v9, s16, v17
	v_fma_f32 v1, v16, s16, -v1
	v_fmac_f32_e32 v9, s17, v16
	v_cmp_eq_u32_e64 s[0:1], v8, v0
	s_waitcnt vmcnt(0) lgkmcnt(0)
	v_mul_f32_e32 v13, s13, v12
	v_mul_f32_e32 v12, s12, v12
	v_fma_f32 v13, v11, s12, -v13
	v_fmac_f32_e32 v12, s13, v11
	v_add_f32_e32 v11, v1, v13
	v_add_f32_e32 v12, v9, v12
	flat_store_dwordx2 v[3:4], v[11:12]
	s_and_b64 exec, exec, s[0:1]
	s_cbranch_execz .LBB806_13
; %bb.12:
	v_mov_b32_e32 v1, 0
	flat_store_dword v[3:4], v1 offset:4
.LBB806_13:
	s_or_b64 exec, exec, s[2:3]
	v_cmp_le_i32_e64 s[0:1], v2, v8
	s_and_b64 s[0:1], vcc, s[0:1]
	s_and_saveexec_b64 s[2:3], s[0:1]
	s_cbranch_execz .LBB806_16
; %bb.14:
	v_ashrrev_i32_e32 v3, 31, v2
	v_lshlrev_b64 v[1:2], 3, v[2:3]
	v_add_co_u32_e32 v1, vcc, v6, v1
	v_addc_co_u32_e32 v2, vcc, v7, v2, vcc
	flat_load_dwordx2 v[3:4], v[1:2]
	v_mul_f32_e32 v6, s17, v10
	v_mul_f32_e32 v7, s16, v10
	v_fma_f32 v6, v15, s16, -v6
	v_fmac_f32_e32 v7, s17, v15
	v_cmp_eq_u32_e32 vcc, v5, v0
	s_waitcnt vmcnt(0) lgkmcnt(0)
	v_mul_f32_e32 v8, s13, v4
	v_mul_f32_e32 v4, s12, v4
	v_fma_f32 v8, v3, s12, -v8
	v_fmac_f32_e32 v4, s13, v3
	v_add_f32_e32 v3, v6, v8
	v_add_f32_e32 v4, v7, v4
	flat_store_dwordx2 v[1:2], v[3:4]
	s_and_b64 exec, exec, vcc
	s_cbranch_execz .LBB806_16
; %bb.15:
	v_mov_b32_e32 v0, 0
	flat_store_dword v[1:2], v0 offset:4
.LBB806_16:
	s_endpgm
	.section	.rodata,"a",@progbits
	.p2align	6, 0x0
	.amdhsa_kernel _ZL37rocblas_syrkx_herkx_restricted_kernelIi19rocblas_complex_numIfELi16ELi32ELi8ELb0ELb1ELc67ELc85EKPKS1_KPS1_EviT_T0_PT8_S7_lSA_S7_lS8_PT9_S7_li
		.amdhsa_group_segment_fixed_size 4096
		.amdhsa_private_segment_fixed_size 0
		.amdhsa_kernarg_size 100
		.amdhsa_user_sgpr_count 6
		.amdhsa_user_sgpr_private_segment_buffer 1
		.amdhsa_user_sgpr_dispatch_ptr 0
		.amdhsa_user_sgpr_queue_ptr 0
		.amdhsa_user_sgpr_kernarg_segment_ptr 1
		.amdhsa_user_sgpr_dispatch_id 0
		.amdhsa_user_sgpr_flat_scratch_init 0
		.amdhsa_user_sgpr_private_segment_size 0
		.amdhsa_uses_dynamic_stack 0
		.amdhsa_system_sgpr_private_segment_wavefront_offset 0
		.amdhsa_system_sgpr_workgroup_id_x 1
		.amdhsa_system_sgpr_workgroup_id_y 1
		.amdhsa_system_sgpr_workgroup_id_z 1
		.amdhsa_system_sgpr_workgroup_info 0
		.amdhsa_system_vgpr_workitem_id 1
		.amdhsa_next_free_vgpr 41
		.amdhsa_next_free_sgpr 21
		.amdhsa_reserve_vcc 1
		.amdhsa_reserve_flat_scratch 0
		.amdhsa_float_round_mode_32 0
		.amdhsa_float_round_mode_16_64 0
		.amdhsa_float_denorm_mode_32 3
		.amdhsa_float_denorm_mode_16_64 3
		.amdhsa_dx10_clamp 1
		.amdhsa_ieee_mode 1
		.amdhsa_fp16_overflow 0
		.amdhsa_exception_fp_ieee_invalid_op 0
		.amdhsa_exception_fp_denorm_src 0
		.amdhsa_exception_fp_ieee_div_zero 0
		.amdhsa_exception_fp_ieee_overflow 0
		.amdhsa_exception_fp_ieee_underflow 0
		.amdhsa_exception_fp_ieee_inexact 0
		.amdhsa_exception_int_div_zero 0
	.end_amdhsa_kernel
	.section	.text._ZL37rocblas_syrkx_herkx_restricted_kernelIi19rocblas_complex_numIfELi16ELi32ELi8ELb0ELb1ELc67ELc85EKPKS1_KPS1_EviT_T0_PT8_S7_lSA_S7_lS8_PT9_S7_li,"axG",@progbits,_ZL37rocblas_syrkx_herkx_restricted_kernelIi19rocblas_complex_numIfELi16ELi32ELi8ELb0ELb1ELc67ELc85EKPKS1_KPS1_EviT_T0_PT8_S7_lSA_S7_lS8_PT9_S7_li,comdat
.Lfunc_end806:
	.size	_ZL37rocblas_syrkx_herkx_restricted_kernelIi19rocblas_complex_numIfELi16ELi32ELi8ELb0ELb1ELc67ELc85EKPKS1_KPS1_EviT_T0_PT8_S7_lSA_S7_lS8_PT9_S7_li, .Lfunc_end806-_ZL37rocblas_syrkx_herkx_restricted_kernelIi19rocblas_complex_numIfELi16ELi32ELi8ELb0ELb1ELc67ELc85EKPKS1_KPS1_EviT_T0_PT8_S7_lSA_S7_lS8_PT9_S7_li
                                        ; -- End function
	.set _ZL37rocblas_syrkx_herkx_restricted_kernelIi19rocblas_complex_numIfELi16ELi32ELi8ELb0ELb1ELc67ELc85EKPKS1_KPS1_EviT_T0_PT8_S7_lSA_S7_lS8_PT9_S7_li.num_vgpr, 41
	.set _ZL37rocblas_syrkx_herkx_restricted_kernelIi19rocblas_complex_numIfELi16ELi32ELi8ELb0ELb1ELc67ELc85EKPKS1_KPS1_EviT_T0_PT8_S7_lSA_S7_lS8_PT9_S7_li.num_agpr, 0
	.set _ZL37rocblas_syrkx_herkx_restricted_kernelIi19rocblas_complex_numIfELi16ELi32ELi8ELb0ELb1ELc67ELc85EKPKS1_KPS1_EviT_T0_PT8_S7_lSA_S7_lS8_PT9_S7_li.numbered_sgpr, 21
	.set _ZL37rocblas_syrkx_herkx_restricted_kernelIi19rocblas_complex_numIfELi16ELi32ELi8ELb0ELb1ELc67ELc85EKPKS1_KPS1_EviT_T0_PT8_S7_lSA_S7_lS8_PT9_S7_li.num_named_barrier, 0
	.set _ZL37rocblas_syrkx_herkx_restricted_kernelIi19rocblas_complex_numIfELi16ELi32ELi8ELb0ELb1ELc67ELc85EKPKS1_KPS1_EviT_T0_PT8_S7_lSA_S7_lS8_PT9_S7_li.private_seg_size, 0
	.set _ZL37rocblas_syrkx_herkx_restricted_kernelIi19rocblas_complex_numIfELi16ELi32ELi8ELb0ELb1ELc67ELc85EKPKS1_KPS1_EviT_T0_PT8_S7_lSA_S7_lS8_PT9_S7_li.uses_vcc, 1
	.set _ZL37rocblas_syrkx_herkx_restricted_kernelIi19rocblas_complex_numIfELi16ELi32ELi8ELb0ELb1ELc67ELc85EKPKS1_KPS1_EviT_T0_PT8_S7_lSA_S7_lS8_PT9_S7_li.uses_flat_scratch, 0
	.set _ZL37rocblas_syrkx_herkx_restricted_kernelIi19rocblas_complex_numIfELi16ELi32ELi8ELb0ELb1ELc67ELc85EKPKS1_KPS1_EviT_T0_PT8_S7_lSA_S7_lS8_PT9_S7_li.has_dyn_sized_stack, 0
	.set _ZL37rocblas_syrkx_herkx_restricted_kernelIi19rocblas_complex_numIfELi16ELi32ELi8ELb0ELb1ELc67ELc85EKPKS1_KPS1_EviT_T0_PT8_S7_lSA_S7_lS8_PT9_S7_li.has_recursion, 0
	.set _ZL37rocblas_syrkx_herkx_restricted_kernelIi19rocblas_complex_numIfELi16ELi32ELi8ELb0ELb1ELc67ELc85EKPKS1_KPS1_EviT_T0_PT8_S7_lSA_S7_lS8_PT9_S7_li.has_indirect_call, 0
	.section	.AMDGPU.csdata,"",@progbits
; Kernel info:
; codeLenInByte = 2180
; TotalNumSgprs: 25
; NumVgprs: 41
; ScratchSize: 0
; MemoryBound: 0
; FloatMode: 240
; IeeeMode: 1
; LDSByteSize: 4096 bytes/workgroup (compile time only)
; SGPRBlocks: 3
; VGPRBlocks: 10
; NumSGPRsForWavesPerEU: 25
; NumVGPRsForWavesPerEU: 41
; Occupancy: 5
; WaveLimiterHint : 1
; COMPUTE_PGM_RSRC2:SCRATCH_EN: 0
; COMPUTE_PGM_RSRC2:USER_SGPR: 6
; COMPUTE_PGM_RSRC2:TRAP_HANDLER: 0
; COMPUTE_PGM_RSRC2:TGID_X_EN: 1
; COMPUTE_PGM_RSRC2:TGID_Y_EN: 1
; COMPUTE_PGM_RSRC2:TGID_Z_EN: 1
; COMPUTE_PGM_RSRC2:TIDIG_COMP_CNT: 1
	.section	.text._ZL37rocblas_syrkx_herkx_restricted_kernelIi19rocblas_complex_numIfELi16ELi32ELi8ELb0ELb1ELc78ELc85EKPKS1_KPS1_EviT_T0_PT8_S7_lSA_S7_lS8_PT9_S7_li,"axG",@progbits,_ZL37rocblas_syrkx_herkx_restricted_kernelIi19rocblas_complex_numIfELi16ELi32ELi8ELb0ELb1ELc78ELc85EKPKS1_KPS1_EviT_T0_PT8_S7_lSA_S7_lS8_PT9_S7_li,comdat
	.globl	_ZL37rocblas_syrkx_herkx_restricted_kernelIi19rocblas_complex_numIfELi16ELi32ELi8ELb0ELb1ELc78ELc85EKPKS1_KPS1_EviT_T0_PT8_S7_lSA_S7_lS8_PT9_S7_li ; -- Begin function _ZL37rocblas_syrkx_herkx_restricted_kernelIi19rocblas_complex_numIfELi16ELi32ELi8ELb0ELb1ELc78ELc85EKPKS1_KPS1_EviT_T0_PT8_S7_lSA_S7_lS8_PT9_S7_li
	.p2align	8
	.type	_ZL37rocblas_syrkx_herkx_restricted_kernelIi19rocblas_complex_numIfELi16ELi32ELi8ELb0ELb1ELc78ELc85EKPKS1_KPS1_EviT_T0_PT8_S7_lSA_S7_lS8_PT9_S7_li,@function
_ZL37rocblas_syrkx_herkx_restricted_kernelIi19rocblas_complex_numIfELi16ELi32ELi8ELb0ELb1ELc78ELc85EKPKS1_KPS1_EviT_T0_PT8_S7_lSA_S7_lS8_PT9_S7_li: ; @_ZL37rocblas_syrkx_herkx_restricted_kernelIi19rocblas_complex_numIfELi16ELi32ELi8ELb0ELb1ELc78ELc85EKPKS1_KPS1_EviT_T0_PT8_S7_lSA_S7_lS8_PT9_S7_li
; %bb.0:
	s_load_dwordx4 s[12:15], s[4:5], 0x40
	s_load_dwordx2 s[2:3], s[4:5], 0x0
	s_load_dwordx4 s[16:19], s[4:5], 0x8
	s_mov_b32 s9, 0
	s_lshl_b64 s[0:1], s[8:9], 3
	s_waitcnt lgkmcnt(0)
	s_add_u32 s10, s14, s0
	s_addc_u32 s11, s15, s1
	s_load_dwordx2 s[10:11], s[10:11], 0x0
	s_lshl_b32 s8, s6, 5
	s_lshl_b32 s14, s7, 5
	s_cmp_lt_i32 s3, 1
	s_cbranch_scc1 .LBB807_3
; %bb.1:
	s_load_dword s6, s[4:5], 0x18
	s_load_dword s20, s[4:5], 0x30
	s_load_dwordx2 s[22:23], s[4:5], 0x28
	v_lshl_add_u32 v2, v1, 4, v0
	v_lshrrev_b32_e32 v4, 3, v2
	s_waitcnt lgkmcnt(0)
	s_ashr_i32 s7, s6, 31
	s_ashr_i32 s21, s20, 31
	s_add_u32 s18, s18, s0
	s_addc_u32 s19, s19, s1
	s_add_u32 s0, s22, s0
	v_lshrrev_b32_e32 v6, 5, v2
	v_and_b32_e32 v7, 31, v2
	v_add_u32_e32 v2, s14, v4
	s_addc_u32 s1, s23, s1
	v_and_b32_e32 v5, 7, v0
	v_ashrrev_i32_e32 v3, 31, v2
	s_load_dwordx2 s[22:23], s[0:1], 0x0
	v_mad_i64_i32 v[2:3], s[0:1], s20, v5, v[2:3]
	v_lshlrev_b32_e32 v5, 3, v5
	v_lshl_or_b32 v4, v4, 6, v5
	v_add_u32_e32 v11, 0x800, v4
	v_add_u32_e32 v4, s8, v7
	v_ashrrev_i32_e32 v5, 31, v4
	v_mad_i64_i32 v[4:5], s[0:1], s6, v6, v[4:5]
	s_load_dwordx2 s[18:19], s[18:19], 0x0
	v_lshlrev_b32_e32 v8, 3, v7
	v_lshlrev_b64 v[4:5], 3, v[4:5]
	v_lshl_or_b32 v10, v6, 8, v8
	v_mov_b32_e32 v6, 0x800
	v_lshl_add_u32 v13, v1, 6, v6
	s_waitcnt lgkmcnt(0)
	v_mov_b32_e32 v7, s19
	v_add_co_u32_e32 v6, vcc, s18, v4
	v_lshlrev_b64 v[2:3], 3, v[2:3]
	v_addc_co_u32_e32 v7, vcc, v7, v5, vcc
	s_lshl_b64 s[0:1], s[6:7], 6
	v_mov_b32_e32 v4, s23
	v_add_co_u32_e32 v8, vcc, s22, v2
	s_lshl_b64 s[6:7], s[20:21], 6
	v_lshlrev_b32_e32 v12, 3, v0
	v_addc_co_u32_e32 v9, vcc, v4, v3, vcc
	v_mov_b32_e32 v16, 0
	v_mov_b32_e32 v14, s1
	;; [unrolled: 1-line block ×10, first 2 shown]
.LBB807_2:                              ; =>This Inner Loop Header: Depth=1
	flat_load_dwordx2 v[2:3], v[6:7]
	v_add_co_u32_e32 v6, vcc, s0, v6
	v_addc_co_u32_e32 v7, vcc, v7, v14, vcc
	s_add_i32 s9, s9, 8
	s_cmp_ge_i32 s9, s3
	s_waitcnt vmcnt(0) lgkmcnt(0)
	ds_write_b64 v10, v[2:3]
	flat_load_dwordx2 v[2:3], v[8:9]
	v_add_co_u32_e32 v8, vcc, s6, v8
	v_addc_co_u32_e32 v9, vcc, v9, v15, vcc
	s_waitcnt vmcnt(0) lgkmcnt(0)
	v_xor_b32_e32 v3, 0x80000000, v3
	ds_write_b64 v11, v[2:3]
	s_waitcnt lgkmcnt(0)
	s_barrier
	ds_read_b128 v[24:27], v13
	ds_read_b128 v[28:31], v13 offset:16
	ds_read_b128 v[32:35], v13 offset:32
	;; [unrolled: 1-line block ×3, first 2 shown]
	ds_read2_b64 v[36:39], v12 offset1:16
	s_waitcnt lgkmcnt(0)
	v_mul_f32_e32 v40, v25, v37
	v_mul_f32_e32 v41, v24, v37
	v_fma_f32 v40, v24, v36, -v40
	v_fmac_f32_e32 v41, v25, v36
	v_add_f32_e32 v40, v22, v40
	v_add_f32_e32 v41, v23, v41
	v_mul_f32_e32 v22, v25, v39
	v_mul_f32_e32 v23, v24, v39
	v_fma_f32 v22, v24, v38, -v22
	v_fmac_f32_e32 v23, v25, v38
	v_add_f32_e32 v24, v20, v22
	v_add_f32_e32 v25, v21, v23
	ds_read_b128 v[20:23], v13 offset:1024
	s_waitcnt lgkmcnt(0)
	v_mul_f32_e32 v42, v21, v37
	v_mul_f32_e32 v37, v20, v37
	v_fma_f32 v42, v20, v36, -v42
	v_fmac_f32_e32 v37, v21, v36
	v_add_f32_e32 v36, v18, v42
	v_add_f32_e32 v37, v19, v37
	v_mul_f32_e32 v18, v21, v39
	v_mul_f32_e32 v19, v20, v39
	v_fma_f32 v18, v20, v38, -v18
	v_fmac_f32_e32 v19, v21, v38
	v_add_f32_e32 v20, v17, v18
	v_add_f32_e32 v21, v16, v19
	ds_read2_b64 v[16:19], v12 offset0:32 offset1:48
	s_waitcnt lgkmcnt(0)
	v_mul_f32_e32 v38, v27, v17
	v_fma_f32 v38, v26, v16, -v38
	v_add_f32_e32 v38, v40, v38
	v_mul_f32_e32 v40, v27, v19
	v_mul_f32_e32 v39, v26, v17
	v_fma_f32 v40, v26, v18, -v40
	v_mul_f32_e32 v26, v26, v19
	v_fmac_f32_e32 v26, v27, v18
	v_add_f32_e32 v25, v25, v26
	v_mul_f32_e32 v26, v23, v17
	v_mul_f32_e32 v17, v22, v17
	v_fmac_f32_e32 v17, v23, v16
	v_fmac_f32_e32 v39, v27, v16
	v_fma_f32 v26, v22, v16, -v26
	v_add_f32_e32 v27, v37, v17
	v_mul_f32_e32 v16, v23, v19
	v_mul_f32_e32 v17, v22, v19
	v_fma_f32 v16, v22, v18, -v16
	v_fmac_f32_e32 v17, v23, v18
	v_add_f32_e32 v26, v36, v26
	v_add_f32_e32 v36, v20, v16
	;; [unrolled: 1-line block ×3, first 2 shown]
	ds_read2_b64 v[16:19], v12 offset0:64 offset1:80
	v_add_f32_e32 v39, v41, v39
	v_add_f32_e32 v24, v24, v40
	s_waitcnt lgkmcnt(0)
	v_mul_f32_e32 v20, v29, v17
	v_mul_f32_e32 v21, v28, v17
	v_fma_f32 v20, v28, v16, -v20
	v_fmac_f32_e32 v21, v29, v16
	v_add_f32_e32 v38, v38, v20
	v_add_f32_e32 v39, v39, v21
	v_mul_f32_e32 v20, v29, v19
	v_mul_f32_e32 v21, v28, v19
	v_fma_f32 v20, v28, v18, -v20
	v_fmac_f32_e32 v21, v29, v18
	v_add_f32_e32 v24, v24, v20
	v_add_f32_e32 v25, v25, v21
	ds_read_b128 v[20:23], v13 offset:1040
	s_waitcnt lgkmcnt(0)
	v_mul_f32_e32 v28, v21, v17
	v_mul_f32_e32 v17, v20, v17
	v_fmac_f32_e32 v17, v21, v16
	v_fma_f32 v28, v20, v16, -v28
	v_add_f32_e32 v27, v27, v17
	v_mul_f32_e32 v16, v21, v19
	v_mul_f32_e32 v17, v20, v19
	v_fma_f32 v16, v20, v18, -v16
	v_fmac_f32_e32 v17, v21, v18
	v_add_f32_e32 v20, v36, v16
	v_add_f32_e32 v21, v37, v17
	ds_read2_b64 v[16:19], v12 offset0:96 offset1:112
	v_add_f32_e32 v26, v26, v28
	s_waitcnt lgkmcnt(0)
	v_mul_f32_e32 v28, v31, v17
	v_mul_f32_e32 v36, v31, v19
	v_fma_f32 v28, v30, v16, -v28
	v_mul_f32_e32 v29, v30, v17
	v_fma_f32 v36, v30, v18, -v36
	v_mul_f32_e32 v30, v30, v19
	v_fmac_f32_e32 v30, v31, v18
	v_add_f32_e32 v25, v25, v30
	v_mul_f32_e32 v30, v23, v17
	v_mul_f32_e32 v17, v22, v17
	v_fmac_f32_e32 v17, v23, v16
	v_fmac_f32_e32 v29, v31, v16
	v_fma_f32 v30, v22, v16, -v30
	v_add_f32_e32 v27, v27, v17
	v_mul_f32_e32 v16, v23, v19
	v_mul_f32_e32 v17, v22, v19
	v_fma_f32 v16, v22, v18, -v16
	v_fmac_f32_e32 v17, v23, v18
	v_add_f32_e32 v26, v26, v30
	v_add_f32_e32 v30, v20, v16
	;; [unrolled: 1-line block ×3, first 2 shown]
	ds_read2_b64 v[16:19], v12 offset0:128 offset1:144
	v_add_f32_e32 v28, v38, v28
	v_add_f32_e32 v29, v39, v29
	;; [unrolled: 1-line block ×3, first 2 shown]
	s_waitcnt lgkmcnt(0)
	v_mul_f32_e32 v20, v33, v17
	v_mul_f32_e32 v21, v32, v17
	v_fma_f32 v20, v32, v16, -v20
	v_fmac_f32_e32 v21, v33, v16
	v_add_f32_e32 v28, v28, v20
	v_add_f32_e32 v29, v29, v21
	v_mul_f32_e32 v20, v33, v19
	v_mul_f32_e32 v21, v32, v19
	v_fma_f32 v20, v32, v18, -v20
	v_fmac_f32_e32 v21, v33, v18
	v_add_f32_e32 v24, v24, v20
	v_add_f32_e32 v25, v25, v21
	ds_read_b128 v[20:23], v13 offset:1056
	s_waitcnt lgkmcnt(0)
	v_mul_f32_e32 v32, v21, v17
	v_mul_f32_e32 v17, v20, v17
	v_fmac_f32_e32 v17, v21, v16
	v_fma_f32 v32, v20, v16, -v32
	v_add_f32_e32 v27, v27, v17
	v_mul_f32_e32 v16, v21, v19
	v_mul_f32_e32 v17, v20, v19
	v_fma_f32 v16, v20, v18, -v16
	v_fmac_f32_e32 v17, v21, v18
	v_add_f32_e32 v20, v30, v16
	v_add_f32_e32 v21, v31, v17
	ds_read2_b64 v[16:19], v12 offset0:160 offset1:176
	v_add_f32_e32 v26, v26, v32
	s_waitcnt lgkmcnt(0)
	v_mul_f32_e32 v30, v35, v17
	v_fma_f32 v30, v34, v16, -v30
	v_add_f32_e32 v28, v28, v30
	v_mul_f32_e32 v30, v35, v19
	v_fma_f32 v30, v34, v18, -v30
	v_mul_f32_e32 v31, v34, v17
	v_add_f32_e32 v24, v24, v30
	v_mul_f32_e32 v30, v23, v17
	v_mul_f32_e32 v17, v22, v17
	v_fmac_f32_e32 v17, v23, v16
	v_fmac_f32_e32 v31, v35, v16
	v_fma_f32 v30, v22, v16, -v30
	v_add_f32_e32 v27, v27, v17
	v_mul_f32_e32 v16, v23, v19
	v_mul_f32_e32 v17, v22, v19
	v_add_f32_e32 v29, v29, v31
	v_mul_f32_e32 v31, v34, v19
	v_fma_f32 v16, v22, v18, -v16
	v_fmac_f32_e32 v17, v23, v18
	v_fmac_f32_e32 v31, v35, v18
	v_add_f32_e32 v20, v20, v16
	v_add_f32_e32 v21, v21, v17
	ds_read2_b64 v[16:19], v12 offset0:192 offset1:208
	v_add_f32_e32 v26, v26, v30
	v_add_f32_e32 v25, v25, v31
	s_waitcnt lgkmcnt(0)
	v_mul_f32_e32 v22, v3, v17
	v_fma_f32 v22, v2, v16, -v22
	v_add_f32_e32 v30, v28, v22
	v_mul_f32_e32 v22, v3, v19
	v_mul_f32_e32 v23, v2, v17
	v_fma_f32 v22, v2, v18, -v22
	v_mul_f32_e32 v2, v2, v19
	v_fmac_f32_e32 v23, v3, v16
	v_fmac_f32_e32 v2, v3, v18
	v_add_f32_e32 v31, v29, v23
	v_add_f32_e32 v3, v24, v22
	;; [unrolled: 1-line block ×3, first 2 shown]
	ds_read_b128 v[22:25], v13 offset:1072
	s_waitcnt lgkmcnt(0)
	v_mul_f32_e32 v28, v23, v17
	v_fma_f32 v28, v22, v16, -v28
	v_mul_f32_e32 v17, v22, v17
	v_fmac_f32_e32 v17, v23, v16
	v_add_f32_e32 v16, v26, v28
	v_mul_f32_e32 v26, v23, v19
	v_fma_f32 v26, v22, v18, -v26
	v_add_f32_e32 v17, v27, v17
	v_add_f32_e32 v32, v20, v26
	ds_read2_b64 v[26:29], v12 offset0:224 offset1:240
	v_mul_f32_e32 v19, v22, v19
	v_fmac_f32_e32 v19, v23, v18
	v_add_f32_e32 v33, v21, v19
	s_waitcnt lgkmcnt(0)
	v_mul_f32_e32 v18, v5, v27
	v_fma_f32 v18, v4, v26, -v18
	v_add_f32_e32 v22, v30, v18
	v_mul_f32_e32 v18, v5, v29
	v_mul_f32_e32 v19, v4, v27
	v_fma_f32 v18, v4, v28, -v18
	v_mul_f32_e32 v4, v4, v29
	v_fmac_f32_e32 v4, v5, v28
	v_add_f32_e32 v20, v3, v18
	v_add_f32_e32 v21, v2, v4
	v_mul_f32_e32 v2, v25, v27
	v_mul_f32_e32 v3, v24, v27
	v_fmac_f32_e32 v19, v5, v26
	v_fma_f32 v2, v24, v26, -v2
	v_fmac_f32_e32 v3, v25, v26
	v_add_f32_e32 v23, v31, v19
	v_add_f32_e32 v18, v16, v2
	;; [unrolled: 1-line block ×3, first 2 shown]
	v_mul_f32_e32 v2, v25, v29
	v_mul_f32_e32 v3, v24, v29
	v_fma_f32 v2, v24, v28, -v2
	v_fmac_f32_e32 v3, v25, v28
	v_add_f32_e32 v17, v32, v2
	v_add_f32_e32 v16, v33, v3
	s_barrier
	s_cbranch_scc0 .LBB807_2
	s_branch .LBB807_4
.LBB807_3:
	v_mov_b32_e32 v22, 0
	v_mov_b32_e32 v23, 0
	;; [unrolled: 1-line block ×8, first 2 shown]
.LBB807_4:
	s_load_dword s3, s[4:5], 0x50
	v_add_u32_e32 v5, s14, v1
	s_waitcnt lgkmcnt(0)
	v_mov_b32_e32 v3, s11
	v_add_u32_e32 v0, s8, v0
	v_cmp_gt_i32_e32 vcc, s2, v5
	v_mad_i64_i32 v[1:2], s[0:1], v5, s3, 0
	v_lshlrev_b64 v[1:2], 3, v[1:2]
	v_add_co_u32_e64 v4, s[0:1], s10, v1
	v_addc_co_u32_e64 v6, s[0:1], v3, v2, s[0:1]
	v_cmp_le_i32_e64 s[0:1], v0, v5
	s_and_b64 s[0:1], vcc, s[0:1]
	s_and_saveexec_b64 s[4:5], s[0:1]
	s_cbranch_execz .LBB807_7
; %bb.5:
	v_ashrrev_i32_e32 v1, 31, v0
	v_lshlrev_b64 v[1:2], 3, v[0:1]
	v_mul_f32_e32 v3, s17, v23
	v_add_co_u32_e64 v1, s[0:1], v4, v1
	v_addc_co_u32_e64 v2, s[0:1], v6, v2, s[0:1]
	flat_load_dwordx2 v[7:8], v[1:2]
	v_mul_f32_e32 v9, s16, v23
	v_fma_f32 v3, v22, s16, -v3
	v_fmac_f32_e32 v9, s17, v22
	v_cmp_eq_u32_e64 s[0:1], v5, v0
	s_waitcnt vmcnt(0) lgkmcnt(0)
	v_mul_f32_e32 v10, s13, v8
	v_mul_f32_e32 v8, s12, v8
	v_fma_f32 v10, v7, s12, -v10
	v_fmac_f32_e32 v8, s13, v7
	v_add_f32_e32 v7, v3, v10
	v_add_f32_e32 v8, v9, v8
	flat_store_dwordx2 v[1:2], v[7:8]
	s_and_b64 exec, exec, s[0:1]
	s_cbranch_execz .LBB807_7
; %bb.6:
	v_mov_b32_e32 v3, 0
	flat_store_dword v[1:2], v3 offset:4
.LBB807_7:
	s_or_b64 exec, exec, s[4:5]
	v_add_u32_e32 v2, 16, v0
	v_cmp_le_i32_e64 s[0:1], v2, v5
	s_and_b64 s[4:5], vcc, s[0:1]
	s_and_saveexec_b64 s[0:1], s[4:5]
	s_cbranch_execz .LBB807_10
; %bb.8:
	v_ashrrev_i32_e32 v3, 31, v2
	v_lshlrev_b64 v[7:8], 3, v[2:3]
	v_mul_f32_e32 v1, s17, v21
	v_add_co_u32_e32 v3, vcc, v4, v7
	v_addc_co_u32_e32 v4, vcc, v6, v8, vcc
	flat_load_dwordx2 v[6:7], v[3:4]
	v_mul_f32_e32 v8, s16, v21
	v_fma_f32 v1, v20, s16, -v1
	v_fmac_f32_e32 v8, s17, v20
	v_cmp_eq_u32_e32 vcc, v5, v2
	s_waitcnt vmcnt(0) lgkmcnt(0)
	v_mul_f32_e32 v9, s13, v7
	v_mul_f32_e32 v7, s12, v7
	v_fma_f32 v9, v6, s12, -v9
	v_fmac_f32_e32 v7, s13, v6
	v_add_f32_e32 v6, v1, v9
	v_add_f32_e32 v7, v8, v7
	flat_store_dwordx2 v[3:4], v[6:7]
	s_and_b64 exec, exec, vcc
	s_cbranch_execz .LBB807_10
; %bb.9:
	v_mov_b32_e32 v1, 0
	flat_store_dword v[3:4], v1 offset:4
.LBB807_10:
	s_or_b64 exec, exec, s[0:1]
	v_add_u32_e32 v8, 16, v5
	v_mad_i64_i32 v[3:4], s[0:1], v8, s3, 0
	v_mov_b32_e32 v1, s11
	v_cmp_gt_i32_e32 vcc, s2, v8
	v_lshlrev_b64 v[3:4], 3, v[3:4]
	v_add_co_u32_e64 v6, s[0:1], s10, v3
	v_addc_co_u32_e64 v7, s[0:1], v1, v4, s[0:1]
	v_cmp_le_i32_e64 s[0:1], v0, v8
	s_and_b64 s[0:1], vcc, s[0:1]
	s_and_saveexec_b64 s[2:3], s[0:1]
	s_cbranch_execz .LBB807_13
; %bb.11:
	v_ashrrev_i32_e32 v1, 31, v0
	v_lshlrev_b64 v[3:4], 3, v[0:1]
	v_mul_f32_e32 v1, s17, v19
	v_add_co_u32_e64 v3, s[0:1], v6, v3
	v_addc_co_u32_e64 v4, s[0:1], v7, v4, s[0:1]
	flat_load_dwordx2 v[9:10], v[3:4]
	v_mul_f32_e32 v11, s16, v19
	v_fma_f32 v1, v18, s16, -v1
	v_fmac_f32_e32 v11, s17, v18
	v_cmp_eq_u32_e64 s[0:1], v8, v0
	s_waitcnt vmcnt(0) lgkmcnt(0)
	v_mul_f32_e32 v12, s13, v10
	v_mul_f32_e32 v10, s12, v10
	v_fma_f32 v12, v9, s12, -v12
	v_fmac_f32_e32 v10, s13, v9
	v_add_f32_e32 v9, v1, v12
	v_add_f32_e32 v10, v11, v10
	flat_store_dwordx2 v[3:4], v[9:10]
	s_and_b64 exec, exec, s[0:1]
	s_cbranch_execz .LBB807_13
; %bb.12:
	v_mov_b32_e32 v1, 0
	flat_store_dword v[3:4], v1 offset:4
.LBB807_13:
	s_or_b64 exec, exec, s[2:3]
	v_cmp_le_i32_e64 s[0:1], v2, v8
	s_and_b64 s[0:1], vcc, s[0:1]
	s_and_saveexec_b64 s[2:3], s[0:1]
	s_cbranch_execz .LBB807_16
; %bb.14:
	v_ashrrev_i32_e32 v3, 31, v2
	v_lshlrev_b64 v[1:2], 3, v[2:3]
	v_add_co_u32_e32 v1, vcc, v6, v1
	v_addc_co_u32_e32 v2, vcc, v7, v2, vcc
	flat_load_dwordx2 v[3:4], v[1:2]
	v_mul_f32_e32 v6, s17, v16
	v_mul_f32_e32 v7, s16, v16
	v_fma_f32 v6, v17, s16, -v6
	v_fmac_f32_e32 v7, s17, v17
	v_cmp_eq_u32_e32 vcc, v5, v0
	s_waitcnt vmcnt(0) lgkmcnt(0)
	v_mul_f32_e32 v8, s13, v4
	v_mul_f32_e32 v4, s12, v4
	v_fma_f32 v8, v3, s12, -v8
	v_fmac_f32_e32 v4, s13, v3
	v_add_f32_e32 v3, v6, v8
	v_add_f32_e32 v4, v7, v4
	flat_store_dwordx2 v[1:2], v[3:4]
	s_and_b64 exec, exec, vcc
	s_cbranch_execz .LBB807_16
; %bb.15:
	v_mov_b32_e32 v0, 0
	flat_store_dword v[1:2], v0 offset:4
.LBB807_16:
	s_endpgm
	.section	.rodata,"a",@progbits
	.p2align	6, 0x0
	.amdhsa_kernel _ZL37rocblas_syrkx_herkx_restricted_kernelIi19rocblas_complex_numIfELi16ELi32ELi8ELb0ELb1ELc78ELc85EKPKS1_KPS1_EviT_T0_PT8_S7_lSA_S7_lS8_PT9_S7_li
		.amdhsa_group_segment_fixed_size 4096
		.amdhsa_private_segment_fixed_size 0
		.amdhsa_kernarg_size 100
		.amdhsa_user_sgpr_count 6
		.amdhsa_user_sgpr_private_segment_buffer 1
		.amdhsa_user_sgpr_dispatch_ptr 0
		.amdhsa_user_sgpr_queue_ptr 0
		.amdhsa_user_sgpr_kernarg_segment_ptr 1
		.amdhsa_user_sgpr_dispatch_id 0
		.amdhsa_user_sgpr_flat_scratch_init 0
		.amdhsa_user_sgpr_private_segment_size 0
		.amdhsa_uses_dynamic_stack 0
		.amdhsa_system_sgpr_private_segment_wavefront_offset 0
		.amdhsa_system_sgpr_workgroup_id_x 1
		.amdhsa_system_sgpr_workgroup_id_y 1
		.amdhsa_system_sgpr_workgroup_id_z 1
		.amdhsa_system_sgpr_workgroup_info 0
		.amdhsa_system_vgpr_workitem_id 1
		.amdhsa_next_free_vgpr 43
		.amdhsa_next_free_sgpr 24
		.amdhsa_reserve_vcc 1
		.amdhsa_reserve_flat_scratch 0
		.amdhsa_float_round_mode_32 0
		.amdhsa_float_round_mode_16_64 0
		.amdhsa_float_denorm_mode_32 3
		.amdhsa_float_denorm_mode_16_64 3
		.amdhsa_dx10_clamp 1
		.amdhsa_ieee_mode 1
		.amdhsa_fp16_overflow 0
		.amdhsa_exception_fp_ieee_invalid_op 0
		.amdhsa_exception_fp_denorm_src 0
		.amdhsa_exception_fp_ieee_div_zero 0
		.amdhsa_exception_fp_ieee_overflow 0
		.amdhsa_exception_fp_ieee_underflow 0
		.amdhsa_exception_fp_ieee_inexact 0
		.amdhsa_exception_int_div_zero 0
	.end_amdhsa_kernel
	.section	.text._ZL37rocblas_syrkx_herkx_restricted_kernelIi19rocblas_complex_numIfELi16ELi32ELi8ELb0ELb1ELc78ELc85EKPKS1_KPS1_EviT_T0_PT8_S7_lSA_S7_lS8_PT9_S7_li,"axG",@progbits,_ZL37rocblas_syrkx_herkx_restricted_kernelIi19rocblas_complex_numIfELi16ELi32ELi8ELb0ELb1ELc78ELc85EKPKS1_KPS1_EviT_T0_PT8_S7_lSA_S7_lS8_PT9_S7_li,comdat
.Lfunc_end807:
	.size	_ZL37rocblas_syrkx_herkx_restricted_kernelIi19rocblas_complex_numIfELi16ELi32ELi8ELb0ELb1ELc78ELc85EKPKS1_KPS1_EviT_T0_PT8_S7_lSA_S7_lS8_PT9_S7_li, .Lfunc_end807-_ZL37rocblas_syrkx_herkx_restricted_kernelIi19rocblas_complex_numIfELi16ELi32ELi8ELb0ELb1ELc78ELc85EKPKS1_KPS1_EviT_T0_PT8_S7_lSA_S7_lS8_PT9_S7_li
                                        ; -- End function
	.set _ZL37rocblas_syrkx_herkx_restricted_kernelIi19rocblas_complex_numIfELi16ELi32ELi8ELb0ELb1ELc78ELc85EKPKS1_KPS1_EviT_T0_PT8_S7_lSA_S7_lS8_PT9_S7_li.num_vgpr, 43
	.set _ZL37rocblas_syrkx_herkx_restricted_kernelIi19rocblas_complex_numIfELi16ELi32ELi8ELb0ELb1ELc78ELc85EKPKS1_KPS1_EviT_T0_PT8_S7_lSA_S7_lS8_PT9_S7_li.num_agpr, 0
	.set _ZL37rocblas_syrkx_herkx_restricted_kernelIi19rocblas_complex_numIfELi16ELi32ELi8ELb0ELb1ELc78ELc85EKPKS1_KPS1_EviT_T0_PT8_S7_lSA_S7_lS8_PT9_S7_li.numbered_sgpr, 24
	.set _ZL37rocblas_syrkx_herkx_restricted_kernelIi19rocblas_complex_numIfELi16ELi32ELi8ELb0ELb1ELc78ELc85EKPKS1_KPS1_EviT_T0_PT8_S7_lSA_S7_lS8_PT9_S7_li.num_named_barrier, 0
	.set _ZL37rocblas_syrkx_herkx_restricted_kernelIi19rocblas_complex_numIfELi16ELi32ELi8ELb0ELb1ELc78ELc85EKPKS1_KPS1_EviT_T0_PT8_S7_lSA_S7_lS8_PT9_S7_li.private_seg_size, 0
	.set _ZL37rocblas_syrkx_herkx_restricted_kernelIi19rocblas_complex_numIfELi16ELi32ELi8ELb0ELb1ELc78ELc85EKPKS1_KPS1_EviT_T0_PT8_S7_lSA_S7_lS8_PT9_S7_li.uses_vcc, 1
	.set _ZL37rocblas_syrkx_herkx_restricted_kernelIi19rocblas_complex_numIfELi16ELi32ELi8ELb0ELb1ELc78ELc85EKPKS1_KPS1_EviT_T0_PT8_S7_lSA_S7_lS8_PT9_S7_li.uses_flat_scratch, 0
	.set _ZL37rocblas_syrkx_herkx_restricted_kernelIi19rocblas_complex_numIfELi16ELi32ELi8ELb0ELb1ELc78ELc85EKPKS1_KPS1_EviT_T0_PT8_S7_lSA_S7_lS8_PT9_S7_li.has_dyn_sized_stack, 0
	.set _ZL37rocblas_syrkx_herkx_restricted_kernelIi19rocblas_complex_numIfELi16ELi32ELi8ELb0ELb1ELc78ELc85EKPKS1_KPS1_EviT_T0_PT8_S7_lSA_S7_lS8_PT9_S7_li.has_recursion, 0
	.set _ZL37rocblas_syrkx_herkx_restricted_kernelIi19rocblas_complex_numIfELi16ELi32ELi8ELb0ELb1ELc78ELc85EKPKS1_KPS1_EviT_T0_PT8_S7_lSA_S7_lS8_PT9_S7_li.has_indirect_call, 0
	.section	.AMDGPU.csdata,"",@progbits
; Kernel info:
; codeLenInByte = 2208
; TotalNumSgprs: 28
; NumVgprs: 43
; ScratchSize: 0
; MemoryBound: 0
; FloatMode: 240
; IeeeMode: 1
; LDSByteSize: 4096 bytes/workgroup (compile time only)
; SGPRBlocks: 3
; VGPRBlocks: 10
; NumSGPRsForWavesPerEU: 28
; NumVGPRsForWavesPerEU: 43
; Occupancy: 5
; WaveLimiterHint : 1
; COMPUTE_PGM_RSRC2:SCRATCH_EN: 0
; COMPUTE_PGM_RSRC2:USER_SGPR: 6
; COMPUTE_PGM_RSRC2:TRAP_HANDLER: 0
; COMPUTE_PGM_RSRC2:TGID_X_EN: 1
; COMPUTE_PGM_RSRC2:TGID_Y_EN: 1
; COMPUTE_PGM_RSRC2:TGID_Z_EN: 1
; COMPUTE_PGM_RSRC2:TIDIG_COMP_CNT: 1
	.section	.text._ZL41rocblas_syrkx_herkx_small_restrict_kernelIi19rocblas_complex_numIfELi16ELb1ELb1ELc84ELc76EKPKS1_KPS1_EviT_T0_PT6_S7_lSA_S7_lS8_PT7_S7_li,"axG",@progbits,_ZL41rocblas_syrkx_herkx_small_restrict_kernelIi19rocblas_complex_numIfELi16ELb1ELb1ELc84ELc76EKPKS1_KPS1_EviT_T0_PT6_S7_lSA_S7_lS8_PT7_S7_li,comdat
	.globl	_ZL41rocblas_syrkx_herkx_small_restrict_kernelIi19rocblas_complex_numIfELi16ELb1ELb1ELc84ELc76EKPKS1_KPS1_EviT_T0_PT6_S7_lSA_S7_lS8_PT7_S7_li ; -- Begin function _ZL41rocblas_syrkx_herkx_small_restrict_kernelIi19rocblas_complex_numIfELi16ELb1ELb1ELc84ELc76EKPKS1_KPS1_EviT_T0_PT6_S7_lSA_S7_lS8_PT7_S7_li
	.p2align	8
	.type	_ZL41rocblas_syrkx_herkx_small_restrict_kernelIi19rocblas_complex_numIfELi16ELb1ELb1ELc84ELc76EKPKS1_KPS1_EviT_T0_PT6_S7_lSA_S7_lS8_PT7_S7_li,@function
_ZL41rocblas_syrkx_herkx_small_restrict_kernelIi19rocblas_complex_numIfELi16ELb1ELb1ELc84ELc76EKPKS1_KPS1_EviT_T0_PT6_S7_lSA_S7_lS8_PT7_S7_li: ; @_ZL41rocblas_syrkx_herkx_small_restrict_kernelIi19rocblas_complex_numIfELi16ELb1ELb1ELc84ELc76EKPKS1_KPS1_EviT_T0_PT6_S7_lSA_S7_lS8_PT7_S7_li
; %bb.0:
	s_load_dwordx2 s[2:3], s[4:5], 0x48
	s_load_dword s10, s[4:5], 0x4
	s_load_dwordx4 s[12:15], s[4:5], 0x8
	s_mov_b32 s9, 0
	s_lshl_b64 s[0:1], s[8:9], 3
	s_waitcnt lgkmcnt(0)
	s_add_u32 s2, s2, s0
	s_addc_u32 s3, s3, s1
	s_load_dwordx2 s[2:3], s[2:3], 0x0
	v_lshl_add_u32 v2, s6, 4, v0
	s_cmp_lt_i32 s10, 1
	v_lshl_add_u32 v5, s7, 4, v1
	s_cbranch_scc1 .LBB808_5
; %bb.1:
	s_load_dwordx2 s[6:7], s[4:5], 0x28
	s_load_dword s8, s[4:5], 0x18
	s_load_dword s11, s[4:5], 0x30
	v_lshlrev_b32_e32 v6, 3, v0
	v_lshlrev_b32_e32 v8, 7, v1
	s_waitcnt lgkmcnt(0)
	s_add_u32 s6, s6, s0
	s_addc_u32 s7, s7, s1
	s_add_u32 s0, s14, s0
	s_addc_u32 s1, s15, s1
	v_mad_i64_i32 v[3:4], s[14:15], s11, v5, 0
	s_load_dwordx2 s[6:7], s[6:7], 0x0
	v_mad_i64_i32 v[11:12], s[14:15], s8, v2, 0
	v_lshlrev_b64 v[3:4], 3, v[3:4]
	s_load_dwordx2 s[0:1], s[0:1], 0x0
	v_add_co_u32_e32 v0, vcc, v3, v6
	v_addc_co_u32_e32 v4, vcc, 0, v4, vcc
	s_waitcnt lgkmcnt(0)
	v_mov_b32_e32 v13, s7
	v_add_co_u32_e32 v3, vcc, s6, v0
	v_lshlrev_b64 v[11:12], 3, v[11:12]
	v_addc_co_u32_e32 v4, vcc, v13, v4, vcc
	v_lshlrev_b32_e32 v0, 3, v1
	v_add_co_u32_e32 v0, vcc, v11, v0
	v_addc_co_u32_e32 v1, vcc, 0, v12, vcc
	v_add_u32_e32 v7, v6, v8
	v_add_u32_e32 v8, 0x800, v8
	v_mov_b32_e32 v11, s1
	v_add_co_u32_e32 v0, vcc, s0, v0
	v_add_u32_e32 v9, v8, v6
	v_mov_b32_e32 v10, 0
	v_addc_co_u32_e32 v1, vcc, v11, v1, vcc
	v_mov_b32_e32 v11, 0
.LBB808_2:                              ; =>This Inner Loop Header: Depth=1
	flat_load_dwordx2 v[12:13], v[0:1]
	s_add_i32 s9, s9, 16
	s_cmp_lt_i32 s9, s10
	s_waitcnt vmcnt(0) lgkmcnt(0)
	ds_write_b64 v7, v[12:13]
	flat_load_dwordx2 v[12:13], v[3:4]
	v_add_co_u32_e32 v3, vcc, 0x80, v3
	s_mov_b64 s[0:1], vcc
	v_add_co_u32_e32 v0, vcc, 0x80, v0
	v_addc_co_u32_e64 v4, s[0:1], 0, v4, s[0:1]
	v_addc_co_u32_e32 v1, vcc, 0, v1, vcc
	s_waitcnt vmcnt(0) lgkmcnt(0)
	ds_write_b64 v9, v[12:13]
	s_waitcnt lgkmcnt(0)
	s_barrier
	ds_read2_b64 v[12:15], v6 offset1:16
	ds_read_b128 v[16:19], v8
	ds_read_b128 v[20:23], v8 offset:16
	ds_read2_b64 v[24:27], v6 offset0:32 offset1:48
	ds_read2_b64 v[28:31], v6 offset0:64 offset1:80
	ds_read_b128 v[32:35], v8 offset:32
	ds_read_b128 v[36:39], v8 offset:48
	ds_read2_b64 v[40:43], v6 offset0:96 offset1:112
	ds_read2_b64 v[44:47], v6 offset0:128 offset1:144
	ds_read_b128 v[48:51], v8 offset:64
	ds_read_b128 v[52:55], v8 offset:80
	s_waitcnt lgkmcnt(9)
	v_mul_f32_e32 v56, v17, v13
	v_mul_f32_e32 v57, v16, v13
	;; [unrolled: 1-line block ×4, first 2 shown]
	v_fma_f32 v56, v16, v12, -v56
	v_fmac_f32_e32 v57, v17, v12
	v_fma_f32 v59, v18, v14, -v13
	v_fmac_f32_e32 v58, v19, v14
	s_waitcnt lgkmcnt(7)
	v_mul_f32_e32 v16, v21, v25
	v_mul_f32_e32 v60, v20, v25
	v_add_f32_e32 v11, v11, v56
	v_add_f32_e32 v10, v10, v57
	v_mul_f32_e32 v17, v23, v27
	v_mul_f32_e32 v61, v22, v27
	v_fma_f32 v62, v20, v24, -v16
	v_fmac_f32_e32 v60, v21, v24
	v_add_f32_e32 v11, v11, v59
	v_add_f32_e32 v10, v10, v58
	v_fma_f32 v63, v22, v26, -v17
	v_fmac_f32_e32 v61, v23, v26
	s_waitcnt lgkmcnt(5)
	v_mul_f32_e32 v20, v33, v29
	v_mul_f32_e32 v64, v32, v29
	v_add_f32_e32 v11, v11, v62
	v_add_f32_e32 v10, v10, v60
	ds_read2_b64 v[12:15], v6 offset0:160 offset1:176
	v_mul_f32_e32 v21, v35, v31
	v_mul_f32_e32 v65, v34, v31
	v_fma_f32 v32, v32, v28, -v20
	v_fmac_f32_e32 v64, v33, v28
	v_add_f32_e32 v11, v11, v63
	v_add_f32_e32 v10, v10, v61
	v_fma_f32 v33, v34, v30, -v21
	v_fmac_f32_e32 v65, v35, v30
	s_waitcnt lgkmcnt(4)
	v_mul_f32_e32 v24, v37, v41
	v_mul_f32_e32 v34, v36, v41
	v_add_f32_e32 v11, v11, v32
	v_add_f32_e32 v10, v10, v64
	ds_read2_b64 v[16:19], v6 offset0:192 offset1:208
	ds_read_b128 v[20:23], v8 offset:96
	v_mul_f32_e32 v25, v39, v43
	v_mul_f32_e32 v35, v38, v43
	v_fma_f32 v36, v36, v40, -v24
	v_fmac_f32_e32 v34, v37, v40
	v_add_f32_e32 v11, v11, v33
	v_add_f32_e32 v10, v10, v65
	v_fma_f32 v37, v38, v42, -v25
	v_fmac_f32_e32 v35, v39, v42
	s_waitcnt lgkmcnt(4)
	v_mul_f32_e32 v28, v49, v45
	v_mul_f32_e32 v38, v48, v45
	;; [unrolled: 1-line block ×3, first 2 shown]
	v_add_f32_e32 v11, v11, v36
	v_add_f32_e32 v10, v10, v34
	ds_read_b128 v[24:27], v8 offset:112
	v_mul_f32_e32 v39, v50, v47
	v_fma_f32 v40, v48, v44, -v28
	v_fmac_f32_e32 v38, v49, v44
	v_fma_f32 v41, v50, v46, -v29
	ds_read2_b64 v[28:31], v6 offset0:224 offset1:240
	v_add_f32_e32 v11, v11, v37
	v_add_f32_e32 v10, v10, v35
	v_fmac_f32_e32 v39, v51, v46
	s_waitcnt lgkmcnt(4)
	v_mul_f32_e32 v42, v53, v13
	v_mul_f32_e32 v13, v52, v13
	v_add_f32_e32 v11, v11, v40
	v_add_f32_e32 v10, v10, v38
	v_mul_f32_e32 v43, v55, v15
	v_mul_f32_e32 v15, v54, v15
	v_fma_f32 v42, v52, v12, -v42
	v_fmac_f32_e32 v13, v53, v12
	v_add_f32_e32 v11, v11, v41
	v_add_f32_e32 v10, v10, v39
	s_waitcnt lgkmcnt(2)
	v_mul_f32_e32 v44, v21, v17
	v_mul_f32_e32 v17, v20, v17
	v_fma_f32 v12, v54, v14, -v43
	v_fmac_f32_e32 v15, v55, v14
	v_add_f32_e32 v11, v11, v42
	v_add_f32_e32 v10, v10, v13
	v_mul_f32_e32 v14, v23, v19
	v_mul_f32_e32 v19, v22, v19
	v_fma_f32 v20, v20, v16, -v44
	v_fmac_f32_e32 v17, v21, v16
	v_add_f32_e32 v11, v11, v12
	v_add_f32_e32 v10, v10, v15
	s_waitcnt lgkmcnt(0)
	v_mul_f32_e32 v43, v25, v29
	v_mul_f32_e32 v29, v24, v29
	v_fma_f32 v14, v22, v18, -v14
	v_fmac_f32_e32 v19, v23, v18
	v_add_f32_e32 v11, v11, v20
	v_add_f32_e32 v10, v10, v17
	v_mul_f32_e32 v45, v27, v31
	v_mul_f32_e32 v31, v26, v31
	v_fma_f32 v16, v24, v28, -v43
	v_fmac_f32_e32 v29, v25, v28
	v_add_f32_e32 v11, v11, v14
	v_add_f32_e32 v10, v10, v19
	v_fma_f32 v18, v26, v30, -v45
	v_fmac_f32_e32 v31, v27, v30
	v_add_f32_e32 v11, v11, v16
	v_add_f32_e32 v10, v10, v29
	;; [unrolled: 1-line block ×4, first 2 shown]
	s_barrier
	s_cbranch_scc1 .LBB808_2
; %bb.3:
	v_cmp_le_i32_e32 vcc, v5, v2
	s_and_saveexec_b64 s[0:1], vcc
	s_cbranch_execnz .LBB808_6
.LBB808_4:
	s_endpgm
.LBB808_5:
	v_mov_b32_e32 v10, 0
	v_mov_b32_e32 v11, 0
	v_cmp_le_i32_e32 vcc, v5, v2
	s_and_saveexec_b64 s[0:1], vcc
	s_cbranch_execz .LBB808_4
.LBB808_6:
	s_load_dword s0, s[4:5], 0x50
	v_mul_f32_e32 v4, s13, v10
	v_ashrrev_i32_e32 v3, 31, v2
	s_waitcnt lgkmcnt(0)
	v_mov_b32_e32 v8, s3
	v_fma_f32 v6, v11, s12, -v4
	v_mad_i64_i32 v[0:1], s[0:1], s0, v5, 0
	v_mul_f32_e32 v7, s12, v10
	v_fmac_f32_e32 v7, s13, v11
	v_lshlrev_b64 v[0:1], 3, v[0:1]
	v_add_co_u32_e32 v4, vcc, s2, v0
	v_addc_co_u32_e32 v8, vcc, v8, v1, vcc
	v_lshlrev_b64 v[0:1], 3, v[2:3]
	v_add_co_u32_e32 v0, vcc, v4, v0
	v_addc_co_u32_e32 v1, vcc, v8, v1, vcc
	v_cmp_eq_u32_e32 vcc, v2, v5
	flat_store_dwordx2 v[0:1], v[6:7]
	s_and_b64 exec, exec, vcc
	s_cbranch_execz .LBB808_4
; %bb.7:
	v_mov_b32_e32 v2, 0
	flat_store_dword v[0:1], v2 offset:4
	s_endpgm
	.section	.rodata,"a",@progbits
	.p2align	6, 0x0
	.amdhsa_kernel _ZL41rocblas_syrkx_herkx_small_restrict_kernelIi19rocblas_complex_numIfELi16ELb1ELb1ELc84ELc76EKPKS1_KPS1_EviT_T0_PT6_S7_lSA_S7_lS8_PT7_S7_li
		.amdhsa_group_segment_fixed_size 4096
		.amdhsa_private_segment_fixed_size 0
		.amdhsa_kernarg_size 100
		.amdhsa_user_sgpr_count 6
		.amdhsa_user_sgpr_private_segment_buffer 1
		.amdhsa_user_sgpr_dispatch_ptr 0
		.amdhsa_user_sgpr_queue_ptr 0
		.amdhsa_user_sgpr_kernarg_segment_ptr 1
		.amdhsa_user_sgpr_dispatch_id 0
		.amdhsa_user_sgpr_flat_scratch_init 0
		.amdhsa_user_sgpr_private_segment_size 0
		.amdhsa_uses_dynamic_stack 0
		.amdhsa_system_sgpr_private_segment_wavefront_offset 0
		.amdhsa_system_sgpr_workgroup_id_x 1
		.amdhsa_system_sgpr_workgroup_id_y 1
		.amdhsa_system_sgpr_workgroup_id_z 1
		.amdhsa_system_sgpr_workgroup_info 0
		.amdhsa_system_vgpr_workitem_id 1
		.amdhsa_next_free_vgpr 66
		.amdhsa_next_free_sgpr 16
		.amdhsa_reserve_vcc 1
		.amdhsa_reserve_flat_scratch 0
		.amdhsa_float_round_mode_32 0
		.amdhsa_float_round_mode_16_64 0
		.amdhsa_float_denorm_mode_32 3
		.amdhsa_float_denorm_mode_16_64 3
		.amdhsa_dx10_clamp 1
		.amdhsa_ieee_mode 1
		.amdhsa_fp16_overflow 0
		.amdhsa_exception_fp_ieee_invalid_op 0
		.amdhsa_exception_fp_denorm_src 0
		.amdhsa_exception_fp_ieee_div_zero 0
		.amdhsa_exception_fp_ieee_overflow 0
		.amdhsa_exception_fp_ieee_underflow 0
		.amdhsa_exception_fp_ieee_inexact 0
		.amdhsa_exception_int_div_zero 0
	.end_amdhsa_kernel
	.section	.text._ZL41rocblas_syrkx_herkx_small_restrict_kernelIi19rocblas_complex_numIfELi16ELb1ELb1ELc84ELc76EKPKS1_KPS1_EviT_T0_PT6_S7_lSA_S7_lS8_PT7_S7_li,"axG",@progbits,_ZL41rocblas_syrkx_herkx_small_restrict_kernelIi19rocblas_complex_numIfELi16ELb1ELb1ELc84ELc76EKPKS1_KPS1_EviT_T0_PT6_S7_lSA_S7_lS8_PT7_S7_li,comdat
.Lfunc_end808:
	.size	_ZL41rocblas_syrkx_herkx_small_restrict_kernelIi19rocblas_complex_numIfELi16ELb1ELb1ELc84ELc76EKPKS1_KPS1_EviT_T0_PT6_S7_lSA_S7_lS8_PT7_S7_li, .Lfunc_end808-_ZL41rocblas_syrkx_herkx_small_restrict_kernelIi19rocblas_complex_numIfELi16ELb1ELb1ELc84ELc76EKPKS1_KPS1_EviT_T0_PT6_S7_lSA_S7_lS8_PT7_S7_li
                                        ; -- End function
	.set _ZL41rocblas_syrkx_herkx_small_restrict_kernelIi19rocblas_complex_numIfELi16ELb1ELb1ELc84ELc76EKPKS1_KPS1_EviT_T0_PT6_S7_lSA_S7_lS8_PT7_S7_li.num_vgpr, 66
	.set _ZL41rocblas_syrkx_herkx_small_restrict_kernelIi19rocblas_complex_numIfELi16ELb1ELb1ELc84ELc76EKPKS1_KPS1_EviT_T0_PT6_S7_lSA_S7_lS8_PT7_S7_li.num_agpr, 0
	.set _ZL41rocblas_syrkx_herkx_small_restrict_kernelIi19rocblas_complex_numIfELi16ELb1ELb1ELc84ELc76EKPKS1_KPS1_EviT_T0_PT6_S7_lSA_S7_lS8_PT7_S7_li.numbered_sgpr, 16
	.set _ZL41rocblas_syrkx_herkx_small_restrict_kernelIi19rocblas_complex_numIfELi16ELb1ELb1ELc84ELc76EKPKS1_KPS1_EviT_T0_PT6_S7_lSA_S7_lS8_PT7_S7_li.num_named_barrier, 0
	.set _ZL41rocblas_syrkx_herkx_small_restrict_kernelIi19rocblas_complex_numIfELi16ELb1ELb1ELc84ELc76EKPKS1_KPS1_EviT_T0_PT6_S7_lSA_S7_lS8_PT7_S7_li.private_seg_size, 0
	.set _ZL41rocblas_syrkx_herkx_small_restrict_kernelIi19rocblas_complex_numIfELi16ELb1ELb1ELc84ELc76EKPKS1_KPS1_EviT_T0_PT6_S7_lSA_S7_lS8_PT7_S7_li.uses_vcc, 1
	.set _ZL41rocblas_syrkx_herkx_small_restrict_kernelIi19rocblas_complex_numIfELi16ELb1ELb1ELc84ELc76EKPKS1_KPS1_EviT_T0_PT6_S7_lSA_S7_lS8_PT7_S7_li.uses_flat_scratch, 0
	.set _ZL41rocblas_syrkx_herkx_small_restrict_kernelIi19rocblas_complex_numIfELi16ELb1ELb1ELc84ELc76EKPKS1_KPS1_EviT_T0_PT6_S7_lSA_S7_lS8_PT7_S7_li.has_dyn_sized_stack, 0
	.set _ZL41rocblas_syrkx_herkx_small_restrict_kernelIi19rocblas_complex_numIfELi16ELb1ELb1ELc84ELc76EKPKS1_KPS1_EviT_T0_PT6_S7_lSA_S7_lS8_PT7_S7_li.has_recursion, 0
	.set _ZL41rocblas_syrkx_herkx_small_restrict_kernelIi19rocblas_complex_numIfELi16ELb1ELb1ELc84ELc76EKPKS1_KPS1_EviT_T0_PT6_S7_lSA_S7_lS8_PT7_S7_li.has_indirect_call, 0
	.section	.AMDGPU.csdata,"",@progbits
; Kernel info:
; codeLenInByte = 1104
; TotalNumSgprs: 20
; NumVgprs: 66
; ScratchSize: 0
; MemoryBound: 0
; FloatMode: 240
; IeeeMode: 1
; LDSByteSize: 4096 bytes/workgroup (compile time only)
; SGPRBlocks: 2
; VGPRBlocks: 16
; NumSGPRsForWavesPerEU: 20
; NumVGPRsForWavesPerEU: 66
; Occupancy: 3
; WaveLimiterHint : 1
; COMPUTE_PGM_RSRC2:SCRATCH_EN: 0
; COMPUTE_PGM_RSRC2:USER_SGPR: 6
; COMPUTE_PGM_RSRC2:TRAP_HANDLER: 0
; COMPUTE_PGM_RSRC2:TGID_X_EN: 1
; COMPUTE_PGM_RSRC2:TGID_Y_EN: 1
; COMPUTE_PGM_RSRC2:TGID_Z_EN: 1
; COMPUTE_PGM_RSRC2:TIDIG_COMP_CNT: 1
	.section	.text._ZL41rocblas_syrkx_herkx_small_restrict_kernelIi19rocblas_complex_numIfELi16ELb1ELb1ELc67ELc76EKPKS1_KPS1_EviT_T0_PT6_S7_lSA_S7_lS8_PT7_S7_li,"axG",@progbits,_ZL41rocblas_syrkx_herkx_small_restrict_kernelIi19rocblas_complex_numIfELi16ELb1ELb1ELc67ELc76EKPKS1_KPS1_EviT_T0_PT6_S7_lSA_S7_lS8_PT7_S7_li,comdat
	.globl	_ZL41rocblas_syrkx_herkx_small_restrict_kernelIi19rocblas_complex_numIfELi16ELb1ELb1ELc67ELc76EKPKS1_KPS1_EviT_T0_PT6_S7_lSA_S7_lS8_PT7_S7_li ; -- Begin function _ZL41rocblas_syrkx_herkx_small_restrict_kernelIi19rocblas_complex_numIfELi16ELb1ELb1ELc67ELc76EKPKS1_KPS1_EviT_T0_PT6_S7_lSA_S7_lS8_PT7_S7_li
	.p2align	8
	.type	_ZL41rocblas_syrkx_herkx_small_restrict_kernelIi19rocblas_complex_numIfELi16ELb1ELb1ELc67ELc76EKPKS1_KPS1_EviT_T0_PT6_S7_lSA_S7_lS8_PT7_S7_li,@function
_ZL41rocblas_syrkx_herkx_small_restrict_kernelIi19rocblas_complex_numIfELi16ELb1ELb1ELc67ELc76EKPKS1_KPS1_EviT_T0_PT6_S7_lSA_S7_lS8_PT7_S7_li: ; @_ZL41rocblas_syrkx_herkx_small_restrict_kernelIi19rocblas_complex_numIfELi16ELb1ELb1ELc67ELc76EKPKS1_KPS1_EviT_T0_PT6_S7_lSA_S7_lS8_PT7_S7_li
; %bb.0:
	s_load_dwordx2 s[2:3], s[4:5], 0x48
	s_load_dword s10, s[4:5], 0x4
	s_load_dwordx4 s[12:15], s[4:5], 0x8
	s_mov_b32 s9, 0
	s_lshl_b64 s[0:1], s[8:9], 3
	s_waitcnt lgkmcnt(0)
	s_add_u32 s2, s2, s0
	s_addc_u32 s3, s3, s1
	s_load_dwordx2 s[2:3], s[2:3], 0x0
	v_lshl_add_u32 v2, s6, 4, v0
	s_cmp_lt_i32 s10, 1
	v_lshl_add_u32 v5, s7, 4, v1
	s_cbranch_scc1 .LBB809_5
; %bb.1:
	s_load_dwordx2 s[6:7], s[4:5], 0x28
	s_load_dword s8, s[4:5], 0x18
	s_load_dword s11, s[4:5], 0x30
	v_lshlrev_b32_e32 v6, 3, v0
	v_lshlrev_b32_e32 v8, 7, v1
	s_waitcnt lgkmcnt(0)
	s_add_u32 s6, s6, s0
	s_addc_u32 s7, s7, s1
	s_add_u32 s0, s14, s0
	s_addc_u32 s1, s15, s1
	v_mad_i64_i32 v[3:4], s[14:15], s11, v5, 0
	s_load_dwordx2 s[6:7], s[6:7], 0x0
	v_mad_i64_i32 v[11:12], s[14:15], s8, v2, 0
	v_lshlrev_b64 v[3:4], 3, v[3:4]
	s_load_dwordx2 s[0:1], s[0:1], 0x0
	v_add_co_u32_e32 v0, vcc, v3, v6
	v_addc_co_u32_e32 v4, vcc, 0, v4, vcc
	s_waitcnt lgkmcnt(0)
	v_mov_b32_e32 v13, s7
	v_add_co_u32_e32 v3, vcc, s6, v0
	v_lshlrev_b64 v[11:12], 3, v[11:12]
	v_addc_co_u32_e32 v4, vcc, v13, v4, vcc
	v_lshlrev_b32_e32 v0, 3, v1
	v_add_co_u32_e32 v0, vcc, v11, v0
	v_addc_co_u32_e32 v1, vcc, 0, v12, vcc
	v_add_u32_e32 v7, v6, v8
	v_add_u32_e32 v8, 0x800, v8
	v_mov_b32_e32 v11, s1
	v_add_co_u32_e32 v0, vcc, s0, v0
	v_add_u32_e32 v9, v8, v6
	v_mov_b32_e32 v10, 0
	v_addc_co_u32_e32 v1, vcc, v11, v1, vcc
	v_mov_b32_e32 v11, 0
.LBB809_2:                              ; =>This Inner Loop Header: Depth=1
	flat_load_dwordx2 v[12:13], v[0:1]
	s_add_i32 s9, s9, 16
	s_cmp_lt_i32 s9, s10
	s_waitcnt vmcnt(0) lgkmcnt(0)
	v_xor_b32_e32 v13, 0x80000000, v13
	ds_write_b64 v7, v[12:13]
	flat_load_dwordx2 v[12:13], v[3:4]
	v_add_co_u32_e32 v3, vcc, 0x80, v3
	s_mov_b64 s[0:1], vcc
	v_add_co_u32_e32 v0, vcc, 0x80, v0
	v_addc_co_u32_e64 v4, s[0:1], 0, v4, s[0:1]
	v_addc_co_u32_e32 v1, vcc, 0, v1, vcc
	s_waitcnt vmcnt(0) lgkmcnt(0)
	ds_write_b64 v9, v[12:13]
	s_waitcnt lgkmcnt(0)
	s_barrier
	ds_read2_b64 v[12:15], v6 offset1:16
	ds_read_b128 v[16:19], v8
	ds_read_b128 v[20:23], v8 offset:16
	ds_read2_b64 v[24:27], v6 offset0:32 offset1:48
	ds_read2_b64 v[28:31], v6 offset0:64 offset1:80
	ds_read_b128 v[32:35], v8 offset:32
	ds_read_b128 v[36:39], v8 offset:48
	ds_read2_b64 v[40:43], v6 offset0:96 offset1:112
	ds_read2_b64 v[44:47], v6 offset0:128 offset1:144
	ds_read_b128 v[48:51], v8 offset:64
	ds_read_b128 v[52:55], v8 offset:80
	s_waitcnt lgkmcnt(9)
	v_mul_f32_e32 v56, v17, v13
	v_mul_f32_e32 v57, v16, v13
	;; [unrolled: 1-line block ×4, first 2 shown]
	v_fma_f32 v56, v16, v12, -v56
	v_fmac_f32_e32 v57, v17, v12
	v_fma_f32 v59, v18, v14, -v13
	v_fmac_f32_e32 v58, v19, v14
	s_waitcnt lgkmcnt(7)
	v_mul_f32_e32 v16, v21, v25
	v_mul_f32_e32 v60, v20, v25
	v_add_f32_e32 v11, v11, v56
	v_add_f32_e32 v10, v10, v57
	v_mul_f32_e32 v17, v23, v27
	v_mul_f32_e32 v61, v22, v27
	v_fma_f32 v62, v20, v24, -v16
	v_fmac_f32_e32 v60, v21, v24
	v_add_f32_e32 v11, v11, v59
	v_add_f32_e32 v10, v10, v58
	v_fma_f32 v63, v22, v26, -v17
	v_fmac_f32_e32 v61, v23, v26
	s_waitcnt lgkmcnt(5)
	v_mul_f32_e32 v20, v33, v29
	v_mul_f32_e32 v64, v32, v29
	v_add_f32_e32 v11, v11, v62
	v_add_f32_e32 v10, v10, v60
	ds_read2_b64 v[12:15], v6 offset0:160 offset1:176
	v_mul_f32_e32 v21, v35, v31
	v_mul_f32_e32 v65, v34, v31
	v_fma_f32 v32, v32, v28, -v20
	v_fmac_f32_e32 v64, v33, v28
	v_add_f32_e32 v11, v11, v63
	v_add_f32_e32 v10, v10, v61
	v_fma_f32 v33, v34, v30, -v21
	v_fmac_f32_e32 v65, v35, v30
	s_waitcnt lgkmcnt(4)
	v_mul_f32_e32 v24, v37, v41
	v_mul_f32_e32 v34, v36, v41
	v_add_f32_e32 v11, v11, v32
	v_add_f32_e32 v10, v10, v64
	ds_read2_b64 v[16:19], v6 offset0:192 offset1:208
	ds_read_b128 v[20:23], v8 offset:96
	v_mul_f32_e32 v25, v39, v43
	v_mul_f32_e32 v35, v38, v43
	v_fma_f32 v36, v36, v40, -v24
	v_fmac_f32_e32 v34, v37, v40
	v_add_f32_e32 v11, v11, v33
	v_add_f32_e32 v10, v10, v65
	v_fma_f32 v37, v38, v42, -v25
	v_fmac_f32_e32 v35, v39, v42
	s_waitcnt lgkmcnt(4)
	v_mul_f32_e32 v28, v49, v45
	v_mul_f32_e32 v38, v48, v45
	;; [unrolled: 1-line block ×3, first 2 shown]
	v_add_f32_e32 v11, v11, v36
	v_add_f32_e32 v10, v10, v34
	ds_read_b128 v[24:27], v8 offset:112
	v_mul_f32_e32 v39, v50, v47
	v_fma_f32 v40, v48, v44, -v28
	v_fmac_f32_e32 v38, v49, v44
	v_fma_f32 v41, v50, v46, -v29
	ds_read2_b64 v[28:31], v6 offset0:224 offset1:240
	v_add_f32_e32 v11, v11, v37
	v_add_f32_e32 v10, v10, v35
	v_fmac_f32_e32 v39, v51, v46
	s_waitcnt lgkmcnt(4)
	v_mul_f32_e32 v42, v53, v13
	v_mul_f32_e32 v13, v52, v13
	v_add_f32_e32 v11, v11, v40
	v_add_f32_e32 v10, v10, v38
	v_mul_f32_e32 v43, v55, v15
	v_mul_f32_e32 v15, v54, v15
	v_fma_f32 v42, v52, v12, -v42
	v_fmac_f32_e32 v13, v53, v12
	v_add_f32_e32 v11, v11, v41
	v_add_f32_e32 v10, v10, v39
	s_waitcnt lgkmcnt(2)
	v_mul_f32_e32 v44, v21, v17
	v_mul_f32_e32 v17, v20, v17
	v_fma_f32 v12, v54, v14, -v43
	v_fmac_f32_e32 v15, v55, v14
	v_add_f32_e32 v11, v11, v42
	v_add_f32_e32 v10, v10, v13
	v_mul_f32_e32 v14, v23, v19
	v_mul_f32_e32 v19, v22, v19
	v_fma_f32 v20, v20, v16, -v44
	v_fmac_f32_e32 v17, v21, v16
	v_add_f32_e32 v11, v11, v12
	v_add_f32_e32 v10, v10, v15
	s_waitcnt lgkmcnt(0)
	v_mul_f32_e32 v43, v25, v29
	v_mul_f32_e32 v29, v24, v29
	v_fma_f32 v14, v22, v18, -v14
	v_fmac_f32_e32 v19, v23, v18
	v_add_f32_e32 v11, v11, v20
	v_add_f32_e32 v10, v10, v17
	v_mul_f32_e32 v45, v27, v31
	v_mul_f32_e32 v31, v26, v31
	v_fma_f32 v16, v24, v28, -v43
	v_fmac_f32_e32 v29, v25, v28
	v_add_f32_e32 v11, v11, v14
	v_add_f32_e32 v10, v10, v19
	v_fma_f32 v18, v26, v30, -v45
	v_fmac_f32_e32 v31, v27, v30
	v_add_f32_e32 v11, v11, v16
	v_add_f32_e32 v10, v10, v29
	;; [unrolled: 1-line block ×4, first 2 shown]
	s_barrier
	s_cbranch_scc1 .LBB809_2
; %bb.3:
	v_cmp_le_i32_e32 vcc, v5, v2
	s_and_saveexec_b64 s[0:1], vcc
	s_cbranch_execnz .LBB809_6
.LBB809_4:
	s_endpgm
.LBB809_5:
	v_mov_b32_e32 v10, 0
	v_mov_b32_e32 v11, 0
	v_cmp_le_i32_e32 vcc, v5, v2
	s_and_saveexec_b64 s[0:1], vcc
	s_cbranch_execz .LBB809_4
.LBB809_6:
	s_load_dword s0, s[4:5], 0x50
	v_mul_f32_e32 v4, s13, v10
	v_ashrrev_i32_e32 v3, 31, v2
	s_waitcnt lgkmcnt(0)
	v_mov_b32_e32 v8, s3
	v_fma_f32 v6, v11, s12, -v4
	v_mad_i64_i32 v[0:1], s[0:1], s0, v5, 0
	v_mul_f32_e32 v7, s12, v10
	v_fmac_f32_e32 v7, s13, v11
	v_lshlrev_b64 v[0:1], 3, v[0:1]
	v_add_co_u32_e32 v4, vcc, s2, v0
	v_addc_co_u32_e32 v8, vcc, v8, v1, vcc
	v_lshlrev_b64 v[0:1], 3, v[2:3]
	v_add_co_u32_e32 v0, vcc, v4, v0
	v_addc_co_u32_e32 v1, vcc, v8, v1, vcc
	v_cmp_eq_u32_e32 vcc, v2, v5
	flat_store_dwordx2 v[0:1], v[6:7]
	s_and_b64 exec, exec, vcc
	s_cbranch_execz .LBB809_4
; %bb.7:
	v_mov_b32_e32 v2, 0
	flat_store_dword v[0:1], v2 offset:4
	s_endpgm
	.section	.rodata,"a",@progbits
	.p2align	6, 0x0
	.amdhsa_kernel _ZL41rocblas_syrkx_herkx_small_restrict_kernelIi19rocblas_complex_numIfELi16ELb1ELb1ELc67ELc76EKPKS1_KPS1_EviT_T0_PT6_S7_lSA_S7_lS8_PT7_S7_li
		.amdhsa_group_segment_fixed_size 4096
		.amdhsa_private_segment_fixed_size 0
		.amdhsa_kernarg_size 100
		.amdhsa_user_sgpr_count 6
		.amdhsa_user_sgpr_private_segment_buffer 1
		.amdhsa_user_sgpr_dispatch_ptr 0
		.amdhsa_user_sgpr_queue_ptr 0
		.amdhsa_user_sgpr_kernarg_segment_ptr 1
		.amdhsa_user_sgpr_dispatch_id 0
		.amdhsa_user_sgpr_flat_scratch_init 0
		.amdhsa_user_sgpr_private_segment_size 0
		.amdhsa_uses_dynamic_stack 0
		.amdhsa_system_sgpr_private_segment_wavefront_offset 0
		.amdhsa_system_sgpr_workgroup_id_x 1
		.amdhsa_system_sgpr_workgroup_id_y 1
		.amdhsa_system_sgpr_workgroup_id_z 1
		.amdhsa_system_sgpr_workgroup_info 0
		.amdhsa_system_vgpr_workitem_id 1
		.amdhsa_next_free_vgpr 66
		.amdhsa_next_free_sgpr 16
		.amdhsa_reserve_vcc 1
		.amdhsa_reserve_flat_scratch 0
		.amdhsa_float_round_mode_32 0
		.amdhsa_float_round_mode_16_64 0
		.amdhsa_float_denorm_mode_32 3
		.amdhsa_float_denorm_mode_16_64 3
		.amdhsa_dx10_clamp 1
		.amdhsa_ieee_mode 1
		.amdhsa_fp16_overflow 0
		.amdhsa_exception_fp_ieee_invalid_op 0
		.amdhsa_exception_fp_denorm_src 0
		.amdhsa_exception_fp_ieee_div_zero 0
		.amdhsa_exception_fp_ieee_overflow 0
		.amdhsa_exception_fp_ieee_underflow 0
		.amdhsa_exception_fp_ieee_inexact 0
		.amdhsa_exception_int_div_zero 0
	.end_amdhsa_kernel
	.section	.text._ZL41rocblas_syrkx_herkx_small_restrict_kernelIi19rocblas_complex_numIfELi16ELb1ELb1ELc67ELc76EKPKS1_KPS1_EviT_T0_PT6_S7_lSA_S7_lS8_PT7_S7_li,"axG",@progbits,_ZL41rocblas_syrkx_herkx_small_restrict_kernelIi19rocblas_complex_numIfELi16ELb1ELb1ELc67ELc76EKPKS1_KPS1_EviT_T0_PT6_S7_lSA_S7_lS8_PT7_S7_li,comdat
.Lfunc_end809:
	.size	_ZL41rocblas_syrkx_herkx_small_restrict_kernelIi19rocblas_complex_numIfELi16ELb1ELb1ELc67ELc76EKPKS1_KPS1_EviT_T0_PT6_S7_lSA_S7_lS8_PT7_S7_li, .Lfunc_end809-_ZL41rocblas_syrkx_herkx_small_restrict_kernelIi19rocblas_complex_numIfELi16ELb1ELb1ELc67ELc76EKPKS1_KPS1_EviT_T0_PT6_S7_lSA_S7_lS8_PT7_S7_li
                                        ; -- End function
	.set _ZL41rocblas_syrkx_herkx_small_restrict_kernelIi19rocblas_complex_numIfELi16ELb1ELb1ELc67ELc76EKPKS1_KPS1_EviT_T0_PT6_S7_lSA_S7_lS8_PT7_S7_li.num_vgpr, 66
	.set _ZL41rocblas_syrkx_herkx_small_restrict_kernelIi19rocblas_complex_numIfELi16ELb1ELb1ELc67ELc76EKPKS1_KPS1_EviT_T0_PT6_S7_lSA_S7_lS8_PT7_S7_li.num_agpr, 0
	.set _ZL41rocblas_syrkx_herkx_small_restrict_kernelIi19rocblas_complex_numIfELi16ELb1ELb1ELc67ELc76EKPKS1_KPS1_EviT_T0_PT6_S7_lSA_S7_lS8_PT7_S7_li.numbered_sgpr, 16
	.set _ZL41rocblas_syrkx_herkx_small_restrict_kernelIi19rocblas_complex_numIfELi16ELb1ELb1ELc67ELc76EKPKS1_KPS1_EviT_T0_PT6_S7_lSA_S7_lS8_PT7_S7_li.num_named_barrier, 0
	.set _ZL41rocblas_syrkx_herkx_small_restrict_kernelIi19rocblas_complex_numIfELi16ELb1ELb1ELc67ELc76EKPKS1_KPS1_EviT_T0_PT6_S7_lSA_S7_lS8_PT7_S7_li.private_seg_size, 0
	.set _ZL41rocblas_syrkx_herkx_small_restrict_kernelIi19rocblas_complex_numIfELi16ELb1ELb1ELc67ELc76EKPKS1_KPS1_EviT_T0_PT6_S7_lSA_S7_lS8_PT7_S7_li.uses_vcc, 1
	.set _ZL41rocblas_syrkx_herkx_small_restrict_kernelIi19rocblas_complex_numIfELi16ELb1ELb1ELc67ELc76EKPKS1_KPS1_EviT_T0_PT6_S7_lSA_S7_lS8_PT7_S7_li.uses_flat_scratch, 0
	.set _ZL41rocblas_syrkx_herkx_small_restrict_kernelIi19rocblas_complex_numIfELi16ELb1ELb1ELc67ELc76EKPKS1_KPS1_EviT_T0_PT6_S7_lSA_S7_lS8_PT7_S7_li.has_dyn_sized_stack, 0
	.set _ZL41rocblas_syrkx_herkx_small_restrict_kernelIi19rocblas_complex_numIfELi16ELb1ELb1ELc67ELc76EKPKS1_KPS1_EviT_T0_PT6_S7_lSA_S7_lS8_PT7_S7_li.has_recursion, 0
	.set _ZL41rocblas_syrkx_herkx_small_restrict_kernelIi19rocblas_complex_numIfELi16ELb1ELb1ELc67ELc76EKPKS1_KPS1_EviT_T0_PT6_S7_lSA_S7_lS8_PT7_S7_li.has_indirect_call, 0
	.section	.AMDGPU.csdata,"",@progbits
; Kernel info:
; codeLenInByte = 1112
; TotalNumSgprs: 20
; NumVgprs: 66
; ScratchSize: 0
; MemoryBound: 0
; FloatMode: 240
; IeeeMode: 1
; LDSByteSize: 4096 bytes/workgroup (compile time only)
; SGPRBlocks: 2
; VGPRBlocks: 16
; NumSGPRsForWavesPerEU: 20
; NumVGPRsForWavesPerEU: 66
; Occupancy: 3
; WaveLimiterHint : 1
; COMPUTE_PGM_RSRC2:SCRATCH_EN: 0
; COMPUTE_PGM_RSRC2:USER_SGPR: 6
; COMPUTE_PGM_RSRC2:TRAP_HANDLER: 0
; COMPUTE_PGM_RSRC2:TGID_X_EN: 1
; COMPUTE_PGM_RSRC2:TGID_Y_EN: 1
; COMPUTE_PGM_RSRC2:TGID_Z_EN: 1
; COMPUTE_PGM_RSRC2:TIDIG_COMP_CNT: 1
	.section	.text._ZL41rocblas_syrkx_herkx_small_restrict_kernelIi19rocblas_complex_numIfELi16ELb1ELb1ELc78ELc76EKPKS1_KPS1_EviT_T0_PT6_S7_lSA_S7_lS8_PT7_S7_li,"axG",@progbits,_ZL41rocblas_syrkx_herkx_small_restrict_kernelIi19rocblas_complex_numIfELi16ELb1ELb1ELc78ELc76EKPKS1_KPS1_EviT_T0_PT6_S7_lSA_S7_lS8_PT7_S7_li,comdat
	.globl	_ZL41rocblas_syrkx_herkx_small_restrict_kernelIi19rocblas_complex_numIfELi16ELb1ELb1ELc78ELc76EKPKS1_KPS1_EviT_T0_PT6_S7_lSA_S7_lS8_PT7_S7_li ; -- Begin function _ZL41rocblas_syrkx_herkx_small_restrict_kernelIi19rocblas_complex_numIfELi16ELb1ELb1ELc78ELc76EKPKS1_KPS1_EviT_T0_PT6_S7_lSA_S7_lS8_PT7_S7_li
	.p2align	8
	.type	_ZL41rocblas_syrkx_herkx_small_restrict_kernelIi19rocblas_complex_numIfELi16ELb1ELb1ELc78ELc76EKPKS1_KPS1_EviT_T0_PT6_S7_lSA_S7_lS8_PT7_S7_li,@function
_ZL41rocblas_syrkx_herkx_small_restrict_kernelIi19rocblas_complex_numIfELi16ELb1ELb1ELc78ELc76EKPKS1_KPS1_EviT_T0_PT6_S7_lSA_S7_lS8_PT7_S7_li: ; @_ZL41rocblas_syrkx_herkx_small_restrict_kernelIi19rocblas_complex_numIfELi16ELb1ELb1ELc78ELc76EKPKS1_KPS1_EviT_T0_PT6_S7_lSA_S7_lS8_PT7_S7_li
; %bb.0:
	s_load_dwordx2 s[10:11], s[4:5], 0x48
	s_load_dword s14, s[4:5], 0x4
	s_load_dwordx4 s[0:3], s[4:5], 0x8
	s_mov_b32 s9, 0
	s_lshl_b64 s[12:13], s[8:9], 3
	s_waitcnt lgkmcnt(0)
	s_add_u32 s10, s10, s12
	s_addc_u32 s11, s11, s13
	s_load_dwordx2 s[10:11], s[10:11], 0x0
	v_lshl_add_u32 v2, s6, 4, v0
	v_lshl_add_u32 v4, s7, 4, v1
	s_cmp_lt_i32 s14, 1
	v_ashrrev_i32_e32 v3, 31, v2
	s_cbranch_scc1 .LBB810_5
; %bb.1:
	s_load_dword s6, s[4:5], 0x18
	s_load_dword s16, s[4:5], 0x30
	s_load_dwordx2 s[18:19], s[4:5], 0x28
	v_lshlrev_b32_e32 v6, 7, v1
	v_lshlrev_b32_e32 v7, 3, v0
	s_waitcnt lgkmcnt(0)
	s_ashr_i32 s7, s6, 31
	s_ashr_i32 s17, s16, 31
	s_add_u32 s18, s18, s12
	s_addc_u32 s19, s19, s13
	s_add_u32 s2, s2, s12
	s_addc_u32 s3, s3, s13
	s_load_dwordx2 s[12:13], s[2:3], 0x0
	v_mad_i64_i32 v[11:12], s[2:3], s16, v0, 0
	v_ashrrev_i32_e32 v5, 31, v4
	v_add_u32_e32 v8, v7, v6
	v_add_u32_e32 v9, 0x800, v6
	v_lshlrev_b64 v[11:12], 3, v[11:12]
	v_lshlrev_b64 v[5:6], 3, v[4:5]
	s_load_dwordx2 s[18:19], s[18:19], 0x0
	v_add_co_u32_e32 v0, vcc, v11, v5
	v_addc_co_u32_e32 v11, vcc, v12, v6, vcc
	v_mad_i64_i32 v[5:6], s[2:3], s6, v1, 0
	s_waitcnt lgkmcnt(0)
	v_mov_b32_e32 v12, s19
	v_add_co_u32_e32 v0, vcc, s18, v0
	v_addc_co_u32_e32 v1, vcc, v12, v11, vcc
	v_lshlrev_b64 v[5:6], 3, v[5:6]
	v_lshlrev_b64 v[11:12], 3, v[2:3]
	s_lshl_b64 s[2:3], s[16:17], 7
	v_add_co_u32_e32 v5, vcc, v5, v11
	v_addc_co_u32_e32 v6, vcc, v6, v12, vcc
	v_mov_b32_e32 v11, s13
	v_add_co_u32_e32 v5, vcc, s12, v5
	s_lshl_b64 s[6:7], s[6:7], 7
	v_add_u32_e32 v10, v9, v7
	v_addc_co_u32_e32 v6, vcc, v11, v6, vcc
	v_mov_b32_e32 v14, 0
	v_mov_b32_e32 v11, s3
	;; [unrolled: 1-line block ×4, first 2 shown]
.LBB810_2:                              ; =>This Inner Loop Header: Depth=1
	flat_load_dwordx2 v[15:16], v[5:6]
	v_add_co_u32_e32 v5, vcc, s6, v5
	v_addc_co_u32_e32 v6, vcc, v6, v12, vcc
	s_add_i32 s9, s9, 16
	s_cmp_lt_i32 s9, s14
	s_waitcnt vmcnt(0) lgkmcnt(0)
	ds_write_b64 v8, v[15:16]
	flat_load_dwordx2 v[15:16], v[0:1]
	v_add_co_u32_e32 v0, vcc, s2, v0
	v_addc_co_u32_e32 v1, vcc, v1, v11, vcc
	s_waitcnt vmcnt(0) lgkmcnt(0)
	v_xor_b32_e32 v16, 0x80000000, v16
	ds_write_b64 v10, v[15:16]
	s_waitcnt lgkmcnt(0)
	s_barrier
	ds_read2_b64 v[15:18], v7 offset1:16
	ds_read_b128 v[19:22], v9
	ds_read_b128 v[23:26], v9 offset:16
	ds_read2_b64 v[27:30], v7 offset0:32 offset1:48
	ds_read2_b64 v[31:34], v7 offset0:64 offset1:80
	ds_read_b128 v[35:38], v9 offset:32
	ds_read_b128 v[39:42], v9 offset:48
	ds_read2_b64 v[43:46], v7 offset0:96 offset1:112
	ds_read2_b64 v[47:50], v7 offset0:128 offset1:144
	ds_read_b128 v[51:54], v9 offset:64
	ds_read_b128 v[55:58], v9 offset:80
	s_waitcnt lgkmcnt(9)
	v_mul_f32_e32 v59, v20, v16
	v_mul_f32_e32 v60, v19, v16
	;; [unrolled: 1-line block ×4, first 2 shown]
	v_fma_f32 v59, v19, v15, -v59
	v_fmac_f32_e32 v60, v20, v15
	v_fma_f32 v62, v21, v17, -v16
	v_fmac_f32_e32 v61, v22, v17
	s_waitcnt lgkmcnt(7)
	v_mul_f32_e32 v19, v24, v28
	v_mul_f32_e32 v63, v23, v28
	v_add_f32_e32 v13, v13, v59
	v_add_f32_e32 v14, v14, v60
	v_mul_f32_e32 v20, v26, v30
	v_mul_f32_e32 v64, v25, v30
	v_fma_f32 v65, v23, v27, -v19
	v_fmac_f32_e32 v63, v24, v27
	v_add_f32_e32 v13, v13, v62
	v_add_f32_e32 v14, v14, v61
	v_fma_f32 v66, v25, v29, -v20
	v_fmac_f32_e32 v64, v26, v29
	s_waitcnt lgkmcnt(5)
	v_mul_f32_e32 v23, v36, v32
	v_mul_f32_e32 v67, v35, v32
	v_add_f32_e32 v13, v13, v65
	v_add_f32_e32 v14, v14, v63
	ds_read2_b64 v[15:18], v7 offset0:160 offset1:176
	v_mul_f32_e32 v24, v38, v34
	v_mul_f32_e32 v68, v37, v34
	v_fma_f32 v35, v35, v31, -v23
	v_fmac_f32_e32 v67, v36, v31
	v_add_f32_e32 v13, v13, v66
	v_add_f32_e32 v14, v14, v64
	v_fma_f32 v36, v37, v33, -v24
	v_fmac_f32_e32 v68, v38, v33
	s_waitcnt lgkmcnt(4)
	v_mul_f32_e32 v27, v40, v44
	v_mul_f32_e32 v37, v39, v44
	v_add_f32_e32 v13, v13, v35
	v_add_f32_e32 v14, v14, v67
	ds_read2_b64 v[19:22], v7 offset0:192 offset1:208
	ds_read_b128 v[23:26], v9 offset:96
	v_mul_f32_e32 v28, v42, v46
	v_mul_f32_e32 v38, v41, v46
	v_fma_f32 v39, v39, v43, -v27
	v_fmac_f32_e32 v37, v40, v43
	v_add_f32_e32 v13, v13, v36
	v_add_f32_e32 v14, v14, v68
	v_fma_f32 v40, v41, v45, -v28
	v_fmac_f32_e32 v38, v42, v45
	s_waitcnt lgkmcnt(4)
	v_mul_f32_e32 v31, v52, v48
	v_mul_f32_e32 v41, v51, v48
	;; [unrolled: 1-line block ×3, first 2 shown]
	v_add_f32_e32 v13, v13, v39
	v_add_f32_e32 v14, v14, v37
	ds_read_b128 v[27:30], v9 offset:112
	v_mul_f32_e32 v42, v53, v50
	v_fma_f32 v43, v51, v47, -v31
	v_fmac_f32_e32 v41, v52, v47
	v_fma_f32 v44, v53, v49, -v32
	ds_read2_b64 v[31:34], v7 offset0:224 offset1:240
	v_add_f32_e32 v13, v13, v40
	v_add_f32_e32 v14, v14, v38
	v_fmac_f32_e32 v42, v54, v49
	s_waitcnt lgkmcnt(4)
	v_mul_f32_e32 v45, v56, v16
	v_mul_f32_e32 v16, v55, v16
	v_add_f32_e32 v13, v13, v43
	v_add_f32_e32 v14, v14, v41
	v_mul_f32_e32 v46, v58, v18
	v_mul_f32_e32 v18, v57, v18
	v_fma_f32 v45, v55, v15, -v45
	v_fmac_f32_e32 v16, v56, v15
	v_add_f32_e32 v13, v13, v44
	v_add_f32_e32 v14, v14, v42
	v_fma_f32 v15, v57, v17, -v46
	v_fmac_f32_e32 v18, v58, v17
	s_waitcnt lgkmcnt(2)
	v_mul_f32_e32 v17, v24, v20
	v_mul_f32_e32 v20, v23, v20
	v_add_f32_e32 v13, v13, v45
	v_add_f32_e32 v14, v14, v16
	v_mul_f32_e32 v46, v26, v22
	v_mul_f32_e32 v22, v25, v22
	v_fma_f32 v17, v23, v19, -v17
	v_fmac_f32_e32 v20, v24, v19
	v_add_f32_e32 v13, v13, v15
	v_add_f32_e32 v14, v14, v18
	s_waitcnt lgkmcnt(0)
	v_mul_f32_e32 v47, v28, v32
	v_mul_f32_e32 v32, v27, v32
	v_fma_f32 v19, v25, v21, -v46
	v_fmac_f32_e32 v22, v26, v21
	v_add_f32_e32 v13, v13, v17
	v_add_f32_e32 v14, v14, v20
	v_mul_f32_e32 v48, v30, v34
	v_mul_f32_e32 v34, v29, v34
	v_fma_f32 v21, v27, v31, -v47
	v_fmac_f32_e32 v32, v28, v31
	v_add_f32_e32 v13, v13, v19
	v_add_f32_e32 v14, v14, v22
	v_fma_f32 v23, v29, v33, -v48
	v_fmac_f32_e32 v34, v30, v33
	v_add_f32_e32 v13, v13, v21
	v_add_f32_e32 v14, v14, v32
	;; [unrolled: 1-line block ×4, first 2 shown]
	s_barrier
	s_cbranch_scc1 .LBB810_2
; %bb.3:
	v_cmp_le_i32_e32 vcc, v4, v2
	s_and_saveexec_b64 s[2:3], vcc
	s_cbranch_execnz .LBB810_6
.LBB810_4:
	s_endpgm
.LBB810_5:
	v_mov_b32_e32 v14, 0
	v_mov_b32_e32 v13, 0
	v_cmp_le_i32_e32 vcc, v4, v2
	s_and_saveexec_b64 s[2:3], vcc
	s_cbranch_execz .LBB810_4
.LBB810_6:
	s_load_dword s2, s[4:5], 0x50
	s_waitcnt lgkmcnt(0)
	v_mov_b32_e32 v7, s11
	v_mul_f32_e32 v5, s1, v14
	v_mul_f32_e32 v6, s0, v14
	v_fma_f32 v5, v13, s0, -v5
	v_mad_i64_i32 v[0:1], s[2:3], s2, v4, 0
	v_fmac_f32_e32 v6, s1, v13
	v_lshlrev_b64 v[0:1], 3, v[0:1]
	v_add_co_u32_e32 v8, vcc, s10, v0
	v_addc_co_u32_e32 v7, vcc, v7, v1, vcc
	v_lshlrev_b64 v[0:1], 3, v[2:3]
	v_add_co_u32_e32 v0, vcc, v8, v0
	v_addc_co_u32_e32 v1, vcc, v7, v1, vcc
	v_cmp_eq_u32_e32 vcc, v2, v4
	flat_store_dwordx2 v[0:1], v[5:6]
	s_and_b64 exec, exec, vcc
	s_cbranch_execz .LBB810_4
; %bb.7:
	v_mov_b32_e32 v2, 0
	flat_store_dword v[0:1], v2 offset:4
	s_endpgm
	.section	.rodata,"a",@progbits
	.p2align	6, 0x0
	.amdhsa_kernel _ZL41rocblas_syrkx_herkx_small_restrict_kernelIi19rocblas_complex_numIfELi16ELb1ELb1ELc78ELc76EKPKS1_KPS1_EviT_T0_PT6_S7_lSA_S7_lS8_PT7_S7_li
		.amdhsa_group_segment_fixed_size 4096
		.amdhsa_private_segment_fixed_size 0
		.amdhsa_kernarg_size 100
		.amdhsa_user_sgpr_count 6
		.amdhsa_user_sgpr_private_segment_buffer 1
		.amdhsa_user_sgpr_dispatch_ptr 0
		.amdhsa_user_sgpr_queue_ptr 0
		.amdhsa_user_sgpr_kernarg_segment_ptr 1
		.amdhsa_user_sgpr_dispatch_id 0
		.amdhsa_user_sgpr_flat_scratch_init 0
		.amdhsa_user_sgpr_private_segment_size 0
		.amdhsa_uses_dynamic_stack 0
		.amdhsa_system_sgpr_private_segment_wavefront_offset 0
		.amdhsa_system_sgpr_workgroup_id_x 1
		.amdhsa_system_sgpr_workgroup_id_y 1
		.amdhsa_system_sgpr_workgroup_id_z 1
		.amdhsa_system_sgpr_workgroup_info 0
		.amdhsa_system_vgpr_workitem_id 1
		.amdhsa_next_free_vgpr 69
		.amdhsa_next_free_sgpr 20
		.amdhsa_reserve_vcc 1
		.amdhsa_reserve_flat_scratch 0
		.amdhsa_float_round_mode_32 0
		.amdhsa_float_round_mode_16_64 0
		.amdhsa_float_denorm_mode_32 3
		.amdhsa_float_denorm_mode_16_64 3
		.amdhsa_dx10_clamp 1
		.amdhsa_ieee_mode 1
		.amdhsa_fp16_overflow 0
		.amdhsa_exception_fp_ieee_invalid_op 0
		.amdhsa_exception_fp_denorm_src 0
		.amdhsa_exception_fp_ieee_div_zero 0
		.amdhsa_exception_fp_ieee_overflow 0
		.amdhsa_exception_fp_ieee_underflow 0
		.amdhsa_exception_fp_ieee_inexact 0
		.amdhsa_exception_int_div_zero 0
	.end_amdhsa_kernel
	.section	.text._ZL41rocblas_syrkx_herkx_small_restrict_kernelIi19rocblas_complex_numIfELi16ELb1ELb1ELc78ELc76EKPKS1_KPS1_EviT_T0_PT6_S7_lSA_S7_lS8_PT7_S7_li,"axG",@progbits,_ZL41rocblas_syrkx_herkx_small_restrict_kernelIi19rocblas_complex_numIfELi16ELb1ELb1ELc78ELc76EKPKS1_KPS1_EviT_T0_PT6_S7_lSA_S7_lS8_PT7_S7_li,comdat
.Lfunc_end810:
	.size	_ZL41rocblas_syrkx_herkx_small_restrict_kernelIi19rocblas_complex_numIfELi16ELb1ELb1ELc78ELc76EKPKS1_KPS1_EviT_T0_PT6_S7_lSA_S7_lS8_PT7_S7_li, .Lfunc_end810-_ZL41rocblas_syrkx_herkx_small_restrict_kernelIi19rocblas_complex_numIfELi16ELb1ELb1ELc78ELc76EKPKS1_KPS1_EviT_T0_PT6_S7_lSA_S7_lS8_PT7_S7_li
                                        ; -- End function
	.set _ZL41rocblas_syrkx_herkx_small_restrict_kernelIi19rocblas_complex_numIfELi16ELb1ELb1ELc78ELc76EKPKS1_KPS1_EviT_T0_PT6_S7_lSA_S7_lS8_PT7_S7_li.num_vgpr, 69
	.set _ZL41rocblas_syrkx_herkx_small_restrict_kernelIi19rocblas_complex_numIfELi16ELb1ELb1ELc78ELc76EKPKS1_KPS1_EviT_T0_PT6_S7_lSA_S7_lS8_PT7_S7_li.num_agpr, 0
	.set _ZL41rocblas_syrkx_herkx_small_restrict_kernelIi19rocblas_complex_numIfELi16ELb1ELb1ELc78ELc76EKPKS1_KPS1_EviT_T0_PT6_S7_lSA_S7_lS8_PT7_S7_li.numbered_sgpr, 20
	.set _ZL41rocblas_syrkx_herkx_small_restrict_kernelIi19rocblas_complex_numIfELi16ELb1ELb1ELc78ELc76EKPKS1_KPS1_EviT_T0_PT6_S7_lSA_S7_lS8_PT7_S7_li.num_named_barrier, 0
	.set _ZL41rocblas_syrkx_herkx_small_restrict_kernelIi19rocblas_complex_numIfELi16ELb1ELb1ELc78ELc76EKPKS1_KPS1_EviT_T0_PT6_S7_lSA_S7_lS8_PT7_S7_li.private_seg_size, 0
	.set _ZL41rocblas_syrkx_herkx_small_restrict_kernelIi19rocblas_complex_numIfELi16ELb1ELb1ELc78ELc76EKPKS1_KPS1_EviT_T0_PT6_S7_lSA_S7_lS8_PT7_S7_li.uses_vcc, 1
	.set _ZL41rocblas_syrkx_herkx_small_restrict_kernelIi19rocblas_complex_numIfELi16ELb1ELb1ELc78ELc76EKPKS1_KPS1_EviT_T0_PT6_S7_lSA_S7_lS8_PT7_S7_li.uses_flat_scratch, 0
	.set _ZL41rocblas_syrkx_herkx_small_restrict_kernelIi19rocblas_complex_numIfELi16ELb1ELb1ELc78ELc76EKPKS1_KPS1_EviT_T0_PT6_S7_lSA_S7_lS8_PT7_S7_li.has_dyn_sized_stack, 0
	.set _ZL41rocblas_syrkx_herkx_small_restrict_kernelIi19rocblas_complex_numIfELi16ELb1ELb1ELc78ELc76EKPKS1_KPS1_EviT_T0_PT6_S7_lSA_S7_lS8_PT7_S7_li.has_recursion, 0
	.set _ZL41rocblas_syrkx_herkx_small_restrict_kernelIi19rocblas_complex_numIfELi16ELb1ELb1ELc78ELc76EKPKS1_KPS1_EviT_T0_PT6_S7_lSA_S7_lS8_PT7_S7_li.has_indirect_call, 0
	.section	.AMDGPU.csdata,"",@progbits
; Kernel info:
; codeLenInByte = 1136
; TotalNumSgprs: 24
; NumVgprs: 69
; ScratchSize: 0
; MemoryBound: 0
; FloatMode: 240
; IeeeMode: 1
; LDSByteSize: 4096 bytes/workgroup (compile time only)
; SGPRBlocks: 2
; VGPRBlocks: 17
; NumSGPRsForWavesPerEU: 24
; NumVGPRsForWavesPerEU: 69
; Occupancy: 3
; WaveLimiterHint : 1
; COMPUTE_PGM_RSRC2:SCRATCH_EN: 0
; COMPUTE_PGM_RSRC2:USER_SGPR: 6
; COMPUTE_PGM_RSRC2:TRAP_HANDLER: 0
; COMPUTE_PGM_RSRC2:TGID_X_EN: 1
; COMPUTE_PGM_RSRC2:TGID_Y_EN: 1
; COMPUTE_PGM_RSRC2:TGID_Z_EN: 1
; COMPUTE_PGM_RSRC2:TIDIG_COMP_CNT: 1
	.section	.text._ZL41rocblas_syrkx_herkx_small_restrict_kernelIi19rocblas_complex_numIfELi16ELb1ELb1ELc84ELc85EKPKS1_KPS1_EviT_T0_PT6_S7_lSA_S7_lS8_PT7_S7_li,"axG",@progbits,_ZL41rocblas_syrkx_herkx_small_restrict_kernelIi19rocblas_complex_numIfELi16ELb1ELb1ELc84ELc85EKPKS1_KPS1_EviT_T0_PT6_S7_lSA_S7_lS8_PT7_S7_li,comdat
	.globl	_ZL41rocblas_syrkx_herkx_small_restrict_kernelIi19rocblas_complex_numIfELi16ELb1ELb1ELc84ELc85EKPKS1_KPS1_EviT_T0_PT6_S7_lSA_S7_lS8_PT7_S7_li ; -- Begin function _ZL41rocblas_syrkx_herkx_small_restrict_kernelIi19rocblas_complex_numIfELi16ELb1ELb1ELc84ELc85EKPKS1_KPS1_EviT_T0_PT6_S7_lSA_S7_lS8_PT7_S7_li
	.p2align	8
	.type	_ZL41rocblas_syrkx_herkx_small_restrict_kernelIi19rocblas_complex_numIfELi16ELb1ELb1ELc84ELc85EKPKS1_KPS1_EviT_T0_PT6_S7_lSA_S7_lS8_PT7_S7_li,@function
_ZL41rocblas_syrkx_herkx_small_restrict_kernelIi19rocblas_complex_numIfELi16ELb1ELb1ELc84ELc85EKPKS1_KPS1_EviT_T0_PT6_S7_lSA_S7_lS8_PT7_S7_li: ; @_ZL41rocblas_syrkx_herkx_small_restrict_kernelIi19rocblas_complex_numIfELi16ELb1ELb1ELc84ELc85EKPKS1_KPS1_EviT_T0_PT6_S7_lSA_S7_lS8_PT7_S7_li
; %bb.0:
	s_load_dwordx2 s[2:3], s[4:5], 0x48
	s_load_dword s10, s[4:5], 0x4
	s_load_dwordx4 s[12:15], s[4:5], 0x8
	s_mov_b32 s9, 0
	s_lshl_b64 s[0:1], s[8:9], 3
	s_waitcnt lgkmcnt(0)
	s_add_u32 s2, s2, s0
	s_addc_u32 s3, s3, s1
	s_load_dwordx2 s[2:3], s[2:3], 0x0
	v_lshl_add_u32 v2, s6, 4, v0
	s_cmp_lt_i32 s10, 1
	v_lshl_add_u32 v5, s7, 4, v1
	s_cbranch_scc1 .LBB811_5
; %bb.1:
	s_load_dwordx2 s[6:7], s[4:5], 0x28
	s_load_dword s8, s[4:5], 0x18
	s_load_dword s11, s[4:5], 0x30
	v_lshlrev_b32_e32 v6, 3, v0
	v_lshlrev_b32_e32 v8, 7, v1
	s_waitcnt lgkmcnt(0)
	s_add_u32 s6, s6, s0
	s_addc_u32 s7, s7, s1
	s_add_u32 s0, s14, s0
	s_addc_u32 s1, s15, s1
	v_mad_i64_i32 v[3:4], s[14:15], s11, v5, 0
	s_load_dwordx2 s[6:7], s[6:7], 0x0
	v_mad_i64_i32 v[11:12], s[14:15], s8, v2, 0
	v_lshlrev_b64 v[3:4], 3, v[3:4]
	s_load_dwordx2 s[0:1], s[0:1], 0x0
	v_add_co_u32_e32 v0, vcc, v3, v6
	v_addc_co_u32_e32 v4, vcc, 0, v4, vcc
	s_waitcnt lgkmcnt(0)
	v_mov_b32_e32 v13, s7
	v_add_co_u32_e32 v3, vcc, s6, v0
	v_lshlrev_b64 v[11:12], 3, v[11:12]
	v_addc_co_u32_e32 v4, vcc, v13, v4, vcc
	v_lshlrev_b32_e32 v0, 3, v1
	v_add_co_u32_e32 v0, vcc, v11, v0
	v_addc_co_u32_e32 v1, vcc, 0, v12, vcc
	v_add_u32_e32 v7, v6, v8
	v_add_u32_e32 v8, 0x800, v8
	v_mov_b32_e32 v11, s1
	v_add_co_u32_e32 v0, vcc, s0, v0
	v_add_u32_e32 v9, v8, v6
	v_mov_b32_e32 v10, 0
	v_addc_co_u32_e32 v1, vcc, v11, v1, vcc
	v_mov_b32_e32 v11, 0
.LBB811_2:                              ; =>This Inner Loop Header: Depth=1
	flat_load_dwordx2 v[12:13], v[0:1]
	s_add_i32 s9, s9, 16
	s_cmp_lt_i32 s9, s10
	s_waitcnt vmcnt(0) lgkmcnt(0)
	ds_write_b64 v7, v[12:13]
	flat_load_dwordx2 v[12:13], v[3:4]
	v_add_co_u32_e32 v3, vcc, 0x80, v3
	s_mov_b64 s[0:1], vcc
	v_add_co_u32_e32 v0, vcc, 0x80, v0
	v_addc_co_u32_e64 v4, s[0:1], 0, v4, s[0:1]
	v_addc_co_u32_e32 v1, vcc, 0, v1, vcc
	s_waitcnt vmcnt(0) lgkmcnt(0)
	ds_write_b64 v9, v[12:13]
	s_waitcnt lgkmcnt(0)
	s_barrier
	ds_read2_b64 v[12:15], v6 offset1:16
	ds_read_b128 v[16:19], v8
	ds_read_b128 v[20:23], v8 offset:16
	ds_read2_b64 v[24:27], v6 offset0:32 offset1:48
	ds_read2_b64 v[28:31], v6 offset0:64 offset1:80
	ds_read_b128 v[32:35], v8 offset:32
	ds_read_b128 v[36:39], v8 offset:48
	ds_read2_b64 v[40:43], v6 offset0:96 offset1:112
	ds_read2_b64 v[44:47], v6 offset0:128 offset1:144
	ds_read_b128 v[48:51], v8 offset:64
	ds_read_b128 v[52:55], v8 offset:80
	s_waitcnt lgkmcnt(9)
	v_mul_f32_e32 v56, v17, v13
	v_mul_f32_e32 v57, v16, v13
	;; [unrolled: 1-line block ×4, first 2 shown]
	v_fma_f32 v56, v16, v12, -v56
	v_fmac_f32_e32 v57, v17, v12
	v_fma_f32 v59, v18, v14, -v13
	v_fmac_f32_e32 v58, v19, v14
	s_waitcnt lgkmcnt(7)
	v_mul_f32_e32 v16, v21, v25
	v_mul_f32_e32 v60, v20, v25
	v_add_f32_e32 v11, v11, v56
	v_add_f32_e32 v10, v10, v57
	v_mul_f32_e32 v17, v23, v27
	v_mul_f32_e32 v61, v22, v27
	v_fma_f32 v62, v20, v24, -v16
	v_fmac_f32_e32 v60, v21, v24
	v_add_f32_e32 v11, v11, v59
	v_add_f32_e32 v10, v10, v58
	v_fma_f32 v63, v22, v26, -v17
	v_fmac_f32_e32 v61, v23, v26
	s_waitcnt lgkmcnt(5)
	v_mul_f32_e32 v20, v33, v29
	v_mul_f32_e32 v64, v32, v29
	v_add_f32_e32 v11, v11, v62
	v_add_f32_e32 v10, v10, v60
	ds_read2_b64 v[12:15], v6 offset0:160 offset1:176
	v_mul_f32_e32 v21, v35, v31
	v_mul_f32_e32 v65, v34, v31
	v_fma_f32 v32, v32, v28, -v20
	v_fmac_f32_e32 v64, v33, v28
	v_add_f32_e32 v11, v11, v63
	v_add_f32_e32 v10, v10, v61
	v_fma_f32 v33, v34, v30, -v21
	v_fmac_f32_e32 v65, v35, v30
	s_waitcnt lgkmcnt(4)
	v_mul_f32_e32 v24, v37, v41
	v_mul_f32_e32 v34, v36, v41
	v_add_f32_e32 v11, v11, v32
	v_add_f32_e32 v10, v10, v64
	ds_read2_b64 v[16:19], v6 offset0:192 offset1:208
	ds_read_b128 v[20:23], v8 offset:96
	v_mul_f32_e32 v25, v39, v43
	v_mul_f32_e32 v35, v38, v43
	v_fma_f32 v36, v36, v40, -v24
	v_fmac_f32_e32 v34, v37, v40
	v_add_f32_e32 v11, v11, v33
	v_add_f32_e32 v10, v10, v65
	v_fma_f32 v37, v38, v42, -v25
	v_fmac_f32_e32 v35, v39, v42
	s_waitcnt lgkmcnt(4)
	v_mul_f32_e32 v28, v49, v45
	v_mul_f32_e32 v38, v48, v45
	;; [unrolled: 1-line block ×3, first 2 shown]
	v_add_f32_e32 v11, v11, v36
	v_add_f32_e32 v10, v10, v34
	ds_read_b128 v[24:27], v8 offset:112
	v_mul_f32_e32 v39, v50, v47
	v_fma_f32 v40, v48, v44, -v28
	v_fmac_f32_e32 v38, v49, v44
	v_fma_f32 v41, v50, v46, -v29
	ds_read2_b64 v[28:31], v6 offset0:224 offset1:240
	v_add_f32_e32 v11, v11, v37
	v_add_f32_e32 v10, v10, v35
	v_fmac_f32_e32 v39, v51, v46
	s_waitcnt lgkmcnt(4)
	v_mul_f32_e32 v42, v53, v13
	v_mul_f32_e32 v13, v52, v13
	v_add_f32_e32 v11, v11, v40
	v_add_f32_e32 v10, v10, v38
	v_mul_f32_e32 v43, v55, v15
	v_mul_f32_e32 v15, v54, v15
	v_fma_f32 v42, v52, v12, -v42
	v_fmac_f32_e32 v13, v53, v12
	v_add_f32_e32 v11, v11, v41
	v_add_f32_e32 v10, v10, v39
	s_waitcnt lgkmcnt(2)
	v_mul_f32_e32 v44, v21, v17
	v_mul_f32_e32 v17, v20, v17
	v_fma_f32 v12, v54, v14, -v43
	v_fmac_f32_e32 v15, v55, v14
	v_add_f32_e32 v11, v11, v42
	v_add_f32_e32 v10, v10, v13
	v_mul_f32_e32 v14, v23, v19
	v_mul_f32_e32 v19, v22, v19
	v_fma_f32 v20, v20, v16, -v44
	v_fmac_f32_e32 v17, v21, v16
	v_add_f32_e32 v11, v11, v12
	v_add_f32_e32 v10, v10, v15
	s_waitcnt lgkmcnt(0)
	v_mul_f32_e32 v43, v25, v29
	v_mul_f32_e32 v29, v24, v29
	v_fma_f32 v14, v22, v18, -v14
	v_fmac_f32_e32 v19, v23, v18
	v_add_f32_e32 v11, v11, v20
	v_add_f32_e32 v10, v10, v17
	v_mul_f32_e32 v45, v27, v31
	v_mul_f32_e32 v31, v26, v31
	v_fma_f32 v16, v24, v28, -v43
	v_fmac_f32_e32 v29, v25, v28
	v_add_f32_e32 v11, v11, v14
	v_add_f32_e32 v10, v10, v19
	v_fma_f32 v18, v26, v30, -v45
	v_fmac_f32_e32 v31, v27, v30
	v_add_f32_e32 v11, v11, v16
	v_add_f32_e32 v10, v10, v29
	;; [unrolled: 1-line block ×4, first 2 shown]
	s_barrier
	s_cbranch_scc1 .LBB811_2
; %bb.3:
	v_cmp_le_i32_e32 vcc, v2, v5
	s_and_saveexec_b64 s[0:1], vcc
	s_cbranch_execnz .LBB811_6
.LBB811_4:
	s_endpgm
.LBB811_5:
	v_mov_b32_e32 v10, 0
	v_mov_b32_e32 v11, 0
	v_cmp_le_i32_e32 vcc, v2, v5
	s_and_saveexec_b64 s[0:1], vcc
	s_cbranch_execz .LBB811_4
.LBB811_6:
	s_load_dword s0, s[4:5], 0x50
	v_mul_f32_e32 v4, s13, v10
	v_ashrrev_i32_e32 v3, 31, v2
	s_waitcnt lgkmcnt(0)
	v_mov_b32_e32 v8, s3
	v_fma_f32 v6, v11, s12, -v4
	v_mad_i64_i32 v[0:1], s[0:1], s0, v5, 0
	v_mul_f32_e32 v7, s12, v10
	v_fmac_f32_e32 v7, s13, v11
	v_lshlrev_b64 v[0:1], 3, v[0:1]
	v_add_co_u32_e32 v4, vcc, s2, v0
	v_addc_co_u32_e32 v8, vcc, v8, v1, vcc
	v_lshlrev_b64 v[0:1], 3, v[2:3]
	v_add_co_u32_e32 v0, vcc, v4, v0
	v_addc_co_u32_e32 v1, vcc, v8, v1, vcc
	v_cmp_eq_u32_e32 vcc, v2, v5
	flat_store_dwordx2 v[0:1], v[6:7]
	s_and_b64 exec, exec, vcc
	s_cbranch_execz .LBB811_4
; %bb.7:
	v_mov_b32_e32 v2, 0
	flat_store_dword v[0:1], v2 offset:4
	s_endpgm
	.section	.rodata,"a",@progbits
	.p2align	6, 0x0
	.amdhsa_kernel _ZL41rocblas_syrkx_herkx_small_restrict_kernelIi19rocblas_complex_numIfELi16ELb1ELb1ELc84ELc85EKPKS1_KPS1_EviT_T0_PT6_S7_lSA_S7_lS8_PT7_S7_li
		.amdhsa_group_segment_fixed_size 4096
		.amdhsa_private_segment_fixed_size 0
		.amdhsa_kernarg_size 100
		.amdhsa_user_sgpr_count 6
		.amdhsa_user_sgpr_private_segment_buffer 1
		.amdhsa_user_sgpr_dispatch_ptr 0
		.amdhsa_user_sgpr_queue_ptr 0
		.amdhsa_user_sgpr_kernarg_segment_ptr 1
		.amdhsa_user_sgpr_dispatch_id 0
		.amdhsa_user_sgpr_flat_scratch_init 0
		.amdhsa_user_sgpr_private_segment_size 0
		.amdhsa_uses_dynamic_stack 0
		.amdhsa_system_sgpr_private_segment_wavefront_offset 0
		.amdhsa_system_sgpr_workgroup_id_x 1
		.amdhsa_system_sgpr_workgroup_id_y 1
		.amdhsa_system_sgpr_workgroup_id_z 1
		.amdhsa_system_sgpr_workgroup_info 0
		.amdhsa_system_vgpr_workitem_id 1
		.amdhsa_next_free_vgpr 66
		.amdhsa_next_free_sgpr 16
		.amdhsa_reserve_vcc 1
		.amdhsa_reserve_flat_scratch 0
		.amdhsa_float_round_mode_32 0
		.amdhsa_float_round_mode_16_64 0
		.amdhsa_float_denorm_mode_32 3
		.amdhsa_float_denorm_mode_16_64 3
		.amdhsa_dx10_clamp 1
		.amdhsa_ieee_mode 1
		.amdhsa_fp16_overflow 0
		.amdhsa_exception_fp_ieee_invalid_op 0
		.amdhsa_exception_fp_denorm_src 0
		.amdhsa_exception_fp_ieee_div_zero 0
		.amdhsa_exception_fp_ieee_overflow 0
		.amdhsa_exception_fp_ieee_underflow 0
		.amdhsa_exception_fp_ieee_inexact 0
		.amdhsa_exception_int_div_zero 0
	.end_amdhsa_kernel
	.section	.text._ZL41rocblas_syrkx_herkx_small_restrict_kernelIi19rocblas_complex_numIfELi16ELb1ELb1ELc84ELc85EKPKS1_KPS1_EviT_T0_PT6_S7_lSA_S7_lS8_PT7_S7_li,"axG",@progbits,_ZL41rocblas_syrkx_herkx_small_restrict_kernelIi19rocblas_complex_numIfELi16ELb1ELb1ELc84ELc85EKPKS1_KPS1_EviT_T0_PT6_S7_lSA_S7_lS8_PT7_S7_li,comdat
.Lfunc_end811:
	.size	_ZL41rocblas_syrkx_herkx_small_restrict_kernelIi19rocblas_complex_numIfELi16ELb1ELb1ELc84ELc85EKPKS1_KPS1_EviT_T0_PT6_S7_lSA_S7_lS8_PT7_S7_li, .Lfunc_end811-_ZL41rocblas_syrkx_herkx_small_restrict_kernelIi19rocblas_complex_numIfELi16ELb1ELb1ELc84ELc85EKPKS1_KPS1_EviT_T0_PT6_S7_lSA_S7_lS8_PT7_S7_li
                                        ; -- End function
	.set _ZL41rocblas_syrkx_herkx_small_restrict_kernelIi19rocblas_complex_numIfELi16ELb1ELb1ELc84ELc85EKPKS1_KPS1_EviT_T0_PT6_S7_lSA_S7_lS8_PT7_S7_li.num_vgpr, 66
	.set _ZL41rocblas_syrkx_herkx_small_restrict_kernelIi19rocblas_complex_numIfELi16ELb1ELb1ELc84ELc85EKPKS1_KPS1_EviT_T0_PT6_S7_lSA_S7_lS8_PT7_S7_li.num_agpr, 0
	.set _ZL41rocblas_syrkx_herkx_small_restrict_kernelIi19rocblas_complex_numIfELi16ELb1ELb1ELc84ELc85EKPKS1_KPS1_EviT_T0_PT6_S7_lSA_S7_lS8_PT7_S7_li.numbered_sgpr, 16
	.set _ZL41rocblas_syrkx_herkx_small_restrict_kernelIi19rocblas_complex_numIfELi16ELb1ELb1ELc84ELc85EKPKS1_KPS1_EviT_T0_PT6_S7_lSA_S7_lS8_PT7_S7_li.num_named_barrier, 0
	.set _ZL41rocblas_syrkx_herkx_small_restrict_kernelIi19rocblas_complex_numIfELi16ELb1ELb1ELc84ELc85EKPKS1_KPS1_EviT_T0_PT6_S7_lSA_S7_lS8_PT7_S7_li.private_seg_size, 0
	.set _ZL41rocblas_syrkx_herkx_small_restrict_kernelIi19rocblas_complex_numIfELi16ELb1ELb1ELc84ELc85EKPKS1_KPS1_EviT_T0_PT6_S7_lSA_S7_lS8_PT7_S7_li.uses_vcc, 1
	.set _ZL41rocblas_syrkx_herkx_small_restrict_kernelIi19rocblas_complex_numIfELi16ELb1ELb1ELc84ELc85EKPKS1_KPS1_EviT_T0_PT6_S7_lSA_S7_lS8_PT7_S7_li.uses_flat_scratch, 0
	.set _ZL41rocblas_syrkx_herkx_small_restrict_kernelIi19rocblas_complex_numIfELi16ELb1ELb1ELc84ELc85EKPKS1_KPS1_EviT_T0_PT6_S7_lSA_S7_lS8_PT7_S7_li.has_dyn_sized_stack, 0
	.set _ZL41rocblas_syrkx_herkx_small_restrict_kernelIi19rocblas_complex_numIfELi16ELb1ELb1ELc84ELc85EKPKS1_KPS1_EviT_T0_PT6_S7_lSA_S7_lS8_PT7_S7_li.has_recursion, 0
	.set _ZL41rocblas_syrkx_herkx_small_restrict_kernelIi19rocblas_complex_numIfELi16ELb1ELb1ELc84ELc85EKPKS1_KPS1_EviT_T0_PT6_S7_lSA_S7_lS8_PT7_S7_li.has_indirect_call, 0
	.section	.AMDGPU.csdata,"",@progbits
; Kernel info:
; codeLenInByte = 1104
; TotalNumSgprs: 20
; NumVgprs: 66
; ScratchSize: 0
; MemoryBound: 0
; FloatMode: 240
; IeeeMode: 1
; LDSByteSize: 4096 bytes/workgroup (compile time only)
; SGPRBlocks: 2
; VGPRBlocks: 16
; NumSGPRsForWavesPerEU: 20
; NumVGPRsForWavesPerEU: 66
; Occupancy: 3
; WaveLimiterHint : 1
; COMPUTE_PGM_RSRC2:SCRATCH_EN: 0
; COMPUTE_PGM_RSRC2:USER_SGPR: 6
; COMPUTE_PGM_RSRC2:TRAP_HANDLER: 0
; COMPUTE_PGM_RSRC2:TGID_X_EN: 1
; COMPUTE_PGM_RSRC2:TGID_Y_EN: 1
; COMPUTE_PGM_RSRC2:TGID_Z_EN: 1
; COMPUTE_PGM_RSRC2:TIDIG_COMP_CNT: 1
	.section	.text._ZL41rocblas_syrkx_herkx_small_restrict_kernelIi19rocblas_complex_numIfELi16ELb1ELb1ELc67ELc85EKPKS1_KPS1_EviT_T0_PT6_S7_lSA_S7_lS8_PT7_S7_li,"axG",@progbits,_ZL41rocblas_syrkx_herkx_small_restrict_kernelIi19rocblas_complex_numIfELi16ELb1ELb1ELc67ELc85EKPKS1_KPS1_EviT_T0_PT6_S7_lSA_S7_lS8_PT7_S7_li,comdat
	.globl	_ZL41rocblas_syrkx_herkx_small_restrict_kernelIi19rocblas_complex_numIfELi16ELb1ELb1ELc67ELc85EKPKS1_KPS1_EviT_T0_PT6_S7_lSA_S7_lS8_PT7_S7_li ; -- Begin function _ZL41rocblas_syrkx_herkx_small_restrict_kernelIi19rocblas_complex_numIfELi16ELb1ELb1ELc67ELc85EKPKS1_KPS1_EviT_T0_PT6_S7_lSA_S7_lS8_PT7_S7_li
	.p2align	8
	.type	_ZL41rocblas_syrkx_herkx_small_restrict_kernelIi19rocblas_complex_numIfELi16ELb1ELb1ELc67ELc85EKPKS1_KPS1_EviT_T0_PT6_S7_lSA_S7_lS8_PT7_S7_li,@function
_ZL41rocblas_syrkx_herkx_small_restrict_kernelIi19rocblas_complex_numIfELi16ELb1ELb1ELc67ELc85EKPKS1_KPS1_EviT_T0_PT6_S7_lSA_S7_lS8_PT7_S7_li: ; @_ZL41rocblas_syrkx_herkx_small_restrict_kernelIi19rocblas_complex_numIfELi16ELb1ELb1ELc67ELc85EKPKS1_KPS1_EviT_T0_PT6_S7_lSA_S7_lS8_PT7_S7_li
; %bb.0:
	s_load_dwordx2 s[2:3], s[4:5], 0x48
	s_load_dword s10, s[4:5], 0x4
	s_load_dwordx4 s[12:15], s[4:5], 0x8
	s_mov_b32 s9, 0
	s_lshl_b64 s[0:1], s[8:9], 3
	s_waitcnt lgkmcnt(0)
	s_add_u32 s2, s2, s0
	s_addc_u32 s3, s3, s1
	s_load_dwordx2 s[2:3], s[2:3], 0x0
	v_lshl_add_u32 v2, s6, 4, v0
	s_cmp_lt_i32 s10, 1
	v_lshl_add_u32 v5, s7, 4, v1
	s_cbranch_scc1 .LBB812_5
; %bb.1:
	s_load_dwordx2 s[6:7], s[4:5], 0x28
	s_load_dword s8, s[4:5], 0x18
	s_load_dword s11, s[4:5], 0x30
	v_lshlrev_b32_e32 v6, 3, v0
	v_lshlrev_b32_e32 v8, 7, v1
	s_waitcnt lgkmcnt(0)
	s_add_u32 s6, s6, s0
	s_addc_u32 s7, s7, s1
	s_add_u32 s0, s14, s0
	s_addc_u32 s1, s15, s1
	v_mad_i64_i32 v[3:4], s[14:15], s11, v5, 0
	s_load_dwordx2 s[6:7], s[6:7], 0x0
	v_mad_i64_i32 v[11:12], s[14:15], s8, v2, 0
	v_lshlrev_b64 v[3:4], 3, v[3:4]
	s_load_dwordx2 s[0:1], s[0:1], 0x0
	v_add_co_u32_e32 v0, vcc, v3, v6
	v_addc_co_u32_e32 v4, vcc, 0, v4, vcc
	s_waitcnt lgkmcnt(0)
	v_mov_b32_e32 v13, s7
	v_add_co_u32_e32 v3, vcc, s6, v0
	v_lshlrev_b64 v[11:12], 3, v[11:12]
	v_addc_co_u32_e32 v4, vcc, v13, v4, vcc
	v_lshlrev_b32_e32 v0, 3, v1
	v_add_co_u32_e32 v0, vcc, v11, v0
	v_addc_co_u32_e32 v1, vcc, 0, v12, vcc
	v_add_u32_e32 v7, v6, v8
	v_add_u32_e32 v8, 0x800, v8
	v_mov_b32_e32 v11, s1
	v_add_co_u32_e32 v0, vcc, s0, v0
	v_add_u32_e32 v9, v8, v6
	v_mov_b32_e32 v10, 0
	v_addc_co_u32_e32 v1, vcc, v11, v1, vcc
	v_mov_b32_e32 v11, 0
.LBB812_2:                              ; =>This Inner Loop Header: Depth=1
	flat_load_dwordx2 v[12:13], v[0:1]
	s_add_i32 s9, s9, 16
	s_cmp_lt_i32 s9, s10
	s_waitcnt vmcnt(0) lgkmcnt(0)
	v_xor_b32_e32 v13, 0x80000000, v13
	ds_write_b64 v7, v[12:13]
	flat_load_dwordx2 v[12:13], v[3:4]
	v_add_co_u32_e32 v3, vcc, 0x80, v3
	s_mov_b64 s[0:1], vcc
	v_add_co_u32_e32 v0, vcc, 0x80, v0
	v_addc_co_u32_e64 v4, s[0:1], 0, v4, s[0:1]
	v_addc_co_u32_e32 v1, vcc, 0, v1, vcc
	s_waitcnt vmcnt(0) lgkmcnt(0)
	ds_write_b64 v9, v[12:13]
	s_waitcnt lgkmcnt(0)
	s_barrier
	ds_read2_b64 v[12:15], v6 offset1:16
	ds_read_b128 v[16:19], v8
	ds_read_b128 v[20:23], v8 offset:16
	ds_read2_b64 v[24:27], v6 offset0:32 offset1:48
	ds_read2_b64 v[28:31], v6 offset0:64 offset1:80
	ds_read_b128 v[32:35], v8 offset:32
	ds_read_b128 v[36:39], v8 offset:48
	ds_read2_b64 v[40:43], v6 offset0:96 offset1:112
	ds_read2_b64 v[44:47], v6 offset0:128 offset1:144
	ds_read_b128 v[48:51], v8 offset:64
	ds_read_b128 v[52:55], v8 offset:80
	s_waitcnt lgkmcnt(9)
	v_mul_f32_e32 v56, v17, v13
	v_mul_f32_e32 v57, v16, v13
	;; [unrolled: 1-line block ×4, first 2 shown]
	v_fma_f32 v56, v16, v12, -v56
	v_fmac_f32_e32 v57, v17, v12
	v_fma_f32 v59, v18, v14, -v13
	v_fmac_f32_e32 v58, v19, v14
	s_waitcnt lgkmcnt(7)
	v_mul_f32_e32 v16, v21, v25
	v_mul_f32_e32 v60, v20, v25
	v_add_f32_e32 v11, v11, v56
	v_add_f32_e32 v10, v10, v57
	v_mul_f32_e32 v17, v23, v27
	v_mul_f32_e32 v61, v22, v27
	v_fma_f32 v62, v20, v24, -v16
	v_fmac_f32_e32 v60, v21, v24
	v_add_f32_e32 v11, v11, v59
	v_add_f32_e32 v10, v10, v58
	v_fma_f32 v63, v22, v26, -v17
	v_fmac_f32_e32 v61, v23, v26
	s_waitcnt lgkmcnt(5)
	v_mul_f32_e32 v20, v33, v29
	v_mul_f32_e32 v64, v32, v29
	v_add_f32_e32 v11, v11, v62
	v_add_f32_e32 v10, v10, v60
	ds_read2_b64 v[12:15], v6 offset0:160 offset1:176
	v_mul_f32_e32 v21, v35, v31
	v_mul_f32_e32 v65, v34, v31
	v_fma_f32 v32, v32, v28, -v20
	v_fmac_f32_e32 v64, v33, v28
	v_add_f32_e32 v11, v11, v63
	v_add_f32_e32 v10, v10, v61
	v_fma_f32 v33, v34, v30, -v21
	v_fmac_f32_e32 v65, v35, v30
	s_waitcnt lgkmcnt(4)
	v_mul_f32_e32 v24, v37, v41
	v_mul_f32_e32 v34, v36, v41
	v_add_f32_e32 v11, v11, v32
	v_add_f32_e32 v10, v10, v64
	ds_read2_b64 v[16:19], v6 offset0:192 offset1:208
	ds_read_b128 v[20:23], v8 offset:96
	v_mul_f32_e32 v25, v39, v43
	v_mul_f32_e32 v35, v38, v43
	v_fma_f32 v36, v36, v40, -v24
	v_fmac_f32_e32 v34, v37, v40
	v_add_f32_e32 v11, v11, v33
	v_add_f32_e32 v10, v10, v65
	v_fma_f32 v37, v38, v42, -v25
	v_fmac_f32_e32 v35, v39, v42
	s_waitcnt lgkmcnt(4)
	v_mul_f32_e32 v28, v49, v45
	v_mul_f32_e32 v38, v48, v45
	;; [unrolled: 1-line block ×3, first 2 shown]
	v_add_f32_e32 v11, v11, v36
	v_add_f32_e32 v10, v10, v34
	ds_read_b128 v[24:27], v8 offset:112
	v_mul_f32_e32 v39, v50, v47
	v_fma_f32 v40, v48, v44, -v28
	v_fmac_f32_e32 v38, v49, v44
	v_fma_f32 v41, v50, v46, -v29
	ds_read2_b64 v[28:31], v6 offset0:224 offset1:240
	v_add_f32_e32 v11, v11, v37
	v_add_f32_e32 v10, v10, v35
	v_fmac_f32_e32 v39, v51, v46
	s_waitcnt lgkmcnt(4)
	v_mul_f32_e32 v42, v53, v13
	v_mul_f32_e32 v13, v52, v13
	v_add_f32_e32 v11, v11, v40
	v_add_f32_e32 v10, v10, v38
	v_mul_f32_e32 v43, v55, v15
	v_mul_f32_e32 v15, v54, v15
	v_fma_f32 v42, v52, v12, -v42
	v_fmac_f32_e32 v13, v53, v12
	v_add_f32_e32 v11, v11, v41
	v_add_f32_e32 v10, v10, v39
	s_waitcnt lgkmcnt(2)
	v_mul_f32_e32 v44, v21, v17
	v_mul_f32_e32 v17, v20, v17
	v_fma_f32 v12, v54, v14, -v43
	v_fmac_f32_e32 v15, v55, v14
	v_add_f32_e32 v11, v11, v42
	v_add_f32_e32 v10, v10, v13
	v_mul_f32_e32 v14, v23, v19
	v_mul_f32_e32 v19, v22, v19
	v_fma_f32 v20, v20, v16, -v44
	v_fmac_f32_e32 v17, v21, v16
	v_add_f32_e32 v11, v11, v12
	v_add_f32_e32 v10, v10, v15
	s_waitcnt lgkmcnt(0)
	v_mul_f32_e32 v43, v25, v29
	v_mul_f32_e32 v29, v24, v29
	v_fma_f32 v14, v22, v18, -v14
	v_fmac_f32_e32 v19, v23, v18
	v_add_f32_e32 v11, v11, v20
	v_add_f32_e32 v10, v10, v17
	v_mul_f32_e32 v45, v27, v31
	v_mul_f32_e32 v31, v26, v31
	v_fma_f32 v16, v24, v28, -v43
	v_fmac_f32_e32 v29, v25, v28
	v_add_f32_e32 v11, v11, v14
	v_add_f32_e32 v10, v10, v19
	v_fma_f32 v18, v26, v30, -v45
	v_fmac_f32_e32 v31, v27, v30
	v_add_f32_e32 v11, v11, v16
	v_add_f32_e32 v10, v10, v29
	;; [unrolled: 1-line block ×4, first 2 shown]
	s_barrier
	s_cbranch_scc1 .LBB812_2
; %bb.3:
	v_cmp_le_i32_e32 vcc, v2, v5
	s_and_saveexec_b64 s[0:1], vcc
	s_cbranch_execnz .LBB812_6
.LBB812_4:
	s_endpgm
.LBB812_5:
	v_mov_b32_e32 v10, 0
	v_mov_b32_e32 v11, 0
	v_cmp_le_i32_e32 vcc, v2, v5
	s_and_saveexec_b64 s[0:1], vcc
	s_cbranch_execz .LBB812_4
.LBB812_6:
	s_load_dword s0, s[4:5], 0x50
	v_mul_f32_e32 v4, s13, v10
	v_ashrrev_i32_e32 v3, 31, v2
	s_waitcnt lgkmcnt(0)
	v_mov_b32_e32 v8, s3
	v_fma_f32 v6, v11, s12, -v4
	v_mad_i64_i32 v[0:1], s[0:1], s0, v5, 0
	v_mul_f32_e32 v7, s12, v10
	v_fmac_f32_e32 v7, s13, v11
	v_lshlrev_b64 v[0:1], 3, v[0:1]
	v_add_co_u32_e32 v4, vcc, s2, v0
	v_addc_co_u32_e32 v8, vcc, v8, v1, vcc
	v_lshlrev_b64 v[0:1], 3, v[2:3]
	v_add_co_u32_e32 v0, vcc, v4, v0
	v_addc_co_u32_e32 v1, vcc, v8, v1, vcc
	v_cmp_eq_u32_e32 vcc, v2, v5
	flat_store_dwordx2 v[0:1], v[6:7]
	s_and_b64 exec, exec, vcc
	s_cbranch_execz .LBB812_4
; %bb.7:
	v_mov_b32_e32 v2, 0
	flat_store_dword v[0:1], v2 offset:4
	s_endpgm
	.section	.rodata,"a",@progbits
	.p2align	6, 0x0
	.amdhsa_kernel _ZL41rocblas_syrkx_herkx_small_restrict_kernelIi19rocblas_complex_numIfELi16ELb1ELb1ELc67ELc85EKPKS1_KPS1_EviT_T0_PT6_S7_lSA_S7_lS8_PT7_S7_li
		.amdhsa_group_segment_fixed_size 4096
		.amdhsa_private_segment_fixed_size 0
		.amdhsa_kernarg_size 100
		.amdhsa_user_sgpr_count 6
		.amdhsa_user_sgpr_private_segment_buffer 1
		.amdhsa_user_sgpr_dispatch_ptr 0
		.amdhsa_user_sgpr_queue_ptr 0
		.amdhsa_user_sgpr_kernarg_segment_ptr 1
		.amdhsa_user_sgpr_dispatch_id 0
		.amdhsa_user_sgpr_flat_scratch_init 0
		.amdhsa_user_sgpr_private_segment_size 0
		.amdhsa_uses_dynamic_stack 0
		.amdhsa_system_sgpr_private_segment_wavefront_offset 0
		.amdhsa_system_sgpr_workgroup_id_x 1
		.amdhsa_system_sgpr_workgroup_id_y 1
		.amdhsa_system_sgpr_workgroup_id_z 1
		.amdhsa_system_sgpr_workgroup_info 0
		.amdhsa_system_vgpr_workitem_id 1
		.amdhsa_next_free_vgpr 66
		.amdhsa_next_free_sgpr 16
		.amdhsa_reserve_vcc 1
		.amdhsa_reserve_flat_scratch 0
		.amdhsa_float_round_mode_32 0
		.amdhsa_float_round_mode_16_64 0
		.amdhsa_float_denorm_mode_32 3
		.amdhsa_float_denorm_mode_16_64 3
		.amdhsa_dx10_clamp 1
		.amdhsa_ieee_mode 1
		.amdhsa_fp16_overflow 0
		.amdhsa_exception_fp_ieee_invalid_op 0
		.amdhsa_exception_fp_denorm_src 0
		.amdhsa_exception_fp_ieee_div_zero 0
		.amdhsa_exception_fp_ieee_overflow 0
		.amdhsa_exception_fp_ieee_underflow 0
		.amdhsa_exception_fp_ieee_inexact 0
		.amdhsa_exception_int_div_zero 0
	.end_amdhsa_kernel
	.section	.text._ZL41rocblas_syrkx_herkx_small_restrict_kernelIi19rocblas_complex_numIfELi16ELb1ELb1ELc67ELc85EKPKS1_KPS1_EviT_T0_PT6_S7_lSA_S7_lS8_PT7_S7_li,"axG",@progbits,_ZL41rocblas_syrkx_herkx_small_restrict_kernelIi19rocblas_complex_numIfELi16ELb1ELb1ELc67ELc85EKPKS1_KPS1_EviT_T0_PT6_S7_lSA_S7_lS8_PT7_S7_li,comdat
.Lfunc_end812:
	.size	_ZL41rocblas_syrkx_herkx_small_restrict_kernelIi19rocblas_complex_numIfELi16ELb1ELb1ELc67ELc85EKPKS1_KPS1_EviT_T0_PT6_S7_lSA_S7_lS8_PT7_S7_li, .Lfunc_end812-_ZL41rocblas_syrkx_herkx_small_restrict_kernelIi19rocblas_complex_numIfELi16ELb1ELb1ELc67ELc85EKPKS1_KPS1_EviT_T0_PT6_S7_lSA_S7_lS8_PT7_S7_li
                                        ; -- End function
	.set _ZL41rocblas_syrkx_herkx_small_restrict_kernelIi19rocblas_complex_numIfELi16ELb1ELb1ELc67ELc85EKPKS1_KPS1_EviT_T0_PT6_S7_lSA_S7_lS8_PT7_S7_li.num_vgpr, 66
	.set _ZL41rocblas_syrkx_herkx_small_restrict_kernelIi19rocblas_complex_numIfELi16ELb1ELb1ELc67ELc85EKPKS1_KPS1_EviT_T0_PT6_S7_lSA_S7_lS8_PT7_S7_li.num_agpr, 0
	.set _ZL41rocblas_syrkx_herkx_small_restrict_kernelIi19rocblas_complex_numIfELi16ELb1ELb1ELc67ELc85EKPKS1_KPS1_EviT_T0_PT6_S7_lSA_S7_lS8_PT7_S7_li.numbered_sgpr, 16
	.set _ZL41rocblas_syrkx_herkx_small_restrict_kernelIi19rocblas_complex_numIfELi16ELb1ELb1ELc67ELc85EKPKS1_KPS1_EviT_T0_PT6_S7_lSA_S7_lS8_PT7_S7_li.num_named_barrier, 0
	.set _ZL41rocblas_syrkx_herkx_small_restrict_kernelIi19rocblas_complex_numIfELi16ELb1ELb1ELc67ELc85EKPKS1_KPS1_EviT_T0_PT6_S7_lSA_S7_lS8_PT7_S7_li.private_seg_size, 0
	.set _ZL41rocblas_syrkx_herkx_small_restrict_kernelIi19rocblas_complex_numIfELi16ELb1ELb1ELc67ELc85EKPKS1_KPS1_EviT_T0_PT6_S7_lSA_S7_lS8_PT7_S7_li.uses_vcc, 1
	.set _ZL41rocblas_syrkx_herkx_small_restrict_kernelIi19rocblas_complex_numIfELi16ELb1ELb1ELc67ELc85EKPKS1_KPS1_EviT_T0_PT6_S7_lSA_S7_lS8_PT7_S7_li.uses_flat_scratch, 0
	.set _ZL41rocblas_syrkx_herkx_small_restrict_kernelIi19rocblas_complex_numIfELi16ELb1ELb1ELc67ELc85EKPKS1_KPS1_EviT_T0_PT6_S7_lSA_S7_lS8_PT7_S7_li.has_dyn_sized_stack, 0
	.set _ZL41rocblas_syrkx_herkx_small_restrict_kernelIi19rocblas_complex_numIfELi16ELb1ELb1ELc67ELc85EKPKS1_KPS1_EviT_T0_PT6_S7_lSA_S7_lS8_PT7_S7_li.has_recursion, 0
	.set _ZL41rocblas_syrkx_herkx_small_restrict_kernelIi19rocblas_complex_numIfELi16ELb1ELb1ELc67ELc85EKPKS1_KPS1_EviT_T0_PT6_S7_lSA_S7_lS8_PT7_S7_li.has_indirect_call, 0
	.section	.AMDGPU.csdata,"",@progbits
; Kernel info:
; codeLenInByte = 1112
; TotalNumSgprs: 20
; NumVgprs: 66
; ScratchSize: 0
; MemoryBound: 0
; FloatMode: 240
; IeeeMode: 1
; LDSByteSize: 4096 bytes/workgroup (compile time only)
; SGPRBlocks: 2
; VGPRBlocks: 16
; NumSGPRsForWavesPerEU: 20
; NumVGPRsForWavesPerEU: 66
; Occupancy: 3
; WaveLimiterHint : 1
; COMPUTE_PGM_RSRC2:SCRATCH_EN: 0
; COMPUTE_PGM_RSRC2:USER_SGPR: 6
; COMPUTE_PGM_RSRC2:TRAP_HANDLER: 0
; COMPUTE_PGM_RSRC2:TGID_X_EN: 1
; COMPUTE_PGM_RSRC2:TGID_Y_EN: 1
; COMPUTE_PGM_RSRC2:TGID_Z_EN: 1
; COMPUTE_PGM_RSRC2:TIDIG_COMP_CNT: 1
	.section	.text._ZL41rocblas_syrkx_herkx_small_restrict_kernelIi19rocblas_complex_numIfELi16ELb1ELb1ELc78ELc85EKPKS1_KPS1_EviT_T0_PT6_S7_lSA_S7_lS8_PT7_S7_li,"axG",@progbits,_ZL41rocblas_syrkx_herkx_small_restrict_kernelIi19rocblas_complex_numIfELi16ELb1ELb1ELc78ELc85EKPKS1_KPS1_EviT_T0_PT6_S7_lSA_S7_lS8_PT7_S7_li,comdat
	.globl	_ZL41rocblas_syrkx_herkx_small_restrict_kernelIi19rocblas_complex_numIfELi16ELb1ELb1ELc78ELc85EKPKS1_KPS1_EviT_T0_PT6_S7_lSA_S7_lS8_PT7_S7_li ; -- Begin function _ZL41rocblas_syrkx_herkx_small_restrict_kernelIi19rocblas_complex_numIfELi16ELb1ELb1ELc78ELc85EKPKS1_KPS1_EviT_T0_PT6_S7_lSA_S7_lS8_PT7_S7_li
	.p2align	8
	.type	_ZL41rocblas_syrkx_herkx_small_restrict_kernelIi19rocblas_complex_numIfELi16ELb1ELb1ELc78ELc85EKPKS1_KPS1_EviT_T0_PT6_S7_lSA_S7_lS8_PT7_S7_li,@function
_ZL41rocblas_syrkx_herkx_small_restrict_kernelIi19rocblas_complex_numIfELi16ELb1ELb1ELc78ELc85EKPKS1_KPS1_EviT_T0_PT6_S7_lSA_S7_lS8_PT7_S7_li: ; @_ZL41rocblas_syrkx_herkx_small_restrict_kernelIi19rocblas_complex_numIfELi16ELb1ELb1ELc78ELc85EKPKS1_KPS1_EviT_T0_PT6_S7_lSA_S7_lS8_PT7_S7_li
; %bb.0:
	s_load_dwordx2 s[10:11], s[4:5], 0x48
	s_load_dword s14, s[4:5], 0x4
	s_load_dwordx4 s[0:3], s[4:5], 0x8
	s_mov_b32 s9, 0
	s_lshl_b64 s[12:13], s[8:9], 3
	s_waitcnt lgkmcnt(0)
	s_add_u32 s10, s10, s12
	s_addc_u32 s11, s11, s13
	s_load_dwordx2 s[10:11], s[10:11], 0x0
	v_lshl_add_u32 v2, s6, 4, v0
	v_lshl_add_u32 v4, s7, 4, v1
	s_cmp_lt_i32 s14, 1
	v_ashrrev_i32_e32 v3, 31, v2
	s_cbranch_scc1 .LBB813_5
; %bb.1:
	s_load_dword s6, s[4:5], 0x18
	s_load_dword s16, s[4:5], 0x30
	s_load_dwordx2 s[18:19], s[4:5], 0x28
	v_lshlrev_b32_e32 v6, 7, v1
	v_lshlrev_b32_e32 v7, 3, v0
	s_waitcnt lgkmcnt(0)
	s_ashr_i32 s7, s6, 31
	s_ashr_i32 s17, s16, 31
	s_add_u32 s18, s18, s12
	s_addc_u32 s19, s19, s13
	s_add_u32 s2, s2, s12
	s_addc_u32 s3, s3, s13
	s_load_dwordx2 s[12:13], s[2:3], 0x0
	v_mad_i64_i32 v[11:12], s[2:3], s16, v0, 0
	v_ashrrev_i32_e32 v5, 31, v4
	v_add_u32_e32 v8, v7, v6
	v_add_u32_e32 v9, 0x800, v6
	v_lshlrev_b64 v[11:12], 3, v[11:12]
	v_lshlrev_b64 v[5:6], 3, v[4:5]
	s_load_dwordx2 s[18:19], s[18:19], 0x0
	v_add_co_u32_e32 v0, vcc, v11, v5
	v_addc_co_u32_e32 v11, vcc, v12, v6, vcc
	v_mad_i64_i32 v[5:6], s[2:3], s6, v1, 0
	s_waitcnt lgkmcnt(0)
	v_mov_b32_e32 v12, s19
	v_add_co_u32_e32 v0, vcc, s18, v0
	v_addc_co_u32_e32 v1, vcc, v12, v11, vcc
	v_lshlrev_b64 v[5:6], 3, v[5:6]
	v_lshlrev_b64 v[11:12], 3, v[2:3]
	s_lshl_b64 s[2:3], s[16:17], 7
	v_add_co_u32_e32 v5, vcc, v5, v11
	v_addc_co_u32_e32 v6, vcc, v6, v12, vcc
	v_mov_b32_e32 v11, s13
	v_add_co_u32_e32 v5, vcc, s12, v5
	s_lshl_b64 s[6:7], s[6:7], 7
	v_add_u32_e32 v10, v9, v7
	v_addc_co_u32_e32 v6, vcc, v11, v6, vcc
	v_mov_b32_e32 v14, 0
	v_mov_b32_e32 v11, s3
	;; [unrolled: 1-line block ×4, first 2 shown]
.LBB813_2:                              ; =>This Inner Loop Header: Depth=1
	flat_load_dwordx2 v[15:16], v[5:6]
	v_add_co_u32_e32 v5, vcc, s6, v5
	v_addc_co_u32_e32 v6, vcc, v6, v12, vcc
	s_add_i32 s9, s9, 16
	s_cmp_lt_i32 s9, s14
	s_waitcnt vmcnt(0) lgkmcnt(0)
	ds_write_b64 v8, v[15:16]
	flat_load_dwordx2 v[15:16], v[0:1]
	v_add_co_u32_e32 v0, vcc, s2, v0
	v_addc_co_u32_e32 v1, vcc, v1, v11, vcc
	s_waitcnt vmcnt(0) lgkmcnt(0)
	v_xor_b32_e32 v16, 0x80000000, v16
	ds_write_b64 v10, v[15:16]
	s_waitcnt lgkmcnt(0)
	s_barrier
	ds_read2_b64 v[15:18], v7 offset1:16
	ds_read_b128 v[19:22], v9
	ds_read_b128 v[23:26], v9 offset:16
	ds_read2_b64 v[27:30], v7 offset0:32 offset1:48
	ds_read2_b64 v[31:34], v7 offset0:64 offset1:80
	ds_read_b128 v[35:38], v9 offset:32
	ds_read_b128 v[39:42], v9 offset:48
	ds_read2_b64 v[43:46], v7 offset0:96 offset1:112
	ds_read2_b64 v[47:50], v7 offset0:128 offset1:144
	ds_read_b128 v[51:54], v9 offset:64
	ds_read_b128 v[55:58], v9 offset:80
	s_waitcnt lgkmcnt(9)
	v_mul_f32_e32 v59, v20, v16
	v_mul_f32_e32 v60, v19, v16
	;; [unrolled: 1-line block ×4, first 2 shown]
	v_fma_f32 v59, v19, v15, -v59
	v_fmac_f32_e32 v60, v20, v15
	v_fma_f32 v62, v21, v17, -v16
	v_fmac_f32_e32 v61, v22, v17
	s_waitcnt lgkmcnt(7)
	v_mul_f32_e32 v19, v24, v28
	v_mul_f32_e32 v63, v23, v28
	v_add_f32_e32 v13, v13, v59
	v_add_f32_e32 v14, v14, v60
	v_mul_f32_e32 v20, v26, v30
	v_mul_f32_e32 v64, v25, v30
	v_fma_f32 v65, v23, v27, -v19
	v_fmac_f32_e32 v63, v24, v27
	v_add_f32_e32 v13, v13, v62
	v_add_f32_e32 v14, v14, v61
	v_fma_f32 v66, v25, v29, -v20
	v_fmac_f32_e32 v64, v26, v29
	s_waitcnt lgkmcnt(5)
	v_mul_f32_e32 v23, v36, v32
	v_mul_f32_e32 v67, v35, v32
	v_add_f32_e32 v13, v13, v65
	v_add_f32_e32 v14, v14, v63
	ds_read2_b64 v[15:18], v7 offset0:160 offset1:176
	v_mul_f32_e32 v24, v38, v34
	v_mul_f32_e32 v68, v37, v34
	v_fma_f32 v35, v35, v31, -v23
	v_fmac_f32_e32 v67, v36, v31
	v_add_f32_e32 v13, v13, v66
	v_add_f32_e32 v14, v14, v64
	v_fma_f32 v36, v37, v33, -v24
	v_fmac_f32_e32 v68, v38, v33
	s_waitcnt lgkmcnt(4)
	v_mul_f32_e32 v27, v40, v44
	v_mul_f32_e32 v37, v39, v44
	v_add_f32_e32 v13, v13, v35
	v_add_f32_e32 v14, v14, v67
	ds_read2_b64 v[19:22], v7 offset0:192 offset1:208
	ds_read_b128 v[23:26], v9 offset:96
	v_mul_f32_e32 v28, v42, v46
	v_mul_f32_e32 v38, v41, v46
	v_fma_f32 v39, v39, v43, -v27
	v_fmac_f32_e32 v37, v40, v43
	v_add_f32_e32 v13, v13, v36
	v_add_f32_e32 v14, v14, v68
	v_fma_f32 v40, v41, v45, -v28
	v_fmac_f32_e32 v38, v42, v45
	s_waitcnt lgkmcnt(4)
	v_mul_f32_e32 v31, v52, v48
	v_mul_f32_e32 v41, v51, v48
	;; [unrolled: 1-line block ×3, first 2 shown]
	v_add_f32_e32 v13, v13, v39
	v_add_f32_e32 v14, v14, v37
	ds_read_b128 v[27:30], v9 offset:112
	v_mul_f32_e32 v42, v53, v50
	v_fma_f32 v43, v51, v47, -v31
	v_fmac_f32_e32 v41, v52, v47
	v_fma_f32 v44, v53, v49, -v32
	ds_read2_b64 v[31:34], v7 offset0:224 offset1:240
	v_add_f32_e32 v13, v13, v40
	v_add_f32_e32 v14, v14, v38
	v_fmac_f32_e32 v42, v54, v49
	s_waitcnt lgkmcnt(4)
	v_mul_f32_e32 v45, v56, v16
	v_mul_f32_e32 v16, v55, v16
	v_add_f32_e32 v13, v13, v43
	v_add_f32_e32 v14, v14, v41
	v_mul_f32_e32 v46, v58, v18
	v_mul_f32_e32 v18, v57, v18
	v_fma_f32 v45, v55, v15, -v45
	v_fmac_f32_e32 v16, v56, v15
	v_add_f32_e32 v13, v13, v44
	v_add_f32_e32 v14, v14, v42
	v_fma_f32 v15, v57, v17, -v46
	v_fmac_f32_e32 v18, v58, v17
	s_waitcnt lgkmcnt(2)
	v_mul_f32_e32 v17, v24, v20
	v_mul_f32_e32 v20, v23, v20
	v_add_f32_e32 v13, v13, v45
	v_add_f32_e32 v14, v14, v16
	v_mul_f32_e32 v46, v26, v22
	v_mul_f32_e32 v22, v25, v22
	v_fma_f32 v17, v23, v19, -v17
	v_fmac_f32_e32 v20, v24, v19
	v_add_f32_e32 v13, v13, v15
	v_add_f32_e32 v14, v14, v18
	s_waitcnt lgkmcnt(0)
	v_mul_f32_e32 v47, v28, v32
	v_mul_f32_e32 v32, v27, v32
	v_fma_f32 v19, v25, v21, -v46
	v_fmac_f32_e32 v22, v26, v21
	v_add_f32_e32 v13, v13, v17
	v_add_f32_e32 v14, v14, v20
	v_mul_f32_e32 v48, v30, v34
	v_mul_f32_e32 v34, v29, v34
	v_fma_f32 v21, v27, v31, -v47
	v_fmac_f32_e32 v32, v28, v31
	v_add_f32_e32 v13, v13, v19
	v_add_f32_e32 v14, v14, v22
	v_fma_f32 v23, v29, v33, -v48
	v_fmac_f32_e32 v34, v30, v33
	v_add_f32_e32 v13, v13, v21
	v_add_f32_e32 v14, v14, v32
	;; [unrolled: 1-line block ×4, first 2 shown]
	s_barrier
	s_cbranch_scc1 .LBB813_2
; %bb.3:
	v_cmp_le_i32_e32 vcc, v2, v4
	s_and_saveexec_b64 s[2:3], vcc
	s_cbranch_execnz .LBB813_6
.LBB813_4:
	s_endpgm
.LBB813_5:
	v_mov_b32_e32 v14, 0
	v_mov_b32_e32 v13, 0
	v_cmp_le_i32_e32 vcc, v2, v4
	s_and_saveexec_b64 s[2:3], vcc
	s_cbranch_execz .LBB813_4
.LBB813_6:
	s_load_dword s2, s[4:5], 0x50
	s_waitcnt lgkmcnt(0)
	v_mov_b32_e32 v7, s11
	v_mul_f32_e32 v5, s1, v14
	v_mul_f32_e32 v6, s0, v14
	v_fma_f32 v5, v13, s0, -v5
	v_mad_i64_i32 v[0:1], s[2:3], s2, v4, 0
	v_fmac_f32_e32 v6, s1, v13
	v_lshlrev_b64 v[0:1], 3, v[0:1]
	v_add_co_u32_e32 v8, vcc, s10, v0
	v_addc_co_u32_e32 v7, vcc, v7, v1, vcc
	v_lshlrev_b64 v[0:1], 3, v[2:3]
	v_add_co_u32_e32 v0, vcc, v8, v0
	v_addc_co_u32_e32 v1, vcc, v7, v1, vcc
	v_cmp_eq_u32_e32 vcc, v2, v4
	flat_store_dwordx2 v[0:1], v[5:6]
	s_and_b64 exec, exec, vcc
	s_cbranch_execz .LBB813_4
; %bb.7:
	v_mov_b32_e32 v2, 0
	flat_store_dword v[0:1], v2 offset:4
	s_endpgm
	.section	.rodata,"a",@progbits
	.p2align	6, 0x0
	.amdhsa_kernel _ZL41rocblas_syrkx_herkx_small_restrict_kernelIi19rocblas_complex_numIfELi16ELb1ELb1ELc78ELc85EKPKS1_KPS1_EviT_T0_PT6_S7_lSA_S7_lS8_PT7_S7_li
		.amdhsa_group_segment_fixed_size 4096
		.amdhsa_private_segment_fixed_size 0
		.amdhsa_kernarg_size 100
		.amdhsa_user_sgpr_count 6
		.amdhsa_user_sgpr_private_segment_buffer 1
		.amdhsa_user_sgpr_dispatch_ptr 0
		.amdhsa_user_sgpr_queue_ptr 0
		.amdhsa_user_sgpr_kernarg_segment_ptr 1
		.amdhsa_user_sgpr_dispatch_id 0
		.amdhsa_user_sgpr_flat_scratch_init 0
		.amdhsa_user_sgpr_private_segment_size 0
		.amdhsa_uses_dynamic_stack 0
		.amdhsa_system_sgpr_private_segment_wavefront_offset 0
		.amdhsa_system_sgpr_workgroup_id_x 1
		.amdhsa_system_sgpr_workgroup_id_y 1
		.amdhsa_system_sgpr_workgroup_id_z 1
		.amdhsa_system_sgpr_workgroup_info 0
		.amdhsa_system_vgpr_workitem_id 1
		.amdhsa_next_free_vgpr 69
		.amdhsa_next_free_sgpr 20
		.amdhsa_reserve_vcc 1
		.amdhsa_reserve_flat_scratch 0
		.amdhsa_float_round_mode_32 0
		.amdhsa_float_round_mode_16_64 0
		.amdhsa_float_denorm_mode_32 3
		.amdhsa_float_denorm_mode_16_64 3
		.amdhsa_dx10_clamp 1
		.amdhsa_ieee_mode 1
		.amdhsa_fp16_overflow 0
		.amdhsa_exception_fp_ieee_invalid_op 0
		.amdhsa_exception_fp_denorm_src 0
		.amdhsa_exception_fp_ieee_div_zero 0
		.amdhsa_exception_fp_ieee_overflow 0
		.amdhsa_exception_fp_ieee_underflow 0
		.amdhsa_exception_fp_ieee_inexact 0
		.amdhsa_exception_int_div_zero 0
	.end_amdhsa_kernel
	.section	.text._ZL41rocblas_syrkx_herkx_small_restrict_kernelIi19rocblas_complex_numIfELi16ELb1ELb1ELc78ELc85EKPKS1_KPS1_EviT_T0_PT6_S7_lSA_S7_lS8_PT7_S7_li,"axG",@progbits,_ZL41rocblas_syrkx_herkx_small_restrict_kernelIi19rocblas_complex_numIfELi16ELb1ELb1ELc78ELc85EKPKS1_KPS1_EviT_T0_PT6_S7_lSA_S7_lS8_PT7_S7_li,comdat
.Lfunc_end813:
	.size	_ZL41rocblas_syrkx_herkx_small_restrict_kernelIi19rocblas_complex_numIfELi16ELb1ELb1ELc78ELc85EKPKS1_KPS1_EviT_T0_PT6_S7_lSA_S7_lS8_PT7_S7_li, .Lfunc_end813-_ZL41rocblas_syrkx_herkx_small_restrict_kernelIi19rocblas_complex_numIfELi16ELb1ELb1ELc78ELc85EKPKS1_KPS1_EviT_T0_PT6_S7_lSA_S7_lS8_PT7_S7_li
                                        ; -- End function
	.set _ZL41rocblas_syrkx_herkx_small_restrict_kernelIi19rocblas_complex_numIfELi16ELb1ELb1ELc78ELc85EKPKS1_KPS1_EviT_T0_PT6_S7_lSA_S7_lS8_PT7_S7_li.num_vgpr, 69
	.set _ZL41rocblas_syrkx_herkx_small_restrict_kernelIi19rocblas_complex_numIfELi16ELb1ELb1ELc78ELc85EKPKS1_KPS1_EviT_T0_PT6_S7_lSA_S7_lS8_PT7_S7_li.num_agpr, 0
	.set _ZL41rocblas_syrkx_herkx_small_restrict_kernelIi19rocblas_complex_numIfELi16ELb1ELb1ELc78ELc85EKPKS1_KPS1_EviT_T0_PT6_S7_lSA_S7_lS8_PT7_S7_li.numbered_sgpr, 20
	.set _ZL41rocblas_syrkx_herkx_small_restrict_kernelIi19rocblas_complex_numIfELi16ELb1ELb1ELc78ELc85EKPKS1_KPS1_EviT_T0_PT6_S7_lSA_S7_lS8_PT7_S7_li.num_named_barrier, 0
	.set _ZL41rocblas_syrkx_herkx_small_restrict_kernelIi19rocblas_complex_numIfELi16ELb1ELb1ELc78ELc85EKPKS1_KPS1_EviT_T0_PT6_S7_lSA_S7_lS8_PT7_S7_li.private_seg_size, 0
	.set _ZL41rocblas_syrkx_herkx_small_restrict_kernelIi19rocblas_complex_numIfELi16ELb1ELb1ELc78ELc85EKPKS1_KPS1_EviT_T0_PT6_S7_lSA_S7_lS8_PT7_S7_li.uses_vcc, 1
	.set _ZL41rocblas_syrkx_herkx_small_restrict_kernelIi19rocblas_complex_numIfELi16ELb1ELb1ELc78ELc85EKPKS1_KPS1_EviT_T0_PT6_S7_lSA_S7_lS8_PT7_S7_li.uses_flat_scratch, 0
	.set _ZL41rocblas_syrkx_herkx_small_restrict_kernelIi19rocblas_complex_numIfELi16ELb1ELb1ELc78ELc85EKPKS1_KPS1_EviT_T0_PT6_S7_lSA_S7_lS8_PT7_S7_li.has_dyn_sized_stack, 0
	.set _ZL41rocblas_syrkx_herkx_small_restrict_kernelIi19rocblas_complex_numIfELi16ELb1ELb1ELc78ELc85EKPKS1_KPS1_EviT_T0_PT6_S7_lSA_S7_lS8_PT7_S7_li.has_recursion, 0
	.set _ZL41rocblas_syrkx_herkx_small_restrict_kernelIi19rocblas_complex_numIfELi16ELb1ELb1ELc78ELc85EKPKS1_KPS1_EviT_T0_PT6_S7_lSA_S7_lS8_PT7_S7_li.has_indirect_call, 0
	.section	.AMDGPU.csdata,"",@progbits
; Kernel info:
; codeLenInByte = 1136
; TotalNumSgprs: 24
; NumVgprs: 69
; ScratchSize: 0
; MemoryBound: 0
; FloatMode: 240
; IeeeMode: 1
; LDSByteSize: 4096 bytes/workgroup (compile time only)
; SGPRBlocks: 2
; VGPRBlocks: 17
; NumSGPRsForWavesPerEU: 24
; NumVGPRsForWavesPerEU: 69
; Occupancy: 3
; WaveLimiterHint : 1
; COMPUTE_PGM_RSRC2:SCRATCH_EN: 0
; COMPUTE_PGM_RSRC2:USER_SGPR: 6
; COMPUTE_PGM_RSRC2:TRAP_HANDLER: 0
; COMPUTE_PGM_RSRC2:TGID_X_EN: 1
; COMPUTE_PGM_RSRC2:TGID_Y_EN: 1
; COMPUTE_PGM_RSRC2:TGID_Z_EN: 1
; COMPUTE_PGM_RSRC2:TIDIG_COMP_CNT: 1
	.section	.text._ZL41rocblas_syrkx_herkx_small_restrict_kernelIi19rocblas_complex_numIfELi16ELb0ELb1ELc84ELc76EKPKS1_KPS1_EviT_T0_PT6_S7_lSA_S7_lS8_PT7_S7_li,"axG",@progbits,_ZL41rocblas_syrkx_herkx_small_restrict_kernelIi19rocblas_complex_numIfELi16ELb0ELb1ELc84ELc76EKPKS1_KPS1_EviT_T0_PT6_S7_lSA_S7_lS8_PT7_S7_li,comdat
	.globl	_ZL41rocblas_syrkx_herkx_small_restrict_kernelIi19rocblas_complex_numIfELi16ELb0ELb1ELc84ELc76EKPKS1_KPS1_EviT_T0_PT6_S7_lSA_S7_lS8_PT7_S7_li ; -- Begin function _ZL41rocblas_syrkx_herkx_small_restrict_kernelIi19rocblas_complex_numIfELi16ELb0ELb1ELc84ELc76EKPKS1_KPS1_EviT_T0_PT6_S7_lSA_S7_lS8_PT7_S7_li
	.p2align	8
	.type	_ZL41rocblas_syrkx_herkx_small_restrict_kernelIi19rocblas_complex_numIfELi16ELb0ELb1ELc84ELc76EKPKS1_KPS1_EviT_T0_PT6_S7_lSA_S7_lS8_PT7_S7_li,@function
_ZL41rocblas_syrkx_herkx_small_restrict_kernelIi19rocblas_complex_numIfELi16ELb0ELb1ELc84ELc76EKPKS1_KPS1_EviT_T0_PT6_S7_lSA_S7_lS8_PT7_S7_li: ; @_ZL41rocblas_syrkx_herkx_small_restrict_kernelIi19rocblas_complex_numIfELi16ELb0ELb1ELc84ELc76EKPKS1_KPS1_EviT_T0_PT6_S7_lSA_S7_lS8_PT7_S7_li
; %bb.0:
	s_load_dwordx4 s[12:15], s[4:5], 0x40
	s_load_dword s10, s[4:5], 0x4
	s_load_dwordx4 s[16:19], s[4:5], 0x8
	s_mov_b32 s9, 0
	s_lshl_b64 s[0:1], s[8:9], 3
	s_waitcnt lgkmcnt(0)
	s_add_u32 s2, s14, s0
	s_addc_u32 s3, s15, s1
	s_load_dwordx2 s[2:3], s[2:3], 0x0
	v_lshl_add_u32 v2, s6, 4, v0
	s_cmp_lt_i32 s10, 1
	v_lshl_add_u32 v5, s7, 4, v1
	s_cbranch_scc1 .LBB814_5
; %bb.1:
	s_load_dwordx2 s[6:7], s[4:5], 0x28
	s_load_dword s8, s[4:5], 0x18
	s_load_dword s11, s[4:5], 0x30
	v_lshlrev_b32_e32 v7, 3, v0
	v_lshlrev_b32_e32 v6, 7, v1
	s_waitcnt lgkmcnt(0)
	s_add_u32 s6, s6, s0
	s_addc_u32 s7, s7, s1
	v_mad_i64_i32 v[3:4], s[14:15], s11, v5, 0
	s_load_dwordx2 s[6:7], s[6:7], 0x0
	v_mad_i64_i32 v[11:12], s[14:15], s8, v2, 0
	v_lshlrev_b64 v[3:4], 3, v[3:4]
	s_add_u32 s0, s18, s0
	s_addc_u32 s1, s19, s1
	v_add_co_u32_e32 v0, vcc, v3, v7
	s_load_dwordx2 s[0:1], s[0:1], 0x0
	v_addc_co_u32_e32 v4, vcc, 0, v4, vcc
	s_waitcnt lgkmcnt(0)
	v_mov_b32_e32 v13, s7
	v_add_co_u32_e32 v3, vcc, s6, v0
	v_lshlrev_b64 v[11:12], 3, v[11:12]
	v_addc_co_u32_e32 v4, vcc, v13, v4, vcc
	v_lshlrev_b32_e32 v0, 3, v1
	v_add_co_u32_e32 v0, vcc, v11, v0
	v_addc_co_u32_e32 v1, vcc, 0, v12, vcc
	v_add_u32_e32 v9, 0x800, v6
	v_mov_b32_e32 v11, s1
	v_add_co_u32_e32 v0, vcc, s0, v0
	v_add_u32_e32 v8, v7, v6
	v_add_u32_e32 v10, v9, v7
	v_mov_b32_e32 v6, 0
	v_addc_co_u32_e32 v1, vcc, v11, v1, vcc
	v_mov_b32_e32 v11, 0
.LBB814_2:                              ; =>This Inner Loop Header: Depth=1
	flat_load_dwordx2 v[12:13], v[0:1]
	s_add_i32 s9, s9, 16
	s_cmp_lt_i32 s9, s10
	s_waitcnt vmcnt(0) lgkmcnt(0)
	ds_write_b64 v8, v[12:13]
	flat_load_dwordx2 v[12:13], v[3:4]
	v_add_co_u32_e32 v3, vcc, 0x80, v3
	s_mov_b64 s[0:1], vcc
	v_add_co_u32_e32 v0, vcc, 0x80, v0
	v_addc_co_u32_e64 v4, s[0:1], 0, v4, s[0:1]
	v_addc_co_u32_e32 v1, vcc, 0, v1, vcc
	s_waitcnt vmcnt(0) lgkmcnt(0)
	ds_write_b64 v10, v[12:13]
	s_waitcnt lgkmcnt(0)
	s_barrier
	ds_read2_b64 v[12:15], v7 offset1:16
	ds_read_b128 v[16:19], v9
	ds_read_b128 v[20:23], v9 offset:16
	ds_read2_b64 v[24:27], v7 offset0:32 offset1:48
	ds_read2_b64 v[28:31], v7 offset0:64 offset1:80
	ds_read_b128 v[32:35], v9 offset:32
	ds_read_b128 v[36:39], v9 offset:48
	ds_read2_b64 v[40:43], v7 offset0:96 offset1:112
	ds_read2_b64 v[44:47], v7 offset0:128 offset1:144
	ds_read_b128 v[48:51], v9 offset:64
	ds_read_b128 v[52:55], v9 offset:80
	s_waitcnt lgkmcnt(9)
	v_mul_f32_e32 v56, v17, v13
	v_mul_f32_e32 v57, v16, v13
	;; [unrolled: 1-line block ×4, first 2 shown]
	v_fma_f32 v56, v16, v12, -v56
	v_fmac_f32_e32 v57, v17, v12
	v_fma_f32 v59, v18, v14, -v13
	v_fmac_f32_e32 v58, v19, v14
	s_waitcnt lgkmcnt(7)
	v_mul_f32_e32 v16, v21, v25
	v_mul_f32_e32 v60, v20, v25
	v_add_f32_e32 v11, v11, v56
	v_add_f32_e32 v6, v6, v57
	v_mul_f32_e32 v17, v23, v27
	v_mul_f32_e32 v61, v22, v27
	v_fma_f32 v62, v20, v24, -v16
	v_fmac_f32_e32 v60, v21, v24
	v_add_f32_e32 v11, v11, v59
	v_add_f32_e32 v6, v6, v58
	v_fma_f32 v63, v22, v26, -v17
	v_fmac_f32_e32 v61, v23, v26
	s_waitcnt lgkmcnt(5)
	v_mul_f32_e32 v20, v33, v29
	v_mul_f32_e32 v64, v32, v29
	v_add_f32_e32 v11, v11, v62
	v_add_f32_e32 v6, v6, v60
	ds_read2_b64 v[12:15], v7 offset0:160 offset1:176
	v_mul_f32_e32 v21, v35, v31
	v_mul_f32_e32 v65, v34, v31
	v_fma_f32 v32, v32, v28, -v20
	v_fmac_f32_e32 v64, v33, v28
	v_add_f32_e32 v11, v11, v63
	v_add_f32_e32 v6, v6, v61
	v_fma_f32 v33, v34, v30, -v21
	v_fmac_f32_e32 v65, v35, v30
	s_waitcnt lgkmcnt(4)
	v_mul_f32_e32 v24, v37, v41
	v_mul_f32_e32 v34, v36, v41
	v_add_f32_e32 v11, v11, v32
	v_add_f32_e32 v6, v6, v64
	ds_read2_b64 v[16:19], v7 offset0:192 offset1:208
	ds_read_b128 v[20:23], v9 offset:96
	v_mul_f32_e32 v25, v39, v43
	v_mul_f32_e32 v35, v38, v43
	v_fma_f32 v36, v36, v40, -v24
	v_fmac_f32_e32 v34, v37, v40
	v_add_f32_e32 v11, v11, v33
	v_add_f32_e32 v6, v6, v65
	v_fma_f32 v37, v38, v42, -v25
	v_fmac_f32_e32 v35, v39, v42
	s_waitcnt lgkmcnt(4)
	v_mul_f32_e32 v28, v49, v45
	v_mul_f32_e32 v38, v48, v45
	;; [unrolled: 1-line block ×3, first 2 shown]
	v_add_f32_e32 v11, v11, v36
	v_add_f32_e32 v6, v6, v34
	ds_read_b128 v[24:27], v9 offset:112
	v_mul_f32_e32 v39, v50, v47
	v_fma_f32 v40, v48, v44, -v28
	v_fmac_f32_e32 v38, v49, v44
	v_fma_f32 v41, v50, v46, -v29
	ds_read2_b64 v[28:31], v7 offset0:224 offset1:240
	v_add_f32_e32 v11, v11, v37
	v_add_f32_e32 v6, v6, v35
	v_fmac_f32_e32 v39, v51, v46
	s_waitcnt lgkmcnt(4)
	v_mul_f32_e32 v42, v53, v13
	v_mul_f32_e32 v13, v52, v13
	v_add_f32_e32 v11, v11, v40
	v_add_f32_e32 v6, v6, v38
	v_mul_f32_e32 v43, v55, v15
	v_mul_f32_e32 v15, v54, v15
	v_fma_f32 v42, v52, v12, -v42
	v_fmac_f32_e32 v13, v53, v12
	v_add_f32_e32 v11, v11, v41
	v_add_f32_e32 v6, v6, v39
	s_waitcnt lgkmcnt(2)
	v_mul_f32_e32 v44, v21, v17
	v_mul_f32_e32 v17, v20, v17
	v_fma_f32 v12, v54, v14, -v43
	v_fmac_f32_e32 v15, v55, v14
	v_add_f32_e32 v11, v11, v42
	v_add_f32_e32 v6, v6, v13
	v_mul_f32_e32 v14, v23, v19
	v_mul_f32_e32 v19, v22, v19
	v_fma_f32 v20, v20, v16, -v44
	v_fmac_f32_e32 v17, v21, v16
	v_add_f32_e32 v11, v11, v12
	v_add_f32_e32 v6, v6, v15
	s_waitcnt lgkmcnt(0)
	v_mul_f32_e32 v43, v25, v29
	v_mul_f32_e32 v29, v24, v29
	v_fma_f32 v14, v22, v18, -v14
	v_fmac_f32_e32 v19, v23, v18
	v_add_f32_e32 v11, v11, v20
	v_add_f32_e32 v6, v6, v17
	v_mul_f32_e32 v45, v27, v31
	v_mul_f32_e32 v31, v26, v31
	v_fma_f32 v16, v24, v28, -v43
	v_fmac_f32_e32 v29, v25, v28
	v_add_f32_e32 v11, v11, v14
	v_add_f32_e32 v6, v6, v19
	v_fma_f32 v18, v26, v30, -v45
	v_fmac_f32_e32 v31, v27, v30
	v_add_f32_e32 v11, v11, v16
	v_add_f32_e32 v6, v6, v29
	;; [unrolled: 1-line block ×4, first 2 shown]
	s_barrier
	s_cbranch_scc1 .LBB814_2
; %bb.3:
	v_cmp_le_i32_e32 vcc, v5, v2
	s_and_saveexec_b64 s[0:1], vcc
	s_cbranch_execnz .LBB814_6
.LBB814_4:
	s_endpgm
.LBB814_5:
	v_mov_b32_e32 v6, 0
	v_mov_b32_e32 v11, 0
	v_cmp_le_i32_e32 vcc, v5, v2
	s_and_saveexec_b64 s[0:1], vcc
	s_cbranch_execz .LBB814_4
.LBB814_6:
	s_load_dword s0, s[4:5], 0x50
	v_ashrrev_i32_e32 v3, 31, v2
	s_waitcnt lgkmcnt(0)
	v_mov_b32_e32 v7, s3
	v_lshlrev_b64 v[3:4], 3, v[2:3]
	v_mad_i64_i32 v[0:1], s[0:1], s0, v5, 0
	v_lshlrev_b64 v[0:1], 3, v[0:1]
	v_add_co_u32_e32 v0, vcc, s2, v0
	v_addc_co_u32_e32 v1, vcc, v7, v1, vcc
	v_add_co_u32_e32 v0, vcc, v0, v3
	v_addc_co_u32_e32 v1, vcc, v1, v4, vcc
	flat_load_dwordx2 v[3:4], v[0:1]
	v_mul_f32_e32 v7, s17, v6
	v_mul_f32_e32 v6, s16, v6
	v_fma_f32 v7, v11, s16, -v7
	v_fmac_f32_e32 v6, s17, v11
	v_cmp_eq_u32_e32 vcc, v2, v5
	s_waitcnt vmcnt(0) lgkmcnt(0)
	v_mul_f32_e32 v8, s13, v4
	v_mul_f32_e32 v4, s12, v4
	v_fma_f32 v8, v3, s12, -v8
	v_fmac_f32_e32 v4, s13, v3
	v_add_f32_e32 v3, v7, v8
	v_add_f32_e32 v4, v6, v4
	flat_store_dwordx2 v[0:1], v[3:4]
	s_and_b64 exec, exec, vcc
	s_cbranch_execz .LBB814_4
; %bb.7:
	v_mov_b32_e32 v2, 0
	flat_store_dword v[0:1], v2 offset:4
	s_endpgm
	.section	.rodata,"a",@progbits
	.p2align	6, 0x0
	.amdhsa_kernel _ZL41rocblas_syrkx_herkx_small_restrict_kernelIi19rocblas_complex_numIfELi16ELb0ELb1ELc84ELc76EKPKS1_KPS1_EviT_T0_PT6_S7_lSA_S7_lS8_PT7_S7_li
		.amdhsa_group_segment_fixed_size 4096
		.amdhsa_private_segment_fixed_size 0
		.amdhsa_kernarg_size 100
		.amdhsa_user_sgpr_count 6
		.amdhsa_user_sgpr_private_segment_buffer 1
		.amdhsa_user_sgpr_dispatch_ptr 0
		.amdhsa_user_sgpr_queue_ptr 0
		.amdhsa_user_sgpr_kernarg_segment_ptr 1
		.amdhsa_user_sgpr_dispatch_id 0
		.amdhsa_user_sgpr_flat_scratch_init 0
		.amdhsa_user_sgpr_private_segment_size 0
		.amdhsa_uses_dynamic_stack 0
		.amdhsa_system_sgpr_private_segment_wavefront_offset 0
		.amdhsa_system_sgpr_workgroup_id_x 1
		.amdhsa_system_sgpr_workgroup_id_y 1
		.amdhsa_system_sgpr_workgroup_id_z 1
		.amdhsa_system_sgpr_workgroup_info 0
		.amdhsa_system_vgpr_workitem_id 1
		.amdhsa_next_free_vgpr 66
		.amdhsa_next_free_sgpr 20
		.amdhsa_reserve_vcc 1
		.amdhsa_reserve_flat_scratch 0
		.amdhsa_float_round_mode_32 0
		.amdhsa_float_round_mode_16_64 0
		.amdhsa_float_denorm_mode_32 3
		.amdhsa_float_denorm_mode_16_64 3
		.amdhsa_dx10_clamp 1
		.amdhsa_ieee_mode 1
		.amdhsa_fp16_overflow 0
		.amdhsa_exception_fp_ieee_invalid_op 0
		.amdhsa_exception_fp_denorm_src 0
		.amdhsa_exception_fp_ieee_div_zero 0
		.amdhsa_exception_fp_ieee_overflow 0
		.amdhsa_exception_fp_ieee_underflow 0
		.amdhsa_exception_fp_ieee_inexact 0
		.amdhsa_exception_int_div_zero 0
	.end_amdhsa_kernel
	.section	.text._ZL41rocblas_syrkx_herkx_small_restrict_kernelIi19rocblas_complex_numIfELi16ELb0ELb1ELc84ELc76EKPKS1_KPS1_EviT_T0_PT6_S7_lSA_S7_lS8_PT7_S7_li,"axG",@progbits,_ZL41rocblas_syrkx_herkx_small_restrict_kernelIi19rocblas_complex_numIfELi16ELb0ELb1ELc84ELc76EKPKS1_KPS1_EviT_T0_PT6_S7_lSA_S7_lS8_PT7_S7_li,comdat
.Lfunc_end814:
	.size	_ZL41rocblas_syrkx_herkx_small_restrict_kernelIi19rocblas_complex_numIfELi16ELb0ELb1ELc84ELc76EKPKS1_KPS1_EviT_T0_PT6_S7_lSA_S7_lS8_PT7_S7_li, .Lfunc_end814-_ZL41rocblas_syrkx_herkx_small_restrict_kernelIi19rocblas_complex_numIfELi16ELb0ELb1ELc84ELc76EKPKS1_KPS1_EviT_T0_PT6_S7_lSA_S7_lS8_PT7_S7_li
                                        ; -- End function
	.set _ZL41rocblas_syrkx_herkx_small_restrict_kernelIi19rocblas_complex_numIfELi16ELb0ELb1ELc84ELc76EKPKS1_KPS1_EviT_T0_PT6_S7_lSA_S7_lS8_PT7_S7_li.num_vgpr, 66
	.set _ZL41rocblas_syrkx_herkx_small_restrict_kernelIi19rocblas_complex_numIfELi16ELb0ELb1ELc84ELc76EKPKS1_KPS1_EviT_T0_PT6_S7_lSA_S7_lS8_PT7_S7_li.num_agpr, 0
	.set _ZL41rocblas_syrkx_herkx_small_restrict_kernelIi19rocblas_complex_numIfELi16ELb0ELb1ELc84ELc76EKPKS1_KPS1_EviT_T0_PT6_S7_lSA_S7_lS8_PT7_S7_li.numbered_sgpr, 20
	.set _ZL41rocblas_syrkx_herkx_small_restrict_kernelIi19rocblas_complex_numIfELi16ELb0ELb1ELc84ELc76EKPKS1_KPS1_EviT_T0_PT6_S7_lSA_S7_lS8_PT7_S7_li.num_named_barrier, 0
	.set _ZL41rocblas_syrkx_herkx_small_restrict_kernelIi19rocblas_complex_numIfELi16ELb0ELb1ELc84ELc76EKPKS1_KPS1_EviT_T0_PT6_S7_lSA_S7_lS8_PT7_S7_li.private_seg_size, 0
	.set _ZL41rocblas_syrkx_herkx_small_restrict_kernelIi19rocblas_complex_numIfELi16ELb0ELb1ELc84ELc76EKPKS1_KPS1_EviT_T0_PT6_S7_lSA_S7_lS8_PT7_S7_li.uses_vcc, 1
	.set _ZL41rocblas_syrkx_herkx_small_restrict_kernelIi19rocblas_complex_numIfELi16ELb0ELb1ELc84ELc76EKPKS1_KPS1_EviT_T0_PT6_S7_lSA_S7_lS8_PT7_S7_li.uses_flat_scratch, 0
	.set _ZL41rocblas_syrkx_herkx_small_restrict_kernelIi19rocblas_complex_numIfELi16ELb0ELb1ELc84ELc76EKPKS1_KPS1_EviT_T0_PT6_S7_lSA_S7_lS8_PT7_S7_li.has_dyn_sized_stack, 0
	.set _ZL41rocblas_syrkx_herkx_small_restrict_kernelIi19rocblas_complex_numIfELi16ELb0ELb1ELc84ELc76EKPKS1_KPS1_EviT_T0_PT6_S7_lSA_S7_lS8_PT7_S7_li.has_recursion, 0
	.set _ZL41rocblas_syrkx_herkx_small_restrict_kernelIi19rocblas_complex_numIfELi16ELb0ELb1ELc84ELc76EKPKS1_KPS1_EviT_T0_PT6_S7_lSA_S7_lS8_PT7_S7_li.has_indirect_call, 0
	.section	.AMDGPU.csdata,"",@progbits
; Kernel info:
; codeLenInByte = 1144
; TotalNumSgprs: 24
; NumVgprs: 66
; ScratchSize: 0
; MemoryBound: 0
; FloatMode: 240
; IeeeMode: 1
; LDSByteSize: 4096 bytes/workgroup (compile time only)
; SGPRBlocks: 2
; VGPRBlocks: 16
; NumSGPRsForWavesPerEU: 24
; NumVGPRsForWavesPerEU: 66
; Occupancy: 3
; WaveLimiterHint : 1
; COMPUTE_PGM_RSRC2:SCRATCH_EN: 0
; COMPUTE_PGM_RSRC2:USER_SGPR: 6
; COMPUTE_PGM_RSRC2:TRAP_HANDLER: 0
; COMPUTE_PGM_RSRC2:TGID_X_EN: 1
; COMPUTE_PGM_RSRC2:TGID_Y_EN: 1
; COMPUTE_PGM_RSRC2:TGID_Z_EN: 1
; COMPUTE_PGM_RSRC2:TIDIG_COMP_CNT: 1
	.section	.text._ZL41rocblas_syrkx_herkx_small_restrict_kernelIi19rocblas_complex_numIfELi16ELb0ELb1ELc67ELc76EKPKS1_KPS1_EviT_T0_PT6_S7_lSA_S7_lS8_PT7_S7_li,"axG",@progbits,_ZL41rocblas_syrkx_herkx_small_restrict_kernelIi19rocblas_complex_numIfELi16ELb0ELb1ELc67ELc76EKPKS1_KPS1_EviT_T0_PT6_S7_lSA_S7_lS8_PT7_S7_li,comdat
	.globl	_ZL41rocblas_syrkx_herkx_small_restrict_kernelIi19rocblas_complex_numIfELi16ELb0ELb1ELc67ELc76EKPKS1_KPS1_EviT_T0_PT6_S7_lSA_S7_lS8_PT7_S7_li ; -- Begin function _ZL41rocblas_syrkx_herkx_small_restrict_kernelIi19rocblas_complex_numIfELi16ELb0ELb1ELc67ELc76EKPKS1_KPS1_EviT_T0_PT6_S7_lSA_S7_lS8_PT7_S7_li
	.p2align	8
	.type	_ZL41rocblas_syrkx_herkx_small_restrict_kernelIi19rocblas_complex_numIfELi16ELb0ELb1ELc67ELc76EKPKS1_KPS1_EviT_T0_PT6_S7_lSA_S7_lS8_PT7_S7_li,@function
_ZL41rocblas_syrkx_herkx_small_restrict_kernelIi19rocblas_complex_numIfELi16ELb0ELb1ELc67ELc76EKPKS1_KPS1_EviT_T0_PT6_S7_lSA_S7_lS8_PT7_S7_li: ; @_ZL41rocblas_syrkx_herkx_small_restrict_kernelIi19rocblas_complex_numIfELi16ELb0ELb1ELc67ELc76EKPKS1_KPS1_EviT_T0_PT6_S7_lSA_S7_lS8_PT7_S7_li
; %bb.0:
	s_load_dwordx4 s[12:15], s[4:5], 0x40
	s_load_dword s10, s[4:5], 0x4
	s_load_dwordx4 s[16:19], s[4:5], 0x8
	s_mov_b32 s9, 0
	s_lshl_b64 s[0:1], s[8:9], 3
	s_waitcnt lgkmcnt(0)
	s_add_u32 s2, s14, s0
	s_addc_u32 s3, s15, s1
	s_load_dwordx2 s[2:3], s[2:3], 0x0
	v_lshl_add_u32 v2, s6, 4, v0
	s_cmp_lt_i32 s10, 1
	v_lshl_add_u32 v5, s7, 4, v1
	s_cbranch_scc1 .LBB815_5
; %bb.1:
	s_load_dwordx2 s[6:7], s[4:5], 0x28
	s_load_dword s8, s[4:5], 0x18
	s_load_dword s11, s[4:5], 0x30
	v_lshlrev_b32_e32 v7, 3, v0
	v_lshlrev_b32_e32 v6, 7, v1
	s_waitcnt lgkmcnt(0)
	s_add_u32 s6, s6, s0
	s_addc_u32 s7, s7, s1
	v_mad_i64_i32 v[3:4], s[14:15], s11, v5, 0
	s_load_dwordx2 s[6:7], s[6:7], 0x0
	v_mad_i64_i32 v[11:12], s[14:15], s8, v2, 0
	v_lshlrev_b64 v[3:4], 3, v[3:4]
	s_add_u32 s0, s18, s0
	s_addc_u32 s1, s19, s1
	v_add_co_u32_e32 v0, vcc, v3, v7
	s_load_dwordx2 s[0:1], s[0:1], 0x0
	v_addc_co_u32_e32 v4, vcc, 0, v4, vcc
	s_waitcnt lgkmcnt(0)
	v_mov_b32_e32 v13, s7
	v_add_co_u32_e32 v3, vcc, s6, v0
	v_lshlrev_b64 v[11:12], 3, v[11:12]
	v_addc_co_u32_e32 v4, vcc, v13, v4, vcc
	v_lshlrev_b32_e32 v0, 3, v1
	v_add_co_u32_e32 v0, vcc, v11, v0
	v_addc_co_u32_e32 v1, vcc, 0, v12, vcc
	v_add_u32_e32 v9, 0x800, v6
	v_mov_b32_e32 v11, s1
	v_add_co_u32_e32 v0, vcc, s0, v0
	v_add_u32_e32 v8, v7, v6
	v_add_u32_e32 v10, v9, v7
	v_mov_b32_e32 v6, 0
	v_addc_co_u32_e32 v1, vcc, v11, v1, vcc
	v_mov_b32_e32 v11, 0
.LBB815_2:                              ; =>This Inner Loop Header: Depth=1
	flat_load_dwordx2 v[12:13], v[0:1]
	s_add_i32 s9, s9, 16
	s_cmp_lt_i32 s9, s10
	s_waitcnt vmcnt(0) lgkmcnt(0)
	v_xor_b32_e32 v13, 0x80000000, v13
	ds_write_b64 v8, v[12:13]
	flat_load_dwordx2 v[12:13], v[3:4]
	v_add_co_u32_e32 v3, vcc, 0x80, v3
	s_mov_b64 s[0:1], vcc
	v_add_co_u32_e32 v0, vcc, 0x80, v0
	v_addc_co_u32_e64 v4, s[0:1], 0, v4, s[0:1]
	v_addc_co_u32_e32 v1, vcc, 0, v1, vcc
	s_waitcnt vmcnt(0) lgkmcnt(0)
	ds_write_b64 v10, v[12:13]
	s_waitcnt lgkmcnt(0)
	s_barrier
	ds_read2_b64 v[12:15], v7 offset1:16
	ds_read_b128 v[16:19], v9
	ds_read_b128 v[20:23], v9 offset:16
	ds_read2_b64 v[24:27], v7 offset0:32 offset1:48
	ds_read2_b64 v[28:31], v7 offset0:64 offset1:80
	ds_read_b128 v[32:35], v9 offset:32
	ds_read_b128 v[36:39], v9 offset:48
	ds_read2_b64 v[40:43], v7 offset0:96 offset1:112
	ds_read2_b64 v[44:47], v7 offset0:128 offset1:144
	ds_read_b128 v[48:51], v9 offset:64
	ds_read_b128 v[52:55], v9 offset:80
	s_waitcnt lgkmcnt(9)
	v_mul_f32_e32 v56, v17, v13
	v_mul_f32_e32 v57, v16, v13
	;; [unrolled: 1-line block ×4, first 2 shown]
	v_fma_f32 v56, v16, v12, -v56
	v_fmac_f32_e32 v57, v17, v12
	v_fma_f32 v59, v18, v14, -v13
	v_fmac_f32_e32 v58, v19, v14
	s_waitcnt lgkmcnt(7)
	v_mul_f32_e32 v16, v21, v25
	v_mul_f32_e32 v60, v20, v25
	v_add_f32_e32 v11, v11, v56
	v_add_f32_e32 v6, v6, v57
	v_mul_f32_e32 v17, v23, v27
	v_mul_f32_e32 v61, v22, v27
	v_fma_f32 v62, v20, v24, -v16
	v_fmac_f32_e32 v60, v21, v24
	v_add_f32_e32 v11, v11, v59
	v_add_f32_e32 v6, v6, v58
	v_fma_f32 v63, v22, v26, -v17
	v_fmac_f32_e32 v61, v23, v26
	s_waitcnt lgkmcnt(5)
	v_mul_f32_e32 v20, v33, v29
	v_mul_f32_e32 v64, v32, v29
	v_add_f32_e32 v11, v11, v62
	v_add_f32_e32 v6, v6, v60
	ds_read2_b64 v[12:15], v7 offset0:160 offset1:176
	v_mul_f32_e32 v21, v35, v31
	v_mul_f32_e32 v65, v34, v31
	v_fma_f32 v32, v32, v28, -v20
	v_fmac_f32_e32 v64, v33, v28
	v_add_f32_e32 v11, v11, v63
	v_add_f32_e32 v6, v6, v61
	v_fma_f32 v33, v34, v30, -v21
	v_fmac_f32_e32 v65, v35, v30
	s_waitcnt lgkmcnt(4)
	v_mul_f32_e32 v24, v37, v41
	v_mul_f32_e32 v34, v36, v41
	v_add_f32_e32 v11, v11, v32
	v_add_f32_e32 v6, v6, v64
	ds_read2_b64 v[16:19], v7 offset0:192 offset1:208
	ds_read_b128 v[20:23], v9 offset:96
	v_mul_f32_e32 v25, v39, v43
	v_mul_f32_e32 v35, v38, v43
	v_fma_f32 v36, v36, v40, -v24
	v_fmac_f32_e32 v34, v37, v40
	v_add_f32_e32 v11, v11, v33
	v_add_f32_e32 v6, v6, v65
	v_fma_f32 v37, v38, v42, -v25
	v_fmac_f32_e32 v35, v39, v42
	s_waitcnt lgkmcnt(4)
	v_mul_f32_e32 v28, v49, v45
	v_mul_f32_e32 v38, v48, v45
	;; [unrolled: 1-line block ×3, first 2 shown]
	v_add_f32_e32 v11, v11, v36
	v_add_f32_e32 v6, v6, v34
	ds_read_b128 v[24:27], v9 offset:112
	v_mul_f32_e32 v39, v50, v47
	v_fma_f32 v40, v48, v44, -v28
	v_fmac_f32_e32 v38, v49, v44
	v_fma_f32 v41, v50, v46, -v29
	ds_read2_b64 v[28:31], v7 offset0:224 offset1:240
	v_add_f32_e32 v11, v11, v37
	v_add_f32_e32 v6, v6, v35
	v_fmac_f32_e32 v39, v51, v46
	s_waitcnt lgkmcnt(4)
	v_mul_f32_e32 v42, v53, v13
	v_mul_f32_e32 v13, v52, v13
	v_add_f32_e32 v11, v11, v40
	v_add_f32_e32 v6, v6, v38
	v_mul_f32_e32 v43, v55, v15
	v_mul_f32_e32 v15, v54, v15
	v_fma_f32 v42, v52, v12, -v42
	v_fmac_f32_e32 v13, v53, v12
	v_add_f32_e32 v11, v11, v41
	v_add_f32_e32 v6, v6, v39
	s_waitcnt lgkmcnt(2)
	v_mul_f32_e32 v44, v21, v17
	v_mul_f32_e32 v17, v20, v17
	v_fma_f32 v12, v54, v14, -v43
	v_fmac_f32_e32 v15, v55, v14
	v_add_f32_e32 v11, v11, v42
	v_add_f32_e32 v6, v6, v13
	v_mul_f32_e32 v14, v23, v19
	v_mul_f32_e32 v19, v22, v19
	v_fma_f32 v20, v20, v16, -v44
	v_fmac_f32_e32 v17, v21, v16
	v_add_f32_e32 v11, v11, v12
	v_add_f32_e32 v6, v6, v15
	s_waitcnt lgkmcnt(0)
	v_mul_f32_e32 v43, v25, v29
	v_mul_f32_e32 v29, v24, v29
	v_fma_f32 v14, v22, v18, -v14
	v_fmac_f32_e32 v19, v23, v18
	v_add_f32_e32 v11, v11, v20
	v_add_f32_e32 v6, v6, v17
	v_mul_f32_e32 v45, v27, v31
	v_mul_f32_e32 v31, v26, v31
	v_fma_f32 v16, v24, v28, -v43
	v_fmac_f32_e32 v29, v25, v28
	v_add_f32_e32 v11, v11, v14
	v_add_f32_e32 v6, v6, v19
	v_fma_f32 v18, v26, v30, -v45
	v_fmac_f32_e32 v31, v27, v30
	v_add_f32_e32 v11, v11, v16
	v_add_f32_e32 v6, v6, v29
	;; [unrolled: 1-line block ×4, first 2 shown]
	s_barrier
	s_cbranch_scc1 .LBB815_2
; %bb.3:
	v_cmp_le_i32_e32 vcc, v5, v2
	s_and_saveexec_b64 s[0:1], vcc
	s_cbranch_execnz .LBB815_6
.LBB815_4:
	s_endpgm
.LBB815_5:
	v_mov_b32_e32 v6, 0
	v_mov_b32_e32 v11, 0
	v_cmp_le_i32_e32 vcc, v5, v2
	s_and_saveexec_b64 s[0:1], vcc
	s_cbranch_execz .LBB815_4
.LBB815_6:
	s_load_dword s0, s[4:5], 0x50
	v_ashrrev_i32_e32 v3, 31, v2
	s_waitcnt lgkmcnt(0)
	v_mov_b32_e32 v7, s3
	v_lshlrev_b64 v[3:4], 3, v[2:3]
	v_mad_i64_i32 v[0:1], s[0:1], s0, v5, 0
	v_lshlrev_b64 v[0:1], 3, v[0:1]
	v_add_co_u32_e32 v0, vcc, s2, v0
	v_addc_co_u32_e32 v1, vcc, v7, v1, vcc
	v_add_co_u32_e32 v0, vcc, v0, v3
	v_addc_co_u32_e32 v1, vcc, v1, v4, vcc
	flat_load_dwordx2 v[3:4], v[0:1]
	v_mul_f32_e32 v7, s17, v6
	v_mul_f32_e32 v6, s16, v6
	v_fma_f32 v7, v11, s16, -v7
	v_fmac_f32_e32 v6, s17, v11
	v_cmp_eq_u32_e32 vcc, v2, v5
	s_waitcnt vmcnt(0) lgkmcnt(0)
	v_mul_f32_e32 v8, s13, v4
	v_mul_f32_e32 v4, s12, v4
	v_fma_f32 v8, v3, s12, -v8
	v_fmac_f32_e32 v4, s13, v3
	v_add_f32_e32 v3, v7, v8
	v_add_f32_e32 v4, v6, v4
	flat_store_dwordx2 v[0:1], v[3:4]
	s_and_b64 exec, exec, vcc
	s_cbranch_execz .LBB815_4
; %bb.7:
	v_mov_b32_e32 v2, 0
	flat_store_dword v[0:1], v2 offset:4
	s_endpgm
	.section	.rodata,"a",@progbits
	.p2align	6, 0x0
	.amdhsa_kernel _ZL41rocblas_syrkx_herkx_small_restrict_kernelIi19rocblas_complex_numIfELi16ELb0ELb1ELc67ELc76EKPKS1_KPS1_EviT_T0_PT6_S7_lSA_S7_lS8_PT7_S7_li
		.amdhsa_group_segment_fixed_size 4096
		.amdhsa_private_segment_fixed_size 0
		.amdhsa_kernarg_size 100
		.amdhsa_user_sgpr_count 6
		.amdhsa_user_sgpr_private_segment_buffer 1
		.amdhsa_user_sgpr_dispatch_ptr 0
		.amdhsa_user_sgpr_queue_ptr 0
		.amdhsa_user_sgpr_kernarg_segment_ptr 1
		.amdhsa_user_sgpr_dispatch_id 0
		.amdhsa_user_sgpr_flat_scratch_init 0
		.amdhsa_user_sgpr_private_segment_size 0
		.amdhsa_uses_dynamic_stack 0
		.amdhsa_system_sgpr_private_segment_wavefront_offset 0
		.amdhsa_system_sgpr_workgroup_id_x 1
		.amdhsa_system_sgpr_workgroup_id_y 1
		.amdhsa_system_sgpr_workgroup_id_z 1
		.amdhsa_system_sgpr_workgroup_info 0
		.amdhsa_system_vgpr_workitem_id 1
		.amdhsa_next_free_vgpr 66
		.amdhsa_next_free_sgpr 20
		.amdhsa_reserve_vcc 1
		.amdhsa_reserve_flat_scratch 0
		.amdhsa_float_round_mode_32 0
		.amdhsa_float_round_mode_16_64 0
		.amdhsa_float_denorm_mode_32 3
		.amdhsa_float_denorm_mode_16_64 3
		.amdhsa_dx10_clamp 1
		.amdhsa_ieee_mode 1
		.amdhsa_fp16_overflow 0
		.amdhsa_exception_fp_ieee_invalid_op 0
		.amdhsa_exception_fp_denorm_src 0
		.amdhsa_exception_fp_ieee_div_zero 0
		.amdhsa_exception_fp_ieee_overflow 0
		.amdhsa_exception_fp_ieee_underflow 0
		.amdhsa_exception_fp_ieee_inexact 0
		.amdhsa_exception_int_div_zero 0
	.end_amdhsa_kernel
	.section	.text._ZL41rocblas_syrkx_herkx_small_restrict_kernelIi19rocblas_complex_numIfELi16ELb0ELb1ELc67ELc76EKPKS1_KPS1_EviT_T0_PT6_S7_lSA_S7_lS8_PT7_S7_li,"axG",@progbits,_ZL41rocblas_syrkx_herkx_small_restrict_kernelIi19rocblas_complex_numIfELi16ELb0ELb1ELc67ELc76EKPKS1_KPS1_EviT_T0_PT6_S7_lSA_S7_lS8_PT7_S7_li,comdat
.Lfunc_end815:
	.size	_ZL41rocblas_syrkx_herkx_small_restrict_kernelIi19rocblas_complex_numIfELi16ELb0ELb1ELc67ELc76EKPKS1_KPS1_EviT_T0_PT6_S7_lSA_S7_lS8_PT7_S7_li, .Lfunc_end815-_ZL41rocblas_syrkx_herkx_small_restrict_kernelIi19rocblas_complex_numIfELi16ELb0ELb1ELc67ELc76EKPKS1_KPS1_EviT_T0_PT6_S7_lSA_S7_lS8_PT7_S7_li
                                        ; -- End function
	.set _ZL41rocblas_syrkx_herkx_small_restrict_kernelIi19rocblas_complex_numIfELi16ELb0ELb1ELc67ELc76EKPKS1_KPS1_EviT_T0_PT6_S7_lSA_S7_lS8_PT7_S7_li.num_vgpr, 66
	.set _ZL41rocblas_syrkx_herkx_small_restrict_kernelIi19rocblas_complex_numIfELi16ELb0ELb1ELc67ELc76EKPKS1_KPS1_EviT_T0_PT6_S7_lSA_S7_lS8_PT7_S7_li.num_agpr, 0
	.set _ZL41rocblas_syrkx_herkx_small_restrict_kernelIi19rocblas_complex_numIfELi16ELb0ELb1ELc67ELc76EKPKS1_KPS1_EviT_T0_PT6_S7_lSA_S7_lS8_PT7_S7_li.numbered_sgpr, 20
	.set _ZL41rocblas_syrkx_herkx_small_restrict_kernelIi19rocblas_complex_numIfELi16ELb0ELb1ELc67ELc76EKPKS1_KPS1_EviT_T0_PT6_S7_lSA_S7_lS8_PT7_S7_li.num_named_barrier, 0
	.set _ZL41rocblas_syrkx_herkx_small_restrict_kernelIi19rocblas_complex_numIfELi16ELb0ELb1ELc67ELc76EKPKS1_KPS1_EviT_T0_PT6_S7_lSA_S7_lS8_PT7_S7_li.private_seg_size, 0
	.set _ZL41rocblas_syrkx_herkx_small_restrict_kernelIi19rocblas_complex_numIfELi16ELb0ELb1ELc67ELc76EKPKS1_KPS1_EviT_T0_PT6_S7_lSA_S7_lS8_PT7_S7_li.uses_vcc, 1
	.set _ZL41rocblas_syrkx_herkx_small_restrict_kernelIi19rocblas_complex_numIfELi16ELb0ELb1ELc67ELc76EKPKS1_KPS1_EviT_T0_PT6_S7_lSA_S7_lS8_PT7_S7_li.uses_flat_scratch, 0
	.set _ZL41rocblas_syrkx_herkx_small_restrict_kernelIi19rocblas_complex_numIfELi16ELb0ELb1ELc67ELc76EKPKS1_KPS1_EviT_T0_PT6_S7_lSA_S7_lS8_PT7_S7_li.has_dyn_sized_stack, 0
	.set _ZL41rocblas_syrkx_herkx_small_restrict_kernelIi19rocblas_complex_numIfELi16ELb0ELb1ELc67ELc76EKPKS1_KPS1_EviT_T0_PT6_S7_lSA_S7_lS8_PT7_S7_li.has_recursion, 0
	.set _ZL41rocblas_syrkx_herkx_small_restrict_kernelIi19rocblas_complex_numIfELi16ELb0ELb1ELc67ELc76EKPKS1_KPS1_EviT_T0_PT6_S7_lSA_S7_lS8_PT7_S7_li.has_indirect_call, 0
	.section	.AMDGPU.csdata,"",@progbits
; Kernel info:
; codeLenInByte = 1152
; TotalNumSgprs: 24
; NumVgprs: 66
; ScratchSize: 0
; MemoryBound: 0
; FloatMode: 240
; IeeeMode: 1
; LDSByteSize: 4096 bytes/workgroup (compile time only)
; SGPRBlocks: 2
; VGPRBlocks: 16
; NumSGPRsForWavesPerEU: 24
; NumVGPRsForWavesPerEU: 66
; Occupancy: 3
; WaveLimiterHint : 1
; COMPUTE_PGM_RSRC2:SCRATCH_EN: 0
; COMPUTE_PGM_RSRC2:USER_SGPR: 6
; COMPUTE_PGM_RSRC2:TRAP_HANDLER: 0
; COMPUTE_PGM_RSRC2:TGID_X_EN: 1
; COMPUTE_PGM_RSRC2:TGID_Y_EN: 1
; COMPUTE_PGM_RSRC2:TGID_Z_EN: 1
; COMPUTE_PGM_RSRC2:TIDIG_COMP_CNT: 1
	.section	.text._ZL41rocblas_syrkx_herkx_small_restrict_kernelIi19rocblas_complex_numIfELi16ELb0ELb1ELc78ELc76EKPKS1_KPS1_EviT_T0_PT6_S7_lSA_S7_lS8_PT7_S7_li,"axG",@progbits,_ZL41rocblas_syrkx_herkx_small_restrict_kernelIi19rocblas_complex_numIfELi16ELb0ELb1ELc78ELc76EKPKS1_KPS1_EviT_T0_PT6_S7_lSA_S7_lS8_PT7_S7_li,comdat
	.globl	_ZL41rocblas_syrkx_herkx_small_restrict_kernelIi19rocblas_complex_numIfELi16ELb0ELb1ELc78ELc76EKPKS1_KPS1_EviT_T0_PT6_S7_lSA_S7_lS8_PT7_S7_li ; -- Begin function _ZL41rocblas_syrkx_herkx_small_restrict_kernelIi19rocblas_complex_numIfELi16ELb0ELb1ELc78ELc76EKPKS1_KPS1_EviT_T0_PT6_S7_lSA_S7_lS8_PT7_S7_li
	.p2align	8
	.type	_ZL41rocblas_syrkx_herkx_small_restrict_kernelIi19rocblas_complex_numIfELi16ELb0ELb1ELc78ELc76EKPKS1_KPS1_EviT_T0_PT6_S7_lSA_S7_lS8_PT7_S7_li,@function
_ZL41rocblas_syrkx_herkx_small_restrict_kernelIi19rocblas_complex_numIfELi16ELb0ELb1ELc78ELc76EKPKS1_KPS1_EviT_T0_PT6_S7_lSA_S7_lS8_PT7_S7_li: ; @_ZL41rocblas_syrkx_herkx_small_restrict_kernelIi19rocblas_complex_numIfELi16ELb0ELb1ELc78ELc76EKPKS1_KPS1_EviT_T0_PT6_S7_lSA_S7_lS8_PT7_S7_li
; %bb.0:
	s_load_dwordx4 s[0:3], s[4:5], 0x40
	s_load_dword s16, s[4:5], 0x4
	s_load_dwordx4 s[12:15], s[4:5], 0x8
	s_mov_b32 s9, 0
	s_lshl_b64 s[10:11], s[8:9], 3
	s_waitcnt lgkmcnt(0)
	s_add_u32 s2, s2, s10
	s_addc_u32 s3, s3, s11
	s_load_dwordx2 s[2:3], s[2:3], 0x0
	v_lshl_add_u32 v2, s6, 4, v0
	v_lshl_add_u32 v4, s7, 4, v1
	s_cmp_lt_i32 s16, 1
	v_ashrrev_i32_e32 v3, 31, v2
	s_cbranch_scc1 .LBB816_5
; %bb.1:
	s_load_dword s18, s[4:5], 0x18
	s_load_dword s6, s[4:5], 0x30
	s_load_dwordx2 s[20:21], s[4:5], 0x28
	v_lshlrev_b32_e32 v6, 7, v1
	v_lshlrev_b32_e32 v7, 3, v0
	s_waitcnt lgkmcnt(0)
	s_ashr_i32 s19, s18, 31
	s_ashr_i32 s7, s6, 31
	s_add_u32 s20, s20, s10
	s_addc_u32 s21, s21, s11
	s_add_u32 s10, s14, s10
	s_addc_u32 s11, s15, s11
	v_mad_i64_i32 v[11:12], s[14:15], s6, v0, 0
	v_ashrrev_i32_e32 v5, 31, v4
	v_add_u32_e32 v8, v7, v6
	v_add_u32_e32 v9, 0x800, v6
	v_lshlrev_b64 v[11:12], 3, v[11:12]
	v_lshlrev_b64 v[5:6], 3, v[4:5]
	s_load_dwordx2 s[20:21], s[20:21], 0x0
	v_add_co_u32_e32 v0, vcc, v11, v5
	v_addc_co_u32_e32 v11, vcc, v12, v6, vcc
	v_mad_i64_i32 v[5:6], s[14:15], s18, v1, 0
	s_load_dwordx2 s[10:11], s[10:11], 0x0
	s_waitcnt lgkmcnt(0)
	v_mov_b32_e32 v12, s21
	v_add_co_u32_e32 v0, vcc, s20, v0
	v_addc_co_u32_e32 v1, vcc, v12, v11, vcc
	v_lshlrev_b64 v[5:6], 3, v[5:6]
	v_lshlrev_b64 v[11:12], 3, v[2:3]
	s_lshl_b64 s[6:7], s[6:7], 7
	v_add_co_u32_e32 v5, vcc, v5, v11
	v_addc_co_u32_e32 v6, vcc, v6, v12, vcc
	v_mov_b32_e32 v11, s11
	v_add_co_u32_e32 v5, vcc, s10, v5
	s_lshl_b64 s[10:11], s[18:19], 7
	v_add_u32_e32 v10, v9, v7
	v_addc_co_u32_e32 v6, vcc, v11, v6, vcc
	v_mov_b32_e32 v11, 0
	v_mov_b32_e32 v13, s7
	v_mov_b32_e32 v14, s11
	v_mov_b32_e32 v12, 0
.LBB816_2:                              ; =>This Inner Loop Header: Depth=1
	flat_load_dwordx2 v[15:16], v[5:6]
	v_add_co_u32_e32 v5, vcc, s10, v5
	v_addc_co_u32_e32 v6, vcc, v6, v14, vcc
	s_add_i32 s9, s9, 16
	s_cmp_lt_i32 s9, s16
	s_waitcnt vmcnt(0) lgkmcnt(0)
	ds_write_b64 v8, v[15:16]
	flat_load_dwordx2 v[15:16], v[0:1]
	v_add_co_u32_e32 v0, vcc, s6, v0
	v_addc_co_u32_e32 v1, vcc, v1, v13, vcc
	s_waitcnt vmcnt(0) lgkmcnt(0)
	v_xor_b32_e32 v16, 0x80000000, v16
	ds_write_b64 v10, v[15:16]
	s_waitcnt lgkmcnt(0)
	s_barrier
	ds_read2_b64 v[15:18], v7 offset1:16
	ds_read_b128 v[19:22], v9
	ds_read_b128 v[23:26], v9 offset:16
	ds_read2_b64 v[27:30], v7 offset0:32 offset1:48
	ds_read2_b64 v[31:34], v7 offset0:64 offset1:80
	ds_read_b128 v[35:38], v9 offset:32
	ds_read_b128 v[39:42], v9 offset:48
	ds_read2_b64 v[43:46], v7 offset0:96 offset1:112
	ds_read2_b64 v[47:50], v7 offset0:128 offset1:144
	ds_read_b128 v[51:54], v9 offset:64
	ds_read_b128 v[55:58], v9 offset:80
	s_waitcnt lgkmcnt(9)
	v_mul_f32_e32 v59, v20, v16
	v_mul_f32_e32 v60, v19, v16
	;; [unrolled: 1-line block ×4, first 2 shown]
	v_fma_f32 v59, v19, v15, -v59
	v_fmac_f32_e32 v60, v20, v15
	v_fma_f32 v62, v21, v17, -v16
	v_fmac_f32_e32 v61, v22, v17
	s_waitcnt lgkmcnt(7)
	v_mul_f32_e32 v19, v24, v28
	v_mul_f32_e32 v63, v23, v28
	v_add_f32_e32 v12, v12, v59
	v_add_f32_e32 v11, v11, v60
	v_mul_f32_e32 v20, v26, v30
	v_mul_f32_e32 v64, v25, v30
	v_fma_f32 v65, v23, v27, -v19
	v_fmac_f32_e32 v63, v24, v27
	v_add_f32_e32 v12, v12, v62
	v_add_f32_e32 v11, v11, v61
	v_fma_f32 v66, v25, v29, -v20
	v_fmac_f32_e32 v64, v26, v29
	s_waitcnt lgkmcnt(5)
	v_mul_f32_e32 v23, v36, v32
	v_mul_f32_e32 v67, v35, v32
	v_add_f32_e32 v12, v12, v65
	v_add_f32_e32 v11, v11, v63
	ds_read2_b64 v[15:18], v7 offset0:160 offset1:176
	v_mul_f32_e32 v24, v38, v34
	v_mul_f32_e32 v68, v37, v34
	v_fma_f32 v35, v35, v31, -v23
	v_fmac_f32_e32 v67, v36, v31
	v_add_f32_e32 v12, v12, v66
	v_add_f32_e32 v11, v11, v64
	v_fma_f32 v36, v37, v33, -v24
	v_fmac_f32_e32 v68, v38, v33
	s_waitcnt lgkmcnt(4)
	v_mul_f32_e32 v27, v40, v44
	v_mul_f32_e32 v37, v39, v44
	v_add_f32_e32 v12, v12, v35
	v_add_f32_e32 v11, v11, v67
	ds_read2_b64 v[19:22], v7 offset0:192 offset1:208
	ds_read_b128 v[23:26], v9 offset:96
	v_mul_f32_e32 v28, v42, v46
	v_mul_f32_e32 v38, v41, v46
	v_fma_f32 v39, v39, v43, -v27
	v_fmac_f32_e32 v37, v40, v43
	v_add_f32_e32 v12, v12, v36
	v_add_f32_e32 v11, v11, v68
	v_fma_f32 v40, v41, v45, -v28
	v_fmac_f32_e32 v38, v42, v45
	s_waitcnt lgkmcnt(4)
	v_mul_f32_e32 v31, v52, v48
	v_mul_f32_e32 v41, v51, v48
	;; [unrolled: 1-line block ×3, first 2 shown]
	v_add_f32_e32 v12, v12, v39
	v_add_f32_e32 v11, v11, v37
	ds_read_b128 v[27:30], v9 offset:112
	v_mul_f32_e32 v42, v53, v50
	v_fma_f32 v43, v51, v47, -v31
	v_fmac_f32_e32 v41, v52, v47
	v_fma_f32 v44, v53, v49, -v32
	ds_read2_b64 v[31:34], v7 offset0:224 offset1:240
	v_add_f32_e32 v12, v12, v40
	v_add_f32_e32 v11, v11, v38
	v_fmac_f32_e32 v42, v54, v49
	s_waitcnt lgkmcnt(4)
	v_mul_f32_e32 v45, v56, v16
	v_mul_f32_e32 v16, v55, v16
	v_add_f32_e32 v12, v12, v43
	v_add_f32_e32 v11, v11, v41
	v_mul_f32_e32 v46, v58, v18
	v_mul_f32_e32 v18, v57, v18
	v_fma_f32 v45, v55, v15, -v45
	v_fmac_f32_e32 v16, v56, v15
	v_add_f32_e32 v12, v12, v44
	v_add_f32_e32 v11, v11, v42
	v_fma_f32 v15, v57, v17, -v46
	v_fmac_f32_e32 v18, v58, v17
	s_waitcnt lgkmcnt(2)
	v_mul_f32_e32 v17, v24, v20
	v_mul_f32_e32 v20, v23, v20
	v_add_f32_e32 v12, v12, v45
	v_add_f32_e32 v11, v11, v16
	v_mul_f32_e32 v46, v26, v22
	v_mul_f32_e32 v22, v25, v22
	v_fma_f32 v17, v23, v19, -v17
	v_fmac_f32_e32 v20, v24, v19
	v_add_f32_e32 v12, v12, v15
	v_add_f32_e32 v11, v11, v18
	s_waitcnt lgkmcnt(0)
	v_mul_f32_e32 v47, v28, v32
	v_mul_f32_e32 v32, v27, v32
	v_fma_f32 v19, v25, v21, -v46
	v_fmac_f32_e32 v22, v26, v21
	v_add_f32_e32 v12, v12, v17
	v_add_f32_e32 v11, v11, v20
	v_mul_f32_e32 v48, v30, v34
	v_mul_f32_e32 v34, v29, v34
	v_fma_f32 v21, v27, v31, -v47
	v_fmac_f32_e32 v32, v28, v31
	v_add_f32_e32 v12, v12, v19
	v_add_f32_e32 v11, v11, v22
	v_fma_f32 v23, v29, v33, -v48
	v_fmac_f32_e32 v34, v30, v33
	v_add_f32_e32 v12, v12, v21
	v_add_f32_e32 v11, v11, v32
	;; [unrolled: 1-line block ×4, first 2 shown]
	s_barrier
	s_cbranch_scc1 .LBB816_2
; %bb.3:
	v_cmp_le_i32_e32 vcc, v4, v2
	s_and_saveexec_b64 s[6:7], vcc
	s_cbranch_execnz .LBB816_6
.LBB816_4:
	s_endpgm
.LBB816_5:
	v_mov_b32_e32 v11, 0
	v_mov_b32_e32 v12, 0
	v_cmp_le_i32_e32 vcc, v4, v2
	s_and_saveexec_b64 s[6:7], vcc
	s_cbranch_execz .LBB816_4
.LBB816_6:
	s_load_dword s4, s[4:5], 0x50
	s_waitcnt lgkmcnt(0)
	v_mov_b32_e32 v7, s3
	v_lshlrev_b64 v[5:6], 3, v[2:3]
	v_mul_f32_e32 v3, s13, v11
	v_fma_f32 v3, v12, s12, -v3
	v_mad_i64_i32 v[0:1], s[4:5], s4, v4, 0
	v_lshlrev_b64 v[0:1], 3, v[0:1]
	v_add_co_u32_e32 v0, vcc, s2, v0
	v_addc_co_u32_e32 v1, vcc, v7, v1, vcc
	v_add_co_u32_e32 v0, vcc, v0, v5
	v_addc_co_u32_e32 v1, vcc, v1, v6, vcc
	flat_load_dwordx2 v[5:6], v[0:1]
	v_mul_f32_e32 v7, s12, v11
	v_fmac_f32_e32 v7, s13, v12
	v_cmp_eq_u32_e32 vcc, v2, v4
	s_waitcnt vmcnt(0) lgkmcnt(0)
	v_mul_f32_e32 v8, s1, v6
	v_mul_f32_e32 v6, s0, v6
	v_fma_f32 v8, v5, s0, -v8
	v_fmac_f32_e32 v6, s1, v5
	v_add_f32_e32 v5, v3, v8
	v_add_f32_e32 v6, v7, v6
	flat_store_dwordx2 v[0:1], v[5:6]
	s_and_b64 exec, exec, vcc
	s_cbranch_execz .LBB816_4
; %bb.7:
	v_mov_b32_e32 v2, 0
	flat_store_dword v[0:1], v2 offset:4
	s_endpgm
	.section	.rodata,"a",@progbits
	.p2align	6, 0x0
	.amdhsa_kernel _ZL41rocblas_syrkx_herkx_small_restrict_kernelIi19rocblas_complex_numIfELi16ELb0ELb1ELc78ELc76EKPKS1_KPS1_EviT_T0_PT6_S7_lSA_S7_lS8_PT7_S7_li
		.amdhsa_group_segment_fixed_size 4096
		.amdhsa_private_segment_fixed_size 0
		.amdhsa_kernarg_size 100
		.amdhsa_user_sgpr_count 6
		.amdhsa_user_sgpr_private_segment_buffer 1
		.amdhsa_user_sgpr_dispatch_ptr 0
		.amdhsa_user_sgpr_queue_ptr 0
		.amdhsa_user_sgpr_kernarg_segment_ptr 1
		.amdhsa_user_sgpr_dispatch_id 0
		.amdhsa_user_sgpr_flat_scratch_init 0
		.amdhsa_user_sgpr_private_segment_size 0
		.amdhsa_uses_dynamic_stack 0
		.amdhsa_system_sgpr_private_segment_wavefront_offset 0
		.amdhsa_system_sgpr_workgroup_id_x 1
		.amdhsa_system_sgpr_workgroup_id_y 1
		.amdhsa_system_sgpr_workgroup_id_z 1
		.amdhsa_system_sgpr_workgroup_info 0
		.amdhsa_system_vgpr_workitem_id 1
		.amdhsa_next_free_vgpr 69
		.amdhsa_next_free_sgpr 22
		.amdhsa_reserve_vcc 1
		.amdhsa_reserve_flat_scratch 0
		.amdhsa_float_round_mode_32 0
		.amdhsa_float_round_mode_16_64 0
		.amdhsa_float_denorm_mode_32 3
		.amdhsa_float_denorm_mode_16_64 3
		.amdhsa_dx10_clamp 1
		.amdhsa_ieee_mode 1
		.amdhsa_fp16_overflow 0
		.amdhsa_exception_fp_ieee_invalid_op 0
		.amdhsa_exception_fp_denorm_src 0
		.amdhsa_exception_fp_ieee_div_zero 0
		.amdhsa_exception_fp_ieee_overflow 0
		.amdhsa_exception_fp_ieee_underflow 0
		.amdhsa_exception_fp_ieee_inexact 0
		.amdhsa_exception_int_div_zero 0
	.end_amdhsa_kernel
	.section	.text._ZL41rocblas_syrkx_herkx_small_restrict_kernelIi19rocblas_complex_numIfELi16ELb0ELb1ELc78ELc76EKPKS1_KPS1_EviT_T0_PT6_S7_lSA_S7_lS8_PT7_S7_li,"axG",@progbits,_ZL41rocblas_syrkx_herkx_small_restrict_kernelIi19rocblas_complex_numIfELi16ELb0ELb1ELc78ELc76EKPKS1_KPS1_EviT_T0_PT6_S7_lSA_S7_lS8_PT7_S7_li,comdat
.Lfunc_end816:
	.size	_ZL41rocblas_syrkx_herkx_small_restrict_kernelIi19rocblas_complex_numIfELi16ELb0ELb1ELc78ELc76EKPKS1_KPS1_EviT_T0_PT6_S7_lSA_S7_lS8_PT7_S7_li, .Lfunc_end816-_ZL41rocblas_syrkx_herkx_small_restrict_kernelIi19rocblas_complex_numIfELi16ELb0ELb1ELc78ELc76EKPKS1_KPS1_EviT_T0_PT6_S7_lSA_S7_lS8_PT7_S7_li
                                        ; -- End function
	.set _ZL41rocblas_syrkx_herkx_small_restrict_kernelIi19rocblas_complex_numIfELi16ELb0ELb1ELc78ELc76EKPKS1_KPS1_EviT_T0_PT6_S7_lSA_S7_lS8_PT7_S7_li.num_vgpr, 69
	.set _ZL41rocblas_syrkx_herkx_small_restrict_kernelIi19rocblas_complex_numIfELi16ELb0ELb1ELc78ELc76EKPKS1_KPS1_EviT_T0_PT6_S7_lSA_S7_lS8_PT7_S7_li.num_agpr, 0
	.set _ZL41rocblas_syrkx_herkx_small_restrict_kernelIi19rocblas_complex_numIfELi16ELb0ELb1ELc78ELc76EKPKS1_KPS1_EviT_T0_PT6_S7_lSA_S7_lS8_PT7_S7_li.numbered_sgpr, 22
	.set _ZL41rocblas_syrkx_herkx_small_restrict_kernelIi19rocblas_complex_numIfELi16ELb0ELb1ELc78ELc76EKPKS1_KPS1_EviT_T0_PT6_S7_lSA_S7_lS8_PT7_S7_li.num_named_barrier, 0
	.set _ZL41rocblas_syrkx_herkx_small_restrict_kernelIi19rocblas_complex_numIfELi16ELb0ELb1ELc78ELc76EKPKS1_KPS1_EviT_T0_PT6_S7_lSA_S7_lS8_PT7_S7_li.private_seg_size, 0
	.set _ZL41rocblas_syrkx_herkx_small_restrict_kernelIi19rocblas_complex_numIfELi16ELb0ELb1ELc78ELc76EKPKS1_KPS1_EviT_T0_PT6_S7_lSA_S7_lS8_PT7_S7_li.uses_vcc, 1
	.set _ZL41rocblas_syrkx_herkx_small_restrict_kernelIi19rocblas_complex_numIfELi16ELb0ELb1ELc78ELc76EKPKS1_KPS1_EviT_T0_PT6_S7_lSA_S7_lS8_PT7_S7_li.uses_flat_scratch, 0
	.set _ZL41rocblas_syrkx_herkx_small_restrict_kernelIi19rocblas_complex_numIfELi16ELb0ELb1ELc78ELc76EKPKS1_KPS1_EviT_T0_PT6_S7_lSA_S7_lS8_PT7_S7_li.has_dyn_sized_stack, 0
	.set _ZL41rocblas_syrkx_herkx_small_restrict_kernelIi19rocblas_complex_numIfELi16ELb0ELb1ELc78ELc76EKPKS1_KPS1_EviT_T0_PT6_S7_lSA_S7_lS8_PT7_S7_li.has_recursion, 0
	.set _ZL41rocblas_syrkx_herkx_small_restrict_kernelIi19rocblas_complex_numIfELi16ELb0ELb1ELc78ELc76EKPKS1_KPS1_EviT_T0_PT6_S7_lSA_S7_lS8_PT7_S7_li.has_indirect_call, 0
	.section	.AMDGPU.csdata,"",@progbits
; Kernel info:
; codeLenInByte = 1176
; TotalNumSgprs: 26
; NumVgprs: 69
; ScratchSize: 0
; MemoryBound: 0
; FloatMode: 240
; IeeeMode: 1
; LDSByteSize: 4096 bytes/workgroup (compile time only)
; SGPRBlocks: 3
; VGPRBlocks: 17
; NumSGPRsForWavesPerEU: 26
; NumVGPRsForWavesPerEU: 69
; Occupancy: 3
; WaveLimiterHint : 1
; COMPUTE_PGM_RSRC2:SCRATCH_EN: 0
; COMPUTE_PGM_RSRC2:USER_SGPR: 6
; COMPUTE_PGM_RSRC2:TRAP_HANDLER: 0
; COMPUTE_PGM_RSRC2:TGID_X_EN: 1
; COMPUTE_PGM_RSRC2:TGID_Y_EN: 1
; COMPUTE_PGM_RSRC2:TGID_Z_EN: 1
; COMPUTE_PGM_RSRC2:TIDIG_COMP_CNT: 1
	.section	.text._ZL41rocblas_syrkx_herkx_small_restrict_kernelIi19rocblas_complex_numIfELi16ELb0ELb1ELc84ELc85EKPKS1_KPS1_EviT_T0_PT6_S7_lSA_S7_lS8_PT7_S7_li,"axG",@progbits,_ZL41rocblas_syrkx_herkx_small_restrict_kernelIi19rocblas_complex_numIfELi16ELb0ELb1ELc84ELc85EKPKS1_KPS1_EviT_T0_PT6_S7_lSA_S7_lS8_PT7_S7_li,comdat
	.globl	_ZL41rocblas_syrkx_herkx_small_restrict_kernelIi19rocblas_complex_numIfELi16ELb0ELb1ELc84ELc85EKPKS1_KPS1_EviT_T0_PT6_S7_lSA_S7_lS8_PT7_S7_li ; -- Begin function _ZL41rocblas_syrkx_herkx_small_restrict_kernelIi19rocblas_complex_numIfELi16ELb0ELb1ELc84ELc85EKPKS1_KPS1_EviT_T0_PT6_S7_lSA_S7_lS8_PT7_S7_li
	.p2align	8
	.type	_ZL41rocblas_syrkx_herkx_small_restrict_kernelIi19rocblas_complex_numIfELi16ELb0ELb1ELc84ELc85EKPKS1_KPS1_EviT_T0_PT6_S7_lSA_S7_lS8_PT7_S7_li,@function
_ZL41rocblas_syrkx_herkx_small_restrict_kernelIi19rocblas_complex_numIfELi16ELb0ELb1ELc84ELc85EKPKS1_KPS1_EviT_T0_PT6_S7_lSA_S7_lS8_PT7_S7_li: ; @_ZL41rocblas_syrkx_herkx_small_restrict_kernelIi19rocblas_complex_numIfELi16ELb0ELb1ELc84ELc85EKPKS1_KPS1_EviT_T0_PT6_S7_lSA_S7_lS8_PT7_S7_li
; %bb.0:
	s_load_dwordx4 s[12:15], s[4:5], 0x40
	s_load_dword s10, s[4:5], 0x4
	s_load_dwordx4 s[16:19], s[4:5], 0x8
	s_mov_b32 s9, 0
	s_lshl_b64 s[0:1], s[8:9], 3
	s_waitcnt lgkmcnt(0)
	s_add_u32 s2, s14, s0
	s_addc_u32 s3, s15, s1
	s_load_dwordx2 s[2:3], s[2:3], 0x0
	v_lshl_add_u32 v2, s6, 4, v0
	s_cmp_lt_i32 s10, 1
	v_lshl_add_u32 v5, s7, 4, v1
	s_cbranch_scc1 .LBB817_5
; %bb.1:
	s_load_dwordx2 s[6:7], s[4:5], 0x28
	s_load_dword s8, s[4:5], 0x18
	s_load_dword s11, s[4:5], 0x30
	v_lshlrev_b32_e32 v7, 3, v0
	v_lshlrev_b32_e32 v6, 7, v1
	s_waitcnt lgkmcnt(0)
	s_add_u32 s6, s6, s0
	s_addc_u32 s7, s7, s1
	v_mad_i64_i32 v[3:4], s[14:15], s11, v5, 0
	s_load_dwordx2 s[6:7], s[6:7], 0x0
	v_mad_i64_i32 v[11:12], s[14:15], s8, v2, 0
	v_lshlrev_b64 v[3:4], 3, v[3:4]
	s_add_u32 s0, s18, s0
	s_addc_u32 s1, s19, s1
	v_add_co_u32_e32 v0, vcc, v3, v7
	s_load_dwordx2 s[0:1], s[0:1], 0x0
	v_addc_co_u32_e32 v4, vcc, 0, v4, vcc
	s_waitcnt lgkmcnt(0)
	v_mov_b32_e32 v13, s7
	v_add_co_u32_e32 v3, vcc, s6, v0
	v_lshlrev_b64 v[11:12], 3, v[11:12]
	v_addc_co_u32_e32 v4, vcc, v13, v4, vcc
	v_lshlrev_b32_e32 v0, 3, v1
	v_add_co_u32_e32 v0, vcc, v11, v0
	v_addc_co_u32_e32 v1, vcc, 0, v12, vcc
	v_add_u32_e32 v9, 0x800, v6
	v_mov_b32_e32 v11, s1
	v_add_co_u32_e32 v0, vcc, s0, v0
	v_add_u32_e32 v8, v7, v6
	v_add_u32_e32 v10, v9, v7
	v_mov_b32_e32 v6, 0
	v_addc_co_u32_e32 v1, vcc, v11, v1, vcc
	v_mov_b32_e32 v11, 0
.LBB817_2:                              ; =>This Inner Loop Header: Depth=1
	flat_load_dwordx2 v[12:13], v[0:1]
	s_add_i32 s9, s9, 16
	s_cmp_lt_i32 s9, s10
	s_waitcnt vmcnt(0) lgkmcnt(0)
	ds_write_b64 v8, v[12:13]
	flat_load_dwordx2 v[12:13], v[3:4]
	v_add_co_u32_e32 v3, vcc, 0x80, v3
	s_mov_b64 s[0:1], vcc
	v_add_co_u32_e32 v0, vcc, 0x80, v0
	v_addc_co_u32_e64 v4, s[0:1], 0, v4, s[0:1]
	v_addc_co_u32_e32 v1, vcc, 0, v1, vcc
	s_waitcnt vmcnt(0) lgkmcnt(0)
	ds_write_b64 v10, v[12:13]
	s_waitcnt lgkmcnt(0)
	s_barrier
	ds_read2_b64 v[12:15], v7 offset1:16
	ds_read_b128 v[16:19], v9
	ds_read_b128 v[20:23], v9 offset:16
	ds_read2_b64 v[24:27], v7 offset0:32 offset1:48
	ds_read2_b64 v[28:31], v7 offset0:64 offset1:80
	ds_read_b128 v[32:35], v9 offset:32
	ds_read_b128 v[36:39], v9 offset:48
	ds_read2_b64 v[40:43], v7 offset0:96 offset1:112
	ds_read2_b64 v[44:47], v7 offset0:128 offset1:144
	ds_read_b128 v[48:51], v9 offset:64
	ds_read_b128 v[52:55], v9 offset:80
	s_waitcnt lgkmcnt(9)
	v_mul_f32_e32 v56, v17, v13
	v_mul_f32_e32 v57, v16, v13
	;; [unrolled: 1-line block ×4, first 2 shown]
	v_fma_f32 v56, v16, v12, -v56
	v_fmac_f32_e32 v57, v17, v12
	v_fma_f32 v59, v18, v14, -v13
	v_fmac_f32_e32 v58, v19, v14
	s_waitcnt lgkmcnt(7)
	v_mul_f32_e32 v16, v21, v25
	v_mul_f32_e32 v60, v20, v25
	v_add_f32_e32 v11, v11, v56
	v_add_f32_e32 v6, v6, v57
	v_mul_f32_e32 v17, v23, v27
	v_mul_f32_e32 v61, v22, v27
	v_fma_f32 v62, v20, v24, -v16
	v_fmac_f32_e32 v60, v21, v24
	v_add_f32_e32 v11, v11, v59
	v_add_f32_e32 v6, v6, v58
	v_fma_f32 v63, v22, v26, -v17
	v_fmac_f32_e32 v61, v23, v26
	s_waitcnt lgkmcnt(5)
	v_mul_f32_e32 v20, v33, v29
	v_mul_f32_e32 v64, v32, v29
	v_add_f32_e32 v11, v11, v62
	v_add_f32_e32 v6, v6, v60
	ds_read2_b64 v[12:15], v7 offset0:160 offset1:176
	v_mul_f32_e32 v21, v35, v31
	v_mul_f32_e32 v65, v34, v31
	v_fma_f32 v32, v32, v28, -v20
	v_fmac_f32_e32 v64, v33, v28
	v_add_f32_e32 v11, v11, v63
	v_add_f32_e32 v6, v6, v61
	v_fma_f32 v33, v34, v30, -v21
	v_fmac_f32_e32 v65, v35, v30
	s_waitcnt lgkmcnt(4)
	v_mul_f32_e32 v24, v37, v41
	v_mul_f32_e32 v34, v36, v41
	v_add_f32_e32 v11, v11, v32
	v_add_f32_e32 v6, v6, v64
	ds_read2_b64 v[16:19], v7 offset0:192 offset1:208
	ds_read_b128 v[20:23], v9 offset:96
	v_mul_f32_e32 v25, v39, v43
	v_mul_f32_e32 v35, v38, v43
	v_fma_f32 v36, v36, v40, -v24
	v_fmac_f32_e32 v34, v37, v40
	v_add_f32_e32 v11, v11, v33
	v_add_f32_e32 v6, v6, v65
	v_fma_f32 v37, v38, v42, -v25
	v_fmac_f32_e32 v35, v39, v42
	s_waitcnt lgkmcnt(4)
	v_mul_f32_e32 v28, v49, v45
	v_mul_f32_e32 v38, v48, v45
	v_mul_f32_e32 v29, v51, v47
	v_add_f32_e32 v11, v11, v36
	v_add_f32_e32 v6, v6, v34
	ds_read_b128 v[24:27], v9 offset:112
	v_mul_f32_e32 v39, v50, v47
	v_fma_f32 v40, v48, v44, -v28
	v_fmac_f32_e32 v38, v49, v44
	v_fma_f32 v41, v50, v46, -v29
	ds_read2_b64 v[28:31], v7 offset0:224 offset1:240
	v_add_f32_e32 v11, v11, v37
	v_add_f32_e32 v6, v6, v35
	v_fmac_f32_e32 v39, v51, v46
	s_waitcnt lgkmcnt(4)
	v_mul_f32_e32 v42, v53, v13
	v_mul_f32_e32 v13, v52, v13
	v_add_f32_e32 v11, v11, v40
	v_add_f32_e32 v6, v6, v38
	v_mul_f32_e32 v43, v55, v15
	v_mul_f32_e32 v15, v54, v15
	v_fma_f32 v42, v52, v12, -v42
	v_fmac_f32_e32 v13, v53, v12
	v_add_f32_e32 v11, v11, v41
	v_add_f32_e32 v6, v6, v39
	s_waitcnt lgkmcnt(2)
	v_mul_f32_e32 v44, v21, v17
	v_mul_f32_e32 v17, v20, v17
	v_fma_f32 v12, v54, v14, -v43
	v_fmac_f32_e32 v15, v55, v14
	v_add_f32_e32 v11, v11, v42
	v_add_f32_e32 v6, v6, v13
	v_mul_f32_e32 v14, v23, v19
	v_mul_f32_e32 v19, v22, v19
	v_fma_f32 v20, v20, v16, -v44
	v_fmac_f32_e32 v17, v21, v16
	v_add_f32_e32 v11, v11, v12
	v_add_f32_e32 v6, v6, v15
	s_waitcnt lgkmcnt(0)
	v_mul_f32_e32 v43, v25, v29
	v_mul_f32_e32 v29, v24, v29
	v_fma_f32 v14, v22, v18, -v14
	v_fmac_f32_e32 v19, v23, v18
	v_add_f32_e32 v11, v11, v20
	v_add_f32_e32 v6, v6, v17
	v_mul_f32_e32 v45, v27, v31
	v_mul_f32_e32 v31, v26, v31
	v_fma_f32 v16, v24, v28, -v43
	v_fmac_f32_e32 v29, v25, v28
	v_add_f32_e32 v11, v11, v14
	v_add_f32_e32 v6, v6, v19
	v_fma_f32 v18, v26, v30, -v45
	v_fmac_f32_e32 v31, v27, v30
	v_add_f32_e32 v11, v11, v16
	v_add_f32_e32 v6, v6, v29
	;; [unrolled: 1-line block ×4, first 2 shown]
	s_barrier
	s_cbranch_scc1 .LBB817_2
; %bb.3:
	v_cmp_le_i32_e32 vcc, v2, v5
	s_and_saveexec_b64 s[0:1], vcc
	s_cbranch_execnz .LBB817_6
.LBB817_4:
	s_endpgm
.LBB817_5:
	v_mov_b32_e32 v6, 0
	v_mov_b32_e32 v11, 0
	v_cmp_le_i32_e32 vcc, v2, v5
	s_and_saveexec_b64 s[0:1], vcc
	s_cbranch_execz .LBB817_4
.LBB817_6:
	s_load_dword s0, s[4:5], 0x50
	v_ashrrev_i32_e32 v3, 31, v2
	s_waitcnt lgkmcnt(0)
	v_mov_b32_e32 v7, s3
	v_lshlrev_b64 v[3:4], 3, v[2:3]
	v_mad_i64_i32 v[0:1], s[0:1], s0, v5, 0
	v_lshlrev_b64 v[0:1], 3, v[0:1]
	v_add_co_u32_e32 v0, vcc, s2, v0
	v_addc_co_u32_e32 v1, vcc, v7, v1, vcc
	v_add_co_u32_e32 v0, vcc, v0, v3
	v_addc_co_u32_e32 v1, vcc, v1, v4, vcc
	flat_load_dwordx2 v[3:4], v[0:1]
	v_mul_f32_e32 v7, s17, v6
	v_mul_f32_e32 v6, s16, v6
	v_fma_f32 v7, v11, s16, -v7
	v_fmac_f32_e32 v6, s17, v11
	v_cmp_eq_u32_e32 vcc, v2, v5
	s_waitcnt vmcnt(0) lgkmcnt(0)
	v_mul_f32_e32 v8, s13, v4
	v_mul_f32_e32 v4, s12, v4
	v_fma_f32 v8, v3, s12, -v8
	v_fmac_f32_e32 v4, s13, v3
	v_add_f32_e32 v3, v7, v8
	v_add_f32_e32 v4, v6, v4
	flat_store_dwordx2 v[0:1], v[3:4]
	s_and_b64 exec, exec, vcc
	s_cbranch_execz .LBB817_4
; %bb.7:
	v_mov_b32_e32 v2, 0
	flat_store_dword v[0:1], v2 offset:4
	s_endpgm
	.section	.rodata,"a",@progbits
	.p2align	6, 0x0
	.amdhsa_kernel _ZL41rocblas_syrkx_herkx_small_restrict_kernelIi19rocblas_complex_numIfELi16ELb0ELb1ELc84ELc85EKPKS1_KPS1_EviT_T0_PT6_S7_lSA_S7_lS8_PT7_S7_li
		.amdhsa_group_segment_fixed_size 4096
		.amdhsa_private_segment_fixed_size 0
		.amdhsa_kernarg_size 100
		.amdhsa_user_sgpr_count 6
		.amdhsa_user_sgpr_private_segment_buffer 1
		.amdhsa_user_sgpr_dispatch_ptr 0
		.amdhsa_user_sgpr_queue_ptr 0
		.amdhsa_user_sgpr_kernarg_segment_ptr 1
		.amdhsa_user_sgpr_dispatch_id 0
		.amdhsa_user_sgpr_flat_scratch_init 0
		.amdhsa_user_sgpr_private_segment_size 0
		.amdhsa_uses_dynamic_stack 0
		.amdhsa_system_sgpr_private_segment_wavefront_offset 0
		.amdhsa_system_sgpr_workgroup_id_x 1
		.amdhsa_system_sgpr_workgroup_id_y 1
		.amdhsa_system_sgpr_workgroup_id_z 1
		.amdhsa_system_sgpr_workgroup_info 0
		.amdhsa_system_vgpr_workitem_id 1
		.amdhsa_next_free_vgpr 66
		.amdhsa_next_free_sgpr 20
		.amdhsa_reserve_vcc 1
		.amdhsa_reserve_flat_scratch 0
		.amdhsa_float_round_mode_32 0
		.amdhsa_float_round_mode_16_64 0
		.amdhsa_float_denorm_mode_32 3
		.amdhsa_float_denorm_mode_16_64 3
		.amdhsa_dx10_clamp 1
		.amdhsa_ieee_mode 1
		.amdhsa_fp16_overflow 0
		.amdhsa_exception_fp_ieee_invalid_op 0
		.amdhsa_exception_fp_denorm_src 0
		.amdhsa_exception_fp_ieee_div_zero 0
		.amdhsa_exception_fp_ieee_overflow 0
		.amdhsa_exception_fp_ieee_underflow 0
		.amdhsa_exception_fp_ieee_inexact 0
		.amdhsa_exception_int_div_zero 0
	.end_amdhsa_kernel
	.section	.text._ZL41rocblas_syrkx_herkx_small_restrict_kernelIi19rocblas_complex_numIfELi16ELb0ELb1ELc84ELc85EKPKS1_KPS1_EviT_T0_PT6_S7_lSA_S7_lS8_PT7_S7_li,"axG",@progbits,_ZL41rocblas_syrkx_herkx_small_restrict_kernelIi19rocblas_complex_numIfELi16ELb0ELb1ELc84ELc85EKPKS1_KPS1_EviT_T0_PT6_S7_lSA_S7_lS8_PT7_S7_li,comdat
.Lfunc_end817:
	.size	_ZL41rocblas_syrkx_herkx_small_restrict_kernelIi19rocblas_complex_numIfELi16ELb0ELb1ELc84ELc85EKPKS1_KPS1_EviT_T0_PT6_S7_lSA_S7_lS8_PT7_S7_li, .Lfunc_end817-_ZL41rocblas_syrkx_herkx_small_restrict_kernelIi19rocblas_complex_numIfELi16ELb0ELb1ELc84ELc85EKPKS1_KPS1_EviT_T0_PT6_S7_lSA_S7_lS8_PT7_S7_li
                                        ; -- End function
	.set _ZL41rocblas_syrkx_herkx_small_restrict_kernelIi19rocblas_complex_numIfELi16ELb0ELb1ELc84ELc85EKPKS1_KPS1_EviT_T0_PT6_S7_lSA_S7_lS8_PT7_S7_li.num_vgpr, 66
	.set _ZL41rocblas_syrkx_herkx_small_restrict_kernelIi19rocblas_complex_numIfELi16ELb0ELb1ELc84ELc85EKPKS1_KPS1_EviT_T0_PT6_S7_lSA_S7_lS8_PT7_S7_li.num_agpr, 0
	.set _ZL41rocblas_syrkx_herkx_small_restrict_kernelIi19rocblas_complex_numIfELi16ELb0ELb1ELc84ELc85EKPKS1_KPS1_EviT_T0_PT6_S7_lSA_S7_lS8_PT7_S7_li.numbered_sgpr, 20
	.set _ZL41rocblas_syrkx_herkx_small_restrict_kernelIi19rocblas_complex_numIfELi16ELb0ELb1ELc84ELc85EKPKS1_KPS1_EviT_T0_PT6_S7_lSA_S7_lS8_PT7_S7_li.num_named_barrier, 0
	.set _ZL41rocblas_syrkx_herkx_small_restrict_kernelIi19rocblas_complex_numIfELi16ELb0ELb1ELc84ELc85EKPKS1_KPS1_EviT_T0_PT6_S7_lSA_S7_lS8_PT7_S7_li.private_seg_size, 0
	.set _ZL41rocblas_syrkx_herkx_small_restrict_kernelIi19rocblas_complex_numIfELi16ELb0ELb1ELc84ELc85EKPKS1_KPS1_EviT_T0_PT6_S7_lSA_S7_lS8_PT7_S7_li.uses_vcc, 1
	.set _ZL41rocblas_syrkx_herkx_small_restrict_kernelIi19rocblas_complex_numIfELi16ELb0ELb1ELc84ELc85EKPKS1_KPS1_EviT_T0_PT6_S7_lSA_S7_lS8_PT7_S7_li.uses_flat_scratch, 0
	.set _ZL41rocblas_syrkx_herkx_small_restrict_kernelIi19rocblas_complex_numIfELi16ELb0ELb1ELc84ELc85EKPKS1_KPS1_EviT_T0_PT6_S7_lSA_S7_lS8_PT7_S7_li.has_dyn_sized_stack, 0
	.set _ZL41rocblas_syrkx_herkx_small_restrict_kernelIi19rocblas_complex_numIfELi16ELb0ELb1ELc84ELc85EKPKS1_KPS1_EviT_T0_PT6_S7_lSA_S7_lS8_PT7_S7_li.has_recursion, 0
	.set _ZL41rocblas_syrkx_herkx_small_restrict_kernelIi19rocblas_complex_numIfELi16ELb0ELb1ELc84ELc85EKPKS1_KPS1_EviT_T0_PT6_S7_lSA_S7_lS8_PT7_S7_li.has_indirect_call, 0
	.section	.AMDGPU.csdata,"",@progbits
; Kernel info:
; codeLenInByte = 1144
; TotalNumSgprs: 24
; NumVgprs: 66
; ScratchSize: 0
; MemoryBound: 0
; FloatMode: 240
; IeeeMode: 1
; LDSByteSize: 4096 bytes/workgroup (compile time only)
; SGPRBlocks: 2
; VGPRBlocks: 16
; NumSGPRsForWavesPerEU: 24
; NumVGPRsForWavesPerEU: 66
; Occupancy: 3
; WaveLimiterHint : 1
; COMPUTE_PGM_RSRC2:SCRATCH_EN: 0
; COMPUTE_PGM_RSRC2:USER_SGPR: 6
; COMPUTE_PGM_RSRC2:TRAP_HANDLER: 0
; COMPUTE_PGM_RSRC2:TGID_X_EN: 1
; COMPUTE_PGM_RSRC2:TGID_Y_EN: 1
; COMPUTE_PGM_RSRC2:TGID_Z_EN: 1
; COMPUTE_PGM_RSRC2:TIDIG_COMP_CNT: 1
	.section	.text._ZL41rocblas_syrkx_herkx_small_restrict_kernelIi19rocblas_complex_numIfELi16ELb0ELb1ELc67ELc85EKPKS1_KPS1_EviT_T0_PT6_S7_lSA_S7_lS8_PT7_S7_li,"axG",@progbits,_ZL41rocblas_syrkx_herkx_small_restrict_kernelIi19rocblas_complex_numIfELi16ELb0ELb1ELc67ELc85EKPKS1_KPS1_EviT_T0_PT6_S7_lSA_S7_lS8_PT7_S7_li,comdat
	.globl	_ZL41rocblas_syrkx_herkx_small_restrict_kernelIi19rocblas_complex_numIfELi16ELb0ELb1ELc67ELc85EKPKS1_KPS1_EviT_T0_PT6_S7_lSA_S7_lS8_PT7_S7_li ; -- Begin function _ZL41rocblas_syrkx_herkx_small_restrict_kernelIi19rocblas_complex_numIfELi16ELb0ELb1ELc67ELc85EKPKS1_KPS1_EviT_T0_PT6_S7_lSA_S7_lS8_PT7_S7_li
	.p2align	8
	.type	_ZL41rocblas_syrkx_herkx_small_restrict_kernelIi19rocblas_complex_numIfELi16ELb0ELb1ELc67ELc85EKPKS1_KPS1_EviT_T0_PT6_S7_lSA_S7_lS8_PT7_S7_li,@function
_ZL41rocblas_syrkx_herkx_small_restrict_kernelIi19rocblas_complex_numIfELi16ELb0ELb1ELc67ELc85EKPKS1_KPS1_EviT_T0_PT6_S7_lSA_S7_lS8_PT7_S7_li: ; @_ZL41rocblas_syrkx_herkx_small_restrict_kernelIi19rocblas_complex_numIfELi16ELb0ELb1ELc67ELc85EKPKS1_KPS1_EviT_T0_PT6_S7_lSA_S7_lS8_PT7_S7_li
; %bb.0:
	s_load_dwordx4 s[12:15], s[4:5], 0x40
	s_load_dword s10, s[4:5], 0x4
	s_load_dwordx4 s[16:19], s[4:5], 0x8
	s_mov_b32 s9, 0
	s_lshl_b64 s[0:1], s[8:9], 3
	s_waitcnt lgkmcnt(0)
	s_add_u32 s2, s14, s0
	s_addc_u32 s3, s15, s1
	s_load_dwordx2 s[2:3], s[2:3], 0x0
	v_lshl_add_u32 v2, s6, 4, v0
	s_cmp_lt_i32 s10, 1
	v_lshl_add_u32 v5, s7, 4, v1
	s_cbranch_scc1 .LBB818_5
; %bb.1:
	s_load_dwordx2 s[6:7], s[4:5], 0x28
	s_load_dword s8, s[4:5], 0x18
	s_load_dword s11, s[4:5], 0x30
	v_lshlrev_b32_e32 v7, 3, v0
	v_lshlrev_b32_e32 v6, 7, v1
	s_waitcnt lgkmcnt(0)
	s_add_u32 s6, s6, s0
	s_addc_u32 s7, s7, s1
	v_mad_i64_i32 v[3:4], s[14:15], s11, v5, 0
	s_load_dwordx2 s[6:7], s[6:7], 0x0
	v_mad_i64_i32 v[11:12], s[14:15], s8, v2, 0
	v_lshlrev_b64 v[3:4], 3, v[3:4]
	s_add_u32 s0, s18, s0
	s_addc_u32 s1, s19, s1
	v_add_co_u32_e32 v0, vcc, v3, v7
	s_load_dwordx2 s[0:1], s[0:1], 0x0
	v_addc_co_u32_e32 v4, vcc, 0, v4, vcc
	s_waitcnt lgkmcnt(0)
	v_mov_b32_e32 v13, s7
	v_add_co_u32_e32 v3, vcc, s6, v0
	v_lshlrev_b64 v[11:12], 3, v[11:12]
	v_addc_co_u32_e32 v4, vcc, v13, v4, vcc
	v_lshlrev_b32_e32 v0, 3, v1
	v_add_co_u32_e32 v0, vcc, v11, v0
	v_addc_co_u32_e32 v1, vcc, 0, v12, vcc
	v_add_u32_e32 v9, 0x800, v6
	v_mov_b32_e32 v11, s1
	v_add_co_u32_e32 v0, vcc, s0, v0
	v_add_u32_e32 v8, v7, v6
	v_add_u32_e32 v10, v9, v7
	v_mov_b32_e32 v6, 0
	v_addc_co_u32_e32 v1, vcc, v11, v1, vcc
	v_mov_b32_e32 v11, 0
.LBB818_2:                              ; =>This Inner Loop Header: Depth=1
	flat_load_dwordx2 v[12:13], v[0:1]
	s_add_i32 s9, s9, 16
	s_cmp_lt_i32 s9, s10
	s_waitcnt vmcnt(0) lgkmcnt(0)
	v_xor_b32_e32 v13, 0x80000000, v13
	ds_write_b64 v8, v[12:13]
	flat_load_dwordx2 v[12:13], v[3:4]
	v_add_co_u32_e32 v3, vcc, 0x80, v3
	s_mov_b64 s[0:1], vcc
	v_add_co_u32_e32 v0, vcc, 0x80, v0
	v_addc_co_u32_e64 v4, s[0:1], 0, v4, s[0:1]
	v_addc_co_u32_e32 v1, vcc, 0, v1, vcc
	s_waitcnt vmcnt(0) lgkmcnt(0)
	ds_write_b64 v10, v[12:13]
	s_waitcnt lgkmcnt(0)
	s_barrier
	ds_read2_b64 v[12:15], v7 offset1:16
	ds_read_b128 v[16:19], v9
	ds_read_b128 v[20:23], v9 offset:16
	ds_read2_b64 v[24:27], v7 offset0:32 offset1:48
	ds_read2_b64 v[28:31], v7 offset0:64 offset1:80
	ds_read_b128 v[32:35], v9 offset:32
	ds_read_b128 v[36:39], v9 offset:48
	ds_read2_b64 v[40:43], v7 offset0:96 offset1:112
	ds_read2_b64 v[44:47], v7 offset0:128 offset1:144
	ds_read_b128 v[48:51], v9 offset:64
	ds_read_b128 v[52:55], v9 offset:80
	s_waitcnt lgkmcnt(9)
	v_mul_f32_e32 v56, v17, v13
	v_mul_f32_e32 v57, v16, v13
	v_mul_f32_e32 v13, v19, v15
	v_mul_f32_e32 v58, v18, v15
	v_fma_f32 v56, v16, v12, -v56
	v_fmac_f32_e32 v57, v17, v12
	v_fma_f32 v59, v18, v14, -v13
	v_fmac_f32_e32 v58, v19, v14
	s_waitcnt lgkmcnt(7)
	v_mul_f32_e32 v16, v21, v25
	v_mul_f32_e32 v60, v20, v25
	v_add_f32_e32 v11, v11, v56
	v_add_f32_e32 v6, v6, v57
	v_mul_f32_e32 v17, v23, v27
	v_mul_f32_e32 v61, v22, v27
	v_fma_f32 v62, v20, v24, -v16
	v_fmac_f32_e32 v60, v21, v24
	v_add_f32_e32 v11, v11, v59
	v_add_f32_e32 v6, v6, v58
	v_fma_f32 v63, v22, v26, -v17
	v_fmac_f32_e32 v61, v23, v26
	s_waitcnt lgkmcnt(5)
	v_mul_f32_e32 v20, v33, v29
	v_mul_f32_e32 v64, v32, v29
	v_add_f32_e32 v11, v11, v62
	v_add_f32_e32 v6, v6, v60
	ds_read2_b64 v[12:15], v7 offset0:160 offset1:176
	v_mul_f32_e32 v21, v35, v31
	v_mul_f32_e32 v65, v34, v31
	v_fma_f32 v32, v32, v28, -v20
	v_fmac_f32_e32 v64, v33, v28
	v_add_f32_e32 v11, v11, v63
	v_add_f32_e32 v6, v6, v61
	v_fma_f32 v33, v34, v30, -v21
	v_fmac_f32_e32 v65, v35, v30
	s_waitcnt lgkmcnt(4)
	v_mul_f32_e32 v24, v37, v41
	v_mul_f32_e32 v34, v36, v41
	v_add_f32_e32 v11, v11, v32
	v_add_f32_e32 v6, v6, v64
	ds_read2_b64 v[16:19], v7 offset0:192 offset1:208
	ds_read_b128 v[20:23], v9 offset:96
	v_mul_f32_e32 v25, v39, v43
	v_mul_f32_e32 v35, v38, v43
	v_fma_f32 v36, v36, v40, -v24
	v_fmac_f32_e32 v34, v37, v40
	v_add_f32_e32 v11, v11, v33
	v_add_f32_e32 v6, v6, v65
	v_fma_f32 v37, v38, v42, -v25
	v_fmac_f32_e32 v35, v39, v42
	s_waitcnt lgkmcnt(4)
	v_mul_f32_e32 v28, v49, v45
	v_mul_f32_e32 v38, v48, v45
	;; [unrolled: 1-line block ×3, first 2 shown]
	v_add_f32_e32 v11, v11, v36
	v_add_f32_e32 v6, v6, v34
	ds_read_b128 v[24:27], v9 offset:112
	v_mul_f32_e32 v39, v50, v47
	v_fma_f32 v40, v48, v44, -v28
	v_fmac_f32_e32 v38, v49, v44
	v_fma_f32 v41, v50, v46, -v29
	ds_read2_b64 v[28:31], v7 offset0:224 offset1:240
	v_add_f32_e32 v11, v11, v37
	v_add_f32_e32 v6, v6, v35
	v_fmac_f32_e32 v39, v51, v46
	s_waitcnt lgkmcnt(4)
	v_mul_f32_e32 v42, v53, v13
	v_mul_f32_e32 v13, v52, v13
	v_add_f32_e32 v11, v11, v40
	v_add_f32_e32 v6, v6, v38
	v_mul_f32_e32 v43, v55, v15
	v_mul_f32_e32 v15, v54, v15
	v_fma_f32 v42, v52, v12, -v42
	v_fmac_f32_e32 v13, v53, v12
	v_add_f32_e32 v11, v11, v41
	v_add_f32_e32 v6, v6, v39
	s_waitcnt lgkmcnt(2)
	v_mul_f32_e32 v44, v21, v17
	v_mul_f32_e32 v17, v20, v17
	v_fma_f32 v12, v54, v14, -v43
	v_fmac_f32_e32 v15, v55, v14
	v_add_f32_e32 v11, v11, v42
	v_add_f32_e32 v6, v6, v13
	v_mul_f32_e32 v14, v23, v19
	v_mul_f32_e32 v19, v22, v19
	v_fma_f32 v20, v20, v16, -v44
	v_fmac_f32_e32 v17, v21, v16
	v_add_f32_e32 v11, v11, v12
	v_add_f32_e32 v6, v6, v15
	s_waitcnt lgkmcnt(0)
	v_mul_f32_e32 v43, v25, v29
	v_mul_f32_e32 v29, v24, v29
	v_fma_f32 v14, v22, v18, -v14
	v_fmac_f32_e32 v19, v23, v18
	v_add_f32_e32 v11, v11, v20
	v_add_f32_e32 v6, v6, v17
	v_mul_f32_e32 v45, v27, v31
	v_mul_f32_e32 v31, v26, v31
	v_fma_f32 v16, v24, v28, -v43
	v_fmac_f32_e32 v29, v25, v28
	v_add_f32_e32 v11, v11, v14
	v_add_f32_e32 v6, v6, v19
	v_fma_f32 v18, v26, v30, -v45
	v_fmac_f32_e32 v31, v27, v30
	v_add_f32_e32 v11, v11, v16
	v_add_f32_e32 v6, v6, v29
	;; [unrolled: 1-line block ×4, first 2 shown]
	s_barrier
	s_cbranch_scc1 .LBB818_2
; %bb.3:
	v_cmp_le_i32_e32 vcc, v2, v5
	s_and_saveexec_b64 s[0:1], vcc
	s_cbranch_execnz .LBB818_6
.LBB818_4:
	s_endpgm
.LBB818_5:
	v_mov_b32_e32 v6, 0
	v_mov_b32_e32 v11, 0
	v_cmp_le_i32_e32 vcc, v2, v5
	s_and_saveexec_b64 s[0:1], vcc
	s_cbranch_execz .LBB818_4
.LBB818_6:
	s_load_dword s0, s[4:5], 0x50
	v_ashrrev_i32_e32 v3, 31, v2
	s_waitcnt lgkmcnt(0)
	v_mov_b32_e32 v7, s3
	v_lshlrev_b64 v[3:4], 3, v[2:3]
	v_mad_i64_i32 v[0:1], s[0:1], s0, v5, 0
	v_lshlrev_b64 v[0:1], 3, v[0:1]
	v_add_co_u32_e32 v0, vcc, s2, v0
	v_addc_co_u32_e32 v1, vcc, v7, v1, vcc
	v_add_co_u32_e32 v0, vcc, v0, v3
	v_addc_co_u32_e32 v1, vcc, v1, v4, vcc
	flat_load_dwordx2 v[3:4], v[0:1]
	v_mul_f32_e32 v7, s17, v6
	v_mul_f32_e32 v6, s16, v6
	v_fma_f32 v7, v11, s16, -v7
	v_fmac_f32_e32 v6, s17, v11
	v_cmp_eq_u32_e32 vcc, v2, v5
	s_waitcnt vmcnt(0) lgkmcnt(0)
	v_mul_f32_e32 v8, s13, v4
	v_mul_f32_e32 v4, s12, v4
	v_fma_f32 v8, v3, s12, -v8
	v_fmac_f32_e32 v4, s13, v3
	v_add_f32_e32 v3, v7, v8
	v_add_f32_e32 v4, v6, v4
	flat_store_dwordx2 v[0:1], v[3:4]
	s_and_b64 exec, exec, vcc
	s_cbranch_execz .LBB818_4
; %bb.7:
	v_mov_b32_e32 v2, 0
	flat_store_dword v[0:1], v2 offset:4
	s_endpgm
	.section	.rodata,"a",@progbits
	.p2align	6, 0x0
	.amdhsa_kernel _ZL41rocblas_syrkx_herkx_small_restrict_kernelIi19rocblas_complex_numIfELi16ELb0ELb1ELc67ELc85EKPKS1_KPS1_EviT_T0_PT6_S7_lSA_S7_lS8_PT7_S7_li
		.amdhsa_group_segment_fixed_size 4096
		.amdhsa_private_segment_fixed_size 0
		.amdhsa_kernarg_size 100
		.amdhsa_user_sgpr_count 6
		.amdhsa_user_sgpr_private_segment_buffer 1
		.amdhsa_user_sgpr_dispatch_ptr 0
		.amdhsa_user_sgpr_queue_ptr 0
		.amdhsa_user_sgpr_kernarg_segment_ptr 1
		.amdhsa_user_sgpr_dispatch_id 0
		.amdhsa_user_sgpr_flat_scratch_init 0
		.amdhsa_user_sgpr_private_segment_size 0
		.amdhsa_uses_dynamic_stack 0
		.amdhsa_system_sgpr_private_segment_wavefront_offset 0
		.amdhsa_system_sgpr_workgroup_id_x 1
		.amdhsa_system_sgpr_workgroup_id_y 1
		.amdhsa_system_sgpr_workgroup_id_z 1
		.amdhsa_system_sgpr_workgroup_info 0
		.amdhsa_system_vgpr_workitem_id 1
		.amdhsa_next_free_vgpr 66
		.amdhsa_next_free_sgpr 20
		.amdhsa_reserve_vcc 1
		.amdhsa_reserve_flat_scratch 0
		.amdhsa_float_round_mode_32 0
		.amdhsa_float_round_mode_16_64 0
		.amdhsa_float_denorm_mode_32 3
		.amdhsa_float_denorm_mode_16_64 3
		.amdhsa_dx10_clamp 1
		.amdhsa_ieee_mode 1
		.amdhsa_fp16_overflow 0
		.amdhsa_exception_fp_ieee_invalid_op 0
		.amdhsa_exception_fp_denorm_src 0
		.amdhsa_exception_fp_ieee_div_zero 0
		.amdhsa_exception_fp_ieee_overflow 0
		.amdhsa_exception_fp_ieee_underflow 0
		.amdhsa_exception_fp_ieee_inexact 0
		.amdhsa_exception_int_div_zero 0
	.end_amdhsa_kernel
	.section	.text._ZL41rocblas_syrkx_herkx_small_restrict_kernelIi19rocblas_complex_numIfELi16ELb0ELb1ELc67ELc85EKPKS1_KPS1_EviT_T0_PT6_S7_lSA_S7_lS8_PT7_S7_li,"axG",@progbits,_ZL41rocblas_syrkx_herkx_small_restrict_kernelIi19rocblas_complex_numIfELi16ELb0ELb1ELc67ELc85EKPKS1_KPS1_EviT_T0_PT6_S7_lSA_S7_lS8_PT7_S7_li,comdat
.Lfunc_end818:
	.size	_ZL41rocblas_syrkx_herkx_small_restrict_kernelIi19rocblas_complex_numIfELi16ELb0ELb1ELc67ELc85EKPKS1_KPS1_EviT_T0_PT6_S7_lSA_S7_lS8_PT7_S7_li, .Lfunc_end818-_ZL41rocblas_syrkx_herkx_small_restrict_kernelIi19rocblas_complex_numIfELi16ELb0ELb1ELc67ELc85EKPKS1_KPS1_EviT_T0_PT6_S7_lSA_S7_lS8_PT7_S7_li
                                        ; -- End function
	.set _ZL41rocblas_syrkx_herkx_small_restrict_kernelIi19rocblas_complex_numIfELi16ELb0ELb1ELc67ELc85EKPKS1_KPS1_EviT_T0_PT6_S7_lSA_S7_lS8_PT7_S7_li.num_vgpr, 66
	.set _ZL41rocblas_syrkx_herkx_small_restrict_kernelIi19rocblas_complex_numIfELi16ELb0ELb1ELc67ELc85EKPKS1_KPS1_EviT_T0_PT6_S7_lSA_S7_lS8_PT7_S7_li.num_agpr, 0
	.set _ZL41rocblas_syrkx_herkx_small_restrict_kernelIi19rocblas_complex_numIfELi16ELb0ELb1ELc67ELc85EKPKS1_KPS1_EviT_T0_PT6_S7_lSA_S7_lS8_PT7_S7_li.numbered_sgpr, 20
	.set _ZL41rocblas_syrkx_herkx_small_restrict_kernelIi19rocblas_complex_numIfELi16ELb0ELb1ELc67ELc85EKPKS1_KPS1_EviT_T0_PT6_S7_lSA_S7_lS8_PT7_S7_li.num_named_barrier, 0
	.set _ZL41rocblas_syrkx_herkx_small_restrict_kernelIi19rocblas_complex_numIfELi16ELb0ELb1ELc67ELc85EKPKS1_KPS1_EviT_T0_PT6_S7_lSA_S7_lS8_PT7_S7_li.private_seg_size, 0
	.set _ZL41rocblas_syrkx_herkx_small_restrict_kernelIi19rocblas_complex_numIfELi16ELb0ELb1ELc67ELc85EKPKS1_KPS1_EviT_T0_PT6_S7_lSA_S7_lS8_PT7_S7_li.uses_vcc, 1
	.set _ZL41rocblas_syrkx_herkx_small_restrict_kernelIi19rocblas_complex_numIfELi16ELb0ELb1ELc67ELc85EKPKS1_KPS1_EviT_T0_PT6_S7_lSA_S7_lS8_PT7_S7_li.uses_flat_scratch, 0
	.set _ZL41rocblas_syrkx_herkx_small_restrict_kernelIi19rocblas_complex_numIfELi16ELb0ELb1ELc67ELc85EKPKS1_KPS1_EviT_T0_PT6_S7_lSA_S7_lS8_PT7_S7_li.has_dyn_sized_stack, 0
	.set _ZL41rocblas_syrkx_herkx_small_restrict_kernelIi19rocblas_complex_numIfELi16ELb0ELb1ELc67ELc85EKPKS1_KPS1_EviT_T0_PT6_S7_lSA_S7_lS8_PT7_S7_li.has_recursion, 0
	.set _ZL41rocblas_syrkx_herkx_small_restrict_kernelIi19rocblas_complex_numIfELi16ELb0ELb1ELc67ELc85EKPKS1_KPS1_EviT_T0_PT6_S7_lSA_S7_lS8_PT7_S7_li.has_indirect_call, 0
	.section	.AMDGPU.csdata,"",@progbits
; Kernel info:
; codeLenInByte = 1152
; TotalNumSgprs: 24
; NumVgprs: 66
; ScratchSize: 0
; MemoryBound: 0
; FloatMode: 240
; IeeeMode: 1
; LDSByteSize: 4096 bytes/workgroup (compile time only)
; SGPRBlocks: 2
; VGPRBlocks: 16
; NumSGPRsForWavesPerEU: 24
; NumVGPRsForWavesPerEU: 66
; Occupancy: 3
; WaveLimiterHint : 1
; COMPUTE_PGM_RSRC2:SCRATCH_EN: 0
; COMPUTE_PGM_RSRC2:USER_SGPR: 6
; COMPUTE_PGM_RSRC2:TRAP_HANDLER: 0
; COMPUTE_PGM_RSRC2:TGID_X_EN: 1
; COMPUTE_PGM_RSRC2:TGID_Y_EN: 1
; COMPUTE_PGM_RSRC2:TGID_Z_EN: 1
; COMPUTE_PGM_RSRC2:TIDIG_COMP_CNT: 1
	.section	.text._ZL41rocblas_syrkx_herkx_small_restrict_kernelIi19rocblas_complex_numIfELi16ELb0ELb1ELc78ELc85EKPKS1_KPS1_EviT_T0_PT6_S7_lSA_S7_lS8_PT7_S7_li,"axG",@progbits,_ZL41rocblas_syrkx_herkx_small_restrict_kernelIi19rocblas_complex_numIfELi16ELb0ELb1ELc78ELc85EKPKS1_KPS1_EviT_T0_PT6_S7_lSA_S7_lS8_PT7_S7_li,comdat
	.globl	_ZL41rocblas_syrkx_herkx_small_restrict_kernelIi19rocblas_complex_numIfELi16ELb0ELb1ELc78ELc85EKPKS1_KPS1_EviT_T0_PT6_S7_lSA_S7_lS8_PT7_S7_li ; -- Begin function _ZL41rocblas_syrkx_herkx_small_restrict_kernelIi19rocblas_complex_numIfELi16ELb0ELb1ELc78ELc85EKPKS1_KPS1_EviT_T0_PT6_S7_lSA_S7_lS8_PT7_S7_li
	.p2align	8
	.type	_ZL41rocblas_syrkx_herkx_small_restrict_kernelIi19rocblas_complex_numIfELi16ELb0ELb1ELc78ELc85EKPKS1_KPS1_EviT_T0_PT6_S7_lSA_S7_lS8_PT7_S7_li,@function
_ZL41rocblas_syrkx_herkx_small_restrict_kernelIi19rocblas_complex_numIfELi16ELb0ELb1ELc78ELc85EKPKS1_KPS1_EviT_T0_PT6_S7_lSA_S7_lS8_PT7_S7_li: ; @_ZL41rocblas_syrkx_herkx_small_restrict_kernelIi19rocblas_complex_numIfELi16ELb0ELb1ELc78ELc85EKPKS1_KPS1_EviT_T0_PT6_S7_lSA_S7_lS8_PT7_S7_li
; %bb.0:
	s_load_dwordx4 s[0:3], s[4:5], 0x40
	s_load_dword s16, s[4:5], 0x4
	s_load_dwordx4 s[12:15], s[4:5], 0x8
	s_mov_b32 s9, 0
	s_lshl_b64 s[10:11], s[8:9], 3
	s_waitcnt lgkmcnt(0)
	s_add_u32 s2, s2, s10
	s_addc_u32 s3, s3, s11
	s_load_dwordx2 s[2:3], s[2:3], 0x0
	v_lshl_add_u32 v2, s6, 4, v0
	v_lshl_add_u32 v4, s7, 4, v1
	s_cmp_lt_i32 s16, 1
	v_ashrrev_i32_e32 v3, 31, v2
	s_cbranch_scc1 .LBB819_5
; %bb.1:
	s_load_dword s18, s[4:5], 0x18
	s_load_dword s6, s[4:5], 0x30
	s_load_dwordx2 s[20:21], s[4:5], 0x28
	v_lshlrev_b32_e32 v6, 7, v1
	v_lshlrev_b32_e32 v7, 3, v0
	s_waitcnt lgkmcnt(0)
	s_ashr_i32 s19, s18, 31
	s_ashr_i32 s7, s6, 31
	s_add_u32 s20, s20, s10
	s_addc_u32 s21, s21, s11
	s_add_u32 s10, s14, s10
	s_addc_u32 s11, s15, s11
	v_mad_i64_i32 v[11:12], s[14:15], s6, v0, 0
	v_ashrrev_i32_e32 v5, 31, v4
	v_add_u32_e32 v8, v7, v6
	v_add_u32_e32 v9, 0x800, v6
	v_lshlrev_b64 v[11:12], 3, v[11:12]
	v_lshlrev_b64 v[5:6], 3, v[4:5]
	s_load_dwordx2 s[20:21], s[20:21], 0x0
	v_add_co_u32_e32 v0, vcc, v11, v5
	v_addc_co_u32_e32 v11, vcc, v12, v6, vcc
	v_mad_i64_i32 v[5:6], s[14:15], s18, v1, 0
	s_load_dwordx2 s[10:11], s[10:11], 0x0
	s_waitcnt lgkmcnt(0)
	v_mov_b32_e32 v12, s21
	v_add_co_u32_e32 v0, vcc, s20, v0
	v_addc_co_u32_e32 v1, vcc, v12, v11, vcc
	v_lshlrev_b64 v[5:6], 3, v[5:6]
	v_lshlrev_b64 v[11:12], 3, v[2:3]
	s_lshl_b64 s[6:7], s[6:7], 7
	v_add_co_u32_e32 v5, vcc, v5, v11
	v_addc_co_u32_e32 v6, vcc, v6, v12, vcc
	v_mov_b32_e32 v11, s11
	v_add_co_u32_e32 v5, vcc, s10, v5
	s_lshl_b64 s[10:11], s[18:19], 7
	v_add_u32_e32 v10, v9, v7
	v_addc_co_u32_e32 v6, vcc, v11, v6, vcc
	v_mov_b32_e32 v11, 0
	v_mov_b32_e32 v13, s7
	;; [unrolled: 1-line block ×4, first 2 shown]
.LBB819_2:                              ; =>This Inner Loop Header: Depth=1
	flat_load_dwordx2 v[15:16], v[5:6]
	v_add_co_u32_e32 v5, vcc, s10, v5
	v_addc_co_u32_e32 v6, vcc, v6, v14, vcc
	s_add_i32 s9, s9, 16
	s_cmp_lt_i32 s9, s16
	s_waitcnt vmcnt(0) lgkmcnt(0)
	ds_write_b64 v8, v[15:16]
	flat_load_dwordx2 v[15:16], v[0:1]
	v_add_co_u32_e32 v0, vcc, s6, v0
	v_addc_co_u32_e32 v1, vcc, v1, v13, vcc
	s_waitcnt vmcnt(0) lgkmcnt(0)
	v_xor_b32_e32 v16, 0x80000000, v16
	ds_write_b64 v10, v[15:16]
	s_waitcnt lgkmcnt(0)
	s_barrier
	ds_read2_b64 v[15:18], v7 offset1:16
	ds_read_b128 v[19:22], v9
	ds_read_b128 v[23:26], v9 offset:16
	ds_read2_b64 v[27:30], v7 offset0:32 offset1:48
	ds_read2_b64 v[31:34], v7 offset0:64 offset1:80
	ds_read_b128 v[35:38], v9 offset:32
	ds_read_b128 v[39:42], v9 offset:48
	ds_read2_b64 v[43:46], v7 offset0:96 offset1:112
	ds_read2_b64 v[47:50], v7 offset0:128 offset1:144
	ds_read_b128 v[51:54], v9 offset:64
	ds_read_b128 v[55:58], v9 offset:80
	s_waitcnt lgkmcnt(9)
	v_mul_f32_e32 v59, v20, v16
	v_mul_f32_e32 v60, v19, v16
	;; [unrolled: 1-line block ×4, first 2 shown]
	v_fma_f32 v59, v19, v15, -v59
	v_fmac_f32_e32 v60, v20, v15
	v_fma_f32 v62, v21, v17, -v16
	v_fmac_f32_e32 v61, v22, v17
	s_waitcnt lgkmcnt(7)
	v_mul_f32_e32 v19, v24, v28
	v_mul_f32_e32 v63, v23, v28
	v_add_f32_e32 v12, v12, v59
	v_add_f32_e32 v11, v11, v60
	v_mul_f32_e32 v20, v26, v30
	v_mul_f32_e32 v64, v25, v30
	v_fma_f32 v65, v23, v27, -v19
	v_fmac_f32_e32 v63, v24, v27
	v_add_f32_e32 v12, v12, v62
	v_add_f32_e32 v11, v11, v61
	v_fma_f32 v66, v25, v29, -v20
	v_fmac_f32_e32 v64, v26, v29
	s_waitcnt lgkmcnt(5)
	v_mul_f32_e32 v23, v36, v32
	v_mul_f32_e32 v67, v35, v32
	v_add_f32_e32 v12, v12, v65
	v_add_f32_e32 v11, v11, v63
	ds_read2_b64 v[15:18], v7 offset0:160 offset1:176
	v_mul_f32_e32 v24, v38, v34
	v_mul_f32_e32 v68, v37, v34
	v_fma_f32 v35, v35, v31, -v23
	v_fmac_f32_e32 v67, v36, v31
	v_add_f32_e32 v12, v12, v66
	v_add_f32_e32 v11, v11, v64
	v_fma_f32 v36, v37, v33, -v24
	v_fmac_f32_e32 v68, v38, v33
	s_waitcnt lgkmcnt(4)
	v_mul_f32_e32 v27, v40, v44
	v_mul_f32_e32 v37, v39, v44
	v_add_f32_e32 v12, v12, v35
	v_add_f32_e32 v11, v11, v67
	ds_read2_b64 v[19:22], v7 offset0:192 offset1:208
	ds_read_b128 v[23:26], v9 offset:96
	v_mul_f32_e32 v28, v42, v46
	v_mul_f32_e32 v38, v41, v46
	v_fma_f32 v39, v39, v43, -v27
	v_fmac_f32_e32 v37, v40, v43
	v_add_f32_e32 v12, v12, v36
	v_add_f32_e32 v11, v11, v68
	v_fma_f32 v40, v41, v45, -v28
	v_fmac_f32_e32 v38, v42, v45
	s_waitcnt lgkmcnt(4)
	v_mul_f32_e32 v31, v52, v48
	v_mul_f32_e32 v41, v51, v48
	;; [unrolled: 1-line block ×3, first 2 shown]
	v_add_f32_e32 v12, v12, v39
	v_add_f32_e32 v11, v11, v37
	ds_read_b128 v[27:30], v9 offset:112
	v_mul_f32_e32 v42, v53, v50
	v_fma_f32 v43, v51, v47, -v31
	v_fmac_f32_e32 v41, v52, v47
	v_fma_f32 v44, v53, v49, -v32
	ds_read2_b64 v[31:34], v7 offset0:224 offset1:240
	v_add_f32_e32 v12, v12, v40
	v_add_f32_e32 v11, v11, v38
	v_fmac_f32_e32 v42, v54, v49
	s_waitcnt lgkmcnt(4)
	v_mul_f32_e32 v45, v56, v16
	v_mul_f32_e32 v16, v55, v16
	v_add_f32_e32 v12, v12, v43
	v_add_f32_e32 v11, v11, v41
	v_mul_f32_e32 v46, v58, v18
	v_mul_f32_e32 v18, v57, v18
	v_fma_f32 v45, v55, v15, -v45
	v_fmac_f32_e32 v16, v56, v15
	v_add_f32_e32 v12, v12, v44
	v_add_f32_e32 v11, v11, v42
	v_fma_f32 v15, v57, v17, -v46
	v_fmac_f32_e32 v18, v58, v17
	s_waitcnt lgkmcnt(2)
	v_mul_f32_e32 v17, v24, v20
	v_mul_f32_e32 v20, v23, v20
	v_add_f32_e32 v12, v12, v45
	v_add_f32_e32 v11, v11, v16
	v_mul_f32_e32 v46, v26, v22
	v_mul_f32_e32 v22, v25, v22
	v_fma_f32 v17, v23, v19, -v17
	v_fmac_f32_e32 v20, v24, v19
	v_add_f32_e32 v12, v12, v15
	v_add_f32_e32 v11, v11, v18
	s_waitcnt lgkmcnt(0)
	v_mul_f32_e32 v47, v28, v32
	v_mul_f32_e32 v32, v27, v32
	v_fma_f32 v19, v25, v21, -v46
	v_fmac_f32_e32 v22, v26, v21
	v_add_f32_e32 v12, v12, v17
	v_add_f32_e32 v11, v11, v20
	v_mul_f32_e32 v48, v30, v34
	v_mul_f32_e32 v34, v29, v34
	v_fma_f32 v21, v27, v31, -v47
	v_fmac_f32_e32 v32, v28, v31
	v_add_f32_e32 v12, v12, v19
	v_add_f32_e32 v11, v11, v22
	v_fma_f32 v23, v29, v33, -v48
	v_fmac_f32_e32 v34, v30, v33
	v_add_f32_e32 v12, v12, v21
	v_add_f32_e32 v11, v11, v32
	;; [unrolled: 1-line block ×4, first 2 shown]
	s_barrier
	s_cbranch_scc1 .LBB819_2
; %bb.3:
	v_cmp_le_i32_e32 vcc, v2, v4
	s_and_saveexec_b64 s[6:7], vcc
	s_cbranch_execnz .LBB819_6
.LBB819_4:
	s_endpgm
.LBB819_5:
	v_mov_b32_e32 v11, 0
	v_mov_b32_e32 v12, 0
	v_cmp_le_i32_e32 vcc, v2, v4
	s_and_saveexec_b64 s[6:7], vcc
	s_cbranch_execz .LBB819_4
.LBB819_6:
	s_load_dword s4, s[4:5], 0x50
	s_waitcnt lgkmcnt(0)
	v_mov_b32_e32 v7, s3
	v_lshlrev_b64 v[5:6], 3, v[2:3]
	v_mul_f32_e32 v3, s13, v11
	v_fma_f32 v3, v12, s12, -v3
	v_mad_i64_i32 v[0:1], s[4:5], s4, v4, 0
	v_lshlrev_b64 v[0:1], 3, v[0:1]
	v_add_co_u32_e32 v0, vcc, s2, v0
	v_addc_co_u32_e32 v1, vcc, v7, v1, vcc
	v_add_co_u32_e32 v0, vcc, v0, v5
	v_addc_co_u32_e32 v1, vcc, v1, v6, vcc
	flat_load_dwordx2 v[5:6], v[0:1]
	v_mul_f32_e32 v7, s12, v11
	v_fmac_f32_e32 v7, s13, v12
	v_cmp_eq_u32_e32 vcc, v2, v4
	s_waitcnt vmcnt(0) lgkmcnt(0)
	v_mul_f32_e32 v8, s1, v6
	v_mul_f32_e32 v6, s0, v6
	v_fma_f32 v8, v5, s0, -v8
	v_fmac_f32_e32 v6, s1, v5
	v_add_f32_e32 v5, v3, v8
	v_add_f32_e32 v6, v7, v6
	flat_store_dwordx2 v[0:1], v[5:6]
	s_and_b64 exec, exec, vcc
	s_cbranch_execz .LBB819_4
; %bb.7:
	v_mov_b32_e32 v2, 0
	flat_store_dword v[0:1], v2 offset:4
	s_endpgm
	.section	.rodata,"a",@progbits
	.p2align	6, 0x0
	.amdhsa_kernel _ZL41rocblas_syrkx_herkx_small_restrict_kernelIi19rocblas_complex_numIfELi16ELb0ELb1ELc78ELc85EKPKS1_KPS1_EviT_T0_PT6_S7_lSA_S7_lS8_PT7_S7_li
		.amdhsa_group_segment_fixed_size 4096
		.amdhsa_private_segment_fixed_size 0
		.amdhsa_kernarg_size 100
		.amdhsa_user_sgpr_count 6
		.amdhsa_user_sgpr_private_segment_buffer 1
		.amdhsa_user_sgpr_dispatch_ptr 0
		.amdhsa_user_sgpr_queue_ptr 0
		.amdhsa_user_sgpr_kernarg_segment_ptr 1
		.amdhsa_user_sgpr_dispatch_id 0
		.amdhsa_user_sgpr_flat_scratch_init 0
		.amdhsa_user_sgpr_private_segment_size 0
		.amdhsa_uses_dynamic_stack 0
		.amdhsa_system_sgpr_private_segment_wavefront_offset 0
		.amdhsa_system_sgpr_workgroup_id_x 1
		.amdhsa_system_sgpr_workgroup_id_y 1
		.amdhsa_system_sgpr_workgroup_id_z 1
		.amdhsa_system_sgpr_workgroup_info 0
		.amdhsa_system_vgpr_workitem_id 1
		.amdhsa_next_free_vgpr 69
		.amdhsa_next_free_sgpr 22
		.amdhsa_reserve_vcc 1
		.amdhsa_reserve_flat_scratch 0
		.amdhsa_float_round_mode_32 0
		.amdhsa_float_round_mode_16_64 0
		.amdhsa_float_denorm_mode_32 3
		.amdhsa_float_denorm_mode_16_64 3
		.amdhsa_dx10_clamp 1
		.amdhsa_ieee_mode 1
		.amdhsa_fp16_overflow 0
		.amdhsa_exception_fp_ieee_invalid_op 0
		.amdhsa_exception_fp_denorm_src 0
		.amdhsa_exception_fp_ieee_div_zero 0
		.amdhsa_exception_fp_ieee_overflow 0
		.amdhsa_exception_fp_ieee_underflow 0
		.amdhsa_exception_fp_ieee_inexact 0
		.amdhsa_exception_int_div_zero 0
	.end_amdhsa_kernel
	.section	.text._ZL41rocblas_syrkx_herkx_small_restrict_kernelIi19rocblas_complex_numIfELi16ELb0ELb1ELc78ELc85EKPKS1_KPS1_EviT_T0_PT6_S7_lSA_S7_lS8_PT7_S7_li,"axG",@progbits,_ZL41rocblas_syrkx_herkx_small_restrict_kernelIi19rocblas_complex_numIfELi16ELb0ELb1ELc78ELc85EKPKS1_KPS1_EviT_T0_PT6_S7_lSA_S7_lS8_PT7_S7_li,comdat
.Lfunc_end819:
	.size	_ZL41rocblas_syrkx_herkx_small_restrict_kernelIi19rocblas_complex_numIfELi16ELb0ELb1ELc78ELc85EKPKS1_KPS1_EviT_T0_PT6_S7_lSA_S7_lS8_PT7_S7_li, .Lfunc_end819-_ZL41rocblas_syrkx_herkx_small_restrict_kernelIi19rocblas_complex_numIfELi16ELb0ELb1ELc78ELc85EKPKS1_KPS1_EviT_T0_PT6_S7_lSA_S7_lS8_PT7_S7_li
                                        ; -- End function
	.set _ZL41rocblas_syrkx_herkx_small_restrict_kernelIi19rocblas_complex_numIfELi16ELb0ELb1ELc78ELc85EKPKS1_KPS1_EviT_T0_PT6_S7_lSA_S7_lS8_PT7_S7_li.num_vgpr, 69
	.set _ZL41rocblas_syrkx_herkx_small_restrict_kernelIi19rocblas_complex_numIfELi16ELb0ELb1ELc78ELc85EKPKS1_KPS1_EviT_T0_PT6_S7_lSA_S7_lS8_PT7_S7_li.num_agpr, 0
	.set _ZL41rocblas_syrkx_herkx_small_restrict_kernelIi19rocblas_complex_numIfELi16ELb0ELb1ELc78ELc85EKPKS1_KPS1_EviT_T0_PT6_S7_lSA_S7_lS8_PT7_S7_li.numbered_sgpr, 22
	.set _ZL41rocblas_syrkx_herkx_small_restrict_kernelIi19rocblas_complex_numIfELi16ELb0ELb1ELc78ELc85EKPKS1_KPS1_EviT_T0_PT6_S7_lSA_S7_lS8_PT7_S7_li.num_named_barrier, 0
	.set _ZL41rocblas_syrkx_herkx_small_restrict_kernelIi19rocblas_complex_numIfELi16ELb0ELb1ELc78ELc85EKPKS1_KPS1_EviT_T0_PT6_S7_lSA_S7_lS8_PT7_S7_li.private_seg_size, 0
	.set _ZL41rocblas_syrkx_herkx_small_restrict_kernelIi19rocblas_complex_numIfELi16ELb0ELb1ELc78ELc85EKPKS1_KPS1_EviT_T0_PT6_S7_lSA_S7_lS8_PT7_S7_li.uses_vcc, 1
	.set _ZL41rocblas_syrkx_herkx_small_restrict_kernelIi19rocblas_complex_numIfELi16ELb0ELb1ELc78ELc85EKPKS1_KPS1_EviT_T0_PT6_S7_lSA_S7_lS8_PT7_S7_li.uses_flat_scratch, 0
	.set _ZL41rocblas_syrkx_herkx_small_restrict_kernelIi19rocblas_complex_numIfELi16ELb0ELb1ELc78ELc85EKPKS1_KPS1_EviT_T0_PT6_S7_lSA_S7_lS8_PT7_S7_li.has_dyn_sized_stack, 0
	.set _ZL41rocblas_syrkx_herkx_small_restrict_kernelIi19rocblas_complex_numIfELi16ELb0ELb1ELc78ELc85EKPKS1_KPS1_EviT_T0_PT6_S7_lSA_S7_lS8_PT7_S7_li.has_recursion, 0
	.set _ZL41rocblas_syrkx_herkx_small_restrict_kernelIi19rocblas_complex_numIfELi16ELb0ELb1ELc78ELc85EKPKS1_KPS1_EviT_T0_PT6_S7_lSA_S7_lS8_PT7_S7_li.has_indirect_call, 0
	.section	.AMDGPU.csdata,"",@progbits
; Kernel info:
; codeLenInByte = 1176
; TotalNumSgprs: 26
; NumVgprs: 69
; ScratchSize: 0
; MemoryBound: 0
; FloatMode: 240
; IeeeMode: 1
; LDSByteSize: 4096 bytes/workgroup (compile time only)
; SGPRBlocks: 3
; VGPRBlocks: 17
; NumSGPRsForWavesPerEU: 26
; NumVGPRsForWavesPerEU: 69
; Occupancy: 3
; WaveLimiterHint : 1
; COMPUTE_PGM_RSRC2:SCRATCH_EN: 0
; COMPUTE_PGM_RSRC2:USER_SGPR: 6
; COMPUTE_PGM_RSRC2:TRAP_HANDLER: 0
; COMPUTE_PGM_RSRC2:TGID_X_EN: 1
; COMPUTE_PGM_RSRC2:TGID_Y_EN: 1
; COMPUTE_PGM_RSRC2:TGID_Z_EN: 1
; COMPUTE_PGM_RSRC2:TIDIG_COMP_CNT: 1
	.section	.text._ZL32rocblas_syrkx_herkx_small_kernelIi19rocblas_complex_numIfELi16ELb1ELb1ELc84ELc76EKPKS1_KPS1_EviT_T0_PT6_S7_lSA_S7_lS8_PT7_S7_li,"axG",@progbits,_ZL32rocblas_syrkx_herkx_small_kernelIi19rocblas_complex_numIfELi16ELb1ELb1ELc84ELc76EKPKS1_KPS1_EviT_T0_PT6_S7_lSA_S7_lS8_PT7_S7_li,comdat
	.globl	_ZL32rocblas_syrkx_herkx_small_kernelIi19rocblas_complex_numIfELi16ELb1ELb1ELc84ELc76EKPKS1_KPS1_EviT_T0_PT6_S7_lSA_S7_lS8_PT7_S7_li ; -- Begin function _ZL32rocblas_syrkx_herkx_small_kernelIi19rocblas_complex_numIfELi16ELb1ELb1ELc84ELc76EKPKS1_KPS1_EviT_T0_PT6_S7_lSA_S7_lS8_PT7_S7_li
	.p2align	8
	.type	_ZL32rocblas_syrkx_herkx_small_kernelIi19rocblas_complex_numIfELi16ELb1ELb1ELc84ELc76EKPKS1_KPS1_EviT_T0_PT6_S7_lSA_S7_lS8_PT7_S7_li,@function
_ZL32rocblas_syrkx_herkx_small_kernelIi19rocblas_complex_numIfELi16ELb1ELb1ELc84ELc76EKPKS1_KPS1_EviT_T0_PT6_S7_lSA_S7_lS8_PT7_S7_li: ; @_ZL32rocblas_syrkx_herkx_small_kernelIi19rocblas_complex_numIfELi16ELb1ELb1ELc84ELc76EKPKS1_KPS1_EviT_T0_PT6_S7_lSA_S7_lS8_PT7_S7_li
; %bb.0:
	s_load_dwordx2 s[2:3], s[4:5], 0x48
	s_load_dwordx2 s[16:17], s[4:5], 0x0
	s_load_dwordx4 s[12:15], s[4:5], 0x8
	s_mov_b32 s9, 0
	s_lshl_b64 s[0:1], s[8:9], 3
	s_waitcnt lgkmcnt(0)
	s_add_u32 s2, s2, s0
	s_addc_u32 s3, s3, s1
	s_load_dwordx2 s[10:11], s[2:3], 0x0
	v_lshl_add_u32 v2, s6, 4, v0
	v_lshl_add_u32 v9, s7, 4, v1
	s_cmp_lt_i32 s17, 1
	v_cmp_gt_i32_e32 vcc, s16, v2
	s_cbranch_scc1 .LBB820_11
; %bb.1:
	s_load_dwordx2 s[2:3], s[4:5], 0x28
	s_load_dword s8, s[4:5], 0x18
	s_load_dword s18, s[4:5], 0x30
	v_lshlrev_b32_e32 v5, 7, v1
	v_lshlrev_b32_e32 v10, 3, v0
	s_waitcnt lgkmcnt(0)
	s_add_u32 s2, s2, s0
	s_addc_u32 s3, s3, s1
	s_add_u32 s0, s14, s0
	s_addc_u32 s1, s15, s1
	s_load_dwordx2 s[14:15], s[0:1], 0x0
	v_mad_i64_i32 v[3:4], s[0:1], s18, v9, 0
	v_add_u32_e32 v11, v10, v5
	v_add_u32_e32 v12, 0x800, v5
	v_lshlrev_b64 v[4:5], 3, v[3:4]
	s_load_dwordx2 s[6:7], s[2:3], 0x0
	v_add_co_u32_e64 v4, s[2:3], v4, v10
	v_addc_co_u32_e64 v6, s[2:3], 0, v5, s[2:3]
	v_mad_i64_i32 v[7:8], s[2:3], s8, v2, 0
	s_waitcnt lgkmcnt(0)
	v_mov_b32_e32 v14, s7
	v_add_co_u32_e64 v5, s[2:3], s6, v4
	v_lshlrev_b64 v[7:8], 3, v[7:8]
	v_addc_co_u32_e64 v6, s[2:3], v14, v6, s[2:3]
	v_lshlrev_b32_e32 v4, 3, v1
	v_add_co_u32_e64 v4, s[2:3], v7, v4
	v_addc_co_u32_e64 v8, s[2:3], 0, v8, s[2:3]
	v_mov_b32_e32 v14, s15
	v_add_co_u32_e64 v7, s[2:3], s14, v4
	v_cmp_gt_i32_e64 s[0:1], s16, v9
	v_addc_co_u32_e64 v8, s[2:3], v14, v8, s[2:3]
	v_add_u32_e32 v13, v12, v10
	v_mov_b32_e32 v3, 0
	s_xor_b64 s[2:3], vcc, -1
	s_xor_b64 s[0:1], s[0:1], -1
	v_mov_b32_e32 v15, 0
	v_mov_b32_e32 v14, 0
	s_branch .LBB820_3
.LBB820_2:                              ;   in Loop: Header=BB820_3 Depth=1
	s_or_b64 exec, exec, s[6:7]
	s_waitcnt lgkmcnt(0)
	s_barrier
	ds_read2_b64 v[16:19], v10 offset1:16
	ds_read_b128 v[20:23], v12
	ds_read_b128 v[24:27], v12 offset:16
	ds_read2_b64 v[28:31], v10 offset0:32 offset1:48
	v_add_co_u32_e32 v5, vcc, 0x80, v5
	s_waitcnt lgkmcnt(2)
	v_mul_f32_e32 v4, v21, v17
	v_mul_f32_e32 v32, v20, v17
	v_fma_f32 v4, v20, v16, -v4
	v_fmac_f32_e32 v32, v21, v16
	v_mul_f32_e32 v16, v23, v19
	v_fma_f32 v33, v22, v18, -v16
	v_mul_f32_e32 v34, v22, v19
	s_waitcnt lgkmcnt(0)
	v_mul_f32_e32 v16, v25, v29
	v_fmac_f32_e32 v34, v23, v18
	v_fma_f32 v35, v24, v28, -v16
	ds_read2_b64 v[16:19], v10 offset0:64 offset1:80
	ds_read_b128 v[20:23], v12 offset:32
	v_mul_f32_e32 v36, v24, v29
	v_fmac_f32_e32 v36, v25, v28
	v_mul_f32_e32 v24, v27, v31
	v_mul_f32_e32 v38, v26, v31
	s_waitcnt lgkmcnt(0)
	v_mul_f32_e32 v28, v21, v17
	v_fma_f32 v37, v26, v30, -v24
	v_fmac_f32_e32 v38, v27, v30
	ds_read_b128 v[24:27], v12 offset:48
	v_fma_f32 v39, v20, v16, -v28
	ds_read2_b64 v[28:31], v10 offset0:96 offset1:112
	v_mul_f32_e32 v40, v20, v17
	v_fmac_f32_e32 v40, v21, v16
	v_mul_f32_e32 v16, v23, v19
	v_fma_f32 v41, v22, v18, -v16
	v_mul_f32_e32 v42, v22, v19
	s_waitcnt lgkmcnt(0)
	v_mul_f32_e32 v16, v25, v29
	v_fmac_f32_e32 v42, v23, v18
	v_fma_f32 v43, v24, v28, -v16
	ds_read2_b64 v[16:19], v10 offset0:128 offset1:144
	ds_read_b128 v[20:23], v12 offset:64
	v_mul_f32_e32 v44, v24, v29
	v_fmac_f32_e32 v44, v25, v28
	v_mul_f32_e32 v24, v27, v31
	v_mul_f32_e32 v46, v26, v31
	s_waitcnt lgkmcnt(0)
	v_mul_f32_e32 v28, v21, v17
	v_fma_f32 v45, v26, v30, -v24
	v_fmac_f32_e32 v46, v27, v30
	ds_read_b128 v[24:27], v12 offset:80
	v_fma_f32 v47, v20, v16, -v28
	ds_read2_b64 v[28:31], v10 offset0:160 offset1:176
	v_mul_f32_e32 v48, v20, v17
	v_add_f32_e32 v4, v14, v4
	v_add_f32_e32 v14, v15, v32
	v_fmac_f32_e32 v48, v21, v16
	v_mul_f32_e32 v16, v23, v19
	v_add_f32_e32 v14, v14, v34
	v_fma_f32 v49, v22, v18, -v16
	v_mul_f32_e32 v50, v22, v19
	s_waitcnt lgkmcnt(0)
	v_mul_f32_e32 v16, v25, v29
	v_add_f32_e32 v14, v14, v36
	v_fmac_f32_e32 v50, v23, v18
	v_fma_f32 v51, v24, v28, -v16
	ds_read2_b64 v[16:19], v10 offset0:192 offset1:208
	ds_read_b128 v[20:23], v12 offset:96
	v_add_f32_e32 v14, v14, v38
	v_add_f32_e32 v14, v14, v40
	;; [unrolled: 1-line block ×6, first 2 shown]
	v_mul_f32_e32 v29, v24, v29
	v_mul_f32_e32 v24, v27, v31
	;; [unrolled: 1-line block ×3, first 2 shown]
	v_add_f32_e32 v4, v4, v37
	v_add_f32_e32 v14, v14, v46
	v_fmac_f32_e32 v29, v25, v28
	v_fma_f32 v28, v26, v30, -v24
	v_fmac_f32_e32 v31, v27, v30
	s_waitcnt lgkmcnt(0)
	v_mul_f32_e32 v30, v21, v17
	v_add_f32_e32 v4, v4, v39
	v_add_f32_e32 v14, v14, v48
	v_fma_f32 v30, v20, v16, -v30
	v_mul_f32_e32 v20, v20, v17
	v_add_f32_e32 v4, v4, v41
	v_add_f32_e32 v14, v14, v50
	v_fmac_f32_e32 v20, v21, v16
	v_mul_f32_e32 v16, v23, v19
	v_mul_f32_e32 v19, v22, v19
	v_add_f32_e32 v4, v4, v43
	v_add_f32_e32 v14, v14, v29
	ds_read_b128 v[24:27], v12 offset:112
	v_fma_f32 v21, v22, v18, -v16
	v_fmac_f32_e32 v19, v23, v18
	v_add_f32_e32 v4, v4, v45
	v_add_f32_e32 v18, v14, v31
	ds_read2_b64 v[14:17], v10 offset0:224 offset1:240
	v_add_f32_e32 v4, v4, v47
	v_add_f32_e32 v4, v4, v49
	;; [unrolled: 1-line block ×7, first 2 shown]
	s_waitcnt lgkmcnt(0)
	v_mul_f32_e32 v19, v25, v15
	v_mul_f32_e32 v15, v24, v15
	v_add_f32_e32 v4, v4, v21
	v_fma_f32 v19, v24, v14, -v19
	v_fmac_f32_e32 v15, v25, v14
	v_mul_f32_e32 v14, v27, v17
	v_mul_f32_e32 v17, v26, v17
	v_addc_co_u32_e32 v6, vcc, 0, v6, vcc
	v_add_f32_e32 v4, v4, v19
	v_add_f32_e32 v15, v18, v15
	v_fma_f32 v14, v26, v16, -v14
	v_fmac_f32_e32 v17, v27, v16
	s_add_i32 s9, s9, 16
	v_add_co_u32_e32 v7, vcc, 0x80, v7
	v_add_f32_e32 v14, v4, v14
	v_add_f32_e32 v15, v15, v17
	s_cmp_ge_i32 s9, s17
	v_addc_co_u32_e32 v8, vcc, 0, v8, vcc
	s_barrier
	s_cbranch_scc1 .LBB820_12
.LBB820_3:                              ; =>This Inner Loop Header: Depth=1
	v_add_u32_e32 v4, s9, v1
	v_cmp_le_i32_e32 vcc, s17, v4
	s_or_b64 s[6:7], s[2:3], vcc
	s_and_saveexec_b64 s[14:15], s[6:7]
	s_xor_b64 s[6:7], exec, s[14:15]
; %bb.4:                                ;   in Loop: Header=BB820_3 Depth=1
	v_mov_b32_e32 v4, v3
	ds_write_b64 v11, v[3:4]
; %bb.5:                                ;   in Loop: Header=BB820_3 Depth=1
	s_andn2_saveexec_b64 s[6:7], s[6:7]
	s_cbranch_execz .LBB820_7
; %bb.6:                                ;   in Loop: Header=BB820_3 Depth=1
	flat_load_dwordx2 v[16:17], v[7:8]
	s_waitcnt vmcnt(0) lgkmcnt(0)
	ds_write_b64 v11, v[16:17]
.LBB820_7:                              ;   in Loop: Header=BB820_3 Depth=1
	s_or_b64 exec, exec, s[6:7]
	v_add_u32_e32 v4, s9, v0
	v_cmp_le_i32_e32 vcc, s17, v4
	s_or_b64 s[6:7], s[0:1], vcc
	s_and_saveexec_b64 s[14:15], s[6:7]
	s_xor_b64 s[6:7], exec, s[14:15]
; %bb.8:                                ;   in Loop: Header=BB820_3 Depth=1
	v_mov_b32_e32 v4, v3
	ds_write_b64 v13, v[3:4]
; %bb.9:                                ;   in Loop: Header=BB820_3 Depth=1
	s_andn2_saveexec_b64 s[6:7], s[6:7]
	s_cbranch_execz .LBB820_2
; %bb.10:                               ;   in Loop: Header=BB820_3 Depth=1
	flat_load_dwordx2 v[16:17], v[5:6]
	s_waitcnt vmcnt(0) lgkmcnt(0)
	ds_write_b64 v13, v[16:17]
	s_branch .LBB820_2
.LBB820_11:
	v_mov_b32_e32 v15, 0
	v_mov_b32_e32 v14, 0
.LBB820_12:
	v_cmp_le_i32_e32 vcc, v9, v2
	v_cmp_gt_i32_e64 s[0:1], s16, v2
	s_and_b64 s[0:1], vcc, s[0:1]
	s_and_saveexec_b64 s[2:3], s[0:1]
	s_cbranch_execz .LBB820_15
; %bb.13:
	s_load_dword s0, s[4:5], 0x50
	v_ashrrev_i32_e32 v3, 31, v2
	s_waitcnt lgkmcnt(0)
	v_mov_b32_e32 v6, s11
	v_mul_f32_e32 v4, s13, v15
	v_mul_f32_e32 v5, s12, v15
	v_mad_i64_i32 v[0:1], s[0:1], s0, v9, 0
	v_fma_f32 v4, v14, s12, -v4
	v_fmac_f32_e32 v5, s13, v14
	v_lshlrev_b64 v[0:1], 3, v[0:1]
	v_add_co_u32_e32 v7, vcc, s10, v0
	v_addc_co_u32_e32 v6, vcc, v6, v1, vcc
	v_lshlrev_b64 v[0:1], 3, v[2:3]
	v_add_co_u32_e32 v0, vcc, v7, v0
	v_addc_co_u32_e32 v1, vcc, v6, v1, vcc
	v_cmp_eq_u32_e32 vcc, v2, v9
	flat_store_dwordx2 v[0:1], v[4:5]
	s_and_b64 exec, exec, vcc
	s_cbranch_execz .LBB820_15
; %bb.14:
	v_mov_b32_e32 v2, 0
	flat_store_dword v[0:1], v2 offset:4
.LBB820_15:
	s_endpgm
	.section	.rodata,"a",@progbits
	.p2align	6, 0x0
	.amdhsa_kernel _ZL32rocblas_syrkx_herkx_small_kernelIi19rocblas_complex_numIfELi16ELb1ELb1ELc84ELc76EKPKS1_KPS1_EviT_T0_PT6_S7_lSA_S7_lS8_PT7_S7_li
		.amdhsa_group_segment_fixed_size 4096
		.amdhsa_private_segment_fixed_size 0
		.amdhsa_kernarg_size 100
		.amdhsa_user_sgpr_count 6
		.amdhsa_user_sgpr_private_segment_buffer 1
		.amdhsa_user_sgpr_dispatch_ptr 0
		.amdhsa_user_sgpr_queue_ptr 0
		.amdhsa_user_sgpr_kernarg_segment_ptr 1
		.amdhsa_user_sgpr_dispatch_id 0
		.amdhsa_user_sgpr_flat_scratch_init 0
		.amdhsa_user_sgpr_private_segment_size 0
		.amdhsa_uses_dynamic_stack 0
		.amdhsa_system_sgpr_private_segment_wavefront_offset 0
		.amdhsa_system_sgpr_workgroup_id_x 1
		.amdhsa_system_sgpr_workgroup_id_y 1
		.amdhsa_system_sgpr_workgroup_id_z 1
		.amdhsa_system_sgpr_workgroup_info 0
		.amdhsa_system_vgpr_workitem_id 1
		.amdhsa_next_free_vgpr 52
		.amdhsa_next_free_sgpr 19
		.amdhsa_reserve_vcc 1
		.amdhsa_reserve_flat_scratch 0
		.amdhsa_float_round_mode_32 0
		.amdhsa_float_round_mode_16_64 0
		.amdhsa_float_denorm_mode_32 3
		.amdhsa_float_denorm_mode_16_64 3
		.amdhsa_dx10_clamp 1
		.amdhsa_ieee_mode 1
		.amdhsa_fp16_overflow 0
		.amdhsa_exception_fp_ieee_invalid_op 0
		.amdhsa_exception_fp_denorm_src 0
		.amdhsa_exception_fp_ieee_div_zero 0
		.amdhsa_exception_fp_ieee_overflow 0
		.amdhsa_exception_fp_ieee_underflow 0
		.amdhsa_exception_fp_ieee_inexact 0
		.amdhsa_exception_int_div_zero 0
	.end_amdhsa_kernel
	.section	.text._ZL32rocblas_syrkx_herkx_small_kernelIi19rocblas_complex_numIfELi16ELb1ELb1ELc84ELc76EKPKS1_KPS1_EviT_T0_PT6_S7_lSA_S7_lS8_PT7_S7_li,"axG",@progbits,_ZL32rocblas_syrkx_herkx_small_kernelIi19rocblas_complex_numIfELi16ELb1ELb1ELc84ELc76EKPKS1_KPS1_EviT_T0_PT6_S7_lSA_S7_lS8_PT7_S7_li,comdat
.Lfunc_end820:
	.size	_ZL32rocblas_syrkx_herkx_small_kernelIi19rocblas_complex_numIfELi16ELb1ELb1ELc84ELc76EKPKS1_KPS1_EviT_T0_PT6_S7_lSA_S7_lS8_PT7_S7_li, .Lfunc_end820-_ZL32rocblas_syrkx_herkx_small_kernelIi19rocblas_complex_numIfELi16ELb1ELb1ELc84ELc76EKPKS1_KPS1_EviT_T0_PT6_S7_lSA_S7_lS8_PT7_S7_li
                                        ; -- End function
	.set _ZL32rocblas_syrkx_herkx_small_kernelIi19rocblas_complex_numIfELi16ELb1ELb1ELc84ELc76EKPKS1_KPS1_EviT_T0_PT6_S7_lSA_S7_lS8_PT7_S7_li.num_vgpr, 52
	.set _ZL32rocblas_syrkx_herkx_small_kernelIi19rocblas_complex_numIfELi16ELb1ELb1ELc84ELc76EKPKS1_KPS1_EviT_T0_PT6_S7_lSA_S7_lS8_PT7_S7_li.num_agpr, 0
	.set _ZL32rocblas_syrkx_herkx_small_kernelIi19rocblas_complex_numIfELi16ELb1ELb1ELc84ELc76EKPKS1_KPS1_EviT_T0_PT6_S7_lSA_S7_lS8_PT7_S7_li.numbered_sgpr, 19
	.set _ZL32rocblas_syrkx_herkx_small_kernelIi19rocblas_complex_numIfELi16ELb1ELb1ELc84ELc76EKPKS1_KPS1_EviT_T0_PT6_S7_lSA_S7_lS8_PT7_S7_li.num_named_barrier, 0
	.set _ZL32rocblas_syrkx_herkx_small_kernelIi19rocblas_complex_numIfELi16ELb1ELb1ELc84ELc76EKPKS1_KPS1_EviT_T0_PT6_S7_lSA_S7_lS8_PT7_S7_li.private_seg_size, 0
	.set _ZL32rocblas_syrkx_herkx_small_kernelIi19rocblas_complex_numIfELi16ELb1ELb1ELc84ELc76EKPKS1_KPS1_EviT_T0_PT6_S7_lSA_S7_lS8_PT7_S7_li.uses_vcc, 1
	.set _ZL32rocblas_syrkx_herkx_small_kernelIi19rocblas_complex_numIfELi16ELb1ELb1ELc84ELc76EKPKS1_KPS1_EviT_T0_PT6_S7_lSA_S7_lS8_PT7_S7_li.uses_flat_scratch, 0
	.set _ZL32rocblas_syrkx_herkx_small_kernelIi19rocblas_complex_numIfELi16ELb1ELb1ELc84ELc76EKPKS1_KPS1_EviT_T0_PT6_S7_lSA_S7_lS8_PT7_S7_li.has_dyn_sized_stack, 0
	.set _ZL32rocblas_syrkx_herkx_small_kernelIi19rocblas_complex_numIfELi16ELb1ELb1ELc84ELc76EKPKS1_KPS1_EviT_T0_PT6_S7_lSA_S7_lS8_PT7_S7_li.has_recursion, 0
	.set _ZL32rocblas_syrkx_herkx_small_kernelIi19rocblas_complex_numIfELi16ELb1ELb1ELc84ELc76EKPKS1_KPS1_EviT_T0_PT6_S7_lSA_S7_lS8_PT7_S7_li.has_indirect_call, 0
	.section	.AMDGPU.csdata,"",@progbits
; Kernel info:
; codeLenInByte = 1244
; TotalNumSgprs: 23
; NumVgprs: 52
; ScratchSize: 0
; MemoryBound: 1
; FloatMode: 240
; IeeeMode: 1
; LDSByteSize: 4096 bytes/workgroup (compile time only)
; SGPRBlocks: 2
; VGPRBlocks: 12
; NumSGPRsForWavesPerEU: 23
; NumVGPRsForWavesPerEU: 52
; Occupancy: 4
; WaveLimiterHint : 1
; COMPUTE_PGM_RSRC2:SCRATCH_EN: 0
; COMPUTE_PGM_RSRC2:USER_SGPR: 6
; COMPUTE_PGM_RSRC2:TRAP_HANDLER: 0
; COMPUTE_PGM_RSRC2:TGID_X_EN: 1
; COMPUTE_PGM_RSRC2:TGID_Y_EN: 1
; COMPUTE_PGM_RSRC2:TGID_Z_EN: 1
; COMPUTE_PGM_RSRC2:TIDIG_COMP_CNT: 1
	.section	.text._ZL32rocblas_syrkx_herkx_small_kernelIi19rocblas_complex_numIfELi16ELb1ELb1ELc67ELc76EKPKS1_KPS1_EviT_T0_PT6_S7_lSA_S7_lS8_PT7_S7_li,"axG",@progbits,_ZL32rocblas_syrkx_herkx_small_kernelIi19rocblas_complex_numIfELi16ELb1ELb1ELc67ELc76EKPKS1_KPS1_EviT_T0_PT6_S7_lSA_S7_lS8_PT7_S7_li,comdat
	.globl	_ZL32rocblas_syrkx_herkx_small_kernelIi19rocblas_complex_numIfELi16ELb1ELb1ELc67ELc76EKPKS1_KPS1_EviT_T0_PT6_S7_lSA_S7_lS8_PT7_S7_li ; -- Begin function _ZL32rocblas_syrkx_herkx_small_kernelIi19rocblas_complex_numIfELi16ELb1ELb1ELc67ELc76EKPKS1_KPS1_EviT_T0_PT6_S7_lSA_S7_lS8_PT7_S7_li
	.p2align	8
	.type	_ZL32rocblas_syrkx_herkx_small_kernelIi19rocblas_complex_numIfELi16ELb1ELb1ELc67ELc76EKPKS1_KPS1_EviT_T0_PT6_S7_lSA_S7_lS8_PT7_S7_li,@function
_ZL32rocblas_syrkx_herkx_small_kernelIi19rocblas_complex_numIfELi16ELb1ELb1ELc67ELc76EKPKS1_KPS1_EviT_T0_PT6_S7_lSA_S7_lS8_PT7_S7_li: ; @_ZL32rocblas_syrkx_herkx_small_kernelIi19rocblas_complex_numIfELi16ELb1ELb1ELc67ELc76EKPKS1_KPS1_EviT_T0_PT6_S7_lSA_S7_lS8_PT7_S7_li
; %bb.0:
	s_load_dwordx2 s[2:3], s[4:5], 0x48
	s_load_dwordx2 s[16:17], s[4:5], 0x0
	s_load_dwordx4 s[12:15], s[4:5], 0x8
	s_mov_b32 s9, 0
	s_lshl_b64 s[0:1], s[8:9], 3
	s_waitcnt lgkmcnt(0)
	s_add_u32 s2, s2, s0
	s_addc_u32 s3, s3, s1
	s_load_dwordx2 s[10:11], s[2:3], 0x0
	v_lshl_add_u32 v2, s6, 4, v0
	v_lshl_add_u32 v9, s7, 4, v1
	s_cmp_lt_i32 s17, 1
	v_cmp_gt_i32_e32 vcc, s16, v2
	s_cbranch_scc1 .LBB821_11
; %bb.1:
	s_load_dwordx2 s[2:3], s[4:5], 0x28
	s_load_dword s8, s[4:5], 0x18
	s_load_dword s18, s[4:5], 0x30
	v_lshlrev_b32_e32 v5, 7, v1
	v_lshlrev_b32_e32 v10, 3, v0
	s_waitcnt lgkmcnt(0)
	s_add_u32 s2, s2, s0
	s_addc_u32 s3, s3, s1
	s_add_u32 s0, s14, s0
	s_addc_u32 s1, s15, s1
	s_load_dwordx2 s[14:15], s[0:1], 0x0
	v_mad_i64_i32 v[3:4], s[0:1], s18, v9, 0
	v_add_u32_e32 v11, v10, v5
	v_add_u32_e32 v12, 0x800, v5
	v_lshlrev_b64 v[4:5], 3, v[3:4]
	s_load_dwordx2 s[6:7], s[2:3], 0x0
	v_add_co_u32_e64 v4, s[2:3], v4, v10
	v_addc_co_u32_e64 v6, s[2:3], 0, v5, s[2:3]
	v_mad_i64_i32 v[7:8], s[2:3], s8, v2, 0
	s_waitcnt lgkmcnt(0)
	v_mov_b32_e32 v14, s7
	v_add_co_u32_e64 v5, s[2:3], s6, v4
	v_lshlrev_b64 v[7:8], 3, v[7:8]
	v_addc_co_u32_e64 v6, s[2:3], v14, v6, s[2:3]
	v_lshlrev_b32_e32 v4, 3, v1
	v_add_co_u32_e64 v4, s[2:3], v7, v4
	v_addc_co_u32_e64 v8, s[2:3], 0, v8, s[2:3]
	v_mov_b32_e32 v14, s15
	v_add_co_u32_e64 v7, s[2:3], s14, v4
	v_cmp_gt_i32_e64 s[0:1], s16, v9
	v_addc_co_u32_e64 v8, s[2:3], v14, v8, s[2:3]
	v_add_u32_e32 v13, v12, v10
	v_mov_b32_e32 v3, 0
	s_xor_b64 s[2:3], vcc, -1
	s_xor_b64 s[0:1], s[0:1], -1
	v_mov_b32_e32 v15, 0
	v_mov_b32_e32 v14, 0
	s_branch .LBB821_3
.LBB821_2:                              ;   in Loop: Header=BB821_3 Depth=1
	s_or_b64 exec, exec, s[6:7]
	s_waitcnt lgkmcnt(0)
	s_barrier
	ds_read2_b64 v[16:19], v10 offset1:16
	ds_read_b128 v[20:23], v12
	ds_read_b128 v[24:27], v12 offset:16
	ds_read2_b64 v[28:31], v10 offset0:32 offset1:48
	v_add_co_u32_e32 v5, vcc, 0x80, v5
	s_waitcnt lgkmcnt(2)
	v_mul_f32_e32 v4, v21, v17
	v_mul_f32_e32 v32, v20, v17
	v_fma_f32 v4, v20, v16, -v4
	v_fmac_f32_e32 v32, v21, v16
	v_mul_f32_e32 v16, v23, v19
	v_fma_f32 v33, v22, v18, -v16
	v_mul_f32_e32 v34, v22, v19
	s_waitcnt lgkmcnt(0)
	v_mul_f32_e32 v16, v25, v29
	v_fmac_f32_e32 v34, v23, v18
	v_fma_f32 v35, v24, v28, -v16
	ds_read2_b64 v[16:19], v10 offset0:64 offset1:80
	ds_read_b128 v[20:23], v12 offset:32
	v_mul_f32_e32 v36, v24, v29
	v_fmac_f32_e32 v36, v25, v28
	v_mul_f32_e32 v24, v27, v31
	v_mul_f32_e32 v38, v26, v31
	s_waitcnt lgkmcnt(0)
	v_mul_f32_e32 v28, v21, v17
	v_fma_f32 v37, v26, v30, -v24
	v_fmac_f32_e32 v38, v27, v30
	ds_read_b128 v[24:27], v12 offset:48
	v_fma_f32 v39, v20, v16, -v28
	ds_read2_b64 v[28:31], v10 offset0:96 offset1:112
	v_mul_f32_e32 v40, v20, v17
	v_fmac_f32_e32 v40, v21, v16
	v_mul_f32_e32 v16, v23, v19
	v_fma_f32 v41, v22, v18, -v16
	v_mul_f32_e32 v42, v22, v19
	s_waitcnt lgkmcnt(0)
	v_mul_f32_e32 v16, v25, v29
	v_fmac_f32_e32 v42, v23, v18
	v_fma_f32 v43, v24, v28, -v16
	ds_read2_b64 v[16:19], v10 offset0:128 offset1:144
	ds_read_b128 v[20:23], v12 offset:64
	v_mul_f32_e32 v44, v24, v29
	v_fmac_f32_e32 v44, v25, v28
	v_mul_f32_e32 v24, v27, v31
	v_mul_f32_e32 v46, v26, v31
	s_waitcnt lgkmcnt(0)
	v_mul_f32_e32 v28, v21, v17
	v_fma_f32 v45, v26, v30, -v24
	v_fmac_f32_e32 v46, v27, v30
	ds_read_b128 v[24:27], v12 offset:80
	v_fma_f32 v47, v20, v16, -v28
	ds_read2_b64 v[28:31], v10 offset0:160 offset1:176
	v_mul_f32_e32 v48, v20, v17
	v_add_f32_e32 v4, v14, v4
	v_add_f32_e32 v14, v15, v32
	v_fmac_f32_e32 v48, v21, v16
	v_mul_f32_e32 v16, v23, v19
	v_add_f32_e32 v14, v14, v34
	v_fma_f32 v49, v22, v18, -v16
	v_mul_f32_e32 v50, v22, v19
	s_waitcnt lgkmcnt(0)
	v_mul_f32_e32 v16, v25, v29
	v_add_f32_e32 v14, v14, v36
	v_fmac_f32_e32 v50, v23, v18
	v_fma_f32 v51, v24, v28, -v16
	ds_read2_b64 v[16:19], v10 offset0:192 offset1:208
	ds_read_b128 v[20:23], v12 offset:96
	v_add_f32_e32 v14, v14, v38
	v_add_f32_e32 v14, v14, v40
	;; [unrolled: 1-line block ×6, first 2 shown]
	v_mul_f32_e32 v29, v24, v29
	v_mul_f32_e32 v24, v27, v31
	;; [unrolled: 1-line block ×3, first 2 shown]
	v_add_f32_e32 v4, v4, v37
	v_add_f32_e32 v14, v14, v46
	v_fmac_f32_e32 v29, v25, v28
	v_fma_f32 v28, v26, v30, -v24
	v_fmac_f32_e32 v31, v27, v30
	s_waitcnt lgkmcnt(0)
	v_mul_f32_e32 v30, v21, v17
	v_add_f32_e32 v4, v4, v39
	v_add_f32_e32 v14, v14, v48
	v_fma_f32 v30, v20, v16, -v30
	v_mul_f32_e32 v20, v20, v17
	v_add_f32_e32 v4, v4, v41
	v_add_f32_e32 v14, v14, v50
	v_fmac_f32_e32 v20, v21, v16
	v_mul_f32_e32 v16, v23, v19
	v_mul_f32_e32 v19, v22, v19
	v_add_f32_e32 v4, v4, v43
	v_add_f32_e32 v14, v14, v29
	ds_read_b128 v[24:27], v12 offset:112
	v_fma_f32 v21, v22, v18, -v16
	v_fmac_f32_e32 v19, v23, v18
	v_add_f32_e32 v4, v4, v45
	v_add_f32_e32 v18, v14, v31
	ds_read2_b64 v[14:17], v10 offset0:224 offset1:240
	v_add_f32_e32 v4, v4, v47
	v_add_f32_e32 v4, v4, v49
	;; [unrolled: 1-line block ×7, first 2 shown]
	s_waitcnt lgkmcnt(0)
	v_mul_f32_e32 v19, v25, v15
	v_mul_f32_e32 v15, v24, v15
	v_add_f32_e32 v4, v4, v21
	v_fma_f32 v19, v24, v14, -v19
	v_fmac_f32_e32 v15, v25, v14
	v_mul_f32_e32 v14, v27, v17
	v_mul_f32_e32 v17, v26, v17
	v_addc_co_u32_e32 v6, vcc, 0, v6, vcc
	v_add_f32_e32 v4, v4, v19
	v_add_f32_e32 v15, v18, v15
	v_fma_f32 v14, v26, v16, -v14
	v_fmac_f32_e32 v17, v27, v16
	s_add_i32 s9, s9, 16
	v_add_co_u32_e32 v7, vcc, 0x80, v7
	v_add_f32_e32 v14, v4, v14
	v_add_f32_e32 v15, v15, v17
	s_cmp_ge_i32 s9, s17
	v_addc_co_u32_e32 v8, vcc, 0, v8, vcc
	s_barrier
	s_cbranch_scc1 .LBB821_12
.LBB821_3:                              ; =>This Inner Loop Header: Depth=1
	v_add_u32_e32 v4, s9, v1
	v_cmp_le_i32_e32 vcc, s17, v4
	s_or_b64 s[6:7], s[2:3], vcc
	s_and_saveexec_b64 s[14:15], s[6:7]
	s_xor_b64 s[6:7], exec, s[14:15]
; %bb.4:                                ;   in Loop: Header=BB821_3 Depth=1
	ds_write_b32 v11, v3
; %bb.5:                                ;   in Loop: Header=BB821_3 Depth=1
	s_or_saveexec_b64 s[6:7], s[6:7]
	v_mov_b32_e32 v4, 0
	s_xor_b64 exec, exec, s[6:7]
	s_cbranch_execz .LBB821_7
; %bb.6:                                ;   in Loop: Header=BB821_3 Depth=1
	flat_load_dwordx2 v[16:17], v[7:8]
	s_waitcnt vmcnt(0) lgkmcnt(0)
	v_xor_b32_e32 v4, 0x80000000, v17
	ds_write_b32 v11, v16
.LBB821_7:                              ;   in Loop: Header=BB821_3 Depth=1
	s_or_b64 exec, exec, s[6:7]
	ds_write_b32 v11, v4 offset:4
	v_add_u32_e32 v4, s9, v0
	v_cmp_le_i32_e32 vcc, s17, v4
	s_or_b64 s[6:7], s[0:1], vcc
	s_and_saveexec_b64 s[14:15], s[6:7]
	s_xor_b64 s[6:7], exec, s[14:15]
; %bb.8:                                ;   in Loop: Header=BB821_3 Depth=1
	v_mov_b32_e32 v4, v3
	ds_write_b64 v13, v[3:4]
; %bb.9:                                ;   in Loop: Header=BB821_3 Depth=1
	s_andn2_saveexec_b64 s[6:7], s[6:7]
	s_cbranch_execz .LBB821_2
; %bb.10:                               ;   in Loop: Header=BB821_3 Depth=1
	flat_load_dwordx2 v[16:17], v[5:6]
	s_waitcnt vmcnt(0) lgkmcnt(0)
	ds_write_b64 v13, v[16:17]
	s_branch .LBB821_2
.LBB821_11:
	v_mov_b32_e32 v15, 0
	v_mov_b32_e32 v14, 0
.LBB821_12:
	v_cmp_le_i32_e32 vcc, v9, v2
	v_cmp_gt_i32_e64 s[0:1], s16, v2
	s_and_b64 s[0:1], vcc, s[0:1]
	s_and_saveexec_b64 s[2:3], s[0:1]
	s_cbranch_execz .LBB821_15
; %bb.13:
	s_load_dword s0, s[4:5], 0x50
	v_ashrrev_i32_e32 v3, 31, v2
	s_waitcnt lgkmcnt(0)
	v_mov_b32_e32 v6, s11
	v_mul_f32_e32 v4, s13, v15
	v_mul_f32_e32 v5, s12, v15
	v_mad_i64_i32 v[0:1], s[0:1], s0, v9, 0
	v_fma_f32 v4, v14, s12, -v4
	v_fmac_f32_e32 v5, s13, v14
	v_lshlrev_b64 v[0:1], 3, v[0:1]
	v_add_co_u32_e32 v7, vcc, s10, v0
	v_addc_co_u32_e32 v6, vcc, v6, v1, vcc
	v_lshlrev_b64 v[0:1], 3, v[2:3]
	v_add_co_u32_e32 v0, vcc, v7, v0
	v_addc_co_u32_e32 v1, vcc, v6, v1, vcc
	v_cmp_eq_u32_e32 vcc, v2, v9
	flat_store_dwordx2 v[0:1], v[4:5]
	s_and_b64 exec, exec, vcc
	s_cbranch_execz .LBB821_15
; %bb.14:
	v_mov_b32_e32 v2, 0
	flat_store_dword v[0:1], v2 offset:4
.LBB821_15:
	s_endpgm
	.section	.rodata,"a",@progbits
	.p2align	6, 0x0
	.amdhsa_kernel _ZL32rocblas_syrkx_herkx_small_kernelIi19rocblas_complex_numIfELi16ELb1ELb1ELc67ELc76EKPKS1_KPS1_EviT_T0_PT6_S7_lSA_S7_lS8_PT7_S7_li
		.amdhsa_group_segment_fixed_size 4096
		.amdhsa_private_segment_fixed_size 0
		.amdhsa_kernarg_size 100
		.amdhsa_user_sgpr_count 6
		.amdhsa_user_sgpr_private_segment_buffer 1
		.amdhsa_user_sgpr_dispatch_ptr 0
		.amdhsa_user_sgpr_queue_ptr 0
		.amdhsa_user_sgpr_kernarg_segment_ptr 1
		.amdhsa_user_sgpr_dispatch_id 0
		.amdhsa_user_sgpr_flat_scratch_init 0
		.amdhsa_user_sgpr_private_segment_size 0
		.amdhsa_uses_dynamic_stack 0
		.amdhsa_system_sgpr_private_segment_wavefront_offset 0
		.amdhsa_system_sgpr_workgroup_id_x 1
		.amdhsa_system_sgpr_workgroup_id_y 1
		.amdhsa_system_sgpr_workgroup_id_z 1
		.amdhsa_system_sgpr_workgroup_info 0
		.amdhsa_system_vgpr_workitem_id 1
		.amdhsa_next_free_vgpr 52
		.amdhsa_next_free_sgpr 19
		.amdhsa_reserve_vcc 1
		.amdhsa_reserve_flat_scratch 0
		.amdhsa_float_round_mode_32 0
		.amdhsa_float_round_mode_16_64 0
		.amdhsa_float_denorm_mode_32 3
		.amdhsa_float_denorm_mode_16_64 3
		.amdhsa_dx10_clamp 1
		.amdhsa_ieee_mode 1
		.amdhsa_fp16_overflow 0
		.amdhsa_exception_fp_ieee_invalid_op 0
		.amdhsa_exception_fp_denorm_src 0
		.amdhsa_exception_fp_ieee_div_zero 0
		.amdhsa_exception_fp_ieee_overflow 0
		.amdhsa_exception_fp_ieee_underflow 0
		.amdhsa_exception_fp_ieee_inexact 0
		.amdhsa_exception_int_div_zero 0
	.end_amdhsa_kernel
	.section	.text._ZL32rocblas_syrkx_herkx_small_kernelIi19rocblas_complex_numIfELi16ELb1ELb1ELc67ELc76EKPKS1_KPS1_EviT_T0_PT6_S7_lSA_S7_lS8_PT7_S7_li,"axG",@progbits,_ZL32rocblas_syrkx_herkx_small_kernelIi19rocblas_complex_numIfELi16ELb1ELb1ELc67ELc76EKPKS1_KPS1_EviT_T0_PT6_S7_lSA_S7_lS8_PT7_S7_li,comdat
.Lfunc_end821:
	.size	_ZL32rocblas_syrkx_herkx_small_kernelIi19rocblas_complex_numIfELi16ELb1ELb1ELc67ELc76EKPKS1_KPS1_EviT_T0_PT6_S7_lSA_S7_lS8_PT7_S7_li, .Lfunc_end821-_ZL32rocblas_syrkx_herkx_small_kernelIi19rocblas_complex_numIfELi16ELb1ELb1ELc67ELc76EKPKS1_KPS1_EviT_T0_PT6_S7_lSA_S7_lS8_PT7_S7_li
                                        ; -- End function
	.set _ZL32rocblas_syrkx_herkx_small_kernelIi19rocblas_complex_numIfELi16ELb1ELb1ELc67ELc76EKPKS1_KPS1_EviT_T0_PT6_S7_lSA_S7_lS8_PT7_S7_li.num_vgpr, 52
	.set _ZL32rocblas_syrkx_herkx_small_kernelIi19rocblas_complex_numIfELi16ELb1ELb1ELc67ELc76EKPKS1_KPS1_EviT_T0_PT6_S7_lSA_S7_lS8_PT7_S7_li.num_agpr, 0
	.set _ZL32rocblas_syrkx_herkx_small_kernelIi19rocblas_complex_numIfELi16ELb1ELb1ELc67ELc76EKPKS1_KPS1_EviT_T0_PT6_S7_lSA_S7_lS8_PT7_S7_li.numbered_sgpr, 19
	.set _ZL32rocblas_syrkx_herkx_small_kernelIi19rocblas_complex_numIfELi16ELb1ELb1ELc67ELc76EKPKS1_KPS1_EviT_T0_PT6_S7_lSA_S7_lS8_PT7_S7_li.num_named_barrier, 0
	.set _ZL32rocblas_syrkx_herkx_small_kernelIi19rocblas_complex_numIfELi16ELb1ELb1ELc67ELc76EKPKS1_KPS1_EviT_T0_PT6_S7_lSA_S7_lS8_PT7_S7_li.private_seg_size, 0
	.set _ZL32rocblas_syrkx_herkx_small_kernelIi19rocblas_complex_numIfELi16ELb1ELb1ELc67ELc76EKPKS1_KPS1_EviT_T0_PT6_S7_lSA_S7_lS8_PT7_S7_li.uses_vcc, 1
	.set _ZL32rocblas_syrkx_herkx_small_kernelIi19rocblas_complex_numIfELi16ELb1ELb1ELc67ELc76EKPKS1_KPS1_EviT_T0_PT6_S7_lSA_S7_lS8_PT7_S7_li.uses_flat_scratch, 0
	.set _ZL32rocblas_syrkx_herkx_small_kernelIi19rocblas_complex_numIfELi16ELb1ELb1ELc67ELc76EKPKS1_KPS1_EviT_T0_PT6_S7_lSA_S7_lS8_PT7_S7_li.has_dyn_sized_stack, 0
	.set _ZL32rocblas_syrkx_herkx_small_kernelIi19rocblas_complex_numIfELi16ELb1ELb1ELc67ELc76EKPKS1_KPS1_EviT_T0_PT6_S7_lSA_S7_lS8_PT7_S7_li.has_recursion, 0
	.set _ZL32rocblas_syrkx_herkx_small_kernelIi19rocblas_complex_numIfELi16ELb1ELb1ELc67ELc76EKPKS1_KPS1_EviT_T0_PT6_S7_lSA_S7_lS8_PT7_S7_li.has_indirect_call, 0
	.section	.AMDGPU.csdata,"",@progbits
; Kernel info:
; codeLenInByte = 1264
; TotalNumSgprs: 23
; NumVgprs: 52
; ScratchSize: 0
; MemoryBound: 1
; FloatMode: 240
; IeeeMode: 1
; LDSByteSize: 4096 bytes/workgroup (compile time only)
; SGPRBlocks: 2
; VGPRBlocks: 12
; NumSGPRsForWavesPerEU: 23
; NumVGPRsForWavesPerEU: 52
; Occupancy: 4
; WaveLimiterHint : 1
; COMPUTE_PGM_RSRC2:SCRATCH_EN: 0
; COMPUTE_PGM_RSRC2:USER_SGPR: 6
; COMPUTE_PGM_RSRC2:TRAP_HANDLER: 0
; COMPUTE_PGM_RSRC2:TGID_X_EN: 1
; COMPUTE_PGM_RSRC2:TGID_Y_EN: 1
; COMPUTE_PGM_RSRC2:TGID_Z_EN: 1
; COMPUTE_PGM_RSRC2:TIDIG_COMP_CNT: 1
	.section	.text._ZL32rocblas_syrkx_herkx_small_kernelIi19rocblas_complex_numIfELi16ELb1ELb1ELc78ELc76EKPKS1_KPS1_EviT_T0_PT6_S7_lSA_S7_lS8_PT7_S7_li,"axG",@progbits,_ZL32rocblas_syrkx_herkx_small_kernelIi19rocblas_complex_numIfELi16ELb1ELb1ELc78ELc76EKPKS1_KPS1_EviT_T0_PT6_S7_lSA_S7_lS8_PT7_S7_li,comdat
	.globl	_ZL32rocblas_syrkx_herkx_small_kernelIi19rocblas_complex_numIfELi16ELb1ELb1ELc78ELc76EKPKS1_KPS1_EviT_T0_PT6_S7_lSA_S7_lS8_PT7_S7_li ; -- Begin function _ZL32rocblas_syrkx_herkx_small_kernelIi19rocblas_complex_numIfELi16ELb1ELb1ELc78ELc76EKPKS1_KPS1_EviT_T0_PT6_S7_lSA_S7_lS8_PT7_S7_li
	.p2align	8
	.type	_ZL32rocblas_syrkx_herkx_small_kernelIi19rocblas_complex_numIfELi16ELb1ELb1ELc78ELc76EKPKS1_KPS1_EviT_T0_PT6_S7_lSA_S7_lS8_PT7_S7_li,@function
_ZL32rocblas_syrkx_herkx_small_kernelIi19rocblas_complex_numIfELi16ELb1ELb1ELc78ELc76EKPKS1_KPS1_EviT_T0_PT6_S7_lSA_S7_lS8_PT7_S7_li: ; @_ZL32rocblas_syrkx_herkx_small_kernelIi19rocblas_complex_numIfELi16ELb1ELb1ELc78ELc76EKPKS1_KPS1_EviT_T0_PT6_S7_lSA_S7_lS8_PT7_S7_li
; %bb.0:
	s_load_dwordx2 s[2:3], s[4:5], 0x48
	s_load_dwordx2 s[16:17], s[4:5], 0x0
	s_load_dwordx4 s[12:15], s[4:5], 0x8
	s_mov_b32 s9, 0
	s_lshl_b64 s[0:1], s[8:9], 3
	s_waitcnt lgkmcnt(0)
	s_add_u32 s2, s2, s0
	s_addc_u32 s3, s3, s1
	s_load_dwordx2 s[10:11], s[2:3], 0x0
	v_lshl_add_u32 v2, s6, 4, v0
	v_lshl_add_u32 v4, s7, 4, v1
	s_cmp_lt_i32 s17, 1
	v_cmp_gt_i32_e32 vcc, s16, v2
	v_ashrrev_i32_e32 v3, 31, v2
	s_cbranch_scc1 .LBB822_11
; %bb.1:
	s_load_dword s18, s[4:5], 0x18
	s_load_dword s6, s[4:5], 0x30
	s_load_dwordx2 s[2:3], s[4:5], 0x28
	v_lshlrev_b32_e32 v5, 7, v1
	v_lshlrev_b32_e32 v11, 3, v0
	s_waitcnt lgkmcnt(0)
	s_ashr_i32 s19, s18, 31
	s_ashr_i32 s7, s6, 31
	s_add_u32 s2, s2, s0
	s_addc_u32 s3, s3, s1
	s_load_dwordx2 s[20:21], s[2:3], 0x0
	v_mad_i64_i32 v[6:7], s[2:3], s6, v0, 0
	v_add_u32_e32 v12, v11, v5
	v_add_u32_e32 v13, 0x800, v5
	v_ashrrev_i32_e32 v5, 31, v4
	v_lshlrev_b64 v[6:7], 3, v[6:7]
	v_lshlrev_b64 v[8:9], 3, v[4:5]
	s_add_u32 s0, s14, s0
	v_add_co_u32_e64 v5, s[2:3], v6, v8
	v_addc_co_u32_e64 v6, s[2:3], v7, v9, s[2:3]
	v_mad_i64_i32 v[7:8], s[2:3], s18, v1, 0
	s_addc_u32 s1, s15, s1
	s_load_dwordx2 s[14:15], s[0:1], 0x0
	s_waitcnt lgkmcnt(0)
	v_mov_b32_e32 v9, s21
	v_add_co_u32_e64 v5, s[2:3], s20, v5
	v_addc_co_u32_e64 v6, s[2:3], v9, v6, s[2:3]
	v_lshlrev_b64 v[7:8], 3, v[7:8]
	v_lshlrev_b64 v[9:10], 3, v[2:3]
	v_cmp_gt_i32_e64 s[0:1], s16, v4
	v_add_co_u32_e64 v7, s[2:3], v7, v9
	v_addc_co_u32_e64 v8, s[2:3], v8, v10, s[2:3]
	v_mov_b32_e32 v9, s15
	v_add_co_u32_e64 v7, s[2:3], s14, v7
	v_addc_co_u32_e64 v8, s[2:3], v9, v8, s[2:3]
	s_lshl_b64 s[6:7], s[6:7], 7
	s_lshl_b64 s[2:3], s[18:19], 7
	v_add_u32_e32 v14, v13, v11
	v_mov_b32_e32 v9, 0
	s_xor_b64 s[14:15], vcc, -1
	s_xor_b64 s[0:1], s[0:1], -1
	v_mov_b32_e32 v15, s7
	v_mov_b32_e32 v17, s3
	;; [unrolled: 1-line block ×4, first 2 shown]
	s_branch .LBB822_3
.LBB822_2:                              ;   in Loop: Header=BB822_3 Depth=1
	s_or_b64 exec, exec, s[18:19]
	ds_write_b32 v14, v10 offset:4
	s_waitcnt lgkmcnt(0)
	s_barrier
	ds_read2_b64 v[19:22], v11 offset1:16
	ds_read_b128 v[23:26], v13
	ds_read_b128 v[27:30], v13 offset:16
	ds_read2_b64 v[31:34], v11 offset0:32 offset1:48
	v_add_co_u32_e32 v5, vcc, s6, v5
	s_waitcnt lgkmcnt(2)
	v_mul_f32_e32 v10, v24, v20
	v_mul_f32_e32 v35, v23, v20
	v_fma_f32 v10, v23, v19, -v10
	v_fmac_f32_e32 v35, v24, v19
	v_mul_f32_e32 v19, v26, v22
	v_fma_f32 v36, v25, v21, -v19
	v_mul_f32_e32 v37, v25, v22
	s_waitcnt lgkmcnt(0)
	v_mul_f32_e32 v19, v28, v32
	v_fmac_f32_e32 v37, v26, v21
	v_fma_f32 v38, v27, v31, -v19
	ds_read2_b64 v[19:22], v11 offset0:64 offset1:80
	ds_read_b128 v[23:26], v13 offset:32
	v_mul_f32_e32 v39, v27, v32
	v_fmac_f32_e32 v39, v28, v31
	v_mul_f32_e32 v27, v30, v34
	v_mul_f32_e32 v41, v29, v34
	s_waitcnt lgkmcnt(0)
	v_mul_f32_e32 v31, v24, v20
	v_fma_f32 v40, v29, v33, -v27
	v_fmac_f32_e32 v41, v30, v33
	ds_read_b128 v[27:30], v13 offset:48
	v_fma_f32 v42, v23, v19, -v31
	ds_read2_b64 v[31:34], v11 offset0:96 offset1:112
	v_mul_f32_e32 v43, v23, v20
	v_fmac_f32_e32 v43, v24, v19
	v_mul_f32_e32 v19, v26, v22
	v_fma_f32 v44, v25, v21, -v19
	v_mul_f32_e32 v45, v25, v22
	s_waitcnt lgkmcnt(0)
	v_mul_f32_e32 v19, v28, v32
	v_fmac_f32_e32 v45, v26, v21
	v_fma_f32 v46, v27, v31, -v19
	ds_read2_b64 v[19:22], v11 offset0:128 offset1:144
	ds_read_b128 v[23:26], v13 offset:64
	v_mul_f32_e32 v47, v27, v32
	v_fmac_f32_e32 v47, v28, v31
	v_mul_f32_e32 v27, v30, v34
	v_mul_f32_e32 v49, v29, v34
	s_waitcnt lgkmcnt(0)
	v_mul_f32_e32 v31, v24, v20
	v_fma_f32 v48, v29, v33, -v27
	v_fmac_f32_e32 v49, v30, v33
	ds_read_b128 v[27:30], v13 offset:80
	v_fma_f32 v50, v23, v19, -v31
	ds_read2_b64 v[31:34], v11 offset0:160 offset1:176
	v_mul_f32_e32 v51, v23, v20
	v_fmac_f32_e32 v51, v24, v19
	v_mul_f32_e32 v19, v26, v22
	v_fma_f32 v52, v25, v21, -v19
	v_mul_f32_e32 v53, v25, v22
	s_waitcnt lgkmcnt(0)
	v_mul_f32_e32 v19, v28, v32
	v_add_f32_e32 v10, v16, v10
	v_add_f32_e32 v16, v18, v35
	v_fmac_f32_e32 v53, v26, v21
	v_fma_f32 v54, v27, v31, -v19
	ds_read2_b64 v[19:22], v11 offset0:192 offset1:208
	ds_read_b128 v[23:26], v13 offset:96
	v_add_f32_e32 v10, v10, v36
	v_add_f32_e32 v16, v16, v37
	v_add_f32_e32 v10, v10, v38
	v_add_f32_e32 v16, v16, v39
	v_add_f32_e32 v10, v10, v40
	v_add_f32_e32 v16, v16, v41
	v_add_f32_e32 v10, v10, v42
	v_add_f32_e32 v16, v16, v43
	v_mul_f32_e32 v55, v27, v32
	v_add_f32_e32 v10, v10, v44
	v_add_f32_e32 v16, v16, v45
	v_fmac_f32_e32 v55, v28, v31
	v_mul_f32_e32 v27, v30, v34
	v_mul_f32_e32 v57, v29, v34
	s_waitcnt lgkmcnt(0)
	v_mul_f32_e32 v31, v24, v20
	v_add_f32_e32 v10, v10, v46
	v_add_f32_e32 v16, v16, v47
	v_fma_f32 v56, v29, v33, -v27
	v_fmac_f32_e32 v57, v30, v33
	ds_read_b128 v[27:30], v13 offset:112
	v_fma_f32 v58, v23, v19, -v31
	ds_read2_b64 v[31:34], v11 offset0:224 offset1:240
	v_add_f32_e32 v10, v10, v48
	v_add_f32_e32 v16, v16, v49
	;; [unrolled: 1-line block ×6, first 2 shown]
	v_mul_f32_e32 v20, v23, v20
	v_add_f32_e32 v10, v10, v54
	v_add_f32_e32 v16, v16, v55
	v_fmac_f32_e32 v20, v24, v19
	v_mul_f32_e32 v19, v26, v22
	v_mul_f32_e32 v22, v25, v22
	v_add_f32_e32 v10, v10, v56
	v_add_f32_e32 v16, v16, v57
	v_fma_f32 v19, v25, v21, -v19
	v_fmac_f32_e32 v22, v26, v21
	s_waitcnt lgkmcnt(0)
	v_mul_f32_e32 v21, v28, v32
	v_mul_f32_e32 v23, v27, v32
	v_add_f32_e32 v10, v10, v58
	v_add_f32_e32 v16, v16, v20
	v_fma_f32 v21, v27, v31, -v21
	v_fmac_f32_e32 v23, v28, v31
	v_mul_f32_e32 v24, v30, v34
	v_mul_f32_e32 v25, v29, v34
	v_add_f32_e32 v10, v10, v19
	v_add_f32_e32 v16, v16, v22
	v_addc_co_u32_e32 v6, vcc, v6, v15, vcc
	v_fma_f32 v24, v29, v33, -v24
	v_fmac_f32_e32 v25, v30, v33
	v_add_f32_e32 v10, v10, v21
	v_add_f32_e32 v18, v16, v23
	s_add_i32 s9, s9, 16
	v_add_co_u32_e32 v7, vcc, s2, v7
	v_add_f32_e32 v16, v10, v24
	v_add_f32_e32 v18, v18, v25
	s_cmp_ge_i32 s9, s17
	v_addc_co_u32_e32 v8, vcc, v8, v17, vcc
	s_barrier
	s_cbranch_scc1 .LBB822_12
.LBB822_3:                              ; =>This Inner Loop Header: Depth=1
	v_add_u32_e32 v10, s9, v1
	v_cmp_le_i32_e32 vcc, s17, v10
	s_or_b64 s[18:19], s[14:15], vcc
	s_and_saveexec_b64 s[20:21], s[18:19]
	s_xor_b64 s[18:19], exec, s[20:21]
; %bb.4:                                ;   in Loop: Header=BB822_3 Depth=1
	v_mov_b32_e32 v10, v9
	ds_write_b64 v12, v[9:10]
; %bb.5:                                ;   in Loop: Header=BB822_3 Depth=1
	s_andn2_saveexec_b64 s[18:19], s[18:19]
	s_cbranch_execz .LBB822_7
; %bb.6:                                ;   in Loop: Header=BB822_3 Depth=1
	flat_load_dwordx2 v[19:20], v[7:8]
	s_waitcnt vmcnt(0) lgkmcnt(0)
	ds_write_b64 v12, v[19:20]
.LBB822_7:                              ;   in Loop: Header=BB822_3 Depth=1
	s_or_b64 exec, exec, s[18:19]
	v_add_u32_e32 v10, s9, v0
	v_cmp_le_i32_e32 vcc, s17, v10
	s_or_b64 s[18:19], s[0:1], vcc
	s_and_saveexec_b64 s[20:21], s[18:19]
	s_xor_b64 s[18:19], exec, s[20:21]
; %bb.8:                                ;   in Loop: Header=BB822_3 Depth=1
	ds_write_b32 v14, v9
; %bb.9:                                ;   in Loop: Header=BB822_3 Depth=1
	s_or_saveexec_b64 s[18:19], s[18:19]
	v_mov_b32_e32 v10, 0
	s_xor_b64 exec, exec, s[18:19]
	s_cbranch_execz .LBB822_2
; %bb.10:                               ;   in Loop: Header=BB822_3 Depth=1
	flat_load_dwordx2 v[19:20], v[5:6]
	s_waitcnt vmcnt(0) lgkmcnt(0)
	v_xor_b32_e32 v10, 0x80000000, v20
	ds_write_b32 v14, v19
	s_branch .LBB822_2
.LBB822_11:
	v_mov_b32_e32 v18, 0
	v_mov_b32_e32 v16, 0
.LBB822_12:
	v_cmp_le_i32_e32 vcc, v4, v2
	v_cmp_gt_i32_e64 s[0:1], s16, v2
	s_and_b64 s[0:1], vcc, s[0:1]
	s_and_saveexec_b64 s[2:3], s[0:1]
	s_cbranch_execz .LBB822_15
; %bb.13:
	s_load_dword s0, s[4:5], 0x50
	s_waitcnt lgkmcnt(0)
	v_mov_b32_e32 v7, s11
	v_mul_f32_e32 v5, s13, v18
	v_mul_f32_e32 v6, s12, v18
	v_fma_f32 v5, v16, s12, -v5
	v_mad_i64_i32 v[0:1], s[0:1], s0, v4, 0
	v_fmac_f32_e32 v6, s13, v16
	v_lshlrev_b64 v[0:1], 3, v[0:1]
	v_add_co_u32_e32 v8, vcc, s10, v0
	v_addc_co_u32_e32 v7, vcc, v7, v1, vcc
	v_lshlrev_b64 v[0:1], 3, v[2:3]
	v_add_co_u32_e32 v0, vcc, v8, v0
	v_addc_co_u32_e32 v1, vcc, v7, v1, vcc
	v_cmp_eq_u32_e32 vcc, v2, v4
	flat_store_dwordx2 v[0:1], v[5:6]
	s_and_b64 exec, exec, vcc
	s_cbranch_execz .LBB822_15
; %bb.14:
	v_mov_b32_e32 v2, 0
	flat_store_dword v[0:1], v2 offset:4
.LBB822_15:
	s_endpgm
	.section	.rodata,"a",@progbits
	.p2align	6, 0x0
	.amdhsa_kernel _ZL32rocblas_syrkx_herkx_small_kernelIi19rocblas_complex_numIfELi16ELb1ELb1ELc78ELc76EKPKS1_KPS1_EviT_T0_PT6_S7_lSA_S7_lS8_PT7_S7_li
		.amdhsa_group_segment_fixed_size 4096
		.amdhsa_private_segment_fixed_size 0
		.amdhsa_kernarg_size 100
		.amdhsa_user_sgpr_count 6
		.amdhsa_user_sgpr_private_segment_buffer 1
		.amdhsa_user_sgpr_dispatch_ptr 0
		.amdhsa_user_sgpr_queue_ptr 0
		.amdhsa_user_sgpr_kernarg_segment_ptr 1
		.amdhsa_user_sgpr_dispatch_id 0
		.amdhsa_user_sgpr_flat_scratch_init 0
		.amdhsa_user_sgpr_private_segment_size 0
		.amdhsa_uses_dynamic_stack 0
		.amdhsa_system_sgpr_private_segment_wavefront_offset 0
		.amdhsa_system_sgpr_workgroup_id_x 1
		.amdhsa_system_sgpr_workgroup_id_y 1
		.amdhsa_system_sgpr_workgroup_id_z 1
		.amdhsa_system_sgpr_workgroup_info 0
		.amdhsa_system_vgpr_workitem_id 1
		.amdhsa_next_free_vgpr 59
		.amdhsa_next_free_sgpr 22
		.amdhsa_reserve_vcc 1
		.amdhsa_reserve_flat_scratch 0
		.amdhsa_float_round_mode_32 0
		.amdhsa_float_round_mode_16_64 0
		.amdhsa_float_denorm_mode_32 3
		.amdhsa_float_denorm_mode_16_64 3
		.amdhsa_dx10_clamp 1
		.amdhsa_ieee_mode 1
		.amdhsa_fp16_overflow 0
		.amdhsa_exception_fp_ieee_invalid_op 0
		.amdhsa_exception_fp_denorm_src 0
		.amdhsa_exception_fp_ieee_div_zero 0
		.amdhsa_exception_fp_ieee_overflow 0
		.amdhsa_exception_fp_ieee_underflow 0
		.amdhsa_exception_fp_ieee_inexact 0
		.amdhsa_exception_int_div_zero 0
	.end_amdhsa_kernel
	.section	.text._ZL32rocblas_syrkx_herkx_small_kernelIi19rocblas_complex_numIfELi16ELb1ELb1ELc78ELc76EKPKS1_KPS1_EviT_T0_PT6_S7_lSA_S7_lS8_PT7_S7_li,"axG",@progbits,_ZL32rocblas_syrkx_herkx_small_kernelIi19rocblas_complex_numIfELi16ELb1ELb1ELc78ELc76EKPKS1_KPS1_EviT_T0_PT6_S7_lSA_S7_lS8_PT7_S7_li,comdat
.Lfunc_end822:
	.size	_ZL32rocblas_syrkx_herkx_small_kernelIi19rocblas_complex_numIfELi16ELb1ELb1ELc78ELc76EKPKS1_KPS1_EviT_T0_PT6_S7_lSA_S7_lS8_PT7_S7_li, .Lfunc_end822-_ZL32rocblas_syrkx_herkx_small_kernelIi19rocblas_complex_numIfELi16ELb1ELb1ELc78ELc76EKPKS1_KPS1_EviT_T0_PT6_S7_lSA_S7_lS8_PT7_S7_li
                                        ; -- End function
	.set _ZL32rocblas_syrkx_herkx_small_kernelIi19rocblas_complex_numIfELi16ELb1ELb1ELc78ELc76EKPKS1_KPS1_EviT_T0_PT6_S7_lSA_S7_lS8_PT7_S7_li.num_vgpr, 59
	.set _ZL32rocblas_syrkx_herkx_small_kernelIi19rocblas_complex_numIfELi16ELb1ELb1ELc78ELc76EKPKS1_KPS1_EviT_T0_PT6_S7_lSA_S7_lS8_PT7_S7_li.num_agpr, 0
	.set _ZL32rocblas_syrkx_herkx_small_kernelIi19rocblas_complex_numIfELi16ELb1ELb1ELc78ELc76EKPKS1_KPS1_EviT_T0_PT6_S7_lSA_S7_lS8_PT7_S7_li.numbered_sgpr, 22
	.set _ZL32rocblas_syrkx_herkx_small_kernelIi19rocblas_complex_numIfELi16ELb1ELb1ELc78ELc76EKPKS1_KPS1_EviT_T0_PT6_S7_lSA_S7_lS8_PT7_S7_li.num_named_barrier, 0
	.set _ZL32rocblas_syrkx_herkx_small_kernelIi19rocblas_complex_numIfELi16ELb1ELb1ELc78ELc76EKPKS1_KPS1_EviT_T0_PT6_S7_lSA_S7_lS8_PT7_S7_li.private_seg_size, 0
	.set _ZL32rocblas_syrkx_herkx_small_kernelIi19rocblas_complex_numIfELi16ELb1ELb1ELc78ELc76EKPKS1_KPS1_EviT_T0_PT6_S7_lSA_S7_lS8_PT7_S7_li.uses_vcc, 1
	.set _ZL32rocblas_syrkx_herkx_small_kernelIi19rocblas_complex_numIfELi16ELb1ELb1ELc78ELc76EKPKS1_KPS1_EviT_T0_PT6_S7_lSA_S7_lS8_PT7_S7_li.uses_flat_scratch, 0
	.set _ZL32rocblas_syrkx_herkx_small_kernelIi19rocblas_complex_numIfELi16ELb1ELb1ELc78ELc76EKPKS1_KPS1_EviT_T0_PT6_S7_lSA_S7_lS8_PT7_S7_li.has_dyn_sized_stack, 0
	.set _ZL32rocblas_syrkx_herkx_small_kernelIi19rocblas_complex_numIfELi16ELb1ELb1ELc78ELc76EKPKS1_KPS1_EviT_T0_PT6_S7_lSA_S7_lS8_PT7_S7_li.has_recursion, 0
	.set _ZL32rocblas_syrkx_herkx_small_kernelIi19rocblas_complex_numIfELi16ELb1ELb1ELc78ELc76EKPKS1_KPS1_EviT_T0_PT6_S7_lSA_S7_lS8_PT7_S7_li.has_indirect_call, 0
	.section	.AMDGPU.csdata,"",@progbits
; Kernel info:
; codeLenInByte = 1296
; TotalNumSgprs: 26
; NumVgprs: 59
; ScratchSize: 0
; MemoryBound: 1
; FloatMode: 240
; IeeeMode: 1
; LDSByteSize: 4096 bytes/workgroup (compile time only)
; SGPRBlocks: 3
; VGPRBlocks: 14
; NumSGPRsForWavesPerEU: 26
; NumVGPRsForWavesPerEU: 59
; Occupancy: 4
; WaveLimiterHint : 1
; COMPUTE_PGM_RSRC2:SCRATCH_EN: 0
; COMPUTE_PGM_RSRC2:USER_SGPR: 6
; COMPUTE_PGM_RSRC2:TRAP_HANDLER: 0
; COMPUTE_PGM_RSRC2:TGID_X_EN: 1
; COMPUTE_PGM_RSRC2:TGID_Y_EN: 1
; COMPUTE_PGM_RSRC2:TGID_Z_EN: 1
; COMPUTE_PGM_RSRC2:TIDIG_COMP_CNT: 1
	.section	.text._ZL32rocblas_syrkx_herkx_small_kernelIi19rocblas_complex_numIfELi16ELb1ELb1ELc84ELc85EKPKS1_KPS1_EviT_T0_PT6_S7_lSA_S7_lS8_PT7_S7_li,"axG",@progbits,_ZL32rocblas_syrkx_herkx_small_kernelIi19rocblas_complex_numIfELi16ELb1ELb1ELc84ELc85EKPKS1_KPS1_EviT_T0_PT6_S7_lSA_S7_lS8_PT7_S7_li,comdat
	.globl	_ZL32rocblas_syrkx_herkx_small_kernelIi19rocblas_complex_numIfELi16ELb1ELb1ELc84ELc85EKPKS1_KPS1_EviT_T0_PT6_S7_lSA_S7_lS8_PT7_S7_li ; -- Begin function _ZL32rocblas_syrkx_herkx_small_kernelIi19rocblas_complex_numIfELi16ELb1ELb1ELc84ELc85EKPKS1_KPS1_EviT_T0_PT6_S7_lSA_S7_lS8_PT7_S7_li
	.p2align	8
	.type	_ZL32rocblas_syrkx_herkx_small_kernelIi19rocblas_complex_numIfELi16ELb1ELb1ELc84ELc85EKPKS1_KPS1_EviT_T0_PT6_S7_lSA_S7_lS8_PT7_S7_li,@function
_ZL32rocblas_syrkx_herkx_small_kernelIi19rocblas_complex_numIfELi16ELb1ELb1ELc84ELc85EKPKS1_KPS1_EviT_T0_PT6_S7_lSA_S7_lS8_PT7_S7_li: ; @_ZL32rocblas_syrkx_herkx_small_kernelIi19rocblas_complex_numIfELi16ELb1ELb1ELc84ELc85EKPKS1_KPS1_EviT_T0_PT6_S7_lSA_S7_lS8_PT7_S7_li
; %bb.0:
	s_load_dwordx2 s[0:1], s[4:5], 0x48
	s_load_dwordx2 s[16:17], s[4:5], 0x0
	s_load_dwordx4 s[12:15], s[4:5], 0x8
	s_mov_b32 s9, 0
	s_lshl_b64 s[2:3], s[8:9], 3
	s_waitcnt lgkmcnt(0)
	s_add_u32 s0, s0, s2
	s_addc_u32 s1, s1, s3
	s_load_dwordx2 s[10:11], s[0:1], 0x0
	v_lshl_add_u32 v9, s7, 4, v1
	v_lshl_add_u32 v2, s6, 4, v0
	s_cmp_lt_i32 s17, 1
	v_cmp_gt_i32_e32 vcc, s16, v9
	s_cbranch_scc1 .LBB823_11
; %bb.1:
	s_load_dwordx2 s[6:7], s[4:5], 0x28
	s_load_dword s8, s[4:5], 0x18
	s_load_dword s18, s[4:5], 0x30
	v_lshlrev_b32_e32 v5, 7, v1
	v_lshlrev_b32_e32 v10, 3, v0
	s_waitcnt lgkmcnt(0)
	s_add_u32 s6, s6, s2
	s_addc_u32 s7, s7, s3
	s_add_u32 s2, s14, s2
	s_addc_u32 s3, s15, s3
	s_load_dwordx2 s[14:15], s[2:3], 0x0
	v_mad_i64_i32 v[3:4], s[2:3], s18, v9, 0
	v_add_u32_e32 v11, v10, v5
	v_add_u32_e32 v12, 0x800, v5
	v_lshlrev_b64 v[4:5], 3, v[3:4]
	s_load_dwordx2 s[6:7], s[6:7], 0x0
	v_add_co_u32_e64 v4, s[2:3], v4, v10
	v_addc_co_u32_e64 v6, s[2:3], 0, v5, s[2:3]
	v_mad_i64_i32 v[7:8], s[2:3], s8, v2, 0
	s_waitcnt lgkmcnt(0)
	v_mov_b32_e32 v14, s7
	v_add_co_u32_e64 v5, s[2:3], s6, v4
	v_lshlrev_b64 v[7:8], 3, v[7:8]
	v_addc_co_u32_e64 v6, s[2:3], v14, v6, s[2:3]
	v_lshlrev_b32_e32 v4, 3, v1
	v_add_co_u32_e64 v4, s[2:3], v7, v4
	v_addc_co_u32_e64 v8, s[2:3], 0, v8, s[2:3]
	v_mov_b32_e32 v14, s15
	v_add_co_u32_e64 v7, s[2:3], s14, v4
	v_cmp_gt_i32_e64 s[0:1], s16, v2
	v_addc_co_u32_e64 v8, s[2:3], v14, v8, s[2:3]
	v_add_u32_e32 v13, v12, v10
	v_mov_b32_e32 v3, 0
	s_xor_b64 s[0:1], s[0:1], -1
	s_xor_b64 s[2:3], vcc, -1
	v_mov_b32_e32 v15, 0
	v_mov_b32_e32 v14, 0
	s_branch .LBB823_3
.LBB823_2:                              ;   in Loop: Header=BB823_3 Depth=1
	s_or_b64 exec, exec, s[6:7]
	s_waitcnt lgkmcnt(0)
	s_barrier
	ds_read2_b64 v[16:19], v10 offset1:16
	ds_read_b128 v[20:23], v12
	ds_read_b128 v[24:27], v12 offset:16
	ds_read2_b64 v[28:31], v10 offset0:32 offset1:48
	v_add_co_u32_e32 v5, vcc, 0x80, v5
	s_waitcnt lgkmcnt(2)
	v_mul_f32_e32 v4, v21, v17
	v_mul_f32_e32 v32, v20, v17
	v_fma_f32 v4, v20, v16, -v4
	v_fmac_f32_e32 v32, v21, v16
	v_mul_f32_e32 v16, v23, v19
	v_fma_f32 v33, v22, v18, -v16
	v_mul_f32_e32 v34, v22, v19
	s_waitcnt lgkmcnt(0)
	v_mul_f32_e32 v16, v25, v29
	v_fmac_f32_e32 v34, v23, v18
	v_fma_f32 v35, v24, v28, -v16
	ds_read2_b64 v[16:19], v10 offset0:64 offset1:80
	ds_read_b128 v[20:23], v12 offset:32
	v_mul_f32_e32 v36, v24, v29
	v_fmac_f32_e32 v36, v25, v28
	v_mul_f32_e32 v24, v27, v31
	v_mul_f32_e32 v38, v26, v31
	s_waitcnt lgkmcnt(0)
	v_mul_f32_e32 v28, v21, v17
	v_fma_f32 v37, v26, v30, -v24
	v_fmac_f32_e32 v38, v27, v30
	ds_read_b128 v[24:27], v12 offset:48
	v_fma_f32 v39, v20, v16, -v28
	ds_read2_b64 v[28:31], v10 offset0:96 offset1:112
	v_mul_f32_e32 v40, v20, v17
	v_fmac_f32_e32 v40, v21, v16
	v_mul_f32_e32 v16, v23, v19
	v_fma_f32 v41, v22, v18, -v16
	v_mul_f32_e32 v42, v22, v19
	s_waitcnt lgkmcnt(0)
	v_mul_f32_e32 v16, v25, v29
	v_fmac_f32_e32 v42, v23, v18
	v_fma_f32 v43, v24, v28, -v16
	ds_read2_b64 v[16:19], v10 offset0:128 offset1:144
	ds_read_b128 v[20:23], v12 offset:64
	v_mul_f32_e32 v44, v24, v29
	v_fmac_f32_e32 v44, v25, v28
	v_mul_f32_e32 v24, v27, v31
	v_mul_f32_e32 v46, v26, v31
	s_waitcnt lgkmcnt(0)
	v_mul_f32_e32 v28, v21, v17
	v_fma_f32 v45, v26, v30, -v24
	v_fmac_f32_e32 v46, v27, v30
	ds_read_b128 v[24:27], v12 offset:80
	v_fma_f32 v47, v20, v16, -v28
	ds_read2_b64 v[28:31], v10 offset0:160 offset1:176
	v_mul_f32_e32 v48, v20, v17
	v_add_f32_e32 v4, v14, v4
	v_add_f32_e32 v14, v15, v32
	v_fmac_f32_e32 v48, v21, v16
	v_mul_f32_e32 v16, v23, v19
	v_add_f32_e32 v14, v14, v34
	v_fma_f32 v49, v22, v18, -v16
	v_mul_f32_e32 v50, v22, v19
	s_waitcnt lgkmcnt(0)
	v_mul_f32_e32 v16, v25, v29
	v_add_f32_e32 v14, v14, v36
	v_fmac_f32_e32 v50, v23, v18
	v_fma_f32 v51, v24, v28, -v16
	ds_read2_b64 v[16:19], v10 offset0:192 offset1:208
	ds_read_b128 v[20:23], v12 offset:96
	v_add_f32_e32 v14, v14, v38
	v_add_f32_e32 v14, v14, v40
	;; [unrolled: 1-line block ×6, first 2 shown]
	v_mul_f32_e32 v29, v24, v29
	v_mul_f32_e32 v24, v27, v31
	;; [unrolled: 1-line block ×3, first 2 shown]
	v_add_f32_e32 v4, v4, v37
	v_add_f32_e32 v14, v14, v46
	v_fmac_f32_e32 v29, v25, v28
	v_fma_f32 v28, v26, v30, -v24
	v_fmac_f32_e32 v31, v27, v30
	s_waitcnt lgkmcnt(0)
	v_mul_f32_e32 v30, v21, v17
	v_add_f32_e32 v4, v4, v39
	v_add_f32_e32 v14, v14, v48
	v_fma_f32 v30, v20, v16, -v30
	v_mul_f32_e32 v20, v20, v17
	v_add_f32_e32 v4, v4, v41
	v_add_f32_e32 v14, v14, v50
	v_fmac_f32_e32 v20, v21, v16
	v_mul_f32_e32 v16, v23, v19
	v_mul_f32_e32 v19, v22, v19
	v_add_f32_e32 v4, v4, v43
	v_add_f32_e32 v14, v14, v29
	ds_read_b128 v[24:27], v12 offset:112
	v_fma_f32 v21, v22, v18, -v16
	v_fmac_f32_e32 v19, v23, v18
	v_add_f32_e32 v4, v4, v45
	v_add_f32_e32 v18, v14, v31
	ds_read2_b64 v[14:17], v10 offset0:224 offset1:240
	v_add_f32_e32 v4, v4, v47
	v_add_f32_e32 v4, v4, v49
	;; [unrolled: 1-line block ×7, first 2 shown]
	s_waitcnt lgkmcnt(0)
	v_mul_f32_e32 v19, v25, v15
	v_mul_f32_e32 v15, v24, v15
	v_add_f32_e32 v4, v4, v21
	v_fma_f32 v19, v24, v14, -v19
	v_fmac_f32_e32 v15, v25, v14
	v_mul_f32_e32 v14, v27, v17
	v_mul_f32_e32 v17, v26, v17
	v_addc_co_u32_e32 v6, vcc, 0, v6, vcc
	v_add_f32_e32 v4, v4, v19
	v_add_f32_e32 v15, v18, v15
	v_fma_f32 v14, v26, v16, -v14
	v_fmac_f32_e32 v17, v27, v16
	s_add_i32 s9, s9, 16
	v_add_co_u32_e32 v7, vcc, 0x80, v7
	v_add_f32_e32 v14, v4, v14
	v_add_f32_e32 v15, v15, v17
	s_cmp_ge_i32 s9, s17
	v_addc_co_u32_e32 v8, vcc, 0, v8, vcc
	s_barrier
	s_cbranch_scc1 .LBB823_12
.LBB823_3:                              ; =>This Inner Loop Header: Depth=1
	v_add_u32_e32 v4, s9, v1
	v_cmp_le_i32_e32 vcc, s17, v4
	s_or_b64 s[6:7], s[0:1], vcc
	s_and_saveexec_b64 s[14:15], s[6:7]
	s_xor_b64 s[6:7], exec, s[14:15]
; %bb.4:                                ;   in Loop: Header=BB823_3 Depth=1
	v_mov_b32_e32 v4, v3
	ds_write_b64 v11, v[3:4]
; %bb.5:                                ;   in Loop: Header=BB823_3 Depth=1
	s_andn2_saveexec_b64 s[6:7], s[6:7]
	s_cbranch_execz .LBB823_7
; %bb.6:                                ;   in Loop: Header=BB823_3 Depth=1
	flat_load_dwordx2 v[16:17], v[7:8]
	s_waitcnt vmcnt(0) lgkmcnt(0)
	ds_write_b64 v11, v[16:17]
.LBB823_7:                              ;   in Loop: Header=BB823_3 Depth=1
	s_or_b64 exec, exec, s[6:7]
	v_add_u32_e32 v4, s9, v0
	v_cmp_le_i32_e32 vcc, s17, v4
	s_or_b64 s[6:7], s[2:3], vcc
	s_and_saveexec_b64 s[14:15], s[6:7]
	s_xor_b64 s[6:7], exec, s[14:15]
; %bb.8:                                ;   in Loop: Header=BB823_3 Depth=1
	v_mov_b32_e32 v4, v3
	ds_write_b64 v13, v[3:4]
; %bb.9:                                ;   in Loop: Header=BB823_3 Depth=1
	s_andn2_saveexec_b64 s[6:7], s[6:7]
	s_cbranch_execz .LBB823_2
; %bb.10:                               ;   in Loop: Header=BB823_3 Depth=1
	flat_load_dwordx2 v[16:17], v[5:6]
	s_waitcnt vmcnt(0) lgkmcnt(0)
	ds_write_b64 v13, v[16:17]
	s_branch .LBB823_2
.LBB823_11:
	v_mov_b32_e32 v15, 0
	v_mov_b32_e32 v14, 0
.LBB823_12:
	v_cmp_le_i32_e32 vcc, v2, v9
	v_cmp_gt_i32_e64 s[0:1], s16, v9
	s_and_b64 s[0:1], vcc, s[0:1]
	s_and_saveexec_b64 s[2:3], s[0:1]
	s_cbranch_execz .LBB823_15
; %bb.13:
	s_load_dword s0, s[4:5], 0x50
	v_ashrrev_i32_e32 v3, 31, v2
	s_waitcnt lgkmcnt(0)
	v_mov_b32_e32 v6, s11
	v_mul_f32_e32 v4, s13, v15
	v_mul_f32_e32 v5, s12, v15
	v_mad_i64_i32 v[0:1], s[0:1], s0, v9, 0
	v_fma_f32 v4, v14, s12, -v4
	v_fmac_f32_e32 v5, s13, v14
	v_lshlrev_b64 v[0:1], 3, v[0:1]
	v_add_co_u32_e32 v7, vcc, s10, v0
	v_addc_co_u32_e32 v6, vcc, v6, v1, vcc
	v_lshlrev_b64 v[0:1], 3, v[2:3]
	v_add_co_u32_e32 v0, vcc, v7, v0
	v_addc_co_u32_e32 v1, vcc, v6, v1, vcc
	v_cmp_eq_u32_e32 vcc, v2, v9
	flat_store_dwordx2 v[0:1], v[4:5]
	s_and_b64 exec, exec, vcc
	s_cbranch_execz .LBB823_15
; %bb.14:
	v_mov_b32_e32 v2, 0
	flat_store_dword v[0:1], v2 offset:4
.LBB823_15:
	s_endpgm
	.section	.rodata,"a",@progbits
	.p2align	6, 0x0
	.amdhsa_kernel _ZL32rocblas_syrkx_herkx_small_kernelIi19rocblas_complex_numIfELi16ELb1ELb1ELc84ELc85EKPKS1_KPS1_EviT_T0_PT6_S7_lSA_S7_lS8_PT7_S7_li
		.amdhsa_group_segment_fixed_size 4096
		.amdhsa_private_segment_fixed_size 0
		.amdhsa_kernarg_size 100
		.amdhsa_user_sgpr_count 6
		.amdhsa_user_sgpr_private_segment_buffer 1
		.amdhsa_user_sgpr_dispatch_ptr 0
		.amdhsa_user_sgpr_queue_ptr 0
		.amdhsa_user_sgpr_kernarg_segment_ptr 1
		.amdhsa_user_sgpr_dispatch_id 0
		.amdhsa_user_sgpr_flat_scratch_init 0
		.amdhsa_user_sgpr_private_segment_size 0
		.amdhsa_uses_dynamic_stack 0
		.amdhsa_system_sgpr_private_segment_wavefront_offset 0
		.amdhsa_system_sgpr_workgroup_id_x 1
		.amdhsa_system_sgpr_workgroup_id_y 1
		.amdhsa_system_sgpr_workgroup_id_z 1
		.amdhsa_system_sgpr_workgroup_info 0
		.amdhsa_system_vgpr_workitem_id 1
		.amdhsa_next_free_vgpr 52
		.amdhsa_next_free_sgpr 19
		.amdhsa_reserve_vcc 1
		.amdhsa_reserve_flat_scratch 0
		.amdhsa_float_round_mode_32 0
		.amdhsa_float_round_mode_16_64 0
		.amdhsa_float_denorm_mode_32 3
		.amdhsa_float_denorm_mode_16_64 3
		.amdhsa_dx10_clamp 1
		.amdhsa_ieee_mode 1
		.amdhsa_fp16_overflow 0
		.amdhsa_exception_fp_ieee_invalid_op 0
		.amdhsa_exception_fp_denorm_src 0
		.amdhsa_exception_fp_ieee_div_zero 0
		.amdhsa_exception_fp_ieee_overflow 0
		.amdhsa_exception_fp_ieee_underflow 0
		.amdhsa_exception_fp_ieee_inexact 0
		.amdhsa_exception_int_div_zero 0
	.end_amdhsa_kernel
	.section	.text._ZL32rocblas_syrkx_herkx_small_kernelIi19rocblas_complex_numIfELi16ELb1ELb1ELc84ELc85EKPKS1_KPS1_EviT_T0_PT6_S7_lSA_S7_lS8_PT7_S7_li,"axG",@progbits,_ZL32rocblas_syrkx_herkx_small_kernelIi19rocblas_complex_numIfELi16ELb1ELb1ELc84ELc85EKPKS1_KPS1_EviT_T0_PT6_S7_lSA_S7_lS8_PT7_S7_li,comdat
.Lfunc_end823:
	.size	_ZL32rocblas_syrkx_herkx_small_kernelIi19rocblas_complex_numIfELi16ELb1ELb1ELc84ELc85EKPKS1_KPS1_EviT_T0_PT6_S7_lSA_S7_lS8_PT7_S7_li, .Lfunc_end823-_ZL32rocblas_syrkx_herkx_small_kernelIi19rocblas_complex_numIfELi16ELb1ELb1ELc84ELc85EKPKS1_KPS1_EviT_T0_PT6_S7_lSA_S7_lS8_PT7_S7_li
                                        ; -- End function
	.set _ZL32rocblas_syrkx_herkx_small_kernelIi19rocblas_complex_numIfELi16ELb1ELb1ELc84ELc85EKPKS1_KPS1_EviT_T0_PT6_S7_lSA_S7_lS8_PT7_S7_li.num_vgpr, 52
	.set _ZL32rocblas_syrkx_herkx_small_kernelIi19rocblas_complex_numIfELi16ELb1ELb1ELc84ELc85EKPKS1_KPS1_EviT_T0_PT6_S7_lSA_S7_lS8_PT7_S7_li.num_agpr, 0
	.set _ZL32rocblas_syrkx_herkx_small_kernelIi19rocblas_complex_numIfELi16ELb1ELb1ELc84ELc85EKPKS1_KPS1_EviT_T0_PT6_S7_lSA_S7_lS8_PT7_S7_li.numbered_sgpr, 19
	.set _ZL32rocblas_syrkx_herkx_small_kernelIi19rocblas_complex_numIfELi16ELb1ELb1ELc84ELc85EKPKS1_KPS1_EviT_T0_PT6_S7_lSA_S7_lS8_PT7_S7_li.num_named_barrier, 0
	.set _ZL32rocblas_syrkx_herkx_small_kernelIi19rocblas_complex_numIfELi16ELb1ELb1ELc84ELc85EKPKS1_KPS1_EviT_T0_PT6_S7_lSA_S7_lS8_PT7_S7_li.private_seg_size, 0
	.set _ZL32rocblas_syrkx_herkx_small_kernelIi19rocblas_complex_numIfELi16ELb1ELb1ELc84ELc85EKPKS1_KPS1_EviT_T0_PT6_S7_lSA_S7_lS8_PT7_S7_li.uses_vcc, 1
	.set _ZL32rocblas_syrkx_herkx_small_kernelIi19rocblas_complex_numIfELi16ELb1ELb1ELc84ELc85EKPKS1_KPS1_EviT_T0_PT6_S7_lSA_S7_lS8_PT7_S7_li.uses_flat_scratch, 0
	.set _ZL32rocblas_syrkx_herkx_small_kernelIi19rocblas_complex_numIfELi16ELb1ELb1ELc84ELc85EKPKS1_KPS1_EviT_T0_PT6_S7_lSA_S7_lS8_PT7_S7_li.has_dyn_sized_stack, 0
	.set _ZL32rocblas_syrkx_herkx_small_kernelIi19rocblas_complex_numIfELi16ELb1ELb1ELc84ELc85EKPKS1_KPS1_EviT_T0_PT6_S7_lSA_S7_lS8_PT7_S7_li.has_recursion, 0
	.set _ZL32rocblas_syrkx_herkx_small_kernelIi19rocblas_complex_numIfELi16ELb1ELb1ELc84ELc85EKPKS1_KPS1_EviT_T0_PT6_S7_lSA_S7_lS8_PT7_S7_li.has_indirect_call, 0
	.section	.AMDGPU.csdata,"",@progbits
; Kernel info:
; codeLenInByte = 1244
; TotalNumSgprs: 23
; NumVgprs: 52
; ScratchSize: 0
; MemoryBound: 1
; FloatMode: 240
; IeeeMode: 1
; LDSByteSize: 4096 bytes/workgroup (compile time only)
; SGPRBlocks: 2
; VGPRBlocks: 12
; NumSGPRsForWavesPerEU: 23
; NumVGPRsForWavesPerEU: 52
; Occupancy: 4
; WaveLimiterHint : 1
; COMPUTE_PGM_RSRC2:SCRATCH_EN: 0
; COMPUTE_PGM_RSRC2:USER_SGPR: 6
; COMPUTE_PGM_RSRC2:TRAP_HANDLER: 0
; COMPUTE_PGM_RSRC2:TGID_X_EN: 1
; COMPUTE_PGM_RSRC2:TGID_Y_EN: 1
; COMPUTE_PGM_RSRC2:TGID_Z_EN: 1
; COMPUTE_PGM_RSRC2:TIDIG_COMP_CNT: 1
	.section	.text._ZL32rocblas_syrkx_herkx_small_kernelIi19rocblas_complex_numIfELi16ELb1ELb1ELc67ELc85EKPKS1_KPS1_EviT_T0_PT6_S7_lSA_S7_lS8_PT7_S7_li,"axG",@progbits,_ZL32rocblas_syrkx_herkx_small_kernelIi19rocblas_complex_numIfELi16ELb1ELb1ELc67ELc85EKPKS1_KPS1_EviT_T0_PT6_S7_lSA_S7_lS8_PT7_S7_li,comdat
	.globl	_ZL32rocblas_syrkx_herkx_small_kernelIi19rocblas_complex_numIfELi16ELb1ELb1ELc67ELc85EKPKS1_KPS1_EviT_T0_PT6_S7_lSA_S7_lS8_PT7_S7_li ; -- Begin function _ZL32rocblas_syrkx_herkx_small_kernelIi19rocblas_complex_numIfELi16ELb1ELb1ELc67ELc85EKPKS1_KPS1_EviT_T0_PT6_S7_lSA_S7_lS8_PT7_S7_li
	.p2align	8
	.type	_ZL32rocblas_syrkx_herkx_small_kernelIi19rocblas_complex_numIfELi16ELb1ELb1ELc67ELc85EKPKS1_KPS1_EviT_T0_PT6_S7_lSA_S7_lS8_PT7_S7_li,@function
_ZL32rocblas_syrkx_herkx_small_kernelIi19rocblas_complex_numIfELi16ELb1ELb1ELc67ELc85EKPKS1_KPS1_EviT_T0_PT6_S7_lSA_S7_lS8_PT7_S7_li: ; @_ZL32rocblas_syrkx_herkx_small_kernelIi19rocblas_complex_numIfELi16ELb1ELb1ELc67ELc85EKPKS1_KPS1_EviT_T0_PT6_S7_lSA_S7_lS8_PT7_S7_li
; %bb.0:
	s_load_dwordx2 s[0:1], s[4:5], 0x48
	s_load_dwordx2 s[16:17], s[4:5], 0x0
	s_load_dwordx4 s[12:15], s[4:5], 0x8
	s_mov_b32 s9, 0
	s_lshl_b64 s[2:3], s[8:9], 3
	s_waitcnt lgkmcnt(0)
	s_add_u32 s0, s0, s2
	s_addc_u32 s1, s1, s3
	s_load_dwordx2 s[10:11], s[0:1], 0x0
	v_lshl_add_u32 v9, s7, 4, v1
	v_lshl_add_u32 v2, s6, 4, v0
	s_cmp_lt_i32 s17, 1
	v_cmp_gt_i32_e32 vcc, s16, v9
	s_cbranch_scc1 .LBB824_11
; %bb.1:
	s_load_dwordx2 s[6:7], s[4:5], 0x28
	s_load_dword s8, s[4:5], 0x18
	s_load_dword s18, s[4:5], 0x30
	v_lshlrev_b32_e32 v5, 7, v1
	v_lshlrev_b32_e32 v10, 3, v0
	s_waitcnt lgkmcnt(0)
	s_add_u32 s6, s6, s2
	s_addc_u32 s7, s7, s3
	s_add_u32 s2, s14, s2
	s_addc_u32 s3, s15, s3
	s_load_dwordx2 s[14:15], s[2:3], 0x0
	v_mad_i64_i32 v[3:4], s[2:3], s18, v9, 0
	v_add_u32_e32 v11, v10, v5
	v_add_u32_e32 v12, 0x800, v5
	v_lshlrev_b64 v[4:5], 3, v[3:4]
	s_load_dwordx2 s[6:7], s[6:7], 0x0
	v_add_co_u32_e64 v4, s[2:3], v4, v10
	v_addc_co_u32_e64 v6, s[2:3], 0, v5, s[2:3]
	v_mad_i64_i32 v[7:8], s[2:3], s8, v2, 0
	s_waitcnt lgkmcnt(0)
	v_mov_b32_e32 v14, s7
	v_add_co_u32_e64 v5, s[2:3], s6, v4
	v_lshlrev_b64 v[7:8], 3, v[7:8]
	v_addc_co_u32_e64 v6, s[2:3], v14, v6, s[2:3]
	v_lshlrev_b32_e32 v4, 3, v1
	v_add_co_u32_e64 v4, s[2:3], v7, v4
	v_addc_co_u32_e64 v8, s[2:3], 0, v8, s[2:3]
	v_mov_b32_e32 v14, s15
	v_add_co_u32_e64 v7, s[2:3], s14, v4
	v_cmp_gt_i32_e64 s[0:1], s16, v2
	v_addc_co_u32_e64 v8, s[2:3], v14, v8, s[2:3]
	v_add_u32_e32 v13, v12, v10
	v_mov_b32_e32 v3, 0
	s_xor_b64 s[0:1], s[0:1], -1
	s_xor_b64 s[2:3], vcc, -1
	v_mov_b32_e32 v15, 0
	v_mov_b32_e32 v14, 0
	s_branch .LBB824_3
.LBB824_2:                              ;   in Loop: Header=BB824_3 Depth=1
	s_or_b64 exec, exec, s[6:7]
	s_waitcnt lgkmcnt(0)
	s_barrier
	ds_read2_b64 v[16:19], v10 offset1:16
	ds_read_b128 v[20:23], v12
	ds_read_b128 v[24:27], v12 offset:16
	ds_read2_b64 v[28:31], v10 offset0:32 offset1:48
	v_add_co_u32_e32 v5, vcc, 0x80, v5
	s_waitcnt lgkmcnt(2)
	v_mul_f32_e32 v4, v21, v17
	v_mul_f32_e32 v32, v20, v17
	v_fma_f32 v4, v20, v16, -v4
	v_fmac_f32_e32 v32, v21, v16
	v_mul_f32_e32 v16, v23, v19
	v_fma_f32 v33, v22, v18, -v16
	v_mul_f32_e32 v34, v22, v19
	s_waitcnt lgkmcnt(0)
	v_mul_f32_e32 v16, v25, v29
	v_fmac_f32_e32 v34, v23, v18
	v_fma_f32 v35, v24, v28, -v16
	ds_read2_b64 v[16:19], v10 offset0:64 offset1:80
	ds_read_b128 v[20:23], v12 offset:32
	v_mul_f32_e32 v36, v24, v29
	v_fmac_f32_e32 v36, v25, v28
	v_mul_f32_e32 v24, v27, v31
	v_mul_f32_e32 v38, v26, v31
	s_waitcnt lgkmcnt(0)
	v_mul_f32_e32 v28, v21, v17
	v_fma_f32 v37, v26, v30, -v24
	v_fmac_f32_e32 v38, v27, v30
	ds_read_b128 v[24:27], v12 offset:48
	v_fma_f32 v39, v20, v16, -v28
	ds_read2_b64 v[28:31], v10 offset0:96 offset1:112
	v_mul_f32_e32 v40, v20, v17
	v_fmac_f32_e32 v40, v21, v16
	v_mul_f32_e32 v16, v23, v19
	v_fma_f32 v41, v22, v18, -v16
	v_mul_f32_e32 v42, v22, v19
	s_waitcnt lgkmcnt(0)
	v_mul_f32_e32 v16, v25, v29
	v_fmac_f32_e32 v42, v23, v18
	v_fma_f32 v43, v24, v28, -v16
	ds_read2_b64 v[16:19], v10 offset0:128 offset1:144
	ds_read_b128 v[20:23], v12 offset:64
	v_mul_f32_e32 v44, v24, v29
	v_fmac_f32_e32 v44, v25, v28
	v_mul_f32_e32 v24, v27, v31
	v_mul_f32_e32 v46, v26, v31
	s_waitcnt lgkmcnt(0)
	v_mul_f32_e32 v28, v21, v17
	v_fma_f32 v45, v26, v30, -v24
	v_fmac_f32_e32 v46, v27, v30
	ds_read_b128 v[24:27], v12 offset:80
	v_fma_f32 v47, v20, v16, -v28
	ds_read2_b64 v[28:31], v10 offset0:160 offset1:176
	v_mul_f32_e32 v48, v20, v17
	v_add_f32_e32 v4, v14, v4
	v_add_f32_e32 v14, v15, v32
	v_fmac_f32_e32 v48, v21, v16
	v_mul_f32_e32 v16, v23, v19
	v_add_f32_e32 v14, v14, v34
	v_fma_f32 v49, v22, v18, -v16
	v_mul_f32_e32 v50, v22, v19
	s_waitcnt lgkmcnt(0)
	v_mul_f32_e32 v16, v25, v29
	v_add_f32_e32 v14, v14, v36
	v_fmac_f32_e32 v50, v23, v18
	v_fma_f32 v51, v24, v28, -v16
	ds_read2_b64 v[16:19], v10 offset0:192 offset1:208
	ds_read_b128 v[20:23], v12 offset:96
	v_add_f32_e32 v14, v14, v38
	v_add_f32_e32 v14, v14, v40
	v_add_f32_e32 v4, v4, v33
	v_add_f32_e32 v14, v14, v42
	v_add_f32_e32 v4, v4, v35
	v_add_f32_e32 v14, v14, v44
	v_mul_f32_e32 v29, v24, v29
	v_mul_f32_e32 v24, v27, v31
	;; [unrolled: 1-line block ×3, first 2 shown]
	v_add_f32_e32 v4, v4, v37
	v_add_f32_e32 v14, v14, v46
	v_fmac_f32_e32 v29, v25, v28
	v_fma_f32 v28, v26, v30, -v24
	v_fmac_f32_e32 v31, v27, v30
	s_waitcnt lgkmcnt(0)
	v_mul_f32_e32 v30, v21, v17
	v_add_f32_e32 v4, v4, v39
	v_add_f32_e32 v14, v14, v48
	v_fma_f32 v30, v20, v16, -v30
	v_mul_f32_e32 v20, v20, v17
	v_add_f32_e32 v4, v4, v41
	v_add_f32_e32 v14, v14, v50
	v_fmac_f32_e32 v20, v21, v16
	v_mul_f32_e32 v16, v23, v19
	v_mul_f32_e32 v19, v22, v19
	v_add_f32_e32 v4, v4, v43
	v_add_f32_e32 v14, v14, v29
	ds_read_b128 v[24:27], v12 offset:112
	v_fma_f32 v21, v22, v18, -v16
	v_fmac_f32_e32 v19, v23, v18
	v_add_f32_e32 v4, v4, v45
	v_add_f32_e32 v18, v14, v31
	ds_read2_b64 v[14:17], v10 offset0:224 offset1:240
	v_add_f32_e32 v4, v4, v47
	v_add_f32_e32 v4, v4, v49
	;; [unrolled: 1-line block ×7, first 2 shown]
	s_waitcnt lgkmcnt(0)
	v_mul_f32_e32 v19, v25, v15
	v_mul_f32_e32 v15, v24, v15
	v_add_f32_e32 v4, v4, v21
	v_fma_f32 v19, v24, v14, -v19
	v_fmac_f32_e32 v15, v25, v14
	v_mul_f32_e32 v14, v27, v17
	v_mul_f32_e32 v17, v26, v17
	v_addc_co_u32_e32 v6, vcc, 0, v6, vcc
	v_add_f32_e32 v4, v4, v19
	v_add_f32_e32 v15, v18, v15
	v_fma_f32 v14, v26, v16, -v14
	v_fmac_f32_e32 v17, v27, v16
	s_add_i32 s9, s9, 16
	v_add_co_u32_e32 v7, vcc, 0x80, v7
	v_add_f32_e32 v14, v4, v14
	v_add_f32_e32 v15, v15, v17
	s_cmp_ge_i32 s9, s17
	v_addc_co_u32_e32 v8, vcc, 0, v8, vcc
	s_barrier
	s_cbranch_scc1 .LBB824_12
.LBB824_3:                              ; =>This Inner Loop Header: Depth=1
	v_add_u32_e32 v4, s9, v1
	v_cmp_le_i32_e32 vcc, s17, v4
	s_or_b64 s[6:7], s[0:1], vcc
	s_and_saveexec_b64 s[14:15], s[6:7]
	s_xor_b64 s[6:7], exec, s[14:15]
; %bb.4:                                ;   in Loop: Header=BB824_3 Depth=1
	ds_write_b32 v11, v3
; %bb.5:                                ;   in Loop: Header=BB824_3 Depth=1
	s_or_saveexec_b64 s[6:7], s[6:7]
	v_mov_b32_e32 v4, 0
	s_xor_b64 exec, exec, s[6:7]
	s_cbranch_execz .LBB824_7
; %bb.6:                                ;   in Loop: Header=BB824_3 Depth=1
	flat_load_dwordx2 v[16:17], v[7:8]
	s_waitcnt vmcnt(0) lgkmcnt(0)
	v_xor_b32_e32 v4, 0x80000000, v17
	ds_write_b32 v11, v16
.LBB824_7:                              ;   in Loop: Header=BB824_3 Depth=1
	s_or_b64 exec, exec, s[6:7]
	ds_write_b32 v11, v4 offset:4
	v_add_u32_e32 v4, s9, v0
	v_cmp_le_i32_e32 vcc, s17, v4
	s_or_b64 s[6:7], s[2:3], vcc
	s_and_saveexec_b64 s[14:15], s[6:7]
	s_xor_b64 s[6:7], exec, s[14:15]
; %bb.8:                                ;   in Loop: Header=BB824_3 Depth=1
	v_mov_b32_e32 v4, v3
	ds_write_b64 v13, v[3:4]
; %bb.9:                                ;   in Loop: Header=BB824_3 Depth=1
	s_andn2_saveexec_b64 s[6:7], s[6:7]
	s_cbranch_execz .LBB824_2
; %bb.10:                               ;   in Loop: Header=BB824_3 Depth=1
	flat_load_dwordx2 v[16:17], v[5:6]
	s_waitcnt vmcnt(0) lgkmcnt(0)
	ds_write_b64 v13, v[16:17]
	s_branch .LBB824_2
.LBB824_11:
	v_mov_b32_e32 v15, 0
	v_mov_b32_e32 v14, 0
.LBB824_12:
	v_cmp_le_i32_e32 vcc, v2, v9
	v_cmp_gt_i32_e64 s[0:1], s16, v9
	s_and_b64 s[0:1], vcc, s[0:1]
	s_and_saveexec_b64 s[2:3], s[0:1]
	s_cbranch_execz .LBB824_15
; %bb.13:
	s_load_dword s0, s[4:5], 0x50
	v_ashrrev_i32_e32 v3, 31, v2
	s_waitcnt lgkmcnt(0)
	v_mov_b32_e32 v6, s11
	v_mul_f32_e32 v4, s13, v15
	v_mul_f32_e32 v5, s12, v15
	v_mad_i64_i32 v[0:1], s[0:1], s0, v9, 0
	v_fma_f32 v4, v14, s12, -v4
	v_fmac_f32_e32 v5, s13, v14
	v_lshlrev_b64 v[0:1], 3, v[0:1]
	v_add_co_u32_e32 v7, vcc, s10, v0
	v_addc_co_u32_e32 v6, vcc, v6, v1, vcc
	v_lshlrev_b64 v[0:1], 3, v[2:3]
	v_add_co_u32_e32 v0, vcc, v7, v0
	v_addc_co_u32_e32 v1, vcc, v6, v1, vcc
	v_cmp_eq_u32_e32 vcc, v2, v9
	flat_store_dwordx2 v[0:1], v[4:5]
	s_and_b64 exec, exec, vcc
	s_cbranch_execz .LBB824_15
; %bb.14:
	v_mov_b32_e32 v2, 0
	flat_store_dword v[0:1], v2 offset:4
.LBB824_15:
	s_endpgm
	.section	.rodata,"a",@progbits
	.p2align	6, 0x0
	.amdhsa_kernel _ZL32rocblas_syrkx_herkx_small_kernelIi19rocblas_complex_numIfELi16ELb1ELb1ELc67ELc85EKPKS1_KPS1_EviT_T0_PT6_S7_lSA_S7_lS8_PT7_S7_li
		.amdhsa_group_segment_fixed_size 4096
		.amdhsa_private_segment_fixed_size 0
		.amdhsa_kernarg_size 100
		.amdhsa_user_sgpr_count 6
		.amdhsa_user_sgpr_private_segment_buffer 1
		.amdhsa_user_sgpr_dispatch_ptr 0
		.amdhsa_user_sgpr_queue_ptr 0
		.amdhsa_user_sgpr_kernarg_segment_ptr 1
		.amdhsa_user_sgpr_dispatch_id 0
		.amdhsa_user_sgpr_flat_scratch_init 0
		.amdhsa_user_sgpr_private_segment_size 0
		.amdhsa_uses_dynamic_stack 0
		.amdhsa_system_sgpr_private_segment_wavefront_offset 0
		.amdhsa_system_sgpr_workgroup_id_x 1
		.amdhsa_system_sgpr_workgroup_id_y 1
		.amdhsa_system_sgpr_workgroup_id_z 1
		.amdhsa_system_sgpr_workgroup_info 0
		.amdhsa_system_vgpr_workitem_id 1
		.amdhsa_next_free_vgpr 52
		.amdhsa_next_free_sgpr 19
		.amdhsa_reserve_vcc 1
		.amdhsa_reserve_flat_scratch 0
		.amdhsa_float_round_mode_32 0
		.amdhsa_float_round_mode_16_64 0
		.amdhsa_float_denorm_mode_32 3
		.amdhsa_float_denorm_mode_16_64 3
		.amdhsa_dx10_clamp 1
		.amdhsa_ieee_mode 1
		.amdhsa_fp16_overflow 0
		.amdhsa_exception_fp_ieee_invalid_op 0
		.amdhsa_exception_fp_denorm_src 0
		.amdhsa_exception_fp_ieee_div_zero 0
		.amdhsa_exception_fp_ieee_overflow 0
		.amdhsa_exception_fp_ieee_underflow 0
		.amdhsa_exception_fp_ieee_inexact 0
		.amdhsa_exception_int_div_zero 0
	.end_amdhsa_kernel
	.section	.text._ZL32rocblas_syrkx_herkx_small_kernelIi19rocblas_complex_numIfELi16ELb1ELb1ELc67ELc85EKPKS1_KPS1_EviT_T0_PT6_S7_lSA_S7_lS8_PT7_S7_li,"axG",@progbits,_ZL32rocblas_syrkx_herkx_small_kernelIi19rocblas_complex_numIfELi16ELb1ELb1ELc67ELc85EKPKS1_KPS1_EviT_T0_PT6_S7_lSA_S7_lS8_PT7_S7_li,comdat
.Lfunc_end824:
	.size	_ZL32rocblas_syrkx_herkx_small_kernelIi19rocblas_complex_numIfELi16ELb1ELb1ELc67ELc85EKPKS1_KPS1_EviT_T0_PT6_S7_lSA_S7_lS8_PT7_S7_li, .Lfunc_end824-_ZL32rocblas_syrkx_herkx_small_kernelIi19rocblas_complex_numIfELi16ELb1ELb1ELc67ELc85EKPKS1_KPS1_EviT_T0_PT6_S7_lSA_S7_lS8_PT7_S7_li
                                        ; -- End function
	.set _ZL32rocblas_syrkx_herkx_small_kernelIi19rocblas_complex_numIfELi16ELb1ELb1ELc67ELc85EKPKS1_KPS1_EviT_T0_PT6_S7_lSA_S7_lS8_PT7_S7_li.num_vgpr, 52
	.set _ZL32rocblas_syrkx_herkx_small_kernelIi19rocblas_complex_numIfELi16ELb1ELb1ELc67ELc85EKPKS1_KPS1_EviT_T0_PT6_S7_lSA_S7_lS8_PT7_S7_li.num_agpr, 0
	.set _ZL32rocblas_syrkx_herkx_small_kernelIi19rocblas_complex_numIfELi16ELb1ELb1ELc67ELc85EKPKS1_KPS1_EviT_T0_PT6_S7_lSA_S7_lS8_PT7_S7_li.numbered_sgpr, 19
	.set _ZL32rocblas_syrkx_herkx_small_kernelIi19rocblas_complex_numIfELi16ELb1ELb1ELc67ELc85EKPKS1_KPS1_EviT_T0_PT6_S7_lSA_S7_lS8_PT7_S7_li.num_named_barrier, 0
	.set _ZL32rocblas_syrkx_herkx_small_kernelIi19rocblas_complex_numIfELi16ELb1ELb1ELc67ELc85EKPKS1_KPS1_EviT_T0_PT6_S7_lSA_S7_lS8_PT7_S7_li.private_seg_size, 0
	.set _ZL32rocblas_syrkx_herkx_small_kernelIi19rocblas_complex_numIfELi16ELb1ELb1ELc67ELc85EKPKS1_KPS1_EviT_T0_PT6_S7_lSA_S7_lS8_PT7_S7_li.uses_vcc, 1
	.set _ZL32rocblas_syrkx_herkx_small_kernelIi19rocblas_complex_numIfELi16ELb1ELb1ELc67ELc85EKPKS1_KPS1_EviT_T0_PT6_S7_lSA_S7_lS8_PT7_S7_li.uses_flat_scratch, 0
	.set _ZL32rocblas_syrkx_herkx_small_kernelIi19rocblas_complex_numIfELi16ELb1ELb1ELc67ELc85EKPKS1_KPS1_EviT_T0_PT6_S7_lSA_S7_lS8_PT7_S7_li.has_dyn_sized_stack, 0
	.set _ZL32rocblas_syrkx_herkx_small_kernelIi19rocblas_complex_numIfELi16ELb1ELb1ELc67ELc85EKPKS1_KPS1_EviT_T0_PT6_S7_lSA_S7_lS8_PT7_S7_li.has_recursion, 0
	.set _ZL32rocblas_syrkx_herkx_small_kernelIi19rocblas_complex_numIfELi16ELb1ELb1ELc67ELc85EKPKS1_KPS1_EviT_T0_PT6_S7_lSA_S7_lS8_PT7_S7_li.has_indirect_call, 0
	.section	.AMDGPU.csdata,"",@progbits
; Kernel info:
; codeLenInByte = 1264
; TotalNumSgprs: 23
; NumVgprs: 52
; ScratchSize: 0
; MemoryBound: 1
; FloatMode: 240
; IeeeMode: 1
; LDSByteSize: 4096 bytes/workgroup (compile time only)
; SGPRBlocks: 2
; VGPRBlocks: 12
; NumSGPRsForWavesPerEU: 23
; NumVGPRsForWavesPerEU: 52
; Occupancy: 4
; WaveLimiterHint : 1
; COMPUTE_PGM_RSRC2:SCRATCH_EN: 0
; COMPUTE_PGM_RSRC2:USER_SGPR: 6
; COMPUTE_PGM_RSRC2:TRAP_HANDLER: 0
; COMPUTE_PGM_RSRC2:TGID_X_EN: 1
; COMPUTE_PGM_RSRC2:TGID_Y_EN: 1
; COMPUTE_PGM_RSRC2:TGID_Z_EN: 1
; COMPUTE_PGM_RSRC2:TIDIG_COMP_CNT: 1
	.section	.text._ZL32rocblas_syrkx_herkx_small_kernelIi19rocblas_complex_numIfELi16ELb1ELb1ELc78ELc85EKPKS1_KPS1_EviT_T0_PT6_S7_lSA_S7_lS8_PT7_S7_li,"axG",@progbits,_ZL32rocblas_syrkx_herkx_small_kernelIi19rocblas_complex_numIfELi16ELb1ELb1ELc78ELc85EKPKS1_KPS1_EviT_T0_PT6_S7_lSA_S7_lS8_PT7_S7_li,comdat
	.globl	_ZL32rocblas_syrkx_herkx_small_kernelIi19rocblas_complex_numIfELi16ELb1ELb1ELc78ELc85EKPKS1_KPS1_EviT_T0_PT6_S7_lSA_S7_lS8_PT7_S7_li ; -- Begin function _ZL32rocblas_syrkx_herkx_small_kernelIi19rocblas_complex_numIfELi16ELb1ELb1ELc78ELc85EKPKS1_KPS1_EviT_T0_PT6_S7_lSA_S7_lS8_PT7_S7_li
	.p2align	8
	.type	_ZL32rocblas_syrkx_herkx_small_kernelIi19rocblas_complex_numIfELi16ELb1ELb1ELc78ELc85EKPKS1_KPS1_EviT_T0_PT6_S7_lSA_S7_lS8_PT7_S7_li,@function
_ZL32rocblas_syrkx_herkx_small_kernelIi19rocblas_complex_numIfELi16ELb1ELb1ELc78ELc85EKPKS1_KPS1_EviT_T0_PT6_S7_lSA_S7_lS8_PT7_S7_li: ; @_ZL32rocblas_syrkx_herkx_small_kernelIi19rocblas_complex_numIfELi16ELb1ELb1ELc78ELc85EKPKS1_KPS1_EviT_T0_PT6_S7_lSA_S7_lS8_PT7_S7_li
; %bb.0:
	s_load_dwordx2 s[2:3], s[4:5], 0x48
	s_load_dwordx2 s[16:17], s[4:5], 0x0
	s_load_dwordx4 s[12:15], s[4:5], 0x8
	s_mov_b32 s9, 0
	s_lshl_b64 s[0:1], s[8:9], 3
	s_waitcnt lgkmcnt(0)
	s_add_u32 s2, s2, s0
	s_addc_u32 s3, s3, s1
	s_load_dwordx2 s[10:11], s[2:3], 0x0
	v_lshl_add_u32 v2, s6, 4, v0
	v_lshl_add_u32 v4, s7, 4, v1
	s_cmp_lt_i32 s17, 1
	v_ashrrev_i32_e32 v3, 31, v2
	v_cmp_gt_i32_e32 vcc, s16, v4
	s_cbranch_scc1 .LBB825_11
; %bb.1:
	s_load_dword s18, s[4:5], 0x18
	s_load_dword s6, s[4:5], 0x30
	s_load_dwordx2 s[2:3], s[4:5], 0x28
	v_lshlrev_b32_e32 v5, 7, v1
	v_lshlrev_b32_e32 v11, 3, v0
	s_waitcnt lgkmcnt(0)
	s_ashr_i32 s19, s18, 31
	s_ashr_i32 s7, s6, 31
	s_add_u32 s2, s2, s0
	s_addc_u32 s3, s3, s1
	s_load_dwordx2 s[20:21], s[2:3], 0x0
	v_mad_i64_i32 v[6:7], s[2:3], s6, v0, 0
	v_add_u32_e32 v12, v11, v5
	v_add_u32_e32 v13, 0x800, v5
	v_ashrrev_i32_e32 v5, 31, v4
	v_lshlrev_b64 v[6:7], 3, v[6:7]
	v_lshlrev_b64 v[8:9], 3, v[4:5]
	s_add_u32 s0, s14, s0
	v_add_co_u32_e64 v5, s[2:3], v6, v8
	v_addc_co_u32_e64 v6, s[2:3], v7, v9, s[2:3]
	v_mad_i64_i32 v[7:8], s[2:3], s18, v1, 0
	s_addc_u32 s1, s15, s1
	s_load_dwordx2 s[14:15], s[0:1], 0x0
	s_waitcnt lgkmcnt(0)
	v_mov_b32_e32 v9, s21
	v_add_co_u32_e64 v5, s[2:3], s20, v5
	v_addc_co_u32_e64 v6, s[2:3], v9, v6, s[2:3]
	v_lshlrev_b64 v[7:8], 3, v[7:8]
	v_lshlrev_b64 v[9:10], 3, v[2:3]
	v_cmp_gt_i32_e64 s[0:1], s16, v2
	v_add_co_u32_e64 v7, s[2:3], v7, v9
	v_addc_co_u32_e64 v8, s[2:3], v8, v10, s[2:3]
	v_mov_b32_e32 v9, s15
	v_add_co_u32_e64 v7, s[2:3], s14, v7
	v_addc_co_u32_e64 v8, s[2:3], v9, v8, s[2:3]
	s_lshl_b64 s[6:7], s[6:7], 7
	s_lshl_b64 s[2:3], s[18:19], 7
	v_add_u32_e32 v14, v13, v11
	v_mov_b32_e32 v9, 0
	s_xor_b64 s[0:1], s[0:1], -1
	s_xor_b64 s[14:15], vcc, -1
	v_mov_b32_e32 v15, s7
	v_mov_b32_e32 v17, s3
	;; [unrolled: 1-line block ×4, first 2 shown]
	s_branch .LBB825_3
.LBB825_2:                              ;   in Loop: Header=BB825_3 Depth=1
	s_or_b64 exec, exec, s[18:19]
	ds_write_b32 v14, v10 offset:4
	s_waitcnt lgkmcnt(0)
	s_barrier
	ds_read2_b64 v[19:22], v11 offset1:16
	ds_read_b128 v[23:26], v13
	ds_read_b128 v[27:30], v13 offset:16
	ds_read2_b64 v[31:34], v11 offset0:32 offset1:48
	v_add_co_u32_e32 v5, vcc, s6, v5
	s_waitcnt lgkmcnt(2)
	v_mul_f32_e32 v10, v24, v20
	v_mul_f32_e32 v35, v23, v20
	v_fma_f32 v10, v23, v19, -v10
	v_fmac_f32_e32 v35, v24, v19
	v_mul_f32_e32 v19, v26, v22
	v_fma_f32 v36, v25, v21, -v19
	v_mul_f32_e32 v37, v25, v22
	s_waitcnt lgkmcnt(0)
	v_mul_f32_e32 v19, v28, v32
	v_fmac_f32_e32 v37, v26, v21
	v_fma_f32 v38, v27, v31, -v19
	ds_read2_b64 v[19:22], v11 offset0:64 offset1:80
	ds_read_b128 v[23:26], v13 offset:32
	v_mul_f32_e32 v39, v27, v32
	v_fmac_f32_e32 v39, v28, v31
	v_mul_f32_e32 v27, v30, v34
	v_mul_f32_e32 v41, v29, v34
	s_waitcnt lgkmcnt(0)
	v_mul_f32_e32 v31, v24, v20
	v_fma_f32 v40, v29, v33, -v27
	v_fmac_f32_e32 v41, v30, v33
	ds_read_b128 v[27:30], v13 offset:48
	v_fma_f32 v42, v23, v19, -v31
	ds_read2_b64 v[31:34], v11 offset0:96 offset1:112
	v_mul_f32_e32 v43, v23, v20
	v_fmac_f32_e32 v43, v24, v19
	v_mul_f32_e32 v19, v26, v22
	v_fma_f32 v44, v25, v21, -v19
	v_mul_f32_e32 v45, v25, v22
	s_waitcnt lgkmcnt(0)
	v_mul_f32_e32 v19, v28, v32
	v_fmac_f32_e32 v45, v26, v21
	v_fma_f32 v46, v27, v31, -v19
	ds_read2_b64 v[19:22], v11 offset0:128 offset1:144
	ds_read_b128 v[23:26], v13 offset:64
	v_mul_f32_e32 v47, v27, v32
	v_fmac_f32_e32 v47, v28, v31
	v_mul_f32_e32 v27, v30, v34
	v_mul_f32_e32 v49, v29, v34
	s_waitcnt lgkmcnt(0)
	v_mul_f32_e32 v31, v24, v20
	v_fma_f32 v48, v29, v33, -v27
	v_fmac_f32_e32 v49, v30, v33
	ds_read_b128 v[27:30], v13 offset:80
	v_fma_f32 v50, v23, v19, -v31
	ds_read2_b64 v[31:34], v11 offset0:160 offset1:176
	v_mul_f32_e32 v51, v23, v20
	v_fmac_f32_e32 v51, v24, v19
	v_mul_f32_e32 v19, v26, v22
	v_fma_f32 v52, v25, v21, -v19
	v_mul_f32_e32 v53, v25, v22
	s_waitcnt lgkmcnt(0)
	v_mul_f32_e32 v19, v28, v32
	v_add_f32_e32 v10, v16, v10
	v_add_f32_e32 v16, v18, v35
	v_fmac_f32_e32 v53, v26, v21
	v_fma_f32 v54, v27, v31, -v19
	ds_read2_b64 v[19:22], v11 offset0:192 offset1:208
	ds_read_b128 v[23:26], v13 offset:96
	v_add_f32_e32 v10, v10, v36
	v_add_f32_e32 v16, v16, v37
	;; [unrolled: 1-line block ×8, first 2 shown]
	v_mul_f32_e32 v55, v27, v32
	v_add_f32_e32 v10, v10, v44
	v_add_f32_e32 v16, v16, v45
	v_fmac_f32_e32 v55, v28, v31
	v_mul_f32_e32 v27, v30, v34
	v_mul_f32_e32 v57, v29, v34
	s_waitcnt lgkmcnt(0)
	v_mul_f32_e32 v31, v24, v20
	v_add_f32_e32 v10, v10, v46
	v_add_f32_e32 v16, v16, v47
	v_fma_f32 v56, v29, v33, -v27
	v_fmac_f32_e32 v57, v30, v33
	ds_read_b128 v[27:30], v13 offset:112
	v_fma_f32 v58, v23, v19, -v31
	ds_read2_b64 v[31:34], v11 offset0:224 offset1:240
	v_add_f32_e32 v10, v10, v48
	v_add_f32_e32 v16, v16, v49
	;; [unrolled: 1-line block ×6, first 2 shown]
	v_mul_f32_e32 v20, v23, v20
	v_add_f32_e32 v10, v10, v54
	v_add_f32_e32 v16, v16, v55
	v_fmac_f32_e32 v20, v24, v19
	v_mul_f32_e32 v19, v26, v22
	v_mul_f32_e32 v22, v25, v22
	v_add_f32_e32 v10, v10, v56
	v_add_f32_e32 v16, v16, v57
	v_fma_f32 v19, v25, v21, -v19
	v_fmac_f32_e32 v22, v26, v21
	s_waitcnt lgkmcnt(0)
	v_mul_f32_e32 v21, v28, v32
	v_mul_f32_e32 v23, v27, v32
	v_add_f32_e32 v10, v10, v58
	v_add_f32_e32 v16, v16, v20
	v_fma_f32 v21, v27, v31, -v21
	v_fmac_f32_e32 v23, v28, v31
	v_mul_f32_e32 v24, v30, v34
	v_mul_f32_e32 v25, v29, v34
	v_add_f32_e32 v10, v10, v19
	v_add_f32_e32 v16, v16, v22
	v_addc_co_u32_e32 v6, vcc, v6, v15, vcc
	v_fma_f32 v24, v29, v33, -v24
	v_fmac_f32_e32 v25, v30, v33
	v_add_f32_e32 v10, v10, v21
	v_add_f32_e32 v18, v16, v23
	s_add_i32 s9, s9, 16
	v_add_co_u32_e32 v7, vcc, s2, v7
	v_add_f32_e32 v16, v10, v24
	v_add_f32_e32 v18, v18, v25
	s_cmp_ge_i32 s9, s17
	v_addc_co_u32_e32 v8, vcc, v8, v17, vcc
	s_barrier
	s_cbranch_scc1 .LBB825_12
.LBB825_3:                              ; =>This Inner Loop Header: Depth=1
	v_add_u32_e32 v10, s9, v1
	v_cmp_le_i32_e32 vcc, s17, v10
	s_or_b64 s[18:19], s[0:1], vcc
	s_and_saveexec_b64 s[20:21], s[18:19]
	s_xor_b64 s[18:19], exec, s[20:21]
; %bb.4:                                ;   in Loop: Header=BB825_3 Depth=1
	v_mov_b32_e32 v10, v9
	ds_write_b64 v12, v[9:10]
; %bb.5:                                ;   in Loop: Header=BB825_3 Depth=1
	s_andn2_saveexec_b64 s[18:19], s[18:19]
	s_cbranch_execz .LBB825_7
; %bb.6:                                ;   in Loop: Header=BB825_3 Depth=1
	flat_load_dwordx2 v[19:20], v[7:8]
	s_waitcnt vmcnt(0) lgkmcnt(0)
	ds_write_b64 v12, v[19:20]
.LBB825_7:                              ;   in Loop: Header=BB825_3 Depth=1
	s_or_b64 exec, exec, s[18:19]
	v_add_u32_e32 v10, s9, v0
	v_cmp_le_i32_e32 vcc, s17, v10
	s_or_b64 s[18:19], s[14:15], vcc
	s_and_saveexec_b64 s[20:21], s[18:19]
	s_xor_b64 s[18:19], exec, s[20:21]
; %bb.8:                                ;   in Loop: Header=BB825_3 Depth=1
	ds_write_b32 v14, v9
; %bb.9:                                ;   in Loop: Header=BB825_3 Depth=1
	s_or_saveexec_b64 s[18:19], s[18:19]
	v_mov_b32_e32 v10, 0
	s_xor_b64 exec, exec, s[18:19]
	s_cbranch_execz .LBB825_2
; %bb.10:                               ;   in Loop: Header=BB825_3 Depth=1
	flat_load_dwordx2 v[19:20], v[5:6]
	s_waitcnt vmcnt(0) lgkmcnt(0)
	v_xor_b32_e32 v10, 0x80000000, v20
	ds_write_b32 v14, v19
	s_branch .LBB825_2
.LBB825_11:
	v_mov_b32_e32 v18, 0
	v_mov_b32_e32 v16, 0
.LBB825_12:
	v_cmp_le_i32_e32 vcc, v2, v4
	v_cmp_gt_i32_e64 s[0:1], s16, v4
	s_and_b64 s[0:1], vcc, s[0:1]
	s_and_saveexec_b64 s[2:3], s[0:1]
	s_cbranch_execz .LBB825_15
; %bb.13:
	s_load_dword s0, s[4:5], 0x50
	s_waitcnt lgkmcnt(0)
	v_mov_b32_e32 v7, s11
	v_mul_f32_e32 v5, s13, v18
	v_mul_f32_e32 v6, s12, v18
	v_fma_f32 v5, v16, s12, -v5
	v_mad_i64_i32 v[0:1], s[0:1], s0, v4, 0
	v_fmac_f32_e32 v6, s13, v16
	v_lshlrev_b64 v[0:1], 3, v[0:1]
	v_add_co_u32_e32 v8, vcc, s10, v0
	v_addc_co_u32_e32 v7, vcc, v7, v1, vcc
	v_lshlrev_b64 v[0:1], 3, v[2:3]
	v_add_co_u32_e32 v0, vcc, v8, v0
	v_addc_co_u32_e32 v1, vcc, v7, v1, vcc
	v_cmp_eq_u32_e32 vcc, v2, v4
	flat_store_dwordx2 v[0:1], v[5:6]
	s_and_b64 exec, exec, vcc
	s_cbranch_execz .LBB825_15
; %bb.14:
	v_mov_b32_e32 v2, 0
	flat_store_dword v[0:1], v2 offset:4
.LBB825_15:
	s_endpgm
	.section	.rodata,"a",@progbits
	.p2align	6, 0x0
	.amdhsa_kernel _ZL32rocblas_syrkx_herkx_small_kernelIi19rocblas_complex_numIfELi16ELb1ELb1ELc78ELc85EKPKS1_KPS1_EviT_T0_PT6_S7_lSA_S7_lS8_PT7_S7_li
		.amdhsa_group_segment_fixed_size 4096
		.amdhsa_private_segment_fixed_size 0
		.amdhsa_kernarg_size 100
		.amdhsa_user_sgpr_count 6
		.amdhsa_user_sgpr_private_segment_buffer 1
		.amdhsa_user_sgpr_dispatch_ptr 0
		.amdhsa_user_sgpr_queue_ptr 0
		.amdhsa_user_sgpr_kernarg_segment_ptr 1
		.amdhsa_user_sgpr_dispatch_id 0
		.amdhsa_user_sgpr_flat_scratch_init 0
		.amdhsa_user_sgpr_private_segment_size 0
		.amdhsa_uses_dynamic_stack 0
		.amdhsa_system_sgpr_private_segment_wavefront_offset 0
		.amdhsa_system_sgpr_workgroup_id_x 1
		.amdhsa_system_sgpr_workgroup_id_y 1
		.amdhsa_system_sgpr_workgroup_id_z 1
		.amdhsa_system_sgpr_workgroup_info 0
		.amdhsa_system_vgpr_workitem_id 1
		.amdhsa_next_free_vgpr 59
		.amdhsa_next_free_sgpr 22
		.amdhsa_reserve_vcc 1
		.amdhsa_reserve_flat_scratch 0
		.amdhsa_float_round_mode_32 0
		.amdhsa_float_round_mode_16_64 0
		.amdhsa_float_denorm_mode_32 3
		.amdhsa_float_denorm_mode_16_64 3
		.amdhsa_dx10_clamp 1
		.amdhsa_ieee_mode 1
		.amdhsa_fp16_overflow 0
		.amdhsa_exception_fp_ieee_invalid_op 0
		.amdhsa_exception_fp_denorm_src 0
		.amdhsa_exception_fp_ieee_div_zero 0
		.amdhsa_exception_fp_ieee_overflow 0
		.amdhsa_exception_fp_ieee_underflow 0
		.amdhsa_exception_fp_ieee_inexact 0
		.amdhsa_exception_int_div_zero 0
	.end_amdhsa_kernel
	.section	.text._ZL32rocblas_syrkx_herkx_small_kernelIi19rocblas_complex_numIfELi16ELb1ELb1ELc78ELc85EKPKS1_KPS1_EviT_T0_PT6_S7_lSA_S7_lS8_PT7_S7_li,"axG",@progbits,_ZL32rocblas_syrkx_herkx_small_kernelIi19rocblas_complex_numIfELi16ELb1ELb1ELc78ELc85EKPKS1_KPS1_EviT_T0_PT6_S7_lSA_S7_lS8_PT7_S7_li,comdat
.Lfunc_end825:
	.size	_ZL32rocblas_syrkx_herkx_small_kernelIi19rocblas_complex_numIfELi16ELb1ELb1ELc78ELc85EKPKS1_KPS1_EviT_T0_PT6_S7_lSA_S7_lS8_PT7_S7_li, .Lfunc_end825-_ZL32rocblas_syrkx_herkx_small_kernelIi19rocblas_complex_numIfELi16ELb1ELb1ELc78ELc85EKPKS1_KPS1_EviT_T0_PT6_S7_lSA_S7_lS8_PT7_S7_li
                                        ; -- End function
	.set _ZL32rocblas_syrkx_herkx_small_kernelIi19rocblas_complex_numIfELi16ELb1ELb1ELc78ELc85EKPKS1_KPS1_EviT_T0_PT6_S7_lSA_S7_lS8_PT7_S7_li.num_vgpr, 59
	.set _ZL32rocblas_syrkx_herkx_small_kernelIi19rocblas_complex_numIfELi16ELb1ELb1ELc78ELc85EKPKS1_KPS1_EviT_T0_PT6_S7_lSA_S7_lS8_PT7_S7_li.num_agpr, 0
	.set _ZL32rocblas_syrkx_herkx_small_kernelIi19rocblas_complex_numIfELi16ELb1ELb1ELc78ELc85EKPKS1_KPS1_EviT_T0_PT6_S7_lSA_S7_lS8_PT7_S7_li.numbered_sgpr, 22
	.set _ZL32rocblas_syrkx_herkx_small_kernelIi19rocblas_complex_numIfELi16ELb1ELb1ELc78ELc85EKPKS1_KPS1_EviT_T0_PT6_S7_lSA_S7_lS8_PT7_S7_li.num_named_barrier, 0
	.set _ZL32rocblas_syrkx_herkx_small_kernelIi19rocblas_complex_numIfELi16ELb1ELb1ELc78ELc85EKPKS1_KPS1_EviT_T0_PT6_S7_lSA_S7_lS8_PT7_S7_li.private_seg_size, 0
	.set _ZL32rocblas_syrkx_herkx_small_kernelIi19rocblas_complex_numIfELi16ELb1ELb1ELc78ELc85EKPKS1_KPS1_EviT_T0_PT6_S7_lSA_S7_lS8_PT7_S7_li.uses_vcc, 1
	.set _ZL32rocblas_syrkx_herkx_small_kernelIi19rocblas_complex_numIfELi16ELb1ELb1ELc78ELc85EKPKS1_KPS1_EviT_T0_PT6_S7_lSA_S7_lS8_PT7_S7_li.uses_flat_scratch, 0
	.set _ZL32rocblas_syrkx_herkx_small_kernelIi19rocblas_complex_numIfELi16ELb1ELb1ELc78ELc85EKPKS1_KPS1_EviT_T0_PT6_S7_lSA_S7_lS8_PT7_S7_li.has_dyn_sized_stack, 0
	.set _ZL32rocblas_syrkx_herkx_small_kernelIi19rocblas_complex_numIfELi16ELb1ELb1ELc78ELc85EKPKS1_KPS1_EviT_T0_PT6_S7_lSA_S7_lS8_PT7_S7_li.has_recursion, 0
	.set _ZL32rocblas_syrkx_herkx_small_kernelIi19rocblas_complex_numIfELi16ELb1ELb1ELc78ELc85EKPKS1_KPS1_EviT_T0_PT6_S7_lSA_S7_lS8_PT7_S7_li.has_indirect_call, 0
	.section	.AMDGPU.csdata,"",@progbits
; Kernel info:
; codeLenInByte = 1296
; TotalNumSgprs: 26
; NumVgprs: 59
; ScratchSize: 0
; MemoryBound: 1
; FloatMode: 240
; IeeeMode: 1
; LDSByteSize: 4096 bytes/workgroup (compile time only)
; SGPRBlocks: 3
; VGPRBlocks: 14
; NumSGPRsForWavesPerEU: 26
; NumVGPRsForWavesPerEU: 59
; Occupancy: 4
; WaveLimiterHint : 1
; COMPUTE_PGM_RSRC2:SCRATCH_EN: 0
; COMPUTE_PGM_RSRC2:USER_SGPR: 6
; COMPUTE_PGM_RSRC2:TRAP_HANDLER: 0
; COMPUTE_PGM_RSRC2:TGID_X_EN: 1
; COMPUTE_PGM_RSRC2:TGID_Y_EN: 1
; COMPUTE_PGM_RSRC2:TGID_Z_EN: 1
; COMPUTE_PGM_RSRC2:TIDIG_COMP_CNT: 1
	.section	.text._ZL32rocblas_syrkx_herkx_small_kernelIi19rocblas_complex_numIfELi16ELb0ELb1ELc84ELc76EKPKS1_KPS1_EviT_T0_PT6_S7_lSA_S7_lS8_PT7_S7_li,"axG",@progbits,_ZL32rocblas_syrkx_herkx_small_kernelIi19rocblas_complex_numIfELi16ELb0ELb1ELc84ELc76EKPKS1_KPS1_EviT_T0_PT6_S7_lSA_S7_lS8_PT7_S7_li,comdat
	.globl	_ZL32rocblas_syrkx_herkx_small_kernelIi19rocblas_complex_numIfELi16ELb0ELb1ELc84ELc76EKPKS1_KPS1_EviT_T0_PT6_S7_lSA_S7_lS8_PT7_S7_li ; -- Begin function _ZL32rocblas_syrkx_herkx_small_kernelIi19rocblas_complex_numIfELi16ELb0ELb1ELc84ELc76EKPKS1_KPS1_EviT_T0_PT6_S7_lSA_S7_lS8_PT7_S7_li
	.p2align	8
	.type	_ZL32rocblas_syrkx_herkx_small_kernelIi19rocblas_complex_numIfELi16ELb0ELb1ELc84ELc76EKPKS1_KPS1_EviT_T0_PT6_S7_lSA_S7_lS8_PT7_S7_li,@function
_ZL32rocblas_syrkx_herkx_small_kernelIi19rocblas_complex_numIfELi16ELb0ELb1ELc84ELc76EKPKS1_KPS1_EviT_T0_PT6_S7_lSA_S7_lS8_PT7_S7_li: ; @_ZL32rocblas_syrkx_herkx_small_kernelIi19rocblas_complex_numIfELi16ELb0ELb1ELc84ELc76EKPKS1_KPS1_EviT_T0_PT6_S7_lSA_S7_lS8_PT7_S7_li
; %bb.0:
	s_load_dwordx4 s[12:15], s[4:5], 0x40
	s_load_dwordx2 s[20:21], s[4:5], 0x0
	s_load_dwordx4 s[16:19], s[4:5], 0x8
	s_mov_b32 s9, 0
	s_lshl_b64 s[0:1], s[8:9], 3
	s_waitcnt lgkmcnt(0)
	s_add_u32 s2, s14, s0
	s_addc_u32 s3, s15, s1
	s_load_dwordx2 s[10:11], s[2:3], 0x0
	v_lshl_add_u32 v2, s6, 4, v0
	v_lshl_add_u32 v9, s7, 4, v1
	s_cmp_lt_i32 s21, 1
	v_cmp_gt_i32_e32 vcc, s20, v2
	s_cbranch_scc1 .LBB826_11
; %bb.1:
	s_load_dwordx2 s[2:3], s[4:5], 0x28
	s_load_dword s8, s[4:5], 0x18
	s_load_dword s22, s[4:5], 0x30
	v_lshlrev_b32_e32 v5, 7, v1
	v_lshlrev_b32_e32 v10, 3, v0
	s_waitcnt lgkmcnt(0)
	s_add_u32 s2, s2, s0
	s_addc_u32 s3, s3, s1
	s_add_u32 s0, s18, s0
	s_addc_u32 s1, s19, s1
	s_load_dwordx2 s[14:15], s[0:1], 0x0
	v_mad_i64_i32 v[3:4], s[0:1], s22, v9, 0
	v_add_u32_e32 v11, v10, v5
	v_add_u32_e32 v12, 0x800, v5
	v_lshlrev_b64 v[4:5], 3, v[3:4]
	s_load_dwordx2 s[6:7], s[2:3], 0x0
	v_add_co_u32_e64 v4, s[2:3], v4, v10
	v_addc_co_u32_e64 v6, s[2:3], 0, v5, s[2:3]
	v_mad_i64_i32 v[7:8], s[2:3], s8, v2, 0
	s_waitcnt lgkmcnt(0)
	v_mov_b32_e32 v14, s7
	v_add_co_u32_e64 v5, s[2:3], s6, v4
	v_lshlrev_b64 v[7:8], 3, v[7:8]
	v_addc_co_u32_e64 v6, s[2:3], v14, v6, s[2:3]
	v_lshlrev_b32_e32 v4, 3, v1
	v_add_co_u32_e64 v4, s[2:3], v7, v4
	v_addc_co_u32_e64 v8, s[2:3], 0, v8, s[2:3]
	v_mov_b32_e32 v14, s15
	v_add_co_u32_e64 v7, s[2:3], s14, v4
	v_cmp_gt_i32_e64 s[0:1], s20, v9
	v_addc_co_u32_e64 v8, s[2:3], v14, v8, s[2:3]
	v_add_u32_e32 v13, v12, v10
	v_mov_b32_e32 v3, 0
	s_xor_b64 s[2:3], vcc, -1
	s_xor_b64 s[0:1], s[0:1], -1
	v_mov_b32_e32 v14, 0
	v_mov_b32_e32 v15, 0
	s_branch .LBB826_3
.LBB826_2:                              ;   in Loop: Header=BB826_3 Depth=1
	s_or_b64 exec, exec, s[6:7]
	s_waitcnt lgkmcnt(0)
	s_barrier
	ds_read2_b64 v[16:19], v10 offset1:16
	ds_read_b128 v[20:23], v12
	ds_read_b128 v[24:27], v12 offset:16
	ds_read2_b64 v[28:31], v10 offset0:32 offset1:48
	v_add_co_u32_e32 v5, vcc, 0x80, v5
	s_waitcnt lgkmcnt(2)
	v_mul_f32_e32 v4, v21, v17
	v_mul_f32_e32 v32, v20, v17
	v_fma_f32 v4, v20, v16, -v4
	v_fmac_f32_e32 v32, v21, v16
	v_mul_f32_e32 v16, v23, v19
	v_fma_f32 v33, v22, v18, -v16
	v_mul_f32_e32 v34, v22, v19
	s_waitcnt lgkmcnt(0)
	v_mul_f32_e32 v16, v25, v29
	v_fmac_f32_e32 v34, v23, v18
	v_fma_f32 v35, v24, v28, -v16
	ds_read2_b64 v[16:19], v10 offset0:64 offset1:80
	ds_read_b128 v[20:23], v12 offset:32
	v_mul_f32_e32 v36, v24, v29
	v_fmac_f32_e32 v36, v25, v28
	v_mul_f32_e32 v24, v27, v31
	v_mul_f32_e32 v38, v26, v31
	s_waitcnt lgkmcnt(0)
	v_mul_f32_e32 v28, v21, v17
	v_fma_f32 v37, v26, v30, -v24
	v_fmac_f32_e32 v38, v27, v30
	ds_read_b128 v[24:27], v12 offset:48
	v_fma_f32 v39, v20, v16, -v28
	ds_read2_b64 v[28:31], v10 offset0:96 offset1:112
	v_mul_f32_e32 v40, v20, v17
	v_fmac_f32_e32 v40, v21, v16
	v_mul_f32_e32 v16, v23, v19
	v_fma_f32 v41, v22, v18, -v16
	v_mul_f32_e32 v42, v22, v19
	s_waitcnt lgkmcnt(0)
	v_mul_f32_e32 v16, v25, v29
	v_fmac_f32_e32 v42, v23, v18
	v_fma_f32 v43, v24, v28, -v16
	ds_read2_b64 v[16:19], v10 offset0:128 offset1:144
	ds_read_b128 v[20:23], v12 offset:64
	v_mul_f32_e32 v44, v24, v29
	v_fmac_f32_e32 v44, v25, v28
	v_mul_f32_e32 v24, v27, v31
	v_mul_f32_e32 v46, v26, v31
	s_waitcnt lgkmcnt(0)
	v_mul_f32_e32 v28, v21, v17
	v_fma_f32 v45, v26, v30, -v24
	v_fmac_f32_e32 v46, v27, v30
	ds_read_b128 v[24:27], v12 offset:80
	v_fma_f32 v47, v20, v16, -v28
	ds_read2_b64 v[28:31], v10 offset0:160 offset1:176
	v_mul_f32_e32 v48, v20, v17
	v_add_f32_e32 v14, v14, v32
	v_fmac_f32_e32 v48, v21, v16
	v_mul_f32_e32 v16, v23, v19
	v_add_f32_e32 v14, v14, v34
	v_fma_f32 v49, v22, v18, -v16
	v_mul_f32_e32 v50, v22, v19
	s_waitcnt lgkmcnt(0)
	v_mul_f32_e32 v16, v25, v29
	v_add_f32_e32 v14, v14, v36
	v_fmac_f32_e32 v50, v23, v18
	v_fma_f32 v51, v24, v28, -v16
	ds_read2_b64 v[16:19], v10 offset0:192 offset1:208
	ds_read_b128 v[20:23], v12 offset:96
	v_add_f32_e32 v14, v14, v38
	v_add_f32_e32 v14, v14, v40
	;; [unrolled: 1-line block ×6, first 2 shown]
	v_mul_f32_e32 v29, v24, v29
	v_mul_f32_e32 v24, v27, v31
	;; [unrolled: 1-line block ×3, first 2 shown]
	v_add_f32_e32 v4, v4, v35
	v_add_f32_e32 v14, v14, v46
	v_fmac_f32_e32 v29, v25, v28
	v_fma_f32 v28, v26, v30, -v24
	v_fmac_f32_e32 v31, v27, v30
	s_waitcnt lgkmcnt(0)
	v_mul_f32_e32 v30, v21, v17
	v_add_f32_e32 v4, v4, v37
	v_add_f32_e32 v14, v14, v48
	v_fma_f32 v30, v20, v16, -v30
	v_mul_f32_e32 v20, v20, v17
	v_add_f32_e32 v4, v4, v39
	v_add_f32_e32 v14, v14, v50
	v_fmac_f32_e32 v20, v21, v16
	v_mul_f32_e32 v16, v23, v19
	v_mul_f32_e32 v19, v22, v19
	v_add_f32_e32 v4, v4, v41
	v_add_f32_e32 v14, v14, v29
	ds_read_b128 v[24:27], v12 offset:112
	v_fma_f32 v21, v22, v18, -v16
	v_fmac_f32_e32 v19, v23, v18
	v_add_f32_e32 v4, v4, v43
	v_add_f32_e32 v18, v14, v31
	ds_read2_b64 v[14:17], v10 offset0:224 offset1:240
	v_add_f32_e32 v4, v4, v45
	v_add_f32_e32 v4, v4, v47
	;; [unrolled: 1-line block ×7, first 2 shown]
	s_waitcnt lgkmcnt(0)
	v_mul_f32_e32 v19, v25, v15
	v_mul_f32_e32 v15, v24, v15
	v_add_f32_e32 v4, v4, v30
	v_fmac_f32_e32 v15, v25, v14
	v_add_f32_e32 v4, v4, v21
	v_fma_f32 v19, v24, v14, -v19
	v_add_f32_e32 v14, v18, v15
	v_mul_f32_e32 v15, v27, v17
	v_mul_f32_e32 v17, v26, v17
	v_addc_co_u32_e32 v6, vcc, 0, v6, vcc
	v_add_f32_e32 v4, v4, v19
	v_fma_f32 v15, v26, v16, -v15
	v_fmac_f32_e32 v17, v27, v16
	s_add_i32 s9, s9, 16
	v_add_co_u32_e32 v7, vcc, 0x80, v7
	v_add_f32_e32 v15, v4, v15
	v_add_f32_e32 v14, v14, v17
	s_cmp_ge_i32 s9, s21
	v_addc_co_u32_e32 v8, vcc, 0, v8, vcc
	s_barrier
	s_cbranch_scc1 .LBB826_12
.LBB826_3:                              ; =>This Inner Loop Header: Depth=1
	v_add_u32_e32 v4, s9, v1
	v_cmp_le_i32_e32 vcc, s21, v4
	s_or_b64 s[6:7], s[2:3], vcc
	s_and_saveexec_b64 s[14:15], s[6:7]
	s_xor_b64 s[6:7], exec, s[14:15]
; %bb.4:                                ;   in Loop: Header=BB826_3 Depth=1
	v_mov_b32_e32 v4, v3
	ds_write_b64 v11, v[3:4]
; %bb.5:                                ;   in Loop: Header=BB826_3 Depth=1
	s_andn2_saveexec_b64 s[6:7], s[6:7]
	s_cbranch_execz .LBB826_7
; %bb.6:                                ;   in Loop: Header=BB826_3 Depth=1
	flat_load_dwordx2 v[16:17], v[7:8]
	s_waitcnt vmcnt(0) lgkmcnt(0)
	ds_write_b64 v11, v[16:17]
.LBB826_7:                              ;   in Loop: Header=BB826_3 Depth=1
	s_or_b64 exec, exec, s[6:7]
	v_add_u32_e32 v4, s9, v0
	v_cmp_le_i32_e32 vcc, s21, v4
	s_or_b64 s[6:7], s[0:1], vcc
	s_and_saveexec_b64 s[14:15], s[6:7]
	s_xor_b64 s[6:7], exec, s[14:15]
; %bb.8:                                ;   in Loop: Header=BB826_3 Depth=1
	v_mov_b32_e32 v4, v3
	ds_write_b64 v13, v[3:4]
; %bb.9:                                ;   in Loop: Header=BB826_3 Depth=1
	s_andn2_saveexec_b64 s[6:7], s[6:7]
	s_cbranch_execz .LBB826_2
; %bb.10:                               ;   in Loop: Header=BB826_3 Depth=1
	flat_load_dwordx2 v[16:17], v[5:6]
	s_waitcnt vmcnt(0) lgkmcnt(0)
	ds_write_b64 v13, v[16:17]
	s_branch .LBB826_2
.LBB826_11:
	v_mov_b32_e32 v14, 0
	v_mov_b32_e32 v15, 0
.LBB826_12:
	v_cmp_le_i32_e32 vcc, v9, v2
	v_cmp_gt_i32_e64 s[0:1], s20, v2
	s_and_b64 s[0:1], vcc, s[0:1]
	s_and_saveexec_b64 s[2:3], s[0:1]
	s_cbranch_execz .LBB826_15
; %bb.13:
	s_load_dword s0, s[4:5], 0x50
	v_ashrrev_i32_e32 v3, 31, v2
	s_waitcnt lgkmcnt(0)
	v_mov_b32_e32 v5, s11
	v_lshlrev_b64 v[3:4], 3, v[2:3]
	v_mul_f32_e32 v6, s16, v14
	v_mad_i64_i32 v[0:1], s[0:1], s0, v9, 0
	v_fmac_f32_e32 v6, s17, v15
	v_lshlrev_b64 v[0:1], 3, v[0:1]
	v_add_co_u32_e32 v0, vcc, s10, v0
	v_addc_co_u32_e32 v1, vcc, v5, v1, vcc
	v_add_co_u32_e32 v0, vcc, v0, v3
	v_addc_co_u32_e32 v1, vcc, v1, v4, vcc
	flat_load_dwordx2 v[3:4], v[0:1]
	v_mul_f32_e32 v5, s17, v14
	v_fma_f32 v5, v15, s16, -v5
	v_cmp_eq_u32_e32 vcc, v2, v9
	s_waitcnt vmcnt(0) lgkmcnt(0)
	v_mul_f32_e32 v7, s13, v4
	v_mul_f32_e32 v4, s12, v4
	v_fma_f32 v7, v3, s12, -v7
	v_fmac_f32_e32 v4, s13, v3
	v_add_f32_e32 v3, v5, v7
	v_add_f32_e32 v4, v6, v4
	flat_store_dwordx2 v[0:1], v[3:4]
	s_and_b64 exec, exec, vcc
	s_cbranch_execz .LBB826_15
; %bb.14:
	v_mov_b32_e32 v2, 0
	flat_store_dword v[0:1], v2 offset:4
.LBB826_15:
	s_endpgm
	.section	.rodata,"a",@progbits
	.p2align	6, 0x0
	.amdhsa_kernel _ZL32rocblas_syrkx_herkx_small_kernelIi19rocblas_complex_numIfELi16ELb0ELb1ELc84ELc76EKPKS1_KPS1_EviT_T0_PT6_S7_lSA_S7_lS8_PT7_S7_li
		.amdhsa_group_segment_fixed_size 4096
		.amdhsa_private_segment_fixed_size 0
		.amdhsa_kernarg_size 100
		.amdhsa_user_sgpr_count 6
		.amdhsa_user_sgpr_private_segment_buffer 1
		.amdhsa_user_sgpr_dispatch_ptr 0
		.amdhsa_user_sgpr_queue_ptr 0
		.amdhsa_user_sgpr_kernarg_segment_ptr 1
		.amdhsa_user_sgpr_dispatch_id 0
		.amdhsa_user_sgpr_flat_scratch_init 0
		.amdhsa_user_sgpr_private_segment_size 0
		.amdhsa_uses_dynamic_stack 0
		.amdhsa_system_sgpr_private_segment_wavefront_offset 0
		.amdhsa_system_sgpr_workgroup_id_x 1
		.amdhsa_system_sgpr_workgroup_id_y 1
		.amdhsa_system_sgpr_workgroup_id_z 1
		.amdhsa_system_sgpr_workgroup_info 0
		.amdhsa_system_vgpr_workitem_id 1
		.amdhsa_next_free_vgpr 52
		.amdhsa_next_free_sgpr 23
		.amdhsa_reserve_vcc 1
		.amdhsa_reserve_flat_scratch 0
		.amdhsa_float_round_mode_32 0
		.amdhsa_float_round_mode_16_64 0
		.amdhsa_float_denorm_mode_32 3
		.amdhsa_float_denorm_mode_16_64 3
		.amdhsa_dx10_clamp 1
		.amdhsa_ieee_mode 1
		.amdhsa_fp16_overflow 0
		.amdhsa_exception_fp_ieee_invalid_op 0
		.amdhsa_exception_fp_denorm_src 0
		.amdhsa_exception_fp_ieee_div_zero 0
		.amdhsa_exception_fp_ieee_overflow 0
		.amdhsa_exception_fp_ieee_underflow 0
		.amdhsa_exception_fp_ieee_inexact 0
		.amdhsa_exception_int_div_zero 0
	.end_amdhsa_kernel
	.section	.text._ZL32rocblas_syrkx_herkx_small_kernelIi19rocblas_complex_numIfELi16ELb0ELb1ELc84ELc76EKPKS1_KPS1_EviT_T0_PT6_S7_lSA_S7_lS8_PT7_S7_li,"axG",@progbits,_ZL32rocblas_syrkx_herkx_small_kernelIi19rocblas_complex_numIfELi16ELb0ELb1ELc84ELc76EKPKS1_KPS1_EviT_T0_PT6_S7_lSA_S7_lS8_PT7_S7_li,comdat
.Lfunc_end826:
	.size	_ZL32rocblas_syrkx_herkx_small_kernelIi19rocblas_complex_numIfELi16ELb0ELb1ELc84ELc76EKPKS1_KPS1_EviT_T0_PT6_S7_lSA_S7_lS8_PT7_S7_li, .Lfunc_end826-_ZL32rocblas_syrkx_herkx_small_kernelIi19rocblas_complex_numIfELi16ELb0ELb1ELc84ELc76EKPKS1_KPS1_EviT_T0_PT6_S7_lSA_S7_lS8_PT7_S7_li
                                        ; -- End function
	.set _ZL32rocblas_syrkx_herkx_small_kernelIi19rocblas_complex_numIfELi16ELb0ELb1ELc84ELc76EKPKS1_KPS1_EviT_T0_PT6_S7_lSA_S7_lS8_PT7_S7_li.num_vgpr, 52
	.set _ZL32rocblas_syrkx_herkx_small_kernelIi19rocblas_complex_numIfELi16ELb0ELb1ELc84ELc76EKPKS1_KPS1_EviT_T0_PT6_S7_lSA_S7_lS8_PT7_S7_li.num_agpr, 0
	.set _ZL32rocblas_syrkx_herkx_small_kernelIi19rocblas_complex_numIfELi16ELb0ELb1ELc84ELc76EKPKS1_KPS1_EviT_T0_PT6_S7_lSA_S7_lS8_PT7_S7_li.numbered_sgpr, 23
	.set _ZL32rocblas_syrkx_herkx_small_kernelIi19rocblas_complex_numIfELi16ELb0ELb1ELc84ELc76EKPKS1_KPS1_EviT_T0_PT6_S7_lSA_S7_lS8_PT7_S7_li.num_named_barrier, 0
	.set _ZL32rocblas_syrkx_herkx_small_kernelIi19rocblas_complex_numIfELi16ELb0ELb1ELc84ELc76EKPKS1_KPS1_EviT_T0_PT6_S7_lSA_S7_lS8_PT7_S7_li.private_seg_size, 0
	.set _ZL32rocblas_syrkx_herkx_small_kernelIi19rocblas_complex_numIfELi16ELb0ELb1ELc84ELc76EKPKS1_KPS1_EviT_T0_PT6_S7_lSA_S7_lS8_PT7_S7_li.uses_vcc, 1
	.set _ZL32rocblas_syrkx_herkx_small_kernelIi19rocblas_complex_numIfELi16ELb0ELb1ELc84ELc76EKPKS1_KPS1_EviT_T0_PT6_S7_lSA_S7_lS8_PT7_S7_li.uses_flat_scratch, 0
	.set _ZL32rocblas_syrkx_herkx_small_kernelIi19rocblas_complex_numIfELi16ELb0ELb1ELc84ELc76EKPKS1_KPS1_EviT_T0_PT6_S7_lSA_S7_lS8_PT7_S7_li.has_dyn_sized_stack, 0
	.set _ZL32rocblas_syrkx_herkx_small_kernelIi19rocblas_complex_numIfELi16ELb0ELb1ELc84ELc76EKPKS1_KPS1_EviT_T0_PT6_S7_lSA_S7_lS8_PT7_S7_li.has_recursion, 0
	.set _ZL32rocblas_syrkx_herkx_small_kernelIi19rocblas_complex_numIfELi16ELb0ELb1ELc84ELc76EKPKS1_KPS1_EviT_T0_PT6_S7_lSA_S7_lS8_PT7_S7_li.has_indirect_call, 0
	.section	.AMDGPU.csdata,"",@progbits
; Kernel info:
; codeLenInByte = 1284
; TotalNumSgprs: 27
; NumVgprs: 52
; ScratchSize: 0
; MemoryBound: 1
; FloatMode: 240
; IeeeMode: 1
; LDSByteSize: 4096 bytes/workgroup (compile time only)
; SGPRBlocks: 3
; VGPRBlocks: 12
; NumSGPRsForWavesPerEU: 27
; NumVGPRsForWavesPerEU: 52
; Occupancy: 4
; WaveLimiterHint : 1
; COMPUTE_PGM_RSRC2:SCRATCH_EN: 0
; COMPUTE_PGM_RSRC2:USER_SGPR: 6
; COMPUTE_PGM_RSRC2:TRAP_HANDLER: 0
; COMPUTE_PGM_RSRC2:TGID_X_EN: 1
; COMPUTE_PGM_RSRC2:TGID_Y_EN: 1
; COMPUTE_PGM_RSRC2:TGID_Z_EN: 1
; COMPUTE_PGM_RSRC2:TIDIG_COMP_CNT: 1
	.section	.text._ZL32rocblas_syrkx_herkx_small_kernelIi19rocblas_complex_numIfELi16ELb0ELb1ELc67ELc76EKPKS1_KPS1_EviT_T0_PT6_S7_lSA_S7_lS8_PT7_S7_li,"axG",@progbits,_ZL32rocblas_syrkx_herkx_small_kernelIi19rocblas_complex_numIfELi16ELb0ELb1ELc67ELc76EKPKS1_KPS1_EviT_T0_PT6_S7_lSA_S7_lS8_PT7_S7_li,comdat
	.globl	_ZL32rocblas_syrkx_herkx_small_kernelIi19rocblas_complex_numIfELi16ELb0ELb1ELc67ELc76EKPKS1_KPS1_EviT_T0_PT6_S7_lSA_S7_lS8_PT7_S7_li ; -- Begin function _ZL32rocblas_syrkx_herkx_small_kernelIi19rocblas_complex_numIfELi16ELb0ELb1ELc67ELc76EKPKS1_KPS1_EviT_T0_PT6_S7_lSA_S7_lS8_PT7_S7_li
	.p2align	8
	.type	_ZL32rocblas_syrkx_herkx_small_kernelIi19rocblas_complex_numIfELi16ELb0ELb1ELc67ELc76EKPKS1_KPS1_EviT_T0_PT6_S7_lSA_S7_lS8_PT7_S7_li,@function
_ZL32rocblas_syrkx_herkx_small_kernelIi19rocblas_complex_numIfELi16ELb0ELb1ELc67ELc76EKPKS1_KPS1_EviT_T0_PT6_S7_lSA_S7_lS8_PT7_S7_li: ; @_ZL32rocblas_syrkx_herkx_small_kernelIi19rocblas_complex_numIfELi16ELb0ELb1ELc67ELc76EKPKS1_KPS1_EviT_T0_PT6_S7_lSA_S7_lS8_PT7_S7_li
; %bb.0:
	s_load_dwordx4 s[12:15], s[4:5], 0x40
	s_load_dwordx2 s[20:21], s[4:5], 0x0
	s_load_dwordx4 s[16:19], s[4:5], 0x8
	s_mov_b32 s9, 0
	s_lshl_b64 s[0:1], s[8:9], 3
	s_waitcnt lgkmcnt(0)
	s_add_u32 s2, s14, s0
	s_addc_u32 s3, s15, s1
	s_load_dwordx2 s[10:11], s[2:3], 0x0
	v_lshl_add_u32 v2, s6, 4, v0
	v_lshl_add_u32 v9, s7, 4, v1
	s_cmp_lt_i32 s21, 1
	v_cmp_gt_i32_e32 vcc, s20, v2
	s_cbranch_scc1 .LBB827_11
; %bb.1:
	s_load_dwordx2 s[2:3], s[4:5], 0x28
	s_load_dword s8, s[4:5], 0x18
	s_load_dword s22, s[4:5], 0x30
	v_lshlrev_b32_e32 v5, 7, v1
	v_lshlrev_b32_e32 v10, 3, v0
	s_waitcnt lgkmcnt(0)
	s_add_u32 s2, s2, s0
	s_addc_u32 s3, s3, s1
	s_add_u32 s0, s18, s0
	s_addc_u32 s1, s19, s1
	s_load_dwordx2 s[14:15], s[0:1], 0x0
	v_mad_i64_i32 v[3:4], s[0:1], s22, v9, 0
	v_add_u32_e32 v11, v10, v5
	v_add_u32_e32 v12, 0x800, v5
	v_lshlrev_b64 v[4:5], 3, v[3:4]
	s_load_dwordx2 s[6:7], s[2:3], 0x0
	v_add_co_u32_e64 v4, s[2:3], v4, v10
	v_addc_co_u32_e64 v6, s[2:3], 0, v5, s[2:3]
	v_mad_i64_i32 v[7:8], s[2:3], s8, v2, 0
	s_waitcnt lgkmcnt(0)
	v_mov_b32_e32 v14, s7
	v_add_co_u32_e64 v5, s[2:3], s6, v4
	v_lshlrev_b64 v[7:8], 3, v[7:8]
	v_addc_co_u32_e64 v6, s[2:3], v14, v6, s[2:3]
	v_lshlrev_b32_e32 v4, 3, v1
	v_add_co_u32_e64 v4, s[2:3], v7, v4
	v_addc_co_u32_e64 v8, s[2:3], 0, v8, s[2:3]
	v_mov_b32_e32 v14, s15
	v_add_co_u32_e64 v7, s[2:3], s14, v4
	v_cmp_gt_i32_e64 s[0:1], s20, v9
	v_addc_co_u32_e64 v8, s[2:3], v14, v8, s[2:3]
	v_add_u32_e32 v13, v12, v10
	v_mov_b32_e32 v3, 0
	s_xor_b64 s[2:3], vcc, -1
	s_xor_b64 s[0:1], s[0:1], -1
	v_mov_b32_e32 v14, 0
	v_mov_b32_e32 v15, 0
	s_branch .LBB827_3
.LBB827_2:                              ;   in Loop: Header=BB827_3 Depth=1
	s_or_b64 exec, exec, s[6:7]
	s_waitcnt lgkmcnt(0)
	s_barrier
	ds_read2_b64 v[16:19], v10 offset1:16
	ds_read_b128 v[20:23], v12
	ds_read_b128 v[24:27], v12 offset:16
	ds_read2_b64 v[28:31], v10 offset0:32 offset1:48
	v_add_co_u32_e32 v5, vcc, 0x80, v5
	s_waitcnt lgkmcnt(2)
	v_mul_f32_e32 v4, v21, v17
	v_mul_f32_e32 v32, v20, v17
	v_fma_f32 v4, v20, v16, -v4
	v_fmac_f32_e32 v32, v21, v16
	v_mul_f32_e32 v16, v23, v19
	v_fma_f32 v33, v22, v18, -v16
	v_mul_f32_e32 v34, v22, v19
	s_waitcnt lgkmcnt(0)
	v_mul_f32_e32 v16, v25, v29
	v_fmac_f32_e32 v34, v23, v18
	v_fma_f32 v35, v24, v28, -v16
	ds_read2_b64 v[16:19], v10 offset0:64 offset1:80
	ds_read_b128 v[20:23], v12 offset:32
	v_mul_f32_e32 v36, v24, v29
	v_fmac_f32_e32 v36, v25, v28
	v_mul_f32_e32 v24, v27, v31
	v_mul_f32_e32 v38, v26, v31
	s_waitcnt lgkmcnt(0)
	v_mul_f32_e32 v28, v21, v17
	v_fma_f32 v37, v26, v30, -v24
	v_fmac_f32_e32 v38, v27, v30
	ds_read_b128 v[24:27], v12 offset:48
	v_fma_f32 v39, v20, v16, -v28
	ds_read2_b64 v[28:31], v10 offset0:96 offset1:112
	v_mul_f32_e32 v40, v20, v17
	v_fmac_f32_e32 v40, v21, v16
	v_mul_f32_e32 v16, v23, v19
	v_fma_f32 v41, v22, v18, -v16
	v_mul_f32_e32 v42, v22, v19
	s_waitcnt lgkmcnt(0)
	v_mul_f32_e32 v16, v25, v29
	v_fmac_f32_e32 v42, v23, v18
	v_fma_f32 v43, v24, v28, -v16
	ds_read2_b64 v[16:19], v10 offset0:128 offset1:144
	ds_read_b128 v[20:23], v12 offset:64
	v_mul_f32_e32 v44, v24, v29
	v_fmac_f32_e32 v44, v25, v28
	v_mul_f32_e32 v24, v27, v31
	v_mul_f32_e32 v46, v26, v31
	s_waitcnt lgkmcnt(0)
	v_mul_f32_e32 v28, v21, v17
	v_fma_f32 v45, v26, v30, -v24
	v_fmac_f32_e32 v46, v27, v30
	ds_read_b128 v[24:27], v12 offset:80
	v_fma_f32 v47, v20, v16, -v28
	ds_read2_b64 v[28:31], v10 offset0:160 offset1:176
	v_mul_f32_e32 v48, v20, v17
	v_add_f32_e32 v14, v14, v32
	v_fmac_f32_e32 v48, v21, v16
	v_mul_f32_e32 v16, v23, v19
	v_add_f32_e32 v14, v14, v34
	v_fma_f32 v49, v22, v18, -v16
	v_mul_f32_e32 v50, v22, v19
	s_waitcnt lgkmcnt(0)
	v_mul_f32_e32 v16, v25, v29
	v_add_f32_e32 v14, v14, v36
	v_fmac_f32_e32 v50, v23, v18
	v_fma_f32 v51, v24, v28, -v16
	ds_read2_b64 v[16:19], v10 offset0:192 offset1:208
	ds_read_b128 v[20:23], v12 offset:96
	v_add_f32_e32 v14, v14, v38
	v_add_f32_e32 v14, v14, v40
	;; [unrolled: 1-line block ×6, first 2 shown]
	v_mul_f32_e32 v29, v24, v29
	v_mul_f32_e32 v24, v27, v31
	;; [unrolled: 1-line block ×3, first 2 shown]
	v_add_f32_e32 v4, v4, v35
	v_add_f32_e32 v14, v14, v46
	v_fmac_f32_e32 v29, v25, v28
	v_fma_f32 v28, v26, v30, -v24
	v_fmac_f32_e32 v31, v27, v30
	s_waitcnt lgkmcnt(0)
	v_mul_f32_e32 v30, v21, v17
	v_add_f32_e32 v4, v4, v37
	v_add_f32_e32 v14, v14, v48
	v_fma_f32 v30, v20, v16, -v30
	v_mul_f32_e32 v20, v20, v17
	v_add_f32_e32 v4, v4, v39
	v_add_f32_e32 v14, v14, v50
	v_fmac_f32_e32 v20, v21, v16
	v_mul_f32_e32 v16, v23, v19
	v_mul_f32_e32 v19, v22, v19
	v_add_f32_e32 v4, v4, v41
	v_add_f32_e32 v14, v14, v29
	ds_read_b128 v[24:27], v12 offset:112
	v_fma_f32 v21, v22, v18, -v16
	v_fmac_f32_e32 v19, v23, v18
	v_add_f32_e32 v4, v4, v43
	v_add_f32_e32 v18, v14, v31
	ds_read2_b64 v[14:17], v10 offset0:224 offset1:240
	v_add_f32_e32 v4, v4, v45
	v_add_f32_e32 v4, v4, v47
	;; [unrolled: 1-line block ×7, first 2 shown]
	s_waitcnt lgkmcnt(0)
	v_mul_f32_e32 v19, v25, v15
	v_mul_f32_e32 v15, v24, v15
	v_add_f32_e32 v4, v4, v30
	v_fmac_f32_e32 v15, v25, v14
	v_add_f32_e32 v4, v4, v21
	v_fma_f32 v19, v24, v14, -v19
	v_add_f32_e32 v14, v18, v15
	v_mul_f32_e32 v15, v27, v17
	v_mul_f32_e32 v17, v26, v17
	v_addc_co_u32_e32 v6, vcc, 0, v6, vcc
	v_add_f32_e32 v4, v4, v19
	v_fma_f32 v15, v26, v16, -v15
	v_fmac_f32_e32 v17, v27, v16
	s_add_i32 s9, s9, 16
	v_add_co_u32_e32 v7, vcc, 0x80, v7
	v_add_f32_e32 v15, v4, v15
	v_add_f32_e32 v14, v14, v17
	s_cmp_ge_i32 s9, s21
	v_addc_co_u32_e32 v8, vcc, 0, v8, vcc
	s_barrier
	s_cbranch_scc1 .LBB827_12
.LBB827_3:                              ; =>This Inner Loop Header: Depth=1
	v_add_u32_e32 v4, s9, v1
	v_cmp_le_i32_e32 vcc, s21, v4
	s_or_b64 s[6:7], s[2:3], vcc
	s_and_saveexec_b64 s[14:15], s[6:7]
	s_xor_b64 s[6:7], exec, s[14:15]
; %bb.4:                                ;   in Loop: Header=BB827_3 Depth=1
	ds_write_b32 v11, v3
; %bb.5:                                ;   in Loop: Header=BB827_3 Depth=1
	s_or_saveexec_b64 s[6:7], s[6:7]
	v_mov_b32_e32 v4, 0
	s_xor_b64 exec, exec, s[6:7]
	s_cbranch_execz .LBB827_7
; %bb.6:                                ;   in Loop: Header=BB827_3 Depth=1
	flat_load_dwordx2 v[16:17], v[7:8]
	s_waitcnt vmcnt(0) lgkmcnt(0)
	v_xor_b32_e32 v4, 0x80000000, v17
	ds_write_b32 v11, v16
.LBB827_7:                              ;   in Loop: Header=BB827_3 Depth=1
	s_or_b64 exec, exec, s[6:7]
	ds_write_b32 v11, v4 offset:4
	v_add_u32_e32 v4, s9, v0
	v_cmp_le_i32_e32 vcc, s21, v4
	s_or_b64 s[6:7], s[0:1], vcc
	s_and_saveexec_b64 s[14:15], s[6:7]
	s_xor_b64 s[6:7], exec, s[14:15]
; %bb.8:                                ;   in Loop: Header=BB827_3 Depth=1
	v_mov_b32_e32 v4, v3
	ds_write_b64 v13, v[3:4]
; %bb.9:                                ;   in Loop: Header=BB827_3 Depth=1
	s_andn2_saveexec_b64 s[6:7], s[6:7]
	s_cbranch_execz .LBB827_2
; %bb.10:                               ;   in Loop: Header=BB827_3 Depth=1
	flat_load_dwordx2 v[16:17], v[5:6]
	s_waitcnt vmcnt(0) lgkmcnt(0)
	ds_write_b64 v13, v[16:17]
	s_branch .LBB827_2
.LBB827_11:
	v_mov_b32_e32 v14, 0
	v_mov_b32_e32 v15, 0
.LBB827_12:
	v_cmp_le_i32_e32 vcc, v9, v2
	v_cmp_gt_i32_e64 s[0:1], s20, v2
	s_and_b64 s[0:1], vcc, s[0:1]
	s_and_saveexec_b64 s[2:3], s[0:1]
	s_cbranch_execz .LBB827_15
; %bb.13:
	s_load_dword s0, s[4:5], 0x50
	v_ashrrev_i32_e32 v3, 31, v2
	s_waitcnt lgkmcnt(0)
	v_mov_b32_e32 v5, s11
	v_lshlrev_b64 v[3:4], 3, v[2:3]
	v_mul_f32_e32 v6, s16, v14
	v_mad_i64_i32 v[0:1], s[0:1], s0, v9, 0
	v_fmac_f32_e32 v6, s17, v15
	v_lshlrev_b64 v[0:1], 3, v[0:1]
	v_add_co_u32_e32 v0, vcc, s10, v0
	v_addc_co_u32_e32 v1, vcc, v5, v1, vcc
	v_add_co_u32_e32 v0, vcc, v0, v3
	v_addc_co_u32_e32 v1, vcc, v1, v4, vcc
	flat_load_dwordx2 v[3:4], v[0:1]
	v_mul_f32_e32 v5, s17, v14
	v_fma_f32 v5, v15, s16, -v5
	v_cmp_eq_u32_e32 vcc, v2, v9
	s_waitcnt vmcnt(0) lgkmcnt(0)
	v_mul_f32_e32 v7, s13, v4
	v_mul_f32_e32 v4, s12, v4
	v_fma_f32 v7, v3, s12, -v7
	v_fmac_f32_e32 v4, s13, v3
	v_add_f32_e32 v3, v5, v7
	v_add_f32_e32 v4, v6, v4
	flat_store_dwordx2 v[0:1], v[3:4]
	s_and_b64 exec, exec, vcc
	s_cbranch_execz .LBB827_15
; %bb.14:
	v_mov_b32_e32 v2, 0
	flat_store_dword v[0:1], v2 offset:4
.LBB827_15:
	s_endpgm
	.section	.rodata,"a",@progbits
	.p2align	6, 0x0
	.amdhsa_kernel _ZL32rocblas_syrkx_herkx_small_kernelIi19rocblas_complex_numIfELi16ELb0ELb1ELc67ELc76EKPKS1_KPS1_EviT_T0_PT6_S7_lSA_S7_lS8_PT7_S7_li
		.amdhsa_group_segment_fixed_size 4096
		.amdhsa_private_segment_fixed_size 0
		.amdhsa_kernarg_size 100
		.amdhsa_user_sgpr_count 6
		.amdhsa_user_sgpr_private_segment_buffer 1
		.amdhsa_user_sgpr_dispatch_ptr 0
		.amdhsa_user_sgpr_queue_ptr 0
		.amdhsa_user_sgpr_kernarg_segment_ptr 1
		.amdhsa_user_sgpr_dispatch_id 0
		.amdhsa_user_sgpr_flat_scratch_init 0
		.amdhsa_user_sgpr_private_segment_size 0
		.amdhsa_uses_dynamic_stack 0
		.amdhsa_system_sgpr_private_segment_wavefront_offset 0
		.amdhsa_system_sgpr_workgroup_id_x 1
		.amdhsa_system_sgpr_workgroup_id_y 1
		.amdhsa_system_sgpr_workgroup_id_z 1
		.amdhsa_system_sgpr_workgroup_info 0
		.amdhsa_system_vgpr_workitem_id 1
		.amdhsa_next_free_vgpr 52
		.amdhsa_next_free_sgpr 23
		.amdhsa_reserve_vcc 1
		.amdhsa_reserve_flat_scratch 0
		.amdhsa_float_round_mode_32 0
		.amdhsa_float_round_mode_16_64 0
		.amdhsa_float_denorm_mode_32 3
		.amdhsa_float_denorm_mode_16_64 3
		.amdhsa_dx10_clamp 1
		.amdhsa_ieee_mode 1
		.amdhsa_fp16_overflow 0
		.amdhsa_exception_fp_ieee_invalid_op 0
		.amdhsa_exception_fp_denorm_src 0
		.amdhsa_exception_fp_ieee_div_zero 0
		.amdhsa_exception_fp_ieee_overflow 0
		.amdhsa_exception_fp_ieee_underflow 0
		.amdhsa_exception_fp_ieee_inexact 0
		.amdhsa_exception_int_div_zero 0
	.end_amdhsa_kernel
	.section	.text._ZL32rocblas_syrkx_herkx_small_kernelIi19rocblas_complex_numIfELi16ELb0ELb1ELc67ELc76EKPKS1_KPS1_EviT_T0_PT6_S7_lSA_S7_lS8_PT7_S7_li,"axG",@progbits,_ZL32rocblas_syrkx_herkx_small_kernelIi19rocblas_complex_numIfELi16ELb0ELb1ELc67ELc76EKPKS1_KPS1_EviT_T0_PT6_S7_lSA_S7_lS8_PT7_S7_li,comdat
.Lfunc_end827:
	.size	_ZL32rocblas_syrkx_herkx_small_kernelIi19rocblas_complex_numIfELi16ELb0ELb1ELc67ELc76EKPKS1_KPS1_EviT_T0_PT6_S7_lSA_S7_lS8_PT7_S7_li, .Lfunc_end827-_ZL32rocblas_syrkx_herkx_small_kernelIi19rocblas_complex_numIfELi16ELb0ELb1ELc67ELc76EKPKS1_KPS1_EviT_T0_PT6_S7_lSA_S7_lS8_PT7_S7_li
                                        ; -- End function
	.set _ZL32rocblas_syrkx_herkx_small_kernelIi19rocblas_complex_numIfELi16ELb0ELb1ELc67ELc76EKPKS1_KPS1_EviT_T0_PT6_S7_lSA_S7_lS8_PT7_S7_li.num_vgpr, 52
	.set _ZL32rocblas_syrkx_herkx_small_kernelIi19rocblas_complex_numIfELi16ELb0ELb1ELc67ELc76EKPKS1_KPS1_EviT_T0_PT6_S7_lSA_S7_lS8_PT7_S7_li.num_agpr, 0
	.set _ZL32rocblas_syrkx_herkx_small_kernelIi19rocblas_complex_numIfELi16ELb0ELb1ELc67ELc76EKPKS1_KPS1_EviT_T0_PT6_S7_lSA_S7_lS8_PT7_S7_li.numbered_sgpr, 23
	.set _ZL32rocblas_syrkx_herkx_small_kernelIi19rocblas_complex_numIfELi16ELb0ELb1ELc67ELc76EKPKS1_KPS1_EviT_T0_PT6_S7_lSA_S7_lS8_PT7_S7_li.num_named_barrier, 0
	.set _ZL32rocblas_syrkx_herkx_small_kernelIi19rocblas_complex_numIfELi16ELb0ELb1ELc67ELc76EKPKS1_KPS1_EviT_T0_PT6_S7_lSA_S7_lS8_PT7_S7_li.private_seg_size, 0
	.set _ZL32rocblas_syrkx_herkx_small_kernelIi19rocblas_complex_numIfELi16ELb0ELb1ELc67ELc76EKPKS1_KPS1_EviT_T0_PT6_S7_lSA_S7_lS8_PT7_S7_li.uses_vcc, 1
	.set _ZL32rocblas_syrkx_herkx_small_kernelIi19rocblas_complex_numIfELi16ELb0ELb1ELc67ELc76EKPKS1_KPS1_EviT_T0_PT6_S7_lSA_S7_lS8_PT7_S7_li.uses_flat_scratch, 0
	.set _ZL32rocblas_syrkx_herkx_small_kernelIi19rocblas_complex_numIfELi16ELb0ELb1ELc67ELc76EKPKS1_KPS1_EviT_T0_PT6_S7_lSA_S7_lS8_PT7_S7_li.has_dyn_sized_stack, 0
	.set _ZL32rocblas_syrkx_herkx_small_kernelIi19rocblas_complex_numIfELi16ELb0ELb1ELc67ELc76EKPKS1_KPS1_EviT_T0_PT6_S7_lSA_S7_lS8_PT7_S7_li.has_recursion, 0
	.set _ZL32rocblas_syrkx_herkx_small_kernelIi19rocblas_complex_numIfELi16ELb0ELb1ELc67ELc76EKPKS1_KPS1_EviT_T0_PT6_S7_lSA_S7_lS8_PT7_S7_li.has_indirect_call, 0
	.section	.AMDGPU.csdata,"",@progbits
; Kernel info:
; codeLenInByte = 1304
; TotalNumSgprs: 27
; NumVgprs: 52
; ScratchSize: 0
; MemoryBound: 1
; FloatMode: 240
; IeeeMode: 1
; LDSByteSize: 4096 bytes/workgroup (compile time only)
; SGPRBlocks: 3
; VGPRBlocks: 12
; NumSGPRsForWavesPerEU: 27
; NumVGPRsForWavesPerEU: 52
; Occupancy: 4
; WaveLimiterHint : 1
; COMPUTE_PGM_RSRC2:SCRATCH_EN: 0
; COMPUTE_PGM_RSRC2:USER_SGPR: 6
; COMPUTE_PGM_RSRC2:TRAP_HANDLER: 0
; COMPUTE_PGM_RSRC2:TGID_X_EN: 1
; COMPUTE_PGM_RSRC2:TGID_Y_EN: 1
; COMPUTE_PGM_RSRC2:TGID_Z_EN: 1
; COMPUTE_PGM_RSRC2:TIDIG_COMP_CNT: 1
	.section	.text._ZL32rocblas_syrkx_herkx_small_kernelIi19rocblas_complex_numIfELi16ELb0ELb1ELc78ELc76EKPKS1_KPS1_EviT_T0_PT6_S7_lSA_S7_lS8_PT7_S7_li,"axG",@progbits,_ZL32rocblas_syrkx_herkx_small_kernelIi19rocblas_complex_numIfELi16ELb0ELb1ELc78ELc76EKPKS1_KPS1_EviT_T0_PT6_S7_lSA_S7_lS8_PT7_S7_li,comdat
	.globl	_ZL32rocblas_syrkx_herkx_small_kernelIi19rocblas_complex_numIfELi16ELb0ELb1ELc78ELc76EKPKS1_KPS1_EviT_T0_PT6_S7_lSA_S7_lS8_PT7_S7_li ; -- Begin function _ZL32rocblas_syrkx_herkx_small_kernelIi19rocblas_complex_numIfELi16ELb0ELb1ELc78ELc76EKPKS1_KPS1_EviT_T0_PT6_S7_lSA_S7_lS8_PT7_S7_li
	.p2align	8
	.type	_ZL32rocblas_syrkx_herkx_small_kernelIi19rocblas_complex_numIfELi16ELb0ELb1ELc78ELc76EKPKS1_KPS1_EviT_T0_PT6_S7_lSA_S7_lS8_PT7_S7_li,@function
_ZL32rocblas_syrkx_herkx_small_kernelIi19rocblas_complex_numIfELi16ELb0ELb1ELc78ELc76EKPKS1_KPS1_EviT_T0_PT6_S7_lSA_S7_lS8_PT7_S7_li: ; @_ZL32rocblas_syrkx_herkx_small_kernelIi19rocblas_complex_numIfELi16ELb0ELb1ELc78ELc76EKPKS1_KPS1_EviT_T0_PT6_S7_lSA_S7_lS8_PT7_S7_li
; %bb.0:
	s_load_dwordx4 s[12:15], s[4:5], 0x40
	s_load_dwordx2 s[20:21], s[4:5], 0x0
	s_load_dwordx4 s[16:19], s[4:5], 0x8
	s_mov_b32 s9, 0
	s_lshl_b64 s[0:1], s[8:9], 3
	s_waitcnt lgkmcnt(0)
	s_add_u32 s2, s14, s0
	s_addc_u32 s3, s15, s1
	s_load_dwordx2 s[10:11], s[2:3], 0x0
	v_lshl_add_u32 v2, s6, 4, v0
	v_lshl_add_u32 v4, s7, 4, v1
	s_cmp_lt_i32 s21, 1
	v_cmp_gt_i32_e32 vcc, s20, v2
	v_ashrrev_i32_e32 v3, 31, v2
	s_cbranch_scc1 .LBB828_11
; %bb.1:
	s_load_dword s14, s[4:5], 0x18
	s_load_dword s6, s[4:5], 0x30
	s_load_dwordx2 s[2:3], s[4:5], 0x28
	v_lshlrev_b32_e32 v5, 7, v1
	v_lshlrev_b32_e32 v11, 3, v0
	s_waitcnt lgkmcnt(0)
	s_ashr_i32 s15, s14, 31
	s_ashr_i32 s7, s6, 31
	s_add_u32 s2, s2, s0
	s_addc_u32 s3, s3, s1
	s_load_dwordx2 s[22:23], s[2:3], 0x0
	v_mad_i64_i32 v[6:7], s[2:3], s6, v0, 0
	v_add_u32_e32 v12, v11, v5
	v_add_u32_e32 v13, 0x800, v5
	v_ashrrev_i32_e32 v5, 31, v4
	v_lshlrev_b64 v[6:7], 3, v[6:7]
	v_lshlrev_b64 v[8:9], 3, v[4:5]
	s_add_u32 s0, s18, s0
	v_add_co_u32_e64 v5, s[2:3], v6, v8
	v_addc_co_u32_e64 v6, s[2:3], v7, v9, s[2:3]
	v_mad_i64_i32 v[7:8], s[2:3], s14, v1, 0
	s_addc_u32 s1, s19, s1
	s_load_dwordx2 s[18:19], s[0:1], 0x0
	s_waitcnt lgkmcnt(0)
	v_mov_b32_e32 v9, s23
	v_add_co_u32_e64 v5, s[2:3], s22, v5
	v_addc_co_u32_e64 v6, s[2:3], v9, v6, s[2:3]
	v_lshlrev_b64 v[7:8], 3, v[7:8]
	v_lshlrev_b64 v[9:10], 3, v[2:3]
	v_cmp_gt_i32_e64 s[0:1], s20, v4
	v_add_co_u32_e64 v7, s[2:3], v7, v9
	v_addc_co_u32_e64 v8, s[2:3], v8, v10, s[2:3]
	v_mov_b32_e32 v9, s19
	v_add_co_u32_e64 v7, s[2:3], s18, v7
	v_addc_co_u32_e64 v8, s[2:3], v9, v8, s[2:3]
	s_lshl_b64 s[6:7], s[6:7], 7
	s_lshl_b64 s[2:3], s[14:15], 7
	v_add_u32_e32 v14, v13, v11
	v_mov_b32_e32 v9, 0
	s_xor_b64 s[14:15], vcc, -1
	s_xor_b64 s[0:1], s[0:1], -1
	v_mov_b32_e32 v17, s7
	v_mov_b32_e32 v18, s3
	;; [unrolled: 1-line block ×4, first 2 shown]
	s_branch .LBB828_3
.LBB828_2:                              ;   in Loop: Header=BB828_3 Depth=1
	s_or_b64 exec, exec, s[18:19]
	ds_write_b32 v14, v10 offset:4
	s_waitcnt lgkmcnt(0)
	s_barrier
	ds_read2_b64 v[19:22], v11 offset1:16
	ds_read_b128 v[23:26], v13
	ds_read_b128 v[27:30], v13 offset:16
	ds_read2_b64 v[31:34], v11 offset0:32 offset1:48
	v_add_co_u32_e32 v5, vcc, s6, v5
	s_waitcnt lgkmcnt(2)
	v_mul_f32_e32 v10, v24, v20
	v_mul_f32_e32 v35, v23, v20
	v_fma_f32 v10, v23, v19, -v10
	v_fmac_f32_e32 v35, v24, v19
	v_mul_f32_e32 v19, v26, v22
	v_fma_f32 v36, v25, v21, -v19
	v_mul_f32_e32 v37, v25, v22
	s_waitcnt lgkmcnt(0)
	v_mul_f32_e32 v19, v28, v32
	v_fmac_f32_e32 v37, v26, v21
	v_fma_f32 v38, v27, v31, -v19
	ds_read2_b64 v[19:22], v11 offset0:64 offset1:80
	ds_read_b128 v[23:26], v13 offset:32
	v_mul_f32_e32 v39, v27, v32
	v_fmac_f32_e32 v39, v28, v31
	v_mul_f32_e32 v27, v30, v34
	v_mul_f32_e32 v41, v29, v34
	s_waitcnt lgkmcnt(0)
	v_mul_f32_e32 v31, v24, v20
	v_fma_f32 v40, v29, v33, -v27
	v_fmac_f32_e32 v41, v30, v33
	ds_read_b128 v[27:30], v13 offset:48
	v_fma_f32 v42, v23, v19, -v31
	ds_read2_b64 v[31:34], v11 offset0:96 offset1:112
	v_mul_f32_e32 v43, v23, v20
	v_fmac_f32_e32 v43, v24, v19
	v_mul_f32_e32 v19, v26, v22
	v_fma_f32 v44, v25, v21, -v19
	v_mul_f32_e32 v45, v25, v22
	s_waitcnt lgkmcnt(0)
	v_mul_f32_e32 v19, v28, v32
	v_fmac_f32_e32 v45, v26, v21
	v_fma_f32 v46, v27, v31, -v19
	ds_read2_b64 v[19:22], v11 offset0:128 offset1:144
	ds_read_b128 v[23:26], v13 offset:64
	v_mul_f32_e32 v47, v27, v32
	v_fmac_f32_e32 v47, v28, v31
	v_mul_f32_e32 v27, v30, v34
	v_mul_f32_e32 v49, v29, v34
	s_waitcnt lgkmcnt(0)
	v_mul_f32_e32 v31, v24, v20
	v_fma_f32 v48, v29, v33, -v27
	v_fmac_f32_e32 v49, v30, v33
	ds_read_b128 v[27:30], v13 offset:80
	v_fma_f32 v50, v23, v19, -v31
	ds_read2_b64 v[31:34], v11 offset0:160 offset1:176
	v_mul_f32_e32 v51, v23, v20
	v_fmac_f32_e32 v51, v24, v19
	v_mul_f32_e32 v19, v26, v22
	v_fma_f32 v52, v25, v21, -v19
	v_mul_f32_e32 v53, v25, v22
	s_waitcnt lgkmcnt(0)
	v_mul_f32_e32 v19, v28, v32
	v_add_f32_e32 v10, v16, v10
	v_add_f32_e32 v15, v15, v35
	v_fmac_f32_e32 v53, v26, v21
	v_fma_f32 v54, v27, v31, -v19
	ds_read2_b64 v[19:22], v11 offset0:192 offset1:208
	ds_read_b128 v[23:26], v13 offset:96
	v_add_f32_e32 v10, v10, v36
	v_add_f32_e32 v15, v15, v37
	;; [unrolled: 1-line block ×8, first 2 shown]
	v_mul_f32_e32 v55, v27, v32
	v_add_f32_e32 v10, v10, v44
	v_add_f32_e32 v15, v15, v45
	v_fmac_f32_e32 v55, v28, v31
	v_mul_f32_e32 v27, v30, v34
	v_mul_f32_e32 v57, v29, v34
	s_waitcnt lgkmcnt(0)
	v_mul_f32_e32 v31, v24, v20
	v_add_f32_e32 v10, v10, v46
	v_add_f32_e32 v15, v15, v47
	v_fma_f32 v56, v29, v33, -v27
	v_fmac_f32_e32 v57, v30, v33
	ds_read_b128 v[27:30], v13 offset:112
	v_fma_f32 v58, v23, v19, -v31
	ds_read2_b64 v[31:34], v11 offset0:224 offset1:240
	v_add_f32_e32 v10, v10, v48
	v_add_f32_e32 v15, v15, v49
	;; [unrolled: 1-line block ×6, first 2 shown]
	v_mul_f32_e32 v20, v23, v20
	v_add_f32_e32 v10, v10, v54
	v_add_f32_e32 v15, v15, v55
	v_fmac_f32_e32 v20, v24, v19
	v_mul_f32_e32 v19, v26, v22
	v_mul_f32_e32 v22, v25, v22
	v_add_f32_e32 v10, v10, v56
	v_add_f32_e32 v15, v15, v57
	v_fma_f32 v19, v25, v21, -v19
	v_fmac_f32_e32 v22, v26, v21
	s_waitcnt lgkmcnt(0)
	v_mul_f32_e32 v21, v28, v32
	v_mul_f32_e32 v23, v27, v32
	v_add_f32_e32 v10, v10, v58
	v_add_f32_e32 v15, v15, v20
	v_fma_f32 v21, v27, v31, -v21
	v_fmac_f32_e32 v23, v28, v31
	v_mul_f32_e32 v24, v30, v34
	v_mul_f32_e32 v25, v29, v34
	v_add_f32_e32 v10, v10, v19
	v_add_f32_e32 v15, v15, v22
	v_addc_co_u32_e32 v6, vcc, v6, v17, vcc
	v_fma_f32 v24, v29, v33, -v24
	v_fmac_f32_e32 v25, v30, v33
	v_add_f32_e32 v10, v10, v21
	v_add_f32_e32 v15, v15, v23
	s_add_i32 s9, s9, 16
	v_add_co_u32_e32 v7, vcc, s2, v7
	v_add_f32_e32 v16, v10, v24
	v_add_f32_e32 v15, v15, v25
	s_cmp_ge_i32 s9, s21
	v_addc_co_u32_e32 v8, vcc, v8, v18, vcc
	s_barrier
	s_cbranch_scc1 .LBB828_12
.LBB828_3:                              ; =>This Inner Loop Header: Depth=1
	v_add_u32_e32 v10, s9, v1
	v_cmp_le_i32_e32 vcc, s21, v10
	s_or_b64 s[18:19], s[14:15], vcc
	s_and_saveexec_b64 s[22:23], s[18:19]
	s_xor_b64 s[18:19], exec, s[22:23]
; %bb.4:                                ;   in Loop: Header=BB828_3 Depth=1
	v_mov_b32_e32 v10, v9
	ds_write_b64 v12, v[9:10]
; %bb.5:                                ;   in Loop: Header=BB828_3 Depth=1
	s_andn2_saveexec_b64 s[18:19], s[18:19]
	s_cbranch_execz .LBB828_7
; %bb.6:                                ;   in Loop: Header=BB828_3 Depth=1
	flat_load_dwordx2 v[19:20], v[7:8]
	s_waitcnt vmcnt(0) lgkmcnt(0)
	ds_write_b64 v12, v[19:20]
.LBB828_7:                              ;   in Loop: Header=BB828_3 Depth=1
	s_or_b64 exec, exec, s[18:19]
	v_add_u32_e32 v10, s9, v0
	v_cmp_le_i32_e32 vcc, s21, v10
	s_or_b64 s[18:19], s[0:1], vcc
	s_and_saveexec_b64 s[22:23], s[18:19]
	s_xor_b64 s[18:19], exec, s[22:23]
; %bb.8:                                ;   in Loop: Header=BB828_3 Depth=1
	ds_write_b32 v14, v9
; %bb.9:                                ;   in Loop: Header=BB828_3 Depth=1
	s_or_saveexec_b64 s[18:19], s[18:19]
	v_mov_b32_e32 v10, 0
	s_xor_b64 exec, exec, s[18:19]
	s_cbranch_execz .LBB828_2
; %bb.10:                               ;   in Loop: Header=BB828_3 Depth=1
	flat_load_dwordx2 v[19:20], v[5:6]
	s_waitcnt vmcnt(0) lgkmcnt(0)
	v_xor_b32_e32 v10, 0x80000000, v20
	ds_write_b32 v14, v19
	s_branch .LBB828_2
.LBB828_11:
	v_mov_b32_e32 v15, 0
	v_mov_b32_e32 v16, 0
.LBB828_12:
	v_cmp_le_i32_e32 vcc, v4, v2
	v_cmp_gt_i32_e64 s[0:1], s20, v2
	s_and_b64 s[0:1], vcc, s[0:1]
	s_and_saveexec_b64 s[2:3], s[0:1]
	s_cbranch_execz .LBB828_15
; %bb.13:
	s_load_dword s0, s[4:5], 0x50
	s_waitcnt lgkmcnt(0)
	v_mov_b32_e32 v7, s11
	v_lshlrev_b64 v[5:6], 3, v[2:3]
	v_mul_f32_e32 v3, s17, v15
	v_fma_f32 v3, v16, s16, -v3
	v_mad_i64_i32 v[0:1], s[0:1], s0, v4, 0
	v_lshlrev_b64 v[0:1], 3, v[0:1]
	v_add_co_u32_e32 v0, vcc, s10, v0
	v_addc_co_u32_e32 v1, vcc, v7, v1, vcc
	v_add_co_u32_e32 v0, vcc, v0, v5
	v_addc_co_u32_e32 v1, vcc, v1, v6, vcc
	flat_load_dwordx2 v[5:6], v[0:1]
	v_mul_f32_e32 v7, s16, v15
	v_fmac_f32_e32 v7, s17, v16
	v_cmp_eq_u32_e32 vcc, v2, v4
	s_waitcnt vmcnt(0) lgkmcnt(0)
	v_mul_f32_e32 v8, s13, v6
	v_mul_f32_e32 v6, s12, v6
	v_fma_f32 v8, v5, s12, -v8
	v_fmac_f32_e32 v6, s13, v5
	v_add_f32_e32 v5, v3, v8
	v_add_f32_e32 v6, v7, v6
	flat_store_dwordx2 v[0:1], v[5:6]
	s_and_b64 exec, exec, vcc
	s_cbranch_execz .LBB828_15
; %bb.14:
	v_mov_b32_e32 v2, 0
	flat_store_dword v[0:1], v2 offset:4
.LBB828_15:
	s_endpgm
	.section	.rodata,"a",@progbits
	.p2align	6, 0x0
	.amdhsa_kernel _ZL32rocblas_syrkx_herkx_small_kernelIi19rocblas_complex_numIfELi16ELb0ELb1ELc78ELc76EKPKS1_KPS1_EviT_T0_PT6_S7_lSA_S7_lS8_PT7_S7_li
		.amdhsa_group_segment_fixed_size 4096
		.amdhsa_private_segment_fixed_size 0
		.amdhsa_kernarg_size 100
		.amdhsa_user_sgpr_count 6
		.amdhsa_user_sgpr_private_segment_buffer 1
		.amdhsa_user_sgpr_dispatch_ptr 0
		.amdhsa_user_sgpr_queue_ptr 0
		.amdhsa_user_sgpr_kernarg_segment_ptr 1
		.amdhsa_user_sgpr_dispatch_id 0
		.amdhsa_user_sgpr_flat_scratch_init 0
		.amdhsa_user_sgpr_private_segment_size 0
		.amdhsa_uses_dynamic_stack 0
		.amdhsa_system_sgpr_private_segment_wavefront_offset 0
		.amdhsa_system_sgpr_workgroup_id_x 1
		.amdhsa_system_sgpr_workgroup_id_y 1
		.amdhsa_system_sgpr_workgroup_id_z 1
		.amdhsa_system_sgpr_workgroup_info 0
		.amdhsa_system_vgpr_workitem_id 1
		.amdhsa_next_free_vgpr 59
		.amdhsa_next_free_sgpr 24
		.amdhsa_reserve_vcc 1
		.amdhsa_reserve_flat_scratch 0
		.amdhsa_float_round_mode_32 0
		.amdhsa_float_round_mode_16_64 0
		.amdhsa_float_denorm_mode_32 3
		.amdhsa_float_denorm_mode_16_64 3
		.amdhsa_dx10_clamp 1
		.amdhsa_ieee_mode 1
		.amdhsa_fp16_overflow 0
		.amdhsa_exception_fp_ieee_invalid_op 0
		.amdhsa_exception_fp_denorm_src 0
		.amdhsa_exception_fp_ieee_div_zero 0
		.amdhsa_exception_fp_ieee_overflow 0
		.amdhsa_exception_fp_ieee_underflow 0
		.amdhsa_exception_fp_ieee_inexact 0
		.amdhsa_exception_int_div_zero 0
	.end_amdhsa_kernel
	.section	.text._ZL32rocblas_syrkx_herkx_small_kernelIi19rocblas_complex_numIfELi16ELb0ELb1ELc78ELc76EKPKS1_KPS1_EviT_T0_PT6_S7_lSA_S7_lS8_PT7_S7_li,"axG",@progbits,_ZL32rocblas_syrkx_herkx_small_kernelIi19rocblas_complex_numIfELi16ELb0ELb1ELc78ELc76EKPKS1_KPS1_EviT_T0_PT6_S7_lSA_S7_lS8_PT7_S7_li,comdat
.Lfunc_end828:
	.size	_ZL32rocblas_syrkx_herkx_small_kernelIi19rocblas_complex_numIfELi16ELb0ELb1ELc78ELc76EKPKS1_KPS1_EviT_T0_PT6_S7_lSA_S7_lS8_PT7_S7_li, .Lfunc_end828-_ZL32rocblas_syrkx_herkx_small_kernelIi19rocblas_complex_numIfELi16ELb0ELb1ELc78ELc76EKPKS1_KPS1_EviT_T0_PT6_S7_lSA_S7_lS8_PT7_S7_li
                                        ; -- End function
	.set _ZL32rocblas_syrkx_herkx_small_kernelIi19rocblas_complex_numIfELi16ELb0ELb1ELc78ELc76EKPKS1_KPS1_EviT_T0_PT6_S7_lSA_S7_lS8_PT7_S7_li.num_vgpr, 59
	.set _ZL32rocblas_syrkx_herkx_small_kernelIi19rocblas_complex_numIfELi16ELb0ELb1ELc78ELc76EKPKS1_KPS1_EviT_T0_PT6_S7_lSA_S7_lS8_PT7_S7_li.num_agpr, 0
	.set _ZL32rocblas_syrkx_herkx_small_kernelIi19rocblas_complex_numIfELi16ELb0ELb1ELc78ELc76EKPKS1_KPS1_EviT_T0_PT6_S7_lSA_S7_lS8_PT7_S7_li.numbered_sgpr, 24
	.set _ZL32rocblas_syrkx_herkx_small_kernelIi19rocblas_complex_numIfELi16ELb0ELb1ELc78ELc76EKPKS1_KPS1_EviT_T0_PT6_S7_lSA_S7_lS8_PT7_S7_li.num_named_barrier, 0
	.set _ZL32rocblas_syrkx_herkx_small_kernelIi19rocblas_complex_numIfELi16ELb0ELb1ELc78ELc76EKPKS1_KPS1_EviT_T0_PT6_S7_lSA_S7_lS8_PT7_S7_li.private_seg_size, 0
	.set _ZL32rocblas_syrkx_herkx_small_kernelIi19rocblas_complex_numIfELi16ELb0ELb1ELc78ELc76EKPKS1_KPS1_EviT_T0_PT6_S7_lSA_S7_lS8_PT7_S7_li.uses_vcc, 1
	.set _ZL32rocblas_syrkx_herkx_small_kernelIi19rocblas_complex_numIfELi16ELb0ELb1ELc78ELc76EKPKS1_KPS1_EviT_T0_PT6_S7_lSA_S7_lS8_PT7_S7_li.uses_flat_scratch, 0
	.set _ZL32rocblas_syrkx_herkx_small_kernelIi19rocblas_complex_numIfELi16ELb0ELb1ELc78ELc76EKPKS1_KPS1_EviT_T0_PT6_S7_lSA_S7_lS8_PT7_S7_li.has_dyn_sized_stack, 0
	.set _ZL32rocblas_syrkx_herkx_small_kernelIi19rocblas_complex_numIfELi16ELb0ELb1ELc78ELc76EKPKS1_KPS1_EviT_T0_PT6_S7_lSA_S7_lS8_PT7_S7_li.has_recursion, 0
	.set _ZL32rocblas_syrkx_herkx_small_kernelIi19rocblas_complex_numIfELi16ELb0ELb1ELc78ELc76EKPKS1_KPS1_EviT_T0_PT6_S7_lSA_S7_lS8_PT7_S7_li.has_indirect_call, 0
	.section	.AMDGPU.csdata,"",@progbits
; Kernel info:
; codeLenInByte = 1336
; TotalNumSgprs: 28
; NumVgprs: 59
; ScratchSize: 0
; MemoryBound: 1
; FloatMode: 240
; IeeeMode: 1
; LDSByteSize: 4096 bytes/workgroup (compile time only)
; SGPRBlocks: 3
; VGPRBlocks: 14
; NumSGPRsForWavesPerEU: 28
; NumVGPRsForWavesPerEU: 59
; Occupancy: 4
; WaveLimiterHint : 1
; COMPUTE_PGM_RSRC2:SCRATCH_EN: 0
; COMPUTE_PGM_RSRC2:USER_SGPR: 6
; COMPUTE_PGM_RSRC2:TRAP_HANDLER: 0
; COMPUTE_PGM_RSRC2:TGID_X_EN: 1
; COMPUTE_PGM_RSRC2:TGID_Y_EN: 1
; COMPUTE_PGM_RSRC2:TGID_Z_EN: 1
; COMPUTE_PGM_RSRC2:TIDIG_COMP_CNT: 1
	.section	.text._ZL32rocblas_syrkx_herkx_small_kernelIi19rocblas_complex_numIfELi16ELb0ELb1ELc84ELc85EKPKS1_KPS1_EviT_T0_PT6_S7_lSA_S7_lS8_PT7_S7_li,"axG",@progbits,_ZL32rocblas_syrkx_herkx_small_kernelIi19rocblas_complex_numIfELi16ELb0ELb1ELc84ELc85EKPKS1_KPS1_EviT_T0_PT6_S7_lSA_S7_lS8_PT7_S7_li,comdat
	.globl	_ZL32rocblas_syrkx_herkx_small_kernelIi19rocblas_complex_numIfELi16ELb0ELb1ELc84ELc85EKPKS1_KPS1_EviT_T0_PT6_S7_lSA_S7_lS8_PT7_S7_li ; -- Begin function _ZL32rocblas_syrkx_herkx_small_kernelIi19rocblas_complex_numIfELi16ELb0ELb1ELc84ELc85EKPKS1_KPS1_EviT_T0_PT6_S7_lSA_S7_lS8_PT7_S7_li
	.p2align	8
	.type	_ZL32rocblas_syrkx_herkx_small_kernelIi19rocblas_complex_numIfELi16ELb0ELb1ELc84ELc85EKPKS1_KPS1_EviT_T0_PT6_S7_lSA_S7_lS8_PT7_S7_li,@function
_ZL32rocblas_syrkx_herkx_small_kernelIi19rocblas_complex_numIfELi16ELb0ELb1ELc84ELc85EKPKS1_KPS1_EviT_T0_PT6_S7_lSA_S7_lS8_PT7_S7_li: ; @_ZL32rocblas_syrkx_herkx_small_kernelIi19rocblas_complex_numIfELi16ELb0ELb1ELc84ELc85EKPKS1_KPS1_EviT_T0_PT6_S7_lSA_S7_lS8_PT7_S7_li
; %bb.0:
	s_load_dwordx4 s[12:15], s[4:5], 0x40
	s_load_dwordx2 s[20:21], s[4:5], 0x0
	s_load_dwordx4 s[16:19], s[4:5], 0x8
	s_mov_b32 s9, 0
	s_lshl_b64 s[2:3], s[8:9], 3
	s_waitcnt lgkmcnt(0)
	s_add_u32 s0, s14, s2
	s_addc_u32 s1, s15, s3
	s_load_dwordx2 s[10:11], s[0:1], 0x0
	v_lshl_add_u32 v9, s7, 4, v1
	v_lshl_add_u32 v2, s6, 4, v0
	s_cmp_lt_i32 s21, 1
	v_cmp_gt_i32_e32 vcc, s20, v9
	s_cbranch_scc1 .LBB829_11
; %bb.1:
	s_load_dwordx2 s[6:7], s[4:5], 0x28
	s_load_dword s8, s[4:5], 0x18
	s_load_dword s22, s[4:5], 0x30
	v_lshlrev_b32_e32 v5, 7, v1
	v_lshlrev_b32_e32 v10, 3, v0
	s_waitcnt lgkmcnt(0)
	s_add_u32 s6, s6, s2
	s_addc_u32 s7, s7, s3
	s_add_u32 s2, s18, s2
	s_addc_u32 s3, s19, s3
	s_load_dwordx2 s[14:15], s[2:3], 0x0
	v_mad_i64_i32 v[3:4], s[2:3], s22, v9, 0
	v_add_u32_e32 v11, v10, v5
	v_add_u32_e32 v12, 0x800, v5
	v_lshlrev_b64 v[4:5], 3, v[3:4]
	s_load_dwordx2 s[6:7], s[6:7], 0x0
	v_add_co_u32_e64 v4, s[2:3], v4, v10
	v_addc_co_u32_e64 v6, s[2:3], 0, v5, s[2:3]
	v_mad_i64_i32 v[7:8], s[2:3], s8, v2, 0
	s_waitcnt lgkmcnt(0)
	v_mov_b32_e32 v14, s7
	v_add_co_u32_e64 v5, s[2:3], s6, v4
	v_lshlrev_b64 v[7:8], 3, v[7:8]
	v_addc_co_u32_e64 v6, s[2:3], v14, v6, s[2:3]
	v_lshlrev_b32_e32 v4, 3, v1
	v_add_co_u32_e64 v4, s[2:3], v7, v4
	v_addc_co_u32_e64 v8, s[2:3], 0, v8, s[2:3]
	v_mov_b32_e32 v14, s15
	v_add_co_u32_e64 v7, s[2:3], s14, v4
	v_cmp_gt_i32_e64 s[0:1], s20, v2
	v_addc_co_u32_e64 v8, s[2:3], v14, v8, s[2:3]
	v_add_u32_e32 v13, v12, v10
	v_mov_b32_e32 v3, 0
	s_xor_b64 s[0:1], s[0:1], -1
	s_xor_b64 s[2:3], vcc, -1
	v_mov_b32_e32 v14, 0
	v_mov_b32_e32 v15, 0
	s_branch .LBB829_3
.LBB829_2:                              ;   in Loop: Header=BB829_3 Depth=1
	s_or_b64 exec, exec, s[6:7]
	s_waitcnt lgkmcnt(0)
	s_barrier
	ds_read2_b64 v[16:19], v10 offset1:16
	ds_read_b128 v[20:23], v12
	ds_read_b128 v[24:27], v12 offset:16
	ds_read2_b64 v[28:31], v10 offset0:32 offset1:48
	v_add_co_u32_e32 v5, vcc, 0x80, v5
	s_waitcnt lgkmcnt(2)
	v_mul_f32_e32 v4, v21, v17
	v_mul_f32_e32 v32, v20, v17
	v_fma_f32 v4, v20, v16, -v4
	v_fmac_f32_e32 v32, v21, v16
	v_mul_f32_e32 v16, v23, v19
	v_fma_f32 v33, v22, v18, -v16
	v_mul_f32_e32 v34, v22, v19
	s_waitcnt lgkmcnt(0)
	v_mul_f32_e32 v16, v25, v29
	v_fmac_f32_e32 v34, v23, v18
	v_fma_f32 v35, v24, v28, -v16
	ds_read2_b64 v[16:19], v10 offset0:64 offset1:80
	ds_read_b128 v[20:23], v12 offset:32
	v_mul_f32_e32 v36, v24, v29
	v_fmac_f32_e32 v36, v25, v28
	v_mul_f32_e32 v24, v27, v31
	v_mul_f32_e32 v38, v26, v31
	s_waitcnt lgkmcnt(0)
	v_mul_f32_e32 v28, v21, v17
	v_fma_f32 v37, v26, v30, -v24
	v_fmac_f32_e32 v38, v27, v30
	ds_read_b128 v[24:27], v12 offset:48
	v_fma_f32 v39, v20, v16, -v28
	ds_read2_b64 v[28:31], v10 offset0:96 offset1:112
	v_mul_f32_e32 v40, v20, v17
	v_fmac_f32_e32 v40, v21, v16
	v_mul_f32_e32 v16, v23, v19
	v_fma_f32 v41, v22, v18, -v16
	v_mul_f32_e32 v42, v22, v19
	s_waitcnt lgkmcnt(0)
	v_mul_f32_e32 v16, v25, v29
	v_fmac_f32_e32 v42, v23, v18
	v_fma_f32 v43, v24, v28, -v16
	ds_read2_b64 v[16:19], v10 offset0:128 offset1:144
	ds_read_b128 v[20:23], v12 offset:64
	v_mul_f32_e32 v44, v24, v29
	v_fmac_f32_e32 v44, v25, v28
	v_mul_f32_e32 v24, v27, v31
	v_mul_f32_e32 v46, v26, v31
	s_waitcnt lgkmcnt(0)
	v_mul_f32_e32 v28, v21, v17
	v_fma_f32 v45, v26, v30, -v24
	v_fmac_f32_e32 v46, v27, v30
	ds_read_b128 v[24:27], v12 offset:80
	v_fma_f32 v47, v20, v16, -v28
	ds_read2_b64 v[28:31], v10 offset0:160 offset1:176
	v_mul_f32_e32 v48, v20, v17
	v_add_f32_e32 v14, v14, v32
	v_fmac_f32_e32 v48, v21, v16
	v_mul_f32_e32 v16, v23, v19
	v_add_f32_e32 v14, v14, v34
	v_fma_f32 v49, v22, v18, -v16
	v_mul_f32_e32 v50, v22, v19
	s_waitcnt lgkmcnt(0)
	v_mul_f32_e32 v16, v25, v29
	v_add_f32_e32 v14, v14, v36
	v_fmac_f32_e32 v50, v23, v18
	v_fma_f32 v51, v24, v28, -v16
	ds_read2_b64 v[16:19], v10 offset0:192 offset1:208
	ds_read_b128 v[20:23], v12 offset:96
	v_add_f32_e32 v14, v14, v38
	v_add_f32_e32 v14, v14, v40
	;; [unrolled: 1-line block ×6, first 2 shown]
	v_mul_f32_e32 v29, v24, v29
	v_mul_f32_e32 v24, v27, v31
	v_mul_f32_e32 v31, v26, v31
	v_add_f32_e32 v4, v4, v35
	v_add_f32_e32 v14, v14, v46
	v_fmac_f32_e32 v29, v25, v28
	v_fma_f32 v28, v26, v30, -v24
	v_fmac_f32_e32 v31, v27, v30
	s_waitcnt lgkmcnt(0)
	v_mul_f32_e32 v30, v21, v17
	v_add_f32_e32 v4, v4, v37
	v_add_f32_e32 v14, v14, v48
	v_fma_f32 v30, v20, v16, -v30
	v_mul_f32_e32 v20, v20, v17
	v_add_f32_e32 v4, v4, v39
	v_add_f32_e32 v14, v14, v50
	v_fmac_f32_e32 v20, v21, v16
	v_mul_f32_e32 v16, v23, v19
	v_mul_f32_e32 v19, v22, v19
	v_add_f32_e32 v4, v4, v41
	v_add_f32_e32 v14, v14, v29
	ds_read_b128 v[24:27], v12 offset:112
	v_fma_f32 v21, v22, v18, -v16
	v_fmac_f32_e32 v19, v23, v18
	v_add_f32_e32 v4, v4, v43
	v_add_f32_e32 v18, v14, v31
	ds_read2_b64 v[14:17], v10 offset0:224 offset1:240
	v_add_f32_e32 v4, v4, v45
	v_add_f32_e32 v4, v4, v47
	;; [unrolled: 1-line block ×7, first 2 shown]
	s_waitcnt lgkmcnt(0)
	v_mul_f32_e32 v19, v25, v15
	v_mul_f32_e32 v15, v24, v15
	v_add_f32_e32 v4, v4, v30
	v_fmac_f32_e32 v15, v25, v14
	v_add_f32_e32 v4, v4, v21
	v_fma_f32 v19, v24, v14, -v19
	v_add_f32_e32 v14, v18, v15
	v_mul_f32_e32 v15, v27, v17
	v_mul_f32_e32 v17, v26, v17
	v_addc_co_u32_e32 v6, vcc, 0, v6, vcc
	v_add_f32_e32 v4, v4, v19
	v_fma_f32 v15, v26, v16, -v15
	v_fmac_f32_e32 v17, v27, v16
	s_add_i32 s9, s9, 16
	v_add_co_u32_e32 v7, vcc, 0x80, v7
	v_add_f32_e32 v15, v4, v15
	v_add_f32_e32 v14, v14, v17
	s_cmp_ge_i32 s9, s21
	v_addc_co_u32_e32 v8, vcc, 0, v8, vcc
	s_barrier
	s_cbranch_scc1 .LBB829_12
.LBB829_3:                              ; =>This Inner Loop Header: Depth=1
	v_add_u32_e32 v4, s9, v1
	v_cmp_le_i32_e32 vcc, s21, v4
	s_or_b64 s[6:7], s[0:1], vcc
	s_and_saveexec_b64 s[14:15], s[6:7]
	s_xor_b64 s[6:7], exec, s[14:15]
; %bb.4:                                ;   in Loop: Header=BB829_3 Depth=1
	v_mov_b32_e32 v4, v3
	ds_write_b64 v11, v[3:4]
; %bb.5:                                ;   in Loop: Header=BB829_3 Depth=1
	s_andn2_saveexec_b64 s[6:7], s[6:7]
	s_cbranch_execz .LBB829_7
; %bb.6:                                ;   in Loop: Header=BB829_3 Depth=1
	flat_load_dwordx2 v[16:17], v[7:8]
	s_waitcnt vmcnt(0) lgkmcnt(0)
	ds_write_b64 v11, v[16:17]
.LBB829_7:                              ;   in Loop: Header=BB829_3 Depth=1
	s_or_b64 exec, exec, s[6:7]
	v_add_u32_e32 v4, s9, v0
	v_cmp_le_i32_e32 vcc, s21, v4
	s_or_b64 s[6:7], s[2:3], vcc
	s_and_saveexec_b64 s[14:15], s[6:7]
	s_xor_b64 s[6:7], exec, s[14:15]
; %bb.8:                                ;   in Loop: Header=BB829_3 Depth=1
	v_mov_b32_e32 v4, v3
	ds_write_b64 v13, v[3:4]
; %bb.9:                                ;   in Loop: Header=BB829_3 Depth=1
	s_andn2_saveexec_b64 s[6:7], s[6:7]
	s_cbranch_execz .LBB829_2
; %bb.10:                               ;   in Loop: Header=BB829_3 Depth=1
	flat_load_dwordx2 v[16:17], v[5:6]
	s_waitcnt vmcnt(0) lgkmcnt(0)
	ds_write_b64 v13, v[16:17]
	s_branch .LBB829_2
.LBB829_11:
	v_mov_b32_e32 v14, 0
	v_mov_b32_e32 v15, 0
.LBB829_12:
	v_cmp_le_i32_e32 vcc, v2, v9
	v_cmp_gt_i32_e64 s[0:1], s20, v9
	s_and_b64 s[0:1], vcc, s[0:1]
	s_and_saveexec_b64 s[2:3], s[0:1]
	s_cbranch_execz .LBB829_15
; %bb.13:
	s_load_dword s0, s[4:5], 0x50
	v_ashrrev_i32_e32 v3, 31, v2
	s_waitcnt lgkmcnt(0)
	v_mov_b32_e32 v5, s11
	v_lshlrev_b64 v[3:4], 3, v[2:3]
	v_mul_f32_e32 v6, s16, v14
	v_mad_i64_i32 v[0:1], s[0:1], s0, v9, 0
	v_fmac_f32_e32 v6, s17, v15
	v_lshlrev_b64 v[0:1], 3, v[0:1]
	v_add_co_u32_e32 v0, vcc, s10, v0
	v_addc_co_u32_e32 v1, vcc, v5, v1, vcc
	v_add_co_u32_e32 v0, vcc, v0, v3
	v_addc_co_u32_e32 v1, vcc, v1, v4, vcc
	flat_load_dwordx2 v[3:4], v[0:1]
	v_mul_f32_e32 v5, s17, v14
	v_fma_f32 v5, v15, s16, -v5
	v_cmp_eq_u32_e32 vcc, v2, v9
	s_waitcnt vmcnt(0) lgkmcnt(0)
	v_mul_f32_e32 v7, s13, v4
	v_mul_f32_e32 v4, s12, v4
	v_fma_f32 v7, v3, s12, -v7
	v_fmac_f32_e32 v4, s13, v3
	v_add_f32_e32 v3, v5, v7
	v_add_f32_e32 v4, v6, v4
	flat_store_dwordx2 v[0:1], v[3:4]
	s_and_b64 exec, exec, vcc
	s_cbranch_execz .LBB829_15
; %bb.14:
	v_mov_b32_e32 v2, 0
	flat_store_dword v[0:1], v2 offset:4
.LBB829_15:
	s_endpgm
	.section	.rodata,"a",@progbits
	.p2align	6, 0x0
	.amdhsa_kernel _ZL32rocblas_syrkx_herkx_small_kernelIi19rocblas_complex_numIfELi16ELb0ELb1ELc84ELc85EKPKS1_KPS1_EviT_T0_PT6_S7_lSA_S7_lS8_PT7_S7_li
		.amdhsa_group_segment_fixed_size 4096
		.amdhsa_private_segment_fixed_size 0
		.amdhsa_kernarg_size 100
		.amdhsa_user_sgpr_count 6
		.amdhsa_user_sgpr_private_segment_buffer 1
		.amdhsa_user_sgpr_dispatch_ptr 0
		.amdhsa_user_sgpr_queue_ptr 0
		.amdhsa_user_sgpr_kernarg_segment_ptr 1
		.amdhsa_user_sgpr_dispatch_id 0
		.amdhsa_user_sgpr_flat_scratch_init 0
		.amdhsa_user_sgpr_private_segment_size 0
		.amdhsa_uses_dynamic_stack 0
		.amdhsa_system_sgpr_private_segment_wavefront_offset 0
		.amdhsa_system_sgpr_workgroup_id_x 1
		.amdhsa_system_sgpr_workgroup_id_y 1
		.amdhsa_system_sgpr_workgroup_id_z 1
		.amdhsa_system_sgpr_workgroup_info 0
		.amdhsa_system_vgpr_workitem_id 1
		.amdhsa_next_free_vgpr 52
		.amdhsa_next_free_sgpr 23
		.amdhsa_reserve_vcc 1
		.amdhsa_reserve_flat_scratch 0
		.amdhsa_float_round_mode_32 0
		.amdhsa_float_round_mode_16_64 0
		.amdhsa_float_denorm_mode_32 3
		.amdhsa_float_denorm_mode_16_64 3
		.amdhsa_dx10_clamp 1
		.amdhsa_ieee_mode 1
		.amdhsa_fp16_overflow 0
		.amdhsa_exception_fp_ieee_invalid_op 0
		.amdhsa_exception_fp_denorm_src 0
		.amdhsa_exception_fp_ieee_div_zero 0
		.amdhsa_exception_fp_ieee_overflow 0
		.amdhsa_exception_fp_ieee_underflow 0
		.amdhsa_exception_fp_ieee_inexact 0
		.amdhsa_exception_int_div_zero 0
	.end_amdhsa_kernel
	.section	.text._ZL32rocblas_syrkx_herkx_small_kernelIi19rocblas_complex_numIfELi16ELb0ELb1ELc84ELc85EKPKS1_KPS1_EviT_T0_PT6_S7_lSA_S7_lS8_PT7_S7_li,"axG",@progbits,_ZL32rocblas_syrkx_herkx_small_kernelIi19rocblas_complex_numIfELi16ELb0ELb1ELc84ELc85EKPKS1_KPS1_EviT_T0_PT6_S7_lSA_S7_lS8_PT7_S7_li,comdat
.Lfunc_end829:
	.size	_ZL32rocblas_syrkx_herkx_small_kernelIi19rocblas_complex_numIfELi16ELb0ELb1ELc84ELc85EKPKS1_KPS1_EviT_T0_PT6_S7_lSA_S7_lS8_PT7_S7_li, .Lfunc_end829-_ZL32rocblas_syrkx_herkx_small_kernelIi19rocblas_complex_numIfELi16ELb0ELb1ELc84ELc85EKPKS1_KPS1_EviT_T0_PT6_S7_lSA_S7_lS8_PT7_S7_li
                                        ; -- End function
	.set _ZL32rocblas_syrkx_herkx_small_kernelIi19rocblas_complex_numIfELi16ELb0ELb1ELc84ELc85EKPKS1_KPS1_EviT_T0_PT6_S7_lSA_S7_lS8_PT7_S7_li.num_vgpr, 52
	.set _ZL32rocblas_syrkx_herkx_small_kernelIi19rocblas_complex_numIfELi16ELb0ELb1ELc84ELc85EKPKS1_KPS1_EviT_T0_PT6_S7_lSA_S7_lS8_PT7_S7_li.num_agpr, 0
	.set _ZL32rocblas_syrkx_herkx_small_kernelIi19rocblas_complex_numIfELi16ELb0ELb1ELc84ELc85EKPKS1_KPS1_EviT_T0_PT6_S7_lSA_S7_lS8_PT7_S7_li.numbered_sgpr, 23
	.set _ZL32rocblas_syrkx_herkx_small_kernelIi19rocblas_complex_numIfELi16ELb0ELb1ELc84ELc85EKPKS1_KPS1_EviT_T0_PT6_S7_lSA_S7_lS8_PT7_S7_li.num_named_barrier, 0
	.set _ZL32rocblas_syrkx_herkx_small_kernelIi19rocblas_complex_numIfELi16ELb0ELb1ELc84ELc85EKPKS1_KPS1_EviT_T0_PT6_S7_lSA_S7_lS8_PT7_S7_li.private_seg_size, 0
	.set _ZL32rocblas_syrkx_herkx_small_kernelIi19rocblas_complex_numIfELi16ELb0ELb1ELc84ELc85EKPKS1_KPS1_EviT_T0_PT6_S7_lSA_S7_lS8_PT7_S7_li.uses_vcc, 1
	.set _ZL32rocblas_syrkx_herkx_small_kernelIi19rocblas_complex_numIfELi16ELb0ELb1ELc84ELc85EKPKS1_KPS1_EviT_T0_PT6_S7_lSA_S7_lS8_PT7_S7_li.uses_flat_scratch, 0
	.set _ZL32rocblas_syrkx_herkx_small_kernelIi19rocblas_complex_numIfELi16ELb0ELb1ELc84ELc85EKPKS1_KPS1_EviT_T0_PT6_S7_lSA_S7_lS8_PT7_S7_li.has_dyn_sized_stack, 0
	.set _ZL32rocblas_syrkx_herkx_small_kernelIi19rocblas_complex_numIfELi16ELb0ELb1ELc84ELc85EKPKS1_KPS1_EviT_T0_PT6_S7_lSA_S7_lS8_PT7_S7_li.has_recursion, 0
	.set _ZL32rocblas_syrkx_herkx_small_kernelIi19rocblas_complex_numIfELi16ELb0ELb1ELc84ELc85EKPKS1_KPS1_EviT_T0_PT6_S7_lSA_S7_lS8_PT7_S7_li.has_indirect_call, 0
	.section	.AMDGPU.csdata,"",@progbits
; Kernel info:
; codeLenInByte = 1284
; TotalNumSgprs: 27
; NumVgprs: 52
; ScratchSize: 0
; MemoryBound: 1
; FloatMode: 240
; IeeeMode: 1
; LDSByteSize: 4096 bytes/workgroup (compile time only)
; SGPRBlocks: 3
; VGPRBlocks: 12
; NumSGPRsForWavesPerEU: 27
; NumVGPRsForWavesPerEU: 52
; Occupancy: 4
; WaveLimiterHint : 1
; COMPUTE_PGM_RSRC2:SCRATCH_EN: 0
; COMPUTE_PGM_RSRC2:USER_SGPR: 6
; COMPUTE_PGM_RSRC2:TRAP_HANDLER: 0
; COMPUTE_PGM_RSRC2:TGID_X_EN: 1
; COMPUTE_PGM_RSRC2:TGID_Y_EN: 1
; COMPUTE_PGM_RSRC2:TGID_Z_EN: 1
; COMPUTE_PGM_RSRC2:TIDIG_COMP_CNT: 1
	.section	.text._ZL32rocblas_syrkx_herkx_small_kernelIi19rocblas_complex_numIfELi16ELb0ELb1ELc67ELc85EKPKS1_KPS1_EviT_T0_PT6_S7_lSA_S7_lS8_PT7_S7_li,"axG",@progbits,_ZL32rocblas_syrkx_herkx_small_kernelIi19rocblas_complex_numIfELi16ELb0ELb1ELc67ELc85EKPKS1_KPS1_EviT_T0_PT6_S7_lSA_S7_lS8_PT7_S7_li,comdat
	.globl	_ZL32rocblas_syrkx_herkx_small_kernelIi19rocblas_complex_numIfELi16ELb0ELb1ELc67ELc85EKPKS1_KPS1_EviT_T0_PT6_S7_lSA_S7_lS8_PT7_S7_li ; -- Begin function _ZL32rocblas_syrkx_herkx_small_kernelIi19rocblas_complex_numIfELi16ELb0ELb1ELc67ELc85EKPKS1_KPS1_EviT_T0_PT6_S7_lSA_S7_lS8_PT7_S7_li
	.p2align	8
	.type	_ZL32rocblas_syrkx_herkx_small_kernelIi19rocblas_complex_numIfELi16ELb0ELb1ELc67ELc85EKPKS1_KPS1_EviT_T0_PT6_S7_lSA_S7_lS8_PT7_S7_li,@function
_ZL32rocblas_syrkx_herkx_small_kernelIi19rocblas_complex_numIfELi16ELb0ELb1ELc67ELc85EKPKS1_KPS1_EviT_T0_PT6_S7_lSA_S7_lS8_PT7_S7_li: ; @_ZL32rocblas_syrkx_herkx_small_kernelIi19rocblas_complex_numIfELi16ELb0ELb1ELc67ELc85EKPKS1_KPS1_EviT_T0_PT6_S7_lSA_S7_lS8_PT7_S7_li
; %bb.0:
	s_load_dwordx4 s[12:15], s[4:5], 0x40
	s_load_dwordx2 s[20:21], s[4:5], 0x0
	s_load_dwordx4 s[16:19], s[4:5], 0x8
	s_mov_b32 s9, 0
	s_lshl_b64 s[2:3], s[8:9], 3
	s_waitcnt lgkmcnt(0)
	s_add_u32 s0, s14, s2
	s_addc_u32 s1, s15, s3
	s_load_dwordx2 s[10:11], s[0:1], 0x0
	v_lshl_add_u32 v9, s7, 4, v1
	v_lshl_add_u32 v2, s6, 4, v0
	s_cmp_lt_i32 s21, 1
	v_cmp_gt_i32_e32 vcc, s20, v9
	s_cbranch_scc1 .LBB830_11
; %bb.1:
	s_load_dwordx2 s[6:7], s[4:5], 0x28
	s_load_dword s8, s[4:5], 0x18
	s_load_dword s22, s[4:5], 0x30
	v_lshlrev_b32_e32 v5, 7, v1
	v_lshlrev_b32_e32 v10, 3, v0
	s_waitcnt lgkmcnt(0)
	s_add_u32 s6, s6, s2
	s_addc_u32 s7, s7, s3
	s_add_u32 s2, s18, s2
	s_addc_u32 s3, s19, s3
	s_load_dwordx2 s[14:15], s[2:3], 0x0
	v_mad_i64_i32 v[3:4], s[2:3], s22, v9, 0
	v_add_u32_e32 v11, v10, v5
	v_add_u32_e32 v12, 0x800, v5
	v_lshlrev_b64 v[4:5], 3, v[3:4]
	s_load_dwordx2 s[6:7], s[6:7], 0x0
	v_add_co_u32_e64 v4, s[2:3], v4, v10
	v_addc_co_u32_e64 v6, s[2:3], 0, v5, s[2:3]
	v_mad_i64_i32 v[7:8], s[2:3], s8, v2, 0
	s_waitcnt lgkmcnt(0)
	v_mov_b32_e32 v14, s7
	v_add_co_u32_e64 v5, s[2:3], s6, v4
	v_lshlrev_b64 v[7:8], 3, v[7:8]
	v_addc_co_u32_e64 v6, s[2:3], v14, v6, s[2:3]
	v_lshlrev_b32_e32 v4, 3, v1
	v_add_co_u32_e64 v4, s[2:3], v7, v4
	v_addc_co_u32_e64 v8, s[2:3], 0, v8, s[2:3]
	v_mov_b32_e32 v14, s15
	v_add_co_u32_e64 v7, s[2:3], s14, v4
	v_cmp_gt_i32_e64 s[0:1], s20, v2
	v_addc_co_u32_e64 v8, s[2:3], v14, v8, s[2:3]
	v_add_u32_e32 v13, v12, v10
	v_mov_b32_e32 v3, 0
	s_xor_b64 s[0:1], s[0:1], -1
	s_xor_b64 s[2:3], vcc, -1
	v_mov_b32_e32 v14, 0
	v_mov_b32_e32 v15, 0
	s_branch .LBB830_3
.LBB830_2:                              ;   in Loop: Header=BB830_3 Depth=1
	s_or_b64 exec, exec, s[6:7]
	s_waitcnt lgkmcnt(0)
	s_barrier
	ds_read2_b64 v[16:19], v10 offset1:16
	ds_read_b128 v[20:23], v12
	ds_read_b128 v[24:27], v12 offset:16
	ds_read2_b64 v[28:31], v10 offset0:32 offset1:48
	v_add_co_u32_e32 v5, vcc, 0x80, v5
	s_waitcnt lgkmcnt(2)
	v_mul_f32_e32 v4, v21, v17
	v_mul_f32_e32 v32, v20, v17
	v_fma_f32 v4, v20, v16, -v4
	v_fmac_f32_e32 v32, v21, v16
	v_mul_f32_e32 v16, v23, v19
	v_fma_f32 v33, v22, v18, -v16
	v_mul_f32_e32 v34, v22, v19
	s_waitcnt lgkmcnt(0)
	v_mul_f32_e32 v16, v25, v29
	v_fmac_f32_e32 v34, v23, v18
	v_fma_f32 v35, v24, v28, -v16
	ds_read2_b64 v[16:19], v10 offset0:64 offset1:80
	ds_read_b128 v[20:23], v12 offset:32
	v_mul_f32_e32 v36, v24, v29
	v_fmac_f32_e32 v36, v25, v28
	v_mul_f32_e32 v24, v27, v31
	v_mul_f32_e32 v38, v26, v31
	s_waitcnt lgkmcnt(0)
	v_mul_f32_e32 v28, v21, v17
	v_fma_f32 v37, v26, v30, -v24
	v_fmac_f32_e32 v38, v27, v30
	ds_read_b128 v[24:27], v12 offset:48
	v_fma_f32 v39, v20, v16, -v28
	ds_read2_b64 v[28:31], v10 offset0:96 offset1:112
	v_mul_f32_e32 v40, v20, v17
	v_fmac_f32_e32 v40, v21, v16
	v_mul_f32_e32 v16, v23, v19
	v_fma_f32 v41, v22, v18, -v16
	v_mul_f32_e32 v42, v22, v19
	s_waitcnt lgkmcnt(0)
	v_mul_f32_e32 v16, v25, v29
	v_fmac_f32_e32 v42, v23, v18
	v_fma_f32 v43, v24, v28, -v16
	ds_read2_b64 v[16:19], v10 offset0:128 offset1:144
	ds_read_b128 v[20:23], v12 offset:64
	v_mul_f32_e32 v44, v24, v29
	v_fmac_f32_e32 v44, v25, v28
	v_mul_f32_e32 v24, v27, v31
	v_mul_f32_e32 v46, v26, v31
	s_waitcnt lgkmcnt(0)
	v_mul_f32_e32 v28, v21, v17
	v_fma_f32 v45, v26, v30, -v24
	v_fmac_f32_e32 v46, v27, v30
	ds_read_b128 v[24:27], v12 offset:80
	v_fma_f32 v47, v20, v16, -v28
	ds_read2_b64 v[28:31], v10 offset0:160 offset1:176
	v_mul_f32_e32 v48, v20, v17
	v_add_f32_e32 v14, v14, v32
	v_fmac_f32_e32 v48, v21, v16
	v_mul_f32_e32 v16, v23, v19
	v_add_f32_e32 v14, v14, v34
	v_fma_f32 v49, v22, v18, -v16
	v_mul_f32_e32 v50, v22, v19
	s_waitcnt lgkmcnt(0)
	v_mul_f32_e32 v16, v25, v29
	v_add_f32_e32 v14, v14, v36
	v_fmac_f32_e32 v50, v23, v18
	v_fma_f32 v51, v24, v28, -v16
	ds_read2_b64 v[16:19], v10 offset0:192 offset1:208
	ds_read_b128 v[20:23], v12 offset:96
	v_add_f32_e32 v14, v14, v38
	v_add_f32_e32 v14, v14, v40
	;; [unrolled: 1-line block ×6, first 2 shown]
	v_mul_f32_e32 v29, v24, v29
	v_mul_f32_e32 v24, v27, v31
	;; [unrolled: 1-line block ×3, first 2 shown]
	v_add_f32_e32 v4, v4, v35
	v_add_f32_e32 v14, v14, v46
	v_fmac_f32_e32 v29, v25, v28
	v_fma_f32 v28, v26, v30, -v24
	v_fmac_f32_e32 v31, v27, v30
	s_waitcnt lgkmcnt(0)
	v_mul_f32_e32 v30, v21, v17
	v_add_f32_e32 v4, v4, v37
	v_add_f32_e32 v14, v14, v48
	v_fma_f32 v30, v20, v16, -v30
	v_mul_f32_e32 v20, v20, v17
	v_add_f32_e32 v4, v4, v39
	v_add_f32_e32 v14, v14, v50
	v_fmac_f32_e32 v20, v21, v16
	v_mul_f32_e32 v16, v23, v19
	v_mul_f32_e32 v19, v22, v19
	v_add_f32_e32 v4, v4, v41
	v_add_f32_e32 v14, v14, v29
	ds_read_b128 v[24:27], v12 offset:112
	v_fma_f32 v21, v22, v18, -v16
	v_fmac_f32_e32 v19, v23, v18
	v_add_f32_e32 v4, v4, v43
	v_add_f32_e32 v18, v14, v31
	ds_read2_b64 v[14:17], v10 offset0:224 offset1:240
	v_add_f32_e32 v4, v4, v45
	v_add_f32_e32 v4, v4, v47
	;; [unrolled: 1-line block ×7, first 2 shown]
	s_waitcnt lgkmcnt(0)
	v_mul_f32_e32 v19, v25, v15
	v_mul_f32_e32 v15, v24, v15
	v_add_f32_e32 v4, v4, v30
	v_fmac_f32_e32 v15, v25, v14
	v_add_f32_e32 v4, v4, v21
	v_fma_f32 v19, v24, v14, -v19
	v_add_f32_e32 v14, v18, v15
	v_mul_f32_e32 v15, v27, v17
	v_mul_f32_e32 v17, v26, v17
	v_addc_co_u32_e32 v6, vcc, 0, v6, vcc
	v_add_f32_e32 v4, v4, v19
	v_fma_f32 v15, v26, v16, -v15
	v_fmac_f32_e32 v17, v27, v16
	s_add_i32 s9, s9, 16
	v_add_co_u32_e32 v7, vcc, 0x80, v7
	v_add_f32_e32 v15, v4, v15
	v_add_f32_e32 v14, v14, v17
	s_cmp_ge_i32 s9, s21
	v_addc_co_u32_e32 v8, vcc, 0, v8, vcc
	s_barrier
	s_cbranch_scc1 .LBB830_12
.LBB830_3:                              ; =>This Inner Loop Header: Depth=1
	v_add_u32_e32 v4, s9, v1
	v_cmp_le_i32_e32 vcc, s21, v4
	s_or_b64 s[6:7], s[0:1], vcc
	s_and_saveexec_b64 s[14:15], s[6:7]
	s_xor_b64 s[6:7], exec, s[14:15]
; %bb.4:                                ;   in Loop: Header=BB830_3 Depth=1
	ds_write_b32 v11, v3
; %bb.5:                                ;   in Loop: Header=BB830_3 Depth=1
	s_or_saveexec_b64 s[6:7], s[6:7]
	v_mov_b32_e32 v4, 0
	s_xor_b64 exec, exec, s[6:7]
	s_cbranch_execz .LBB830_7
; %bb.6:                                ;   in Loop: Header=BB830_3 Depth=1
	flat_load_dwordx2 v[16:17], v[7:8]
	s_waitcnt vmcnt(0) lgkmcnt(0)
	v_xor_b32_e32 v4, 0x80000000, v17
	ds_write_b32 v11, v16
.LBB830_7:                              ;   in Loop: Header=BB830_3 Depth=1
	s_or_b64 exec, exec, s[6:7]
	ds_write_b32 v11, v4 offset:4
	v_add_u32_e32 v4, s9, v0
	v_cmp_le_i32_e32 vcc, s21, v4
	s_or_b64 s[6:7], s[2:3], vcc
	s_and_saveexec_b64 s[14:15], s[6:7]
	s_xor_b64 s[6:7], exec, s[14:15]
; %bb.8:                                ;   in Loop: Header=BB830_3 Depth=1
	v_mov_b32_e32 v4, v3
	ds_write_b64 v13, v[3:4]
; %bb.9:                                ;   in Loop: Header=BB830_3 Depth=1
	s_andn2_saveexec_b64 s[6:7], s[6:7]
	s_cbranch_execz .LBB830_2
; %bb.10:                               ;   in Loop: Header=BB830_3 Depth=1
	flat_load_dwordx2 v[16:17], v[5:6]
	s_waitcnt vmcnt(0) lgkmcnt(0)
	ds_write_b64 v13, v[16:17]
	s_branch .LBB830_2
.LBB830_11:
	v_mov_b32_e32 v14, 0
	v_mov_b32_e32 v15, 0
.LBB830_12:
	v_cmp_le_i32_e32 vcc, v2, v9
	v_cmp_gt_i32_e64 s[0:1], s20, v9
	s_and_b64 s[0:1], vcc, s[0:1]
	s_and_saveexec_b64 s[2:3], s[0:1]
	s_cbranch_execz .LBB830_15
; %bb.13:
	s_load_dword s0, s[4:5], 0x50
	v_ashrrev_i32_e32 v3, 31, v2
	s_waitcnt lgkmcnt(0)
	v_mov_b32_e32 v5, s11
	v_lshlrev_b64 v[3:4], 3, v[2:3]
	v_mul_f32_e32 v6, s16, v14
	v_mad_i64_i32 v[0:1], s[0:1], s0, v9, 0
	v_fmac_f32_e32 v6, s17, v15
	v_lshlrev_b64 v[0:1], 3, v[0:1]
	v_add_co_u32_e32 v0, vcc, s10, v0
	v_addc_co_u32_e32 v1, vcc, v5, v1, vcc
	v_add_co_u32_e32 v0, vcc, v0, v3
	v_addc_co_u32_e32 v1, vcc, v1, v4, vcc
	flat_load_dwordx2 v[3:4], v[0:1]
	v_mul_f32_e32 v5, s17, v14
	v_fma_f32 v5, v15, s16, -v5
	v_cmp_eq_u32_e32 vcc, v2, v9
	s_waitcnt vmcnt(0) lgkmcnt(0)
	v_mul_f32_e32 v7, s13, v4
	v_mul_f32_e32 v4, s12, v4
	v_fma_f32 v7, v3, s12, -v7
	v_fmac_f32_e32 v4, s13, v3
	v_add_f32_e32 v3, v5, v7
	v_add_f32_e32 v4, v6, v4
	flat_store_dwordx2 v[0:1], v[3:4]
	s_and_b64 exec, exec, vcc
	s_cbranch_execz .LBB830_15
; %bb.14:
	v_mov_b32_e32 v2, 0
	flat_store_dword v[0:1], v2 offset:4
.LBB830_15:
	s_endpgm
	.section	.rodata,"a",@progbits
	.p2align	6, 0x0
	.amdhsa_kernel _ZL32rocblas_syrkx_herkx_small_kernelIi19rocblas_complex_numIfELi16ELb0ELb1ELc67ELc85EKPKS1_KPS1_EviT_T0_PT6_S7_lSA_S7_lS8_PT7_S7_li
		.amdhsa_group_segment_fixed_size 4096
		.amdhsa_private_segment_fixed_size 0
		.amdhsa_kernarg_size 100
		.amdhsa_user_sgpr_count 6
		.amdhsa_user_sgpr_private_segment_buffer 1
		.amdhsa_user_sgpr_dispatch_ptr 0
		.amdhsa_user_sgpr_queue_ptr 0
		.amdhsa_user_sgpr_kernarg_segment_ptr 1
		.amdhsa_user_sgpr_dispatch_id 0
		.amdhsa_user_sgpr_flat_scratch_init 0
		.amdhsa_user_sgpr_private_segment_size 0
		.amdhsa_uses_dynamic_stack 0
		.amdhsa_system_sgpr_private_segment_wavefront_offset 0
		.amdhsa_system_sgpr_workgroup_id_x 1
		.amdhsa_system_sgpr_workgroup_id_y 1
		.amdhsa_system_sgpr_workgroup_id_z 1
		.amdhsa_system_sgpr_workgroup_info 0
		.amdhsa_system_vgpr_workitem_id 1
		.amdhsa_next_free_vgpr 52
		.amdhsa_next_free_sgpr 23
		.amdhsa_reserve_vcc 1
		.amdhsa_reserve_flat_scratch 0
		.amdhsa_float_round_mode_32 0
		.amdhsa_float_round_mode_16_64 0
		.amdhsa_float_denorm_mode_32 3
		.amdhsa_float_denorm_mode_16_64 3
		.amdhsa_dx10_clamp 1
		.amdhsa_ieee_mode 1
		.amdhsa_fp16_overflow 0
		.amdhsa_exception_fp_ieee_invalid_op 0
		.amdhsa_exception_fp_denorm_src 0
		.amdhsa_exception_fp_ieee_div_zero 0
		.amdhsa_exception_fp_ieee_overflow 0
		.amdhsa_exception_fp_ieee_underflow 0
		.amdhsa_exception_fp_ieee_inexact 0
		.amdhsa_exception_int_div_zero 0
	.end_amdhsa_kernel
	.section	.text._ZL32rocblas_syrkx_herkx_small_kernelIi19rocblas_complex_numIfELi16ELb0ELb1ELc67ELc85EKPKS1_KPS1_EviT_T0_PT6_S7_lSA_S7_lS8_PT7_S7_li,"axG",@progbits,_ZL32rocblas_syrkx_herkx_small_kernelIi19rocblas_complex_numIfELi16ELb0ELb1ELc67ELc85EKPKS1_KPS1_EviT_T0_PT6_S7_lSA_S7_lS8_PT7_S7_li,comdat
.Lfunc_end830:
	.size	_ZL32rocblas_syrkx_herkx_small_kernelIi19rocblas_complex_numIfELi16ELb0ELb1ELc67ELc85EKPKS1_KPS1_EviT_T0_PT6_S7_lSA_S7_lS8_PT7_S7_li, .Lfunc_end830-_ZL32rocblas_syrkx_herkx_small_kernelIi19rocblas_complex_numIfELi16ELb0ELb1ELc67ELc85EKPKS1_KPS1_EviT_T0_PT6_S7_lSA_S7_lS8_PT7_S7_li
                                        ; -- End function
	.set _ZL32rocblas_syrkx_herkx_small_kernelIi19rocblas_complex_numIfELi16ELb0ELb1ELc67ELc85EKPKS1_KPS1_EviT_T0_PT6_S7_lSA_S7_lS8_PT7_S7_li.num_vgpr, 52
	.set _ZL32rocblas_syrkx_herkx_small_kernelIi19rocblas_complex_numIfELi16ELb0ELb1ELc67ELc85EKPKS1_KPS1_EviT_T0_PT6_S7_lSA_S7_lS8_PT7_S7_li.num_agpr, 0
	.set _ZL32rocblas_syrkx_herkx_small_kernelIi19rocblas_complex_numIfELi16ELb0ELb1ELc67ELc85EKPKS1_KPS1_EviT_T0_PT6_S7_lSA_S7_lS8_PT7_S7_li.numbered_sgpr, 23
	.set _ZL32rocblas_syrkx_herkx_small_kernelIi19rocblas_complex_numIfELi16ELb0ELb1ELc67ELc85EKPKS1_KPS1_EviT_T0_PT6_S7_lSA_S7_lS8_PT7_S7_li.num_named_barrier, 0
	.set _ZL32rocblas_syrkx_herkx_small_kernelIi19rocblas_complex_numIfELi16ELb0ELb1ELc67ELc85EKPKS1_KPS1_EviT_T0_PT6_S7_lSA_S7_lS8_PT7_S7_li.private_seg_size, 0
	.set _ZL32rocblas_syrkx_herkx_small_kernelIi19rocblas_complex_numIfELi16ELb0ELb1ELc67ELc85EKPKS1_KPS1_EviT_T0_PT6_S7_lSA_S7_lS8_PT7_S7_li.uses_vcc, 1
	.set _ZL32rocblas_syrkx_herkx_small_kernelIi19rocblas_complex_numIfELi16ELb0ELb1ELc67ELc85EKPKS1_KPS1_EviT_T0_PT6_S7_lSA_S7_lS8_PT7_S7_li.uses_flat_scratch, 0
	.set _ZL32rocblas_syrkx_herkx_small_kernelIi19rocblas_complex_numIfELi16ELb0ELb1ELc67ELc85EKPKS1_KPS1_EviT_T0_PT6_S7_lSA_S7_lS8_PT7_S7_li.has_dyn_sized_stack, 0
	.set _ZL32rocblas_syrkx_herkx_small_kernelIi19rocblas_complex_numIfELi16ELb0ELb1ELc67ELc85EKPKS1_KPS1_EviT_T0_PT6_S7_lSA_S7_lS8_PT7_S7_li.has_recursion, 0
	.set _ZL32rocblas_syrkx_herkx_small_kernelIi19rocblas_complex_numIfELi16ELb0ELb1ELc67ELc85EKPKS1_KPS1_EviT_T0_PT6_S7_lSA_S7_lS8_PT7_S7_li.has_indirect_call, 0
	.section	.AMDGPU.csdata,"",@progbits
; Kernel info:
; codeLenInByte = 1304
; TotalNumSgprs: 27
; NumVgprs: 52
; ScratchSize: 0
; MemoryBound: 1
; FloatMode: 240
; IeeeMode: 1
; LDSByteSize: 4096 bytes/workgroup (compile time only)
; SGPRBlocks: 3
; VGPRBlocks: 12
; NumSGPRsForWavesPerEU: 27
; NumVGPRsForWavesPerEU: 52
; Occupancy: 4
; WaveLimiterHint : 1
; COMPUTE_PGM_RSRC2:SCRATCH_EN: 0
; COMPUTE_PGM_RSRC2:USER_SGPR: 6
; COMPUTE_PGM_RSRC2:TRAP_HANDLER: 0
; COMPUTE_PGM_RSRC2:TGID_X_EN: 1
; COMPUTE_PGM_RSRC2:TGID_Y_EN: 1
; COMPUTE_PGM_RSRC2:TGID_Z_EN: 1
; COMPUTE_PGM_RSRC2:TIDIG_COMP_CNT: 1
	.section	.text._ZL32rocblas_syrkx_herkx_small_kernelIi19rocblas_complex_numIfELi16ELb0ELb1ELc78ELc85EKPKS1_KPS1_EviT_T0_PT6_S7_lSA_S7_lS8_PT7_S7_li,"axG",@progbits,_ZL32rocblas_syrkx_herkx_small_kernelIi19rocblas_complex_numIfELi16ELb0ELb1ELc78ELc85EKPKS1_KPS1_EviT_T0_PT6_S7_lSA_S7_lS8_PT7_S7_li,comdat
	.globl	_ZL32rocblas_syrkx_herkx_small_kernelIi19rocblas_complex_numIfELi16ELb0ELb1ELc78ELc85EKPKS1_KPS1_EviT_T0_PT6_S7_lSA_S7_lS8_PT7_S7_li ; -- Begin function _ZL32rocblas_syrkx_herkx_small_kernelIi19rocblas_complex_numIfELi16ELb0ELb1ELc78ELc85EKPKS1_KPS1_EviT_T0_PT6_S7_lSA_S7_lS8_PT7_S7_li
	.p2align	8
	.type	_ZL32rocblas_syrkx_herkx_small_kernelIi19rocblas_complex_numIfELi16ELb0ELb1ELc78ELc85EKPKS1_KPS1_EviT_T0_PT6_S7_lSA_S7_lS8_PT7_S7_li,@function
_ZL32rocblas_syrkx_herkx_small_kernelIi19rocblas_complex_numIfELi16ELb0ELb1ELc78ELc85EKPKS1_KPS1_EviT_T0_PT6_S7_lSA_S7_lS8_PT7_S7_li: ; @_ZL32rocblas_syrkx_herkx_small_kernelIi19rocblas_complex_numIfELi16ELb0ELb1ELc78ELc85EKPKS1_KPS1_EviT_T0_PT6_S7_lSA_S7_lS8_PT7_S7_li
; %bb.0:
	s_load_dwordx4 s[12:15], s[4:5], 0x40
	s_load_dwordx2 s[20:21], s[4:5], 0x0
	s_load_dwordx4 s[16:19], s[4:5], 0x8
	s_mov_b32 s9, 0
	s_lshl_b64 s[0:1], s[8:9], 3
	s_waitcnt lgkmcnt(0)
	s_add_u32 s2, s14, s0
	s_addc_u32 s3, s15, s1
	s_load_dwordx2 s[10:11], s[2:3], 0x0
	v_lshl_add_u32 v2, s6, 4, v0
	v_lshl_add_u32 v4, s7, 4, v1
	s_cmp_lt_i32 s21, 1
	v_ashrrev_i32_e32 v3, 31, v2
	v_cmp_gt_i32_e32 vcc, s20, v4
	s_cbranch_scc1 .LBB831_11
; %bb.1:
	s_load_dword s14, s[4:5], 0x18
	s_load_dword s6, s[4:5], 0x30
	s_load_dwordx2 s[2:3], s[4:5], 0x28
	v_lshlrev_b32_e32 v5, 7, v1
	v_lshlrev_b32_e32 v11, 3, v0
	s_waitcnt lgkmcnt(0)
	s_ashr_i32 s15, s14, 31
	s_ashr_i32 s7, s6, 31
	s_add_u32 s2, s2, s0
	s_addc_u32 s3, s3, s1
	s_load_dwordx2 s[22:23], s[2:3], 0x0
	v_mad_i64_i32 v[6:7], s[2:3], s6, v0, 0
	v_add_u32_e32 v12, v11, v5
	v_add_u32_e32 v13, 0x800, v5
	v_ashrrev_i32_e32 v5, 31, v4
	v_lshlrev_b64 v[6:7], 3, v[6:7]
	v_lshlrev_b64 v[8:9], 3, v[4:5]
	s_add_u32 s0, s18, s0
	v_add_co_u32_e64 v5, s[2:3], v6, v8
	v_addc_co_u32_e64 v6, s[2:3], v7, v9, s[2:3]
	v_mad_i64_i32 v[7:8], s[2:3], s14, v1, 0
	s_addc_u32 s1, s19, s1
	s_load_dwordx2 s[18:19], s[0:1], 0x0
	s_waitcnt lgkmcnt(0)
	v_mov_b32_e32 v9, s23
	v_add_co_u32_e64 v5, s[2:3], s22, v5
	v_addc_co_u32_e64 v6, s[2:3], v9, v6, s[2:3]
	v_lshlrev_b64 v[7:8], 3, v[7:8]
	v_lshlrev_b64 v[9:10], 3, v[2:3]
	v_cmp_gt_i32_e64 s[0:1], s20, v2
	v_add_co_u32_e64 v7, s[2:3], v7, v9
	v_addc_co_u32_e64 v8, s[2:3], v8, v10, s[2:3]
	v_mov_b32_e32 v9, s19
	v_add_co_u32_e64 v7, s[2:3], s18, v7
	v_addc_co_u32_e64 v8, s[2:3], v9, v8, s[2:3]
	s_lshl_b64 s[6:7], s[6:7], 7
	s_lshl_b64 s[2:3], s[14:15], 7
	v_add_u32_e32 v14, v13, v11
	v_mov_b32_e32 v9, 0
	s_xor_b64 s[0:1], s[0:1], -1
	s_xor_b64 s[14:15], vcc, -1
	v_mov_b32_e32 v17, s7
	v_mov_b32_e32 v18, s3
	;; [unrolled: 1-line block ×4, first 2 shown]
	s_branch .LBB831_3
.LBB831_2:                              ;   in Loop: Header=BB831_3 Depth=1
	s_or_b64 exec, exec, s[18:19]
	ds_write_b32 v14, v10 offset:4
	s_waitcnt lgkmcnt(0)
	s_barrier
	ds_read2_b64 v[19:22], v11 offset1:16
	ds_read_b128 v[23:26], v13
	ds_read_b128 v[27:30], v13 offset:16
	ds_read2_b64 v[31:34], v11 offset0:32 offset1:48
	v_add_co_u32_e32 v5, vcc, s6, v5
	s_waitcnt lgkmcnt(2)
	v_mul_f32_e32 v10, v24, v20
	v_mul_f32_e32 v35, v23, v20
	v_fma_f32 v10, v23, v19, -v10
	v_fmac_f32_e32 v35, v24, v19
	v_mul_f32_e32 v19, v26, v22
	v_fma_f32 v36, v25, v21, -v19
	v_mul_f32_e32 v37, v25, v22
	s_waitcnt lgkmcnt(0)
	v_mul_f32_e32 v19, v28, v32
	v_fmac_f32_e32 v37, v26, v21
	v_fma_f32 v38, v27, v31, -v19
	ds_read2_b64 v[19:22], v11 offset0:64 offset1:80
	ds_read_b128 v[23:26], v13 offset:32
	v_mul_f32_e32 v39, v27, v32
	v_fmac_f32_e32 v39, v28, v31
	v_mul_f32_e32 v27, v30, v34
	v_mul_f32_e32 v41, v29, v34
	s_waitcnt lgkmcnt(0)
	v_mul_f32_e32 v31, v24, v20
	v_fma_f32 v40, v29, v33, -v27
	v_fmac_f32_e32 v41, v30, v33
	ds_read_b128 v[27:30], v13 offset:48
	v_fma_f32 v42, v23, v19, -v31
	ds_read2_b64 v[31:34], v11 offset0:96 offset1:112
	v_mul_f32_e32 v43, v23, v20
	v_fmac_f32_e32 v43, v24, v19
	v_mul_f32_e32 v19, v26, v22
	v_fma_f32 v44, v25, v21, -v19
	v_mul_f32_e32 v45, v25, v22
	s_waitcnt lgkmcnt(0)
	v_mul_f32_e32 v19, v28, v32
	v_fmac_f32_e32 v45, v26, v21
	v_fma_f32 v46, v27, v31, -v19
	ds_read2_b64 v[19:22], v11 offset0:128 offset1:144
	ds_read_b128 v[23:26], v13 offset:64
	v_mul_f32_e32 v47, v27, v32
	v_fmac_f32_e32 v47, v28, v31
	v_mul_f32_e32 v27, v30, v34
	v_mul_f32_e32 v49, v29, v34
	s_waitcnt lgkmcnt(0)
	v_mul_f32_e32 v31, v24, v20
	v_fma_f32 v48, v29, v33, -v27
	v_fmac_f32_e32 v49, v30, v33
	ds_read_b128 v[27:30], v13 offset:80
	v_fma_f32 v50, v23, v19, -v31
	ds_read2_b64 v[31:34], v11 offset0:160 offset1:176
	v_mul_f32_e32 v51, v23, v20
	v_fmac_f32_e32 v51, v24, v19
	v_mul_f32_e32 v19, v26, v22
	v_fma_f32 v52, v25, v21, -v19
	v_mul_f32_e32 v53, v25, v22
	s_waitcnt lgkmcnt(0)
	v_mul_f32_e32 v19, v28, v32
	v_add_f32_e32 v10, v16, v10
	v_add_f32_e32 v15, v15, v35
	v_fmac_f32_e32 v53, v26, v21
	v_fma_f32 v54, v27, v31, -v19
	ds_read2_b64 v[19:22], v11 offset0:192 offset1:208
	ds_read_b128 v[23:26], v13 offset:96
	v_add_f32_e32 v10, v10, v36
	v_add_f32_e32 v15, v15, v37
	;; [unrolled: 1-line block ×8, first 2 shown]
	v_mul_f32_e32 v55, v27, v32
	v_add_f32_e32 v10, v10, v44
	v_add_f32_e32 v15, v15, v45
	v_fmac_f32_e32 v55, v28, v31
	v_mul_f32_e32 v27, v30, v34
	v_mul_f32_e32 v57, v29, v34
	s_waitcnt lgkmcnt(0)
	v_mul_f32_e32 v31, v24, v20
	v_add_f32_e32 v10, v10, v46
	v_add_f32_e32 v15, v15, v47
	v_fma_f32 v56, v29, v33, -v27
	v_fmac_f32_e32 v57, v30, v33
	ds_read_b128 v[27:30], v13 offset:112
	v_fma_f32 v58, v23, v19, -v31
	ds_read2_b64 v[31:34], v11 offset0:224 offset1:240
	v_add_f32_e32 v10, v10, v48
	v_add_f32_e32 v15, v15, v49
	;; [unrolled: 1-line block ×6, first 2 shown]
	v_mul_f32_e32 v20, v23, v20
	v_add_f32_e32 v10, v10, v54
	v_add_f32_e32 v15, v15, v55
	v_fmac_f32_e32 v20, v24, v19
	v_mul_f32_e32 v19, v26, v22
	v_mul_f32_e32 v22, v25, v22
	v_add_f32_e32 v10, v10, v56
	v_add_f32_e32 v15, v15, v57
	v_fma_f32 v19, v25, v21, -v19
	v_fmac_f32_e32 v22, v26, v21
	s_waitcnt lgkmcnt(0)
	v_mul_f32_e32 v21, v28, v32
	v_mul_f32_e32 v23, v27, v32
	v_add_f32_e32 v10, v10, v58
	v_add_f32_e32 v15, v15, v20
	v_fma_f32 v21, v27, v31, -v21
	v_fmac_f32_e32 v23, v28, v31
	v_mul_f32_e32 v24, v30, v34
	v_mul_f32_e32 v25, v29, v34
	v_add_f32_e32 v10, v10, v19
	v_add_f32_e32 v15, v15, v22
	v_addc_co_u32_e32 v6, vcc, v6, v17, vcc
	v_fma_f32 v24, v29, v33, -v24
	v_fmac_f32_e32 v25, v30, v33
	v_add_f32_e32 v10, v10, v21
	v_add_f32_e32 v15, v15, v23
	s_add_i32 s9, s9, 16
	v_add_co_u32_e32 v7, vcc, s2, v7
	v_add_f32_e32 v16, v10, v24
	v_add_f32_e32 v15, v15, v25
	s_cmp_ge_i32 s9, s21
	v_addc_co_u32_e32 v8, vcc, v8, v18, vcc
	s_barrier
	s_cbranch_scc1 .LBB831_12
.LBB831_3:                              ; =>This Inner Loop Header: Depth=1
	v_add_u32_e32 v10, s9, v1
	v_cmp_le_i32_e32 vcc, s21, v10
	s_or_b64 s[18:19], s[0:1], vcc
	s_and_saveexec_b64 s[22:23], s[18:19]
	s_xor_b64 s[18:19], exec, s[22:23]
; %bb.4:                                ;   in Loop: Header=BB831_3 Depth=1
	v_mov_b32_e32 v10, v9
	ds_write_b64 v12, v[9:10]
; %bb.5:                                ;   in Loop: Header=BB831_3 Depth=1
	s_andn2_saveexec_b64 s[18:19], s[18:19]
	s_cbranch_execz .LBB831_7
; %bb.6:                                ;   in Loop: Header=BB831_3 Depth=1
	flat_load_dwordx2 v[19:20], v[7:8]
	s_waitcnt vmcnt(0) lgkmcnt(0)
	ds_write_b64 v12, v[19:20]
.LBB831_7:                              ;   in Loop: Header=BB831_3 Depth=1
	s_or_b64 exec, exec, s[18:19]
	v_add_u32_e32 v10, s9, v0
	v_cmp_le_i32_e32 vcc, s21, v10
	s_or_b64 s[18:19], s[14:15], vcc
	s_and_saveexec_b64 s[22:23], s[18:19]
	s_xor_b64 s[18:19], exec, s[22:23]
; %bb.8:                                ;   in Loop: Header=BB831_3 Depth=1
	ds_write_b32 v14, v9
; %bb.9:                                ;   in Loop: Header=BB831_3 Depth=1
	s_or_saveexec_b64 s[18:19], s[18:19]
	v_mov_b32_e32 v10, 0
	s_xor_b64 exec, exec, s[18:19]
	s_cbranch_execz .LBB831_2
; %bb.10:                               ;   in Loop: Header=BB831_3 Depth=1
	flat_load_dwordx2 v[19:20], v[5:6]
	s_waitcnt vmcnt(0) lgkmcnt(0)
	v_xor_b32_e32 v10, 0x80000000, v20
	ds_write_b32 v14, v19
	s_branch .LBB831_2
.LBB831_11:
	v_mov_b32_e32 v15, 0
	v_mov_b32_e32 v16, 0
.LBB831_12:
	v_cmp_le_i32_e32 vcc, v2, v4
	v_cmp_gt_i32_e64 s[0:1], s20, v4
	s_and_b64 s[0:1], vcc, s[0:1]
	s_and_saveexec_b64 s[2:3], s[0:1]
	s_cbranch_execz .LBB831_15
; %bb.13:
	s_load_dword s0, s[4:5], 0x50
	s_waitcnt lgkmcnt(0)
	v_mov_b32_e32 v7, s11
	v_lshlrev_b64 v[5:6], 3, v[2:3]
	v_mul_f32_e32 v3, s17, v15
	v_fma_f32 v3, v16, s16, -v3
	v_mad_i64_i32 v[0:1], s[0:1], s0, v4, 0
	v_lshlrev_b64 v[0:1], 3, v[0:1]
	v_add_co_u32_e32 v0, vcc, s10, v0
	v_addc_co_u32_e32 v1, vcc, v7, v1, vcc
	v_add_co_u32_e32 v0, vcc, v0, v5
	v_addc_co_u32_e32 v1, vcc, v1, v6, vcc
	flat_load_dwordx2 v[5:6], v[0:1]
	v_mul_f32_e32 v7, s16, v15
	v_fmac_f32_e32 v7, s17, v16
	v_cmp_eq_u32_e32 vcc, v2, v4
	s_waitcnt vmcnt(0) lgkmcnt(0)
	v_mul_f32_e32 v8, s13, v6
	v_mul_f32_e32 v6, s12, v6
	v_fma_f32 v8, v5, s12, -v8
	v_fmac_f32_e32 v6, s13, v5
	v_add_f32_e32 v5, v3, v8
	v_add_f32_e32 v6, v7, v6
	flat_store_dwordx2 v[0:1], v[5:6]
	s_and_b64 exec, exec, vcc
	s_cbranch_execz .LBB831_15
; %bb.14:
	v_mov_b32_e32 v2, 0
	flat_store_dword v[0:1], v2 offset:4
.LBB831_15:
	s_endpgm
	.section	.rodata,"a",@progbits
	.p2align	6, 0x0
	.amdhsa_kernel _ZL32rocblas_syrkx_herkx_small_kernelIi19rocblas_complex_numIfELi16ELb0ELb1ELc78ELc85EKPKS1_KPS1_EviT_T0_PT6_S7_lSA_S7_lS8_PT7_S7_li
		.amdhsa_group_segment_fixed_size 4096
		.amdhsa_private_segment_fixed_size 0
		.amdhsa_kernarg_size 100
		.amdhsa_user_sgpr_count 6
		.amdhsa_user_sgpr_private_segment_buffer 1
		.amdhsa_user_sgpr_dispatch_ptr 0
		.amdhsa_user_sgpr_queue_ptr 0
		.amdhsa_user_sgpr_kernarg_segment_ptr 1
		.amdhsa_user_sgpr_dispatch_id 0
		.amdhsa_user_sgpr_flat_scratch_init 0
		.amdhsa_user_sgpr_private_segment_size 0
		.amdhsa_uses_dynamic_stack 0
		.amdhsa_system_sgpr_private_segment_wavefront_offset 0
		.amdhsa_system_sgpr_workgroup_id_x 1
		.amdhsa_system_sgpr_workgroup_id_y 1
		.amdhsa_system_sgpr_workgroup_id_z 1
		.amdhsa_system_sgpr_workgroup_info 0
		.amdhsa_system_vgpr_workitem_id 1
		.amdhsa_next_free_vgpr 59
		.amdhsa_next_free_sgpr 24
		.amdhsa_reserve_vcc 1
		.amdhsa_reserve_flat_scratch 0
		.amdhsa_float_round_mode_32 0
		.amdhsa_float_round_mode_16_64 0
		.amdhsa_float_denorm_mode_32 3
		.amdhsa_float_denorm_mode_16_64 3
		.amdhsa_dx10_clamp 1
		.amdhsa_ieee_mode 1
		.amdhsa_fp16_overflow 0
		.amdhsa_exception_fp_ieee_invalid_op 0
		.amdhsa_exception_fp_denorm_src 0
		.amdhsa_exception_fp_ieee_div_zero 0
		.amdhsa_exception_fp_ieee_overflow 0
		.amdhsa_exception_fp_ieee_underflow 0
		.amdhsa_exception_fp_ieee_inexact 0
		.amdhsa_exception_int_div_zero 0
	.end_amdhsa_kernel
	.section	.text._ZL32rocblas_syrkx_herkx_small_kernelIi19rocblas_complex_numIfELi16ELb0ELb1ELc78ELc85EKPKS1_KPS1_EviT_T0_PT6_S7_lSA_S7_lS8_PT7_S7_li,"axG",@progbits,_ZL32rocblas_syrkx_herkx_small_kernelIi19rocblas_complex_numIfELi16ELb0ELb1ELc78ELc85EKPKS1_KPS1_EviT_T0_PT6_S7_lSA_S7_lS8_PT7_S7_li,comdat
.Lfunc_end831:
	.size	_ZL32rocblas_syrkx_herkx_small_kernelIi19rocblas_complex_numIfELi16ELb0ELb1ELc78ELc85EKPKS1_KPS1_EviT_T0_PT6_S7_lSA_S7_lS8_PT7_S7_li, .Lfunc_end831-_ZL32rocblas_syrkx_herkx_small_kernelIi19rocblas_complex_numIfELi16ELb0ELb1ELc78ELc85EKPKS1_KPS1_EviT_T0_PT6_S7_lSA_S7_lS8_PT7_S7_li
                                        ; -- End function
	.set _ZL32rocblas_syrkx_herkx_small_kernelIi19rocblas_complex_numIfELi16ELb0ELb1ELc78ELc85EKPKS1_KPS1_EviT_T0_PT6_S7_lSA_S7_lS8_PT7_S7_li.num_vgpr, 59
	.set _ZL32rocblas_syrkx_herkx_small_kernelIi19rocblas_complex_numIfELi16ELb0ELb1ELc78ELc85EKPKS1_KPS1_EviT_T0_PT6_S7_lSA_S7_lS8_PT7_S7_li.num_agpr, 0
	.set _ZL32rocblas_syrkx_herkx_small_kernelIi19rocblas_complex_numIfELi16ELb0ELb1ELc78ELc85EKPKS1_KPS1_EviT_T0_PT6_S7_lSA_S7_lS8_PT7_S7_li.numbered_sgpr, 24
	.set _ZL32rocblas_syrkx_herkx_small_kernelIi19rocblas_complex_numIfELi16ELb0ELb1ELc78ELc85EKPKS1_KPS1_EviT_T0_PT6_S7_lSA_S7_lS8_PT7_S7_li.num_named_barrier, 0
	.set _ZL32rocblas_syrkx_herkx_small_kernelIi19rocblas_complex_numIfELi16ELb0ELb1ELc78ELc85EKPKS1_KPS1_EviT_T0_PT6_S7_lSA_S7_lS8_PT7_S7_li.private_seg_size, 0
	.set _ZL32rocblas_syrkx_herkx_small_kernelIi19rocblas_complex_numIfELi16ELb0ELb1ELc78ELc85EKPKS1_KPS1_EviT_T0_PT6_S7_lSA_S7_lS8_PT7_S7_li.uses_vcc, 1
	.set _ZL32rocblas_syrkx_herkx_small_kernelIi19rocblas_complex_numIfELi16ELb0ELb1ELc78ELc85EKPKS1_KPS1_EviT_T0_PT6_S7_lSA_S7_lS8_PT7_S7_li.uses_flat_scratch, 0
	.set _ZL32rocblas_syrkx_herkx_small_kernelIi19rocblas_complex_numIfELi16ELb0ELb1ELc78ELc85EKPKS1_KPS1_EviT_T0_PT6_S7_lSA_S7_lS8_PT7_S7_li.has_dyn_sized_stack, 0
	.set _ZL32rocblas_syrkx_herkx_small_kernelIi19rocblas_complex_numIfELi16ELb0ELb1ELc78ELc85EKPKS1_KPS1_EviT_T0_PT6_S7_lSA_S7_lS8_PT7_S7_li.has_recursion, 0
	.set _ZL32rocblas_syrkx_herkx_small_kernelIi19rocblas_complex_numIfELi16ELb0ELb1ELc78ELc85EKPKS1_KPS1_EviT_T0_PT6_S7_lSA_S7_lS8_PT7_S7_li.has_indirect_call, 0
	.section	.AMDGPU.csdata,"",@progbits
; Kernel info:
; codeLenInByte = 1336
; TotalNumSgprs: 28
; NumVgprs: 59
; ScratchSize: 0
; MemoryBound: 1
; FloatMode: 240
; IeeeMode: 1
; LDSByteSize: 4096 bytes/workgroup (compile time only)
; SGPRBlocks: 3
; VGPRBlocks: 14
; NumSGPRsForWavesPerEU: 28
; NumVGPRsForWavesPerEU: 59
; Occupancy: 4
; WaveLimiterHint : 1
; COMPUTE_PGM_RSRC2:SCRATCH_EN: 0
; COMPUTE_PGM_RSRC2:USER_SGPR: 6
; COMPUTE_PGM_RSRC2:TRAP_HANDLER: 0
; COMPUTE_PGM_RSRC2:TGID_X_EN: 1
; COMPUTE_PGM_RSRC2:TGID_Y_EN: 1
; COMPUTE_PGM_RSRC2:TGID_Z_EN: 1
; COMPUTE_PGM_RSRC2:TIDIG_COMP_CNT: 1
	.section	.text._ZL34rocblas_syrkx_herkx_general_kernelIi19rocblas_complex_numIfELi16ELi32ELi8ELb1ELb1ELc84ELc76EKPKS1_KPS1_EviT_T0_PT8_S7_lSA_S7_lS8_PT9_S7_li,"axG",@progbits,_ZL34rocblas_syrkx_herkx_general_kernelIi19rocblas_complex_numIfELi16ELi32ELi8ELb1ELb1ELc84ELc76EKPKS1_KPS1_EviT_T0_PT8_S7_lSA_S7_lS8_PT9_S7_li,comdat
	.globl	_ZL34rocblas_syrkx_herkx_general_kernelIi19rocblas_complex_numIfELi16ELi32ELi8ELb1ELb1ELc84ELc76EKPKS1_KPS1_EviT_T0_PT8_S7_lSA_S7_lS8_PT9_S7_li ; -- Begin function _ZL34rocblas_syrkx_herkx_general_kernelIi19rocblas_complex_numIfELi16ELi32ELi8ELb1ELb1ELc84ELc76EKPKS1_KPS1_EviT_T0_PT8_S7_lSA_S7_lS8_PT9_S7_li
	.p2align	8
	.type	_ZL34rocblas_syrkx_herkx_general_kernelIi19rocblas_complex_numIfELi16ELi32ELi8ELb1ELb1ELc84ELc76EKPKS1_KPS1_EviT_T0_PT8_S7_lSA_S7_lS8_PT9_S7_li,@function
_ZL34rocblas_syrkx_herkx_general_kernelIi19rocblas_complex_numIfELi16ELi32ELi8ELb1ELb1ELc84ELc76EKPKS1_KPS1_EviT_T0_PT8_S7_lSA_S7_lS8_PT9_S7_li: ; @_ZL34rocblas_syrkx_herkx_general_kernelIi19rocblas_complex_numIfELi16ELi32ELi8ELb1ELb1ELc84ELc76EKPKS1_KPS1_EviT_T0_PT8_S7_lSA_S7_lS8_PT9_S7_li
; %bb.0:
	s_load_dwordx2 s[2:3], s[4:5], 0x48
	s_load_dwordx2 s[16:17], s[4:5], 0x0
	s_load_dwordx4 s[12:15], s[4:5], 0x8
	s_mov_b32 s9, 0
	s_lshl_b64 s[0:1], s[8:9], 3
	s_waitcnt lgkmcnt(0)
	s_add_u32 s2, s2, s0
	s_addc_u32 s3, s3, s1
	s_load_dwordx2 s[10:11], s[2:3], 0x0
	s_lshl_b32 s8, s6, 5
	s_lshl_b32 s18, s7, 5
	s_cmp_lt_i32 s17, 1
	s_cbranch_scc1 .LBB832_11
; %bb.1:
	s_load_dword s19, s[4:5], 0x18
	s_load_dwordx2 s[2:3], s[4:5], 0x28
	s_load_dword s20, s[4:5], 0x30
	v_lshl_add_u32 v2, v1, 4, v0
	v_and_b32_e32 v8, 7, v0
	v_lshrrev_b32_e32 v9, 5, v2
	v_lshrrev_b32_e32 v3, 3, v2
	v_and_b32_e32 v2, 31, v2
	v_or_b32_e32 v5, s8, v2
	s_waitcnt lgkmcnt(0)
	s_add_u32 s2, s2, s0
	v_lshlrev_b32_e32 v6, 3, v8
	v_add_u32_e32 v4, s18, v3
	s_addc_u32 s3, s3, s1
	v_cmp_gt_i32_e32 vcc, s16, v5
	v_lshlrev_b32_e32 v5, 3, v2
	v_lshl_or_b32 v3, v3, 6, v6
	v_add_u32_e32 v2, s8, v2
	s_load_dwordx2 s[6:7], s[2:3], 0x0
	v_add_u32_e32 v11, 0x800, v3
	v_mad_i64_i32 v[2:3], s[2:3], s19, v2, 0
	s_add_u32 s0, s14, s0
	v_lshl_or_b32 v10, v9, 8, v5
	v_mov_b32_e32 v5, 0x800
	v_lshlrev_b64 v[2:3], 3, v[2:3]
	s_addc_u32 s1, s15, s1
	v_lshl_add_u32 v13, v1, 6, v5
	v_lshlrev_b32_e32 v5, 3, v9
	s_load_dwordx2 s[14:15], s[0:1], 0x0
	v_add_co_u32_e64 v2, s[2:3], v2, v5
	v_cmp_gt_i32_e64 s[0:1], s16, v4
	v_addc_co_u32_e64 v3, s[2:3], 0, v3, s[2:3]
	v_mad_i64_i32 v[4:5], s[2:3], s20, v4, 0
	s_waitcnt lgkmcnt(0)
	v_mov_b32_e32 v7, s15
	v_add_co_u32_e64 v2, s[2:3], s14, v2
	v_lshlrev_b64 v[4:5], 3, v[4:5]
	v_addc_co_u32_e64 v3, s[2:3], v7, v3, s[2:3]
	v_add_co_u32_e64 v4, s[2:3], v4, v6
	v_addc_co_u32_e64 v5, s[2:3], 0, v5, s[2:3]
	v_mov_b32_e32 v6, s7
	v_add_co_u32_e64 v4, s[2:3], s6, v4
	v_addc_co_u32_e64 v5, s[2:3], v6, v5, s[2:3]
	v_lshlrev_b32_e32 v12, 3, v0
	s_xor_b64 s[2:3], vcc, -1
	s_xor_b64 s[0:1], s[0:1], -1
	v_mov_b32_e32 v17, 0
	v_mov_b32_e32 v16, 0
	;; [unrolled: 1-line block ×9, first 2 shown]
	s_branch .LBB832_3
.LBB832_2:                              ;   in Loop: Header=BB832_3 Depth=1
	s_or_b64 exec, exec, s[6:7]
	s_waitcnt lgkmcnt(0)
	s_barrier
	ds_read2_b64 v[22:25], v12 offset1:16
	ds_read_b128 v[26:29], v13
	ds_read_b128 v[30:33], v13 offset:16
	v_add_co_u32_e32 v2, vcc, 64, v2
	v_addc_co_u32_e32 v3, vcc, 0, v3, vcc
	s_waitcnt lgkmcnt(1)
	v_mul_f32_e32 v34, v26, v23
	v_fmac_f32_e32 v34, v27, v22
	v_add_f32_e32 v46, v21, v34
	ds_read_b128 v[34:37], v13 offset:1024
	v_mul_f32_e32 v7, v27, v23
	v_fma_f32 v7, v26, v22, -v7
	v_add_f32_e32 v7, v20, v7
	v_mul_f32_e32 v20, v27, v25
	v_mul_f32_e32 v21, v26, v25
	v_fma_f32 v20, v26, v24, -v20
	v_fmac_f32_e32 v21, v27, v24
	v_add_f32_e32 v26, v18, v20
	v_add_f32_e32 v27, v19, v21
	ds_read_b128 v[18:21], v13 offset:1040
	s_waitcnt lgkmcnt(1)
	v_mul_f32_e32 v38, v35, v23
	v_mul_f32_e32 v23, v34, v23
	v_fma_f32 v38, v34, v22, -v38
	v_fmac_f32_e32 v23, v35, v22
	v_mul_f32_e32 v22, v35, v25
	v_fma_f32 v47, v34, v24, -v22
	v_mul_f32_e32 v34, v34, v25
	v_add_f32_e32 v14, v14, v38
	v_add_f32_e32 v15, v15, v23
	v_fmac_f32_e32 v34, v35, v24
	ds_read2_b64 v[22:25], v12 offset0:32 offset1:48
	ds_read_b128 v[38:41], v13 offset:32
	ds_read_b128 v[42:45], v13 offset:48
	v_add_f32_e32 v35, v16, v47
	v_add_f32_e32 v34, v17, v34
	s_waitcnt lgkmcnt(2)
	v_mul_f32_e32 v16, v29, v23
	v_fma_f32 v16, v28, v22, -v16
	v_mul_f32_e32 v17, v28, v23
	v_fmac_f32_e32 v17, v29, v22
	v_add_f32_e32 v7, v7, v16
	v_mul_f32_e32 v16, v29, v25
	v_add_f32_e32 v46, v46, v17
	v_fma_f32 v16, v28, v24, -v16
	v_mul_f32_e32 v17, v28, v25
	v_fmac_f32_e32 v17, v29, v24
	v_add_f32_e32 v26, v26, v16
	v_mul_f32_e32 v16, v37, v23
	v_add_f32_e32 v27, v27, v17
	;; [unrolled: 6-line block ×3, first 2 shown]
	v_fma_f32 v28, v36, v24, -v14
	ds_read2_b64 v[14:17], v12 offset0:64 offset1:80
	v_mul_f32_e32 v25, v36, v25
	v_fmac_f32_e32 v25, v37, v24
	v_add_f32_e32 v29, v34, v25
	v_add_f32_e32 v28, v35, v28
	s_waitcnt lgkmcnt(0)
	v_mul_f32_e32 v24, v31, v15
	v_fma_f32 v24, v30, v14, -v24
	v_add_f32_e32 v7, v7, v24
	v_mul_f32_e32 v24, v31, v17
	v_mul_f32_e32 v25, v30, v15
	v_fma_f32 v24, v30, v16, -v24
	v_fmac_f32_e32 v25, v31, v14
	v_add_f32_e32 v26, v26, v24
	v_mul_f32_e32 v24, v19, v15
	v_add_f32_e32 v34, v46, v25
	v_mul_f32_e32 v25, v30, v17
	v_fma_f32 v24, v18, v14, -v24
	v_mul_f32_e32 v15, v18, v15
	v_fmac_f32_e32 v25, v31, v16
	v_fmac_f32_e32 v15, v19, v14
	v_add_f32_e32 v14, v22, v24
	v_mul_f32_e32 v22, v19, v17
	v_add_f32_e32 v27, v27, v25
	v_add_f32_e32 v15, v23, v15
	v_fma_f32 v30, v18, v16, -v22
	ds_read2_b64 v[22:25], v12 offset0:96 offset1:112
	v_mul_f32_e32 v17, v18, v17
	v_fmac_f32_e32 v17, v19, v16
	v_add_f32_e32 v19, v29, v17
	v_add_f32_e32 v18, v28, v30
	s_waitcnt lgkmcnt(0)
	v_mul_f32_e32 v16, v33, v23
	v_fma_f32 v16, v32, v22, -v16
	v_mul_f32_e32 v17, v32, v23
	v_fmac_f32_e32 v17, v33, v22
	v_add_f32_e32 v7, v7, v16
	v_mul_f32_e32 v16, v33, v25
	v_add_f32_e32 v28, v34, v17
	v_fma_f32 v16, v32, v24, -v16
	v_mul_f32_e32 v17, v32, v25
	v_fmac_f32_e32 v17, v33, v24
	v_add_f32_e32 v26, v26, v16
	v_mul_f32_e32 v16, v21, v23
	v_add_f32_e32 v27, v27, v17
	;; [unrolled: 6-line block ×3, first 2 shown]
	v_fma_f32 v22, v20, v24, -v14
	ds_read2_b64 v[14:17], v12 offset0:128 offset1:144
	v_mul_f32_e32 v20, v20, v25
	v_fmac_f32_e32 v20, v21, v24
	v_add_f32_e32 v31, v18, v22
	v_add_f32_e32 v32, v19, v20
	s_waitcnt lgkmcnt(0)
	v_mul_f32_e32 v18, v39, v15
	v_fma_f32 v18, v38, v14, -v18
	v_mul_f32_e32 v19, v38, v15
	v_fmac_f32_e32 v19, v39, v14
	v_add_f32_e32 v7, v7, v18
	v_mul_f32_e32 v18, v39, v17
	v_add_f32_e32 v33, v28, v19
	v_fma_f32 v22, v38, v16, -v18
	ds_read_b128 v[18:21], v13 offset:1056
	v_mul_f32_e32 v23, v38, v17
	v_fmac_f32_e32 v23, v39, v16
	v_add_f32_e32 v34, v26, v22
	v_add_f32_e32 v35, v27, v23
	ds_read_b128 v[22:25], v13 offset:1072
	s_waitcnt lgkmcnt(1)
	v_mul_f32_e32 v26, v19, v15
	v_fma_f32 v26, v18, v14, -v26
	v_mul_f32_e32 v15, v18, v15
	v_fmac_f32_e32 v15, v19, v14
	v_add_f32_e32 v14, v29, v26
	v_mul_f32_e32 v26, v19, v17
	v_add_f32_e32 v15, v30, v15
	v_fma_f32 v30, v18, v16, -v26
	ds_read2_b64 v[26:29], v12 offset0:160 offset1:176
	v_mul_f32_e32 v17, v18, v17
	v_fmac_f32_e32 v17, v19, v16
	v_add_f32_e32 v19, v32, v17
	v_add_f32_e32 v18, v31, v30
	s_waitcnt lgkmcnt(0)
	v_mul_f32_e32 v16, v41, v27
	v_fma_f32 v16, v40, v26, -v16
	v_mul_f32_e32 v17, v40, v27
	v_fmac_f32_e32 v17, v41, v26
	v_add_f32_e32 v7, v7, v16
	v_mul_f32_e32 v16, v41, v29
	v_add_f32_e32 v30, v33, v17
	v_fma_f32 v16, v40, v28, -v16
	v_mul_f32_e32 v17, v40, v29
	v_fmac_f32_e32 v17, v41, v28
	v_add_f32_e32 v31, v34, v16
	v_mul_f32_e32 v16, v21, v27
	v_add_f32_e32 v32, v35, v17
	;; [unrolled: 6-line block ×3, first 2 shown]
	v_fma_f32 v33, v20, v28, -v14
	ds_read2_b64 v[14:17], v12 offset0:192 offset1:208
	v_mul_f32_e32 v20, v20, v29
	v_fmac_f32_e32 v20, v21, v28
	v_add_f32_e32 v19, v19, v20
	v_add_f32_e32 v18, v18, v33
	s_waitcnt lgkmcnt(0)
	v_mul_f32_e32 v20, v43, v15
	v_fma_f32 v20, v42, v14, -v20
	v_mul_f32_e32 v21, v42, v15
	v_add_f32_e32 v7, v7, v20
	v_mul_f32_e32 v20, v43, v17
	v_fmac_f32_e32 v21, v43, v14
	v_fma_f32 v20, v42, v16, -v20
	v_add_f32_e32 v21, v30, v21
	v_mul_f32_e32 v28, v42, v17
	v_add_f32_e32 v30, v31, v20
	v_mul_f32_e32 v20, v23, v15
	v_mul_f32_e32 v15, v22, v15
	v_fmac_f32_e32 v28, v43, v16
	v_fma_f32 v20, v22, v14, -v20
	v_fmac_f32_e32 v15, v23, v14
	v_add_f32_e32 v31, v32, v28
	v_add_f32_e32 v14, v26, v20
	;; [unrolled: 1-line block ×3, first 2 shown]
	ds_read2_b64 v[26:29], v12 offset0:224 offset1:240
	v_mul_f32_e32 v20, v23, v17
	v_fma_f32 v20, v22, v16, -v20
	v_mul_f32_e32 v17, v22, v17
	v_fmac_f32_e32 v17, v23, v16
	v_add_f32_e32 v16, v18, v20
	s_waitcnt lgkmcnt(0)
	v_mul_f32_e32 v18, v45, v27
	v_fma_f32 v18, v44, v26, -v18
	v_add_f32_e32 v20, v7, v18
	v_mul_f32_e32 v7, v45, v29
	v_fma_f32 v7, v44, v28, -v7
	v_add_f32_e32 v17, v19, v17
	v_mul_f32_e32 v19, v44, v27
	v_add_f32_e32 v18, v30, v7
	v_mul_f32_e32 v7, v25, v27
	v_mul_f32_e32 v22, v24, v27
	v_fmac_f32_e32 v19, v45, v26
	v_fma_f32 v7, v24, v26, -v7
	v_fmac_f32_e32 v22, v25, v26
	v_add_f32_e32 v21, v21, v19
	v_mul_f32_e32 v19, v44, v29
	v_add_f32_e32 v14, v14, v7
	v_add_f32_e32 v15, v15, v22
	v_mul_f32_e32 v7, v25, v29
	v_mul_f32_e32 v22, v24, v29
	v_fmac_f32_e32 v19, v45, v28
	v_fma_f32 v7, v24, v28, -v7
	v_fmac_f32_e32 v22, v25, v28
	s_add_i32 s9, s9, 8
	v_add_co_u32_e32 v4, vcc, 64, v4
	v_add_f32_e32 v19, v31, v19
	v_add_f32_e32 v16, v16, v7
	;; [unrolled: 1-line block ×3, first 2 shown]
	s_cmp_ge_i32 s9, s17
	v_addc_co_u32_e32 v5, vcc, 0, v5, vcc
	s_barrier
	s_cbranch_scc1 .LBB832_12
.LBB832_3:                              ; =>This Inner Loop Header: Depth=1
	v_add_u32_e32 v7, s9, v9
	v_cmp_le_i32_e32 vcc, s17, v7
	s_or_b64 s[6:7], s[2:3], vcc
	s_and_saveexec_b64 s[14:15], s[6:7]
	s_xor_b64 s[6:7], exec, s[14:15]
; %bb.4:                                ;   in Loop: Header=BB832_3 Depth=1
	v_mov_b32_e32 v7, v6
	ds_write_b64 v10, v[6:7]
; %bb.5:                                ;   in Loop: Header=BB832_3 Depth=1
	s_andn2_saveexec_b64 s[6:7], s[6:7]
	s_cbranch_execz .LBB832_7
; %bb.6:                                ;   in Loop: Header=BB832_3 Depth=1
	flat_load_dwordx2 v[22:23], v[2:3]
	s_waitcnt vmcnt(0) lgkmcnt(0)
	ds_write_b64 v10, v[22:23]
.LBB832_7:                              ;   in Loop: Header=BB832_3 Depth=1
	s_or_b64 exec, exec, s[6:7]
	v_add_u32_e32 v7, s9, v8
	v_cmp_le_i32_e32 vcc, s17, v7
	s_or_b64 s[6:7], vcc, s[0:1]
	s_and_saveexec_b64 s[14:15], s[6:7]
	s_xor_b64 s[6:7], exec, s[14:15]
; %bb.8:                                ;   in Loop: Header=BB832_3 Depth=1
	v_mov_b32_e32 v7, v6
	ds_write_b64 v11, v[6:7]
; %bb.9:                                ;   in Loop: Header=BB832_3 Depth=1
	s_andn2_saveexec_b64 s[6:7], s[6:7]
	s_cbranch_execz .LBB832_2
; %bb.10:                               ;   in Loop: Header=BB832_3 Depth=1
	flat_load_dwordx2 v[22:23], v[4:5]
	s_waitcnt vmcnt(0) lgkmcnt(0)
	ds_write_b64 v11, v[22:23]
	s_branch .LBB832_2
.LBB832_11:
	v_mov_b32_e32 v20, 0
	v_mov_b32_e32 v21, 0
	;; [unrolled: 1-line block ×8, first 2 shown]
.LBB832_12:
	s_load_dword s6, s[4:5], 0x50
	v_add_u32_e32 v5, s18, v1
	s_waitcnt lgkmcnt(0)
	v_mov_b32_e32 v3, s11
	v_add_u32_e32 v0, s8, v0
	v_mad_i64_i32 v[1:2], s[0:1], v5, s6, 0
	v_cmp_le_i32_e64 s[0:1], v5, v0
	v_lshlrev_b64 v[1:2], 3, v[1:2]
	v_add_co_u32_e32 v4, vcc, s10, v1
	v_addc_co_u32_e32 v6, vcc, v3, v2, vcc
	v_cmp_gt_i32_e32 vcc, s16, v0
	s_and_b64 s[0:1], s[0:1], vcc
	s_and_saveexec_b64 s[2:3], s[0:1]
	s_cbranch_execz .LBB832_15
; %bb.13:
	v_mul_f32_e32 v1, s13, v21
	v_fma_f32 v7, v20, s12, -v1
	v_ashrrev_i32_e32 v1, 31, v0
	v_lshlrev_b64 v[1:2], 3, v[0:1]
	v_mul_f32_e32 v8, s12, v21
	v_add_co_u32_e64 v1, s[0:1], v4, v1
	v_addc_co_u32_e64 v2, s[0:1], v6, v2, s[0:1]
	v_fmac_f32_e32 v8, s13, v20
	v_cmp_eq_u32_e64 s[0:1], v5, v0
	flat_store_dwordx2 v[1:2], v[7:8]
	s_and_b64 exec, exec, s[0:1]
	s_cbranch_execz .LBB832_15
; %bb.14:
	v_mov_b32_e32 v3, 0
	flat_store_dword v[1:2], v3 offset:4
.LBB832_15:
	s_or_b64 exec, exec, s[2:3]
	v_add_u32_e32 v2, 16, v0
	v_cmp_le_i32_e64 s[2:3], v5, v2
	v_cmp_gt_i32_e64 s[0:1], s16, v2
	s_and_b64 s[2:3], s[2:3], s[0:1]
	s_and_saveexec_b64 s[4:5], s[2:3]
	s_cbranch_execz .LBB832_18
; %bb.16:
	v_ashrrev_i32_e32 v3, 31, v2
	v_lshlrev_b64 v[9:10], 3, v[2:3]
	v_mul_f32_e32 v1, s13, v19
	v_add_co_u32_e64 v3, s[2:3], v4, v9
	v_mul_f32_e32 v8, s12, v19
	v_addc_co_u32_e64 v4, s[2:3], v6, v10, s[2:3]
	v_fma_f32 v7, v18, s12, -v1
	v_fmac_f32_e32 v8, s13, v18
	v_cmp_eq_u32_e64 s[2:3], v5, v2
	flat_store_dwordx2 v[3:4], v[7:8]
	s_and_b64 exec, exec, s[2:3]
	s_cbranch_execz .LBB832_18
; %bb.17:
	v_mov_b32_e32 v1, 0
	flat_store_dword v[3:4], v1 offset:4
.LBB832_18:
	s_or_b64 exec, exec, s[4:5]
	v_add_u32_e32 v8, 16, v5
	v_mad_i64_i32 v[3:4], s[2:3], v8, s6, 0
	v_mov_b32_e32 v1, s11
	v_lshlrev_b64 v[3:4], 3, v[3:4]
	v_add_co_u32_e64 v6, s[2:3], s10, v3
	v_addc_co_u32_e64 v7, s[2:3], v1, v4, s[2:3]
	v_cmp_le_i32_e64 s[2:3], v8, v0
	s_and_b64 s[4:5], s[2:3], vcc
	s_and_saveexec_b64 s[2:3], s[4:5]
	s_cbranch_execz .LBB832_21
; %bb.19:
	v_mul_f32_e32 v1, s13, v15
	v_fma_f32 v9, v14, s12, -v1
	v_ashrrev_i32_e32 v1, 31, v0
	v_lshlrev_b64 v[3:4], 3, v[0:1]
	v_mul_f32_e32 v10, s12, v15
	v_add_co_u32_e32 v3, vcc, v6, v3
	v_addc_co_u32_e32 v4, vcc, v7, v4, vcc
	v_fmac_f32_e32 v10, s13, v14
	v_cmp_eq_u32_e32 vcc, v8, v0
	flat_store_dwordx2 v[3:4], v[9:10]
	s_and_b64 exec, exec, vcc
	s_cbranch_execz .LBB832_21
; %bb.20:
	v_mov_b32_e32 v1, 0
	flat_store_dword v[3:4], v1 offset:4
.LBB832_21:
	s_or_b64 exec, exec, s[2:3]
	v_cmp_le_i32_e32 vcc, v8, v2
	s_and_b64 s[0:1], vcc, s[0:1]
	s_and_saveexec_b64 s[2:3], s[0:1]
	s_cbranch_execz .LBB832_24
; %bb.22:
	v_mul_f32_e32 v1, s13, v17
	v_ashrrev_i32_e32 v3, 31, v2
	v_fma_f32 v8, v16, s12, -v1
	v_lshlrev_b64 v[1:2], 3, v[2:3]
	v_mul_f32_e32 v9, s12, v17
	v_add_co_u32_e32 v1, vcc, v6, v1
	v_addc_co_u32_e32 v2, vcc, v7, v2, vcc
	v_fmac_f32_e32 v9, s13, v16
	v_cmp_eq_u32_e32 vcc, v5, v0
	flat_store_dwordx2 v[1:2], v[8:9]
	s_and_b64 exec, exec, vcc
	s_cbranch_execz .LBB832_24
; %bb.23:
	v_mov_b32_e32 v0, 0
	flat_store_dword v[1:2], v0 offset:4
.LBB832_24:
	s_endpgm
	.section	.rodata,"a",@progbits
	.p2align	6, 0x0
	.amdhsa_kernel _ZL34rocblas_syrkx_herkx_general_kernelIi19rocblas_complex_numIfELi16ELi32ELi8ELb1ELb1ELc84ELc76EKPKS1_KPS1_EviT_T0_PT8_S7_lSA_S7_lS8_PT9_S7_li
		.amdhsa_group_segment_fixed_size 4096
		.amdhsa_private_segment_fixed_size 0
		.amdhsa_kernarg_size 100
		.amdhsa_user_sgpr_count 6
		.amdhsa_user_sgpr_private_segment_buffer 1
		.amdhsa_user_sgpr_dispatch_ptr 0
		.amdhsa_user_sgpr_queue_ptr 0
		.amdhsa_user_sgpr_kernarg_segment_ptr 1
		.amdhsa_user_sgpr_dispatch_id 0
		.amdhsa_user_sgpr_flat_scratch_init 0
		.amdhsa_user_sgpr_private_segment_size 0
		.amdhsa_uses_dynamic_stack 0
		.amdhsa_system_sgpr_private_segment_wavefront_offset 0
		.amdhsa_system_sgpr_workgroup_id_x 1
		.amdhsa_system_sgpr_workgroup_id_y 1
		.amdhsa_system_sgpr_workgroup_id_z 1
		.amdhsa_system_sgpr_workgroup_info 0
		.amdhsa_system_vgpr_workitem_id 1
		.amdhsa_next_free_vgpr 48
		.amdhsa_next_free_sgpr 21
		.amdhsa_reserve_vcc 1
		.amdhsa_reserve_flat_scratch 0
		.amdhsa_float_round_mode_32 0
		.amdhsa_float_round_mode_16_64 0
		.amdhsa_float_denorm_mode_32 3
		.amdhsa_float_denorm_mode_16_64 3
		.amdhsa_dx10_clamp 1
		.amdhsa_ieee_mode 1
		.amdhsa_fp16_overflow 0
		.amdhsa_exception_fp_ieee_invalid_op 0
		.amdhsa_exception_fp_denorm_src 0
		.amdhsa_exception_fp_ieee_div_zero 0
		.amdhsa_exception_fp_ieee_overflow 0
		.amdhsa_exception_fp_ieee_underflow 0
		.amdhsa_exception_fp_ieee_inexact 0
		.amdhsa_exception_int_div_zero 0
	.end_amdhsa_kernel
	.section	.text._ZL34rocblas_syrkx_herkx_general_kernelIi19rocblas_complex_numIfELi16ELi32ELi8ELb1ELb1ELc84ELc76EKPKS1_KPS1_EviT_T0_PT8_S7_lSA_S7_lS8_PT9_S7_li,"axG",@progbits,_ZL34rocblas_syrkx_herkx_general_kernelIi19rocblas_complex_numIfELi16ELi32ELi8ELb1ELb1ELc84ELc76EKPKS1_KPS1_EviT_T0_PT8_S7_lSA_S7_lS8_PT9_S7_li,comdat
.Lfunc_end832:
	.size	_ZL34rocblas_syrkx_herkx_general_kernelIi19rocblas_complex_numIfELi16ELi32ELi8ELb1ELb1ELc84ELc76EKPKS1_KPS1_EviT_T0_PT8_S7_lSA_S7_lS8_PT9_S7_li, .Lfunc_end832-_ZL34rocblas_syrkx_herkx_general_kernelIi19rocblas_complex_numIfELi16ELi32ELi8ELb1ELb1ELc84ELc76EKPKS1_KPS1_EviT_T0_PT8_S7_lSA_S7_lS8_PT9_S7_li
                                        ; -- End function
	.set _ZL34rocblas_syrkx_herkx_general_kernelIi19rocblas_complex_numIfELi16ELi32ELi8ELb1ELb1ELc84ELc76EKPKS1_KPS1_EviT_T0_PT8_S7_lSA_S7_lS8_PT9_S7_li.num_vgpr, 48
	.set _ZL34rocblas_syrkx_herkx_general_kernelIi19rocblas_complex_numIfELi16ELi32ELi8ELb1ELb1ELc84ELc76EKPKS1_KPS1_EviT_T0_PT8_S7_lSA_S7_lS8_PT9_S7_li.num_agpr, 0
	.set _ZL34rocblas_syrkx_herkx_general_kernelIi19rocblas_complex_numIfELi16ELi32ELi8ELb1ELb1ELc84ELc76EKPKS1_KPS1_EviT_T0_PT8_S7_lSA_S7_lS8_PT9_S7_li.numbered_sgpr, 21
	.set _ZL34rocblas_syrkx_herkx_general_kernelIi19rocblas_complex_numIfELi16ELi32ELi8ELb1ELb1ELc84ELc76EKPKS1_KPS1_EviT_T0_PT8_S7_lSA_S7_lS8_PT9_S7_li.num_named_barrier, 0
	.set _ZL34rocblas_syrkx_herkx_general_kernelIi19rocblas_complex_numIfELi16ELi32ELi8ELb1ELb1ELc84ELc76EKPKS1_KPS1_EviT_T0_PT8_S7_lSA_S7_lS8_PT9_S7_li.private_seg_size, 0
	.set _ZL34rocblas_syrkx_herkx_general_kernelIi19rocblas_complex_numIfELi16ELi32ELi8ELb1ELb1ELc84ELc76EKPKS1_KPS1_EviT_T0_PT8_S7_lSA_S7_lS8_PT9_S7_li.uses_vcc, 1
	.set _ZL34rocblas_syrkx_herkx_general_kernelIi19rocblas_complex_numIfELi16ELi32ELi8ELb1ELb1ELc84ELc76EKPKS1_KPS1_EviT_T0_PT8_S7_lSA_S7_lS8_PT9_S7_li.uses_flat_scratch, 0
	.set _ZL34rocblas_syrkx_herkx_general_kernelIi19rocblas_complex_numIfELi16ELi32ELi8ELb1ELb1ELc84ELc76EKPKS1_KPS1_EviT_T0_PT8_S7_lSA_S7_lS8_PT9_S7_li.has_dyn_sized_stack, 0
	.set _ZL34rocblas_syrkx_herkx_general_kernelIi19rocblas_complex_numIfELi16ELi32ELi8ELb1ELb1ELc84ELc76EKPKS1_KPS1_EviT_T0_PT8_S7_lSA_S7_lS8_PT9_S7_li.has_recursion, 0
	.set _ZL34rocblas_syrkx_herkx_general_kernelIi19rocblas_complex_numIfELi16ELi32ELi8ELb1ELb1ELc84ELc76EKPKS1_KPS1_EviT_T0_PT8_S7_lSA_S7_lS8_PT9_S7_li.has_indirect_call, 0
	.section	.AMDGPU.csdata,"",@progbits
; Kernel info:
; codeLenInByte = 2164
; TotalNumSgprs: 25
; NumVgprs: 48
; ScratchSize: 0
; MemoryBound: 1
; FloatMode: 240
; IeeeMode: 1
; LDSByteSize: 4096 bytes/workgroup (compile time only)
; SGPRBlocks: 3
; VGPRBlocks: 11
; NumSGPRsForWavesPerEU: 25
; NumVGPRsForWavesPerEU: 48
; Occupancy: 5
; WaveLimiterHint : 1
; COMPUTE_PGM_RSRC2:SCRATCH_EN: 0
; COMPUTE_PGM_RSRC2:USER_SGPR: 6
; COMPUTE_PGM_RSRC2:TRAP_HANDLER: 0
; COMPUTE_PGM_RSRC2:TGID_X_EN: 1
; COMPUTE_PGM_RSRC2:TGID_Y_EN: 1
; COMPUTE_PGM_RSRC2:TGID_Z_EN: 1
; COMPUTE_PGM_RSRC2:TIDIG_COMP_CNT: 1
	.section	.text._ZL34rocblas_syrkx_herkx_general_kernelIi19rocblas_complex_numIfELi16ELi32ELi8ELb1ELb1ELc67ELc76EKPKS1_KPS1_EviT_T0_PT8_S7_lSA_S7_lS8_PT9_S7_li,"axG",@progbits,_ZL34rocblas_syrkx_herkx_general_kernelIi19rocblas_complex_numIfELi16ELi32ELi8ELb1ELb1ELc67ELc76EKPKS1_KPS1_EviT_T0_PT8_S7_lSA_S7_lS8_PT9_S7_li,comdat
	.globl	_ZL34rocblas_syrkx_herkx_general_kernelIi19rocblas_complex_numIfELi16ELi32ELi8ELb1ELb1ELc67ELc76EKPKS1_KPS1_EviT_T0_PT8_S7_lSA_S7_lS8_PT9_S7_li ; -- Begin function _ZL34rocblas_syrkx_herkx_general_kernelIi19rocblas_complex_numIfELi16ELi32ELi8ELb1ELb1ELc67ELc76EKPKS1_KPS1_EviT_T0_PT8_S7_lSA_S7_lS8_PT9_S7_li
	.p2align	8
	.type	_ZL34rocblas_syrkx_herkx_general_kernelIi19rocblas_complex_numIfELi16ELi32ELi8ELb1ELb1ELc67ELc76EKPKS1_KPS1_EviT_T0_PT8_S7_lSA_S7_lS8_PT9_S7_li,@function
_ZL34rocblas_syrkx_herkx_general_kernelIi19rocblas_complex_numIfELi16ELi32ELi8ELb1ELb1ELc67ELc76EKPKS1_KPS1_EviT_T0_PT8_S7_lSA_S7_lS8_PT9_S7_li: ; @_ZL34rocblas_syrkx_herkx_general_kernelIi19rocblas_complex_numIfELi16ELi32ELi8ELb1ELb1ELc67ELc76EKPKS1_KPS1_EviT_T0_PT8_S7_lSA_S7_lS8_PT9_S7_li
; %bb.0:
	s_load_dwordx2 s[2:3], s[4:5], 0x48
	s_load_dwordx2 s[16:17], s[4:5], 0x0
	s_load_dwordx4 s[12:15], s[4:5], 0x8
	s_mov_b32 s9, 0
	s_lshl_b64 s[0:1], s[8:9], 3
	s_waitcnt lgkmcnt(0)
	s_add_u32 s2, s2, s0
	s_addc_u32 s3, s3, s1
	s_load_dwordx2 s[10:11], s[2:3], 0x0
	s_lshl_b32 s8, s6, 5
	s_lshl_b32 s18, s7, 5
	s_cmp_lt_i32 s17, 1
	s_cbranch_scc1 .LBB833_11
; %bb.1:
	s_load_dword s19, s[4:5], 0x18
	s_load_dwordx2 s[2:3], s[4:5], 0x28
	s_load_dword s20, s[4:5], 0x30
	v_lshl_add_u32 v2, v1, 4, v0
	v_and_b32_e32 v8, 7, v0
	v_lshrrev_b32_e32 v9, 5, v2
	v_lshrrev_b32_e32 v3, 3, v2
	v_and_b32_e32 v2, 31, v2
	v_or_b32_e32 v5, s8, v2
	s_waitcnt lgkmcnt(0)
	s_add_u32 s2, s2, s0
	v_lshlrev_b32_e32 v6, 3, v8
	v_add_u32_e32 v4, s18, v3
	s_addc_u32 s3, s3, s1
	v_cmp_gt_i32_e32 vcc, s16, v5
	v_lshlrev_b32_e32 v5, 3, v2
	v_lshl_or_b32 v3, v3, 6, v6
	v_add_u32_e32 v2, s8, v2
	s_load_dwordx2 s[6:7], s[2:3], 0x0
	v_add_u32_e32 v11, 0x800, v3
	v_mad_i64_i32 v[2:3], s[2:3], s19, v2, 0
	s_add_u32 s0, s14, s0
	v_lshl_or_b32 v10, v9, 8, v5
	v_mov_b32_e32 v5, 0x800
	v_lshlrev_b64 v[2:3], 3, v[2:3]
	s_addc_u32 s1, s15, s1
	v_lshl_add_u32 v13, v1, 6, v5
	v_lshlrev_b32_e32 v5, 3, v9
	s_load_dwordx2 s[14:15], s[0:1], 0x0
	v_add_co_u32_e64 v2, s[2:3], v2, v5
	v_cmp_gt_i32_e64 s[0:1], s16, v4
	v_addc_co_u32_e64 v3, s[2:3], 0, v3, s[2:3]
	v_mad_i64_i32 v[4:5], s[2:3], s20, v4, 0
	s_waitcnt lgkmcnt(0)
	v_mov_b32_e32 v7, s15
	v_add_co_u32_e64 v2, s[2:3], s14, v2
	v_lshlrev_b64 v[4:5], 3, v[4:5]
	v_addc_co_u32_e64 v3, s[2:3], v7, v3, s[2:3]
	v_add_co_u32_e64 v4, s[2:3], v4, v6
	v_addc_co_u32_e64 v5, s[2:3], 0, v5, s[2:3]
	v_mov_b32_e32 v6, s7
	v_add_co_u32_e64 v4, s[2:3], s6, v4
	v_addc_co_u32_e64 v5, s[2:3], v6, v5, s[2:3]
	v_lshlrev_b32_e32 v12, 3, v0
	s_xor_b64 s[2:3], vcc, -1
	s_xor_b64 s[0:1], s[0:1], -1
	v_mov_b32_e32 v17, 0
	v_mov_b32_e32 v16, 0
	;; [unrolled: 1-line block ×9, first 2 shown]
	s_branch .LBB833_3
.LBB833_2:                              ;   in Loop: Header=BB833_3 Depth=1
	s_or_b64 exec, exec, s[6:7]
	s_waitcnt lgkmcnt(0)
	s_barrier
	ds_read2_b64 v[22:25], v12 offset1:16
	ds_read_b128 v[26:29], v13
	ds_read_b128 v[30:33], v13 offset:16
	v_add_co_u32_e32 v2, vcc, 64, v2
	v_addc_co_u32_e32 v3, vcc, 0, v3, vcc
	s_waitcnt lgkmcnt(1)
	v_mul_f32_e32 v34, v26, v23
	v_fmac_f32_e32 v34, v27, v22
	v_add_f32_e32 v46, v21, v34
	ds_read_b128 v[34:37], v13 offset:1024
	v_mul_f32_e32 v7, v27, v23
	v_fma_f32 v7, v26, v22, -v7
	v_add_f32_e32 v7, v20, v7
	v_mul_f32_e32 v20, v27, v25
	v_mul_f32_e32 v21, v26, v25
	v_fma_f32 v20, v26, v24, -v20
	v_fmac_f32_e32 v21, v27, v24
	v_add_f32_e32 v26, v18, v20
	v_add_f32_e32 v27, v19, v21
	ds_read_b128 v[18:21], v13 offset:1040
	s_waitcnt lgkmcnt(1)
	v_mul_f32_e32 v38, v35, v23
	v_mul_f32_e32 v23, v34, v23
	v_fma_f32 v38, v34, v22, -v38
	v_fmac_f32_e32 v23, v35, v22
	v_mul_f32_e32 v22, v35, v25
	v_fma_f32 v47, v34, v24, -v22
	v_mul_f32_e32 v34, v34, v25
	v_add_f32_e32 v14, v14, v38
	v_add_f32_e32 v15, v15, v23
	v_fmac_f32_e32 v34, v35, v24
	ds_read2_b64 v[22:25], v12 offset0:32 offset1:48
	ds_read_b128 v[38:41], v13 offset:32
	ds_read_b128 v[42:45], v13 offset:48
	v_add_f32_e32 v35, v16, v47
	v_add_f32_e32 v34, v17, v34
	s_waitcnt lgkmcnt(2)
	v_mul_f32_e32 v16, v29, v23
	v_fma_f32 v16, v28, v22, -v16
	v_mul_f32_e32 v17, v28, v23
	v_fmac_f32_e32 v17, v29, v22
	v_add_f32_e32 v7, v7, v16
	v_mul_f32_e32 v16, v29, v25
	v_add_f32_e32 v46, v46, v17
	v_fma_f32 v16, v28, v24, -v16
	v_mul_f32_e32 v17, v28, v25
	v_fmac_f32_e32 v17, v29, v24
	v_add_f32_e32 v26, v26, v16
	v_mul_f32_e32 v16, v37, v23
	v_add_f32_e32 v27, v27, v17
	;; [unrolled: 6-line block ×3, first 2 shown]
	v_fma_f32 v28, v36, v24, -v14
	ds_read2_b64 v[14:17], v12 offset0:64 offset1:80
	v_mul_f32_e32 v25, v36, v25
	v_fmac_f32_e32 v25, v37, v24
	v_add_f32_e32 v29, v34, v25
	v_add_f32_e32 v28, v35, v28
	s_waitcnt lgkmcnt(0)
	v_mul_f32_e32 v24, v31, v15
	v_fma_f32 v24, v30, v14, -v24
	v_add_f32_e32 v7, v7, v24
	v_mul_f32_e32 v24, v31, v17
	v_mul_f32_e32 v25, v30, v15
	v_fma_f32 v24, v30, v16, -v24
	v_fmac_f32_e32 v25, v31, v14
	v_add_f32_e32 v26, v26, v24
	v_mul_f32_e32 v24, v19, v15
	v_add_f32_e32 v34, v46, v25
	v_mul_f32_e32 v25, v30, v17
	v_fma_f32 v24, v18, v14, -v24
	v_mul_f32_e32 v15, v18, v15
	v_fmac_f32_e32 v25, v31, v16
	v_fmac_f32_e32 v15, v19, v14
	v_add_f32_e32 v14, v22, v24
	v_mul_f32_e32 v22, v19, v17
	v_add_f32_e32 v27, v27, v25
	v_add_f32_e32 v15, v23, v15
	v_fma_f32 v30, v18, v16, -v22
	ds_read2_b64 v[22:25], v12 offset0:96 offset1:112
	v_mul_f32_e32 v17, v18, v17
	v_fmac_f32_e32 v17, v19, v16
	v_add_f32_e32 v19, v29, v17
	v_add_f32_e32 v18, v28, v30
	s_waitcnt lgkmcnt(0)
	v_mul_f32_e32 v16, v33, v23
	v_fma_f32 v16, v32, v22, -v16
	v_mul_f32_e32 v17, v32, v23
	v_fmac_f32_e32 v17, v33, v22
	v_add_f32_e32 v7, v7, v16
	v_mul_f32_e32 v16, v33, v25
	v_add_f32_e32 v28, v34, v17
	v_fma_f32 v16, v32, v24, -v16
	v_mul_f32_e32 v17, v32, v25
	v_fmac_f32_e32 v17, v33, v24
	v_add_f32_e32 v26, v26, v16
	v_mul_f32_e32 v16, v21, v23
	v_add_f32_e32 v27, v27, v17
	;; [unrolled: 6-line block ×3, first 2 shown]
	v_fma_f32 v22, v20, v24, -v14
	ds_read2_b64 v[14:17], v12 offset0:128 offset1:144
	v_mul_f32_e32 v20, v20, v25
	v_fmac_f32_e32 v20, v21, v24
	v_add_f32_e32 v31, v18, v22
	v_add_f32_e32 v32, v19, v20
	s_waitcnt lgkmcnt(0)
	v_mul_f32_e32 v18, v39, v15
	v_fma_f32 v18, v38, v14, -v18
	v_mul_f32_e32 v19, v38, v15
	v_fmac_f32_e32 v19, v39, v14
	v_add_f32_e32 v7, v7, v18
	v_mul_f32_e32 v18, v39, v17
	v_add_f32_e32 v33, v28, v19
	v_fma_f32 v22, v38, v16, -v18
	ds_read_b128 v[18:21], v13 offset:1056
	v_mul_f32_e32 v23, v38, v17
	v_fmac_f32_e32 v23, v39, v16
	v_add_f32_e32 v34, v26, v22
	v_add_f32_e32 v35, v27, v23
	ds_read_b128 v[22:25], v13 offset:1072
	s_waitcnt lgkmcnt(1)
	v_mul_f32_e32 v26, v19, v15
	v_fma_f32 v26, v18, v14, -v26
	v_mul_f32_e32 v15, v18, v15
	v_fmac_f32_e32 v15, v19, v14
	v_add_f32_e32 v14, v29, v26
	v_mul_f32_e32 v26, v19, v17
	v_add_f32_e32 v15, v30, v15
	v_fma_f32 v30, v18, v16, -v26
	ds_read2_b64 v[26:29], v12 offset0:160 offset1:176
	v_mul_f32_e32 v17, v18, v17
	v_fmac_f32_e32 v17, v19, v16
	v_add_f32_e32 v19, v32, v17
	v_add_f32_e32 v18, v31, v30
	s_waitcnt lgkmcnt(0)
	v_mul_f32_e32 v16, v41, v27
	v_fma_f32 v16, v40, v26, -v16
	v_mul_f32_e32 v17, v40, v27
	v_fmac_f32_e32 v17, v41, v26
	v_add_f32_e32 v7, v7, v16
	v_mul_f32_e32 v16, v41, v29
	v_add_f32_e32 v30, v33, v17
	v_fma_f32 v16, v40, v28, -v16
	v_mul_f32_e32 v17, v40, v29
	v_fmac_f32_e32 v17, v41, v28
	v_add_f32_e32 v31, v34, v16
	v_mul_f32_e32 v16, v21, v27
	v_add_f32_e32 v32, v35, v17
	v_fma_f32 v16, v20, v26, -v16
	v_mul_f32_e32 v17, v20, v27
	v_fmac_f32_e32 v17, v21, v26
	v_add_f32_e32 v26, v14, v16
	v_mul_f32_e32 v14, v21, v29
	v_add_f32_e32 v27, v15, v17
	v_fma_f32 v33, v20, v28, -v14
	ds_read2_b64 v[14:17], v12 offset0:192 offset1:208
	v_mul_f32_e32 v20, v20, v29
	v_fmac_f32_e32 v20, v21, v28
	v_add_f32_e32 v19, v19, v20
	v_add_f32_e32 v18, v18, v33
	s_waitcnt lgkmcnt(0)
	v_mul_f32_e32 v20, v43, v15
	v_fma_f32 v20, v42, v14, -v20
	v_mul_f32_e32 v21, v42, v15
	v_add_f32_e32 v7, v7, v20
	v_mul_f32_e32 v20, v43, v17
	v_fmac_f32_e32 v21, v43, v14
	v_fma_f32 v20, v42, v16, -v20
	v_add_f32_e32 v21, v30, v21
	v_mul_f32_e32 v28, v42, v17
	v_add_f32_e32 v30, v31, v20
	v_mul_f32_e32 v20, v23, v15
	v_mul_f32_e32 v15, v22, v15
	v_fmac_f32_e32 v28, v43, v16
	v_fma_f32 v20, v22, v14, -v20
	v_fmac_f32_e32 v15, v23, v14
	v_add_f32_e32 v31, v32, v28
	v_add_f32_e32 v14, v26, v20
	v_add_f32_e32 v15, v27, v15
	ds_read2_b64 v[26:29], v12 offset0:224 offset1:240
	v_mul_f32_e32 v20, v23, v17
	v_fma_f32 v20, v22, v16, -v20
	v_mul_f32_e32 v17, v22, v17
	v_fmac_f32_e32 v17, v23, v16
	v_add_f32_e32 v16, v18, v20
	s_waitcnt lgkmcnt(0)
	v_mul_f32_e32 v18, v45, v27
	v_fma_f32 v18, v44, v26, -v18
	v_add_f32_e32 v20, v7, v18
	v_mul_f32_e32 v7, v45, v29
	v_fma_f32 v7, v44, v28, -v7
	v_add_f32_e32 v17, v19, v17
	v_mul_f32_e32 v19, v44, v27
	v_add_f32_e32 v18, v30, v7
	v_mul_f32_e32 v7, v25, v27
	v_mul_f32_e32 v22, v24, v27
	v_fmac_f32_e32 v19, v45, v26
	v_fma_f32 v7, v24, v26, -v7
	v_fmac_f32_e32 v22, v25, v26
	v_add_f32_e32 v21, v21, v19
	v_mul_f32_e32 v19, v44, v29
	v_add_f32_e32 v14, v14, v7
	v_add_f32_e32 v15, v15, v22
	v_mul_f32_e32 v7, v25, v29
	v_mul_f32_e32 v22, v24, v29
	v_fmac_f32_e32 v19, v45, v28
	v_fma_f32 v7, v24, v28, -v7
	v_fmac_f32_e32 v22, v25, v28
	s_add_i32 s9, s9, 8
	v_add_co_u32_e32 v4, vcc, 64, v4
	v_add_f32_e32 v19, v31, v19
	v_add_f32_e32 v16, v16, v7
	;; [unrolled: 1-line block ×3, first 2 shown]
	s_cmp_ge_i32 s9, s17
	v_addc_co_u32_e32 v5, vcc, 0, v5, vcc
	s_barrier
	s_cbranch_scc1 .LBB833_12
.LBB833_3:                              ; =>This Inner Loop Header: Depth=1
	v_add_u32_e32 v7, s9, v9
	v_cmp_le_i32_e32 vcc, s17, v7
	s_or_b64 s[6:7], s[2:3], vcc
	s_and_saveexec_b64 s[14:15], s[6:7]
	s_xor_b64 s[6:7], exec, s[14:15]
; %bb.4:                                ;   in Loop: Header=BB833_3 Depth=1
	ds_write_b32 v10, v6
; %bb.5:                                ;   in Loop: Header=BB833_3 Depth=1
	s_or_saveexec_b64 s[6:7], s[6:7]
	v_mov_b32_e32 v7, 0
	s_xor_b64 exec, exec, s[6:7]
	s_cbranch_execz .LBB833_7
; %bb.6:                                ;   in Loop: Header=BB833_3 Depth=1
	flat_load_dwordx2 v[22:23], v[2:3]
	s_waitcnt vmcnt(0) lgkmcnt(0)
	v_xor_b32_e32 v7, 0x80000000, v23
	ds_write_b32 v10, v22
.LBB833_7:                              ;   in Loop: Header=BB833_3 Depth=1
	s_or_b64 exec, exec, s[6:7]
	ds_write_b32 v10, v7 offset:4
	v_add_u32_e32 v7, s9, v8
	v_cmp_le_i32_e32 vcc, s17, v7
	s_or_b64 s[6:7], vcc, s[0:1]
	s_and_saveexec_b64 s[14:15], s[6:7]
	s_xor_b64 s[6:7], exec, s[14:15]
; %bb.8:                                ;   in Loop: Header=BB833_3 Depth=1
	v_mov_b32_e32 v7, v6
	ds_write_b64 v11, v[6:7]
; %bb.9:                                ;   in Loop: Header=BB833_3 Depth=1
	s_andn2_saveexec_b64 s[6:7], s[6:7]
	s_cbranch_execz .LBB833_2
; %bb.10:                               ;   in Loop: Header=BB833_3 Depth=1
	flat_load_dwordx2 v[22:23], v[4:5]
	s_waitcnt vmcnt(0) lgkmcnt(0)
	ds_write_b64 v11, v[22:23]
	s_branch .LBB833_2
.LBB833_11:
	v_mov_b32_e32 v20, 0
	v_mov_b32_e32 v21, 0
	;; [unrolled: 1-line block ×8, first 2 shown]
.LBB833_12:
	s_load_dword s6, s[4:5], 0x50
	v_add_u32_e32 v5, s18, v1
	s_waitcnt lgkmcnt(0)
	v_mov_b32_e32 v3, s11
	v_add_u32_e32 v0, s8, v0
	v_mad_i64_i32 v[1:2], s[0:1], v5, s6, 0
	v_cmp_le_i32_e64 s[0:1], v5, v0
	v_lshlrev_b64 v[1:2], 3, v[1:2]
	v_add_co_u32_e32 v4, vcc, s10, v1
	v_addc_co_u32_e32 v6, vcc, v3, v2, vcc
	v_cmp_gt_i32_e32 vcc, s16, v0
	s_and_b64 s[0:1], s[0:1], vcc
	s_and_saveexec_b64 s[2:3], s[0:1]
	s_cbranch_execz .LBB833_15
; %bb.13:
	v_mul_f32_e32 v1, s13, v21
	v_fma_f32 v7, v20, s12, -v1
	v_ashrrev_i32_e32 v1, 31, v0
	v_lshlrev_b64 v[1:2], 3, v[0:1]
	v_mul_f32_e32 v8, s12, v21
	v_add_co_u32_e64 v1, s[0:1], v4, v1
	v_addc_co_u32_e64 v2, s[0:1], v6, v2, s[0:1]
	v_fmac_f32_e32 v8, s13, v20
	v_cmp_eq_u32_e64 s[0:1], v5, v0
	flat_store_dwordx2 v[1:2], v[7:8]
	s_and_b64 exec, exec, s[0:1]
	s_cbranch_execz .LBB833_15
; %bb.14:
	v_mov_b32_e32 v3, 0
	flat_store_dword v[1:2], v3 offset:4
.LBB833_15:
	s_or_b64 exec, exec, s[2:3]
	v_add_u32_e32 v2, 16, v0
	v_cmp_le_i32_e64 s[2:3], v5, v2
	v_cmp_gt_i32_e64 s[0:1], s16, v2
	s_and_b64 s[2:3], s[2:3], s[0:1]
	s_and_saveexec_b64 s[4:5], s[2:3]
	s_cbranch_execz .LBB833_18
; %bb.16:
	v_ashrrev_i32_e32 v3, 31, v2
	v_lshlrev_b64 v[9:10], 3, v[2:3]
	v_mul_f32_e32 v1, s13, v19
	v_add_co_u32_e64 v3, s[2:3], v4, v9
	v_mul_f32_e32 v8, s12, v19
	v_addc_co_u32_e64 v4, s[2:3], v6, v10, s[2:3]
	v_fma_f32 v7, v18, s12, -v1
	v_fmac_f32_e32 v8, s13, v18
	v_cmp_eq_u32_e64 s[2:3], v5, v2
	flat_store_dwordx2 v[3:4], v[7:8]
	s_and_b64 exec, exec, s[2:3]
	s_cbranch_execz .LBB833_18
; %bb.17:
	v_mov_b32_e32 v1, 0
	flat_store_dword v[3:4], v1 offset:4
.LBB833_18:
	s_or_b64 exec, exec, s[4:5]
	v_add_u32_e32 v8, 16, v5
	v_mad_i64_i32 v[3:4], s[2:3], v8, s6, 0
	v_mov_b32_e32 v1, s11
	v_lshlrev_b64 v[3:4], 3, v[3:4]
	v_add_co_u32_e64 v6, s[2:3], s10, v3
	v_addc_co_u32_e64 v7, s[2:3], v1, v4, s[2:3]
	v_cmp_le_i32_e64 s[2:3], v8, v0
	s_and_b64 s[4:5], s[2:3], vcc
	s_and_saveexec_b64 s[2:3], s[4:5]
	s_cbranch_execz .LBB833_21
; %bb.19:
	v_mul_f32_e32 v1, s13, v15
	v_fma_f32 v9, v14, s12, -v1
	v_ashrrev_i32_e32 v1, 31, v0
	v_lshlrev_b64 v[3:4], 3, v[0:1]
	v_mul_f32_e32 v10, s12, v15
	v_add_co_u32_e32 v3, vcc, v6, v3
	v_addc_co_u32_e32 v4, vcc, v7, v4, vcc
	v_fmac_f32_e32 v10, s13, v14
	v_cmp_eq_u32_e32 vcc, v8, v0
	flat_store_dwordx2 v[3:4], v[9:10]
	s_and_b64 exec, exec, vcc
	s_cbranch_execz .LBB833_21
; %bb.20:
	v_mov_b32_e32 v1, 0
	flat_store_dword v[3:4], v1 offset:4
.LBB833_21:
	s_or_b64 exec, exec, s[2:3]
	v_cmp_le_i32_e32 vcc, v8, v2
	s_and_b64 s[0:1], vcc, s[0:1]
	s_and_saveexec_b64 s[2:3], s[0:1]
	s_cbranch_execz .LBB833_24
; %bb.22:
	v_mul_f32_e32 v1, s13, v17
	v_ashrrev_i32_e32 v3, 31, v2
	v_fma_f32 v8, v16, s12, -v1
	v_lshlrev_b64 v[1:2], 3, v[2:3]
	v_mul_f32_e32 v9, s12, v17
	v_add_co_u32_e32 v1, vcc, v6, v1
	v_addc_co_u32_e32 v2, vcc, v7, v2, vcc
	v_fmac_f32_e32 v9, s13, v16
	v_cmp_eq_u32_e32 vcc, v5, v0
	flat_store_dwordx2 v[1:2], v[8:9]
	s_and_b64 exec, exec, vcc
	s_cbranch_execz .LBB833_24
; %bb.23:
	v_mov_b32_e32 v0, 0
	flat_store_dword v[1:2], v0 offset:4
.LBB833_24:
	s_endpgm
	.section	.rodata,"a",@progbits
	.p2align	6, 0x0
	.amdhsa_kernel _ZL34rocblas_syrkx_herkx_general_kernelIi19rocblas_complex_numIfELi16ELi32ELi8ELb1ELb1ELc67ELc76EKPKS1_KPS1_EviT_T0_PT8_S7_lSA_S7_lS8_PT9_S7_li
		.amdhsa_group_segment_fixed_size 4096
		.amdhsa_private_segment_fixed_size 0
		.amdhsa_kernarg_size 100
		.amdhsa_user_sgpr_count 6
		.amdhsa_user_sgpr_private_segment_buffer 1
		.amdhsa_user_sgpr_dispatch_ptr 0
		.amdhsa_user_sgpr_queue_ptr 0
		.amdhsa_user_sgpr_kernarg_segment_ptr 1
		.amdhsa_user_sgpr_dispatch_id 0
		.amdhsa_user_sgpr_flat_scratch_init 0
		.amdhsa_user_sgpr_private_segment_size 0
		.amdhsa_uses_dynamic_stack 0
		.amdhsa_system_sgpr_private_segment_wavefront_offset 0
		.amdhsa_system_sgpr_workgroup_id_x 1
		.amdhsa_system_sgpr_workgroup_id_y 1
		.amdhsa_system_sgpr_workgroup_id_z 1
		.amdhsa_system_sgpr_workgroup_info 0
		.amdhsa_system_vgpr_workitem_id 1
		.amdhsa_next_free_vgpr 48
		.amdhsa_next_free_sgpr 21
		.amdhsa_reserve_vcc 1
		.amdhsa_reserve_flat_scratch 0
		.amdhsa_float_round_mode_32 0
		.amdhsa_float_round_mode_16_64 0
		.amdhsa_float_denorm_mode_32 3
		.amdhsa_float_denorm_mode_16_64 3
		.amdhsa_dx10_clamp 1
		.amdhsa_ieee_mode 1
		.amdhsa_fp16_overflow 0
		.amdhsa_exception_fp_ieee_invalid_op 0
		.amdhsa_exception_fp_denorm_src 0
		.amdhsa_exception_fp_ieee_div_zero 0
		.amdhsa_exception_fp_ieee_overflow 0
		.amdhsa_exception_fp_ieee_underflow 0
		.amdhsa_exception_fp_ieee_inexact 0
		.amdhsa_exception_int_div_zero 0
	.end_amdhsa_kernel
	.section	.text._ZL34rocblas_syrkx_herkx_general_kernelIi19rocblas_complex_numIfELi16ELi32ELi8ELb1ELb1ELc67ELc76EKPKS1_KPS1_EviT_T0_PT8_S7_lSA_S7_lS8_PT9_S7_li,"axG",@progbits,_ZL34rocblas_syrkx_herkx_general_kernelIi19rocblas_complex_numIfELi16ELi32ELi8ELb1ELb1ELc67ELc76EKPKS1_KPS1_EviT_T0_PT8_S7_lSA_S7_lS8_PT9_S7_li,comdat
.Lfunc_end833:
	.size	_ZL34rocblas_syrkx_herkx_general_kernelIi19rocblas_complex_numIfELi16ELi32ELi8ELb1ELb1ELc67ELc76EKPKS1_KPS1_EviT_T0_PT8_S7_lSA_S7_lS8_PT9_S7_li, .Lfunc_end833-_ZL34rocblas_syrkx_herkx_general_kernelIi19rocblas_complex_numIfELi16ELi32ELi8ELb1ELb1ELc67ELc76EKPKS1_KPS1_EviT_T0_PT8_S7_lSA_S7_lS8_PT9_S7_li
                                        ; -- End function
	.set _ZL34rocblas_syrkx_herkx_general_kernelIi19rocblas_complex_numIfELi16ELi32ELi8ELb1ELb1ELc67ELc76EKPKS1_KPS1_EviT_T0_PT8_S7_lSA_S7_lS8_PT9_S7_li.num_vgpr, 48
	.set _ZL34rocblas_syrkx_herkx_general_kernelIi19rocblas_complex_numIfELi16ELi32ELi8ELb1ELb1ELc67ELc76EKPKS1_KPS1_EviT_T0_PT8_S7_lSA_S7_lS8_PT9_S7_li.num_agpr, 0
	.set _ZL34rocblas_syrkx_herkx_general_kernelIi19rocblas_complex_numIfELi16ELi32ELi8ELb1ELb1ELc67ELc76EKPKS1_KPS1_EviT_T0_PT8_S7_lSA_S7_lS8_PT9_S7_li.numbered_sgpr, 21
	.set _ZL34rocblas_syrkx_herkx_general_kernelIi19rocblas_complex_numIfELi16ELi32ELi8ELb1ELb1ELc67ELc76EKPKS1_KPS1_EviT_T0_PT8_S7_lSA_S7_lS8_PT9_S7_li.num_named_barrier, 0
	.set _ZL34rocblas_syrkx_herkx_general_kernelIi19rocblas_complex_numIfELi16ELi32ELi8ELb1ELb1ELc67ELc76EKPKS1_KPS1_EviT_T0_PT8_S7_lSA_S7_lS8_PT9_S7_li.private_seg_size, 0
	.set _ZL34rocblas_syrkx_herkx_general_kernelIi19rocblas_complex_numIfELi16ELi32ELi8ELb1ELb1ELc67ELc76EKPKS1_KPS1_EviT_T0_PT8_S7_lSA_S7_lS8_PT9_S7_li.uses_vcc, 1
	.set _ZL34rocblas_syrkx_herkx_general_kernelIi19rocblas_complex_numIfELi16ELi32ELi8ELb1ELb1ELc67ELc76EKPKS1_KPS1_EviT_T0_PT8_S7_lSA_S7_lS8_PT9_S7_li.uses_flat_scratch, 0
	.set _ZL34rocblas_syrkx_herkx_general_kernelIi19rocblas_complex_numIfELi16ELi32ELi8ELb1ELb1ELc67ELc76EKPKS1_KPS1_EviT_T0_PT8_S7_lSA_S7_lS8_PT9_S7_li.has_dyn_sized_stack, 0
	.set _ZL34rocblas_syrkx_herkx_general_kernelIi19rocblas_complex_numIfELi16ELi32ELi8ELb1ELb1ELc67ELc76EKPKS1_KPS1_EviT_T0_PT8_S7_lSA_S7_lS8_PT9_S7_li.has_recursion, 0
	.set _ZL34rocblas_syrkx_herkx_general_kernelIi19rocblas_complex_numIfELi16ELi32ELi8ELb1ELb1ELc67ELc76EKPKS1_KPS1_EviT_T0_PT8_S7_lSA_S7_lS8_PT9_S7_li.has_indirect_call, 0
	.section	.AMDGPU.csdata,"",@progbits
; Kernel info:
; codeLenInByte = 2184
; TotalNumSgprs: 25
; NumVgprs: 48
; ScratchSize: 0
; MemoryBound: 1
; FloatMode: 240
; IeeeMode: 1
; LDSByteSize: 4096 bytes/workgroup (compile time only)
; SGPRBlocks: 3
; VGPRBlocks: 11
; NumSGPRsForWavesPerEU: 25
; NumVGPRsForWavesPerEU: 48
; Occupancy: 5
; WaveLimiterHint : 1
; COMPUTE_PGM_RSRC2:SCRATCH_EN: 0
; COMPUTE_PGM_RSRC2:USER_SGPR: 6
; COMPUTE_PGM_RSRC2:TRAP_HANDLER: 0
; COMPUTE_PGM_RSRC2:TGID_X_EN: 1
; COMPUTE_PGM_RSRC2:TGID_Y_EN: 1
; COMPUTE_PGM_RSRC2:TGID_Z_EN: 1
; COMPUTE_PGM_RSRC2:TIDIG_COMP_CNT: 1
	.section	.text._ZL34rocblas_syrkx_herkx_general_kernelIi19rocblas_complex_numIfELi16ELi32ELi8ELb1ELb1ELc78ELc76EKPKS1_KPS1_EviT_T0_PT8_S7_lSA_S7_lS8_PT9_S7_li,"axG",@progbits,_ZL34rocblas_syrkx_herkx_general_kernelIi19rocblas_complex_numIfELi16ELi32ELi8ELb1ELb1ELc78ELc76EKPKS1_KPS1_EviT_T0_PT8_S7_lSA_S7_lS8_PT9_S7_li,comdat
	.globl	_ZL34rocblas_syrkx_herkx_general_kernelIi19rocblas_complex_numIfELi16ELi32ELi8ELb1ELb1ELc78ELc76EKPKS1_KPS1_EviT_T0_PT8_S7_lSA_S7_lS8_PT9_S7_li ; -- Begin function _ZL34rocblas_syrkx_herkx_general_kernelIi19rocblas_complex_numIfELi16ELi32ELi8ELb1ELb1ELc78ELc76EKPKS1_KPS1_EviT_T0_PT8_S7_lSA_S7_lS8_PT9_S7_li
	.p2align	8
	.type	_ZL34rocblas_syrkx_herkx_general_kernelIi19rocblas_complex_numIfELi16ELi32ELi8ELb1ELb1ELc78ELc76EKPKS1_KPS1_EviT_T0_PT8_S7_lSA_S7_lS8_PT9_S7_li,@function
_ZL34rocblas_syrkx_herkx_general_kernelIi19rocblas_complex_numIfELi16ELi32ELi8ELb1ELb1ELc78ELc76EKPKS1_KPS1_EviT_T0_PT8_S7_lSA_S7_lS8_PT9_S7_li: ; @_ZL34rocblas_syrkx_herkx_general_kernelIi19rocblas_complex_numIfELi16ELi32ELi8ELb1ELb1ELc78ELc76EKPKS1_KPS1_EviT_T0_PT8_S7_lSA_S7_lS8_PT9_S7_li
; %bb.0:
	s_load_dwordx2 s[2:3], s[4:5], 0x48
	s_load_dwordx2 s[16:17], s[4:5], 0x0
	s_load_dwordx4 s[12:15], s[4:5], 0x8
	s_mov_b32 s9, 0
	s_lshl_b64 s[0:1], s[8:9], 3
	s_waitcnt lgkmcnt(0)
	s_add_u32 s2, s2, s0
	s_addc_u32 s3, s3, s1
	s_load_dwordx2 s[10:11], s[2:3], 0x0
	s_lshl_b32 s8, s6, 5
	s_lshl_b32 s20, s7, 5
	s_cmp_lt_i32 s17, 1
	s_cbranch_scc1 .LBB834_11
; %bb.1:
	s_load_dword s6, s[4:5], 0x18
	s_load_dword s18, s[4:5], 0x30
	s_load_dwordx2 s[2:3], s[4:5], 0x28
	v_lshl_add_u32 v2, v1, 4, v0
	v_and_b32_e32 v6, 31, v2
	v_lshrrev_b32_e32 v9, 5, v2
	v_lshrrev_b32_e32 v3, 3, v2
	v_or_b32_e32 v2, s8, v6
	s_waitcnt lgkmcnt(0)
	s_ashr_i32 s7, s6, 31
	s_ashr_i32 s19, s18, 31
	v_and_b32_e32 v8, 7, v0
	v_cmp_gt_i32_e32 vcc, s16, v2
	v_lshlrev_b32_e32 v2, 3, v6
	s_add_u32 s2, s2, s0
	v_lshl_or_b32 v10, v9, 8, v2
	v_lshlrev_b32_e32 v2, 3, v8
	s_addc_u32 s3, s3, s1
	v_lshl_or_b32 v2, v3, 6, v2
	v_add_u32_e32 v4, s20, v3
	s_load_dwordx2 s[22:23], s[2:3], 0x0
	v_add_u32_e32 v11, 0x800, v2
	v_mad_i64_i32 v[2:3], s[2:3], v9, s6, 0
	v_mov_b32_e32 v7, 0x800
	v_add_u32_e32 v6, s8, v6
	v_lshl_add_u32 v13, v1, 6, v7
	v_ashrrev_i32_e32 v7, 31, v6
	s_add_u32 s0, s14, s0
	v_lshlrev_b64 v[2:3], 3, v[2:3]
	v_lshlrev_b64 v[6:7], 3, v[6:7]
	s_addc_u32 s1, s15, s1
	s_load_dwordx2 s[14:15], s[0:1], 0x0
	v_add_co_u32_e64 v2, s[2:3], v2, v6
	v_addc_co_u32_e64 v3, s[2:3], v3, v7, s[2:3]
	v_mad_i64_i32 v[6:7], s[2:3], s18, v8, 0
	v_ashrrev_i32_e32 v5, 31, v4
	v_cmp_gt_i32_e64 s[0:1], s16, v4
	s_waitcnt lgkmcnt(0)
	v_mov_b32_e32 v14, s15
	v_add_co_u32_e64 v2, s[2:3], s14, v2
	v_lshlrev_b64 v[6:7], 3, v[6:7]
	v_lshlrev_b64 v[4:5], 3, v[4:5]
	v_addc_co_u32_e64 v3, s[2:3], v14, v3, s[2:3]
	v_add_co_u32_e64 v4, s[2:3], v6, v4
	v_addc_co_u32_e64 v5, s[2:3], v7, v5, s[2:3]
	v_mov_b32_e32 v6, s23
	v_add_co_u32_e64 v4, s[2:3], s22, v4
	v_addc_co_u32_e64 v5, s[2:3], v6, v5, s[2:3]
	s_lshl_b64 s[6:7], s[6:7], 6
	s_lshl_b64 s[2:3], s[18:19], 6
	v_lshlrev_b32_e32 v12, 3, v0
	s_xor_b64 s[14:15], vcc, -1
	s_xor_b64 s[0:1], s[0:1], -1
	v_mov_b32_e32 v14, s7
	v_mov_b32_e32 v15, s3
	;; [unrolled: 1-line block ×11, first 2 shown]
	s_branch .LBB834_3
.LBB834_2:                              ;   in Loop: Header=BB834_3 Depth=1
	s_or_b64 exec, exec, s[18:19]
	ds_write_b32 v11, v7 offset:4
	s_waitcnt lgkmcnt(0)
	s_barrier
	ds_read2_b64 v[24:27], v12 offset1:16
	ds_read_b128 v[28:31], v13
	ds_read_b128 v[32:35], v13 offset:16
	ds_read2_b64 v[40:43], v12 offset0:32 offset1:48
	v_add_co_u32_e32 v2, vcc, s6, v2
	s_waitcnt lgkmcnt(2)
	v_mul_f32_e32 v36, v28, v25
	v_fmac_f32_e32 v36, v29, v24
	v_add_f32_e32 v44, v21, v36
	ds_read_b128 v[36:39], v13 offset:1024
	v_mul_f32_e32 v7, v29, v25
	v_fma_f32 v7, v28, v24, -v7
	v_add_f32_e32 v7, v20, v7
	v_mul_f32_e32 v20, v29, v27
	v_mul_f32_e32 v21, v28, v27
	v_fma_f32 v20, v28, v26, -v20
	v_fmac_f32_e32 v21, v29, v26
	v_add_f32_e32 v45, v22, v20
	v_add_f32_e32 v46, v23, v21
	ds_read_b128 v[20:23], v13 offset:1040
	s_waitcnt lgkmcnt(1)
	v_mul_f32_e32 v28, v37, v25
	v_fma_f32 v28, v36, v24, -v28
	v_mul_f32_e32 v47, v36, v25
	v_add_f32_e32 v48, v17, v28
	v_mul_f32_e32 v17, v37, v27
	v_fmac_f32_e32 v47, v37, v24
	v_fma_f32 v17, v36, v26, -v17
	v_mul_f32_e32 v36, v36, v27
	v_mul_f32_e32 v24, v31, v41
	v_fmac_f32_e32 v36, v37, v26
	v_fma_f32 v37, v30, v40, -v24
	v_mul_f32_e32 v24, v31, v43
	v_fma_f32 v50, v30, v42, -v24
	v_mul_f32_e32 v24, v39, v41
	v_mul_f32_e32 v49, v30, v41
	v_fma_f32 v52, v38, v40, -v24
	v_mul_f32_e32 v41, v38, v41
	v_mul_f32_e32 v24, v39, v43
	v_fmac_f32_e32 v49, v31, v40
	v_mul_f32_e32 v51, v30, v43
	v_fmac_f32_e32 v41, v39, v40
	v_fma_f32 v40, v38, v42, -v24
	v_mul_f32_e32 v38, v38, v43
	v_fmac_f32_e32 v51, v31, v42
	v_fmac_f32_e32 v38, v39, v42
	ds_read_b128 v[24:27], v13 offset:32
	ds_read_b128 v[28:31], v13 offset:48
	v_add_f32_e32 v39, v16, v47
	v_add_f32_e32 v42, v18, v17
	;; [unrolled: 1-line block ×3, first 2 shown]
	ds_read2_b64 v[16:19], v12 offset0:64 offset1:80
	v_add_f32_e32 v39, v39, v41
	v_add_f32_e32 v41, v36, v38
	;; [unrolled: 1-line block ×4, first 2 shown]
	s_waitcnt lgkmcnt(0)
	v_mul_f32_e32 v36, v33, v17
	v_fma_f32 v36, v32, v16, -v36
	v_add_f32_e32 v7, v7, v36
	v_mul_f32_e32 v36, v33, v19
	v_mul_f32_e32 v38, v32, v17
	v_fma_f32 v36, v32, v18, -v36
	v_mul_f32_e32 v32, v32, v19
	v_fmac_f32_e32 v38, v33, v16
	v_fmac_f32_e32 v32, v33, v18
	v_add_f32_e32 v33, v43, v36
	v_mul_f32_e32 v36, v21, v17
	v_add_f32_e32 v45, v48, v52
	v_fma_f32 v36, v20, v16, -v36
	v_mul_f32_e32 v17, v20, v17
	v_add_f32_e32 v37, v44, v49
	v_fmac_f32_e32 v17, v21, v16
	v_add_f32_e32 v16, v45, v36
	v_mul_f32_e32 v36, v21, v19
	v_add_f32_e32 v40, v42, v40
	v_add_f32_e32 v42, v37, v38
	;; [unrolled: 1-line block ×3, first 2 shown]
	v_fma_f32 v43, v20, v18, -v36
	ds_read2_b64 v[36:39], v12 offset0:96 offset1:112
	v_mul_f32_e32 v19, v20, v19
	v_fmac_f32_e32 v19, v21, v18
	v_add_f32_e32 v21, v41, v19
	v_add_f32_e32 v44, v46, v51
	s_waitcnt lgkmcnt(0)
	v_mul_f32_e32 v18, v35, v37
	v_fma_f32 v18, v34, v36, -v18
	v_mul_f32_e32 v19, v34, v37
	v_fmac_f32_e32 v19, v35, v36
	v_add_f32_e32 v7, v7, v18
	v_mul_f32_e32 v18, v35, v39
	v_add_f32_e32 v20, v40, v43
	v_add_f32_e32 v40, v42, v19
	v_fma_f32 v18, v34, v38, -v18
	v_mul_f32_e32 v19, v34, v39
	v_add_f32_e32 v32, v44, v32
	v_fmac_f32_e32 v19, v35, v38
	v_add_f32_e32 v33, v33, v18
	v_mul_f32_e32 v18, v23, v37
	v_add_f32_e32 v32, v32, v19
	v_fma_f32 v18, v22, v36, -v18
	v_mul_f32_e32 v19, v22, v37
	v_fmac_f32_e32 v19, v23, v36
	v_add_f32_e32 v36, v16, v18
	v_mul_f32_e32 v16, v23, v39
	v_add_f32_e32 v37, v17, v19
	v_fma_f32 v34, v22, v38, -v16
	ds_read2_b64 v[16:19], v12 offset0:128 offset1:144
	v_mul_f32_e32 v22, v22, v39
	v_fmac_f32_e32 v22, v23, v38
	v_add_f32_e32 v41, v20, v34
	v_add_f32_e32 v42, v21, v22
	s_waitcnt lgkmcnt(0)
	v_mul_f32_e32 v20, v25, v17
	v_fma_f32 v20, v24, v16, -v20
	v_mul_f32_e32 v21, v24, v17
	v_fmac_f32_e32 v21, v25, v16
	v_add_f32_e32 v7, v7, v20
	v_mul_f32_e32 v20, v25, v19
	v_add_f32_e32 v40, v40, v21
	v_fma_f32 v34, v24, v18, -v20
	ds_read_b128 v[20:23], v13 offset:1056
	v_mul_f32_e32 v24, v24, v19
	v_fmac_f32_e32 v24, v25, v18
	v_add_f32_e32 v25, v33, v34
	v_add_f32_e32 v24, v32, v24
	ds_read_b128 v[32:35], v13 offset:1072
	s_waitcnt lgkmcnt(1)
	v_mul_f32_e32 v38, v21, v17
	v_fma_f32 v38, v20, v16, -v38
	v_mul_f32_e32 v17, v20, v17
	v_fmac_f32_e32 v17, v21, v16
	v_add_f32_e32 v16, v36, v38
	v_mul_f32_e32 v36, v21, v19
	v_add_f32_e32 v17, v37, v17
	v_fma_f32 v43, v20, v18, -v36
	ds_read2_b64 v[36:39], v12 offset0:160 offset1:176
	v_mul_f32_e32 v19, v20, v19
	v_fmac_f32_e32 v19, v21, v18
	v_add_f32_e32 v21, v42, v19
	v_add_f32_e32 v20, v41, v43
	s_waitcnt lgkmcnt(0)
	v_mul_f32_e32 v18, v27, v37
	v_fma_f32 v18, v26, v36, -v18
	v_mul_f32_e32 v19, v26, v37
	v_fmac_f32_e32 v19, v27, v36
	v_add_f32_e32 v7, v7, v18
	v_mul_f32_e32 v18, v27, v39
	v_add_f32_e32 v40, v40, v19
	v_fma_f32 v18, v26, v38, -v18
	v_mul_f32_e32 v19, v26, v39
	v_fmac_f32_e32 v19, v27, v38
	v_add_f32_e32 v25, v25, v18
	v_mul_f32_e32 v18, v23, v37
	v_add_f32_e32 v24, v24, v19
	;; [unrolled: 6-line block ×3, first 2 shown]
	v_fma_f32 v36, v22, v38, -v16
	ds_read2_b64 v[16:19], v12 offset0:192 offset1:208
	v_mul_f32_e32 v22, v22, v39
	v_fmac_f32_e32 v22, v23, v38
	v_add_f32_e32 v21, v21, v22
	v_add_f32_e32 v20, v20, v36
	s_waitcnt lgkmcnt(0)
	v_mul_f32_e32 v22, v29, v17
	v_mul_f32_e32 v23, v28, v17
	v_fma_f32 v22, v28, v16, -v22
	v_fmac_f32_e32 v23, v29, v16
	v_add_f32_e32 v7, v7, v22
	v_add_f32_e32 v22, v40, v23
	v_mul_f32_e32 v23, v29, v19
	v_fma_f32 v23, v28, v18, -v23
	v_mul_f32_e32 v28, v28, v19
	v_fmac_f32_e32 v28, v29, v18
	v_add_f32_e32 v28, v24, v28
	v_mul_f32_e32 v24, v33, v17
	v_mul_f32_e32 v17, v32, v17
	v_fma_f32 v24, v32, v16, -v24
	v_fmac_f32_e32 v17, v33, v16
	v_add_f32_e32 v23, v25, v23
	v_add_f32_e32 v16, v26, v24
	;; [unrolled: 1-line block ×3, first 2 shown]
	ds_read2_b64 v[24:27], v12 offset0:224 offset1:240
	v_mul_f32_e32 v17, v33, v19
	v_fma_f32 v17, v32, v18, -v17
	v_mul_f32_e32 v19, v32, v19
	v_fmac_f32_e32 v19, v33, v18
	v_add_f32_e32 v18, v20, v17
	s_waitcnt lgkmcnt(0)
	v_mul_f32_e32 v17, v31, v25
	v_fma_f32 v17, v30, v24, -v17
	v_add_f32_e32 v19, v21, v19
	v_mul_f32_e32 v21, v30, v25
	v_add_f32_e32 v20, v7, v17
	v_mul_f32_e32 v7, v31, v27
	v_fmac_f32_e32 v21, v31, v24
	v_fma_f32 v7, v30, v26, -v7
	v_add_f32_e32 v21, v22, v21
	v_mul_f32_e32 v17, v30, v27
	v_add_f32_e32 v22, v23, v7
	v_mul_f32_e32 v7, v35, v25
	v_fmac_f32_e32 v17, v31, v26
	v_fma_f32 v7, v34, v24, -v7
	v_mul_f32_e32 v25, v34, v25
	v_add_f32_e32 v23, v28, v17
	v_fmac_f32_e32 v25, v35, v24
	v_add_f32_e32 v17, v16, v7
	v_mul_f32_e32 v7, v35, v27
	v_mul_f32_e32 v24, v34, v27
	v_addc_co_u32_e32 v3, vcc, v3, v14, vcc
	v_fma_f32 v7, v34, v26, -v7
	v_fmac_f32_e32 v24, v35, v26
	s_add_i32 s9, s9, 8
	v_add_co_u32_e32 v4, vcc, s2, v4
	v_add_f32_e32 v16, v29, v25
	v_add_f32_e32 v18, v18, v7
	;; [unrolled: 1-line block ×3, first 2 shown]
	s_cmp_ge_i32 s9, s17
	v_addc_co_u32_e32 v5, vcc, v5, v15, vcc
	s_barrier
	s_cbranch_scc1 .LBB834_12
.LBB834_3:                              ; =>This Inner Loop Header: Depth=1
	v_add_u32_e32 v7, s9, v9
	v_cmp_le_i32_e32 vcc, s17, v7
	s_or_b64 s[18:19], s[14:15], vcc
	s_and_saveexec_b64 s[22:23], s[18:19]
	s_xor_b64 s[18:19], exec, s[22:23]
; %bb.4:                                ;   in Loop: Header=BB834_3 Depth=1
	v_mov_b32_e32 v7, v6
	ds_write_b64 v10, v[6:7]
; %bb.5:                                ;   in Loop: Header=BB834_3 Depth=1
	s_andn2_saveexec_b64 s[18:19], s[18:19]
	s_cbranch_execz .LBB834_7
; %bb.6:                                ;   in Loop: Header=BB834_3 Depth=1
	flat_load_dwordx2 v[24:25], v[2:3]
	s_waitcnt vmcnt(0) lgkmcnt(0)
	ds_write_b64 v10, v[24:25]
.LBB834_7:                              ;   in Loop: Header=BB834_3 Depth=1
	s_or_b64 exec, exec, s[18:19]
	v_add_u32_e32 v7, s9, v8
	v_cmp_le_i32_e32 vcc, s17, v7
	s_or_b64 s[18:19], vcc, s[0:1]
	s_and_saveexec_b64 s[22:23], s[18:19]
	s_xor_b64 s[18:19], exec, s[22:23]
; %bb.8:                                ;   in Loop: Header=BB834_3 Depth=1
	ds_write_b32 v11, v6
; %bb.9:                                ;   in Loop: Header=BB834_3 Depth=1
	s_or_saveexec_b64 s[18:19], s[18:19]
	v_mov_b32_e32 v7, 0
	s_xor_b64 exec, exec, s[18:19]
	s_cbranch_execz .LBB834_2
; %bb.10:                               ;   in Loop: Header=BB834_3 Depth=1
	flat_load_dwordx2 v[24:25], v[4:5]
	s_waitcnt vmcnt(0) lgkmcnt(0)
	v_xor_b32_e32 v7, 0x80000000, v25
	ds_write_b32 v11, v24
	s_branch .LBB834_2
.LBB834_11:
	v_mov_b32_e32 v20, 0
	v_mov_b32_e32 v21, 0
	;; [unrolled: 1-line block ×8, first 2 shown]
.LBB834_12:
	s_load_dword s6, s[4:5], 0x50
	v_add_u32_e32 v5, s20, v1
	s_waitcnt lgkmcnt(0)
	v_mov_b32_e32 v3, s11
	v_add_u32_e32 v0, s8, v0
	v_mad_i64_i32 v[1:2], s[0:1], v5, s6, 0
	v_cmp_le_i32_e64 s[0:1], v5, v0
	v_lshlrev_b64 v[1:2], 3, v[1:2]
	v_add_co_u32_e32 v4, vcc, s10, v1
	v_addc_co_u32_e32 v6, vcc, v3, v2, vcc
	v_cmp_gt_i32_e32 vcc, s16, v0
	s_and_b64 s[0:1], s[0:1], vcc
	s_and_saveexec_b64 s[2:3], s[0:1]
	s_cbranch_execz .LBB834_15
; %bb.13:
	v_mul_f32_e32 v1, s13, v21
	v_fma_f32 v7, v20, s12, -v1
	v_ashrrev_i32_e32 v1, 31, v0
	v_lshlrev_b64 v[1:2], 3, v[0:1]
	v_mul_f32_e32 v8, s12, v21
	v_add_co_u32_e64 v1, s[0:1], v4, v1
	v_addc_co_u32_e64 v2, s[0:1], v6, v2, s[0:1]
	v_fmac_f32_e32 v8, s13, v20
	v_cmp_eq_u32_e64 s[0:1], v5, v0
	flat_store_dwordx2 v[1:2], v[7:8]
	s_and_b64 exec, exec, s[0:1]
	s_cbranch_execz .LBB834_15
; %bb.14:
	v_mov_b32_e32 v3, 0
	flat_store_dword v[1:2], v3 offset:4
.LBB834_15:
	s_or_b64 exec, exec, s[2:3]
	v_add_u32_e32 v2, 16, v0
	v_cmp_le_i32_e64 s[2:3], v5, v2
	v_cmp_gt_i32_e64 s[0:1], s16, v2
	s_and_b64 s[2:3], s[2:3], s[0:1]
	s_and_saveexec_b64 s[4:5], s[2:3]
	s_cbranch_execz .LBB834_18
; %bb.16:
	v_ashrrev_i32_e32 v3, 31, v2
	v_lshlrev_b64 v[9:10], 3, v[2:3]
	v_mul_f32_e32 v1, s13, v23
	v_add_co_u32_e64 v3, s[2:3], v4, v9
	v_mul_f32_e32 v8, s12, v23
	v_addc_co_u32_e64 v4, s[2:3], v6, v10, s[2:3]
	v_fma_f32 v7, v22, s12, -v1
	v_fmac_f32_e32 v8, s13, v22
	v_cmp_eq_u32_e64 s[2:3], v5, v2
	flat_store_dwordx2 v[3:4], v[7:8]
	s_and_b64 exec, exec, s[2:3]
	s_cbranch_execz .LBB834_18
; %bb.17:
	v_mov_b32_e32 v1, 0
	flat_store_dword v[3:4], v1 offset:4
.LBB834_18:
	s_or_b64 exec, exec, s[4:5]
	v_add_u32_e32 v8, 16, v5
	v_mad_i64_i32 v[3:4], s[2:3], v8, s6, 0
	v_mov_b32_e32 v1, s11
	v_lshlrev_b64 v[3:4], 3, v[3:4]
	v_add_co_u32_e64 v6, s[2:3], s10, v3
	v_addc_co_u32_e64 v7, s[2:3], v1, v4, s[2:3]
	v_cmp_le_i32_e64 s[2:3], v8, v0
	s_and_b64 s[4:5], s[2:3], vcc
	s_and_saveexec_b64 s[2:3], s[4:5]
	s_cbranch_execz .LBB834_21
; %bb.19:
	v_mul_f32_e32 v1, s13, v16
	v_fma_f32 v9, v17, s12, -v1
	v_ashrrev_i32_e32 v1, 31, v0
	v_lshlrev_b64 v[3:4], 3, v[0:1]
	v_mul_f32_e32 v10, s12, v16
	v_add_co_u32_e32 v3, vcc, v6, v3
	v_addc_co_u32_e32 v4, vcc, v7, v4, vcc
	v_fmac_f32_e32 v10, s13, v17
	v_cmp_eq_u32_e32 vcc, v8, v0
	flat_store_dwordx2 v[3:4], v[9:10]
	s_and_b64 exec, exec, vcc
	s_cbranch_execz .LBB834_21
; %bb.20:
	v_mov_b32_e32 v1, 0
	flat_store_dword v[3:4], v1 offset:4
.LBB834_21:
	s_or_b64 exec, exec, s[2:3]
	v_cmp_le_i32_e32 vcc, v8, v2
	s_and_b64 s[0:1], vcc, s[0:1]
	s_and_saveexec_b64 s[2:3], s[0:1]
	s_cbranch_execz .LBB834_24
; %bb.22:
	v_mul_f32_e32 v1, s13, v19
	v_ashrrev_i32_e32 v3, 31, v2
	v_fma_f32 v8, v18, s12, -v1
	v_lshlrev_b64 v[1:2], 3, v[2:3]
	v_mul_f32_e32 v9, s12, v19
	v_add_co_u32_e32 v1, vcc, v6, v1
	v_addc_co_u32_e32 v2, vcc, v7, v2, vcc
	v_fmac_f32_e32 v9, s13, v18
	v_cmp_eq_u32_e32 vcc, v5, v0
	flat_store_dwordx2 v[1:2], v[8:9]
	s_and_b64 exec, exec, vcc
	s_cbranch_execz .LBB834_24
; %bb.23:
	v_mov_b32_e32 v0, 0
	flat_store_dword v[1:2], v0 offset:4
.LBB834_24:
	s_endpgm
	.section	.rodata,"a",@progbits
	.p2align	6, 0x0
	.amdhsa_kernel _ZL34rocblas_syrkx_herkx_general_kernelIi19rocblas_complex_numIfELi16ELi32ELi8ELb1ELb1ELc78ELc76EKPKS1_KPS1_EviT_T0_PT8_S7_lSA_S7_lS8_PT9_S7_li
		.amdhsa_group_segment_fixed_size 4096
		.amdhsa_private_segment_fixed_size 0
		.amdhsa_kernarg_size 100
		.amdhsa_user_sgpr_count 6
		.amdhsa_user_sgpr_private_segment_buffer 1
		.amdhsa_user_sgpr_dispatch_ptr 0
		.amdhsa_user_sgpr_queue_ptr 0
		.amdhsa_user_sgpr_kernarg_segment_ptr 1
		.amdhsa_user_sgpr_dispatch_id 0
		.amdhsa_user_sgpr_flat_scratch_init 0
		.amdhsa_user_sgpr_private_segment_size 0
		.amdhsa_uses_dynamic_stack 0
		.amdhsa_system_sgpr_private_segment_wavefront_offset 0
		.amdhsa_system_sgpr_workgroup_id_x 1
		.amdhsa_system_sgpr_workgroup_id_y 1
		.amdhsa_system_sgpr_workgroup_id_z 1
		.amdhsa_system_sgpr_workgroup_info 0
		.amdhsa_system_vgpr_workitem_id 1
		.amdhsa_next_free_vgpr 53
		.amdhsa_next_free_sgpr 24
		.amdhsa_reserve_vcc 1
		.amdhsa_reserve_flat_scratch 0
		.amdhsa_float_round_mode_32 0
		.amdhsa_float_round_mode_16_64 0
		.amdhsa_float_denorm_mode_32 3
		.amdhsa_float_denorm_mode_16_64 3
		.amdhsa_dx10_clamp 1
		.amdhsa_ieee_mode 1
		.amdhsa_fp16_overflow 0
		.amdhsa_exception_fp_ieee_invalid_op 0
		.amdhsa_exception_fp_denorm_src 0
		.amdhsa_exception_fp_ieee_div_zero 0
		.amdhsa_exception_fp_ieee_overflow 0
		.amdhsa_exception_fp_ieee_underflow 0
		.amdhsa_exception_fp_ieee_inexact 0
		.amdhsa_exception_int_div_zero 0
	.end_amdhsa_kernel
	.section	.text._ZL34rocblas_syrkx_herkx_general_kernelIi19rocblas_complex_numIfELi16ELi32ELi8ELb1ELb1ELc78ELc76EKPKS1_KPS1_EviT_T0_PT8_S7_lSA_S7_lS8_PT9_S7_li,"axG",@progbits,_ZL34rocblas_syrkx_herkx_general_kernelIi19rocblas_complex_numIfELi16ELi32ELi8ELb1ELb1ELc78ELc76EKPKS1_KPS1_EviT_T0_PT8_S7_lSA_S7_lS8_PT9_S7_li,comdat
.Lfunc_end834:
	.size	_ZL34rocblas_syrkx_herkx_general_kernelIi19rocblas_complex_numIfELi16ELi32ELi8ELb1ELb1ELc78ELc76EKPKS1_KPS1_EviT_T0_PT8_S7_lSA_S7_lS8_PT9_S7_li, .Lfunc_end834-_ZL34rocblas_syrkx_herkx_general_kernelIi19rocblas_complex_numIfELi16ELi32ELi8ELb1ELb1ELc78ELc76EKPKS1_KPS1_EviT_T0_PT8_S7_lSA_S7_lS8_PT9_S7_li
                                        ; -- End function
	.set _ZL34rocblas_syrkx_herkx_general_kernelIi19rocblas_complex_numIfELi16ELi32ELi8ELb1ELb1ELc78ELc76EKPKS1_KPS1_EviT_T0_PT8_S7_lSA_S7_lS8_PT9_S7_li.num_vgpr, 53
	.set _ZL34rocblas_syrkx_herkx_general_kernelIi19rocblas_complex_numIfELi16ELi32ELi8ELb1ELb1ELc78ELc76EKPKS1_KPS1_EviT_T0_PT8_S7_lSA_S7_lS8_PT9_S7_li.num_agpr, 0
	.set _ZL34rocblas_syrkx_herkx_general_kernelIi19rocblas_complex_numIfELi16ELi32ELi8ELb1ELb1ELc78ELc76EKPKS1_KPS1_EviT_T0_PT8_S7_lSA_S7_lS8_PT9_S7_li.numbered_sgpr, 24
	.set _ZL34rocblas_syrkx_herkx_general_kernelIi19rocblas_complex_numIfELi16ELi32ELi8ELb1ELb1ELc78ELc76EKPKS1_KPS1_EviT_T0_PT8_S7_lSA_S7_lS8_PT9_S7_li.num_named_barrier, 0
	.set _ZL34rocblas_syrkx_herkx_general_kernelIi19rocblas_complex_numIfELi16ELi32ELi8ELb1ELb1ELc78ELc76EKPKS1_KPS1_EviT_T0_PT8_S7_lSA_S7_lS8_PT9_S7_li.private_seg_size, 0
	.set _ZL34rocblas_syrkx_herkx_general_kernelIi19rocblas_complex_numIfELi16ELi32ELi8ELb1ELb1ELc78ELc76EKPKS1_KPS1_EviT_T0_PT8_S7_lSA_S7_lS8_PT9_S7_li.uses_vcc, 1
	.set _ZL34rocblas_syrkx_herkx_general_kernelIi19rocblas_complex_numIfELi16ELi32ELi8ELb1ELb1ELc78ELc76EKPKS1_KPS1_EviT_T0_PT8_S7_lSA_S7_lS8_PT9_S7_li.uses_flat_scratch, 0
	.set _ZL34rocblas_syrkx_herkx_general_kernelIi19rocblas_complex_numIfELi16ELi32ELi8ELb1ELb1ELc78ELc76EKPKS1_KPS1_EviT_T0_PT8_S7_lSA_S7_lS8_PT9_S7_li.has_dyn_sized_stack, 0
	.set _ZL34rocblas_syrkx_herkx_general_kernelIi19rocblas_complex_numIfELi16ELi32ELi8ELb1ELb1ELc78ELc76EKPKS1_KPS1_EviT_T0_PT8_S7_lSA_S7_lS8_PT9_S7_li.has_recursion, 0
	.set _ZL34rocblas_syrkx_herkx_general_kernelIi19rocblas_complex_numIfELi16ELi32ELi8ELb1ELb1ELc78ELc76EKPKS1_KPS1_EviT_T0_PT8_S7_lSA_S7_lS8_PT9_S7_li.has_indirect_call, 0
	.section	.AMDGPU.csdata,"",@progbits
; Kernel info:
; codeLenInByte = 2224
; TotalNumSgprs: 28
; NumVgprs: 53
; ScratchSize: 0
; MemoryBound: 1
; FloatMode: 240
; IeeeMode: 1
; LDSByteSize: 4096 bytes/workgroup (compile time only)
; SGPRBlocks: 3
; VGPRBlocks: 13
; NumSGPRsForWavesPerEU: 28
; NumVGPRsForWavesPerEU: 53
; Occupancy: 4
; WaveLimiterHint : 1
; COMPUTE_PGM_RSRC2:SCRATCH_EN: 0
; COMPUTE_PGM_RSRC2:USER_SGPR: 6
; COMPUTE_PGM_RSRC2:TRAP_HANDLER: 0
; COMPUTE_PGM_RSRC2:TGID_X_EN: 1
; COMPUTE_PGM_RSRC2:TGID_Y_EN: 1
; COMPUTE_PGM_RSRC2:TGID_Z_EN: 1
; COMPUTE_PGM_RSRC2:TIDIG_COMP_CNT: 1
	.section	.text._ZL34rocblas_syrkx_herkx_general_kernelIi19rocblas_complex_numIfELi16ELi32ELi8ELb1ELb1ELc84ELc85EKPKS1_KPS1_EviT_T0_PT8_S7_lSA_S7_lS8_PT9_S7_li,"axG",@progbits,_ZL34rocblas_syrkx_herkx_general_kernelIi19rocblas_complex_numIfELi16ELi32ELi8ELb1ELb1ELc84ELc85EKPKS1_KPS1_EviT_T0_PT8_S7_lSA_S7_lS8_PT9_S7_li,comdat
	.globl	_ZL34rocblas_syrkx_herkx_general_kernelIi19rocblas_complex_numIfELi16ELi32ELi8ELb1ELb1ELc84ELc85EKPKS1_KPS1_EviT_T0_PT8_S7_lSA_S7_lS8_PT9_S7_li ; -- Begin function _ZL34rocblas_syrkx_herkx_general_kernelIi19rocblas_complex_numIfELi16ELi32ELi8ELb1ELb1ELc84ELc85EKPKS1_KPS1_EviT_T0_PT8_S7_lSA_S7_lS8_PT9_S7_li
	.p2align	8
	.type	_ZL34rocblas_syrkx_herkx_general_kernelIi19rocblas_complex_numIfELi16ELi32ELi8ELb1ELb1ELc84ELc85EKPKS1_KPS1_EviT_T0_PT8_S7_lSA_S7_lS8_PT9_S7_li,@function
_ZL34rocblas_syrkx_herkx_general_kernelIi19rocblas_complex_numIfELi16ELi32ELi8ELb1ELb1ELc84ELc85EKPKS1_KPS1_EviT_T0_PT8_S7_lSA_S7_lS8_PT9_S7_li: ; @_ZL34rocblas_syrkx_herkx_general_kernelIi19rocblas_complex_numIfELi16ELi32ELi8ELb1ELb1ELc84ELc85EKPKS1_KPS1_EviT_T0_PT8_S7_lSA_S7_lS8_PT9_S7_li
; %bb.0:
	s_load_dwordx2 s[2:3], s[4:5], 0x48
	s_load_dwordx2 s[10:11], s[4:5], 0x0
	s_load_dwordx4 s[12:15], s[4:5], 0x8
	s_mov_b32 s9, 0
	s_lshl_b64 s[0:1], s[8:9], 3
	s_waitcnt lgkmcnt(0)
	s_add_u32 s2, s2, s0
	s_addc_u32 s3, s3, s1
	s_load_dwordx2 s[16:17], s[2:3], 0x0
	s_lshl_b32 s8, s6, 5
	s_lshl_b32 s18, s7, 5
	s_cmp_lt_i32 s11, 1
	s_cbranch_scc1 .LBB835_11
; %bb.1:
	s_load_dword s19, s[4:5], 0x18
	s_load_dwordx2 s[2:3], s[4:5], 0x28
	s_load_dword s20, s[4:5], 0x30
	v_lshl_add_u32 v2, v1, 4, v0
	v_and_b32_e32 v8, 7, v0
	v_lshrrev_b32_e32 v9, 5, v2
	v_lshrrev_b32_e32 v3, 3, v2
	v_and_b32_e32 v2, 31, v2
	v_or_b32_e32 v5, s8, v2
	s_waitcnt lgkmcnt(0)
	s_add_u32 s2, s2, s0
	v_lshlrev_b32_e32 v6, 3, v8
	v_add_u32_e32 v4, s18, v3
	s_addc_u32 s3, s3, s1
	v_cmp_gt_i32_e32 vcc, s10, v5
	v_lshlrev_b32_e32 v5, 3, v2
	v_lshl_or_b32 v3, v3, 6, v6
	v_add_u32_e32 v2, s8, v2
	s_load_dwordx2 s[6:7], s[2:3], 0x0
	v_add_u32_e32 v11, 0x800, v3
	v_mad_i64_i32 v[2:3], s[2:3], s19, v2, 0
	s_add_u32 s0, s14, s0
	v_lshl_or_b32 v10, v9, 8, v5
	v_mov_b32_e32 v5, 0x800
	v_lshlrev_b64 v[2:3], 3, v[2:3]
	s_addc_u32 s1, s15, s1
	v_lshl_add_u32 v13, v1, 6, v5
	v_lshlrev_b32_e32 v5, 3, v9
	s_load_dwordx2 s[14:15], s[0:1], 0x0
	v_add_co_u32_e64 v2, s[2:3], v2, v5
	v_cmp_gt_i32_e64 s[0:1], s10, v4
	v_addc_co_u32_e64 v3, s[2:3], 0, v3, s[2:3]
	v_mad_i64_i32 v[4:5], s[2:3], s20, v4, 0
	s_waitcnt lgkmcnt(0)
	v_mov_b32_e32 v7, s15
	v_add_co_u32_e64 v2, s[2:3], s14, v2
	v_lshlrev_b64 v[4:5], 3, v[4:5]
	v_addc_co_u32_e64 v3, s[2:3], v7, v3, s[2:3]
	v_add_co_u32_e64 v4, s[2:3], v4, v6
	v_addc_co_u32_e64 v5, s[2:3], 0, v5, s[2:3]
	v_mov_b32_e32 v6, s7
	v_add_co_u32_e64 v4, s[2:3], s6, v4
	v_addc_co_u32_e64 v5, s[2:3], v6, v5, s[2:3]
	v_lshlrev_b32_e32 v12, 3, v0
	s_xor_b64 s[2:3], vcc, -1
	s_xor_b64 s[0:1], s[0:1], -1
	v_mov_b32_e32 v17, 0
	v_mov_b32_e32 v16, 0
	;; [unrolled: 1-line block ×9, first 2 shown]
	s_branch .LBB835_3
.LBB835_2:                              ;   in Loop: Header=BB835_3 Depth=1
	s_or_b64 exec, exec, s[6:7]
	s_waitcnt lgkmcnt(0)
	s_barrier
	ds_read2_b64 v[22:25], v12 offset1:16
	ds_read_b128 v[26:29], v13
	ds_read_b128 v[30:33], v13 offset:16
	v_add_co_u32_e32 v2, vcc, 64, v2
	v_addc_co_u32_e32 v3, vcc, 0, v3, vcc
	s_waitcnt lgkmcnt(1)
	v_mul_f32_e32 v34, v26, v23
	v_fmac_f32_e32 v34, v27, v22
	v_add_f32_e32 v46, v21, v34
	ds_read_b128 v[34:37], v13 offset:1024
	v_mul_f32_e32 v7, v27, v23
	v_fma_f32 v7, v26, v22, -v7
	v_add_f32_e32 v7, v20, v7
	v_mul_f32_e32 v20, v27, v25
	v_mul_f32_e32 v21, v26, v25
	v_fma_f32 v20, v26, v24, -v20
	v_fmac_f32_e32 v21, v27, v24
	v_add_f32_e32 v26, v18, v20
	v_add_f32_e32 v27, v19, v21
	ds_read_b128 v[18:21], v13 offset:1040
	s_waitcnt lgkmcnt(1)
	v_mul_f32_e32 v38, v35, v23
	v_mul_f32_e32 v23, v34, v23
	v_fma_f32 v38, v34, v22, -v38
	v_fmac_f32_e32 v23, v35, v22
	v_mul_f32_e32 v22, v35, v25
	v_fma_f32 v47, v34, v24, -v22
	v_mul_f32_e32 v34, v34, v25
	v_add_f32_e32 v14, v14, v38
	v_add_f32_e32 v15, v15, v23
	v_fmac_f32_e32 v34, v35, v24
	ds_read2_b64 v[22:25], v12 offset0:32 offset1:48
	ds_read_b128 v[38:41], v13 offset:32
	ds_read_b128 v[42:45], v13 offset:48
	v_add_f32_e32 v35, v16, v47
	v_add_f32_e32 v34, v17, v34
	s_waitcnt lgkmcnt(2)
	v_mul_f32_e32 v16, v29, v23
	v_fma_f32 v16, v28, v22, -v16
	v_mul_f32_e32 v17, v28, v23
	v_fmac_f32_e32 v17, v29, v22
	v_add_f32_e32 v7, v7, v16
	v_mul_f32_e32 v16, v29, v25
	v_add_f32_e32 v46, v46, v17
	v_fma_f32 v16, v28, v24, -v16
	v_mul_f32_e32 v17, v28, v25
	v_fmac_f32_e32 v17, v29, v24
	v_add_f32_e32 v26, v26, v16
	v_mul_f32_e32 v16, v37, v23
	v_add_f32_e32 v27, v27, v17
	v_fma_f32 v16, v36, v22, -v16
	v_mul_f32_e32 v17, v36, v23
	v_fmac_f32_e32 v17, v37, v22
	v_add_f32_e32 v22, v14, v16
	v_mul_f32_e32 v14, v37, v25
	v_add_f32_e32 v23, v15, v17
	v_fma_f32 v28, v36, v24, -v14
	ds_read2_b64 v[14:17], v12 offset0:64 offset1:80
	v_mul_f32_e32 v25, v36, v25
	v_fmac_f32_e32 v25, v37, v24
	v_add_f32_e32 v29, v34, v25
	v_add_f32_e32 v28, v35, v28
	s_waitcnt lgkmcnt(0)
	v_mul_f32_e32 v24, v31, v15
	v_fma_f32 v24, v30, v14, -v24
	v_add_f32_e32 v7, v7, v24
	v_mul_f32_e32 v24, v31, v17
	v_mul_f32_e32 v25, v30, v15
	v_fma_f32 v24, v30, v16, -v24
	v_fmac_f32_e32 v25, v31, v14
	v_add_f32_e32 v26, v26, v24
	v_mul_f32_e32 v24, v19, v15
	v_add_f32_e32 v34, v46, v25
	v_mul_f32_e32 v25, v30, v17
	v_fma_f32 v24, v18, v14, -v24
	v_mul_f32_e32 v15, v18, v15
	v_fmac_f32_e32 v25, v31, v16
	v_fmac_f32_e32 v15, v19, v14
	v_add_f32_e32 v14, v22, v24
	v_mul_f32_e32 v22, v19, v17
	v_add_f32_e32 v27, v27, v25
	v_add_f32_e32 v15, v23, v15
	v_fma_f32 v30, v18, v16, -v22
	ds_read2_b64 v[22:25], v12 offset0:96 offset1:112
	v_mul_f32_e32 v17, v18, v17
	v_fmac_f32_e32 v17, v19, v16
	v_add_f32_e32 v19, v29, v17
	v_add_f32_e32 v18, v28, v30
	s_waitcnt lgkmcnt(0)
	v_mul_f32_e32 v16, v33, v23
	v_fma_f32 v16, v32, v22, -v16
	v_mul_f32_e32 v17, v32, v23
	v_fmac_f32_e32 v17, v33, v22
	v_add_f32_e32 v7, v7, v16
	v_mul_f32_e32 v16, v33, v25
	v_add_f32_e32 v28, v34, v17
	v_fma_f32 v16, v32, v24, -v16
	v_mul_f32_e32 v17, v32, v25
	v_fmac_f32_e32 v17, v33, v24
	v_add_f32_e32 v26, v26, v16
	v_mul_f32_e32 v16, v21, v23
	v_add_f32_e32 v27, v27, v17
	;; [unrolled: 6-line block ×3, first 2 shown]
	v_fma_f32 v22, v20, v24, -v14
	ds_read2_b64 v[14:17], v12 offset0:128 offset1:144
	v_mul_f32_e32 v20, v20, v25
	v_fmac_f32_e32 v20, v21, v24
	v_add_f32_e32 v31, v18, v22
	v_add_f32_e32 v32, v19, v20
	s_waitcnt lgkmcnt(0)
	v_mul_f32_e32 v18, v39, v15
	v_fma_f32 v18, v38, v14, -v18
	v_mul_f32_e32 v19, v38, v15
	v_fmac_f32_e32 v19, v39, v14
	v_add_f32_e32 v7, v7, v18
	v_mul_f32_e32 v18, v39, v17
	v_add_f32_e32 v33, v28, v19
	v_fma_f32 v22, v38, v16, -v18
	ds_read_b128 v[18:21], v13 offset:1056
	v_mul_f32_e32 v23, v38, v17
	v_fmac_f32_e32 v23, v39, v16
	v_add_f32_e32 v34, v26, v22
	v_add_f32_e32 v35, v27, v23
	ds_read_b128 v[22:25], v13 offset:1072
	s_waitcnt lgkmcnt(1)
	v_mul_f32_e32 v26, v19, v15
	v_fma_f32 v26, v18, v14, -v26
	v_mul_f32_e32 v15, v18, v15
	v_fmac_f32_e32 v15, v19, v14
	v_add_f32_e32 v14, v29, v26
	v_mul_f32_e32 v26, v19, v17
	v_add_f32_e32 v15, v30, v15
	v_fma_f32 v30, v18, v16, -v26
	ds_read2_b64 v[26:29], v12 offset0:160 offset1:176
	v_mul_f32_e32 v17, v18, v17
	v_fmac_f32_e32 v17, v19, v16
	v_add_f32_e32 v19, v32, v17
	v_add_f32_e32 v18, v31, v30
	s_waitcnt lgkmcnt(0)
	v_mul_f32_e32 v16, v41, v27
	v_fma_f32 v16, v40, v26, -v16
	v_mul_f32_e32 v17, v40, v27
	v_fmac_f32_e32 v17, v41, v26
	v_add_f32_e32 v7, v7, v16
	v_mul_f32_e32 v16, v41, v29
	v_add_f32_e32 v30, v33, v17
	v_fma_f32 v16, v40, v28, -v16
	v_mul_f32_e32 v17, v40, v29
	v_fmac_f32_e32 v17, v41, v28
	v_add_f32_e32 v31, v34, v16
	v_mul_f32_e32 v16, v21, v27
	v_add_f32_e32 v32, v35, v17
	;; [unrolled: 6-line block ×3, first 2 shown]
	v_fma_f32 v33, v20, v28, -v14
	ds_read2_b64 v[14:17], v12 offset0:192 offset1:208
	v_mul_f32_e32 v20, v20, v29
	v_fmac_f32_e32 v20, v21, v28
	v_add_f32_e32 v19, v19, v20
	v_add_f32_e32 v18, v18, v33
	s_waitcnt lgkmcnt(0)
	v_mul_f32_e32 v20, v43, v15
	v_fma_f32 v20, v42, v14, -v20
	v_mul_f32_e32 v21, v42, v15
	v_add_f32_e32 v7, v7, v20
	v_mul_f32_e32 v20, v43, v17
	v_fmac_f32_e32 v21, v43, v14
	v_fma_f32 v20, v42, v16, -v20
	v_add_f32_e32 v21, v30, v21
	v_mul_f32_e32 v28, v42, v17
	v_add_f32_e32 v30, v31, v20
	v_mul_f32_e32 v20, v23, v15
	v_mul_f32_e32 v15, v22, v15
	v_fmac_f32_e32 v28, v43, v16
	v_fma_f32 v20, v22, v14, -v20
	v_fmac_f32_e32 v15, v23, v14
	v_add_f32_e32 v31, v32, v28
	v_add_f32_e32 v14, v26, v20
	;; [unrolled: 1-line block ×3, first 2 shown]
	ds_read2_b64 v[26:29], v12 offset0:224 offset1:240
	v_mul_f32_e32 v20, v23, v17
	v_fma_f32 v20, v22, v16, -v20
	v_mul_f32_e32 v17, v22, v17
	v_fmac_f32_e32 v17, v23, v16
	v_add_f32_e32 v16, v18, v20
	s_waitcnt lgkmcnt(0)
	v_mul_f32_e32 v18, v45, v27
	v_fma_f32 v18, v44, v26, -v18
	v_add_f32_e32 v20, v7, v18
	v_mul_f32_e32 v7, v45, v29
	v_fma_f32 v7, v44, v28, -v7
	v_add_f32_e32 v17, v19, v17
	v_mul_f32_e32 v19, v44, v27
	v_add_f32_e32 v18, v30, v7
	v_mul_f32_e32 v7, v25, v27
	v_mul_f32_e32 v22, v24, v27
	v_fmac_f32_e32 v19, v45, v26
	v_fma_f32 v7, v24, v26, -v7
	v_fmac_f32_e32 v22, v25, v26
	v_add_f32_e32 v21, v21, v19
	v_mul_f32_e32 v19, v44, v29
	v_add_f32_e32 v14, v14, v7
	v_add_f32_e32 v15, v15, v22
	v_mul_f32_e32 v7, v25, v29
	v_mul_f32_e32 v22, v24, v29
	v_fmac_f32_e32 v19, v45, v28
	v_fma_f32 v7, v24, v28, -v7
	v_fmac_f32_e32 v22, v25, v28
	s_add_i32 s9, s9, 8
	v_add_co_u32_e32 v4, vcc, 64, v4
	v_add_f32_e32 v19, v31, v19
	v_add_f32_e32 v16, v16, v7
	;; [unrolled: 1-line block ×3, first 2 shown]
	s_cmp_ge_i32 s9, s11
	v_addc_co_u32_e32 v5, vcc, 0, v5, vcc
	s_barrier
	s_cbranch_scc1 .LBB835_12
.LBB835_3:                              ; =>This Inner Loop Header: Depth=1
	v_add_u32_e32 v7, s9, v9
	v_cmp_le_i32_e32 vcc, s11, v7
	s_or_b64 s[6:7], s[2:3], vcc
	s_and_saveexec_b64 s[14:15], s[6:7]
	s_xor_b64 s[6:7], exec, s[14:15]
; %bb.4:                                ;   in Loop: Header=BB835_3 Depth=1
	v_mov_b32_e32 v7, v6
	ds_write_b64 v10, v[6:7]
; %bb.5:                                ;   in Loop: Header=BB835_3 Depth=1
	s_andn2_saveexec_b64 s[6:7], s[6:7]
	s_cbranch_execz .LBB835_7
; %bb.6:                                ;   in Loop: Header=BB835_3 Depth=1
	flat_load_dwordx2 v[22:23], v[2:3]
	s_waitcnt vmcnt(0) lgkmcnt(0)
	ds_write_b64 v10, v[22:23]
.LBB835_7:                              ;   in Loop: Header=BB835_3 Depth=1
	s_or_b64 exec, exec, s[6:7]
	v_add_u32_e32 v7, s9, v8
	v_cmp_le_i32_e32 vcc, s11, v7
	s_or_b64 s[6:7], vcc, s[0:1]
	s_and_saveexec_b64 s[14:15], s[6:7]
	s_xor_b64 s[6:7], exec, s[14:15]
; %bb.8:                                ;   in Loop: Header=BB835_3 Depth=1
	v_mov_b32_e32 v7, v6
	ds_write_b64 v11, v[6:7]
; %bb.9:                                ;   in Loop: Header=BB835_3 Depth=1
	s_andn2_saveexec_b64 s[6:7], s[6:7]
	s_cbranch_execz .LBB835_2
; %bb.10:                               ;   in Loop: Header=BB835_3 Depth=1
	flat_load_dwordx2 v[22:23], v[4:5]
	s_waitcnt vmcnt(0) lgkmcnt(0)
	ds_write_b64 v11, v[22:23]
	s_branch .LBB835_2
.LBB835_11:
	v_mov_b32_e32 v20, 0
	v_mov_b32_e32 v21, 0
	;; [unrolled: 1-line block ×8, first 2 shown]
.LBB835_12:
	s_load_dword s4, s[4:5], 0x50
	v_add_u32_e32 v5, s18, v1
	s_waitcnt lgkmcnt(0)
	v_mov_b32_e32 v3, s17
	v_add_u32_e32 v0, s8, v0
	v_cmp_gt_i32_e32 vcc, s10, v5
	v_mad_i64_i32 v[1:2], s[0:1], v5, s4, 0
	v_lshlrev_b64 v[1:2], 3, v[1:2]
	v_add_co_u32_e64 v4, s[0:1], s16, v1
	v_addc_co_u32_e64 v6, s[0:1], v3, v2, s[0:1]
	v_cmp_le_i32_e64 s[0:1], v0, v5
	s_and_b64 s[0:1], vcc, s[0:1]
	s_and_saveexec_b64 s[2:3], s[0:1]
	s_cbranch_execz .LBB835_15
; %bb.13:
	v_mul_f32_e32 v1, s13, v21
	v_fma_f32 v7, v20, s12, -v1
	v_ashrrev_i32_e32 v1, 31, v0
	v_lshlrev_b64 v[1:2], 3, v[0:1]
	v_mul_f32_e32 v8, s12, v21
	v_add_co_u32_e64 v1, s[0:1], v4, v1
	v_addc_co_u32_e64 v2, s[0:1], v6, v2, s[0:1]
	v_fmac_f32_e32 v8, s13, v20
	v_cmp_eq_u32_e64 s[0:1], v5, v0
	flat_store_dwordx2 v[1:2], v[7:8]
	s_and_b64 exec, exec, s[0:1]
	s_cbranch_execz .LBB835_15
; %bb.14:
	v_mov_b32_e32 v3, 0
	flat_store_dword v[1:2], v3 offset:4
.LBB835_15:
	s_or_b64 exec, exec, s[2:3]
	v_add_u32_e32 v2, 16, v0
	v_cmp_le_i32_e64 s[0:1], v2, v5
	s_and_b64 s[2:3], vcc, s[0:1]
	s_and_saveexec_b64 s[0:1], s[2:3]
	s_cbranch_execz .LBB835_18
; %bb.16:
	v_ashrrev_i32_e32 v3, 31, v2
	v_lshlrev_b64 v[9:10], 3, v[2:3]
	v_mul_f32_e32 v1, s13, v19
	v_add_co_u32_e32 v3, vcc, v4, v9
	v_mul_f32_e32 v8, s12, v19
	v_addc_co_u32_e32 v4, vcc, v6, v10, vcc
	v_fma_f32 v7, v18, s12, -v1
	v_fmac_f32_e32 v8, s13, v18
	v_cmp_eq_u32_e32 vcc, v5, v2
	flat_store_dwordx2 v[3:4], v[7:8]
	s_and_b64 exec, exec, vcc
	s_cbranch_execz .LBB835_18
; %bb.17:
	v_mov_b32_e32 v1, 0
	flat_store_dword v[3:4], v1 offset:4
.LBB835_18:
	s_or_b64 exec, exec, s[0:1]
	v_add_u32_e32 v8, 16, v5
	v_mad_i64_i32 v[3:4], s[0:1], v8, s4, 0
	v_mov_b32_e32 v1, s17
	v_cmp_gt_i32_e32 vcc, s10, v8
	v_lshlrev_b64 v[3:4], 3, v[3:4]
	v_add_co_u32_e64 v6, s[0:1], s16, v3
	v_addc_co_u32_e64 v7, s[0:1], v1, v4, s[0:1]
	v_cmp_le_i32_e64 s[0:1], v0, v8
	s_and_b64 s[0:1], vcc, s[0:1]
	s_and_saveexec_b64 s[2:3], s[0:1]
	s_cbranch_execz .LBB835_21
; %bb.19:
	v_mul_f32_e32 v1, s13, v15
	v_fma_f32 v9, v14, s12, -v1
	v_ashrrev_i32_e32 v1, 31, v0
	v_lshlrev_b64 v[3:4], 3, v[0:1]
	v_mul_f32_e32 v10, s12, v15
	v_add_co_u32_e64 v3, s[0:1], v6, v3
	v_addc_co_u32_e64 v4, s[0:1], v7, v4, s[0:1]
	v_fmac_f32_e32 v10, s13, v14
	v_cmp_eq_u32_e64 s[0:1], v8, v0
	flat_store_dwordx2 v[3:4], v[9:10]
	s_and_b64 exec, exec, s[0:1]
	s_cbranch_execz .LBB835_21
; %bb.20:
	v_mov_b32_e32 v1, 0
	flat_store_dword v[3:4], v1 offset:4
.LBB835_21:
	s_or_b64 exec, exec, s[2:3]
	v_cmp_le_i32_e64 s[0:1], v2, v8
	s_and_b64 s[0:1], vcc, s[0:1]
	s_and_saveexec_b64 s[2:3], s[0:1]
	s_cbranch_execz .LBB835_24
; %bb.22:
	v_mul_f32_e32 v1, s13, v17
	v_ashrrev_i32_e32 v3, 31, v2
	v_fma_f32 v8, v16, s12, -v1
	v_lshlrev_b64 v[1:2], 3, v[2:3]
	v_mul_f32_e32 v9, s12, v17
	v_add_co_u32_e32 v1, vcc, v6, v1
	v_addc_co_u32_e32 v2, vcc, v7, v2, vcc
	v_fmac_f32_e32 v9, s13, v16
	v_cmp_eq_u32_e32 vcc, v5, v0
	flat_store_dwordx2 v[1:2], v[8:9]
	s_and_b64 exec, exec, vcc
	s_cbranch_execz .LBB835_24
; %bb.23:
	v_mov_b32_e32 v0, 0
	flat_store_dword v[1:2], v0 offset:4
.LBB835_24:
	s_endpgm
	.section	.rodata,"a",@progbits
	.p2align	6, 0x0
	.amdhsa_kernel _ZL34rocblas_syrkx_herkx_general_kernelIi19rocblas_complex_numIfELi16ELi32ELi8ELb1ELb1ELc84ELc85EKPKS1_KPS1_EviT_T0_PT8_S7_lSA_S7_lS8_PT9_S7_li
		.amdhsa_group_segment_fixed_size 4096
		.amdhsa_private_segment_fixed_size 0
		.amdhsa_kernarg_size 100
		.amdhsa_user_sgpr_count 6
		.amdhsa_user_sgpr_private_segment_buffer 1
		.amdhsa_user_sgpr_dispatch_ptr 0
		.amdhsa_user_sgpr_queue_ptr 0
		.amdhsa_user_sgpr_kernarg_segment_ptr 1
		.amdhsa_user_sgpr_dispatch_id 0
		.amdhsa_user_sgpr_flat_scratch_init 0
		.amdhsa_user_sgpr_private_segment_size 0
		.amdhsa_uses_dynamic_stack 0
		.amdhsa_system_sgpr_private_segment_wavefront_offset 0
		.amdhsa_system_sgpr_workgroup_id_x 1
		.amdhsa_system_sgpr_workgroup_id_y 1
		.amdhsa_system_sgpr_workgroup_id_z 1
		.amdhsa_system_sgpr_workgroup_info 0
		.amdhsa_system_vgpr_workitem_id 1
		.amdhsa_next_free_vgpr 48
		.amdhsa_next_free_sgpr 21
		.amdhsa_reserve_vcc 1
		.amdhsa_reserve_flat_scratch 0
		.amdhsa_float_round_mode_32 0
		.amdhsa_float_round_mode_16_64 0
		.amdhsa_float_denorm_mode_32 3
		.amdhsa_float_denorm_mode_16_64 3
		.amdhsa_dx10_clamp 1
		.amdhsa_ieee_mode 1
		.amdhsa_fp16_overflow 0
		.amdhsa_exception_fp_ieee_invalid_op 0
		.amdhsa_exception_fp_denorm_src 0
		.amdhsa_exception_fp_ieee_div_zero 0
		.amdhsa_exception_fp_ieee_overflow 0
		.amdhsa_exception_fp_ieee_underflow 0
		.amdhsa_exception_fp_ieee_inexact 0
		.amdhsa_exception_int_div_zero 0
	.end_amdhsa_kernel
	.section	.text._ZL34rocblas_syrkx_herkx_general_kernelIi19rocblas_complex_numIfELi16ELi32ELi8ELb1ELb1ELc84ELc85EKPKS1_KPS1_EviT_T0_PT8_S7_lSA_S7_lS8_PT9_S7_li,"axG",@progbits,_ZL34rocblas_syrkx_herkx_general_kernelIi19rocblas_complex_numIfELi16ELi32ELi8ELb1ELb1ELc84ELc85EKPKS1_KPS1_EviT_T0_PT8_S7_lSA_S7_lS8_PT9_S7_li,comdat
.Lfunc_end835:
	.size	_ZL34rocblas_syrkx_herkx_general_kernelIi19rocblas_complex_numIfELi16ELi32ELi8ELb1ELb1ELc84ELc85EKPKS1_KPS1_EviT_T0_PT8_S7_lSA_S7_lS8_PT9_S7_li, .Lfunc_end835-_ZL34rocblas_syrkx_herkx_general_kernelIi19rocblas_complex_numIfELi16ELi32ELi8ELb1ELb1ELc84ELc85EKPKS1_KPS1_EviT_T0_PT8_S7_lSA_S7_lS8_PT9_S7_li
                                        ; -- End function
	.set _ZL34rocblas_syrkx_herkx_general_kernelIi19rocblas_complex_numIfELi16ELi32ELi8ELb1ELb1ELc84ELc85EKPKS1_KPS1_EviT_T0_PT8_S7_lSA_S7_lS8_PT9_S7_li.num_vgpr, 48
	.set _ZL34rocblas_syrkx_herkx_general_kernelIi19rocblas_complex_numIfELi16ELi32ELi8ELb1ELb1ELc84ELc85EKPKS1_KPS1_EviT_T0_PT8_S7_lSA_S7_lS8_PT9_S7_li.num_agpr, 0
	.set _ZL34rocblas_syrkx_herkx_general_kernelIi19rocblas_complex_numIfELi16ELi32ELi8ELb1ELb1ELc84ELc85EKPKS1_KPS1_EviT_T0_PT8_S7_lSA_S7_lS8_PT9_S7_li.numbered_sgpr, 21
	.set _ZL34rocblas_syrkx_herkx_general_kernelIi19rocblas_complex_numIfELi16ELi32ELi8ELb1ELb1ELc84ELc85EKPKS1_KPS1_EviT_T0_PT8_S7_lSA_S7_lS8_PT9_S7_li.num_named_barrier, 0
	.set _ZL34rocblas_syrkx_herkx_general_kernelIi19rocblas_complex_numIfELi16ELi32ELi8ELb1ELb1ELc84ELc85EKPKS1_KPS1_EviT_T0_PT8_S7_lSA_S7_lS8_PT9_S7_li.private_seg_size, 0
	.set _ZL34rocblas_syrkx_herkx_general_kernelIi19rocblas_complex_numIfELi16ELi32ELi8ELb1ELb1ELc84ELc85EKPKS1_KPS1_EviT_T0_PT8_S7_lSA_S7_lS8_PT9_S7_li.uses_vcc, 1
	.set _ZL34rocblas_syrkx_herkx_general_kernelIi19rocblas_complex_numIfELi16ELi32ELi8ELb1ELb1ELc84ELc85EKPKS1_KPS1_EviT_T0_PT8_S7_lSA_S7_lS8_PT9_S7_li.uses_flat_scratch, 0
	.set _ZL34rocblas_syrkx_herkx_general_kernelIi19rocblas_complex_numIfELi16ELi32ELi8ELb1ELb1ELc84ELc85EKPKS1_KPS1_EviT_T0_PT8_S7_lSA_S7_lS8_PT9_S7_li.has_dyn_sized_stack, 0
	.set _ZL34rocblas_syrkx_herkx_general_kernelIi19rocblas_complex_numIfELi16ELi32ELi8ELb1ELb1ELc84ELc85EKPKS1_KPS1_EviT_T0_PT8_S7_lSA_S7_lS8_PT9_S7_li.has_recursion, 0
	.set _ZL34rocblas_syrkx_herkx_general_kernelIi19rocblas_complex_numIfELi16ELi32ELi8ELb1ELb1ELc84ELc85EKPKS1_KPS1_EviT_T0_PT8_S7_lSA_S7_lS8_PT9_S7_li.has_indirect_call, 0
	.section	.AMDGPU.csdata,"",@progbits
; Kernel info:
; codeLenInByte = 2172
; TotalNumSgprs: 25
; NumVgprs: 48
; ScratchSize: 0
; MemoryBound: 1
; FloatMode: 240
; IeeeMode: 1
; LDSByteSize: 4096 bytes/workgroup (compile time only)
; SGPRBlocks: 3
; VGPRBlocks: 11
; NumSGPRsForWavesPerEU: 25
; NumVGPRsForWavesPerEU: 48
; Occupancy: 5
; WaveLimiterHint : 1
; COMPUTE_PGM_RSRC2:SCRATCH_EN: 0
; COMPUTE_PGM_RSRC2:USER_SGPR: 6
; COMPUTE_PGM_RSRC2:TRAP_HANDLER: 0
; COMPUTE_PGM_RSRC2:TGID_X_EN: 1
; COMPUTE_PGM_RSRC2:TGID_Y_EN: 1
; COMPUTE_PGM_RSRC2:TGID_Z_EN: 1
; COMPUTE_PGM_RSRC2:TIDIG_COMP_CNT: 1
	.section	.text._ZL34rocblas_syrkx_herkx_general_kernelIi19rocblas_complex_numIfELi16ELi32ELi8ELb1ELb1ELc67ELc85EKPKS1_KPS1_EviT_T0_PT8_S7_lSA_S7_lS8_PT9_S7_li,"axG",@progbits,_ZL34rocblas_syrkx_herkx_general_kernelIi19rocblas_complex_numIfELi16ELi32ELi8ELb1ELb1ELc67ELc85EKPKS1_KPS1_EviT_T0_PT8_S7_lSA_S7_lS8_PT9_S7_li,comdat
	.globl	_ZL34rocblas_syrkx_herkx_general_kernelIi19rocblas_complex_numIfELi16ELi32ELi8ELb1ELb1ELc67ELc85EKPKS1_KPS1_EviT_T0_PT8_S7_lSA_S7_lS8_PT9_S7_li ; -- Begin function _ZL34rocblas_syrkx_herkx_general_kernelIi19rocblas_complex_numIfELi16ELi32ELi8ELb1ELb1ELc67ELc85EKPKS1_KPS1_EviT_T0_PT8_S7_lSA_S7_lS8_PT9_S7_li
	.p2align	8
	.type	_ZL34rocblas_syrkx_herkx_general_kernelIi19rocblas_complex_numIfELi16ELi32ELi8ELb1ELb1ELc67ELc85EKPKS1_KPS1_EviT_T0_PT8_S7_lSA_S7_lS8_PT9_S7_li,@function
_ZL34rocblas_syrkx_herkx_general_kernelIi19rocblas_complex_numIfELi16ELi32ELi8ELb1ELb1ELc67ELc85EKPKS1_KPS1_EviT_T0_PT8_S7_lSA_S7_lS8_PT9_S7_li: ; @_ZL34rocblas_syrkx_herkx_general_kernelIi19rocblas_complex_numIfELi16ELi32ELi8ELb1ELb1ELc67ELc85EKPKS1_KPS1_EviT_T0_PT8_S7_lSA_S7_lS8_PT9_S7_li
; %bb.0:
	s_load_dwordx2 s[2:3], s[4:5], 0x48
	s_load_dwordx2 s[10:11], s[4:5], 0x0
	s_load_dwordx4 s[12:15], s[4:5], 0x8
	s_mov_b32 s9, 0
	s_lshl_b64 s[0:1], s[8:9], 3
	s_waitcnt lgkmcnt(0)
	s_add_u32 s2, s2, s0
	s_addc_u32 s3, s3, s1
	s_load_dwordx2 s[16:17], s[2:3], 0x0
	s_lshl_b32 s8, s6, 5
	s_lshl_b32 s18, s7, 5
	s_cmp_lt_i32 s11, 1
	s_cbranch_scc1 .LBB836_11
; %bb.1:
	s_load_dword s19, s[4:5], 0x18
	s_load_dwordx2 s[2:3], s[4:5], 0x28
	s_load_dword s20, s[4:5], 0x30
	v_lshl_add_u32 v2, v1, 4, v0
	v_and_b32_e32 v8, 7, v0
	v_lshrrev_b32_e32 v9, 5, v2
	v_lshrrev_b32_e32 v3, 3, v2
	v_and_b32_e32 v2, 31, v2
	v_or_b32_e32 v5, s8, v2
	s_waitcnt lgkmcnt(0)
	s_add_u32 s2, s2, s0
	v_lshlrev_b32_e32 v6, 3, v8
	v_add_u32_e32 v4, s18, v3
	s_addc_u32 s3, s3, s1
	v_cmp_gt_i32_e32 vcc, s10, v5
	v_lshlrev_b32_e32 v5, 3, v2
	v_lshl_or_b32 v3, v3, 6, v6
	v_add_u32_e32 v2, s8, v2
	s_load_dwordx2 s[6:7], s[2:3], 0x0
	v_add_u32_e32 v11, 0x800, v3
	v_mad_i64_i32 v[2:3], s[2:3], s19, v2, 0
	s_add_u32 s0, s14, s0
	v_lshl_or_b32 v10, v9, 8, v5
	v_mov_b32_e32 v5, 0x800
	v_lshlrev_b64 v[2:3], 3, v[2:3]
	s_addc_u32 s1, s15, s1
	v_lshl_add_u32 v13, v1, 6, v5
	v_lshlrev_b32_e32 v5, 3, v9
	s_load_dwordx2 s[14:15], s[0:1], 0x0
	v_add_co_u32_e64 v2, s[2:3], v2, v5
	v_cmp_gt_i32_e64 s[0:1], s10, v4
	v_addc_co_u32_e64 v3, s[2:3], 0, v3, s[2:3]
	v_mad_i64_i32 v[4:5], s[2:3], s20, v4, 0
	s_waitcnt lgkmcnt(0)
	v_mov_b32_e32 v7, s15
	v_add_co_u32_e64 v2, s[2:3], s14, v2
	v_lshlrev_b64 v[4:5], 3, v[4:5]
	v_addc_co_u32_e64 v3, s[2:3], v7, v3, s[2:3]
	v_add_co_u32_e64 v4, s[2:3], v4, v6
	v_addc_co_u32_e64 v5, s[2:3], 0, v5, s[2:3]
	v_mov_b32_e32 v6, s7
	v_add_co_u32_e64 v4, s[2:3], s6, v4
	v_addc_co_u32_e64 v5, s[2:3], v6, v5, s[2:3]
	v_lshlrev_b32_e32 v12, 3, v0
	s_xor_b64 s[2:3], vcc, -1
	s_xor_b64 s[0:1], s[0:1], -1
	v_mov_b32_e32 v17, 0
	v_mov_b32_e32 v16, 0
	;; [unrolled: 1-line block ×9, first 2 shown]
	s_branch .LBB836_3
.LBB836_2:                              ;   in Loop: Header=BB836_3 Depth=1
	s_or_b64 exec, exec, s[6:7]
	s_waitcnt lgkmcnt(0)
	s_barrier
	ds_read2_b64 v[22:25], v12 offset1:16
	ds_read_b128 v[26:29], v13
	ds_read_b128 v[30:33], v13 offset:16
	v_add_co_u32_e32 v2, vcc, 64, v2
	v_addc_co_u32_e32 v3, vcc, 0, v3, vcc
	s_waitcnt lgkmcnt(1)
	v_mul_f32_e32 v34, v26, v23
	v_fmac_f32_e32 v34, v27, v22
	v_add_f32_e32 v46, v21, v34
	ds_read_b128 v[34:37], v13 offset:1024
	v_mul_f32_e32 v7, v27, v23
	v_fma_f32 v7, v26, v22, -v7
	v_add_f32_e32 v7, v20, v7
	v_mul_f32_e32 v20, v27, v25
	v_mul_f32_e32 v21, v26, v25
	v_fma_f32 v20, v26, v24, -v20
	v_fmac_f32_e32 v21, v27, v24
	v_add_f32_e32 v26, v18, v20
	v_add_f32_e32 v27, v19, v21
	ds_read_b128 v[18:21], v13 offset:1040
	s_waitcnt lgkmcnt(1)
	v_mul_f32_e32 v38, v35, v23
	v_mul_f32_e32 v23, v34, v23
	v_fma_f32 v38, v34, v22, -v38
	v_fmac_f32_e32 v23, v35, v22
	v_mul_f32_e32 v22, v35, v25
	v_fma_f32 v47, v34, v24, -v22
	v_mul_f32_e32 v34, v34, v25
	v_add_f32_e32 v14, v14, v38
	v_add_f32_e32 v15, v15, v23
	v_fmac_f32_e32 v34, v35, v24
	ds_read2_b64 v[22:25], v12 offset0:32 offset1:48
	ds_read_b128 v[38:41], v13 offset:32
	ds_read_b128 v[42:45], v13 offset:48
	v_add_f32_e32 v35, v16, v47
	v_add_f32_e32 v34, v17, v34
	s_waitcnt lgkmcnt(2)
	v_mul_f32_e32 v16, v29, v23
	v_fma_f32 v16, v28, v22, -v16
	v_mul_f32_e32 v17, v28, v23
	v_fmac_f32_e32 v17, v29, v22
	v_add_f32_e32 v7, v7, v16
	v_mul_f32_e32 v16, v29, v25
	v_add_f32_e32 v46, v46, v17
	v_fma_f32 v16, v28, v24, -v16
	v_mul_f32_e32 v17, v28, v25
	v_fmac_f32_e32 v17, v29, v24
	v_add_f32_e32 v26, v26, v16
	v_mul_f32_e32 v16, v37, v23
	v_add_f32_e32 v27, v27, v17
	;; [unrolled: 6-line block ×3, first 2 shown]
	v_fma_f32 v28, v36, v24, -v14
	ds_read2_b64 v[14:17], v12 offset0:64 offset1:80
	v_mul_f32_e32 v25, v36, v25
	v_fmac_f32_e32 v25, v37, v24
	v_add_f32_e32 v29, v34, v25
	v_add_f32_e32 v28, v35, v28
	s_waitcnt lgkmcnt(0)
	v_mul_f32_e32 v24, v31, v15
	v_fma_f32 v24, v30, v14, -v24
	v_add_f32_e32 v7, v7, v24
	v_mul_f32_e32 v24, v31, v17
	v_mul_f32_e32 v25, v30, v15
	v_fma_f32 v24, v30, v16, -v24
	v_fmac_f32_e32 v25, v31, v14
	v_add_f32_e32 v26, v26, v24
	v_mul_f32_e32 v24, v19, v15
	v_add_f32_e32 v34, v46, v25
	v_mul_f32_e32 v25, v30, v17
	v_fma_f32 v24, v18, v14, -v24
	v_mul_f32_e32 v15, v18, v15
	v_fmac_f32_e32 v25, v31, v16
	v_fmac_f32_e32 v15, v19, v14
	v_add_f32_e32 v14, v22, v24
	v_mul_f32_e32 v22, v19, v17
	v_add_f32_e32 v27, v27, v25
	v_add_f32_e32 v15, v23, v15
	v_fma_f32 v30, v18, v16, -v22
	ds_read2_b64 v[22:25], v12 offset0:96 offset1:112
	v_mul_f32_e32 v17, v18, v17
	v_fmac_f32_e32 v17, v19, v16
	v_add_f32_e32 v19, v29, v17
	v_add_f32_e32 v18, v28, v30
	s_waitcnt lgkmcnt(0)
	v_mul_f32_e32 v16, v33, v23
	v_fma_f32 v16, v32, v22, -v16
	v_mul_f32_e32 v17, v32, v23
	v_fmac_f32_e32 v17, v33, v22
	v_add_f32_e32 v7, v7, v16
	v_mul_f32_e32 v16, v33, v25
	v_add_f32_e32 v28, v34, v17
	v_fma_f32 v16, v32, v24, -v16
	v_mul_f32_e32 v17, v32, v25
	v_fmac_f32_e32 v17, v33, v24
	v_add_f32_e32 v26, v26, v16
	v_mul_f32_e32 v16, v21, v23
	v_add_f32_e32 v27, v27, v17
	v_fma_f32 v16, v20, v22, -v16
	v_mul_f32_e32 v17, v20, v23
	v_fmac_f32_e32 v17, v21, v22
	v_add_f32_e32 v29, v14, v16
	v_mul_f32_e32 v14, v21, v25
	v_add_f32_e32 v30, v15, v17
	v_fma_f32 v22, v20, v24, -v14
	ds_read2_b64 v[14:17], v12 offset0:128 offset1:144
	v_mul_f32_e32 v20, v20, v25
	v_fmac_f32_e32 v20, v21, v24
	v_add_f32_e32 v31, v18, v22
	v_add_f32_e32 v32, v19, v20
	s_waitcnt lgkmcnt(0)
	v_mul_f32_e32 v18, v39, v15
	v_fma_f32 v18, v38, v14, -v18
	v_mul_f32_e32 v19, v38, v15
	v_fmac_f32_e32 v19, v39, v14
	v_add_f32_e32 v7, v7, v18
	v_mul_f32_e32 v18, v39, v17
	v_add_f32_e32 v33, v28, v19
	v_fma_f32 v22, v38, v16, -v18
	ds_read_b128 v[18:21], v13 offset:1056
	v_mul_f32_e32 v23, v38, v17
	v_fmac_f32_e32 v23, v39, v16
	v_add_f32_e32 v34, v26, v22
	v_add_f32_e32 v35, v27, v23
	ds_read_b128 v[22:25], v13 offset:1072
	s_waitcnt lgkmcnt(1)
	v_mul_f32_e32 v26, v19, v15
	v_fma_f32 v26, v18, v14, -v26
	v_mul_f32_e32 v15, v18, v15
	v_fmac_f32_e32 v15, v19, v14
	v_add_f32_e32 v14, v29, v26
	v_mul_f32_e32 v26, v19, v17
	v_add_f32_e32 v15, v30, v15
	v_fma_f32 v30, v18, v16, -v26
	ds_read2_b64 v[26:29], v12 offset0:160 offset1:176
	v_mul_f32_e32 v17, v18, v17
	v_fmac_f32_e32 v17, v19, v16
	v_add_f32_e32 v19, v32, v17
	v_add_f32_e32 v18, v31, v30
	s_waitcnt lgkmcnt(0)
	v_mul_f32_e32 v16, v41, v27
	v_fma_f32 v16, v40, v26, -v16
	v_mul_f32_e32 v17, v40, v27
	v_fmac_f32_e32 v17, v41, v26
	v_add_f32_e32 v7, v7, v16
	v_mul_f32_e32 v16, v41, v29
	v_add_f32_e32 v30, v33, v17
	v_fma_f32 v16, v40, v28, -v16
	v_mul_f32_e32 v17, v40, v29
	v_fmac_f32_e32 v17, v41, v28
	v_add_f32_e32 v31, v34, v16
	v_mul_f32_e32 v16, v21, v27
	v_add_f32_e32 v32, v35, v17
	;; [unrolled: 6-line block ×3, first 2 shown]
	v_fma_f32 v33, v20, v28, -v14
	ds_read2_b64 v[14:17], v12 offset0:192 offset1:208
	v_mul_f32_e32 v20, v20, v29
	v_fmac_f32_e32 v20, v21, v28
	v_add_f32_e32 v19, v19, v20
	v_add_f32_e32 v18, v18, v33
	s_waitcnt lgkmcnt(0)
	v_mul_f32_e32 v20, v43, v15
	v_fma_f32 v20, v42, v14, -v20
	v_mul_f32_e32 v21, v42, v15
	v_add_f32_e32 v7, v7, v20
	v_mul_f32_e32 v20, v43, v17
	v_fmac_f32_e32 v21, v43, v14
	v_fma_f32 v20, v42, v16, -v20
	v_add_f32_e32 v21, v30, v21
	v_mul_f32_e32 v28, v42, v17
	v_add_f32_e32 v30, v31, v20
	v_mul_f32_e32 v20, v23, v15
	v_mul_f32_e32 v15, v22, v15
	v_fmac_f32_e32 v28, v43, v16
	v_fma_f32 v20, v22, v14, -v20
	v_fmac_f32_e32 v15, v23, v14
	v_add_f32_e32 v31, v32, v28
	v_add_f32_e32 v14, v26, v20
	v_add_f32_e32 v15, v27, v15
	ds_read2_b64 v[26:29], v12 offset0:224 offset1:240
	v_mul_f32_e32 v20, v23, v17
	v_fma_f32 v20, v22, v16, -v20
	v_mul_f32_e32 v17, v22, v17
	v_fmac_f32_e32 v17, v23, v16
	v_add_f32_e32 v16, v18, v20
	s_waitcnt lgkmcnt(0)
	v_mul_f32_e32 v18, v45, v27
	v_fma_f32 v18, v44, v26, -v18
	v_add_f32_e32 v20, v7, v18
	v_mul_f32_e32 v7, v45, v29
	v_fma_f32 v7, v44, v28, -v7
	v_add_f32_e32 v17, v19, v17
	v_mul_f32_e32 v19, v44, v27
	v_add_f32_e32 v18, v30, v7
	v_mul_f32_e32 v7, v25, v27
	v_mul_f32_e32 v22, v24, v27
	v_fmac_f32_e32 v19, v45, v26
	v_fma_f32 v7, v24, v26, -v7
	v_fmac_f32_e32 v22, v25, v26
	v_add_f32_e32 v21, v21, v19
	v_mul_f32_e32 v19, v44, v29
	v_add_f32_e32 v14, v14, v7
	v_add_f32_e32 v15, v15, v22
	v_mul_f32_e32 v7, v25, v29
	v_mul_f32_e32 v22, v24, v29
	v_fmac_f32_e32 v19, v45, v28
	v_fma_f32 v7, v24, v28, -v7
	v_fmac_f32_e32 v22, v25, v28
	s_add_i32 s9, s9, 8
	v_add_co_u32_e32 v4, vcc, 64, v4
	v_add_f32_e32 v19, v31, v19
	v_add_f32_e32 v16, v16, v7
	;; [unrolled: 1-line block ×3, first 2 shown]
	s_cmp_ge_i32 s9, s11
	v_addc_co_u32_e32 v5, vcc, 0, v5, vcc
	s_barrier
	s_cbranch_scc1 .LBB836_12
.LBB836_3:                              ; =>This Inner Loop Header: Depth=1
	v_add_u32_e32 v7, s9, v9
	v_cmp_le_i32_e32 vcc, s11, v7
	s_or_b64 s[6:7], s[2:3], vcc
	s_and_saveexec_b64 s[14:15], s[6:7]
	s_xor_b64 s[6:7], exec, s[14:15]
; %bb.4:                                ;   in Loop: Header=BB836_3 Depth=1
	ds_write_b32 v10, v6
; %bb.5:                                ;   in Loop: Header=BB836_3 Depth=1
	s_or_saveexec_b64 s[6:7], s[6:7]
	v_mov_b32_e32 v7, 0
	s_xor_b64 exec, exec, s[6:7]
	s_cbranch_execz .LBB836_7
; %bb.6:                                ;   in Loop: Header=BB836_3 Depth=1
	flat_load_dwordx2 v[22:23], v[2:3]
	s_waitcnt vmcnt(0) lgkmcnt(0)
	v_xor_b32_e32 v7, 0x80000000, v23
	ds_write_b32 v10, v22
.LBB836_7:                              ;   in Loop: Header=BB836_3 Depth=1
	s_or_b64 exec, exec, s[6:7]
	ds_write_b32 v10, v7 offset:4
	v_add_u32_e32 v7, s9, v8
	v_cmp_le_i32_e32 vcc, s11, v7
	s_or_b64 s[6:7], vcc, s[0:1]
	s_and_saveexec_b64 s[14:15], s[6:7]
	s_xor_b64 s[6:7], exec, s[14:15]
; %bb.8:                                ;   in Loop: Header=BB836_3 Depth=1
	v_mov_b32_e32 v7, v6
	ds_write_b64 v11, v[6:7]
; %bb.9:                                ;   in Loop: Header=BB836_3 Depth=1
	s_andn2_saveexec_b64 s[6:7], s[6:7]
	s_cbranch_execz .LBB836_2
; %bb.10:                               ;   in Loop: Header=BB836_3 Depth=1
	flat_load_dwordx2 v[22:23], v[4:5]
	s_waitcnt vmcnt(0) lgkmcnt(0)
	ds_write_b64 v11, v[22:23]
	s_branch .LBB836_2
.LBB836_11:
	v_mov_b32_e32 v20, 0
	v_mov_b32_e32 v21, 0
	;; [unrolled: 1-line block ×8, first 2 shown]
.LBB836_12:
	s_load_dword s4, s[4:5], 0x50
	v_add_u32_e32 v5, s18, v1
	s_waitcnt lgkmcnt(0)
	v_mov_b32_e32 v3, s17
	v_add_u32_e32 v0, s8, v0
	v_cmp_gt_i32_e32 vcc, s10, v5
	v_mad_i64_i32 v[1:2], s[0:1], v5, s4, 0
	v_lshlrev_b64 v[1:2], 3, v[1:2]
	v_add_co_u32_e64 v4, s[0:1], s16, v1
	v_addc_co_u32_e64 v6, s[0:1], v3, v2, s[0:1]
	v_cmp_le_i32_e64 s[0:1], v0, v5
	s_and_b64 s[0:1], vcc, s[0:1]
	s_and_saveexec_b64 s[2:3], s[0:1]
	s_cbranch_execz .LBB836_15
; %bb.13:
	v_mul_f32_e32 v1, s13, v21
	v_fma_f32 v7, v20, s12, -v1
	v_ashrrev_i32_e32 v1, 31, v0
	v_lshlrev_b64 v[1:2], 3, v[0:1]
	v_mul_f32_e32 v8, s12, v21
	v_add_co_u32_e64 v1, s[0:1], v4, v1
	v_addc_co_u32_e64 v2, s[0:1], v6, v2, s[0:1]
	v_fmac_f32_e32 v8, s13, v20
	v_cmp_eq_u32_e64 s[0:1], v5, v0
	flat_store_dwordx2 v[1:2], v[7:8]
	s_and_b64 exec, exec, s[0:1]
	s_cbranch_execz .LBB836_15
; %bb.14:
	v_mov_b32_e32 v3, 0
	flat_store_dword v[1:2], v3 offset:4
.LBB836_15:
	s_or_b64 exec, exec, s[2:3]
	v_add_u32_e32 v2, 16, v0
	v_cmp_le_i32_e64 s[0:1], v2, v5
	s_and_b64 s[2:3], vcc, s[0:1]
	s_and_saveexec_b64 s[0:1], s[2:3]
	s_cbranch_execz .LBB836_18
; %bb.16:
	v_ashrrev_i32_e32 v3, 31, v2
	v_lshlrev_b64 v[9:10], 3, v[2:3]
	v_mul_f32_e32 v1, s13, v19
	v_add_co_u32_e32 v3, vcc, v4, v9
	v_mul_f32_e32 v8, s12, v19
	v_addc_co_u32_e32 v4, vcc, v6, v10, vcc
	v_fma_f32 v7, v18, s12, -v1
	v_fmac_f32_e32 v8, s13, v18
	v_cmp_eq_u32_e32 vcc, v5, v2
	flat_store_dwordx2 v[3:4], v[7:8]
	s_and_b64 exec, exec, vcc
	s_cbranch_execz .LBB836_18
; %bb.17:
	v_mov_b32_e32 v1, 0
	flat_store_dword v[3:4], v1 offset:4
.LBB836_18:
	s_or_b64 exec, exec, s[0:1]
	v_add_u32_e32 v8, 16, v5
	v_mad_i64_i32 v[3:4], s[0:1], v8, s4, 0
	v_mov_b32_e32 v1, s17
	v_cmp_gt_i32_e32 vcc, s10, v8
	v_lshlrev_b64 v[3:4], 3, v[3:4]
	v_add_co_u32_e64 v6, s[0:1], s16, v3
	v_addc_co_u32_e64 v7, s[0:1], v1, v4, s[0:1]
	v_cmp_le_i32_e64 s[0:1], v0, v8
	s_and_b64 s[0:1], vcc, s[0:1]
	s_and_saveexec_b64 s[2:3], s[0:1]
	s_cbranch_execz .LBB836_21
; %bb.19:
	v_mul_f32_e32 v1, s13, v15
	v_fma_f32 v9, v14, s12, -v1
	v_ashrrev_i32_e32 v1, 31, v0
	v_lshlrev_b64 v[3:4], 3, v[0:1]
	v_mul_f32_e32 v10, s12, v15
	v_add_co_u32_e64 v3, s[0:1], v6, v3
	v_addc_co_u32_e64 v4, s[0:1], v7, v4, s[0:1]
	v_fmac_f32_e32 v10, s13, v14
	v_cmp_eq_u32_e64 s[0:1], v8, v0
	flat_store_dwordx2 v[3:4], v[9:10]
	s_and_b64 exec, exec, s[0:1]
	s_cbranch_execz .LBB836_21
; %bb.20:
	v_mov_b32_e32 v1, 0
	flat_store_dword v[3:4], v1 offset:4
.LBB836_21:
	s_or_b64 exec, exec, s[2:3]
	v_cmp_le_i32_e64 s[0:1], v2, v8
	s_and_b64 s[0:1], vcc, s[0:1]
	s_and_saveexec_b64 s[2:3], s[0:1]
	s_cbranch_execz .LBB836_24
; %bb.22:
	v_mul_f32_e32 v1, s13, v17
	v_ashrrev_i32_e32 v3, 31, v2
	v_fma_f32 v8, v16, s12, -v1
	v_lshlrev_b64 v[1:2], 3, v[2:3]
	v_mul_f32_e32 v9, s12, v17
	v_add_co_u32_e32 v1, vcc, v6, v1
	v_addc_co_u32_e32 v2, vcc, v7, v2, vcc
	v_fmac_f32_e32 v9, s13, v16
	v_cmp_eq_u32_e32 vcc, v5, v0
	flat_store_dwordx2 v[1:2], v[8:9]
	s_and_b64 exec, exec, vcc
	s_cbranch_execz .LBB836_24
; %bb.23:
	v_mov_b32_e32 v0, 0
	flat_store_dword v[1:2], v0 offset:4
.LBB836_24:
	s_endpgm
	.section	.rodata,"a",@progbits
	.p2align	6, 0x0
	.amdhsa_kernel _ZL34rocblas_syrkx_herkx_general_kernelIi19rocblas_complex_numIfELi16ELi32ELi8ELb1ELb1ELc67ELc85EKPKS1_KPS1_EviT_T0_PT8_S7_lSA_S7_lS8_PT9_S7_li
		.amdhsa_group_segment_fixed_size 4096
		.amdhsa_private_segment_fixed_size 0
		.amdhsa_kernarg_size 100
		.amdhsa_user_sgpr_count 6
		.amdhsa_user_sgpr_private_segment_buffer 1
		.amdhsa_user_sgpr_dispatch_ptr 0
		.amdhsa_user_sgpr_queue_ptr 0
		.amdhsa_user_sgpr_kernarg_segment_ptr 1
		.amdhsa_user_sgpr_dispatch_id 0
		.amdhsa_user_sgpr_flat_scratch_init 0
		.amdhsa_user_sgpr_private_segment_size 0
		.amdhsa_uses_dynamic_stack 0
		.amdhsa_system_sgpr_private_segment_wavefront_offset 0
		.amdhsa_system_sgpr_workgroup_id_x 1
		.amdhsa_system_sgpr_workgroup_id_y 1
		.amdhsa_system_sgpr_workgroup_id_z 1
		.amdhsa_system_sgpr_workgroup_info 0
		.amdhsa_system_vgpr_workitem_id 1
		.amdhsa_next_free_vgpr 48
		.amdhsa_next_free_sgpr 21
		.amdhsa_reserve_vcc 1
		.amdhsa_reserve_flat_scratch 0
		.amdhsa_float_round_mode_32 0
		.amdhsa_float_round_mode_16_64 0
		.amdhsa_float_denorm_mode_32 3
		.amdhsa_float_denorm_mode_16_64 3
		.amdhsa_dx10_clamp 1
		.amdhsa_ieee_mode 1
		.amdhsa_fp16_overflow 0
		.amdhsa_exception_fp_ieee_invalid_op 0
		.amdhsa_exception_fp_denorm_src 0
		.amdhsa_exception_fp_ieee_div_zero 0
		.amdhsa_exception_fp_ieee_overflow 0
		.amdhsa_exception_fp_ieee_underflow 0
		.amdhsa_exception_fp_ieee_inexact 0
		.amdhsa_exception_int_div_zero 0
	.end_amdhsa_kernel
	.section	.text._ZL34rocblas_syrkx_herkx_general_kernelIi19rocblas_complex_numIfELi16ELi32ELi8ELb1ELb1ELc67ELc85EKPKS1_KPS1_EviT_T0_PT8_S7_lSA_S7_lS8_PT9_S7_li,"axG",@progbits,_ZL34rocblas_syrkx_herkx_general_kernelIi19rocblas_complex_numIfELi16ELi32ELi8ELb1ELb1ELc67ELc85EKPKS1_KPS1_EviT_T0_PT8_S7_lSA_S7_lS8_PT9_S7_li,comdat
.Lfunc_end836:
	.size	_ZL34rocblas_syrkx_herkx_general_kernelIi19rocblas_complex_numIfELi16ELi32ELi8ELb1ELb1ELc67ELc85EKPKS1_KPS1_EviT_T0_PT8_S7_lSA_S7_lS8_PT9_S7_li, .Lfunc_end836-_ZL34rocblas_syrkx_herkx_general_kernelIi19rocblas_complex_numIfELi16ELi32ELi8ELb1ELb1ELc67ELc85EKPKS1_KPS1_EviT_T0_PT8_S7_lSA_S7_lS8_PT9_S7_li
                                        ; -- End function
	.set _ZL34rocblas_syrkx_herkx_general_kernelIi19rocblas_complex_numIfELi16ELi32ELi8ELb1ELb1ELc67ELc85EKPKS1_KPS1_EviT_T0_PT8_S7_lSA_S7_lS8_PT9_S7_li.num_vgpr, 48
	.set _ZL34rocblas_syrkx_herkx_general_kernelIi19rocblas_complex_numIfELi16ELi32ELi8ELb1ELb1ELc67ELc85EKPKS1_KPS1_EviT_T0_PT8_S7_lSA_S7_lS8_PT9_S7_li.num_agpr, 0
	.set _ZL34rocblas_syrkx_herkx_general_kernelIi19rocblas_complex_numIfELi16ELi32ELi8ELb1ELb1ELc67ELc85EKPKS1_KPS1_EviT_T0_PT8_S7_lSA_S7_lS8_PT9_S7_li.numbered_sgpr, 21
	.set _ZL34rocblas_syrkx_herkx_general_kernelIi19rocblas_complex_numIfELi16ELi32ELi8ELb1ELb1ELc67ELc85EKPKS1_KPS1_EviT_T0_PT8_S7_lSA_S7_lS8_PT9_S7_li.num_named_barrier, 0
	.set _ZL34rocblas_syrkx_herkx_general_kernelIi19rocblas_complex_numIfELi16ELi32ELi8ELb1ELb1ELc67ELc85EKPKS1_KPS1_EviT_T0_PT8_S7_lSA_S7_lS8_PT9_S7_li.private_seg_size, 0
	.set _ZL34rocblas_syrkx_herkx_general_kernelIi19rocblas_complex_numIfELi16ELi32ELi8ELb1ELb1ELc67ELc85EKPKS1_KPS1_EviT_T0_PT8_S7_lSA_S7_lS8_PT9_S7_li.uses_vcc, 1
	.set _ZL34rocblas_syrkx_herkx_general_kernelIi19rocblas_complex_numIfELi16ELi32ELi8ELb1ELb1ELc67ELc85EKPKS1_KPS1_EviT_T0_PT8_S7_lSA_S7_lS8_PT9_S7_li.uses_flat_scratch, 0
	.set _ZL34rocblas_syrkx_herkx_general_kernelIi19rocblas_complex_numIfELi16ELi32ELi8ELb1ELb1ELc67ELc85EKPKS1_KPS1_EviT_T0_PT8_S7_lSA_S7_lS8_PT9_S7_li.has_dyn_sized_stack, 0
	.set _ZL34rocblas_syrkx_herkx_general_kernelIi19rocblas_complex_numIfELi16ELi32ELi8ELb1ELb1ELc67ELc85EKPKS1_KPS1_EviT_T0_PT8_S7_lSA_S7_lS8_PT9_S7_li.has_recursion, 0
	.set _ZL34rocblas_syrkx_herkx_general_kernelIi19rocblas_complex_numIfELi16ELi32ELi8ELb1ELb1ELc67ELc85EKPKS1_KPS1_EviT_T0_PT8_S7_lSA_S7_lS8_PT9_S7_li.has_indirect_call, 0
	.section	.AMDGPU.csdata,"",@progbits
; Kernel info:
; codeLenInByte = 2192
; TotalNumSgprs: 25
; NumVgprs: 48
; ScratchSize: 0
; MemoryBound: 1
; FloatMode: 240
; IeeeMode: 1
; LDSByteSize: 4096 bytes/workgroup (compile time only)
; SGPRBlocks: 3
; VGPRBlocks: 11
; NumSGPRsForWavesPerEU: 25
; NumVGPRsForWavesPerEU: 48
; Occupancy: 5
; WaveLimiterHint : 1
; COMPUTE_PGM_RSRC2:SCRATCH_EN: 0
; COMPUTE_PGM_RSRC2:USER_SGPR: 6
; COMPUTE_PGM_RSRC2:TRAP_HANDLER: 0
; COMPUTE_PGM_RSRC2:TGID_X_EN: 1
; COMPUTE_PGM_RSRC2:TGID_Y_EN: 1
; COMPUTE_PGM_RSRC2:TGID_Z_EN: 1
; COMPUTE_PGM_RSRC2:TIDIG_COMP_CNT: 1
	.section	.text._ZL34rocblas_syrkx_herkx_general_kernelIi19rocblas_complex_numIfELi16ELi32ELi8ELb1ELb1ELc78ELc85EKPKS1_KPS1_EviT_T0_PT8_S7_lSA_S7_lS8_PT9_S7_li,"axG",@progbits,_ZL34rocblas_syrkx_herkx_general_kernelIi19rocblas_complex_numIfELi16ELi32ELi8ELb1ELb1ELc78ELc85EKPKS1_KPS1_EviT_T0_PT8_S7_lSA_S7_lS8_PT9_S7_li,comdat
	.globl	_ZL34rocblas_syrkx_herkx_general_kernelIi19rocblas_complex_numIfELi16ELi32ELi8ELb1ELb1ELc78ELc85EKPKS1_KPS1_EviT_T0_PT8_S7_lSA_S7_lS8_PT9_S7_li ; -- Begin function _ZL34rocblas_syrkx_herkx_general_kernelIi19rocblas_complex_numIfELi16ELi32ELi8ELb1ELb1ELc78ELc85EKPKS1_KPS1_EviT_T0_PT8_S7_lSA_S7_lS8_PT9_S7_li
	.p2align	8
	.type	_ZL34rocblas_syrkx_herkx_general_kernelIi19rocblas_complex_numIfELi16ELi32ELi8ELb1ELb1ELc78ELc85EKPKS1_KPS1_EviT_T0_PT8_S7_lSA_S7_lS8_PT9_S7_li,@function
_ZL34rocblas_syrkx_herkx_general_kernelIi19rocblas_complex_numIfELi16ELi32ELi8ELb1ELb1ELc78ELc85EKPKS1_KPS1_EviT_T0_PT8_S7_lSA_S7_lS8_PT9_S7_li: ; @_ZL34rocblas_syrkx_herkx_general_kernelIi19rocblas_complex_numIfELi16ELi32ELi8ELb1ELb1ELc78ELc85EKPKS1_KPS1_EviT_T0_PT8_S7_lSA_S7_lS8_PT9_S7_li
; %bb.0:
	s_load_dwordx2 s[2:3], s[4:5], 0x48
	s_load_dwordx2 s[10:11], s[4:5], 0x0
	s_load_dwordx4 s[12:15], s[4:5], 0x8
	s_mov_b32 s9, 0
	s_lshl_b64 s[0:1], s[8:9], 3
	s_waitcnt lgkmcnt(0)
	s_add_u32 s2, s2, s0
	s_addc_u32 s3, s3, s1
	s_load_dwordx2 s[16:17], s[2:3], 0x0
	s_lshl_b32 s8, s6, 5
	s_lshl_b32 s20, s7, 5
	s_cmp_lt_i32 s11, 1
	s_cbranch_scc1 .LBB837_11
; %bb.1:
	s_load_dword s6, s[4:5], 0x18
	s_load_dword s18, s[4:5], 0x30
	s_load_dwordx2 s[2:3], s[4:5], 0x28
	v_lshl_add_u32 v2, v1, 4, v0
	v_and_b32_e32 v6, 31, v2
	v_lshrrev_b32_e32 v9, 5, v2
	v_lshrrev_b32_e32 v3, 3, v2
	v_or_b32_e32 v2, s8, v6
	s_waitcnt lgkmcnt(0)
	s_ashr_i32 s7, s6, 31
	s_ashr_i32 s19, s18, 31
	v_and_b32_e32 v8, 7, v0
	v_cmp_gt_i32_e32 vcc, s10, v2
	v_lshlrev_b32_e32 v2, 3, v6
	s_add_u32 s2, s2, s0
	v_lshl_or_b32 v10, v9, 8, v2
	v_lshlrev_b32_e32 v2, 3, v8
	s_addc_u32 s3, s3, s1
	v_lshl_or_b32 v2, v3, 6, v2
	v_add_u32_e32 v4, s20, v3
	s_load_dwordx2 s[22:23], s[2:3], 0x0
	v_add_u32_e32 v11, 0x800, v2
	v_mad_i64_i32 v[2:3], s[2:3], v9, s6, 0
	v_mov_b32_e32 v7, 0x800
	v_add_u32_e32 v6, s8, v6
	v_lshl_add_u32 v13, v1, 6, v7
	v_ashrrev_i32_e32 v7, 31, v6
	s_add_u32 s0, s14, s0
	v_lshlrev_b64 v[2:3], 3, v[2:3]
	v_lshlrev_b64 v[6:7], 3, v[6:7]
	s_addc_u32 s1, s15, s1
	s_load_dwordx2 s[14:15], s[0:1], 0x0
	v_add_co_u32_e64 v2, s[2:3], v2, v6
	v_addc_co_u32_e64 v3, s[2:3], v3, v7, s[2:3]
	v_mad_i64_i32 v[6:7], s[2:3], s18, v8, 0
	v_ashrrev_i32_e32 v5, 31, v4
	v_cmp_gt_i32_e64 s[0:1], s10, v4
	s_waitcnt lgkmcnt(0)
	v_mov_b32_e32 v14, s15
	v_add_co_u32_e64 v2, s[2:3], s14, v2
	v_lshlrev_b64 v[6:7], 3, v[6:7]
	v_lshlrev_b64 v[4:5], 3, v[4:5]
	v_addc_co_u32_e64 v3, s[2:3], v14, v3, s[2:3]
	v_add_co_u32_e64 v4, s[2:3], v6, v4
	v_addc_co_u32_e64 v5, s[2:3], v7, v5, s[2:3]
	v_mov_b32_e32 v6, s23
	v_add_co_u32_e64 v4, s[2:3], s22, v4
	v_addc_co_u32_e64 v5, s[2:3], v6, v5, s[2:3]
	s_lshl_b64 s[6:7], s[6:7], 6
	s_lshl_b64 s[2:3], s[18:19], 6
	v_lshlrev_b32_e32 v12, 3, v0
	s_xor_b64 s[14:15], vcc, -1
	s_xor_b64 s[0:1], s[0:1], -1
	v_mov_b32_e32 v14, s7
	v_mov_b32_e32 v15, s3
	;; [unrolled: 1-line block ×11, first 2 shown]
	s_branch .LBB837_3
.LBB837_2:                              ;   in Loop: Header=BB837_3 Depth=1
	s_or_b64 exec, exec, s[18:19]
	ds_write_b32 v11, v7 offset:4
	s_waitcnt lgkmcnt(0)
	s_barrier
	ds_read2_b64 v[24:27], v12 offset1:16
	ds_read_b128 v[28:31], v13
	ds_read_b128 v[32:35], v13 offset:16
	ds_read2_b64 v[40:43], v12 offset0:32 offset1:48
	v_add_co_u32_e32 v2, vcc, s6, v2
	s_waitcnt lgkmcnt(2)
	v_mul_f32_e32 v36, v28, v25
	v_fmac_f32_e32 v36, v29, v24
	v_add_f32_e32 v44, v21, v36
	ds_read_b128 v[36:39], v13 offset:1024
	v_mul_f32_e32 v7, v29, v25
	v_fma_f32 v7, v28, v24, -v7
	v_add_f32_e32 v7, v20, v7
	v_mul_f32_e32 v20, v29, v27
	v_mul_f32_e32 v21, v28, v27
	v_fma_f32 v20, v28, v26, -v20
	v_fmac_f32_e32 v21, v29, v26
	v_add_f32_e32 v45, v22, v20
	v_add_f32_e32 v46, v23, v21
	ds_read_b128 v[20:23], v13 offset:1040
	s_waitcnt lgkmcnt(1)
	v_mul_f32_e32 v28, v37, v25
	v_fma_f32 v28, v36, v24, -v28
	v_mul_f32_e32 v47, v36, v25
	v_add_f32_e32 v48, v17, v28
	v_mul_f32_e32 v17, v37, v27
	v_fmac_f32_e32 v47, v37, v24
	v_fma_f32 v17, v36, v26, -v17
	v_mul_f32_e32 v36, v36, v27
	v_mul_f32_e32 v24, v31, v41
	v_fmac_f32_e32 v36, v37, v26
	v_fma_f32 v37, v30, v40, -v24
	v_mul_f32_e32 v24, v31, v43
	v_fma_f32 v50, v30, v42, -v24
	v_mul_f32_e32 v24, v39, v41
	v_mul_f32_e32 v49, v30, v41
	v_fma_f32 v52, v38, v40, -v24
	v_mul_f32_e32 v41, v38, v41
	v_mul_f32_e32 v24, v39, v43
	v_fmac_f32_e32 v49, v31, v40
	v_mul_f32_e32 v51, v30, v43
	v_fmac_f32_e32 v41, v39, v40
	v_fma_f32 v40, v38, v42, -v24
	v_mul_f32_e32 v38, v38, v43
	v_fmac_f32_e32 v51, v31, v42
	v_fmac_f32_e32 v38, v39, v42
	ds_read_b128 v[24:27], v13 offset:32
	ds_read_b128 v[28:31], v13 offset:48
	v_add_f32_e32 v39, v16, v47
	v_add_f32_e32 v42, v18, v17
	;; [unrolled: 1-line block ×3, first 2 shown]
	ds_read2_b64 v[16:19], v12 offset0:64 offset1:80
	v_add_f32_e32 v39, v39, v41
	v_add_f32_e32 v41, v36, v38
	;; [unrolled: 1-line block ×4, first 2 shown]
	s_waitcnt lgkmcnt(0)
	v_mul_f32_e32 v36, v33, v17
	v_fma_f32 v36, v32, v16, -v36
	v_add_f32_e32 v7, v7, v36
	v_mul_f32_e32 v36, v33, v19
	v_mul_f32_e32 v38, v32, v17
	v_fma_f32 v36, v32, v18, -v36
	v_mul_f32_e32 v32, v32, v19
	v_fmac_f32_e32 v38, v33, v16
	v_fmac_f32_e32 v32, v33, v18
	v_add_f32_e32 v33, v43, v36
	v_mul_f32_e32 v36, v21, v17
	v_add_f32_e32 v45, v48, v52
	v_fma_f32 v36, v20, v16, -v36
	v_mul_f32_e32 v17, v20, v17
	v_add_f32_e32 v37, v44, v49
	v_fmac_f32_e32 v17, v21, v16
	v_add_f32_e32 v16, v45, v36
	v_mul_f32_e32 v36, v21, v19
	v_add_f32_e32 v40, v42, v40
	v_add_f32_e32 v42, v37, v38
	;; [unrolled: 1-line block ×3, first 2 shown]
	v_fma_f32 v43, v20, v18, -v36
	ds_read2_b64 v[36:39], v12 offset0:96 offset1:112
	v_mul_f32_e32 v19, v20, v19
	v_fmac_f32_e32 v19, v21, v18
	v_add_f32_e32 v21, v41, v19
	v_add_f32_e32 v44, v46, v51
	s_waitcnt lgkmcnt(0)
	v_mul_f32_e32 v18, v35, v37
	v_fma_f32 v18, v34, v36, -v18
	v_mul_f32_e32 v19, v34, v37
	v_fmac_f32_e32 v19, v35, v36
	v_add_f32_e32 v7, v7, v18
	v_mul_f32_e32 v18, v35, v39
	v_add_f32_e32 v20, v40, v43
	v_add_f32_e32 v40, v42, v19
	v_fma_f32 v18, v34, v38, -v18
	v_mul_f32_e32 v19, v34, v39
	v_add_f32_e32 v32, v44, v32
	v_fmac_f32_e32 v19, v35, v38
	v_add_f32_e32 v33, v33, v18
	v_mul_f32_e32 v18, v23, v37
	v_add_f32_e32 v32, v32, v19
	v_fma_f32 v18, v22, v36, -v18
	v_mul_f32_e32 v19, v22, v37
	v_fmac_f32_e32 v19, v23, v36
	v_add_f32_e32 v36, v16, v18
	v_mul_f32_e32 v16, v23, v39
	v_add_f32_e32 v37, v17, v19
	v_fma_f32 v34, v22, v38, -v16
	ds_read2_b64 v[16:19], v12 offset0:128 offset1:144
	v_mul_f32_e32 v22, v22, v39
	v_fmac_f32_e32 v22, v23, v38
	v_add_f32_e32 v41, v20, v34
	v_add_f32_e32 v42, v21, v22
	s_waitcnt lgkmcnt(0)
	v_mul_f32_e32 v20, v25, v17
	v_fma_f32 v20, v24, v16, -v20
	v_mul_f32_e32 v21, v24, v17
	v_fmac_f32_e32 v21, v25, v16
	v_add_f32_e32 v7, v7, v20
	v_mul_f32_e32 v20, v25, v19
	v_add_f32_e32 v40, v40, v21
	v_fma_f32 v34, v24, v18, -v20
	ds_read_b128 v[20:23], v13 offset:1056
	v_mul_f32_e32 v24, v24, v19
	v_fmac_f32_e32 v24, v25, v18
	v_add_f32_e32 v25, v33, v34
	v_add_f32_e32 v24, v32, v24
	ds_read_b128 v[32:35], v13 offset:1072
	s_waitcnt lgkmcnt(1)
	v_mul_f32_e32 v38, v21, v17
	v_fma_f32 v38, v20, v16, -v38
	v_mul_f32_e32 v17, v20, v17
	v_fmac_f32_e32 v17, v21, v16
	v_add_f32_e32 v16, v36, v38
	v_mul_f32_e32 v36, v21, v19
	v_add_f32_e32 v17, v37, v17
	v_fma_f32 v43, v20, v18, -v36
	ds_read2_b64 v[36:39], v12 offset0:160 offset1:176
	v_mul_f32_e32 v19, v20, v19
	v_fmac_f32_e32 v19, v21, v18
	v_add_f32_e32 v21, v42, v19
	v_add_f32_e32 v20, v41, v43
	s_waitcnt lgkmcnt(0)
	v_mul_f32_e32 v18, v27, v37
	v_fma_f32 v18, v26, v36, -v18
	v_mul_f32_e32 v19, v26, v37
	v_fmac_f32_e32 v19, v27, v36
	v_add_f32_e32 v7, v7, v18
	v_mul_f32_e32 v18, v27, v39
	v_add_f32_e32 v40, v40, v19
	v_fma_f32 v18, v26, v38, -v18
	v_mul_f32_e32 v19, v26, v39
	v_fmac_f32_e32 v19, v27, v38
	v_add_f32_e32 v25, v25, v18
	v_mul_f32_e32 v18, v23, v37
	v_add_f32_e32 v24, v24, v19
	;; [unrolled: 6-line block ×3, first 2 shown]
	v_fma_f32 v36, v22, v38, -v16
	ds_read2_b64 v[16:19], v12 offset0:192 offset1:208
	v_mul_f32_e32 v22, v22, v39
	v_fmac_f32_e32 v22, v23, v38
	v_add_f32_e32 v21, v21, v22
	v_add_f32_e32 v20, v20, v36
	s_waitcnt lgkmcnt(0)
	v_mul_f32_e32 v22, v29, v17
	v_mul_f32_e32 v23, v28, v17
	v_fma_f32 v22, v28, v16, -v22
	v_fmac_f32_e32 v23, v29, v16
	v_add_f32_e32 v7, v7, v22
	v_add_f32_e32 v22, v40, v23
	v_mul_f32_e32 v23, v29, v19
	v_fma_f32 v23, v28, v18, -v23
	v_mul_f32_e32 v28, v28, v19
	v_fmac_f32_e32 v28, v29, v18
	v_add_f32_e32 v28, v24, v28
	v_mul_f32_e32 v24, v33, v17
	v_mul_f32_e32 v17, v32, v17
	v_fma_f32 v24, v32, v16, -v24
	v_fmac_f32_e32 v17, v33, v16
	v_add_f32_e32 v23, v25, v23
	v_add_f32_e32 v16, v26, v24
	;; [unrolled: 1-line block ×3, first 2 shown]
	ds_read2_b64 v[24:27], v12 offset0:224 offset1:240
	v_mul_f32_e32 v17, v33, v19
	v_fma_f32 v17, v32, v18, -v17
	v_mul_f32_e32 v19, v32, v19
	v_fmac_f32_e32 v19, v33, v18
	v_add_f32_e32 v18, v20, v17
	s_waitcnt lgkmcnt(0)
	v_mul_f32_e32 v17, v31, v25
	v_fma_f32 v17, v30, v24, -v17
	v_add_f32_e32 v19, v21, v19
	v_mul_f32_e32 v21, v30, v25
	v_add_f32_e32 v20, v7, v17
	v_mul_f32_e32 v7, v31, v27
	v_fmac_f32_e32 v21, v31, v24
	v_fma_f32 v7, v30, v26, -v7
	v_add_f32_e32 v21, v22, v21
	v_mul_f32_e32 v17, v30, v27
	v_add_f32_e32 v22, v23, v7
	v_mul_f32_e32 v7, v35, v25
	v_fmac_f32_e32 v17, v31, v26
	v_fma_f32 v7, v34, v24, -v7
	v_mul_f32_e32 v25, v34, v25
	v_add_f32_e32 v23, v28, v17
	v_fmac_f32_e32 v25, v35, v24
	v_add_f32_e32 v17, v16, v7
	v_mul_f32_e32 v7, v35, v27
	v_mul_f32_e32 v24, v34, v27
	v_addc_co_u32_e32 v3, vcc, v3, v14, vcc
	v_fma_f32 v7, v34, v26, -v7
	v_fmac_f32_e32 v24, v35, v26
	s_add_i32 s9, s9, 8
	v_add_co_u32_e32 v4, vcc, s2, v4
	v_add_f32_e32 v16, v29, v25
	v_add_f32_e32 v18, v18, v7
	;; [unrolled: 1-line block ×3, first 2 shown]
	s_cmp_ge_i32 s9, s11
	v_addc_co_u32_e32 v5, vcc, v5, v15, vcc
	s_barrier
	s_cbranch_scc1 .LBB837_12
.LBB837_3:                              ; =>This Inner Loop Header: Depth=1
	v_add_u32_e32 v7, s9, v9
	v_cmp_le_i32_e32 vcc, s11, v7
	s_or_b64 s[18:19], s[14:15], vcc
	s_and_saveexec_b64 s[22:23], s[18:19]
	s_xor_b64 s[18:19], exec, s[22:23]
; %bb.4:                                ;   in Loop: Header=BB837_3 Depth=1
	v_mov_b32_e32 v7, v6
	ds_write_b64 v10, v[6:7]
; %bb.5:                                ;   in Loop: Header=BB837_3 Depth=1
	s_andn2_saveexec_b64 s[18:19], s[18:19]
	s_cbranch_execz .LBB837_7
; %bb.6:                                ;   in Loop: Header=BB837_3 Depth=1
	flat_load_dwordx2 v[24:25], v[2:3]
	s_waitcnt vmcnt(0) lgkmcnt(0)
	ds_write_b64 v10, v[24:25]
.LBB837_7:                              ;   in Loop: Header=BB837_3 Depth=1
	s_or_b64 exec, exec, s[18:19]
	v_add_u32_e32 v7, s9, v8
	v_cmp_le_i32_e32 vcc, s11, v7
	s_or_b64 s[18:19], vcc, s[0:1]
	s_and_saveexec_b64 s[22:23], s[18:19]
	s_xor_b64 s[18:19], exec, s[22:23]
; %bb.8:                                ;   in Loop: Header=BB837_3 Depth=1
	ds_write_b32 v11, v6
; %bb.9:                                ;   in Loop: Header=BB837_3 Depth=1
	s_or_saveexec_b64 s[18:19], s[18:19]
	v_mov_b32_e32 v7, 0
	s_xor_b64 exec, exec, s[18:19]
	s_cbranch_execz .LBB837_2
; %bb.10:                               ;   in Loop: Header=BB837_3 Depth=1
	flat_load_dwordx2 v[24:25], v[4:5]
	s_waitcnt vmcnt(0) lgkmcnt(0)
	v_xor_b32_e32 v7, 0x80000000, v25
	ds_write_b32 v11, v24
	s_branch .LBB837_2
.LBB837_11:
	v_mov_b32_e32 v20, 0
	v_mov_b32_e32 v21, 0
	v_mov_b32_e32 v22, 0
	v_mov_b32_e32 v23, 0
	v_mov_b32_e32 v17, 0
	v_mov_b32_e32 v16, 0
	v_mov_b32_e32 v18, 0
	v_mov_b32_e32 v19, 0
.LBB837_12:
	s_load_dword s4, s[4:5], 0x50
	v_add_u32_e32 v5, s20, v1
	s_waitcnt lgkmcnt(0)
	v_mov_b32_e32 v3, s17
	v_add_u32_e32 v0, s8, v0
	v_cmp_gt_i32_e32 vcc, s10, v5
	v_mad_i64_i32 v[1:2], s[0:1], v5, s4, 0
	v_lshlrev_b64 v[1:2], 3, v[1:2]
	v_add_co_u32_e64 v4, s[0:1], s16, v1
	v_addc_co_u32_e64 v6, s[0:1], v3, v2, s[0:1]
	v_cmp_le_i32_e64 s[0:1], v0, v5
	s_and_b64 s[0:1], vcc, s[0:1]
	s_and_saveexec_b64 s[2:3], s[0:1]
	s_cbranch_execz .LBB837_15
; %bb.13:
	v_mul_f32_e32 v1, s13, v21
	v_fma_f32 v7, v20, s12, -v1
	v_ashrrev_i32_e32 v1, 31, v0
	v_lshlrev_b64 v[1:2], 3, v[0:1]
	v_mul_f32_e32 v8, s12, v21
	v_add_co_u32_e64 v1, s[0:1], v4, v1
	v_addc_co_u32_e64 v2, s[0:1], v6, v2, s[0:1]
	v_fmac_f32_e32 v8, s13, v20
	v_cmp_eq_u32_e64 s[0:1], v5, v0
	flat_store_dwordx2 v[1:2], v[7:8]
	s_and_b64 exec, exec, s[0:1]
	s_cbranch_execz .LBB837_15
; %bb.14:
	v_mov_b32_e32 v3, 0
	flat_store_dword v[1:2], v3 offset:4
.LBB837_15:
	s_or_b64 exec, exec, s[2:3]
	v_add_u32_e32 v2, 16, v0
	v_cmp_le_i32_e64 s[0:1], v2, v5
	s_and_b64 s[2:3], vcc, s[0:1]
	s_and_saveexec_b64 s[0:1], s[2:3]
	s_cbranch_execz .LBB837_18
; %bb.16:
	v_ashrrev_i32_e32 v3, 31, v2
	v_lshlrev_b64 v[9:10], 3, v[2:3]
	v_mul_f32_e32 v1, s13, v23
	v_add_co_u32_e32 v3, vcc, v4, v9
	v_mul_f32_e32 v8, s12, v23
	v_addc_co_u32_e32 v4, vcc, v6, v10, vcc
	v_fma_f32 v7, v22, s12, -v1
	v_fmac_f32_e32 v8, s13, v22
	v_cmp_eq_u32_e32 vcc, v5, v2
	flat_store_dwordx2 v[3:4], v[7:8]
	s_and_b64 exec, exec, vcc
	s_cbranch_execz .LBB837_18
; %bb.17:
	v_mov_b32_e32 v1, 0
	flat_store_dword v[3:4], v1 offset:4
.LBB837_18:
	s_or_b64 exec, exec, s[0:1]
	v_add_u32_e32 v8, 16, v5
	v_mad_i64_i32 v[3:4], s[0:1], v8, s4, 0
	v_mov_b32_e32 v1, s17
	v_cmp_gt_i32_e32 vcc, s10, v8
	v_lshlrev_b64 v[3:4], 3, v[3:4]
	v_add_co_u32_e64 v6, s[0:1], s16, v3
	v_addc_co_u32_e64 v7, s[0:1], v1, v4, s[0:1]
	v_cmp_le_i32_e64 s[0:1], v0, v8
	s_and_b64 s[0:1], vcc, s[0:1]
	s_and_saveexec_b64 s[2:3], s[0:1]
	s_cbranch_execz .LBB837_21
; %bb.19:
	v_mul_f32_e32 v1, s13, v16
	v_fma_f32 v9, v17, s12, -v1
	v_ashrrev_i32_e32 v1, 31, v0
	v_lshlrev_b64 v[3:4], 3, v[0:1]
	v_mul_f32_e32 v10, s12, v16
	v_add_co_u32_e64 v3, s[0:1], v6, v3
	v_addc_co_u32_e64 v4, s[0:1], v7, v4, s[0:1]
	v_fmac_f32_e32 v10, s13, v17
	v_cmp_eq_u32_e64 s[0:1], v8, v0
	flat_store_dwordx2 v[3:4], v[9:10]
	s_and_b64 exec, exec, s[0:1]
	s_cbranch_execz .LBB837_21
; %bb.20:
	v_mov_b32_e32 v1, 0
	flat_store_dword v[3:4], v1 offset:4
.LBB837_21:
	s_or_b64 exec, exec, s[2:3]
	v_cmp_le_i32_e64 s[0:1], v2, v8
	s_and_b64 s[0:1], vcc, s[0:1]
	s_and_saveexec_b64 s[2:3], s[0:1]
	s_cbranch_execz .LBB837_24
; %bb.22:
	v_mul_f32_e32 v1, s13, v19
	v_ashrrev_i32_e32 v3, 31, v2
	v_fma_f32 v8, v18, s12, -v1
	v_lshlrev_b64 v[1:2], 3, v[2:3]
	v_mul_f32_e32 v9, s12, v19
	v_add_co_u32_e32 v1, vcc, v6, v1
	v_addc_co_u32_e32 v2, vcc, v7, v2, vcc
	v_fmac_f32_e32 v9, s13, v18
	v_cmp_eq_u32_e32 vcc, v5, v0
	flat_store_dwordx2 v[1:2], v[8:9]
	s_and_b64 exec, exec, vcc
	s_cbranch_execz .LBB837_24
; %bb.23:
	v_mov_b32_e32 v0, 0
	flat_store_dword v[1:2], v0 offset:4
.LBB837_24:
	s_endpgm
	.section	.rodata,"a",@progbits
	.p2align	6, 0x0
	.amdhsa_kernel _ZL34rocblas_syrkx_herkx_general_kernelIi19rocblas_complex_numIfELi16ELi32ELi8ELb1ELb1ELc78ELc85EKPKS1_KPS1_EviT_T0_PT8_S7_lSA_S7_lS8_PT9_S7_li
		.amdhsa_group_segment_fixed_size 4096
		.amdhsa_private_segment_fixed_size 0
		.amdhsa_kernarg_size 100
		.amdhsa_user_sgpr_count 6
		.amdhsa_user_sgpr_private_segment_buffer 1
		.amdhsa_user_sgpr_dispatch_ptr 0
		.amdhsa_user_sgpr_queue_ptr 0
		.amdhsa_user_sgpr_kernarg_segment_ptr 1
		.amdhsa_user_sgpr_dispatch_id 0
		.amdhsa_user_sgpr_flat_scratch_init 0
		.amdhsa_user_sgpr_private_segment_size 0
		.amdhsa_uses_dynamic_stack 0
		.amdhsa_system_sgpr_private_segment_wavefront_offset 0
		.amdhsa_system_sgpr_workgroup_id_x 1
		.amdhsa_system_sgpr_workgroup_id_y 1
		.amdhsa_system_sgpr_workgroup_id_z 1
		.amdhsa_system_sgpr_workgroup_info 0
		.amdhsa_system_vgpr_workitem_id 1
		.amdhsa_next_free_vgpr 53
		.amdhsa_next_free_sgpr 24
		.amdhsa_reserve_vcc 1
		.amdhsa_reserve_flat_scratch 0
		.amdhsa_float_round_mode_32 0
		.amdhsa_float_round_mode_16_64 0
		.amdhsa_float_denorm_mode_32 3
		.amdhsa_float_denorm_mode_16_64 3
		.amdhsa_dx10_clamp 1
		.amdhsa_ieee_mode 1
		.amdhsa_fp16_overflow 0
		.amdhsa_exception_fp_ieee_invalid_op 0
		.amdhsa_exception_fp_denorm_src 0
		.amdhsa_exception_fp_ieee_div_zero 0
		.amdhsa_exception_fp_ieee_overflow 0
		.amdhsa_exception_fp_ieee_underflow 0
		.amdhsa_exception_fp_ieee_inexact 0
		.amdhsa_exception_int_div_zero 0
	.end_amdhsa_kernel
	.section	.text._ZL34rocblas_syrkx_herkx_general_kernelIi19rocblas_complex_numIfELi16ELi32ELi8ELb1ELb1ELc78ELc85EKPKS1_KPS1_EviT_T0_PT8_S7_lSA_S7_lS8_PT9_S7_li,"axG",@progbits,_ZL34rocblas_syrkx_herkx_general_kernelIi19rocblas_complex_numIfELi16ELi32ELi8ELb1ELb1ELc78ELc85EKPKS1_KPS1_EviT_T0_PT8_S7_lSA_S7_lS8_PT9_S7_li,comdat
.Lfunc_end837:
	.size	_ZL34rocblas_syrkx_herkx_general_kernelIi19rocblas_complex_numIfELi16ELi32ELi8ELb1ELb1ELc78ELc85EKPKS1_KPS1_EviT_T0_PT8_S7_lSA_S7_lS8_PT9_S7_li, .Lfunc_end837-_ZL34rocblas_syrkx_herkx_general_kernelIi19rocblas_complex_numIfELi16ELi32ELi8ELb1ELb1ELc78ELc85EKPKS1_KPS1_EviT_T0_PT8_S7_lSA_S7_lS8_PT9_S7_li
                                        ; -- End function
	.set _ZL34rocblas_syrkx_herkx_general_kernelIi19rocblas_complex_numIfELi16ELi32ELi8ELb1ELb1ELc78ELc85EKPKS1_KPS1_EviT_T0_PT8_S7_lSA_S7_lS8_PT9_S7_li.num_vgpr, 53
	.set _ZL34rocblas_syrkx_herkx_general_kernelIi19rocblas_complex_numIfELi16ELi32ELi8ELb1ELb1ELc78ELc85EKPKS1_KPS1_EviT_T0_PT8_S7_lSA_S7_lS8_PT9_S7_li.num_agpr, 0
	.set _ZL34rocblas_syrkx_herkx_general_kernelIi19rocblas_complex_numIfELi16ELi32ELi8ELb1ELb1ELc78ELc85EKPKS1_KPS1_EviT_T0_PT8_S7_lSA_S7_lS8_PT9_S7_li.numbered_sgpr, 24
	.set _ZL34rocblas_syrkx_herkx_general_kernelIi19rocblas_complex_numIfELi16ELi32ELi8ELb1ELb1ELc78ELc85EKPKS1_KPS1_EviT_T0_PT8_S7_lSA_S7_lS8_PT9_S7_li.num_named_barrier, 0
	.set _ZL34rocblas_syrkx_herkx_general_kernelIi19rocblas_complex_numIfELi16ELi32ELi8ELb1ELb1ELc78ELc85EKPKS1_KPS1_EviT_T0_PT8_S7_lSA_S7_lS8_PT9_S7_li.private_seg_size, 0
	.set _ZL34rocblas_syrkx_herkx_general_kernelIi19rocblas_complex_numIfELi16ELi32ELi8ELb1ELb1ELc78ELc85EKPKS1_KPS1_EviT_T0_PT8_S7_lSA_S7_lS8_PT9_S7_li.uses_vcc, 1
	.set _ZL34rocblas_syrkx_herkx_general_kernelIi19rocblas_complex_numIfELi16ELi32ELi8ELb1ELb1ELc78ELc85EKPKS1_KPS1_EviT_T0_PT8_S7_lSA_S7_lS8_PT9_S7_li.uses_flat_scratch, 0
	.set _ZL34rocblas_syrkx_herkx_general_kernelIi19rocblas_complex_numIfELi16ELi32ELi8ELb1ELb1ELc78ELc85EKPKS1_KPS1_EviT_T0_PT8_S7_lSA_S7_lS8_PT9_S7_li.has_dyn_sized_stack, 0
	.set _ZL34rocblas_syrkx_herkx_general_kernelIi19rocblas_complex_numIfELi16ELi32ELi8ELb1ELb1ELc78ELc85EKPKS1_KPS1_EviT_T0_PT8_S7_lSA_S7_lS8_PT9_S7_li.has_recursion, 0
	.set _ZL34rocblas_syrkx_herkx_general_kernelIi19rocblas_complex_numIfELi16ELi32ELi8ELb1ELb1ELc78ELc85EKPKS1_KPS1_EviT_T0_PT8_S7_lSA_S7_lS8_PT9_S7_li.has_indirect_call, 0
	.section	.AMDGPU.csdata,"",@progbits
; Kernel info:
; codeLenInByte = 2232
; TotalNumSgprs: 28
; NumVgprs: 53
; ScratchSize: 0
; MemoryBound: 1
; FloatMode: 240
; IeeeMode: 1
; LDSByteSize: 4096 bytes/workgroup (compile time only)
; SGPRBlocks: 3
; VGPRBlocks: 13
; NumSGPRsForWavesPerEU: 28
; NumVGPRsForWavesPerEU: 53
; Occupancy: 4
; WaveLimiterHint : 1
; COMPUTE_PGM_RSRC2:SCRATCH_EN: 0
; COMPUTE_PGM_RSRC2:USER_SGPR: 6
; COMPUTE_PGM_RSRC2:TRAP_HANDLER: 0
; COMPUTE_PGM_RSRC2:TGID_X_EN: 1
; COMPUTE_PGM_RSRC2:TGID_Y_EN: 1
; COMPUTE_PGM_RSRC2:TGID_Z_EN: 1
; COMPUTE_PGM_RSRC2:TIDIG_COMP_CNT: 1
	.section	.text._ZL34rocblas_syrkx_herkx_general_kernelIi19rocblas_complex_numIfELi16ELi32ELi8ELb0ELb1ELc84ELc76EKPKS1_KPS1_EviT_T0_PT8_S7_lSA_S7_lS8_PT9_S7_li,"axG",@progbits,_ZL34rocblas_syrkx_herkx_general_kernelIi19rocblas_complex_numIfELi16ELi32ELi8ELb0ELb1ELc84ELc76EKPKS1_KPS1_EviT_T0_PT8_S7_lSA_S7_lS8_PT9_S7_li,comdat
	.globl	_ZL34rocblas_syrkx_herkx_general_kernelIi19rocblas_complex_numIfELi16ELi32ELi8ELb0ELb1ELc84ELc76EKPKS1_KPS1_EviT_T0_PT8_S7_lSA_S7_lS8_PT9_S7_li ; -- Begin function _ZL34rocblas_syrkx_herkx_general_kernelIi19rocblas_complex_numIfELi16ELi32ELi8ELb0ELb1ELc84ELc76EKPKS1_KPS1_EviT_T0_PT8_S7_lSA_S7_lS8_PT9_S7_li
	.p2align	8
	.type	_ZL34rocblas_syrkx_herkx_general_kernelIi19rocblas_complex_numIfELi16ELi32ELi8ELb0ELb1ELc84ELc76EKPKS1_KPS1_EviT_T0_PT8_S7_lSA_S7_lS8_PT9_S7_li,@function
_ZL34rocblas_syrkx_herkx_general_kernelIi19rocblas_complex_numIfELi16ELi32ELi8ELb0ELb1ELc84ELc76EKPKS1_KPS1_EviT_T0_PT8_S7_lSA_S7_lS8_PT9_S7_li: ; @_ZL34rocblas_syrkx_herkx_general_kernelIi19rocblas_complex_numIfELi16ELi32ELi8ELb0ELb1ELc84ELc76EKPKS1_KPS1_EviT_T0_PT8_S7_lSA_S7_lS8_PT9_S7_li
; %bb.0:
	s_load_dwordx4 s[12:15], s[4:5], 0x40
	s_load_dwordx2 s[20:21], s[4:5], 0x0
	s_load_dwordx4 s[16:19], s[4:5], 0x8
	s_mov_b32 s9, 0
	s_lshl_b64 s[0:1], s[8:9], 3
	s_waitcnt lgkmcnt(0)
	s_add_u32 s2, s14, s0
	s_addc_u32 s3, s15, s1
	s_load_dwordx2 s[10:11], s[2:3], 0x0
	s_lshl_b32 s8, s6, 5
	s_lshl_b32 s14, s7, 5
	s_cmp_lt_i32 s21, 1
	s_cbranch_scc1 .LBB838_11
; %bb.1:
	s_load_dword s15, s[4:5], 0x18
	s_load_dwordx2 s[2:3], s[4:5], 0x28
	s_load_dword s22, s[4:5], 0x30
	v_lshl_add_u32 v2, v1, 4, v0
	v_and_b32_e32 v8, 7, v0
	v_lshrrev_b32_e32 v9, 5, v2
	v_lshrrev_b32_e32 v3, 3, v2
	v_and_b32_e32 v2, 31, v2
	v_or_b32_e32 v5, s8, v2
	s_waitcnt lgkmcnt(0)
	s_add_u32 s2, s2, s0
	v_lshlrev_b32_e32 v6, 3, v8
	v_add_u32_e32 v4, s14, v3
	s_addc_u32 s3, s3, s1
	v_cmp_gt_i32_e32 vcc, s20, v5
	v_lshlrev_b32_e32 v5, 3, v2
	v_lshl_or_b32 v3, v3, 6, v6
	v_add_u32_e32 v2, s8, v2
	s_load_dwordx2 s[6:7], s[2:3], 0x0
	v_add_u32_e32 v11, 0x800, v3
	v_mad_i64_i32 v[2:3], s[2:3], s15, v2, 0
	s_add_u32 s0, s18, s0
	v_lshl_or_b32 v10, v9, 8, v5
	v_mov_b32_e32 v5, 0x800
	v_lshlrev_b64 v[2:3], 3, v[2:3]
	s_addc_u32 s1, s19, s1
	v_lshl_add_u32 v13, v1, 6, v5
	v_lshlrev_b32_e32 v5, 3, v9
	s_load_dwordx2 s[18:19], s[0:1], 0x0
	v_add_co_u32_e64 v2, s[2:3], v2, v5
	v_cmp_gt_i32_e64 s[0:1], s20, v4
	v_addc_co_u32_e64 v3, s[2:3], 0, v3, s[2:3]
	v_mad_i64_i32 v[4:5], s[2:3], s22, v4, 0
	s_waitcnt lgkmcnt(0)
	v_mov_b32_e32 v7, s19
	v_add_co_u32_e64 v2, s[2:3], s18, v2
	v_lshlrev_b64 v[4:5], 3, v[4:5]
	v_addc_co_u32_e64 v3, s[2:3], v7, v3, s[2:3]
	v_add_co_u32_e64 v4, s[2:3], v4, v6
	v_addc_co_u32_e64 v5, s[2:3], 0, v5, s[2:3]
	v_mov_b32_e32 v6, s7
	v_add_co_u32_e64 v4, s[2:3], s6, v4
	v_addc_co_u32_e64 v5, s[2:3], v6, v5, s[2:3]
	v_lshlrev_b32_e32 v12, 3, v0
	s_xor_b64 s[2:3], vcc, -1
	s_xor_b64 s[0:1], s[0:1], -1
	v_mov_b32_e32 v17, 0
	v_mov_b32_e32 v16, 0
	;; [unrolled: 1-line block ×9, first 2 shown]
	s_branch .LBB838_3
.LBB838_2:                              ;   in Loop: Header=BB838_3 Depth=1
	s_or_b64 exec, exec, s[6:7]
	s_waitcnt lgkmcnt(0)
	s_barrier
	ds_read2_b64 v[22:25], v12 offset1:16
	ds_read_b128 v[26:29], v13
	ds_read_b128 v[30:33], v13 offset:16
	v_add_co_u32_e32 v2, vcc, 64, v2
	v_addc_co_u32_e32 v3, vcc, 0, v3, vcc
	s_waitcnt lgkmcnt(1)
	v_mul_f32_e32 v34, v26, v23
	v_fmac_f32_e32 v34, v27, v22
	v_add_f32_e32 v46, v21, v34
	ds_read_b128 v[34:37], v13 offset:1024
	v_mul_f32_e32 v7, v27, v23
	v_fma_f32 v7, v26, v22, -v7
	v_add_f32_e32 v7, v20, v7
	v_mul_f32_e32 v20, v27, v25
	v_mul_f32_e32 v21, v26, v25
	v_fma_f32 v20, v26, v24, -v20
	v_fmac_f32_e32 v21, v27, v24
	v_add_f32_e32 v26, v18, v20
	v_add_f32_e32 v27, v19, v21
	ds_read_b128 v[18:21], v13 offset:1040
	s_waitcnt lgkmcnt(1)
	v_mul_f32_e32 v38, v35, v23
	v_mul_f32_e32 v23, v34, v23
	v_fma_f32 v38, v34, v22, -v38
	v_fmac_f32_e32 v23, v35, v22
	v_mul_f32_e32 v22, v35, v25
	v_fma_f32 v47, v34, v24, -v22
	v_mul_f32_e32 v34, v34, v25
	v_add_f32_e32 v14, v14, v38
	v_add_f32_e32 v15, v15, v23
	v_fmac_f32_e32 v34, v35, v24
	ds_read2_b64 v[22:25], v12 offset0:32 offset1:48
	ds_read_b128 v[38:41], v13 offset:32
	ds_read_b128 v[42:45], v13 offset:48
	v_add_f32_e32 v35, v16, v47
	v_add_f32_e32 v34, v17, v34
	s_waitcnt lgkmcnt(2)
	v_mul_f32_e32 v16, v29, v23
	v_fma_f32 v16, v28, v22, -v16
	v_mul_f32_e32 v17, v28, v23
	v_fmac_f32_e32 v17, v29, v22
	v_add_f32_e32 v7, v7, v16
	v_mul_f32_e32 v16, v29, v25
	v_add_f32_e32 v46, v46, v17
	v_fma_f32 v16, v28, v24, -v16
	v_mul_f32_e32 v17, v28, v25
	v_fmac_f32_e32 v17, v29, v24
	v_add_f32_e32 v26, v26, v16
	v_mul_f32_e32 v16, v37, v23
	v_add_f32_e32 v27, v27, v17
	;; [unrolled: 6-line block ×3, first 2 shown]
	v_fma_f32 v28, v36, v24, -v14
	ds_read2_b64 v[14:17], v12 offset0:64 offset1:80
	v_mul_f32_e32 v25, v36, v25
	v_fmac_f32_e32 v25, v37, v24
	v_add_f32_e32 v29, v34, v25
	v_add_f32_e32 v28, v35, v28
	s_waitcnt lgkmcnt(0)
	v_mul_f32_e32 v24, v31, v15
	v_fma_f32 v24, v30, v14, -v24
	v_add_f32_e32 v7, v7, v24
	v_mul_f32_e32 v24, v31, v17
	v_mul_f32_e32 v25, v30, v15
	v_fma_f32 v24, v30, v16, -v24
	v_fmac_f32_e32 v25, v31, v14
	v_add_f32_e32 v26, v26, v24
	v_mul_f32_e32 v24, v19, v15
	v_add_f32_e32 v34, v46, v25
	v_mul_f32_e32 v25, v30, v17
	v_fma_f32 v24, v18, v14, -v24
	v_mul_f32_e32 v15, v18, v15
	v_fmac_f32_e32 v25, v31, v16
	v_fmac_f32_e32 v15, v19, v14
	v_add_f32_e32 v14, v22, v24
	v_mul_f32_e32 v22, v19, v17
	v_add_f32_e32 v27, v27, v25
	v_add_f32_e32 v15, v23, v15
	v_fma_f32 v30, v18, v16, -v22
	ds_read2_b64 v[22:25], v12 offset0:96 offset1:112
	v_mul_f32_e32 v17, v18, v17
	v_fmac_f32_e32 v17, v19, v16
	v_add_f32_e32 v19, v29, v17
	v_add_f32_e32 v18, v28, v30
	s_waitcnt lgkmcnt(0)
	v_mul_f32_e32 v16, v33, v23
	v_fma_f32 v16, v32, v22, -v16
	v_mul_f32_e32 v17, v32, v23
	v_fmac_f32_e32 v17, v33, v22
	v_add_f32_e32 v7, v7, v16
	v_mul_f32_e32 v16, v33, v25
	v_add_f32_e32 v28, v34, v17
	v_fma_f32 v16, v32, v24, -v16
	v_mul_f32_e32 v17, v32, v25
	v_fmac_f32_e32 v17, v33, v24
	v_add_f32_e32 v26, v26, v16
	v_mul_f32_e32 v16, v21, v23
	v_add_f32_e32 v27, v27, v17
	;; [unrolled: 6-line block ×3, first 2 shown]
	v_fma_f32 v22, v20, v24, -v14
	ds_read2_b64 v[14:17], v12 offset0:128 offset1:144
	v_mul_f32_e32 v20, v20, v25
	v_fmac_f32_e32 v20, v21, v24
	v_add_f32_e32 v31, v18, v22
	v_add_f32_e32 v32, v19, v20
	s_waitcnt lgkmcnt(0)
	v_mul_f32_e32 v18, v39, v15
	v_fma_f32 v18, v38, v14, -v18
	v_mul_f32_e32 v19, v38, v15
	v_fmac_f32_e32 v19, v39, v14
	v_add_f32_e32 v7, v7, v18
	v_mul_f32_e32 v18, v39, v17
	v_add_f32_e32 v33, v28, v19
	v_fma_f32 v22, v38, v16, -v18
	ds_read_b128 v[18:21], v13 offset:1056
	v_mul_f32_e32 v23, v38, v17
	v_fmac_f32_e32 v23, v39, v16
	v_add_f32_e32 v34, v26, v22
	v_add_f32_e32 v35, v27, v23
	ds_read_b128 v[22:25], v13 offset:1072
	s_waitcnt lgkmcnt(1)
	v_mul_f32_e32 v26, v19, v15
	v_fma_f32 v26, v18, v14, -v26
	v_mul_f32_e32 v15, v18, v15
	v_fmac_f32_e32 v15, v19, v14
	v_add_f32_e32 v14, v29, v26
	v_mul_f32_e32 v26, v19, v17
	v_add_f32_e32 v15, v30, v15
	v_fma_f32 v30, v18, v16, -v26
	ds_read2_b64 v[26:29], v12 offset0:160 offset1:176
	v_mul_f32_e32 v17, v18, v17
	v_fmac_f32_e32 v17, v19, v16
	v_add_f32_e32 v19, v32, v17
	v_add_f32_e32 v18, v31, v30
	s_waitcnt lgkmcnt(0)
	v_mul_f32_e32 v16, v41, v27
	v_fma_f32 v16, v40, v26, -v16
	v_mul_f32_e32 v17, v40, v27
	v_fmac_f32_e32 v17, v41, v26
	v_add_f32_e32 v7, v7, v16
	v_mul_f32_e32 v16, v41, v29
	v_add_f32_e32 v30, v33, v17
	v_fma_f32 v16, v40, v28, -v16
	v_mul_f32_e32 v17, v40, v29
	v_fmac_f32_e32 v17, v41, v28
	v_add_f32_e32 v31, v34, v16
	v_mul_f32_e32 v16, v21, v27
	v_add_f32_e32 v32, v35, v17
	;; [unrolled: 6-line block ×3, first 2 shown]
	v_fma_f32 v33, v20, v28, -v14
	ds_read2_b64 v[14:17], v12 offset0:192 offset1:208
	v_mul_f32_e32 v20, v20, v29
	v_fmac_f32_e32 v20, v21, v28
	v_add_f32_e32 v19, v19, v20
	v_add_f32_e32 v18, v18, v33
	s_waitcnt lgkmcnt(0)
	v_mul_f32_e32 v20, v43, v15
	v_fma_f32 v20, v42, v14, -v20
	v_mul_f32_e32 v21, v42, v15
	v_add_f32_e32 v7, v7, v20
	v_mul_f32_e32 v20, v43, v17
	v_fmac_f32_e32 v21, v43, v14
	v_fma_f32 v20, v42, v16, -v20
	v_add_f32_e32 v21, v30, v21
	v_mul_f32_e32 v28, v42, v17
	v_add_f32_e32 v30, v31, v20
	v_mul_f32_e32 v20, v23, v15
	v_mul_f32_e32 v15, v22, v15
	v_fmac_f32_e32 v28, v43, v16
	v_fma_f32 v20, v22, v14, -v20
	v_fmac_f32_e32 v15, v23, v14
	v_add_f32_e32 v31, v32, v28
	v_add_f32_e32 v14, v26, v20
	;; [unrolled: 1-line block ×3, first 2 shown]
	ds_read2_b64 v[26:29], v12 offset0:224 offset1:240
	v_mul_f32_e32 v20, v23, v17
	v_fma_f32 v20, v22, v16, -v20
	v_mul_f32_e32 v17, v22, v17
	v_fmac_f32_e32 v17, v23, v16
	v_add_f32_e32 v16, v18, v20
	s_waitcnt lgkmcnt(0)
	v_mul_f32_e32 v18, v45, v27
	v_fma_f32 v18, v44, v26, -v18
	v_add_f32_e32 v20, v7, v18
	v_mul_f32_e32 v7, v45, v29
	v_fma_f32 v7, v44, v28, -v7
	v_add_f32_e32 v17, v19, v17
	v_mul_f32_e32 v19, v44, v27
	v_add_f32_e32 v18, v30, v7
	v_mul_f32_e32 v7, v25, v27
	v_mul_f32_e32 v22, v24, v27
	v_fmac_f32_e32 v19, v45, v26
	v_fma_f32 v7, v24, v26, -v7
	v_fmac_f32_e32 v22, v25, v26
	v_add_f32_e32 v21, v21, v19
	v_mul_f32_e32 v19, v44, v29
	v_add_f32_e32 v14, v14, v7
	v_add_f32_e32 v15, v15, v22
	v_mul_f32_e32 v7, v25, v29
	v_mul_f32_e32 v22, v24, v29
	v_fmac_f32_e32 v19, v45, v28
	v_fma_f32 v7, v24, v28, -v7
	v_fmac_f32_e32 v22, v25, v28
	s_add_i32 s9, s9, 8
	v_add_co_u32_e32 v4, vcc, 64, v4
	v_add_f32_e32 v19, v31, v19
	v_add_f32_e32 v16, v16, v7
	;; [unrolled: 1-line block ×3, first 2 shown]
	s_cmp_ge_i32 s9, s21
	v_addc_co_u32_e32 v5, vcc, 0, v5, vcc
	s_barrier
	s_cbranch_scc1 .LBB838_12
.LBB838_3:                              ; =>This Inner Loop Header: Depth=1
	v_add_u32_e32 v7, s9, v9
	v_cmp_le_i32_e32 vcc, s21, v7
	s_or_b64 s[6:7], s[2:3], vcc
	s_and_saveexec_b64 s[18:19], s[6:7]
	s_xor_b64 s[6:7], exec, s[18:19]
; %bb.4:                                ;   in Loop: Header=BB838_3 Depth=1
	v_mov_b32_e32 v7, v6
	ds_write_b64 v10, v[6:7]
; %bb.5:                                ;   in Loop: Header=BB838_3 Depth=1
	s_andn2_saveexec_b64 s[6:7], s[6:7]
	s_cbranch_execz .LBB838_7
; %bb.6:                                ;   in Loop: Header=BB838_3 Depth=1
	flat_load_dwordx2 v[22:23], v[2:3]
	s_waitcnt vmcnt(0) lgkmcnt(0)
	ds_write_b64 v10, v[22:23]
.LBB838_7:                              ;   in Loop: Header=BB838_3 Depth=1
	s_or_b64 exec, exec, s[6:7]
	v_add_u32_e32 v7, s9, v8
	v_cmp_le_i32_e32 vcc, s21, v7
	s_or_b64 s[6:7], vcc, s[0:1]
	s_and_saveexec_b64 s[18:19], s[6:7]
	s_xor_b64 s[6:7], exec, s[18:19]
; %bb.8:                                ;   in Loop: Header=BB838_3 Depth=1
	v_mov_b32_e32 v7, v6
	ds_write_b64 v11, v[6:7]
; %bb.9:                                ;   in Loop: Header=BB838_3 Depth=1
	s_andn2_saveexec_b64 s[6:7], s[6:7]
	s_cbranch_execz .LBB838_2
; %bb.10:                               ;   in Loop: Header=BB838_3 Depth=1
	flat_load_dwordx2 v[22:23], v[4:5]
	s_waitcnt vmcnt(0) lgkmcnt(0)
	ds_write_b64 v11, v[22:23]
	s_branch .LBB838_2
.LBB838_11:
	v_mov_b32_e32 v20, 0
	v_mov_b32_e32 v21, 0
	;; [unrolled: 1-line block ×8, first 2 shown]
.LBB838_12:
	s_load_dword s6, s[4:5], 0x50
	v_add_u32_e32 v5, s14, v1
	s_waitcnt lgkmcnt(0)
	v_mov_b32_e32 v3, s11
	v_add_u32_e32 v0, s8, v0
	v_mad_i64_i32 v[1:2], s[0:1], v5, s6, 0
	v_cmp_le_i32_e64 s[0:1], v5, v0
	v_lshlrev_b64 v[1:2], 3, v[1:2]
	v_add_co_u32_e32 v4, vcc, s10, v1
	v_addc_co_u32_e32 v6, vcc, v3, v2, vcc
	v_cmp_gt_i32_e32 vcc, s20, v0
	s_and_b64 s[0:1], s[0:1], vcc
	s_and_saveexec_b64 s[2:3], s[0:1]
	s_cbranch_execz .LBB838_15
; %bb.13:
	v_ashrrev_i32_e32 v1, 31, v0
	v_lshlrev_b64 v[1:2], 3, v[0:1]
	v_mul_f32_e32 v3, s17, v21
	v_add_co_u32_e64 v1, s[0:1], v4, v1
	v_addc_co_u32_e64 v2, s[0:1], v6, v2, s[0:1]
	flat_load_dwordx2 v[7:8], v[1:2]
	v_mul_f32_e32 v9, s16, v21
	v_fma_f32 v3, v20, s16, -v3
	v_fmac_f32_e32 v9, s17, v20
	v_cmp_eq_u32_e64 s[0:1], v5, v0
	s_waitcnt vmcnt(0) lgkmcnt(0)
	v_mul_f32_e32 v10, s13, v8
	v_mul_f32_e32 v8, s12, v8
	v_fma_f32 v10, v7, s12, -v10
	v_fmac_f32_e32 v8, s13, v7
	v_add_f32_e32 v7, v3, v10
	v_add_f32_e32 v8, v9, v8
	flat_store_dwordx2 v[1:2], v[7:8]
	s_and_b64 exec, exec, s[0:1]
	s_cbranch_execz .LBB838_15
; %bb.14:
	v_mov_b32_e32 v3, 0
	flat_store_dword v[1:2], v3 offset:4
.LBB838_15:
	s_or_b64 exec, exec, s[2:3]
	v_add_u32_e32 v2, 16, v0
	v_cmp_le_i32_e64 s[2:3], v5, v2
	v_cmp_gt_i32_e64 s[0:1], s20, v2
	s_and_b64 s[2:3], s[2:3], s[0:1]
	s_and_saveexec_b64 s[4:5], s[2:3]
	s_cbranch_execz .LBB838_18
; %bb.16:
	v_ashrrev_i32_e32 v3, 31, v2
	v_lshlrev_b64 v[7:8], 3, v[2:3]
	v_mul_f32_e32 v1, s17, v19
	v_add_co_u32_e64 v3, s[2:3], v4, v7
	v_addc_co_u32_e64 v4, s[2:3], v6, v8, s[2:3]
	flat_load_dwordx2 v[6:7], v[3:4]
	v_mul_f32_e32 v8, s16, v19
	v_fma_f32 v1, v18, s16, -v1
	v_fmac_f32_e32 v8, s17, v18
	v_cmp_eq_u32_e64 s[2:3], v5, v2
	s_waitcnt vmcnt(0) lgkmcnt(0)
	v_mul_f32_e32 v9, s13, v7
	v_mul_f32_e32 v7, s12, v7
	v_fma_f32 v9, v6, s12, -v9
	v_fmac_f32_e32 v7, s13, v6
	v_add_f32_e32 v6, v1, v9
	v_add_f32_e32 v7, v8, v7
	flat_store_dwordx2 v[3:4], v[6:7]
	s_and_b64 exec, exec, s[2:3]
	s_cbranch_execz .LBB838_18
; %bb.17:
	v_mov_b32_e32 v1, 0
	flat_store_dword v[3:4], v1 offset:4
.LBB838_18:
	s_or_b64 exec, exec, s[4:5]
	v_add_u32_e32 v8, 16, v5
	v_mad_i64_i32 v[3:4], s[2:3], v8, s6, 0
	v_mov_b32_e32 v1, s11
	v_lshlrev_b64 v[3:4], 3, v[3:4]
	v_add_co_u32_e64 v6, s[2:3], s10, v3
	v_addc_co_u32_e64 v7, s[2:3], v1, v4, s[2:3]
	v_cmp_le_i32_e64 s[2:3], v8, v0
	s_and_b64 s[4:5], s[2:3], vcc
	s_and_saveexec_b64 s[2:3], s[4:5]
	s_cbranch_execz .LBB838_21
; %bb.19:
	v_ashrrev_i32_e32 v1, 31, v0
	v_lshlrev_b64 v[3:4], 3, v[0:1]
	v_mul_f32_e32 v1, s17, v15
	v_add_co_u32_e32 v3, vcc, v6, v3
	v_addc_co_u32_e32 v4, vcc, v7, v4, vcc
	flat_load_dwordx2 v[9:10], v[3:4]
	v_mul_f32_e32 v11, s16, v15
	v_fma_f32 v1, v14, s16, -v1
	v_fmac_f32_e32 v11, s17, v14
	v_cmp_eq_u32_e32 vcc, v8, v0
	s_waitcnt vmcnt(0) lgkmcnt(0)
	v_mul_f32_e32 v12, s13, v10
	v_mul_f32_e32 v10, s12, v10
	v_fma_f32 v12, v9, s12, -v12
	v_fmac_f32_e32 v10, s13, v9
	v_add_f32_e32 v9, v1, v12
	v_add_f32_e32 v10, v11, v10
	flat_store_dwordx2 v[3:4], v[9:10]
	s_and_b64 exec, exec, vcc
	s_cbranch_execz .LBB838_21
; %bb.20:
	v_mov_b32_e32 v1, 0
	flat_store_dword v[3:4], v1 offset:4
.LBB838_21:
	s_or_b64 exec, exec, s[2:3]
	v_cmp_le_i32_e32 vcc, v8, v2
	s_and_b64 s[0:1], vcc, s[0:1]
	s_and_saveexec_b64 s[2:3], s[0:1]
	s_cbranch_execz .LBB838_24
; %bb.22:
	v_ashrrev_i32_e32 v3, 31, v2
	v_lshlrev_b64 v[1:2], 3, v[2:3]
	v_add_co_u32_e32 v1, vcc, v6, v1
	v_addc_co_u32_e32 v2, vcc, v7, v2, vcc
	flat_load_dwordx2 v[3:4], v[1:2]
	v_mul_f32_e32 v6, s17, v17
	v_mul_f32_e32 v7, s16, v17
	v_fma_f32 v6, v16, s16, -v6
	v_fmac_f32_e32 v7, s17, v16
	v_cmp_eq_u32_e32 vcc, v5, v0
	s_waitcnt vmcnt(0) lgkmcnt(0)
	v_mul_f32_e32 v8, s13, v4
	v_mul_f32_e32 v4, s12, v4
	v_fma_f32 v8, v3, s12, -v8
	v_fmac_f32_e32 v4, s13, v3
	v_add_f32_e32 v3, v6, v8
	v_add_f32_e32 v4, v7, v4
	flat_store_dwordx2 v[1:2], v[3:4]
	s_and_b64 exec, exec, vcc
	s_cbranch_execz .LBB838_24
; %bb.23:
	v_mov_b32_e32 v0, 0
	flat_store_dword v[1:2], v0 offset:4
.LBB838_24:
	s_endpgm
	.section	.rodata,"a",@progbits
	.p2align	6, 0x0
	.amdhsa_kernel _ZL34rocblas_syrkx_herkx_general_kernelIi19rocblas_complex_numIfELi16ELi32ELi8ELb0ELb1ELc84ELc76EKPKS1_KPS1_EviT_T0_PT8_S7_lSA_S7_lS8_PT9_S7_li
		.amdhsa_group_segment_fixed_size 4096
		.amdhsa_private_segment_fixed_size 0
		.amdhsa_kernarg_size 100
		.amdhsa_user_sgpr_count 6
		.amdhsa_user_sgpr_private_segment_buffer 1
		.amdhsa_user_sgpr_dispatch_ptr 0
		.amdhsa_user_sgpr_queue_ptr 0
		.amdhsa_user_sgpr_kernarg_segment_ptr 1
		.amdhsa_user_sgpr_dispatch_id 0
		.amdhsa_user_sgpr_flat_scratch_init 0
		.amdhsa_user_sgpr_private_segment_size 0
		.amdhsa_uses_dynamic_stack 0
		.amdhsa_system_sgpr_private_segment_wavefront_offset 0
		.amdhsa_system_sgpr_workgroup_id_x 1
		.amdhsa_system_sgpr_workgroup_id_y 1
		.amdhsa_system_sgpr_workgroup_id_z 1
		.amdhsa_system_sgpr_workgroup_info 0
		.amdhsa_system_vgpr_workitem_id 1
		.amdhsa_next_free_vgpr 48
		.amdhsa_next_free_sgpr 23
		.amdhsa_reserve_vcc 1
		.amdhsa_reserve_flat_scratch 0
		.amdhsa_float_round_mode_32 0
		.amdhsa_float_round_mode_16_64 0
		.amdhsa_float_denorm_mode_32 3
		.amdhsa_float_denorm_mode_16_64 3
		.amdhsa_dx10_clamp 1
		.amdhsa_ieee_mode 1
		.amdhsa_fp16_overflow 0
		.amdhsa_exception_fp_ieee_invalid_op 0
		.amdhsa_exception_fp_denorm_src 0
		.amdhsa_exception_fp_ieee_div_zero 0
		.amdhsa_exception_fp_ieee_overflow 0
		.amdhsa_exception_fp_ieee_underflow 0
		.amdhsa_exception_fp_ieee_inexact 0
		.amdhsa_exception_int_div_zero 0
	.end_amdhsa_kernel
	.section	.text._ZL34rocblas_syrkx_herkx_general_kernelIi19rocblas_complex_numIfELi16ELi32ELi8ELb0ELb1ELc84ELc76EKPKS1_KPS1_EviT_T0_PT8_S7_lSA_S7_lS8_PT9_S7_li,"axG",@progbits,_ZL34rocblas_syrkx_herkx_general_kernelIi19rocblas_complex_numIfELi16ELi32ELi8ELb0ELb1ELc84ELc76EKPKS1_KPS1_EviT_T0_PT8_S7_lSA_S7_lS8_PT9_S7_li,comdat
.Lfunc_end838:
	.size	_ZL34rocblas_syrkx_herkx_general_kernelIi19rocblas_complex_numIfELi16ELi32ELi8ELb0ELb1ELc84ELc76EKPKS1_KPS1_EviT_T0_PT8_S7_lSA_S7_lS8_PT9_S7_li, .Lfunc_end838-_ZL34rocblas_syrkx_herkx_general_kernelIi19rocblas_complex_numIfELi16ELi32ELi8ELb0ELb1ELc84ELc76EKPKS1_KPS1_EviT_T0_PT8_S7_lSA_S7_lS8_PT9_S7_li
                                        ; -- End function
	.set _ZL34rocblas_syrkx_herkx_general_kernelIi19rocblas_complex_numIfELi16ELi32ELi8ELb0ELb1ELc84ELc76EKPKS1_KPS1_EviT_T0_PT8_S7_lSA_S7_lS8_PT9_S7_li.num_vgpr, 48
	.set _ZL34rocblas_syrkx_herkx_general_kernelIi19rocblas_complex_numIfELi16ELi32ELi8ELb0ELb1ELc84ELc76EKPKS1_KPS1_EviT_T0_PT8_S7_lSA_S7_lS8_PT9_S7_li.num_agpr, 0
	.set _ZL34rocblas_syrkx_herkx_general_kernelIi19rocblas_complex_numIfELi16ELi32ELi8ELb0ELb1ELc84ELc76EKPKS1_KPS1_EviT_T0_PT8_S7_lSA_S7_lS8_PT9_S7_li.numbered_sgpr, 23
	.set _ZL34rocblas_syrkx_herkx_general_kernelIi19rocblas_complex_numIfELi16ELi32ELi8ELb0ELb1ELc84ELc76EKPKS1_KPS1_EviT_T0_PT8_S7_lSA_S7_lS8_PT9_S7_li.num_named_barrier, 0
	.set _ZL34rocblas_syrkx_herkx_general_kernelIi19rocblas_complex_numIfELi16ELi32ELi8ELb0ELb1ELc84ELc76EKPKS1_KPS1_EviT_T0_PT8_S7_lSA_S7_lS8_PT9_S7_li.private_seg_size, 0
	.set _ZL34rocblas_syrkx_herkx_general_kernelIi19rocblas_complex_numIfELi16ELi32ELi8ELb0ELb1ELc84ELc76EKPKS1_KPS1_EviT_T0_PT8_S7_lSA_S7_lS8_PT9_S7_li.uses_vcc, 1
	.set _ZL34rocblas_syrkx_herkx_general_kernelIi19rocblas_complex_numIfELi16ELi32ELi8ELb0ELb1ELc84ELc76EKPKS1_KPS1_EviT_T0_PT8_S7_lSA_S7_lS8_PT9_S7_li.uses_flat_scratch, 0
	.set _ZL34rocblas_syrkx_herkx_general_kernelIi19rocblas_complex_numIfELi16ELi32ELi8ELb0ELb1ELc84ELc76EKPKS1_KPS1_EviT_T0_PT8_S7_lSA_S7_lS8_PT9_S7_li.has_dyn_sized_stack, 0
	.set _ZL34rocblas_syrkx_herkx_general_kernelIi19rocblas_complex_numIfELi16ELi32ELi8ELb0ELb1ELc84ELc76EKPKS1_KPS1_EviT_T0_PT8_S7_lSA_S7_lS8_PT9_S7_li.has_recursion, 0
	.set _ZL34rocblas_syrkx_herkx_general_kernelIi19rocblas_complex_numIfELi16ELi32ELi8ELb0ELb1ELc84ELc76EKPKS1_KPS1_EviT_T0_PT8_S7_lSA_S7_lS8_PT9_S7_li.has_indirect_call, 0
	.section	.AMDGPU.csdata,"",@progbits
; Kernel info:
; codeLenInByte = 2324
; TotalNumSgprs: 27
; NumVgprs: 48
; ScratchSize: 0
; MemoryBound: 1
; FloatMode: 240
; IeeeMode: 1
; LDSByteSize: 4096 bytes/workgroup (compile time only)
; SGPRBlocks: 3
; VGPRBlocks: 11
; NumSGPRsForWavesPerEU: 27
; NumVGPRsForWavesPerEU: 48
; Occupancy: 5
; WaveLimiterHint : 1
; COMPUTE_PGM_RSRC2:SCRATCH_EN: 0
; COMPUTE_PGM_RSRC2:USER_SGPR: 6
; COMPUTE_PGM_RSRC2:TRAP_HANDLER: 0
; COMPUTE_PGM_RSRC2:TGID_X_EN: 1
; COMPUTE_PGM_RSRC2:TGID_Y_EN: 1
; COMPUTE_PGM_RSRC2:TGID_Z_EN: 1
; COMPUTE_PGM_RSRC2:TIDIG_COMP_CNT: 1
	.section	.text._ZL34rocblas_syrkx_herkx_general_kernelIi19rocblas_complex_numIfELi16ELi32ELi8ELb0ELb1ELc67ELc76EKPKS1_KPS1_EviT_T0_PT8_S7_lSA_S7_lS8_PT9_S7_li,"axG",@progbits,_ZL34rocblas_syrkx_herkx_general_kernelIi19rocblas_complex_numIfELi16ELi32ELi8ELb0ELb1ELc67ELc76EKPKS1_KPS1_EviT_T0_PT8_S7_lSA_S7_lS8_PT9_S7_li,comdat
	.globl	_ZL34rocblas_syrkx_herkx_general_kernelIi19rocblas_complex_numIfELi16ELi32ELi8ELb0ELb1ELc67ELc76EKPKS1_KPS1_EviT_T0_PT8_S7_lSA_S7_lS8_PT9_S7_li ; -- Begin function _ZL34rocblas_syrkx_herkx_general_kernelIi19rocblas_complex_numIfELi16ELi32ELi8ELb0ELb1ELc67ELc76EKPKS1_KPS1_EviT_T0_PT8_S7_lSA_S7_lS8_PT9_S7_li
	.p2align	8
	.type	_ZL34rocblas_syrkx_herkx_general_kernelIi19rocblas_complex_numIfELi16ELi32ELi8ELb0ELb1ELc67ELc76EKPKS1_KPS1_EviT_T0_PT8_S7_lSA_S7_lS8_PT9_S7_li,@function
_ZL34rocblas_syrkx_herkx_general_kernelIi19rocblas_complex_numIfELi16ELi32ELi8ELb0ELb1ELc67ELc76EKPKS1_KPS1_EviT_T0_PT8_S7_lSA_S7_lS8_PT9_S7_li: ; @_ZL34rocblas_syrkx_herkx_general_kernelIi19rocblas_complex_numIfELi16ELi32ELi8ELb0ELb1ELc67ELc76EKPKS1_KPS1_EviT_T0_PT8_S7_lSA_S7_lS8_PT9_S7_li
; %bb.0:
	s_load_dwordx4 s[12:15], s[4:5], 0x40
	s_load_dwordx2 s[20:21], s[4:5], 0x0
	s_load_dwordx4 s[16:19], s[4:5], 0x8
	s_mov_b32 s9, 0
	s_lshl_b64 s[0:1], s[8:9], 3
	s_waitcnt lgkmcnt(0)
	s_add_u32 s2, s14, s0
	s_addc_u32 s3, s15, s1
	s_load_dwordx2 s[10:11], s[2:3], 0x0
	s_lshl_b32 s8, s6, 5
	s_lshl_b32 s14, s7, 5
	s_cmp_lt_i32 s21, 1
	s_cbranch_scc1 .LBB839_11
; %bb.1:
	s_load_dword s15, s[4:5], 0x18
	s_load_dwordx2 s[2:3], s[4:5], 0x28
	s_load_dword s22, s[4:5], 0x30
	v_lshl_add_u32 v2, v1, 4, v0
	v_and_b32_e32 v8, 7, v0
	v_lshrrev_b32_e32 v9, 5, v2
	v_lshrrev_b32_e32 v3, 3, v2
	v_and_b32_e32 v2, 31, v2
	v_or_b32_e32 v5, s8, v2
	s_waitcnt lgkmcnt(0)
	s_add_u32 s2, s2, s0
	v_lshlrev_b32_e32 v6, 3, v8
	v_add_u32_e32 v4, s14, v3
	s_addc_u32 s3, s3, s1
	v_cmp_gt_i32_e32 vcc, s20, v5
	v_lshlrev_b32_e32 v5, 3, v2
	v_lshl_or_b32 v3, v3, 6, v6
	v_add_u32_e32 v2, s8, v2
	s_load_dwordx2 s[6:7], s[2:3], 0x0
	v_add_u32_e32 v11, 0x800, v3
	v_mad_i64_i32 v[2:3], s[2:3], s15, v2, 0
	s_add_u32 s0, s18, s0
	v_lshl_or_b32 v10, v9, 8, v5
	v_mov_b32_e32 v5, 0x800
	v_lshlrev_b64 v[2:3], 3, v[2:3]
	s_addc_u32 s1, s19, s1
	v_lshl_add_u32 v13, v1, 6, v5
	v_lshlrev_b32_e32 v5, 3, v9
	s_load_dwordx2 s[18:19], s[0:1], 0x0
	v_add_co_u32_e64 v2, s[2:3], v2, v5
	v_cmp_gt_i32_e64 s[0:1], s20, v4
	v_addc_co_u32_e64 v3, s[2:3], 0, v3, s[2:3]
	v_mad_i64_i32 v[4:5], s[2:3], s22, v4, 0
	s_waitcnt lgkmcnt(0)
	v_mov_b32_e32 v7, s19
	v_add_co_u32_e64 v2, s[2:3], s18, v2
	v_lshlrev_b64 v[4:5], 3, v[4:5]
	v_addc_co_u32_e64 v3, s[2:3], v7, v3, s[2:3]
	v_add_co_u32_e64 v4, s[2:3], v4, v6
	v_addc_co_u32_e64 v5, s[2:3], 0, v5, s[2:3]
	v_mov_b32_e32 v6, s7
	v_add_co_u32_e64 v4, s[2:3], s6, v4
	v_addc_co_u32_e64 v5, s[2:3], v6, v5, s[2:3]
	v_lshlrev_b32_e32 v12, 3, v0
	s_xor_b64 s[2:3], vcc, -1
	s_xor_b64 s[0:1], s[0:1], -1
	v_mov_b32_e32 v17, 0
	v_mov_b32_e32 v16, 0
	;; [unrolled: 1-line block ×9, first 2 shown]
	s_branch .LBB839_3
.LBB839_2:                              ;   in Loop: Header=BB839_3 Depth=1
	s_or_b64 exec, exec, s[6:7]
	s_waitcnt lgkmcnt(0)
	s_barrier
	ds_read2_b64 v[22:25], v12 offset1:16
	ds_read_b128 v[26:29], v13
	ds_read_b128 v[30:33], v13 offset:16
	v_add_co_u32_e32 v2, vcc, 64, v2
	v_addc_co_u32_e32 v3, vcc, 0, v3, vcc
	s_waitcnt lgkmcnt(1)
	v_mul_f32_e32 v34, v26, v23
	v_fmac_f32_e32 v34, v27, v22
	v_add_f32_e32 v46, v21, v34
	ds_read_b128 v[34:37], v13 offset:1024
	v_mul_f32_e32 v7, v27, v23
	v_fma_f32 v7, v26, v22, -v7
	v_add_f32_e32 v7, v20, v7
	v_mul_f32_e32 v20, v27, v25
	v_mul_f32_e32 v21, v26, v25
	v_fma_f32 v20, v26, v24, -v20
	v_fmac_f32_e32 v21, v27, v24
	v_add_f32_e32 v26, v18, v20
	v_add_f32_e32 v27, v19, v21
	ds_read_b128 v[18:21], v13 offset:1040
	s_waitcnt lgkmcnt(1)
	v_mul_f32_e32 v38, v35, v23
	v_mul_f32_e32 v23, v34, v23
	v_fma_f32 v38, v34, v22, -v38
	v_fmac_f32_e32 v23, v35, v22
	v_mul_f32_e32 v22, v35, v25
	v_fma_f32 v47, v34, v24, -v22
	v_mul_f32_e32 v34, v34, v25
	v_add_f32_e32 v14, v14, v38
	v_add_f32_e32 v15, v15, v23
	v_fmac_f32_e32 v34, v35, v24
	ds_read2_b64 v[22:25], v12 offset0:32 offset1:48
	ds_read_b128 v[38:41], v13 offset:32
	ds_read_b128 v[42:45], v13 offset:48
	v_add_f32_e32 v35, v16, v47
	v_add_f32_e32 v34, v17, v34
	s_waitcnt lgkmcnt(2)
	v_mul_f32_e32 v16, v29, v23
	v_fma_f32 v16, v28, v22, -v16
	v_mul_f32_e32 v17, v28, v23
	v_fmac_f32_e32 v17, v29, v22
	v_add_f32_e32 v7, v7, v16
	v_mul_f32_e32 v16, v29, v25
	v_add_f32_e32 v46, v46, v17
	v_fma_f32 v16, v28, v24, -v16
	v_mul_f32_e32 v17, v28, v25
	v_fmac_f32_e32 v17, v29, v24
	v_add_f32_e32 v26, v26, v16
	v_mul_f32_e32 v16, v37, v23
	v_add_f32_e32 v27, v27, v17
	;; [unrolled: 6-line block ×3, first 2 shown]
	v_fma_f32 v28, v36, v24, -v14
	ds_read2_b64 v[14:17], v12 offset0:64 offset1:80
	v_mul_f32_e32 v25, v36, v25
	v_fmac_f32_e32 v25, v37, v24
	v_add_f32_e32 v29, v34, v25
	v_add_f32_e32 v28, v35, v28
	s_waitcnt lgkmcnt(0)
	v_mul_f32_e32 v24, v31, v15
	v_fma_f32 v24, v30, v14, -v24
	v_add_f32_e32 v7, v7, v24
	v_mul_f32_e32 v24, v31, v17
	v_mul_f32_e32 v25, v30, v15
	v_fma_f32 v24, v30, v16, -v24
	v_fmac_f32_e32 v25, v31, v14
	v_add_f32_e32 v26, v26, v24
	v_mul_f32_e32 v24, v19, v15
	v_add_f32_e32 v34, v46, v25
	v_mul_f32_e32 v25, v30, v17
	v_fma_f32 v24, v18, v14, -v24
	v_mul_f32_e32 v15, v18, v15
	v_fmac_f32_e32 v25, v31, v16
	v_fmac_f32_e32 v15, v19, v14
	v_add_f32_e32 v14, v22, v24
	v_mul_f32_e32 v22, v19, v17
	v_add_f32_e32 v27, v27, v25
	v_add_f32_e32 v15, v23, v15
	v_fma_f32 v30, v18, v16, -v22
	ds_read2_b64 v[22:25], v12 offset0:96 offset1:112
	v_mul_f32_e32 v17, v18, v17
	v_fmac_f32_e32 v17, v19, v16
	v_add_f32_e32 v19, v29, v17
	v_add_f32_e32 v18, v28, v30
	s_waitcnt lgkmcnt(0)
	v_mul_f32_e32 v16, v33, v23
	v_fma_f32 v16, v32, v22, -v16
	v_mul_f32_e32 v17, v32, v23
	v_fmac_f32_e32 v17, v33, v22
	v_add_f32_e32 v7, v7, v16
	v_mul_f32_e32 v16, v33, v25
	v_add_f32_e32 v28, v34, v17
	v_fma_f32 v16, v32, v24, -v16
	v_mul_f32_e32 v17, v32, v25
	v_fmac_f32_e32 v17, v33, v24
	v_add_f32_e32 v26, v26, v16
	v_mul_f32_e32 v16, v21, v23
	v_add_f32_e32 v27, v27, v17
	;; [unrolled: 6-line block ×3, first 2 shown]
	v_fma_f32 v22, v20, v24, -v14
	ds_read2_b64 v[14:17], v12 offset0:128 offset1:144
	v_mul_f32_e32 v20, v20, v25
	v_fmac_f32_e32 v20, v21, v24
	v_add_f32_e32 v31, v18, v22
	v_add_f32_e32 v32, v19, v20
	s_waitcnt lgkmcnt(0)
	v_mul_f32_e32 v18, v39, v15
	v_fma_f32 v18, v38, v14, -v18
	v_mul_f32_e32 v19, v38, v15
	v_fmac_f32_e32 v19, v39, v14
	v_add_f32_e32 v7, v7, v18
	v_mul_f32_e32 v18, v39, v17
	v_add_f32_e32 v33, v28, v19
	v_fma_f32 v22, v38, v16, -v18
	ds_read_b128 v[18:21], v13 offset:1056
	v_mul_f32_e32 v23, v38, v17
	v_fmac_f32_e32 v23, v39, v16
	v_add_f32_e32 v34, v26, v22
	v_add_f32_e32 v35, v27, v23
	ds_read_b128 v[22:25], v13 offset:1072
	s_waitcnt lgkmcnt(1)
	v_mul_f32_e32 v26, v19, v15
	v_fma_f32 v26, v18, v14, -v26
	v_mul_f32_e32 v15, v18, v15
	v_fmac_f32_e32 v15, v19, v14
	v_add_f32_e32 v14, v29, v26
	v_mul_f32_e32 v26, v19, v17
	v_add_f32_e32 v15, v30, v15
	v_fma_f32 v30, v18, v16, -v26
	ds_read2_b64 v[26:29], v12 offset0:160 offset1:176
	v_mul_f32_e32 v17, v18, v17
	v_fmac_f32_e32 v17, v19, v16
	v_add_f32_e32 v19, v32, v17
	v_add_f32_e32 v18, v31, v30
	s_waitcnt lgkmcnt(0)
	v_mul_f32_e32 v16, v41, v27
	v_fma_f32 v16, v40, v26, -v16
	v_mul_f32_e32 v17, v40, v27
	v_fmac_f32_e32 v17, v41, v26
	v_add_f32_e32 v7, v7, v16
	v_mul_f32_e32 v16, v41, v29
	v_add_f32_e32 v30, v33, v17
	v_fma_f32 v16, v40, v28, -v16
	v_mul_f32_e32 v17, v40, v29
	v_fmac_f32_e32 v17, v41, v28
	v_add_f32_e32 v31, v34, v16
	v_mul_f32_e32 v16, v21, v27
	v_add_f32_e32 v32, v35, v17
	;; [unrolled: 6-line block ×3, first 2 shown]
	v_fma_f32 v33, v20, v28, -v14
	ds_read2_b64 v[14:17], v12 offset0:192 offset1:208
	v_mul_f32_e32 v20, v20, v29
	v_fmac_f32_e32 v20, v21, v28
	v_add_f32_e32 v19, v19, v20
	v_add_f32_e32 v18, v18, v33
	s_waitcnt lgkmcnt(0)
	v_mul_f32_e32 v20, v43, v15
	v_fma_f32 v20, v42, v14, -v20
	v_mul_f32_e32 v21, v42, v15
	v_add_f32_e32 v7, v7, v20
	v_mul_f32_e32 v20, v43, v17
	v_fmac_f32_e32 v21, v43, v14
	v_fma_f32 v20, v42, v16, -v20
	v_add_f32_e32 v21, v30, v21
	v_mul_f32_e32 v28, v42, v17
	v_add_f32_e32 v30, v31, v20
	v_mul_f32_e32 v20, v23, v15
	v_mul_f32_e32 v15, v22, v15
	v_fmac_f32_e32 v28, v43, v16
	v_fma_f32 v20, v22, v14, -v20
	v_fmac_f32_e32 v15, v23, v14
	v_add_f32_e32 v31, v32, v28
	v_add_f32_e32 v14, v26, v20
	;; [unrolled: 1-line block ×3, first 2 shown]
	ds_read2_b64 v[26:29], v12 offset0:224 offset1:240
	v_mul_f32_e32 v20, v23, v17
	v_fma_f32 v20, v22, v16, -v20
	v_mul_f32_e32 v17, v22, v17
	v_fmac_f32_e32 v17, v23, v16
	v_add_f32_e32 v16, v18, v20
	s_waitcnt lgkmcnt(0)
	v_mul_f32_e32 v18, v45, v27
	v_fma_f32 v18, v44, v26, -v18
	v_add_f32_e32 v20, v7, v18
	v_mul_f32_e32 v7, v45, v29
	v_fma_f32 v7, v44, v28, -v7
	v_add_f32_e32 v17, v19, v17
	v_mul_f32_e32 v19, v44, v27
	v_add_f32_e32 v18, v30, v7
	v_mul_f32_e32 v7, v25, v27
	v_mul_f32_e32 v22, v24, v27
	v_fmac_f32_e32 v19, v45, v26
	v_fma_f32 v7, v24, v26, -v7
	v_fmac_f32_e32 v22, v25, v26
	v_add_f32_e32 v21, v21, v19
	v_mul_f32_e32 v19, v44, v29
	v_add_f32_e32 v14, v14, v7
	v_add_f32_e32 v15, v15, v22
	v_mul_f32_e32 v7, v25, v29
	v_mul_f32_e32 v22, v24, v29
	v_fmac_f32_e32 v19, v45, v28
	v_fma_f32 v7, v24, v28, -v7
	v_fmac_f32_e32 v22, v25, v28
	s_add_i32 s9, s9, 8
	v_add_co_u32_e32 v4, vcc, 64, v4
	v_add_f32_e32 v19, v31, v19
	v_add_f32_e32 v16, v16, v7
	;; [unrolled: 1-line block ×3, first 2 shown]
	s_cmp_ge_i32 s9, s21
	v_addc_co_u32_e32 v5, vcc, 0, v5, vcc
	s_barrier
	s_cbranch_scc1 .LBB839_12
.LBB839_3:                              ; =>This Inner Loop Header: Depth=1
	v_add_u32_e32 v7, s9, v9
	v_cmp_le_i32_e32 vcc, s21, v7
	s_or_b64 s[6:7], s[2:3], vcc
	s_and_saveexec_b64 s[18:19], s[6:7]
	s_xor_b64 s[6:7], exec, s[18:19]
; %bb.4:                                ;   in Loop: Header=BB839_3 Depth=1
	ds_write_b32 v10, v6
; %bb.5:                                ;   in Loop: Header=BB839_3 Depth=1
	s_or_saveexec_b64 s[6:7], s[6:7]
	v_mov_b32_e32 v7, 0
	s_xor_b64 exec, exec, s[6:7]
	s_cbranch_execz .LBB839_7
; %bb.6:                                ;   in Loop: Header=BB839_3 Depth=1
	flat_load_dwordx2 v[22:23], v[2:3]
	s_waitcnt vmcnt(0) lgkmcnt(0)
	v_xor_b32_e32 v7, 0x80000000, v23
	ds_write_b32 v10, v22
.LBB839_7:                              ;   in Loop: Header=BB839_3 Depth=1
	s_or_b64 exec, exec, s[6:7]
	ds_write_b32 v10, v7 offset:4
	v_add_u32_e32 v7, s9, v8
	v_cmp_le_i32_e32 vcc, s21, v7
	s_or_b64 s[6:7], vcc, s[0:1]
	s_and_saveexec_b64 s[18:19], s[6:7]
	s_xor_b64 s[6:7], exec, s[18:19]
; %bb.8:                                ;   in Loop: Header=BB839_3 Depth=1
	v_mov_b32_e32 v7, v6
	ds_write_b64 v11, v[6:7]
; %bb.9:                                ;   in Loop: Header=BB839_3 Depth=1
	s_andn2_saveexec_b64 s[6:7], s[6:7]
	s_cbranch_execz .LBB839_2
; %bb.10:                               ;   in Loop: Header=BB839_3 Depth=1
	flat_load_dwordx2 v[22:23], v[4:5]
	s_waitcnt vmcnt(0) lgkmcnt(0)
	ds_write_b64 v11, v[22:23]
	s_branch .LBB839_2
.LBB839_11:
	v_mov_b32_e32 v20, 0
	v_mov_b32_e32 v21, 0
	;; [unrolled: 1-line block ×8, first 2 shown]
.LBB839_12:
	s_load_dword s6, s[4:5], 0x50
	v_add_u32_e32 v5, s14, v1
	s_waitcnt lgkmcnt(0)
	v_mov_b32_e32 v3, s11
	v_add_u32_e32 v0, s8, v0
	v_mad_i64_i32 v[1:2], s[0:1], v5, s6, 0
	v_cmp_le_i32_e64 s[0:1], v5, v0
	v_lshlrev_b64 v[1:2], 3, v[1:2]
	v_add_co_u32_e32 v4, vcc, s10, v1
	v_addc_co_u32_e32 v6, vcc, v3, v2, vcc
	v_cmp_gt_i32_e32 vcc, s20, v0
	s_and_b64 s[0:1], s[0:1], vcc
	s_and_saveexec_b64 s[2:3], s[0:1]
	s_cbranch_execz .LBB839_15
; %bb.13:
	v_ashrrev_i32_e32 v1, 31, v0
	v_lshlrev_b64 v[1:2], 3, v[0:1]
	v_mul_f32_e32 v3, s17, v21
	v_add_co_u32_e64 v1, s[0:1], v4, v1
	v_addc_co_u32_e64 v2, s[0:1], v6, v2, s[0:1]
	flat_load_dwordx2 v[7:8], v[1:2]
	v_mul_f32_e32 v9, s16, v21
	v_fma_f32 v3, v20, s16, -v3
	v_fmac_f32_e32 v9, s17, v20
	v_cmp_eq_u32_e64 s[0:1], v5, v0
	s_waitcnt vmcnt(0) lgkmcnt(0)
	v_mul_f32_e32 v10, s13, v8
	v_mul_f32_e32 v8, s12, v8
	v_fma_f32 v10, v7, s12, -v10
	v_fmac_f32_e32 v8, s13, v7
	v_add_f32_e32 v7, v3, v10
	v_add_f32_e32 v8, v9, v8
	flat_store_dwordx2 v[1:2], v[7:8]
	s_and_b64 exec, exec, s[0:1]
	s_cbranch_execz .LBB839_15
; %bb.14:
	v_mov_b32_e32 v3, 0
	flat_store_dword v[1:2], v3 offset:4
.LBB839_15:
	s_or_b64 exec, exec, s[2:3]
	v_add_u32_e32 v2, 16, v0
	v_cmp_le_i32_e64 s[2:3], v5, v2
	v_cmp_gt_i32_e64 s[0:1], s20, v2
	s_and_b64 s[2:3], s[2:3], s[0:1]
	s_and_saveexec_b64 s[4:5], s[2:3]
	s_cbranch_execz .LBB839_18
; %bb.16:
	v_ashrrev_i32_e32 v3, 31, v2
	v_lshlrev_b64 v[7:8], 3, v[2:3]
	v_mul_f32_e32 v1, s17, v19
	v_add_co_u32_e64 v3, s[2:3], v4, v7
	v_addc_co_u32_e64 v4, s[2:3], v6, v8, s[2:3]
	flat_load_dwordx2 v[6:7], v[3:4]
	v_mul_f32_e32 v8, s16, v19
	v_fma_f32 v1, v18, s16, -v1
	v_fmac_f32_e32 v8, s17, v18
	v_cmp_eq_u32_e64 s[2:3], v5, v2
	s_waitcnt vmcnt(0) lgkmcnt(0)
	v_mul_f32_e32 v9, s13, v7
	v_mul_f32_e32 v7, s12, v7
	v_fma_f32 v9, v6, s12, -v9
	v_fmac_f32_e32 v7, s13, v6
	v_add_f32_e32 v6, v1, v9
	v_add_f32_e32 v7, v8, v7
	flat_store_dwordx2 v[3:4], v[6:7]
	s_and_b64 exec, exec, s[2:3]
	s_cbranch_execz .LBB839_18
; %bb.17:
	v_mov_b32_e32 v1, 0
	flat_store_dword v[3:4], v1 offset:4
.LBB839_18:
	s_or_b64 exec, exec, s[4:5]
	v_add_u32_e32 v8, 16, v5
	v_mad_i64_i32 v[3:4], s[2:3], v8, s6, 0
	v_mov_b32_e32 v1, s11
	v_lshlrev_b64 v[3:4], 3, v[3:4]
	v_add_co_u32_e64 v6, s[2:3], s10, v3
	v_addc_co_u32_e64 v7, s[2:3], v1, v4, s[2:3]
	v_cmp_le_i32_e64 s[2:3], v8, v0
	s_and_b64 s[4:5], s[2:3], vcc
	s_and_saveexec_b64 s[2:3], s[4:5]
	s_cbranch_execz .LBB839_21
; %bb.19:
	v_ashrrev_i32_e32 v1, 31, v0
	v_lshlrev_b64 v[3:4], 3, v[0:1]
	v_mul_f32_e32 v1, s17, v15
	v_add_co_u32_e32 v3, vcc, v6, v3
	v_addc_co_u32_e32 v4, vcc, v7, v4, vcc
	flat_load_dwordx2 v[9:10], v[3:4]
	v_mul_f32_e32 v11, s16, v15
	v_fma_f32 v1, v14, s16, -v1
	v_fmac_f32_e32 v11, s17, v14
	v_cmp_eq_u32_e32 vcc, v8, v0
	s_waitcnt vmcnt(0) lgkmcnt(0)
	v_mul_f32_e32 v12, s13, v10
	v_mul_f32_e32 v10, s12, v10
	v_fma_f32 v12, v9, s12, -v12
	v_fmac_f32_e32 v10, s13, v9
	v_add_f32_e32 v9, v1, v12
	v_add_f32_e32 v10, v11, v10
	flat_store_dwordx2 v[3:4], v[9:10]
	s_and_b64 exec, exec, vcc
	s_cbranch_execz .LBB839_21
; %bb.20:
	v_mov_b32_e32 v1, 0
	flat_store_dword v[3:4], v1 offset:4
.LBB839_21:
	s_or_b64 exec, exec, s[2:3]
	v_cmp_le_i32_e32 vcc, v8, v2
	s_and_b64 s[0:1], vcc, s[0:1]
	s_and_saveexec_b64 s[2:3], s[0:1]
	s_cbranch_execz .LBB839_24
; %bb.22:
	v_ashrrev_i32_e32 v3, 31, v2
	v_lshlrev_b64 v[1:2], 3, v[2:3]
	v_add_co_u32_e32 v1, vcc, v6, v1
	v_addc_co_u32_e32 v2, vcc, v7, v2, vcc
	flat_load_dwordx2 v[3:4], v[1:2]
	v_mul_f32_e32 v6, s17, v17
	v_mul_f32_e32 v7, s16, v17
	v_fma_f32 v6, v16, s16, -v6
	v_fmac_f32_e32 v7, s17, v16
	v_cmp_eq_u32_e32 vcc, v5, v0
	s_waitcnt vmcnt(0) lgkmcnt(0)
	v_mul_f32_e32 v8, s13, v4
	v_mul_f32_e32 v4, s12, v4
	v_fma_f32 v8, v3, s12, -v8
	v_fmac_f32_e32 v4, s13, v3
	v_add_f32_e32 v3, v6, v8
	v_add_f32_e32 v4, v7, v4
	flat_store_dwordx2 v[1:2], v[3:4]
	s_and_b64 exec, exec, vcc
	s_cbranch_execz .LBB839_24
; %bb.23:
	v_mov_b32_e32 v0, 0
	flat_store_dword v[1:2], v0 offset:4
.LBB839_24:
	s_endpgm
	.section	.rodata,"a",@progbits
	.p2align	6, 0x0
	.amdhsa_kernel _ZL34rocblas_syrkx_herkx_general_kernelIi19rocblas_complex_numIfELi16ELi32ELi8ELb0ELb1ELc67ELc76EKPKS1_KPS1_EviT_T0_PT8_S7_lSA_S7_lS8_PT9_S7_li
		.amdhsa_group_segment_fixed_size 4096
		.amdhsa_private_segment_fixed_size 0
		.amdhsa_kernarg_size 100
		.amdhsa_user_sgpr_count 6
		.amdhsa_user_sgpr_private_segment_buffer 1
		.amdhsa_user_sgpr_dispatch_ptr 0
		.amdhsa_user_sgpr_queue_ptr 0
		.amdhsa_user_sgpr_kernarg_segment_ptr 1
		.amdhsa_user_sgpr_dispatch_id 0
		.amdhsa_user_sgpr_flat_scratch_init 0
		.amdhsa_user_sgpr_private_segment_size 0
		.amdhsa_uses_dynamic_stack 0
		.amdhsa_system_sgpr_private_segment_wavefront_offset 0
		.amdhsa_system_sgpr_workgroup_id_x 1
		.amdhsa_system_sgpr_workgroup_id_y 1
		.amdhsa_system_sgpr_workgroup_id_z 1
		.amdhsa_system_sgpr_workgroup_info 0
		.amdhsa_system_vgpr_workitem_id 1
		.amdhsa_next_free_vgpr 48
		.amdhsa_next_free_sgpr 23
		.amdhsa_reserve_vcc 1
		.amdhsa_reserve_flat_scratch 0
		.amdhsa_float_round_mode_32 0
		.amdhsa_float_round_mode_16_64 0
		.amdhsa_float_denorm_mode_32 3
		.amdhsa_float_denorm_mode_16_64 3
		.amdhsa_dx10_clamp 1
		.amdhsa_ieee_mode 1
		.amdhsa_fp16_overflow 0
		.amdhsa_exception_fp_ieee_invalid_op 0
		.amdhsa_exception_fp_denorm_src 0
		.amdhsa_exception_fp_ieee_div_zero 0
		.amdhsa_exception_fp_ieee_overflow 0
		.amdhsa_exception_fp_ieee_underflow 0
		.amdhsa_exception_fp_ieee_inexact 0
		.amdhsa_exception_int_div_zero 0
	.end_amdhsa_kernel
	.section	.text._ZL34rocblas_syrkx_herkx_general_kernelIi19rocblas_complex_numIfELi16ELi32ELi8ELb0ELb1ELc67ELc76EKPKS1_KPS1_EviT_T0_PT8_S7_lSA_S7_lS8_PT9_S7_li,"axG",@progbits,_ZL34rocblas_syrkx_herkx_general_kernelIi19rocblas_complex_numIfELi16ELi32ELi8ELb0ELb1ELc67ELc76EKPKS1_KPS1_EviT_T0_PT8_S7_lSA_S7_lS8_PT9_S7_li,comdat
.Lfunc_end839:
	.size	_ZL34rocblas_syrkx_herkx_general_kernelIi19rocblas_complex_numIfELi16ELi32ELi8ELb0ELb1ELc67ELc76EKPKS1_KPS1_EviT_T0_PT8_S7_lSA_S7_lS8_PT9_S7_li, .Lfunc_end839-_ZL34rocblas_syrkx_herkx_general_kernelIi19rocblas_complex_numIfELi16ELi32ELi8ELb0ELb1ELc67ELc76EKPKS1_KPS1_EviT_T0_PT8_S7_lSA_S7_lS8_PT9_S7_li
                                        ; -- End function
	.set _ZL34rocblas_syrkx_herkx_general_kernelIi19rocblas_complex_numIfELi16ELi32ELi8ELb0ELb1ELc67ELc76EKPKS1_KPS1_EviT_T0_PT8_S7_lSA_S7_lS8_PT9_S7_li.num_vgpr, 48
	.set _ZL34rocblas_syrkx_herkx_general_kernelIi19rocblas_complex_numIfELi16ELi32ELi8ELb0ELb1ELc67ELc76EKPKS1_KPS1_EviT_T0_PT8_S7_lSA_S7_lS8_PT9_S7_li.num_agpr, 0
	.set _ZL34rocblas_syrkx_herkx_general_kernelIi19rocblas_complex_numIfELi16ELi32ELi8ELb0ELb1ELc67ELc76EKPKS1_KPS1_EviT_T0_PT8_S7_lSA_S7_lS8_PT9_S7_li.numbered_sgpr, 23
	.set _ZL34rocblas_syrkx_herkx_general_kernelIi19rocblas_complex_numIfELi16ELi32ELi8ELb0ELb1ELc67ELc76EKPKS1_KPS1_EviT_T0_PT8_S7_lSA_S7_lS8_PT9_S7_li.num_named_barrier, 0
	.set _ZL34rocblas_syrkx_herkx_general_kernelIi19rocblas_complex_numIfELi16ELi32ELi8ELb0ELb1ELc67ELc76EKPKS1_KPS1_EviT_T0_PT8_S7_lSA_S7_lS8_PT9_S7_li.private_seg_size, 0
	.set _ZL34rocblas_syrkx_herkx_general_kernelIi19rocblas_complex_numIfELi16ELi32ELi8ELb0ELb1ELc67ELc76EKPKS1_KPS1_EviT_T0_PT8_S7_lSA_S7_lS8_PT9_S7_li.uses_vcc, 1
	.set _ZL34rocblas_syrkx_herkx_general_kernelIi19rocblas_complex_numIfELi16ELi32ELi8ELb0ELb1ELc67ELc76EKPKS1_KPS1_EviT_T0_PT8_S7_lSA_S7_lS8_PT9_S7_li.uses_flat_scratch, 0
	.set _ZL34rocblas_syrkx_herkx_general_kernelIi19rocblas_complex_numIfELi16ELi32ELi8ELb0ELb1ELc67ELc76EKPKS1_KPS1_EviT_T0_PT8_S7_lSA_S7_lS8_PT9_S7_li.has_dyn_sized_stack, 0
	.set _ZL34rocblas_syrkx_herkx_general_kernelIi19rocblas_complex_numIfELi16ELi32ELi8ELb0ELb1ELc67ELc76EKPKS1_KPS1_EviT_T0_PT8_S7_lSA_S7_lS8_PT9_S7_li.has_recursion, 0
	.set _ZL34rocblas_syrkx_herkx_general_kernelIi19rocblas_complex_numIfELi16ELi32ELi8ELb0ELb1ELc67ELc76EKPKS1_KPS1_EviT_T0_PT8_S7_lSA_S7_lS8_PT9_S7_li.has_indirect_call, 0
	.section	.AMDGPU.csdata,"",@progbits
; Kernel info:
; codeLenInByte = 2344
; TotalNumSgprs: 27
; NumVgprs: 48
; ScratchSize: 0
; MemoryBound: 1
; FloatMode: 240
; IeeeMode: 1
; LDSByteSize: 4096 bytes/workgroup (compile time only)
; SGPRBlocks: 3
; VGPRBlocks: 11
; NumSGPRsForWavesPerEU: 27
; NumVGPRsForWavesPerEU: 48
; Occupancy: 5
; WaveLimiterHint : 1
; COMPUTE_PGM_RSRC2:SCRATCH_EN: 0
; COMPUTE_PGM_RSRC2:USER_SGPR: 6
; COMPUTE_PGM_RSRC2:TRAP_HANDLER: 0
; COMPUTE_PGM_RSRC2:TGID_X_EN: 1
; COMPUTE_PGM_RSRC2:TGID_Y_EN: 1
; COMPUTE_PGM_RSRC2:TGID_Z_EN: 1
; COMPUTE_PGM_RSRC2:TIDIG_COMP_CNT: 1
	.section	.text._ZL34rocblas_syrkx_herkx_general_kernelIi19rocblas_complex_numIfELi16ELi32ELi8ELb0ELb1ELc78ELc76EKPKS1_KPS1_EviT_T0_PT8_S7_lSA_S7_lS8_PT9_S7_li,"axG",@progbits,_ZL34rocblas_syrkx_herkx_general_kernelIi19rocblas_complex_numIfELi16ELi32ELi8ELb0ELb1ELc78ELc76EKPKS1_KPS1_EviT_T0_PT8_S7_lSA_S7_lS8_PT9_S7_li,comdat
	.globl	_ZL34rocblas_syrkx_herkx_general_kernelIi19rocblas_complex_numIfELi16ELi32ELi8ELb0ELb1ELc78ELc76EKPKS1_KPS1_EviT_T0_PT8_S7_lSA_S7_lS8_PT9_S7_li ; -- Begin function _ZL34rocblas_syrkx_herkx_general_kernelIi19rocblas_complex_numIfELi16ELi32ELi8ELb0ELb1ELc78ELc76EKPKS1_KPS1_EviT_T0_PT8_S7_lSA_S7_lS8_PT9_S7_li
	.p2align	8
	.type	_ZL34rocblas_syrkx_herkx_general_kernelIi19rocblas_complex_numIfELi16ELi32ELi8ELb0ELb1ELc78ELc76EKPKS1_KPS1_EviT_T0_PT8_S7_lSA_S7_lS8_PT9_S7_li,@function
_ZL34rocblas_syrkx_herkx_general_kernelIi19rocblas_complex_numIfELi16ELi32ELi8ELb0ELb1ELc78ELc76EKPKS1_KPS1_EviT_T0_PT8_S7_lSA_S7_lS8_PT9_S7_li: ; @_ZL34rocblas_syrkx_herkx_general_kernelIi19rocblas_complex_numIfELi16ELi32ELi8ELb0ELb1ELc78ELc76EKPKS1_KPS1_EviT_T0_PT8_S7_lSA_S7_lS8_PT9_S7_li
; %bb.0:
	s_load_dwordx4 s[12:15], s[4:5], 0x40
	s_load_dwordx2 s[20:21], s[4:5], 0x0
	s_load_dwordx4 s[16:19], s[4:5], 0x8
	s_mov_b32 s9, 0
	s_lshl_b64 s[0:1], s[8:9], 3
	s_waitcnt lgkmcnt(0)
	s_add_u32 s2, s14, s0
	s_addc_u32 s3, s15, s1
	s_load_dwordx2 s[10:11], s[2:3], 0x0
	s_lshl_b32 s8, s6, 5
	s_lshl_b32 s22, s7, 5
	s_cmp_lt_i32 s21, 1
	s_cbranch_scc1 .LBB840_11
; %bb.1:
	s_load_dword s6, s[4:5], 0x18
	s_load_dword s14, s[4:5], 0x30
	s_load_dwordx2 s[2:3], s[4:5], 0x28
	v_lshl_add_u32 v2, v1, 4, v0
	v_and_b32_e32 v6, 31, v2
	v_lshrrev_b32_e32 v9, 5, v2
	v_lshrrev_b32_e32 v3, 3, v2
	v_or_b32_e32 v2, s8, v6
	s_waitcnt lgkmcnt(0)
	s_ashr_i32 s7, s6, 31
	s_ashr_i32 s15, s14, 31
	v_and_b32_e32 v8, 7, v0
	v_cmp_gt_i32_e32 vcc, s20, v2
	v_lshlrev_b32_e32 v2, 3, v6
	s_add_u32 s2, s2, s0
	v_lshl_or_b32 v10, v9, 8, v2
	v_lshlrev_b32_e32 v2, 3, v8
	s_addc_u32 s3, s3, s1
	v_lshl_or_b32 v2, v3, 6, v2
	v_add_u32_e32 v4, s22, v3
	s_load_dwordx2 s[24:25], s[2:3], 0x0
	v_add_u32_e32 v11, 0x800, v2
	v_mad_i64_i32 v[2:3], s[2:3], v9, s6, 0
	v_mov_b32_e32 v7, 0x800
	v_add_u32_e32 v6, s8, v6
	v_lshl_add_u32 v13, v1, 6, v7
	v_ashrrev_i32_e32 v7, 31, v6
	s_add_u32 s0, s18, s0
	v_lshlrev_b64 v[2:3], 3, v[2:3]
	v_lshlrev_b64 v[6:7], 3, v[6:7]
	s_addc_u32 s1, s19, s1
	s_load_dwordx2 s[18:19], s[0:1], 0x0
	v_add_co_u32_e64 v2, s[2:3], v2, v6
	v_addc_co_u32_e64 v3, s[2:3], v3, v7, s[2:3]
	v_mad_i64_i32 v[6:7], s[2:3], s14, v8, 0
	v_ashrrev_i32_e32 v5, 31, v4
	v_cmp_gt_i32_e64 s[0:1], s20, v4
	s_waitcnt lgkmcnt(0)
	v_mov_b32_e32 v14, s19
	v_add_co_u32_e64 v2, s[2:3], s18, v2
	v_lshlrev_b64 v[6:7], 3, v[6:7]
	v_lshlrev_b64 v[4:5], 3, v[4:5]
	v_addc_co_u32_e64 v3, s[2:3], v14, v3, s[2:3]
	v_add_co_u32_e64 v4, s[2:3], v6, v4
	v_addc_co_u32_e64 v5, s[2:3], v7, v5, s[2:3]
	v_mov_b32_e32 v6, s25
	v_add_co_u32_e64 v4, s[2:3], s24, v4
	v_addc_co_u32_e64 v5, s[2:3], v6, v5, s[2:3]
	s_lshl_b64 s[6:7], s[6:7], 6
	s_lshl_b64 s[2:3], s[14:15], 6
	v_lshlrev_b32_e32 v12, 3, v0
	s_xor_b64 s[14:15], vcc, -1
	s_xor_b64 s[0:1], s[0:1], -1
	v_mov_b32_e32 v14, s7
	v_mov_b32_e32 v15, s3
	;; [unrolled: 1-line block ×11, first 2 shown]
	s_branch .LBB840_3
.LBB840_2:                              ;   in Loop: Header=BB840_3 Depth=1
	s_or_b64 exec, exec, s[18:19]
	ds_write_b32 v11, v7 offset:4
	s_waitcnt lgkmcnt(0)
	s_barrier
	ds_read2_b64 v[24:27], v12 offset1:16
	ds_read_b128 v[28:31], v13
	ds_read_b128 v[32:35], v13 offset:16
	ds_read2_b64 v[40:43], v12 offset0:32 offset1:48
	v_add_co_u32_e32 v2, vcc, s6, v2
	s_waitcnt lgkmcnt(2)
	v_mul_f32_e32 v36, v28, v25
	v_fmac_f32_e32 v36, v29, v24
	v_add_f32_e32 v44, v22, v36
	ds_read_b128 v[36:39], v13 offset:1024
	v_mul_f32_e32 v7, v29, v25
	v_fma_f32 v7, v28, v24, -v7
	v_add_f32_e32 v7, v20, v7
	v_mul_f32_e32 v20, v29, v27
	v_mul_f32_e32 v22, v28, v27
	v_fma_f32 v20, v28, v26, -v20
	v_fmac_f32_e32 v22, v29, v26
	v_add_f32_e32 v45, v21, v20
	v_add_f32_e32 v46, v23, v22
	ds_read_b128 v[20:23], v13 offset:1040
	s_waitcnt lgkmcnt(1)
	v_mul_f32_e32 v28, v37, v25
	v_fma_f32 v28, v36, v24, -v28
	v_mul_f32_e32 v47, v36, v25
	v_add_f32_e32 v48, v18, v28
	v_mul_f32_e32 v18, v37, v27
	v_fmac_f32_e32 v47, v37, v24
	v_fma_f32 v18, v36, v26, -v18
	v_mul_f32_e32 v36, v36, v27
	v_mul_f32_e32 v24, v31, v41
	v_fmac_f32_e32 v36, v37, v26
	v_fma_f32 v37, v30, v40, -v24
	v_mul_f32_e32 v24, v31, v43
	v_fma_f32 v50, v30, v42, -v24
	v_mul_f32_e32 v24, v39, v41
	v_mul_f32_e32 v49, v30, v41
	v_fma_f32 v52, v38, v40, -v24
	v_mul_f32_e32 v41, v38, v41
	v_mul_f32_e32 v24, v39, v43
	v_fmac_f32_e32 v49, v31, v40
	v_mul_f32_e32 v51, v30, v43
	v_fmac_f32_e32 v41, v39, v40
	v_fma_f32 v40, v38, v42, -v24
	v_mul_f32_e32 v38, v38, v43
	v_fmac_f32_e32 v51, v31, v42
	v_fmac_f32_e32 v38, v39, v42
	ds_read_b128 v[24:27], v13 offset:32
	ds_read_b128 v[28:31], v13 offset:48
	v_add_f32_e32 v39, v16, v47
	v_add_f32_e32 v42, v17, v18
	;; [unrolled: 1-line block ×3, first 2 shown]
	ds_read2_b64 v[16:19], v12 offset0:64 offset1:80
	v_add_f32_e32 v39, v39, v41
	v_add_f32_e32 v41, v36, v38
	;; [unrolled: 1-line block ×4, first 2 shown]
	s_waitcnt lgkmcnt(0)
	v_mul_f32_e32 v36, v33, v17
	v_fma_f32 v36, v32, v16, -v36
	v_add_f32_e32 v7, v7, v36
	v_mul_f32_e32 v36, v33, v19
	v_mul_f32_e32 v38, v32, v17
	v_fma_f32 v36, v32, v18, -v36
	v_mul_f32_e32 v32, v32, v19
	v_fmac_f32_e32 v38, v33, v16
	v_fmac_f32_e32 v32, v33, v18
	v_add_f32_e32 v33, v43, v36
	v_mul_f32_e32 v36, v21, v17
	v_add_f32_e32 v45, v48, v52
	v_fma_f32 v36, v20, v16, -v36
	v_mul_f32_e32 v17, v20, v17
	v_add_f32_e32 v37, v44, v49
	v_fmac_f32_e32 v17, v21, v16
	v_add_f32_e32 v16, v45, v36
	v_mul_f32_e32 v36, v21, v19
	v_add_f32_e32 v40, v42, v40
	v_add_f32_e32 v42, v37, v38
	;; [unrolled: 1-line block ×3, first 2 shown]
	v_fma_f32 v43, v20, v18, -v36
	ds_read2_b64 v[36:39], v12 offset0:96 offset1:112
	v_mul_f32_e32 v19, v20, v19
	v_fmac_f32_e32 v19, v21, v18
	v_add_f32_e32 v21, v41, v19
	v_add_f32_e32 v44, v46, v51
	s_waitcnt lgkmcnt(0)
	v_mul_f32_e32 v18, v35, v37
	v_fma_f32 v18, v34, v36, -v18
	v_mul_f32_e32 v19, v34, v37
	v_fmac_f32_e32 v19, v35, v36
	v_add_f32_e32 v7, v7, v18
	v_mul_f32_e32 v18, v35, v39
	v_add_f32_e32 v20, v40, v43
	v_add_f32_e32 v40, v42, v19
	v_fma_f32 v18, v34, v38, -v18
	v_mul_f32_e32 v19, v34, v39
	v_add_f32_e32 v32, v44, v32
	v_fmac_f32_e32 v19, v35, v38
	v_add_f32_e32 v33, v33, v18
	v_mul_f32_e32 v18, v23, v37
	v_add_f32_e32 v32, v32, v19
	v_fma_f32 v18, v22, v36, -v18
	v_mul_f32_e32 v19, v22, v37
	v_fmac_f32_e32 v19, v23, v36
	v_add_f32_e32 v36, v16, v18
	v_mul_f32_e32 v16, v23, v39
	v_add_f32_e32 v37, v17, v19
	v_fma_f32 v34, v22, v38, -v16
	ds_read2_b64 v[16:19], v12 offset0:128 offset1:144
	v_mul_f32_e32 v22, v22, v39
	v_fmac_f32_e32 v22, v23, v38
	v_add_f32_e32 v41, v20, v34
	v_add_f32_e32 v42, v21, v22
	s_waitcnt lgkmcnt(0)
	v_mul_f32_e32 v20, v25, v17
	v_fma_f32 v20, v24, v16, -v20
	v_mul_f32_e32 v21, v24, v17
	v_fmac_f32_e32 v21, v25, v16
	v_add_f32_e32 v7, v7, v20
	v_mul_f32_e32 v20, v25, v19
	v_add_f32_e32 v40, v40, v21
	v_fma_f32 v34, v24, v18, -v20
	ds_read_b128 v[20:23], v13 offset:1056
	v_mul_f32_e32 v24, v24, v19
	v_fmac_f32_e32 v24, v25, v18
	v_add_f32_e32 v25, v33, v34
	v_add_f32_e32 v24, v32, v24
	ds_read_b128 v[32:35], v13 offset:1072
	s_waitcnt lgkmcnt(1)
	v_mul_f32_e32 v38, v21, v17
	v_fma_f32 v38, v20, v16, -v38
	v_mul_f32_e32 v17, v20, v17
	v_fmac_f32_e32 v17, v21, v16
	v_add_f32_e32 v16, v36, v38
	v_mul_f32_e32 v36, v21, v19
	v_add_f32_e32 v17, v37, v17
	v_fma_f32 v43, v20, v18, -v36
	ds_read2_b64 v[36:39], v12 offset0:160 offset1:176
	v_mul_f32_e32 v19, v20, v19
	v_fmac_f32_e32 v19, v21, v18
	v_add_f32_e32 v21, v42, v19
	v_add_f32_e32 v20, v41, v43
	s_waitcnt lgkmcnt(0)
	v_mul_f32_e32 v18, v27, v37
	v_fma_f32 v18, v26, v36, -v18
	v_mul_f32_e32 v19, v26, v37
	v_fmac_f32_e32 v19, v27, v36
	v_add_f32_e32 v7, v7, v18
	v_mul_f32_e32 v18, v27, v39
	v_add_f32_e32 v40, v40, v19
	v_fma_f32 v18, v26, v38, -v18
	v_mul_f32_e32 v19, v26, v39
	v_fmac_f32_e32 v19, v27, v38
	v_add_f32_e32 v25, v25, v18
	v_mul_f32_e32 v18, v23, v37
	v_add_f32_e32 v24, v24, v19
	;; [unrolled: 6-line block ×3, first 2 shown]
	v_fma_f32 v36, v22, v38, -v16
	ds_read2_b64 v[16:19], v12 offset0:192 offset1:208
	v_mul_f32_e32 v22, v22, v39
	v_fmac_f32_e32 v22, v23, v38
	v_add_f32_e32 v21, v21, v22
	v_add_f32_e32 v20, v20, v36
	s_waitcnt lgkmcnt(0)
	v_mul_f32_e32 v22, v29, v17
	v_mul_f32_e32 v23, v28, v17
	v_fma_f32 v22, v28, v16, -v22
	v_fmac_f32_e32 v23, v29, v16
	v_add_f32_e32 v7, v7, v22
	v_add_f32_e32 v22, v40, v23
	v_mul_f32_e32 v23, v29, v19
	v_fma_f32 v23, v28, v18, -v23
	v_mul_f32_e32 v28, v28, v19
	v_fmac_f32_e32 v28, v29, v18
	v_add_f32_e32 v28, v24, v28
	v_mul_f32_e32 v24, v33, v17
	v_fma_f32 v24, v32, v16, -v24
	v_mul_f32_e32 v17, v32, v17
	v_fmac_f32_e32 v17, v33, v16
	v_add_f32_e32 v16, v26, v24
	v_mul_f32_e32 v24, v33, v19
	v_add_f32_e32 v23, v25, v23
	v_add_f32_e32 v17, v27, v17
	v_fma_f32 v29, v32, v18, -v24
	ds_read2_b64 v[24:27], v12 offset0:224 offset1:240
	v_mul_f32_e32 v19, v32, v19
	v_fmac_f32_e32 v19, v33, v18
	v_add_f32_e32 v29, v20, v29
	v_add_f32_e32 v19, v21, v19
	s_waitcnt lgkmcnt(0)
	v_mul_f32_e32 v18, v31, v25
	v_fma_f32 v18, v30, v24, -v18
	v_mul_f32_e32 v21, v30, v25
	v_add_f32_e32 v20, v7, v18
	v_mul_f32_e32 v7, v31, v27
	v_fmac_f32_e32 v21, v31, v24
	v_fma_f32 v7, v30, v26, -v7
	v_add_f32_e32 v22, v22, v21
	v_mul_f32_e32 v18, v30, v27
	v_add_f32_e32 v21, v23, v7
	v_mul_f32_e32 v7, v35, v25
	v_fmac_f32_e32 v18, v31, v26
	v_fma_f32 v7, v34, v24, -v7
	v_mul_f32_e32 v25, v34, v25
	v_add_f32_e32 v23, v28, v18
	v_fmac_f32_e32 v25, v35, v24
	v_add_f32_e32 v18, v16, v7
	v_mul_f32_e32 v7, v35, v27
	v_mul_f32_e32 v24, v34, v27
	v_addc_co_u32_e32 v3, vcc, v3, v14, vcc
	v_fma_f32 v7, v34, v26, -v7
	v_fmac_f32_e32 v24, v35, v26
	s_add_i32 s9, s9, 8
	v_add_co_u32_e32 v4, vcc, s2, v4
	v_add_f32_e32 v16, v17, v25
	v_add_f32_e32 v17, v29, v7
	;; [unrolled: 1-line block ×3, first 2 shown]
	s_cmp_ge_i32 s9, s21
	v_addc_co_u32_e32 v5, vcc, v5, v15, vcc
	s_barrier
	s_cbranch_scc1 .LBB840_12
.LBB840_3:                              ; =>This Inner Loop Header: Depth=1
	v_add_u32_e32 v7, s9, v9
	v_cmp_le_i32_e32 vcc, s21, v7
	s_or_b64 s[18:19], s[14:15], vcc
	s_and_saveexec_b64 s[24:25], s[18:19]
	s_xor_b64 s[18:19], exec, s[24:25]
; %bb.4:                                ;   in Loop: Header=BB840_3 Depth=1
	v_mov_b32_e32 v7, v6
	ds_write_b64 v10, v[6:7]
; %bb.5:                                ;   in Loop: Header=BB840_3 Depth=1
	s_andn2_saveexec_b64 s[18:19], s[18:19]
	s_cbranch_execz .LBB840_7
; %bb.6:                                ;   in Loop: Header=BB840_3 Depth=1
	flat_load_dwordx2 v[24:25], v[2:3]
	s_waitcnt vmcnt(0) lgkmcnt(0)
	ds_write_b64 v10, v[24:25]
.LBB840_7:                              ;   in Loop: Header=BB840_3 Depth=1
	s_or_b64 exec, exec, s[18:19]
	v_add_u32_e32 v7, s9, v8
	v_cmp_le_i32_e32 vcc, s21, v7
	s_or_b64 s[18:19], vcc, s[0:1]
	s_and_saveexec_b64 s[24:25], s[18:19]
	s_xor_b64 s[18:19], exec, s[24:25]
; %bb.8:                                ;   in Loop: Header=BB840_3 Depth=1
	ds_write_b32 v11, v6
; %bb.9:                                ;   in Loop: Header=BB840_3 Depth=1
	s_or_saveexec_b64 s[18:19], s[18:19]
	v_mov_b32_e32 v7, 0
	s_xor_b64 exec, exec, s[18:19]
	s_cbranch_execz .LBB840_2
; %bb.10:                               ;   in Loop: Header=BB840_3 Depth=1
	flat_load_dwordx2 v[24:25], v[4:5]
	s_waitcnt vmcnt(0) lgkmcnt(0)
	v_xor_b32_e32 v7, 0x80000000, v25
	ds_write_b32 v11, v24
	s_branch .LBB840_2
.LBB840_11:
	v_mov_b32_e32 v20, 0
	v_mov_b32_e32 v22, 0
	;; [unrolled: 1-line block ×8, first 2 shown]
.LBB840_12:
	s_load_dword s6, s[4:5], 0x50
	v_add_u32_e32 v5, s22, v1
	s_waitcnt lgkmcnt(0)
	v_mov_b32_e32 v3, s11
	v_add_u32_e32 v0, s8, v0
	v_mad_i64_i32 v[1:2], s[0:1], v5, s6, 0
	v_cmp_le_i32_e64 s[0:1], v5, v0
	v_lshlrev_b64 v[1:2], 3, v[1:2]
	v_add_co_u32_e32 v4, vcc, s10, v1
	v_addc_co_u32_e32 v6, vcc, v3, v2, vcc
	v_cmp_gt_i32_e32 vcc, s20, v0
	s_and_b64 s[0:1], s[0:1], vcc
	s_and_saveexec_b64 s[2:3], s[0:1]
	s_cbranch_execz .LBB840_15
; %bb.13:
	v_ashrrev_i32_e32 v1, 31, v0
	v_lshlrev_b64 v[1:2], 3, v[0:1]
	v_mul_f32_e32 v3, s17, v22
	v_add_co_u32_e64 v1, s[0:1], v4, v1
	v_addc_co_u32_e64 v2, s[0:1], v6, v2, s[0:1]
	flat_load_dwordx2 v[7:8], v[1:2]
	v_mul_f32_e32 v9, s16, v22
	v_fma_f32 v3, v20, s16, -v3
	v_fmac_f32_e32 v9, s17, v20
	v_cmp_eq_u32_e64 s[0:1], v5, v0
	s_waitcnt vmcnt(0) lgkmcnt(0)
	v_mul_f32_e32 v10, s13, v8
	v_mul_f32_e32 v8, s12, v8
	v_fma_f32 v10, v7, s12, -v10
	v_fmac_f32_e32 v8, s13, v7
	v_add_f32_e32 v7, v3, v10
	v_add_f32_e32 v8, v9, v8
	flat_store_dwordx2 v[1:2], v[7:8]
	s_and_b64 exec, exec, s[0:1]
	s_cbranch_execz .LBB840_15
; %bb.14:
	v_mov_b32_e32 v3, 0
	flat_store_dword v[1:2], v3 offset:4
.LBB840_15:
	s_or_b64 exec, exec, s[2:3]
	v_add_u32_e32 v2, 16, v0
	v_cmp_le_i32_e64 s[2:3], v5, v2
	v_cmp_gt_i32_e64 s[0:1], s20, v2
	s_and_b64 s[2:3], s[2:3], s[0:1]
	s_and_saveexec_b64 s[4:5], s[2:3]
	s_cbranch_execz .LBB840_18
; %bb.16:
	v_ashrrev_i32_e32 v3, 31, v2
	v_lshlrev_b64 v[7:8], 3, v[2:3]
	v_mul_f32_e32 v1, s17, v23
	v_add_co_u32_e64 v3, s[2:3], v4, v7
	v_addc_co_u32_e64 v4, s[2:3], v6, v8, s[2:3]
	flat_load_dwordx2 v[6:7], v[3:4]
	v_mul_f32_e32 v8, s16, v23
	v_fma_f32 v1, v21, s16, -v1
	v_fmac_f32_e32 v8, s17, v21
	v_cmp_eq_u32_e64 s[2:3], v5, v2
	s_waitcnt vmcnt(0) lgkmcnt(0)
	v_mul_f32_e32 v9, s13, v7
	v_mul_f32_e32 v7, s12, v7
	v_fma_f32 v9, v6, s12, -v9
	v_fmac_f32_e32 v7, s13, v6
	v_add_f32_e32 v6, v1, v9
	v_add_f32_e32 v7, v8, v7
	flat_store_dwordx2 v[3:4], v[6:7]
	s_and_b64 exec, exec, s[2:3]
	s_cbranch_execz .LBB840_18
; %bb.17:
	v_mov_b32_e32 v1, 0
	flat_store_dword v[3:4], v1 offset:4
.LBB840_18:
	s_or_b64 exec, exec, s[4:5]
	v_add_u32_e32 v8, 16, v5
	v_mad_i64_i32 v[3:4], s[2:3], v8, s6, 0
	v_mov_b32_e32 v1, s11
	v_lshlrev_b64 v[3:4], 3, v[3:4]
	v_add_co_u32_e64 v6, s[2:3], s10, v3
	v_addc_co_u32_e64 v7, s[2:3], v1, v4, s[2:3]
	v_cmp_le_i32_e64 s[2:3], v8, v0
	s_and_b64 s[4:5], s[2:3], vcc
	s_and_saveexec_b64 s[2:3], s[4:5]
	s_cbranch_execz .LBB840_21
; %bb.19:
	v_ashrrev_i32_e32 v1, 31, v0
	v_lshlrev_b64 v[3:4], 3, v[0:1]
	v_mul_f32_e32 v1, s17, v16
	v_add_co_u32_e32 v3, vcc, v6, v3
	v_addc_co_u32_e32 v4, vcc, v7, v4, vcc
	flat_load_dwordx2 v[9:10], v[3:4]
	v_mul_f32_e32 v11, s16, v16
	v_fma_f32 v1, v18, s16, -v1
	v_fmac_f32_e32 v11, s17, v18
	v_cmp_eq_u32_e32 vcc, v8, v0
	s_waitcnt vmcnt(0) lgkmcnt(0)
	v_mul_f32_e32 v12, s13, v10
	v_mul_f32_e32 v10, s12, v10
	v_fma_f32 v12, v9, s12, -v12
	v_fmac_f32_e32 v10, s13, v9
	v_add_f32_e32 v9, v1, v12
	v_add_f32_e32 v10, v11, v10
	flat_store_dwordx2 v[3:4], v[9:10]
	s_and_b64 exec, exec, vcc
	s_cbranch_execz .LBB840_21
; %bb.20:
	v_mov_b32_e32 v1, 0
	flat_store_dword v[3:4], v1 offset:4
.LBB840_21:
	s_or_b64 exec, exec, s[2:3]
	v_cmp_le_i32_e32 vcc, v8, v2
	s_and_b64 s[0:1], vcc, s[0:1]
	s_and_saveexec_b64 s[2:3], s[0:1]
	s_cbranch_execz .LBB840_24
; %bb.22:
	v_ashrrev_i32_e32 v3, 31, v2
	v_lshlrev_b64 v[1:2], 3, v[2:3]
	v_add_co_u32_e32 v1, vcc, v6, v1
	v_addc_co_u32_e32 v2, vcc, v7, v2, vcc
	flat_load_dwordx2 v[3:4], v[1:2]
	v_mul_f32_e32 v6, s17, v19
	v_mul_f32_e32 v7, s16, v19
	v_fma_f32 v6, v17, s16, -v6
	v_fmac_f32_e32 v7, s17, v17
	v_cmp_eq_u32_e32 vcc, v5, v0
	s_waitcnt vmcnt(0) lgkmcnt(0)
	v_mul_f32_e32 v8, s13, v4
	v_mul_f32_e32 v4, s12, v4
	v_fma_f32 v8, v3, s12, -v8
	v_fmac_f32_e32 v4, s13, v3
	v_add_f32_e32 v3, v6, v8
	v_add_f32_e32 v4, v7, v4
	flat_store_dwordx2 v[1:2], v[3:4]
	s_and_b64 exec, exec, vcc
	s_cbranch_execz .LBB840_24
; %bb.23:
	v_mov_b32_e32 v0, 0
	flat_store_dword v[1:2], v0 offset:4
.LBB840_24:
	s_endpgm
	.section	.rodata,"a",@progbits
	.p2align	6, 0x0
	.amdhsa_kernel _ZL34rocblas_syrkx_herkx_general_kernelIi19rocblas_complex_numIfELi16ELi32ELi8ELb0ELb1ELc78ELc76EKPKS1_KPS1_EviT_T0_PT8_S7_lSA_S7_lS8_PT9_S7_li
		.amdhsa_group_segment_fixed_size 4096
		.amdhsa_private_segment_fixed_size 0
		.amdhsa_kernarg_size 100
		.amdhsa_user_sgpr_count 6
		.amdhsa_user_sgpr_private_segment_buffer 1
		.amdhsa_user_sgpr_dispatch_ptr 0
		.amdhsa_user_sgpr_queue_ptr 0
		.amdhsa_user_sgpr_kernarg_segment_ptr 1
		.amdhsa_user_sgpr_dispatch_id 0
		.amdhsa_user_sgpr_flat_scratch_init 0
		.amdhsa_user_sgpr_private_segment_size 0
		.amdhsa_uses_dynamic_stack 0
		.amdhsa_system_sgpr_private_segment_wavefront_offset 0
		.amdhsa_system_sgpr_workgroup_id_x 1
		.amdhsa_system_sgpr_workgroup_id_y 1
		.amdhsa_system_sgpr_workgroup_id_z 1
		.amdhsa_system_sgpr_workgroup_info 0
		.amdhsa_system_vgpr_workitem_id 1
		.amdhsa_next_free_vgpr 53
		.amdhsa_next_free_sgpr 26
		.amdhsa_reserve_vcc 1
		.amdhsa_reserve_flat_scratch 0
		.amdhsa_float_round_mode_32 0
		.amdhsa_float_round_mode_16_64 0
		.amdhsa_float_denorm_mode_32 3
		.amdhsa_float_denorm_mode_16_64 3
		.amdhsa_dx10_clamp 1
		.amdhsa_ieee_mode 1
		.amdhsa_fp16_overflow 0
		.amdhsa_exception_fp_ieee_invalid_op 0
		.amdhsa_exception_fp_denorm_src 0
		.amdhsa_exception_fp_ieee_div_zero 0
		.amdhsa_exception_fp_ieee_overflow 0
		.amdhsa_exception_fp_ieee_underflow 0
		.amdhsa_exception_fp_ieee_inexact 0
		.amdhsa_exception_int_div_zero 0
	.end_amdhsa_kernel
	.section	.text._ZL34rocblas_syrkx_herkx_general_kernelIi19rocblas_complex_numIfELi16ELi32ELi8ELb0ELb1ELc78ELc76EKPKS1_KPS1_EviT_T0_PT8_S7_lSA_S7_lS8_PT9_S7_li,"axG",@progbits,_ZL34rocblas_syrkx_herkx_general_kernelIi19rocblas_complex_numIfELi16ELi32ELi8ELb0ELb1ELc78ELc76EKPKS1_KPS1_EviT_T0_PT8_S7_lSA_S7_lS8_PT9_S7_li,comdat
.Lfunc_end840:
	.size	_ZL34rocblas_syrkx_herkx_general_kernelIi19rocblas_complex_numIfELi16ELi32ELi8ELb0ELb1ELc78ELc76EKPKS1_KPS1_EviT_T0_PT8_S7_lSA_S7_lS8_PT9_S7_li, .Lfunc_end840-_ZL34rocblas_syrkx_herkx_general_kernelIi19rocblas_complex_numIfELi16ELi32ELi8ELb0ELb1ELc78ELc76EKPKS1_KPS1_EviT_T0_PT8_S7_lSA_S7_lS8_PT9_S7_li
                                        ; -- End function
	.set _ZL34rocblas_syrkx_herkx_general_kernelIi19rocblas_complex_numIfELi16ELi32ELi8ELb0ELb1ELc78ELc76EKPKS1_KPS1_EviT_T0_PT8_S7_lSA_S7_lS8_PT9_S7_li.num_vgpr, 53
	.set _ZL34rocblas_syrkx_herkx_general_kernelIi19rocblas_complex_numIfELi16ELi32ELi8ELb0ELb1ELc78ELc76EKPKS1_KPS1_EviT_T0_PT8_S7_lSA_S7_lS8_PT9_S7_li.num_agpr, 0
	.set _ZL34rocblas_syrkx_herkx_general_kernelIi19rocblas_complex_numIfELi16ELi32ELi8ELb0ELb1ELc78ELc76EKPKS1_KPS1_EviT_T0_PT8_S7_lSA_S7_lS8_PT9_S7_li.numbered_sgpr, 26
	.set _ZL34rocblas_syrkx_herkx_general_kernelIi19rocblas_complex_numIfELi16ELi32ELi8ELb0ELb1ELc78ELc76EKPKS1_KPS1_EviT_T0_PT8_S7_lSA_S7_lS8_PT9_S7_li.num_named_barrier, 0
	.set _ZL34rocblas_syrkx_herkx_general_kernelIi19rocblas_complex_numIfELi16ELi32ELi8ELb0ELb1ELc78ELc76EKPKS1_KPS1_EviT_T0_PT8_S7_lSA_S7_lS8_PT9_S7_li.private_seg_size, 0
	.set _ZL34rocblas_syrkx_herkx_general_kernelIi19rocblas_complex_numIfELi16ELi32ELi8ELb0ELb1ELc78ELc76EKPKS1_KPS1_EviT_T0_PT8_S7_lSA_S7_lS8_PT9_S7_li.uses_vcc, 1
	.set _ZL34rocblas_syrkx_herkx_general_kernelIi19rocblas_complex_numIfELi16ELi32ELi8ELb0ELb1ELc78ELc76EKPKS1_KPS1_EviT_T0_PT8_S7_lSA_S7_lS8_PT9_S7_li.uses_flat_scratch, 0
	.set _ZL34rocblas_syrkx_herkx_general_kernelIi19rocblas_complex_numIfELi16ELi32ELi8ELb0ELb1ELc78ELc76EKPKS1_KPS1_EviT_T0_PT8_S7_lSA_S7_lS8_PT9_S7_li.has_dyn_sized_stack, 0
	.set _ZL34rocblas_syrkx_herkx_general_kernelIi19rocblas_complex_numIfELi16ELi32ELi8ELb0ELb1ELc78ELc76EKPKS1_KPS1_EviT_T0_PT8_S7_lSA_S7_lS8_PT9_S7_li.has_recursion, 0
	.set _ZL34rocblas_syrkx_herkx_general_kernelIi19rocblas_complex_numIfELi16ELi32ELi8ELb0ELb1ELc78ELc76EKPKS1_KPS1_EviT_T0_PT8_S7_lSA_S7_lS8_PT9_S7_li.has_indirect_call, 0
	.section	.AMDGPU.csdata,"",@progbits
; Kernel info:
; codeLenInByte = 2384
; TotalNumSgprs: 30
; NumVgprs: 53
; ScratchSize: 0
; MemoryBound: 1
; FloatMode: 240
; IeeeMode: 1
; LDSByteSize: 4096 bytes/workgroup (compile time only)
; SGPRBlocks: 3
; VGPRBlocks: 13
; NumSGPRsForWavesPerEU: 30
; NumVGPRsForWavesPerEU: 53
; Occupancy: 4
; WaveLimiterHint : 1
; COMPUTE_PGM_RSRC2:SCRATCH_EN: 0
; COMPUTE_PGM_RSRC2:USER_SGPR: 6
; COMPUTE_PGM_RSRC2:TRAP_HANDLER: 0
; COMPUTE_PGM_RSRC2:TGID_X_EN: 1
; COMPUTE_PGM_RSRC2:TGID_Y_EN: 1
; COMPUTE_PGM_RSRC2:TGID_Z_EN: 1
; COMPUTE_PGM_RSRC2:TIDIG_COMP_CNT: 1
	.section	.text._ZL34rocblas_syrkx_herkx_general_kernelIi19rocblas_complex_numIfELi16ELi32ELi8ELb0ELb1ELc84ELc85EKPKS1_KPS1_EviT_T0_PT8_S7_lSA_S7_lS8_PT9_S7_li,"axG",@progbits,_ZL34rocblas_syrkx_herkx_general_kernelIi19rocblas_complex_numIfELi16ELi32ELi8ELb0ELb1ELc84ELc85EKPKS1_KPS1_EviT_T0_PT8_S7_lSA_S7_lS8_PT9_S7_li,comdat
	.globl	_ZL34rocblas_syrkx_herkx_general_kernelIi19rocblas_complex_numIfELi16ELi32ELi8ELb0ELb1ELc84ELc85EKPKS1_KPS1_EviT_T0_PT8_S7_lSA_S7_lS8_PT9_S7_li ; -- Begin function _ZL34rocblas_syrkx_herkx_general_kernelIi19rocblas_complex_numIfELi16ELi32ELi8ELb0ELb1ELc84ELc85EKPKS1_KPS1_EviT_T0_PT8_S7_lSA_S7_lS8_PT9_S7_li
	.p2align	8
	.type	_ZL34rocblas_syrkx_herkx_general_kernelIi19rocblas_complex_numIfELi16ELi32ELi8ELb0ELb1ELc84ELc85EKPKS1_KPS1_EviT_T0_PT8_S7_lSA_S7_lS8_PT9_S7_li,@function
_ZL34rocblas_syrkx_herkx_general_kernelIi19rocblas_complex_numIfELi16ELi32ELi8ELb0ELb1ELc84ELc85EKPKS1_KPS1_EviT_T0_PT8_S7_lSA_S7_lS8_PT9_S7_li: ; @_ZL34rocblas_syrkx_herkx_general_kernelIi19rocblas_complex_numIfELi16ELi32ELi8ELb0ELb1ELc84ELc85EKPKS1_KPS1_EviT_T0_PT8_S7_lSA_S7_lS8_PT9_S7_li
; %bb.0:
	s_load_dwordx4 s[12:15], s[4:5], 0x40
	s_load_dwordx2 s[10:11], s[4:5], 0x0
	s_load_dwordx4 s[16:19], s[4:5], 0x8
	s_mov_b32 s9, 0
	s_lshl_b64 s[0:1], s[8:9], 3
	s_waitcnt lgkmcnt(0)
	s_add_u32 s2, s14, s0
	s_addc_u32 s3, s15, s1
	s_load_dwordx2 s[14:15], s[2:3], 0x0
	s_lshl_b32 s8, s6, 5
	s_lshl_b32 s20, s7, 5
	s_cmp_lt_i32 s11, 1
	s_cbranch_scc1 .LBB841_11
; %bb.1:
	s_load_dword s21, s[4:5], 0x18
	s_load_dwordx2 s[2:3], s[4:5], 0x28
	s_load_dword s22, s[4:5], 0x30
	v_lshl_add_u32 v2, v1, 4, v0
	v_and_b32_e32 v8, 7, v0
	v_lshrrev_b32_e32 v9, 5, v2
	v_lshrrev_b32_e32 v3, 3, v2
	v_and_b32_e32 v2, 31, v2
	v_or_b32_e32 v5, s8, v2
	s_waitcnt lgkmcnt(0)
	s_add_u32 s2, s2, s0
	v_lshlrev_b32_e32 v6, 3, v8
	v_add_u32_e32 v4, s20, v3
	s_addc_u32 s3, s3, s1
	v_cmp_gt_i32_e32 vcc, s10, v5
	v_lshlrev_b32_e32 v5, 3, v2
	v_lshl_or_b32 v3, v3, 6, v6
	v_add_u32_e32 v2, s8, v2
	s_load_dwordx2 s[6:7], s[2:3], 0x0
	v_add_u32_e32 v11, 0x800, v3
	v_mad_i64_i32 v[2:3], s[2:3], s21, v2, 0
	s_add_u32 s0, s18, s0
	v_lshl_or_b32 v10, v9, 8, v5
	v_mov_b32_e32 v5, 0x800
	v_lshlrev_b64 v[2:3], 3, v[2:3]
	s_addc_u32 s1, s19, s1
	v_lshl_add_u32 v13, v1, 6, v5
	v_lshlrev_b32_e32 v5, 3, v9
	s_load_dwordx2 s[18:19], s[0:1], 0x0
	v_add_co_u32_e64 v2, s[2:3], v2, v5
	v_cmp_gt_i32_e64 s[0:1], s10, v4
	v_addc_co_u32_e64 v3, s[2:3], 0, v3, s[2:3]
	v_mad_i64_i32 v[4:5], s[2:3], s22, v4, 0
	s_waitcnt lgkmcnt(0)
	v_mov_b32_e32 v7, s19
	v_add_co_u32_e64 v2, s[2:3], s18, v2
	v_lshlrev_b64 v[4:5], 3, v[4:5]
	v_addc_co_u32_e64 v3, s[2:3], v7, v3, s[2:3]
	v_add_co_u32_e64 v4, s[2:3], v4, v6
	v_addc_co_u32_e64 v5, s[2:3], 0, v5, s[2:3]
	v_mov_b32_e32 v6, s7
	v_add_co_u32_e64 v4, s[2:3], s6, v4
	v_addc_co_u32_e64 v5, s[2:3], v6, v5, s[2:3]
	v_lshlrev_b32_e32 v12, 3, v0
	s_xor_b64 s[2:3], vcc, -1
	s_xor_b64 s[0:1], s[0:1], -1
	v_mov_b32_e32 v17, 0
	v_mov_b32_e32 v16, 0
	v_mov_b32_e32 v15, 0
	v_mov_b32_e32 v14, 0
	v_mov_b32_e32 v19, 0
	v_mov_b32_e32 v18, 0
	v_mov_b32_e32 v21, 0
	v_mov_b32_e32 v20, 0
	v_mov_b32_e32 v6, 0
	s_branch .LBB841_3
.LBB841_2:                              ;   in Loop: Header=BB841_3 Depth=1
	s_or_b64 exec, exec, s[6:7]
	s_waitcnt lgkmcnt(0)
	s_barrier
	ds_read2_b64 v[22:25], v12 offset1:16
	ds_read_b128 v[26:29], v13
	ds_read_b128 v[30:33], v13 offset:16
	v_add_co_u32_e32 v2, vcc, 64, v2
	v_addc_co_u32_e32 v3, vcc, 0, v3, vcc
	s_waitcnt lgkmcnt(1)
	v_mul_f32_e32 v34, v26, v23
	v_fmac_f32_e32 v34, v27, v22
	v_add_f32_e32 v46, v21, v34
	ds_read_b128 v[34:37], v13 offset:1024
	v_mul_f32_e32 v7, v27, v23
	v_fma_f32 v7, v26, v22, -v7
	v_add_f32_e32 v7, v20, v7
	v_mul_f32_e32 v20, v27, v25
	v_mul_f32_e32 v21, v26, v25
	v_fma_f32 v20, v26, v24, -v20
	v_fmac_f32_e32 v21, v27, v24
	v_add_f32_e32 v26, v18, v20
	v_add_f32_e32 v27, v19, v21
	ds_read_b128 v[18:21], v13 offset:1040
	s_waitcnt lgkmcnt(1)
	v_mul_f32_e32 v38, v35, v23
	v_mul_f32_e32 v23, v34, v23
	v_fma_f32 v38, v34, v22, -v38
	v_fmac_f32_e32 v23, v35, v22
	v_mul_f32_e32 v22, v35, v25
	v_fma_f32 v47, v34, v24, -v22
	v_mul_f32_e32 v34, v34, v25
	v_add_f32_e32 v14, v14, v38
	v_add_f32_e32 v15, v15, v23
	v_fmac_f32_e32 v34, v35, v24
	ds_read2_b64 v[22:25], v12 offset0:32 offset1:48
	ds_read_b128 v[38:41], v13 offset:32
	ds_read_b128 v[42:45], v13 offset:48
	v_add_f32_e32 v35, v16, v47
	v_add_f32_e32 v34, v17, v34
	s_waitcnt lgkmcnt(2)
	v_mul_f32_e32 v16, v29, v23
	v_fma_f32 v16, v28, v22, -v16
	v_mul_f32_e32 v17, v28, v23
	v_fmac_f32_e32 v17, v29, v22
	v_add_f32_e32 v7, v7, v16
	v_mul_f32_e32 v16, v29, v25
	v_add_f32_e32 v46, v46, v17
	v_fma_f32 v16, v28, v24, -v16
	v_mul_f32_e32 v17, v28, v25
	v_fmac_f32_e32 v17, v29, v24
	v_add_f32_e32 v26, v26, v16
	v_mul_f32_e32 v16, v37, v23
	v_add_f32_e32 v27, v27, v17
	;; [unrolled: 6-line block ×3, first 2 shown]
	v_fma_f32 v28, v36, v24, -v14
	ds_read2_b64 v[14:17], v12 offset0:64 offset1:80
	v_mul_f32_e32 v25, v36, v25
	v_fmac_f32_e32 v25, v37, v24
	v_add_f32_e32 v29, v34, v25
	v_add_f32_e32 v28, v35, v28
	s_waitcnt lgkmcnt(0)
	v_mul_f32_e32 v24, v31, v15
	v_fma_f32 v24, v30, v14, -v24
	v_add_f32_e32 v7, v7, v24
	v_mul_f32_e32 v24, v31, v17
	v_mul_f32_e32 v25, v30, v15
	v_fma_f32 v24, v30, v16, -v24
	v_fmac_f32_e32 v25, v31, v14
	v_add_f32_e32 v26, v26, v24
	v_mul_f32_e32 v24, v19, v15
	v_add_f32_e32 v34, v46, v25
	v_mul_f32_e32 v25, v30, v17
	v_fma_f32 v24, v18, v14, -v24
	v_mul_f32_e32 v15, v18, v15
	v_fmac_f32_e32 v25, v31, v16
	v_fmac_f32_e32 v15, v19, v14
	v_add_f32_e32 v14, v22, v24
	v_mul_f32_e32 v22, v19, v17
	v_add_f32_e32 v27, v27, v25
	v_add_f32_e32 v15, v23, v15
	v_fma_f32 v30, v18, v16, -v22
	ds_read2_b64 v[22:25], v12 offset0:96 offset1:112
	v_mul_f32_e32 v17, v18, v17
	v_fmac_f32_e32 v17, v19, v16
	v_add_f32_e32 v19, v29, v17
	v_add_f32_e32 v18, v28, v30
	s_waitcnt lgkmcnt(0)
	v_mul_f32_e32 v16, v33, v23
	v_fma_f32 v16, v32, v22, -v16
	v_mul_f32_e32 v17, v32, v23
	v_fmac_f32_e32 v17, v33, v22
	v_add_f32_e32 v7, v7, v16
	v_mul_f32_e32 v16, v33, v25
	v_add_f32_e32 v28, v34, v17
	v_fma_f32 v16, v32, v24, -v16
	v_mul_f32_e32 v17, v32, v25
	v_fmac_f32_e32 v17, v33, v24
	v_add_f32_e32 v26, v26, v16
	v_mul_f32_e32 v16, v21, v23
	v_add_f32_e32 v27, v27, v17
	;; [unrolled: 6-line block ×3, first 2 shown]
	v_fma_f32 v22, v20, v24, -v14
	ds_read2_b64 v[14:17], v12 offset0:128 offset1:144
	v_mul_f32_e32 v20, v20, v25
	v_fmac_f32_e32 v20, v21, v24
	v_add_f32_e32 v31, v18, v22
	v_add_f32_e32 v32, v19, v20
	s_waitcnt lgkmcnt(0)
	v_mul_f32_e32 v18, v39, v15
	v_fma_f32 v18, v38, v14, -v18
	v_mul_f32_e32 v19, v38, v15
	v_fmac_f32_e32 v19, v39, v14
	v_add_f32_e32 v7, v7, v18
	v_mul_f32_e32 v18, v39, v17
	v_add_f32_e32 v33, v28, v19
	v_fma_f32 v22, v38, v16, -v18
	ds_read_b128 v[18:21], v13 offset:1056
	v_mul_f32_e32 v23, v38, v17
	v_fmac_f32_e32 v23, v39, v16
	v_add_f32_e32 v34, v26, v22
	v_add_f32_e32 v35, v27, v23
	ds_read_b128 v[22:25], v13 offset:1072
	s_waitcnt lgkmcnt(1)
	v_mul_f32_e32 v26, v19, v15
	v_fma_f32 v26, v18, v14, -v26
	v_mul_f32_e32 v15, v18, v15
	v_fmac_f32_e32 v15, v19, v14
	v_add_f32_e32 v14, v29, v26
	v_mul_f32_e32 v26, v19, v17
	v_add_f32_e32 v15, v30, v15
	v_fma_f32 v30, v18, v16, -v26
	ds_read2_b64 v[26:29], v12 offset0:160 offset1:176
	v_mul_f32_e32 v17, v18, v17
	v_fmac_f32_e32 v17, v19, v16
	v_add_f32_e32 v19, v32, v17
	v_add_f32_e32 v18, v31, v30
	s_waitcnt lgkmcnt(0)
	v_mul_f32_e32 v16, v41, v27
	v_fma_f32 v16, v40, v26, -v16
	v_mul_f32_e32 v17, v40, v27
	v_fmac_f32_e32 v17, v41, v26
	v_add_f32_e32 v7, v7, v16
	v_mul_f32_e32 v16, v41, v29
	v_add_f32_e32 v30, v33, v17
	v_fma_f32 v16, v40, v28, -v16
	v_mul_f32_e32 v17, v40, v29
	v_fmac_f32_e32 v17, v41, v28
	v_add_f32_e32 v31, v34, v16
	v_mul_f32_e32 v16, v21, v27
	v_add_f32_e32 v32, v35, v17
	;; [unrolled: 6-line block ×3, first 2 shown]
	v_fma_f32 v33, v20, v28, -v14
	ds_read2_b64 v[14:17], v12 offset0:192 offset1:208
	v_mul_f32_e32 v20, v20, v29
	v_fmac_f32_e32 v20, v21, v28
	v_add_f32_e32 v19, v19, v20
	v_add_f32_e32 v18, v18, v33
	s_waitcnt lgkmcnt(0)
	v_mul_f32_e32 v20, v43, v15
	v_fma_f32 v20, v42, v14, -v20
	v_mul_f32_e32 v21, v42, v15
	v_add_f32_e32 v7, v7, v20
	v_mul_f32_e32 v20, v43, v17
	v_fmac_f32_e32 v21, v43, v14
	v_fma_f32 v20, v42, v16, -v20
	v_add_f32_e32 v21, v30, v21
	v_mul_f32_e32 v28, v42, v17
	v_add_f32_e32 v30, v31, v20
	v_mul_f32_e32 v20, v23, v15
	v_mul_f32_e32 v15, v22, v15
	v_fmac_f32_e32 v28, v43, v16
	v_fma_f32 v20, v22, v14, -v20
	v_fmac_f32_e32 v15, v23, v14
	v_add_f32_e32 v31, v32, v28
	v_add_f32_e32 v14, v26, v20
	;; [unrolled: 1-line block ×3, first 2 shown]
	ds_read2_b64 v[26:29], v12 offset0:224 offset1:240
	v_mul_f32_e32 v20, v23, v17
	v_fma_f32 v20, v22, v16, -v20
	v_mul_f32_e32 v17, v22, v17
	v_fmac_f32_e32 v17, v23, v16
	v_add_f32_e32 v16, v18, v20
	s_waitcnt lgkmcnt(0)
	v_mul_f32_e32 v18, v45, v27
	v_fma_f32 v18, v44, v26, -v18
	v_add_f32_e32 v20, v7, v18
	v_mul_f32_e32 v7, v45, v29
	v_fma_f32 v7, v44, v28, -v7
	v_add_f32_e32 v17, v19, v17
	v_mul_f32_e32 v19, v44, v27
	v_add_f32_e32 v18, v30, v7
	v_mul_f32_e32 v7, v25, v27
	v_mul_f32_e32 v22, v24, v27
	v_fmac_f32_e32 v19, v45, v26
	v_fma_f32 v7, v24, v26, -v7
	v_fmac_f32_e32 v22, v25, v26
	v_add_f32_e32 v21, v21, v19
	v_mul_f32_e32 v19, v44, v29
	v_add_f32_e32 v14, v14, v7
	v_add_f32_e32 v15, v15, v22
	v_mul_f32_e32 v7, v25, v29
	v_mul_f32_e32 v22, v24, v29
	v_fmac_f32_e32 v19, v45, v28
	v_fma_f32 v7, v24, v28, -v7
	v_fmac_f32_e32 v22, v25, v28
	s_add_i32 s9, s9, 8
	v_add_co_u32_e32 v4, vcc, 64, v4
	v_add_f32_e32 v19, v31, v19
	v_add_f32_e32 v16, v16, v7
	;; [unrolled: 1-line block ×3, first 2 shown]
	s_cmp_ge_i32 s9, s11
	v_addc_co_u32_e32 v5, vcc, 0, v5, vcc
	s_barrier
	s_cbranch_scc1 .LBB841_12
.LBB841_3:                              ; =>This Inner Loop Header: Depth=1
	v_add_u32_e32 v7, s9, v9
	v_cmp_le_i32_e32 vcc, s11, v7
	s_or_b64 s[6:7], s[2:3], vcc
	s_and_saveexec_b64 s[18:19], s[6:7]
	s_xor_b64 s[6:7], exec, s[18:19]
; %bb.4:                                ;   in Loop: Header=BB841_3 Depth=1
	v_mov_b32_e32 v7, v6
	ds_write_b64 v10, v[6:7]
; %bb.5:                                ;   in Loop: Header=BB841_3 Depth=1
	s_andn2_saveexec_b64 s[6:7], s[6:7]
	s_cbranch_execz .LBB841_7
; %bb.6:                                ;   in Loop: Header=BB841_3 Depth=1
	flat_load_dwordx2 v[22:23], v[2:3]
	s_waitcnt vmcnt(0) lgkmcnt(0)
	ds_write_b64 v10, v[22:23]
.LBB841_7:                              ;   in Loop: Header=BB841_3 Depth=1
	s_or_b64 exec, exec, s[6:7]
	v_add_u32_e32 v7, s9, v8
	v_cmp_le_i32_e32 vcc, s11, v7
	s_or_b64 s[6:7], vcc, s[0:1]
	s_and_saveexec_b64 s[18:19], s[6:7]
	s_xor_b64 s[6:7], exec, s[18:19]
; %bb.8:                                ;   in Loop: Header=BB841_3 Depth=1
	v_mov_b32_e32 v7, v6
	ds_write_b64 v11, v[6:7]
; %bb.9:                                ;   in Loop: Header=BB841_3 Depth=1
	s_andn2_saveexec_b64 s[6:7], s[6:7]
	s_cbranch_execz .LBB841_2
; %bb.10:                               ;   in Loop: Header=BB841_3 Depth=1
	flat_load_dwordx2 v[22:23], v[4:5]
	s_waitcnt vmcnt(0) lgkmcnt(0)
	ds_write_b64 v11, v[22:23]
	s_branch .LBB841_2
.LBB841_11:
	v_mov_b32_e32 v20, 0
	v_mov_b32_e32 v21, 0
	;; [unrolled: 1-line block ×8, first 2 shown]
.LBB841_12:
	s_load_dword s4, s[4:5], 0x50
	v_add_u32_e32 v5, s20, v1
	s_waitcnt lgkmcnt(0)
	v_mov_b32_e32 v3, s15
	v_add_u32_e32 v0, s8, v0
	v_cmp_gt_i32_e32 vcc, s10, v5
	v_mad_i64_i32 v[1:2], s[0:1], v5, s4, 0
	v_lshlrev_b64 v[1:2], 3, v[1:2]
	v_add_co_u32_e64 v4, s[0:1], s14, v1
	v_addc_co_u32_e64 v6, s[0:1], v3, v2, s[0:1]
	v_cmp_le_i32_e64 s[0:1], v0, v5
	s_and_b64 s[0:1], vcc, s[0:1]
	s_and_saveexec_b64 s[2:3], s[0:1]
	s_cbranch_execz .LBB841_15
; %bb.13:
	v_ashrrev_i32_e32 v1, 31, v0
	v_lshlrev_b64 v[1:2], 3, v[0:1]
	v_mul_f32_e32 v3, s17, v21
	v_add_co_u32_e64 v1, s[0:1], v4, v1
	v_addc_co_u32_e64 v2, s[0:1], v6, v2, s[0:1]
	flat_load_dwordx2 v[7:8], v[1:2]
	v_mul_f32_e32 v9, s16, v21
	v_fma_f32 v3, v20, s16, -v3
	v_fmac_f32_e32 v9, s17, v20
	v_cmp_eq_u32_e64 s[0:1], v5, v0
	s_waitcnt vmcnt(0) lgkmcnt(0)
	v_mul_f32_e32 v10, s13, v8
	v_mul_f32_e32 v8, s12, v8
	v_fma_f32 v10, v7, s12, -v10
	v_fmac_f32_e32 v8, s13, v7
	v_add_f32_e32 v7, v3, v10
	v_add_f32_e32 v8, v9, v8
	flat_store_dwordx2 v[1:2], v[7:8]
	s_and_b64 exec, exec, s[0:1]
	s_cbranch_execz .LBB841_15
; %bb.14:
	v_mov_b32_e32 v3, 0
	flat_store_dword v[1:2], v3 offset:4
.LBB841_15:
	s_or_b64 exec, exec, s[2:3]
	v_add_u32_e32 v2, 16, v0
	v_cmp_le_i32_e64 s[0:1], v2, v5
	s_and_b64 s[2:3], vcc, s[0:1]
	s_and_saveexec_b64 s[0:1], s[2:3]
	s_cbranch_execz .LBB841_18
; %bb.16:
	v_ashrrev_i32_e32 v3, 31, v2
	v_lshlrev_b64 v[7:8], 3, v[2:3]
	v_mul_f32_e32 v1, s17, v19
	v_add_co_u32_e32 v3, vcc, v4, v7
	v_addc_co_u32_e32 v4, vcc, v6, v8, vcc
	flat_load_dwordx2 v[6:7], v[3:4]
	v_mul_f32_e32 v8, s16, v19
	v_fma_f32 v1, v18, s16, -v1
	v_fmac_f32_e32 v8, s17, v18
	v_cmp_eq_u32_e32 vcc, v5, v2
	s_waitcnt vmcnt(0) lgkmcnt(0)
	v_mul_f32_e32 v9, s13, v7
	v_mul_f32_e32 v7, s12, v7
	v_fma_f32 v9, v6, s12, -v9
	v_fmac_f32_e32 v7, s13, v6
	v_add_f32_e32 v6, v1, v9
	v_add_f32_e32 v7, v8, v7
	flat_store_dwordx2 v[3:4], v[6:7]
	s_and_b64 exec, exec, vcc
	s_cbranch_execz .LBB841_18
; %bb.17:
	v_mov_b32_e32 v1, 0
	flat_store_dword v[3:4], v1 offset:4
.LBB841_18:
	s_or_b64 exec, exec, s[0:1]
	v_add_u32_e32 v8, 16, v5
	v_mad_i64_i32 v[3:4], s[0:1], v8, s4, 0
	v_mov_b32_e32 v1, s15
	v_cmp_gt_i32_e32 vcc, s10, v8
	v_lshlrev_b64 v[3:4], 3, v[3:4]
	v_add_co_u32_e64 v6, s[0:1], s14, v3
	v_addc_co_u32_e64 v7, s[0:1], v1, v4, s[0:1]
	v_cmp_le_i32_e64 s[0:1], v0, v8
	s_and_b64 s[0:1], vcc, s[0:1]
	s_and_saveexec_b64 s[2:3], s[0:1]
	s_cbranch_execz .LBB841_21
; %bb.19:
	v_ashrrev_i32_e32 v1, 31, v0
	v_lshlrev_b64 v[3:4], 3, v[0:1]
	v_mul_f32_e32 v1, s17, v15
	v_add_co_u32_e64 v3, s[0:1], v6, v3
	v_addc_co_u32_e64 v4, s[0:1], v7, v4, s[0:1]
	flat_load_dwordx2 v[9:10], v[3:4]
	v_mul_f32_e32 v11, s16, v15
	v_fma_f32 v1, v14, s16, -v1
	v_fmac_f32_e32 v11, s17, v14
	v_cmp_eq_u32_e64 s[0:1], v8, v0
	s_waitcnt vmcnt(0) lgkmcnt(0)
	v_mul_f32_e32 v12, s13, v10
	v_mul_f32_e32 v10, s12, v10
	v_fma_f32 v12, v9, s12, -v12
	v_fmac_f32_e32 v10, s13, v9
	v_add_f32_e32 v9, v1, v12
	v_add_f32_e32 v10, v11, v10
	flat_store_dwordx2 v[3:4], v[9:10]
	s_and_b64 exec, exec, s[0:1]
	s_cbranch_execz .LBB841_21
; %bb.20:
	v_mov_b32_e32 v1, 0
	flat_store_dword v[3:4], v1 offset:4
.LBB841_21:
	s_or_b64 exec, exec, s[2:3]
	v_cmp_le_i32_e64 s[0:1], v2, v8
	s_and_b64 s[0:1], vcc, s[0:1]
	s_and_saveexec_b64 s[2:3], s[0:1]
	s_cbranch_execz .LBB841_24
; %bb.22:
	v_ashrrev_i32_e32 v3, 31, v2
	v_lshlrev_b64 v[1:2], 3, v[2:3]
	v_add_co_u32_e32 v1, vcc, v6, v1
	v_addc_co_u32_e32 v2, vcc, v7, v2, vcc
	flat_load_dwordx2 v[3:4], v[1:2]
	v_mul_f32_e32 v6, s17, v17
	v_mul_f32_e32 v7, s16, v17
	v_fma_f32 v6, v16, s16, -v6
	v_fmac_f32_e32 v7, s17, v16
	v_cmp_eq_u32_e32 vcc, v5, v0
	s_waitcnt vmcnt(0) lgkmcnt(0)
	v_mul_f32_e32 v8, s13, v4
	v_mul_f32_e32 v4, s12, v4
	v_fma_f32 v8, v3, s12, -v8
	v_fmac_f32_e32 v4, s13, v3
	v_add_f32_e32 v3, v6, v8
	v_add_f32_e32 v4, v7, v4
	flat_store_dwordx2 v[1:2], v[3:4]
	s_and_b64 exec, exec, vcc
	s_cbranch_execz .LBB841_24
; %bb.23:
	v_mov_b32_e32 v0, 0
	flat_store_dword v[1:2], v0 offset:4
.LBB841_24:
	s_endpgm
	.section	.rodata,"a",@progbits
	.p2align	6, 0x0
	.amdhsa_kernel _ZL34rocblas_syrkx_herkx_general_kernelIi19rocblas_complex_numIfELi16ELi32ELi8ELb0ELb1ELc84ELc85EKPKS1_KPS1_EviT_T0_PT8_S7_lSA_S7_lS8_PT9_S7_li
		.amdhsa_group_segment_fixed_size 4096
		.amdhsa_private_segment_fixed_size 0
		.amdhsa_kernarg_size 100
		.amdhsa_user_sgpr_count 6
		.amdhsa_user_sgpr_private_segment_buffer 1
		.amdhsa_user_sgpr_dispatch_ptr 0
		.amdhsa_user_sgpr_queue_ptr 0
		.amdhsa_user_sgpr_kernarg_segment_ptr 1
		.amdhsa_user_sgpr_dispatch_id 0
		.amdhsa_user_sgpr_flat_scratch_init 0
		.amdhsa_user_sgpr_private_segment_size 0
		.amdhsa_uses_dynamic_stack 0
		.amdhsa_system_sgpr_private_segment_wavefront_offset 0
		.amdhsa_system_sgpr_workgroup_id_x 1
		.amdhsa_system_sgpr_workgroup_id_y 1
		.amdhsa_system_sgpr_workgroup_id_z 1
		.amdhsa_system_sgpr_workgroup_info 0
		.amdhsa_system_vgpr_workitem_id 1
		.amdhsa_next_free_vgpr 48
		.amdhsa_next_free_sgpr 23
		.amdhsa_reserve_vcc 1
		.amdhsa_reserve_flat_scratch 0
		.amdhsa_float_round_mode_32 0
		.amdhsa_float_round_mode_16_64 0
		.amdhsa_float_denorm_mode_32 3
		.amdhsa_float_denorm_mode_16_64 3
		.amdhsa_dx10_clamp 1
		.amdhsa_ieee_mode 1
		.amdhsa_fp16_overflow 0
		.amdhsa_exception_fp_ieee_invalid_op 0
		.amdhsa_exception_fp_denorm_src 0
		.amdhsa_exception_fp_ieee_div_zero 0
		.amdhsa_exception_fp_ieee_overflow 0
		.amdhsa_exception_fp_ieee_underflow 0
		.amdhsa_exception_fp_ieee_inexact 0
		.amdhsa_exception_int_div_zero 0
	.end_amdhsa_kernel
	.section	.text._ZL34rocblas_syrkx_herkx_general_kernelIi19rocblas_complex_numIfELi16ELi32ELi8ELb0ELb1ELc84ELc85EKPKS1_KPS1_EviT_T0_PT8_S7_lSA_S7_lS8_PT9_S7_li,"axG",@progbits,_ZL34rocblas_syrkx_herkx_general_kernelIi19rocblas_complex_numIfELi16ELi32ELi8ELb0ELb1ELc84ELc85EKPKS1_KPS1_EviT_T0_PT8_S7_lSA_S7_lS8_PT9_S7_li,comdat
.Lfunc_end841:
	.size	_ZL34rocblas_syrkx_herkx_general_kernelIi19rocblas_complex_numIfELi16ELi32ELi8ELb0ELb1ELc84ELc85EKPKS1_KPS1_EviT_T0_PT8_S7_lSA_S7_lS8_PT9_S7_li, .Lfunc_end841-_ZL34rocblas_syrkx_herkx_general_kernelIi19rocblas_complex_numIfELi16ELi32ELi8ELb0ELb1ELc84ELc85EKPKS1_KPS1_EviT_T0_PT8_S7_lSA_S7_lS8_PT9_S7_li
                                        ; -- End function
	.set _ZL34rocblas_syrkx_herkx_general_kernelIi19rocblas_complex_numIfELi16ELi32ELi8ELb0ELb1ELc84ELc85EKPKS1_KPS1_EviT_T0_PT8_S7_lSA_S7_lS8_PT9_S7_li.num_vgpr, 48
	.set _ZL34rocblas_syrkx_herkx_general_kernelIi19rocblas_complex_numIfELi16ELi32ELi8ELb0ELb1ELc84ELc85EKPKS1_KPS1_EviT_T0_PT8_S7_lSA_S7_lS8_PT9_S7_li.num_agpr, 0
	.set _ZL34rocblas_syrkx_herkx_general_kernelIi19rocblas_complex_numIfELi16ELi32ELi8ELb0ELb1ELc84ELc85EKPKS1_KPS1_EviT_T0_PT8_S7_lSA_S7_lS8_PT9_S7_li.numbered_sgpr, 23
	.set _ZL34rocblas_syrkx_herkx_general_kernelIi19rocblas_complex_numIfELi16ELi32ELi8ELb0ELb1ELc84ELc85EKPKS1_KPS1_EviT_T0_PT8_S7_lSA_S7_lS8_PT9_S7_li.num_named_barrier, 0
	.set _ZL34rocblas_syrkx_herkx_general_kernelIi19rocblas_complex_numIfELi16ELi32ELi8ELb0ELb1ELc84ELc85EKPKS1_KPS1_EviT_T0_PT8_S7_lSA_S7_lS8_PT9_S7_li.private_seg_size, 0
	.set _ZL34rocblas_syrkx_herkx_general_kernelIi19rocblas_complex_numIfELi16ELi32ELi8ELb0ELb1ELc84ELc85EKPKS1_KPS1_EviT_T0_PT8_S7_lSA_S7_lS8_PT9_S7_li.uses_vcc, 1
	.set _ZL34rocblas_syrkx_herkx_general_kernelIi19rocblas_complex_numIfELi16ELi32ELi8ELb0ELb1ELc84ELc85EKPKS1_KPS1_EviT_T0_PT8_S7_lSA_S7_lS8_PT9_S7_li.uses_flat_scratch, 0
	.set _ZL34rocblas_syrkx_herkx_general_kernelIi19rocblas_complex_numIfELi16ELi32ELi8ELb0ELb1ELc84ELc85EKPKS1_KPS1_EviT_T0_PT8_S7_lSA_S7_lS8_PT9_S7_li.has_dyn_sized_stack, 0
	.set _ZL34rocblas_syrkx_herkx_general_kernelIi19rocblas_complex_numIfELi16ELi32ELi8ELb0ELb1ELc84ELc85EKPKS1_KPS1_EviT_T0_PT8_S7_lSA_S7_lS8_PT9_S7_li.has_recursion, 0
	.set _ZL34rocblas_syrkx_herkx_general_kernelIi19rocblas_complex_numIfELi16ELi32ELi8ELb0ELb1ELc84ELc85EKPKS1_KPS1_EviT_T0_PT8_S7_lSA_S7_lS8_PT9_S7_li.has_indirect_call, 0
	.section	.AMDGPU.csdata,"",@progbits
; Kernel info:
; codeLenInByte = 2332
; TotalNumSgprs: 27
; NumVgprs: 48
; ScratchSize: 0
; MemoryBound: 1
; FloatMode: 240
; IeeeMode: 1
; LDSByteSize: 4096 bytes/workgroup (compile time only)
; SGPRBlocks: 3
; VGPRBlocks: 11
; NumSGPRsForWavesPerEU: 27
; NumVGPRsForWavesPerEU: 48
; Occupancy: 5
; WaveLimiterHint : 1
; COMPUTE_PGM_RSRC2:SCRATCH_EN: 0
; COMPUTE_PGM_RSRC2:USER_SGPR: 6
; COMPUTE_PGM_RSRC2:TRAP_HANDLER: 0
; COMPUTE_PGM_RSRC2:TGID_X_EN: 1
; COMPUTE_PGM_RSRC2:TGID_Y_EN: 1
; COMPUTE_PGM_RSRC2:TGID_Z_EN: 1
; COMPUTE_PGM_RSRC2:TIDIG_COMP_CNT: 1
	.section	.text._ZL34rocblas_syrkx_herkx_general_kernelIi19rocblas_complex_numIfELi16ELi32ELi8ELb0ELb1ELc67ELc85EKPKS1_KPS1_EviT_T0_PT8_S7_lSA_S7_lS8_PT9_S7_li,"axG",@progbits,_ZL34rocblas_syrkx_herkx_general_kernelIi19rocblas_complex_numIfELi16ELi32ELi8ELb0ELb1ELc67ELc85EKPKS1_KPS1_EviT_T0_PT8_S7_lSA_S7_lS8_PT9_S7_li,comdat
	.globl	_ZL34rocblas_syrkx_herkx_general_kernelIi19rocblas_complex_numIfELi16ELi32ELi8ELb0ELb1ELc67ELc85EKPKS1_KPS1_EviT_T0_PT8_S7_lSA_S7_lS8_PT9_S7_li ; -- Begin function _ZL34rocblas_syrkx_herkx_general_kernelIi19rocblas_complex_numIfELi16ELi32ELi8ELb0ELb1ELc67ELc85EKPKS1_KPS1_EviT_T0_PT8_S7_lSA_S7_lS8_PT9_S7_li
	.p2align	8
	.type	_ZL34rocblas_syrkx_herkx_general_kernelIi19rocblas_complex_numIfELi16ELi32ELi8ELb0ELb1ELc67ELc85EKPKS1_KPS1_EviT_T0_PT8_S7_lSA_S7_lS8_PT9_S7_li,@function
_ZL34rocblas_syrkx_herkx_general_kernelIi19rocblas_complex_numIfELi16ELi32ELi8ELb0ELb1ELc67ELc85EKPKS1_KPS1_EviT_T0_PT8_S7_lSA_S7_lS8_PT9_S7_li: ; @_ZL34rocblas_syrkx_herkx_general_kernelIi19rocblas_complex_numIfELi16ELi32ELi8ELb0ELb1ELc67ELc85EKPKS1_KPS1_EviT_T0_PT8_S7_lSA_S7_lS8_PT9_S7_li
; %bb.0:
	s_load_dwordx4 s[12:15], s[4:5], 0x40
	s_load_dwordx2 s[10:11], s[4:5], 0x0
	s_load_dwordx4 s[16:19], s[4:5], 0x8
	s_mov_b32 s9, 0
	s_lshl_b64 s[0:1], s[8:9], 3
	s_waitcnt lgkmcnt(0)
	s_add_u32 s2, s14, s0
	s_addc_u32 s3, s15, s1
	s_load_dwordx2 s[14:15], s[2:3], 0x0
	s_lshl_b32 s8, s6, 5
	s_lshl_b32 s20, s7, 5
	s_cmp_lt_i32 s11, 1
	s_cbranch_scc1 .LBB842_11
; %bb.1:
	s_load_dword s21, s[4:5], 0x18
	s_load_dwordx2 s[2:3], s[4:5], 0x28
	s_load_dword s22, s[4:5], 0x30
	v_lshl_add_u32 v2, v1, 4, v0
	v_and_b32_e32 v8, 7, v0
	v_lshrrev_b32_e32 v9, 5, v2
	v_lshrrev_b32_e32 v3, 3, v2
	v_and_b32_e32 v2, 31, v2
	v_or_b32_e32 v5, s8, v2
	s_waitcnt lgkmcnt(0)
	s_add_u32 s2, s2, s0
	v_lshlrev_b32_e32 v6, 3, v8
	v_add_u32_e32 v4, s20, v3
	s_addc_u32 s3, s3, s1
	v_cmp_gt_i32_e32 vcc, s10, v5
	v_lshlrev_b32_e32 v5, 3, v2
	v_lshl_or_b32 v3, v3, 6, v6
	v_add_u32_e32 v2, s8, v2
	s_load_dwordx2 s[6:7], s[2:3], 0x0
	v_add_u32_e32 v11, 0x800, v3
	v_mad_i64_i32 v[2:3], s[2:3], s21, v2, 0
	s_add_u32 s0, s18, s0
	v_lshl_or_b32 v10, v9, 8, v5
	v_mov_b32_e32 v5, 0x800
	v_lshlrev_b64 v[2:3], 3, v[2:3]
	s_addc_u32 s1, s19, s1
	v_lshl_add_u32 v13, v1, 6, v5
	v_lshlrev_b32_e32 v5, 3, v9
	s_load_dwordx2 s[18:19], s[0:1], 0x0
	v_add_co_u32_e64 v2, s[2:3], v2, v5
	v_cmp_gt_i32_e64 s[0:1], s10, v4
	v_addc_co_u32_e64 v3, s[2:3], 0, v3, s[2:3]
	v_mad_i64_i32 v[4:5], s[2:3], s22, v4, 0
	s_waitcnt lgkmcnt(0)
	v_mov_b32_e32 v7, s19
	v_add_co_u32_e64 v2, s[2:3], s18, v2
	v_lshlrev_b64 v[4:5], 3, v[4:5]
	v_addc_co_u32_e64 v3, s[2:3], v7, v3, s[2:3]
	v_add_co_u32_e64 v4, s[2:3], v4, v6
	v_addc_co_u32_e64 v5, s[2:3], 0, v5, s[2:3]
	v_mov_b32_e32 v6, s7
	v_add_co_u32_e64 v4, s[2:3], s6, v4
	v_addc_co_u32_e64 v5, s[2:3], v6, v5, s[2:3]
	v_lshlrev_b32_e32 v12, 3, v0
	s_xor_b64 s[2:3], vcc, -1
	s_xor_b64 s[0:1], s[0:1], -1
	v_mov_b32_e32 v17, 0
	v_mov_b32_e32 v16, 0
	;; [unrolled: 1-line block ×9, first 2 shown]
	s_branch .LBB842_3
.LBB842_2:                              ;   in Loop: Header=BB842_3 Depth=1
	s_or_b64 exec, exec, s[6:7]
	s_waitcnt lgkmcnt(0)
	s_barrier
	ds_read2_b64 v[22:25], v12 offset1:16
	ds_read_b128 v[26:29], v13
	ds_read_b128 v[30:33], v13 offset:16
	v_add_co_u32_e32 v2, vcc, 64, v2
	v_addc_co_u32_e32 v3, vcc, 0, v3, vcc
	s_waitcnt lgkmcnt(1)
	v_mul_f32_e32 v34, v26, v23
	v_fmac_f32_e32 v34, v27, v22
	v_add_f32_e32 v46, v21, v34
	ds_read_b128 v[34:37], v13 offset:1024
	v_mul_f32_e32 v7, v27, v23
	v_fma_f32 v7, v26, v22, -v7
	v_add_f32_e32 v7, v20, v7
	v_mul_f32_e32 v20, v27, v25
	v_mul_f32_e32 v21, v26, v25
	v_fma_f32 v20, v26, v24, -v20
	v_fmac_f32_e32 v21, v27, v24
	v_add_f32_e32 v26, v18, v20
	v_add_f32_e32 v27, v19, v21
	ds_read_b128 v[18:21], v13 offset:1040
	s_waitcnt lgkmcnt(1)
	v_mul_f32_e32 v38, v35, v23
	v_mul_f32_e32 v23, v34, v23
	v_fma_f32 v38, v34, v22, -v38
	v_fmac_f32_e32 v23, v35, v22
	v_mul_f32_e32 v22, v35, v25
	v_fma_f32 v47, v34, v24, -v22
	v_mul_f32_e32 v34, v34, v25
	v_add_f32_e32 v14, v14, v38
	v_add_f32_e32 v15, v15, v23
	v_fmac_f32_e32 v34, v35, v24
	ds_read2_b64 v[22:25], v12 offset0:32 offset1:48
	ds_read_b128 v[38:41], v13 offset:32
	ds_read_b128 v[42:45], v13 offset:48
	v_add_f32_e32 v35, v16, v47
	v_add_f32_e32 v34, v17, v34
	s_waitcnt lgkmcnt(2)
	v_mul_f32_e32 v16, v29, v23
	v_fma_f32 v16, v28, v22, -v16
	v_mul_f32_e32 v17, v28, v23
	v_fmac_f32_e32 v17, v29, v22
	v_add_f32_e32 v7, v7, v16
	v_mul_f32_e32 v16, v29, v25
	v_add_f32_e32 v46, v46, v17
	v_fma_f32 v16, v28, v24, -v16
	v_mul_f32_e32 v17, v28, v25
	v_fmac_f32_e32 v17, v29, v24
	v_add_f32_e32 v26, v26, v16
	v_mul_f32_e32 v16, v37, v23
	v_add_f32_e32 v27, v27, v17
	;; [unrolled: 6-line block ×3, first 2 shown]
	v_fma_f32 v28, v36, v24, -v14
	ds_read2_b64 v[14:17], v12 offset0:64 offset1:80
	v_mul_f32_e32 v25, v36, v25
	v_fmac_f32_e32 v25, v37, v24
	v_add_f32_e32 v29, v34, v25
	v_add_f32_e32 v28, v35, v28
	s_waitcnt lgkmcnt(0)
	v_mul_f32_e32 v24, v31, v15
	v_fma_f32 v24, v30, v14, -v24
	v_add_f32_e32 v7, v7, v24
	v_mul_f32_e32 v24, v31, v17
	v_mul_f32_e32 v25, v30, v15
	v_fma_f32 v24, v30, v16, -v24
	v_fmac_f32_e32 v25, v31, v14
	v_add_f32_e32 v26, v26, v24
	v_mul_f32_e32 v24, v19, v15
	v_add_f32_e32 v34, v46, v25
	v_mul_f32_e32 v25, v30, v17
	v_fma_f32 v24, v18, v14, -v24
	v_mul_f32_e32 v15, v18, v15
	v_fmac_f32_e32 v25, v31, v16
	v_fmac_f32_e32 v15, v19, v14
	v_add_f32_e32 v14, v22, v24
	v_mul_f32_e32 v22, v19, v17
	v_add_f32_e32 v27, v27, v25
	v_add_f32_e32 v15, v23, v15
	v_fma_f32 v30, v18, v16, -v22
	ds_read2_b64 v[22:25], v12 offset0:96 offset1:112
	v_mul_f32_e32 v17, v18, v17
	v_fmac_f32_e32 v17, v19, v16
	v_add_f32_e32 v19, v29, v17
	v_add_f32_e32 v18, v28, v30
	s_waitcnt lgkmcnt(0)
	v_mul_f32_e32 v16, v33, v23
	v_fma_f32 v16, v32, v22, -v16
	v_mul_f32_e32 v17, v32, v23
	v_fmac_f32_e32 v17, v33, v22
	v_add_f32_e32 v7, v7, v16
	v_mul_f32_e32 v16, v33, v25
	v_add_f32_e32 v28, v34, v17
	v_fma_f32 v16, v32, v24, -v16
	v_mul_f32_e32 v17, v32, v25
	v_fmac_f32_e32 v17, v33, v24
	v_add_f32_e32 v26, v26, v16
	v_mul_f32_e32 v16, v21, v23
	v_add_f32_e32 v27, v27, v17
	;; [unrolled: 6-line block ×3, first 2 shown]
	v_fma_f32 v22, v20, v24, -v14
	ds_read2_b64 v[14:17], v12 offset0:128 offset1:144
	v_mul_f32_e32 v20, v20, v25
	v_fmac_f32_e32 v20, v21, v24
	v_add_f32_e32 v31, v18, v22
	v_add_f32_e32 v32, v19, v20
	s_waitcnt lgkmcnt(0)
	v_mul_f32_e32 v18, v39, v15
	v_fma_f32 v18, v38, v14, -v18
	v_mul_f32_e32 v19, v38, v15
	v_fmac_f32_e32 v19, v39, v14
	v_add_f32_e32 v7, v7, v18
	v_mul_f32_e32 v18, v39, v17
	v_add_f32_e32 v33, v28, v19
	v_fma_f32 v22, v38, v16, -v18
	ds_read_b128 v[18:21], v13 offset:1056
	v_mul_f32_e32 v23, v38, v17
	v_fmac_f32_e32 v23, v39, v16
	v_add_f32_e32 v34, v26, v22
	v_add_f32_e32 v35, v27, v23
	ds_read_b128 v[22:25], v13 offset:1072
	s_waitcnt lgkmcnt(1)
	v_mul_f32_e32 v26, v19, v15
	v_fma_f32 v26, v18, v14, -v26
	v_mul_f32_e32 v15, v18, v15
	v_fmac_f32_e32 v15, v19, v14
	v_add_f32_e32 v14, v29, v26
	v_mul_f32_e32 v26, v19, v17
	v_add_f32_e32 v15, v30, v15
	v_fma_f32 v30, v18, v16, -v26
	ds_read2_b64 v[26:29], v12 offset0:160 offset1:176
	v_mul_f32_e32 v17, v18, v17
	v_fmac_f32_e32 v17, v19, v16
	v_add_f32_e32 v19, v32, v17
	v_add_f32_e32 v18, v31, v30
	s_waitcnt lgkmcnt(0)
	v_mul_f32_e32 v16, v41, v27
	v_fma_f32 v16, v40, v26, -v16
	v_mul_f32_e32 v17, v40, v27
	v_fmac_f32_e32 v17, v41, v26
	v_add_f32_e32 v7, v7, v16
	v_mul_f32_e32 v16, v41, v29
	v_add_f32_e32 v30, v33, v17
	v_fma_f32 v16, v40, v28, -v16
	v_mul_f32_e32 v17, v40, v29
	v_fmac_f32_e32 v17, v41, v28
	v_add_f32_e32 v31, v34, v16
	v_mul_f32_e32 v16, v21, v27
	v_add_f32_e32 v32, v35, v17
	v_fma_f32 v16, v20, v26, -v16
	v_mul_f32_e32 v17, v20, v27
	v_fmac_f32_e32 v17, v21, v26
	v_add_f32_e32 v26, v14, v16
	v_mul_f32_e32 v14, v21, v29
	v_add_f32_e32 v27, v15, v17
	v_fma_f32 v33, v20, v28, -v14
	ds_read2_b64 v[14:17], v12 offset0:192 offset1:208
	v_mul_f32_e32 v20, v20, v29
	v_fmac_f32_e32 v20, v21, v28
	v_add_f32_e32 v19, v19, v20
	v_add_f32_e32 v18, v18, v33
	s_waitcnt lgkmcnt(0)
	v_mul_f32_e32 v20, v43, v15
	v_fma_f32 v20, v42, v14, -v20
	v_mul_f32_e32 v21, v42, v15
	v_add_f32_e32 v7, v7, v20
	v_mul_f32_e32 v20, v43, v17
	v_fmac_f32_e32 v21, v43, v14
	v_fma_f32 v20, v42, v16, -v20
	v_add_f32_e32 v21, v30, v21
	v_mul_f32_e32 v28, v42, v17
	v_add_f32_e32 v30, v31, v20
	v_mul_f32_e32 v20, v23, v15
	v_mul_f32_e32 v15, v22, v15
	v_fmac_f32_e32 v28, v43, v16
	v_fma_f32 v20, v22, v14, -v20
	v_fmac_f32_e32 v15, v23, v14
	v_add_f32_e32 v31, v32, v28
	v_add_f32_e32 v14, v26, v20
	;; [unrolled: 1-line block ×3, first 2 shown]
	ds_read2_b64 v[26:29], v12 offset0:224 offset1:240
	v_mul_f32_e32 v20, v23, v17
	v_fma_f32 v20, v22, v16, -v20
	v_mul_f32_e32 v17, v22, v17
	v_fmac_f32_e32 v17, v23, v16
	v_add_f32_e32 v16, v18, v20
	s_waitcnt lgkmcnt(0)
	v_mul_f32_e32 v18, v45, v27
	v_fma_f32 v18, v44, v26, -v18
	v_add_f32_e32 v20, v7, v18
	v_mul_f32_e32 v7, v45, v29
	v_fma_f32 v7, v44, v28, -v7
	v_add_f32_e32 v17, v19, v17
	v_mul_f32_e32 v19, v44, v27
	v_add_f32_e32 v18, v30, v7
	v_mul_f32_e32 v7, v25, v27
	v_mul_f32_e32 v22, v24, v27
	v_fmac_f32_e32 v19, v45, v26
	v_fma_f32 v7, v24, v26, -v7
	v_fmac_f32_e32 v22, v25, v26
	v_add_f32_e32 v21, v21, v19
	v_mul_f32_e32 v19, v44, v29
	v_add_f32_e32 v14, v14, v7
	v_add_f32_e32 v15, v15, v22
	v_mul_f32_e32 v7, v25, v29
	v_mul_f32_e32 v22, v24, v29
	v_fmac_f32_e32 v19, v45, v28
	v_fma_f32 v7, v24, v28, -v7
	v_fmac_f32_e32 v22, v25, v28
	s_add_i32 s9, s9, 8
	v_add_co_u32_e32 v4, vcc, 64, v4
	v_add_f32_e32 v19, v31, v19
	v_add_f32_e32 v16, v16, v7
	;; [unrolled: 1-line block ×3, first 2 shown]
	s_cmp_ge_i32 s9, s11
	v_addc_co_u32_e32 v5, vcc, 0, v5, vcc
	s_barrier
	s_cbranch_scc1 .LBB842_12
.LBB842_3:                              ; =>This Inner Loop Header: Depth=1
	v_add_u32_e32 v7, s9, v9
	v_cmp_le_i32_e32 vcc, s11, v7
	s_or_b64 s[6:7], s[2:3], vcc
	s_and_saveexec_b64 s[18:19], s[6:7]
	s_xor_b64 s[6:7], exec, s[18:19]
; %bb.4:                                ;   in Loop: Header=BB842_3 Depth=1
	ds_write_b32 v10, v6
; %bb.5:                                ;   in Loop: Header=BB842_3 Depth=1
	s_or_saveexec_b64 s[6:7], s[6:7]
	v_mov_b32_e32 v7, 0
	s_xor_b64 exec, exec, s[6:7]
	s_cbranch_execz .LBB842_7
; %bb.6:                                ;   in Loop: Header=BB842_3 Depth=1
	flat_load_dwordx2 v[22:23], v[2:3]
	s_waitcnt vmcnt(0) lgkmcnt(0)
	v_xor_b32_e32 v7, 0x80000000, v23
	ds_write_b32 v10, v22
.LBB842_7:                              ;   in Loop: Header=BB842_3 Depth=1
	s_or_b64 exec, exec, s[6:7]
	ds_write_b32 v10, v7 offset:4
	v_add_u32_e32 v7, s9, v8
	v_cmp_le_i32_e32 vcc, s11, v7
	s_or_b64 s[6:7], vcc, s[0:1]
	s_and_saveexec_b64 s[18:19], s[6:7]
	s_xor_b64 s[6:7], exec, s[18:19]
; %bb.8:                                ;   in Loop: Header=BB842_3 Depth=1
	v_mov_b32_e32 v7, v6
	ds_write_b64 v11, v[6:7]
; %bb.9:                                ;   in Loop: Header=BB842_3 Depth=1
	s_andn2_saveexec_b64 s[6:7], s[6:7]
	s_cbranch_execz .LBB842_2
; %bb.10:                               ;   in Loop: Header=BB842_3 Depth=1
	flat_load_dwordx2 v[22:23], v[4:5]
	s_waitcnt vmcnt(0) lgkmcnt(0)
	ds_write_b64 v11, v[22:23]
	s_branch .LBB842_2
.LBB842_11:
	v_mov_b32_e32 v20, 0
	v_mov_b32_e32 v21, 0
	;; [unrolled: 1-line block ×8, first 2 shown]
.LBB842_12:
	s_load_dword s4, s[4:5], 0x50
	v_add_u32_e32 v5, s20, v1
	s_waitcnt lgkmcnt(0)
	v_mov_b32_e32 v3, s15
	v_add_u32_e32 v0, s8, v0
	v_cmp_gt_i32_e32 vcc, s10, v5
	v_mad_i64_i32 v[1:2], s[0:1], v5, s4, 0
	v_lshlrev_b64 v[1:2], 3, v[1:2]
	v_add_co_u32_e64 v4, s[0:1], s14, v1
	v_addc_co_u32_e64 v6, s[0:1], v3, v2, s[0:1]
	v_cmp_le_i32_e64 s[0:1], v0, v5
	s_and_b64 s[0:1], vcc, s[0:1]
	s_and_saveexec_b64 s[2:3], s[0:1]
	s_cbranch_execz .LBB842_15
; %bb.13:
	v_ashrrev_i32_e32 v1, 31, v0
	v_lshlrev_b64 v[1:2], 3, v[0:1]
	v_mul_f32_e32 v3, s17, v21
	v_add_co_u32_e64 v1, s[0:1], v4, v1
	v_addc_co_u32_e64 v2, s[0:1], v6, v2, s[0:1]
	flat_load_dwordx2 v[7:8], v[1:2]
	v_mul_f32_e32 v9, s16, v21
	v_fma_f32 v3, v20, s16, -v3
	v_fmac_f32_e32 v9, s17, v20
	v_cmp_eq_u32_e64 s[0:1], v5, v0
	s_waitcnt vmcnt(0) lgkmcnt(0)
	v_mul_f32_e32 v10, s13, v8
	v_mul_f32_e32 v8, s12, v8
	v_fma_f32 v10, v7, s12, -v10
	v_fmac_f32_e32 v8, s13, v7
	v_add_f32_e32 v7, v3, v10
	v_add_f32_e32 v8, v9, v8
	flat_store_dwordx2 v[1:2], v[7:8]
	s_and_b64 exec, exec, s[0:1]
	s_cbranch_execz .LBB842_15
; %bb.14:
	v_mov_b32_e32 v3, 0
	flat_store_dword v[1:2], v3 offset:4
.LBB842_15:
	s_or_b64 exec, exec, s[2:3]
	v_add_u32_e32 v2, 16, v0
	v_cmp_le_i32_e64 s[0:1], v2, v5
	s_and_b64 s[2:3], vcc, s[0:1]
	s_and_saveexec_b64 s[0:1], s[2:3]
	s_cbranch_execz .LBB842_18
; %bb.16:
	v_ashrrev_i32_e32 v3, 31, v2
	v_lshlrev_b64 v[7:8], 3, v[2:3]
	v_mul_f32_e32 v1, s17, v19
	v_add_co_u32_e32 v3, vcc, v4, v7
	v_addc_co_u32_e32 v4, vcc, v6, v8, vcc
	flat_load_dwordx2 v[6:7], v[3:4]
	v_mul_f32_e32 v8, s16, v19
	v_fma_f32 v1, v18, s16, -v1
	v_fmac_f32_e32 v8, s17, v18
	v_cmp_eq_u32_e32 vcc, v5, v2
	s_waitcnt vmcnt(0) lgkmcnt(0)
	v_mul_f32_e32 v9, s13, v7
	v_mul_f32_e32 v7, s12, v7
	v_fma_f32 v9, v6, s12, -v9
	v_fmac_f32_e32 v7, s13, v6
	v_add_f32_e32 v6, v1, v9
	v_add_f32_e32 v7, v8, v7
	flat_store_dwordx2 v[3:4], v[6:7]
	s_and_b64 exec, exec, vcc
	s_cbranch_execz .LBB842_18
; %bb.17:
	v_mov_b32_e32 v1, 0
	flat_store_dword v[3:4], v1 offset:4
.LBB842_18:
	s_or_b64 exec, exec, s[0:1]
	v_add_u32_e32 v8, 16, v5
	v_mad_i64_i32 v[3:4], s[0:1], v8, s4, 0
	v_mov_b32_e32 v1, s15
	v_cmp_gt_i32_e32 vcc, s10, v8
	v_lshlrev_b64 v[3:4], 3, v[3:4]
	v_add_co_u32_e64 v6, s[0:1], s14, v3
	v_addc_co_u32_e64 v7, s[0:1], v1, v4, s[0:1]
	v_cmp_le_i32_e64 s[0:1], v0, v8
	s_and_b64 s[0:1], vcc, s[0:1]
	s_and_saveexec_b64 s[2:3], s[0:1]
	s_cbranch_execz .LBB842_21
; %bb.19:
	v_ashrrev_i32_e32 v1, 31, v0
	v_lshlrev_b64 v[3:4], 3, v[0:1]
	v_mul_f32_e32 v1, s17, v15
	v_add_co_u32_e64 v3, s[0:1], v6, v3
	v_addc_co_u32_e64 v4, s[0:1], v7, v4, s[0:1]
	flat_load_dwordx2 v[9:10], v[3:4]
	v_mul_f32_e32 v11, s16, v15
	v_fma_f32 v1, v14, s16, -v1
	v_fmac_f32_e32 v11, s17, v14
	v_cmp_eq_u32_e64 s[0:1], v8, v0
	s_waitcnt vmcnt(0) lgkmcnt(0)
	v_mul_f32_e32 v12, s13, v10
	v_mul_f32_e32 v10, s12, v10
	v_fma_f32 v12, v9, s12, -v12
	v_fmac_f32_e32 v10, s13, v9
	v_add_f32_e32 v9, v1, v12
	v_add_f32_e32 v10, v11, v10
	flat_store_dwordx2 v[3:4], v[9:10]
	s_and_b64 exec, exec, s[0:1]
	s_cbranch_execz .LBB842_21
; %bb.20:
	v_mov_b32_e32 v1, 0
	flat_store_dword v[3:4], v1 offset:4
.LBB842_21:
	s_or_b64 exec, exec, s[2:3]
	v_cmp_le_i32_e64 s[0:1], v2, v8
	s_and_b64 s[0:1], vcc, s[0:1]
	s_and_saveexec_b64 s[2:3], s[0:1]
	s_cbranch_execz .LBB842_24
; %bb.22:
	v_ashrrev_i32_e32 v3, 31, v2
	v_lshlrev_b64 v[1:2], 3, v[2:3]
	v_add_co_u32_e32 v1, vcc, v6, v1
	v_addc_co_u32_e32 v2, vcc, v7, v2, vcc
	flat_load_dwordx2 v[3:4], v[1:2]
	v_mul_f32_e32 v6, s17, v17
	v_mul_f32_e32 v7, s16, v17
	v_fma_f32 v6, v16, s16, -v6
	v_fmac_f32_e32 v7, s17, v16
	v_cmp_eq_u32_e32 vcc, v5, v0
	s_waitcnt vmcnt(0) lgkmcnt(0)
	v_mul_f32_e32 v8, s13, v4
	v_mul_f32_e32 v4, s12, v4
	v_fma_f32 v8, v3, s12, -v8
	v_fmac_f32_e32 v4, s13, v3
	v_add_f32_e32 v3, v6, v8
	v_add_f32_e32 v4, v7, v4
	flat_store_dwordx2 v[1:2], v[3:4]
	s_and_b64 exec, exec, vcc
	s_cbranch_execz .LBB842_24
; %bb.23:
	v_mov_b32_e32 v0, 0
	flat_store_dword v[1:2], v0 offset:4
.LBB842_24:
	s_endpgm
	.section	.rodata,"a",@progbits
	.p2align	6, 0x0
	.amdhsa_kernel _ZL34rocblas_syrkx_herkx_general_kernelIi19rocblas_complex_numIfELi16ELi32ELi8ELb0ELb1ELc67ELc85EKPKS1_KPS1_EviT_T0_PT8_S7_lSA_S7_lS8_PT9_S7_li
		.amdhsa_group_segment_fixed_size 4096
		.amdhsa_private_segment_fixed_size 0
		.amdhsa_kernarg_size 100
		.amdhsa_user_sgpr_count 6
		.amdhsa_user_sgpr_private_segment_buffer 1
		.amdhsa_user_sgpr_dispatch_ptr 0
		.amdhsa_user_sgpr_queue_ptr 0
		.amdhsa_user_sgpr_kernarg_segment_ptr 1
		.amdhsa_user_sgpr_dispatch_id 0
		.amdhsa_user_sgpr_flat_scratch_init 0
		.amdhsa_user_sgpr_private_segment_size 0
		.amdhsa_uses_dynamic_stack 0
		.amdhsa_system_sgpr_private_segment_wavefront_offset 0
		.amdhsa_system_sgpr_workgroup_id_x 1
		.amdhsa_system_sgpr_workgroup_id_y 1
		.amdhsa_system_sgpr_workgroup_id_z 1
		.amdhsa_system_sgpr_workgroup_info 0
		.amdhsa_system_vgpr_workitem_id 1
		.amdhsa_next_free_vgpr 48
		.amdhsa_next_free_sgpr 23
		.amdhsa_reserve_vcc 1
		.amdhsa_reserve_flat_scratch 0
		.amdhsa_float_round_mode_32 0
		.amdhsa_float_round_mode_16_64 0
		.amdhsa_float_denorm_mode_32 3
		.amdhsa_float_denorm_mode_16_64 3
		.amdhsa_dx10_clamp 1
		.amdhsa_ieee_mode 1
		.amdhsa_fp16_overflow 0
		.amdhsa_exception_fp_ieee_invalid_op 0
		.amdhsa_exception_fp_denorm_src 0
		.amdhsa_exception_fp_ieee_div_zero 0
		.amdhsa_exception_fp_ieee_overflow 0
		.amdhsa_exception_fp_ieee_underflow 0
		.amdhsa_exception_fp_ieee_inexact 0
		.amdhsa_exception_int_div_zero 0
	.end_amdhsa_kernel
	.section	.text._ZL34rocblas_syrkx_herkx_general_kernelIi19rocblas_complex_numIfELi16ELi32ELi8ELb0ELb1ELc67ELc85EKPKS1_KPS1_EviT_T0_PT8_S7_lSA_S7_lS8_PT9_S7_li,"axG",@progbits,_ZL34rocblas_syrkx_herkx_general_kernelIi19rocblas_complex_numIfELi16ELi32ELi8ELb0ELb1ELc67ELc85EKPKS1_KPS1_EviT_T0_PT8_S7_lSA_S7_lS8_PT9_S7_li,comdat
.Lfunc_end842:
	.size	_ZL34rocblas_syrkx_herkx_general_kernelIi19rocblas_complex_numIfELi16ELi32ELi8ELb0ELb1ELc67ELc85EKPKS1_KPS1_EviT_T0_PT8_S7_lSA_S7_lS8_PT9_S7_li, .Lfunc_end842-_ZL34rocblas_syrkx_herkx_general_kernelIi19rocblas_complex_numIfELi16ELi32ELi8ELb0ELb1ELc67ELc85EKPKS1_KPS1_EviT_T0_PT8_S7_lSA_S7_lS8_PT9_S7_li
                                        ; -- End function
	.set _ZL34rocblas_syrkx_herkx_general_kernelIi19rocblas_complex_numIfELi16ELi32ELi8ELb0ELb1ELc67ELc85EKPKS1_KPS1_EviT_T0_PT8_S7_lSA_S7_lS8_PT9_S7_li.num_vgpr, 48
	.set _ZL34rocblas_syrkx_herkx_general_kernelIi19rocblas_complex_numIfELi16ELi32ELi8ELb0ELb1ELc67ELc85EKPKS1_KPS1_EviT_T0_PT8_S7_lSA_S7_lS8_PT9_S7_li.num_agpr, 0
	.set _ZL34rocblas_syrkx_herkx_general_kernelIi19rocblas_complex_numIfELi16ELi32ELi8ELb0ELb1ELc67ELc85EKPKS1_KPS1_EviT_T0_PT8_S7_lSA_S7_lS8_PT9_S7_li.numbered_sgpr, 23
	.set _ZL34rocblas_syrkx_herkx_general_kernelIi19rocblas_complex_numIfELi16ELi32ELi8ELb0ELb1ELc67ELc85EKPKS1_KPS1_EviT_T0_PT8_S7_lSA_S7_lS8_PT9_S7_li.num_named_barrier, 0
	.set _ZL34rocblas_syrkx_herkx_general_kernelIi19rocblas_complex_numIfELi16ELi32ELi8ELb0ELb1ELc67ELc85EKPKS1_KPS1_EviT_T0_PT8_S7_lSA_S7_lS8_PT9_S7_li.private_seg_size, 0
	.set _ZL34rocblas_syrkx_herkx_general_kernelIi19rocblas_complex_numIfELi16ELi32ELi8ELb0ELb1ELc67ELc85EKPKS1_KPS1_EviT_T0_PT8_S7_lSA_S7_lS8_PT9_S7_li.uses_vcc, 1
	.set _ZL34rocblas_syrkx_herkx_general_kernelIi19rocblas_complex_numIfELi16ELi32ELi8ELb0ELb1ELc67ELc85EKPKS1_KPS1_EviT_T0_PT8_S7_lSA_S7_lS8_PT9_S7_li.uses_flat_scratch, 0
	.set _ZL34rocblas_syrkx_herkx_general_kernelIi19rocblas_complex_numIfELi16ELi32ELi8ELb0ELb1ELc67ELc85EKPKS1_KPS1_EviT_T0_PT8_S7_lSA_S7_lS8_PT9_S7_li.has_dyn_sized_stack, 0
	.set _ZL34rocblas_syrkx_herkx_general_kernelIi19rocblas_complex_numIfELi16ELi32ELi8ELb0ELb1ELc67ELc85EKPKS1_KPS1_EviT_T0_PT8_S7_lSA_S7_lS8_PT9_S7_li.has_recursion, 0
	.set _ZL34rocblas_syrkx_herkx_general_kernelIi19rocblas_complex_numIfELi16ELi32ELi8ELb0ELb1ELc67ELc85EKPKS1_KPS1_EviT_T0_PT8_S7_lSA_S7_lS8_PT9_S7_li.has_indirect_call, 0
	.section	.AMDGPU.csdata,"",@progbits
; Kernel info:
; codeLenInByte = 2352
; TotalNumSgprs: 27
; NumVgprs: 48
; ScratchSize: 0
; MemoryBound: 1
; FloatMode: 240
; IeeeMode: 1
; LDSByteSize: 4096 bytes/workgroup (compile time only)
; SGPRBlocks: 3
; VGPRBlocks: 11
; NumSGPRsForWavesPerEU: 27
; NumVGPRsForWavesPerEU: 48
; Occupancy: 5
; WaveLimiterHint : 1
; COMPUTE_PGM_RSRC2:SCRATCH_EN: 0
; COMPUTE_PGM_RSRC2:USER_SGPR: 6
; COMPUTE_PGM_RSRC2:TRAP_HANDLER: 0
; COMPUTE_PGM_RSRC2:TGID_X_EN: 1
; COMPUTE_PGM_RSRC2:TGID_Y_EN: 1
; COMPUTE_PGM_RSRC2:TGID_Z_EN: 1
; COMPUTE_PGM_RSRC2:TIDIG_COMP_CNT: 1
	.section	.text._ZL34rocblas_syrkx_herkx_general_kernelIi19rocblas_complex_numIfELi16ELi32ELi8ELb0ELb1ELc78ELc85EKPKS1_KPS1_EviT_T0_PT8_S7_lSA_S7_lS8_PT9_S7_li,"axG",@progbits,_ZL34rocblas_syrkx_herkx_general_kernelIi19rocblas_complex_numIfELi16ELi32ELi8ELb0ELb1ELc78ELc85EKPKS1_KPS1_EviT_T0_PT8_S7_lSA_S7_lS8_PT9_S7_li,comdat
	.globl	_ZL34rocblas_syrkx_herkx_general_kernelIi19rocblas_complex_numIfELi16ELi32ELi8ELb0ELb1ELc78ELc85EKPKS1_KPS1_EviT_T0_PT8_S7_lSA_S7_lS8_PT9_S7_li ; -- Begin function _ZL34rocblas_syrkx_herkx_general_kernelIi19rocblas_complex_numIfELi16ELi32ELi8ELb0ELb1ELc78ELc85EKPKS1_KPS1_EviT_T0_PT8_S7_lSA_S7_lS8_PT9_S7_li
	.p2align	8
	.type	_ZL34rocblas_syrkx_herkx_general_kernelIi19rocblas_complex_numIfELi16ELi32ELi8ELb0ELb1ELc78ELc85EKPKS1_KPS1_EviT_T0_PT8_S7_lSA_S7_lS8_PT9_S7_li,@function
_ZL34rocblas_syrkx_herkx_general_kernelIi19rocblas_complex_numIfELi16ELi32ELi8ELb0ELb1ELc78ELc85EKPKS1_KPS1_EviT_T0_PT8_S7_lSA_S7_lS8_PT9_S7_li: ; @_ZL34rocblas_syrkx_herkx_general_kernelIi19rocblas_complex_numIfELi16ELi32ELi8ELb0ELb1ELc78ELc85EKPKS1_KPS1_EviT_T0_PT8_S7_lSA_S7_lS8_PT9_S7_li
; %bb.0:
	s_load_dwordx4 s[12:15], s[4:5], 0x40
	s_load_dwordx2 s[10:11], s[4:5], 0x0
	s_load_dwordx4 s[16:19], s[4:5], 0x8
	s_mov_b32 s9, 0
	s_lshl_b64 s[0:1], s[8:9], 3
	s_waitcnt lgkmcnt(0)
	s_add_u32 s2, s14, s0
	s_addc_u32 s3, s15, s1
	s_load_dwordx2 s[14:15], s[2:3], 0x0
	s_lshl_b32 s8, s6, 5
	s_lshl_b32 s22, s7, 5
	s_cmp_lt_i32 s11, 1
	s_cbranch_scc1 .LBB843_11
; %bb.1:
	s_load_dword s6, s[4:5], 0x18
	s_load_dword s20, s[4:5], 0x30
	s_load_dwordx2 s[2:3], s[4:5], 0x28
	v_lshl_add_u32 v2, v1, 4, v0
	v_and_b32_e32 v6, 31, v2
	v_lshrrev_b32_e32 v9, 5, v2
	v_lshrrev_b32_e32 v3, 3, v2
	v_or_b32_e32 v2, s8, v6
	s_waitcnt lgkmcnt(0)
	s_ashr_i32 s7, s6, 31
	s_ashr_i32 s21, s20, 31
	v_and_b32_e32 v8, 7, v0
	v_cmp_gt_i32_e32 vcc, s10, v2
	v_lshlrev_b32_e32 v2, 3, v6
	s_add_u32 s2, s2, s0
	v_lshl_or_b32 v10, v9, 8, v2
	v_lshlrev_b32_e32 v2, 3, v8
	s_addc_u32 s3, s3, s1
	v_lshl_or_b32 v2, v3, 6, v2
	v_add_u32_e32 v4, s22, v3
	s_load_dwordx2 s[24:25], s[2:3], 0x0
	v_add_u32_e32 v11, 0x800, v2
	v_mad_i64_i32 v[2:3], s[2:3], v9, s6, 0
	v_mov_b32_e32 v7, 0x800
	v_add_u32_e32 v6, s8, v6
	v_lshl_add_u32 v13, v1, 6, v7
	v_ashrrev_i32_e32 v7, 31, v6
	s_add_u32 s0, s18, s0
	v_lshlrev_b64 v[2:3], 3, v[2:3]
	v_lshlrev_b64 v[6:7], 3, v[6:7]
	s_addc_u32 s1, s19, s1
	s_load_dwordx2 s[18:19], s[0:1], 0x0
	v_add_co_u32_e64 v2, s[2:3], v2, v6
	v_addc_co_u32_e64 v3, s[2:3], v3, v7, s[2:3]
	v_mad_i64_i32 v[6:7], s[2:3], s20, v8, 0
	v_ashrrev_i32_e32 v5, 31, v4
	v_cmp_gt_i32_e64 s[0:1], s10, v4
	s_waitcnt lgkmcnt(0)
	v_mov_b32_e32 v14, s19
	v_add_co_u32_e64 v2, s[2:3], s18, v2
	v_lshlrev_b64 v[6:7], 3, v[6:7]
	v_lshlrev_b64 v[4:5], 3, v[4:5]
	v_addc_co_u32_e64 v3, s[2:3], v14, v3, s[2:3]
	v_add_co_u32_e64 v4, s[2:3], v6, v4
	v_addc_co_u32_e64 v5, s[2:3], v7, v5, s[2:3]
	v_mov_b32_e32 v6, s25
	v_add_co_u32_e64 v4, s[2:3], s24, v4
	v_addc_co_u32_e64 v5, s[2:3], v6, v5, s[2:3]
	s_lshl_b64 s[6:7], s[6:7], 6
	s_lshl_b64 s[2:3], s[20:21], 6
	v_lshlrev_b32_e32 v12, 3, v0
	s_xor_b64 s[18:19], vcc, -1
	s_xor_b64 s[0:1], s[0:1], -1
	v_mov_b32_e32 v14, s7
	v_mov_b32_e32 v15, s3
	;; [unrolled: 1-line block ×11, first 2 shown]
	s_branch .LBB843_3
.LBB843_2:                              ;   in Loop: Header=BB843_3 Depth=1
	s_or_b64 exec, exec, s[20:21]
	ds_write_b32 v11, v7 offset:4
	s_waitcnt lgkmcnt(0)
	s_barrier
	ds_read2_b64 v[24:27], v12 offset1:16
	ds_read_b128 v[28:31], v13
	ds_read_b128 v[32:35], v13 offset:16
	ds_read2_b64 v[40:43], v12 offset0:32 offset1:48
	v_add_co_u32_e32 v2, vcc, s6, v2
	s_waitcnt lgkmcnt(2)
	v_mul_f32_e32 v36, v28, v25
	v_fmac_f32_e32 v36, v29, v24
	v_add_f32_e32 v44, v22, v36
	ds_read_b128 v[36:39], v13 offset:1024
	v_mul_f32_e32 v7, v29, v25
	v_fma_f32 v7, v28, v24, -v7
	v_add_f32_e32 v7, v20, v7
	v_mul_f32_e32 v20, v29, v27
	v_mul_f32_e32 v22, v28, v27
	v_fma_f32 v20, v28, v26, -v20
	v_fmac_f32_e32 v22, v29, v26
	v_add_f32_e32 v45, v21, v20
	v_add_f32_e32 v46, v23, v22
	ds_read_b128 v[20:23], v13 offset:1040
	s_waitcnt lgkmcnt(1)
	v_mul_f32_e32 v28, v37, v25
	v_fma_f32 v28, v36, v24, -v28
	v_mul_f32_e32 v47, v36, v25
	v_add_f32_e32 v48, v18, v28
	v_mul_f32_e32 v18, v37, v27
	v_fmac_f32_e32 v47, v37, v24
	v_fma_f32 v18, v36, v26, -v18
	v_mul_f32_e32 v36, v36, v27
	v_mul_f32_e32 v24, v31, v41
	v_fmac_f32_e32 v36, v37, v26
	v_fma_f32 v37, v30, v40, -v24
	v_mul_f32_e32 v24, v31, v43
	v_fma_f32 v50, v30, v42, -v24
	v_mul_f32_e32 v24, v39, v41
	v_mul_f32_e32 v49, v30, v41
	v_fma_f32 v52, v38, v40, -v24
	v_mul_f32_e32 v41, v38, v41
	v_mul_f32_e32 v24, v39, v43
	v_fmac_f32_e32 v49, v31, v40
	v_mul_f32_e32 v51, v30, v43
	v_fmac_f32_e32 v41, v39, v40
	v_fma_f32 v40, v38, v42, -v24
	v_mul_f32_e32 v38, v38, v43
	v_fmac_f32_e32 v51, v31, v42
	v_fmac_f32_e32 v38, v39, v42
	ds_read_b128 v[24:27], v13 offset:32
	ds_read_b128 v[28:31], v13 offset:48
	v_add_f32_e32 v39, v16, v47
	v_add_f32_e32 v42, v17, v18
	;; [unrolled: 1-line block ×3, first 2 shown]
	ds_read2_b64 v[16:19], v12 offset0:64 offset1:80
	v_add_f32_e32 v39, v39, v41
	v_add_f32_e32 v41, v36, v38
	;; [unrolled: 1-line block ×4, first 2 shown]
	s_waitcnt lgkmcnt(0)
	v_mul_f32_e32 v36, v33, v17
	v_fma_f32 v36, v32, v16, -v36
	v_add_f32_e32 v7, v7, v36
	v_mul_f32_e32 v36, v33, v19
	v_mul_f32_e32 v38, v32, v17
	v_fma_f32 v36, v32, v18, -v36
	v_mul_f32_e32 v32, v32, v19
	v_fmac_f32_e32 v38, v33, v16
	v_fmac_f32_e32 v32, v33, v18
	v_add_f32_e32 v33, v43, v36
	v_mul_f32_e32 v36, v21, v17
	v_add_f32_e32 v45, v48, v52
	v_fma_f32 v36, v20, v16, -v36
	v_mul_f32_e32 v17, v20, v17
	v_add_f32_e32 v37, v44, v49
	v_fmac_f32_e32 v17, v21, v16
	v_add_f32_e32 v16, v45, v36
	v_mul_f32_e32 v36, v21, v19
	v_add_f32_e32 v40, v42, v40
	v_add_f32_e32 v42, v37, v38
	;; [unrolled: 1-line block ×3, first 2 shown]
	v_fma_f32 v43, v20, v18, -v36
	ds_read2_b64 v[36:39], v12 offset0:96 offset1:112
	v_mul_f32_e32 v19, v20, v19
	v_fmac_f32_e32 v19, v21, v18
	v_add_f32_e32 v21, v41, v19
	v_add_f32_e32 v44, v46, v51
	s_waitcnt lgkmcnt(0)
	v_mul_f32_e32 v18, v35, v37
	v_fma_f32 v18, v34, v36, -v18
	v_mul_f32_e32 v19, v34, v37
	v_fmac_f32_e32 v19, v35, v36
	v_add_f32_e32 v7, v7, v18
	v_mul_f32_e32 v18, v35, v39
	v_add_f32_e32 v20, v40, v43
	v_add_f32_e32 v40, v42, v19
	v_fma_f32 v18, v34, v38, -v18
	v_mul_f32_e32 v19, v34, v39
	v_add_f32_e32 v32, v44, v32
	v_fmac_f32_e32 v19, v35, v38
	v_add_f32_e32 v33, v33, v18
	v_mul_f32_e32 v18, v23, v37
	v_add_f32_e32 v32, v32, v19
	v_fma_f32 v18, v22, v36, -v18
	v_mul_f32_e32 v19, v22, v37
	v_fmac_f32_e32 v19, v23, v36
	v_add_f32_e32 v36, v16, v18
	v_mul_f32_e32 v16, v23, v39
	v_add_f32_e32 v37, v17, v19
	v_fma_f32 v34, v22, v38, -v16
	ds_read2_b64 v[16:19], v12 offset0:128 offset1:144
	v_mul_f32_e32 v22, v22, v39
	v_fmac_f32_e32 v22, v23, v38
	v_add_f32_e32 v41, v20, v34
	v_add_f32_e32 v42, v21, v22
	s_waitcnt lgkmcnt(0)
	v_mul_f32_e32 v20, v25, v17
	v_fma_f32 v20, v24, v16, -v20
	v_mul_f32_e32 v21, v24, v17
	v_fmac_f32_e32 v21, v25, v16
	v_add_f32_e32 v7, v7, v20
	v_mul_f32_e32 v20, v25, v19
	v_add_f32_e32 v40, v40, v21
	v_fma_f32 v34, v24, v18, -v20
	ds_read_b128 v[20:23], v13 offset:1056
	v_mul_f32_e32 v24, v24, v19
	v_fmac_f32_e32 v24, v25, v18
	v_add_f32_e32 v25, v33, v34
	v_add_f32_e32 v24, v32, v24
	ds_read_b128 v[32:35], v13 offset:1072
	s_waitcnt lgkmcnt(1)
	v_mul_f32_e32 v38, v21, v17
	v_fma_f32 v38, v20, v16, -v38
	v_mul_f32_e32 v17, v20, v17
	v_fmac_f32_e32 v17, v21, v16
	v_add_f32_e32 v16, v36, v38
	v_mul_f32_e32 v36, v21, v19
	v_add_f32_e32 v17, v37, v17
	v_fma_f32 v43, v20, v18, -v36
	ds_read2_b64 v[36:39], v12 offset0:160 offset1:176
	v_mul_f32_e32 v19, v20, v19
	v_fmac_f32_e32 v19, v21, v18
	v_add_f32_e32 v21, v42, v19
	v_add_f32_e32 v20, v41, v43
	s_waitcnt lgkmcnt(0)
	v_mul_f32_e32 v18, v27, v37
	v_fma_f32 v18, v26, v36, -v18
	v_mul_f32_e32 v19, v26, v37
	v_fmac_f32_e32 v19, v27, v36
	v_add_f32_e32 v7, v7, v18
	v_mul_f32_e32 v18, v27, v39
	v_add_f32_e32 v40, v40, v19
	v_fma_f32 v18, v26, v38, -v18
	v_mul_f32_e32 v19, v26, v39
	v_fmac_f32_e32 v19, v27, v38
	v_add_f32_e32 v25, v25, v18
	v_mul_f32_e32 v18, v23, v37
	v_add_f32_e32 v24, v24, v19
	;; [unrolled: 6-line block ×3, first 2 shown]
	v_fma_f32 v36, v22, v38, -v16
	ds_read2_b64 v[16:19], v12 offset0:192 offset1:208
	v_mul_f32_e32 v22, v22, v39
	v_fmac_f32_e32 v22, v23, v38
	v_add_f32_e32 v21, v21, v22
	v_add_f32_e32 v20, v20, v36
	s_waitcnt lgkmcnt(0)
	v_mul_f32_e32 v22, v29, v17
	v_mul_f32_e32 v23, v28, v17
	v_fma_f32 v22, v28, v16, -v22
	v_fmac_f32_e32 v23, v29, v16
	v_add_f32_e32 v7, v7, v22
	v_add_f32_e32 v22, v40, v23
	v_mul_f32_e32 v23, v29, v19
	v_fma_f32 v23, v28, v18, -v23
	v_mul_f32_e32 v28, v28, v19
	v_fmac_f32_e32 v28, v29, v18
	v_add_f32_e32 v28, v24, v28
	v_mul_f32_e32 v24, v33, v17
	v_fma_f32 v24, v32, v16, -v24
	v_mul_f32_e32 v17, v32, v17
	v_fmac_f32_e32 v17, v33, v16
	v_add_f32_e32 v16, v26, v24
	v_mul_f32_e32 v24, v33, v19
	v_add_f32_e32 v23, v25, v23
	v_add_f32_e32 v17, v27, v17
	v_fma_f32 v29, v32, v18, -v24
	ds_read2_b64 v[24:27], v12 offset0:224 offset1:240
	v_mul_f32_e32 v19, v32, v19
	v_fmac_f32_e32 v19, v33, v18
	v_add_f32_e32 v29, v20, v29
	v_add_f32_e32 v19, v21, v19
	s_waitcnt lgkmcnt(0)
	v_mul_f32_e32 v18, v31, v25
	v_fma_f32 v18, v30, v24, -v18
	v_mul_f32_e32 v21, v30, v25
	v_add_f32_e32 v20, v7, v18
	v_mul_f32_e32 v7, v31, v27
	v_fmac_f32_e32 v21, v31, v24
	v_fma_f32 v7, v30, v26, -v7
	v_add_f32_e32 v22, v22, v21
	v_mul_f32_e32 v18, v30, v27
	v_add_f32_e32 v21, v23, v7
	v_mul_f32_e32 v7, v35, v25
	v_fmac_f32_e32 v18, v31, v26
	v_fma_f32 v7, v34, v24, -v7
	v_mul_f32_e32 v25, v34, v25
	v_add_f32_e32 v23, v28, v18
	v_fmac_f32_e32 v25, v35, v24
	v_add_f32_e32 v18, v16, v7
	v_mul_f32_e32 v7, v35, v27
	v_mul_f32_e32 v24, v34, v27
	v_addc_co_u32_e32 v3, vcc, v3, v14, vcc
	v_fma_f32 v7, v34, v26, -v7
	v_fmac_f32_e32 v24, v35, v26
	s_add_i32 s9, s9, 8
	v_add_co_u32_e32 v4, vcc, s2, v4
	v_add_f32_e32 v16, v17, v25
	v_add_f32_e32 v17, v29, v7
	;; [unrolled: 1-line block ×3, first 2 shown]
	s_cmp_ge_i32 s9, s11
	v_addc_co_u32_e32 v5, vcc, v5, v15, vcc
	s_barrier
	s_cbranch_scc1 .LBB843_12
.LBB843_3:                              ; =>This Inner Loop Header: Depth=1
	v_add_u32_e32 v7, s9, v9
	v_cmp_le_i32_e32 vcc, s11, v7
	s_or_b64 s[20:21], s[18:19], vcc
	s_and_saveexec_b64 s[24:25], s[20:21]
	s_xor_b64 s[20:21], exec, s[24:25]
; %bb.4:                                ;   in Loop: Header=BB843_3 Depth=1
	v_mov_b32_e32 v7, v6
	ds_write_b64 v10, v[6:7]
; %bb.5:                                ;   in Loop: Header=BB843_3 Depth=1
	s_andn2_saveexec_b64 s[20:21], s[20:21]
	s_cbranch_execz .LBB843_7
; %bb.6:                                ;   in Loop: Header=BB843_3 Depth=1
	flat_load_dwordx2 v[24:25], v[2:3]
	s_waitcnt vmcnt(0) lgkmcnt(0)
	ds_write_b64 v10, v[24:25]
.LBB843_7:                              ;   in Loop: Header=BB843_3 Depth=1
	s_or_b64 exec, exec, s[20:21]
	v_add_u32_e32 v7, s9, v8
	v_cmp_le_i32_e32 vcc, s11, v7
	s_or_b64 s[20:21], vcc, s[0:1]
	s_and_saveexec_b64 s[24:25], s[20:21]
	s_xor_b64 s[20:21], exec, s[24:25]
; %bb.8:                                ;   in Loop: Header=BB843_3 Depth=1
	ds_write_b32 v11, v6
; %bb.9:                                ;   in Loop: Header=BB843_3 Depth=1
	s_or_saveexec_b64 s[20:21], s[20:21]
	v_mov_b32_e32 v7, 0
	s_xor_b64 exec, exec, s[20:21]
	s_cbranch_execz .LBB843_2
; %bb.10:                               ;   in Loop: Header=BB843_3 Depth=1
	flat_load_dwordx2 v[24:25], v[4:5]
	s_waitcnt vmcnt(0) lgkmcnt(0)
	v_xor_b32_e32 v7, 0x80000000, v25
	ds_write_b32 v11, v24
	s_branch .LBB843_2
.LBB843_11:
	v_mov_b32_e32 v20, 0
	v_mov_b32_e32 v22, 0
	;; [unrolled: 1-line block ×8, first 2 shown]
.LBB843_12:
	s_load_dword s4, s[4:5], 0x50
	v_add_u32_e32 v5, s22, v1
	s_waitcnt lgkmcnt(0)
	v_mov_b32_e32 v3, s15
	v_add_u32_e32 v0, s8, v0
	v_cmp_gt_i32_e32 vcc, s10, v5
	v_mad_i64_i32 v[1:2], s[0:1], v5, s4, 0
	v_lshlrev_b64 v[1:2], 3, v[1:2]
	v_add_co_u32_e64 v4, s[0:1], s14, v1
	v_addc_co_u32_e64 v6, s[0:1], v3, v2, s[0:1]
	v_cmp_le_i32_e64 s[0:1], v0, v5
	s_and_b64 s[0:1], vcc, s[0:1]
	s_and_saveexec_b64 s[2:3], s[0:1]
	s_cbranch_execz .LBB843_15
; %bb.13:
	v_ashrrev_i32_e32 v1, 31, v0
	v_lshlrev_b64 v[1:2], 3, v[0:1]
	v_mul_f32_e32 v3, s17, v22
	v_add_co_u32_e64 v1, s[0:1], v4, v1
	v_addc_co_u32_e64 v2, s[0:1], v6, v2, s[0:1]
	flat_load_dwordx2 v[7:8], v[1:2]
	v_mul_f32_e32 v9, s16, v22
	v_fma_f32 v3, v20, s16, -v3
	v_fmac_f32_e32 v9, s17, v20
	v_cmp_eq_u32_e64 s[0:1], v5, v0
	s_waitcnt vmcnt(0) lgkmcnt(0)
	v_mul_f32_e32 v10, s13, v8
	v_mul_f32_e32 v8, s12, v8
	v_fma_f32 v10, v7, s12, -v10
	v_fmac_f32_e32 v8, s13, v7
	v_add_f32_e32 v7, v3, v10
	v_add_f32_e32 v8, v9, v8
	flat_store_dwordx2 v[1:2], v[7:8]
	s_and_b64 exec, exec, s[0:1]
	s_cbranch_execz .LBB843_15
; %bb.14:
	v_mov_b32_e32 v3, 0
	flat_store_dword v[1:2], v3 offset:4
.LBB843_15:
	s_or_b64 exec, exec, s[2:3]
	v_add_u32_e32 v2, 16, v0
	v_cmp_le_i32_e64 s[0:1], v2, v5
	s_and_b64 s[2:3], vcc, s[0:1]
	s_and_saveexec_b64 s[0:1], s[2:3]
	s_cbranch_execz .LBB843_18
; %bb.16:
	v_ashrrev_i32_e32 v3, 31, v2
	v_lshlrev_b64 v[7:8], 3, v[2:3]
	v_mul_f32_e32 v1, s17, v23
	v_add_co_u32_e32 v3, vcc, v4, v7
	v_addc_co_u32_e32 v4, vcc, v6, v8, vcc
	flat_load_dwordx2 v[6:7], v[3:4]
	v_mul_f32_e32 v8, s16, v23
	v_fma_f32 v1, v21, s16, -v1
	v_fmac_f32_e32 v8, s17, v21
	v_cmp_eq_u32_e32 vcc, v5, v2
	s_waitcnt vmcnt(0) lgkmcnt(0)
	v_mul_f32_e32 v9, s13, v7
	v_mul_f32_e32 v7, s12, v7
	v_fma_f32 v9, v6, s12, -v9
	v_fmac_f32_e32 v7, s13, v6
	v_add_f32_e32 v6, v1, v9
	v_add_f32_e32 v7, v8, v7
	flat_store_dwordx2 v[3:4], v[6:7]
	s_and_b64 exec, exec, vcc
	s_cbranch_execz .LBB843_18
; %bb.17:
	v_mov_b32_e32 v1, 0
	flat_store_dword v[3:4], v1 offset:4
.LBB843_18:
	s_or_b64 exec, exec, s[0:1]
	v_add_u32_e32 v8, 16, v5
	v_mad_i64_i32 v[3:4], s[0:1], v8, s4, 0
	v_mov_b32_e32 v1, s15
	v_cmp_gt_i32_e32 vcc, s10, v8
	v_lshlrev_b64 v[3:4], 3, v[3:4]
	v_add_co_u32_e64 v6, s[0:1], s14, v3
	v_addc_co_u32_e64 v7, s[0:1], v1, v4, s[0:1]
	v_cmp_le_i32_e64 s[0:1], v0, v8
	s_and_b64 s[0:1], vcc, s[0:1]
	s_and_saveexec_b64 s[2:3], s[0:1]
	s_cbranch_execz .LBB843_21
; %bb.19:
	v_ashrrev_i32_e32 v1, 31, v0
	v_lshlrev_b64 v[3:4], 3, v[0:1]
	v_mul_f32_e32 v1, s17, v16
	v_add_co_u32_e64 v3, s[0:1], v6, v3
	v_addc_co_u32_e64 v4, s[0:1], v7, v4, s[0:1]
	flat_load_dwordx2 v[9:10], v[3:4]
	v_mul_f32_e32 v11, s16, v16
	v_fma_f32 v1, v18, s16, -v1
	v_fmac_f32_e32 v11, s17, v18
	v_cmp_eq_u32_e64 s[0:1], v8, v0
	s_waitcnt vmcnt(0) lgkmcnt(0)
	v_mul_f32_e32 v12, s13, v10
	v_mul_f32_e32 v10, s12, v10
	v_fma_f32 v12, v9, s12, -v12
	v_fmac_f32_e32 v10, s13, v9
	v_add_f32_e32 v9, v1, v12
	v_add_f32_e32 v10, v11, v10
	flat_store_dwordx2 v[3:4], v[9:10]
	s_and_b64 exec, exec, s[0:1]
	s_cbranch_execz .LBB843_21
; %bb.20:
	v_mov_b32_e32 v1, 0
	flat_store_dword v[3:4], v1 offset:4
.LBB843_21:
	s_or_b64 exec, exec, s[2:3]
	v_cmp_le_i32_e64 s[0:1], v2, v8
	s_and_b64 s[0:1], vcc, s[0:1]
	s_and_saveexec_b64 s[2:3], s[0:1]
	s_cbranch_execz .LBB843_24
; %bb.22:
	v_ashrrev_i32_e32 v3, 31, v2
	v_lshlrev_b64 v[1:2], 3, v[2:3]
	v_add_co_u32_e32 v1, vcc, v6, v1
	v_addc_co_u32_e32 v2, vcc, v7, v2, vcc
	flat_load_dwordx2 v[3:4], v[1:2]
	v_mul_f32_e32 v6, s17, v19
	v_mul_f32_e32 v7, s16, v19
	v_fma_f32 v6, v17, s16, -v6
	v_fmac_f32_e32 v7, s17, v17
	v_cmp_eq_u32_e32 vcc, v5, v0
	s_waitcnt vmcnt(0) lgkmcnt(0)
	v_mul_f32_e32 v8, s13, v4
	v_mul_f32_e32 v4, s12, v4
	v_fma_f32 v8, v3, s12, -v8
	v_fmac_f32_e32 v4, s13, v3
	v_add_f32_e32 v3, v6, v8
	v_add_f32_e32 v4, v7, v4
	flat_store_dwordx2 v[1:2], v[3:4]
	s_and_b64 exec, exec, vcc
	s_cbranch_execz .LBB843_24
; %bb.23:
	v_mov_b32_e32 v0, 0
	flat_store_dword v[1:2], v0 offset:4
.LBB843_24:
	s_endpgm
	.section	.rodata,"a",@progbits
	.p2align	6, 0x0
	.amdhsa_kernel _ZL34rocblas_syrkx_herkx_general_kernelIi19rocblas_complex_numIfELi16ELi32ELi8ELb0ELb1ELc78ELc85EKPKS1_KPS1_EviT_T0_PT8_S7_lSA_S7_lS8_PT9_S7_li
		.amdhsa_group_segment_fixed_size 4096
		.amdhsa_private_segment_fixed_size 0
		.amdhsa_kernarg_size 100
		.amdhsa_user_sgpr_count 6
		.amdhsa_user_sgpr_private_segment_buffer 1
		.amdhsa_user_sgpr_dispatch_ptr 0
		.amdhsa_user_sgpr_queue_ptr 0
		.amdhsa_user_sgpr_kernarg_segment_ptr 1
		.amdhsa_user_sgpr_dispatch_id 0
		.amdhsa_user_sgpr_flat_scratch_init 0
		.amdhsa_user_sgpr_private_segment_size 0
		.amdhsa_uses_dynamic_stack 0
		.amdhsa_system_sgpr_private_segment_wavefront_offset 0
		.amdhsa_system_sgpr_workgroup_id_x 1
		.amdhsa_system_sgpr_workgroup_id_y 1
		.amdhsa_system_sgpr_workgroup_id_z 1
		.amdhsa_system_sgpr_workgroup_info 0
		.amdhsa_system_vgpr_workitem_id 1
		.amdhsa_next_free_vgpr 53
		.amdhsa_next_free_sgpr 26
		.amdhsa_reserve_vcc 1
		.amdhsa_reserve_flat_scratch 0
		.amdhsa_float_round_mode_32 0
		.amdhsa_float_round_mode_16_64 0
		.amdhsa_float_denorm_mode_32 3
		.amdhsa_float_denorm_mode_16_64 3
		.amdhsa_dx10_clamp 1
		.amdhsa_ieee_mode 1
		.amdhsa_fp16_overflow 0
		.amdhsa_exception_fp_ieee_invalid_op 0
		.amdhsa_exception_fp_denorm_src 0
		.amdhsa_exception_fp_ieee_div_zero 0
		.amdhsa_exception_fp_ieee_overflow 0
		.amdhsa_exception_fp_ieee_underflow 0
		.amdhsa_exception_fp_ieee_inexact 0
		.amdhsa_exception_int_div_zero 0
	.end_amdhsa_kernel
	.section	.text._ZL34rocblas_syrkx_herkx_general_kernelIi19rocblas_complex_numIfELi16ELi32ELi8ELb0ELb1ELc78ELc85EKPKS1_KPS1_EviT_T0_PT8_S7_lSA_S7_lS8_PT9_S7_li,"axG",@progbits,_ZL34rocblas_syrkx_herkx_general_kernelIi19rocblas_complex_numIfELi16ELi32ELi8ELb0ELb1ELc78ELc85EKPKS1_KPS1_EviT_T0_PT8_S7_lSA_S7_lS8_PT9_S7_li,comdat
.Lfunc_end843:
	.size	_ZL34rocblas_syrkx_herkx_general_kernelIi19rocblas_complex_numIfELi16ELi32ELi8ELb0ELb1ELc78ELc85EKPKS1_KPS1_EviT_T0_PT8_S7_lSA_S7_lS8_PT9_S7_li, .Lfunc_end843-_ZL34rocblas_syrkx_herkx_general_kernelIi19rocblas_complex_numIfELi16ELi32ELi8ELb0ELb1ELc78ELc85EKPKS1_KPS1_EviT_T0_PT8_S7_lSA_S7_lS8_PT9_S7_li
                                        ; -- End function
	.set _ZL34rocblas_syrkx_herkx_general_kernelIi19rocblas_complex_numIfELi16ELi32ELi8ELb0ELb1ELc78ELc85EKPKS1_KPS1_EviT_T0_PT8_S7_lSA_S7_lS8_PT9_S7_li.num_vgpr, 53
	.set _ZL34rocblas_syrkx_herkx_general_kernelIi19rocblas_complex_numIfELi16ELi32ELi8ELb0ELb1ELc78ELc85EKPKS1_KPS1_EviT_T0_PT8_S7_lSA_S7_lS8_PT9_S7_li.num_agpr, 0
	.set _ZL34rocblas_syrkx_herkx_general_kernelIi19rocblas_complex_numIfELi16ELi32ELi8ELb0ELb1ELc78ELc85EKPKS1_KPS1_EviT_T0_PT8_S7_lSA_S7_lS8_PT9_S7_li.numbered_sgpr, 26
	.set _ZL34rocblas_syrkx_herkx_general_kernelIi19rocblas_complex_numIfELi16ELi32ELi8ELb0ELb1ELc78ELc85EKPKS1_KPS1_EviT_T0_PT8_S7_lSA_S7_lS8_PT9_S7_li.num_named_barrier, 0
	.set _ZL34rocblas_syrkx_herkx_general_kernelIi19rocblas_complex_numIfELi16ELi32ELi8ELb0ELb1ELc78ELc85EKPKS1_KPS1_EviT_T0_PT8_S7_lSA_S7_lS8_PT9_S7_li.private_seg_size, 0
	.set _ZL34rocblas_syrkx_herkx_general_kernelIi19rocblas_complex_numIfELi16ELi32ELi8ELb0ELb1ELc78ELc85EKPKS1_KPS1_EviT_T0_PT8_S7_lSA_S7_lS8_PT9_S7_li.uses_vcc, 1
	.set _ZL34rocblas_syrkx_herkx_general_kernelIi19rocblas_complex_numIfELi16ELi32ELi8ELb0ELb1ELc78ELc85EKPKS1_KPS1_EviT_T0_PT8_S7_lSA_S7_lS8_PT9_S7_li.uses_flat_scratch, 0
	.set _ZL34rocblas_syrkx_herkx_general_kernelIi19rocblas_complex_numIfELi16ELi32ELi8ELb0ELb1ELc78ELc85EKPKS1_KPS1_EviT_T0_PT8_S7_lSA_S7_lS8_PT9_S7_li.has_dyn_sized_stack, 0
	.set _ZL34rocblas_syrkx_herkx_general_kernelIi19rocblas_complex_numIfELi16ELi32ELi8ELb0ELb1ELc78ELc85EKPKS1_KPS1_EviT_T0_PT8_S7_lSA_S7_lS8_PT9_S7_li.has_recursion, 0
	.set _ZL34rocblas_syrkx_herkx_general_kernelIi19rocblas_complex_numIfELi16ELi32ELi8ELb0ELb1ELc78ELc85EKPKS1_KPS1_EviT_T0_PT8_S7_lSA_S7_lS8_PT9_S7_li.has_indirect_call, 0
	.section	.AMDGPU.csdata,"",@progbits
; Kernel info:
; codeLenInByte = 2392
; TotalNumSgprs: 30
; NumVgprs: 53
; ScratchSize: 0
; MemoryBound: 1
; FloatMode: 240
; IeeeMode: 1
; LDSByteSize: 4096 bytes/workgroup (compile time only)
; SGPRBlocks: 3
; VGPRBlocks: 13
; NumSGPRsForWavesPerEU: 30
; NumVGPRsForWavesPerEU: 53
; Occupancy: 4
; WaveLimiterHint : 1
; COMPUTE_PGM_RSRC2:SCRATCH_EN: 0
; COMPUTE_PGM_RSRC2:USER_SGPR: 6
; COMPUTE_PGM_RSRC2:TRAP_HANDLER: 0
; COMPUTE_PGM_RSRC2:TGID_X_EN: 1
; COMPUTE_PGM_RSRC2:TGID_Y_EN: 1
; COMPUTE_PGM_RSRC2:TGID_Z_EN: 1
; COMPUTE_PGM_RSRC2:TIDIG_COMP_CNT: 1
	.section	.text._ZL26rocblas_syr2k_scale_kernelIiLi128ELi8ELb1E19rocblas_complex_numIfES1_PKPS1_EvbiT_T3_T4_T5_S5_li,"axG",@progbits,_ZL26rocblas_syr2k_scale_kernelIiLi128ELi8ELb1E19rocblas_complex_numIfES1_PKPS1_EvbiT_T3_T4_T5_S5_li,comdat
	.globl	_ZL26rocblas_syr2k_scale_kernelIiLi128ELi8ELb1E19rocblas_complex_numIfES1_PKPS1_EvbiT_T3_T4_T5_S5_li ; -- Begin function _ZL26rocblas_syr2k_scale_kernelIiLi128ELi8ELb1E19rocblas_complex_numIfES1_PKPS1_EvbiT_T3_T4_T5_S5_li
	.p2align	8
	.type	_ZL26rocblas_syr2k_scale_kernelIiLi128ELi8ELb1E19rocblas_complex_numIfES1_PKPS1_EvbiT_T3_T4_T5_S5_li,@function
_ZL26rocblas_syr2k_scale_kernelIiLi128ELi8ELb1E19rocblas_complex_numIfES1_PKPS1_EvbiT_T3_T4_T5_S5_li: ; @_ZL26rocblas_syr2k_scale_kernelIiLi128ELi8ELb1E19rocblas_complex_numIfES1_PKPS1_EvbiT_T3_T4_T5_S5_li
; %bb.0:
	s_load_dwordx8 s[12:19], s[4:5], 0x0
	s_waitcnt lgkmcnt(0)
	v_cmp_eq_f32_e64 s[0:1], s17, 1.0
	v_cmp_eq_f32_e64 s[2:3], s18, 0
	s_and_b64 s[0:1], s[0:1], s[2:3]
	s_andn2_b64 vcc, exec, s[0:1]
	s_mov_b64 s[0:1], -1
	s_cbranch_vccnz .LBB844_3
; %bb.1:
	s_cmp_lg_u32 s14, 0
	s_cbranch_scc0 .LBB844_8
; %bb.2:
	v_cmp_neq_f32_e64 s[0:1], s15, 0
	v_cmp_neq_f32_e64 s[2:3], s16, 0
	s_or_b64 s[0:1], s[0:1], s[2:3]
.LBB844_3:
	s_and_b64 vcc, exec, s[0:1]
	s_cbranch_vccz .LBB844_9
; %bb.4:
	s_load_dword s0, s[4:5], 0x4c
	s_bitcmp1_b32 s12, 0
	s_cselect_b64 vcc, -1, 0
	s_waitcnt lgkmcnt(0)
	s_lshr_b32 s1, s0, 16
	s_and_b32 s0, s0, 0xffff
	s_mul_i32 s6, s6, s0
	s_mul_i32 s7, s7, s1
	v_add_u32_e32 v0, s6, v0
	v_add_u32_e32 v4, s7, v1
	v_cndmask_b32_e32 v1, v4, v0, vcc
	v_cndmask_b32_e32 v2, v0, v4, vcc
	v_max_u32_e32 v3, v0, v4
	v_cmp_gt_u32_e32 vcc, s13, v3
	v_cmp_le_i32_e64 s[0:1], v1, v2
	s_and_b64 s[0:1], vcc, s[0:1]
	s_and_saveexec_b64 s[2:3], s[0:1]
	s_cbranch_execz .LBB844_9
; %bb.5:
	s_load_dword s6, s[4:5], 0x28
	s_load_dwordx2 s[0:1], s[4:5], 0x20
	s_load_dwordx2 s[2:3], s[4:5], 0x30
	s_mov_b32 s9, 0
	s_lshl_b64 s[4:5], s[8:9], 3
	s_waitcnt lgkmcnt(0)
	s_ashr_i32 s8, s6, 31
	v_mad_u64_u32 v[2:3], s[6:7], v4, s6, 0
	s_add_u32 s0, s0, s4
	s_addc_u32 s1, s1, s5
	v_mov_b32_e32 v1, v3
	s_load_dwordx2 s[0:1], s[0:1], 0x0
	v_mad_u64_u32 v[5:6], s[4:5], v4, s8, v[1:2]
	s_lshl_b64 s[2:3], s[2:3], 3
	v_mov_b32_e32 v1, 0
	v_mov_b32_e32 v3, v5
	s_waitcnt lgkmcnt(0)
	s_add_u32 s0, s0, s2
	v_lshlrev_b64 v[2:3], 3, v[2:3]
	s_addc_u32 s1, s1, s3
	v_mov_b32_e32 v5, s1
	v_add_co_u32_e32 v6, vcc, s0, v2
	v_addc_co_u32_e32 v5, vcc, v5, v3, vcc
	v_lshlrev_b64 v[2:3], 3, v[0:1]
	s_or_b32 s0, s17, s18
	v_add_co_u32_e32 v2, vcc, v6, v2
	s_bitset0_b32 s0, 31
	v_addc_co_u32_e32 v3, vcc, v5, v3, vcc
	s_cmp_eq_u32 s0, 0
	v_mov_b32_e32 v5, v1
	s_cbranch_scc1 .LBB844_7
; %bb.6:
	flat_load_dwordx2 v[6:7], v[2:3]
	s_waitcnt vmcnt(0) lgkmcnt(0)
	v_mul_f32_e32 v1, s18, v7
	v_mul_f32_e32 v5, s17, v7
	v_fma_f32 v1, v6, s17, -v1
	v_fmac_f32_e32 v5, s18, v6
.LBB844_7:
	v_cmp_ne_u32_e32 vcc, v0, v4
	v_cndmask_b32_e32 v5, 0, v5, vcc
	v_mov_b32_e32 v4, v1
	flat_store_dwordx2 v[2:3], v[4:5]
	s_endpgm
.LBB844_8:
.LBB844_9:
	s_endpgm
	.section	.rodata,"a",@progbits
	.p2align	6, 0x0
	.amdhsa_kernel _ZL26rocblas_syr2k_scale_kernelIiLi128ELi8ELb1E19rocblas_complex_numIfES1_PKPS1_EvbiT_T3_T4_T5_S5_li
		.amdhsa_group_segment_fixed_size 0
		.amdhsa_private_segment_fixed_size 0
		.amdhsa_kernarg_size 320
		.amdhsa_user_sgpr_count 6
		.amdhsa_user_sgpr_private_segment_buffer 1
		.amdhsa_user_sgpr_dispatch_ptr 0
		.amdhsa_user_sgpr_queue_ptr 0
		.amdhsa_user_sgpr_kernarg_segment_ptr 1
		.amdhsa_user_sgpr_dispatch_id 0
		.amdhsa_user_sgpr_flat_scratch_init 0
		.amdhsa_user_sgpr_private_segment_size 0
		.amdhsa_uses_dynamic_stack 0
		.amdhsa_system_sgpr_private_segment_wavefront_offset 0
		.amdhsa_system_sgpr_workgroup_id_x 1
		.amdhsa_system_sgpr_workgroup_id_y 1
		.amdhsa_system_sgpr_workgroup_id_z 1
		.amdhsa_system_sgpr_workgroup_info 0
		.amdhsa_system_vgpr_workitem_id 1
		.amdhsa_next_free_vgpr 8
		.amdhsa_next_free_sgpr 20
		.amdhsa_reserve_vcc 1
		.amdhsa_reserve_flat_scratch 0
		.amdhsa_float_round_mode_32 0
		.amdhsa_float_round_mode_16_64 0
		.amdhsa_float_denorm_mode_32 3
		.amdhsa_float_denorm_mode_16_64 3
		.amdhsa_dx10_clamp 1
		.amdhsa_ieee_mode 1
		.amdhsa_fp16_overflow 0
		.amdhsa_exception_fp_ieee_invalid_op 0
		.amdhsa_exception_fp_denorm_src 0
		.amdhsa_exception_fp_ieee_div_zero 0
		.amdhsa_exception_fp_ieee_overflow 0
		.amdhsa_exception_fp_ieee_underflow 0
		.amdhsa_exception_fp_ieee_inexact 0
		.amdhsa_exception_int_div_zero 0
	.end_amdhsa_kernel
	.section	.text._ZL26rocblas_syr2k_scale_kernelIiLi128ELi8ELb1E19rocblas_complex_numIfES1_PKPS1_EvbiT_T3_T4_T5_S5_li,"axG",@progbits,_ZL26rocblas_syr2k_scale_kernelIiLi128ELi8ELb1E19rocblas_complex_numIfES1_PKPS1_EvbiT_T3_T4_T5_S5_li,comdat
.Lfunc_end844:
	.size	_ZL26rocblas_syr2k_scale_kernelIiLi128ELi8ELb1E19rocblas_complex_numIfES1_PKPS1_EvbiT_T3_T4_T5_S5_li, .Lfunc_end844-_ZL26rocblas_syr2k_scale_kernelIiLi128ELi8ELb1E19rocblas_complex_numIfES1_PKPS1_EvbiT_T3_T4_T5_S5_li
                                        ; -- End function
	.set _ZL26rocblas_syr2k_scale_kernelIiLi128ELi8ELb1E19rocblas_complex_numIfES1_PKPS1_EvbiT_T3_T4_T5_S5_li.num_vgpr, 8
	.set _ZL26rocblas_syr2k_scale_kernelIiLi128ELi8ELb1E19rocblas_complex_numIfES1_PKPS1_EvbiT_T3_T4_T5_S5_li.num_agpr, 0
	.set _ZL26rocblas_syr2k_scale_kernelIiLi128ELi8ELb1E19rocblas_complex_numIfES1_PKPS1_EvbiT_T3_T4_T5_S5_li.numbered_sgpr, 20
	.set _ZL26rocblas_syr2k_scale_kernelIiLi128ELi8ELb1E19rocblas_complex_numIfES1_PKPS1_EvbiT_T3_T4_T5_S5_li.num_named_barrier, 0
	.set _ZL26rocblas_syr2k_scale_kernelIiLi128ELi8ELb1E19rocblas_complex_numIfES1_PKPS1_EvbiT_T3_T4_T5_S5_li.private_seg_size, 0
	.set _ZL26rocblas_syr2k_scale_kernelIiLi128ELi8ELb1E19rocblas_complex_numIfES1_PKPS1_EvbiT_T3_T4_T5_S5_li.uses_vcc, 1
	.set _ZL26rocblas_syr2k_scale_kernelIiLi128ELi8ELb1E19rocblas_complex_numIfES1_PKPS1_EvbiT_T3_T4_T5_S5_li.uses_flat_scratch, 0
	.set _ZL26rocblas_syr2k_scale_kernelIiLi128ELi8ELb1E19rocblas_complex_numIfES1_PKPS1_EvbiT_T3_T4_T5_S5_li.has_dyn_sized_stack, 0
	.set _ZL26rocblas_syr2k_scale_kernelIiLi128ELi8ELb1E19rocblas_complex_numIfES1_PKPS1_EvbiT_T3_T4_T5_S5_li.has_recursion, 0
	.set _ZL26rocblas_syr2k_scale_kernelIiLi128ELi8ELb1E19rocblas_complex_numIfES1_PKPS1_EvbiT_T3_T4_T5_S5_li.has_indirect_call, 0
	.section	.AMDGPU.csdata,"",@progbits
; Kernel info:
; codeLenInByte = 380
; TotalNumSgprs: 24
; NumVgprs: 8
; ScratchSize: 0
; MemoryBound: 0
; FloatMode: 240
; IeeeMode: 1
; LDSByteSize: 0 bytes/workgroup (compile time only)
; SGPRBlocks: 2
; VGPRBlocks: 1
; NumSGPRsForWavesPerEU: 24
; NumVGPRsForWavesPerEU: 8
; Occupancy: 10
; WaveLimiterHint : 1
; COMPUTE_PGM_RSRC2:SCRATCH_EN: 0
; COMPUTE_PGM_RSRC2:USER_SGPR: 6
; COMPUTE_PGM_RSRC2:TRAP_HANDLER: 0
; COMPUTE_PGM_RSRC2:TGID_X_EN: 1
; COMPUTE_PGM_RSRC2:TGID_Y_EN: 1
; COMPUTE_PGM_RSRC2:TGID_Z_EN: 1
; COMPUTE_PGM_RSRC2:TIDIG_COMP_CNT: 1
	.section	.text._ZL26rocblas_syr2k_her2k_kernelIiLb0ELb1ELb0ELi32EPK19rocblas_complex_numIfEPKS3_PKPS1_EvbiT_T4_T5_S9_lSB_S9_lT6_S9_li,"axG",@progbits,_ZL26rocblas_syr2k_her2k_kernelIiLb0ELb1ELb0ELi32EPK19rocblas_complex_numIfEPKS3_PKPS1_EvbiT_T4_T5_S9_lSB_S9_lT6_S9_li,comdat
	.globl	_ZL26rocblas_syr2k_her2k_kernelIiLb0ELb1ELb0ELi32EPK19rocblas_complex_numIfEPKS3_PKPS1_EvbiT_T4_T5_S9_lSB_S9_lT6_S9_li ; -- Begin function _ZL26rocblas_syr2k_her2k_kernelIiLb0ELb1ELb0ELi32EPK19rocblas_complex_numIfEPKS3_PKPS1_EvbiT_T4_T5_S9_lSB_S9_lT6_S9_li
	.p2align	8
	.type	_ZL26rocblas_syr2k_her2k_kernelIiLb0ELb1ELb0ELi32EPK19rocblas_complex_numIfEPKS3_PKPS1_EvbiT_T4_T5_S9_lSB_S9_lT6_S9_li,@function
_ZL26rocblas_syr2k_her2k_kernelIiLb0ELb1ELb0ELi32EPK19rocblas_complex_numIfEPKS3_PKPS1_EvbiT_T4_T5_S9_lSB_S9_lT6_S9_li: ; @_ZL26rocblas_syr2k_her2k_kernelIiLb0ELb1ELb0ELi32EPK19rocblas_complex_numIfEPKS3_PKPS1_EvbiT_T4_T5_S9_lSB_S9_lT6_S9_li
; %bb.0:
	s_load_dwordx4 s[0:3], s[4:5], 0x10
	s_waitcnt lgkmcnt(0)
	s_load_dwordx2 s[10:11], s[0:1], 0x0
	s_waitcnt lgkmcnt(0)
	v_cmp_eq_f32_e64 s[0:1], s10, 0
	v_cmp_eq_f32_e64 s[12:13], s11, 0
	s_and_b64 s[0:1], s[0:1], s[12:13]
	s_and_b64 vcc, exec, s[0:1]
	s_cbranch_vccnz .LBB845_13
; %bb.1:
	s_load_dwordx4 s[12:15], s[4:5], 0x0
	s_waitcnt lgkmcnt(0)
	s_lshl_b32 s15, s7, 5
	s_lshl_b32 s20, s6, 5
	s_and_b32 s0, 1, s12
	s_cmp_eq_u32 s0, 1
	s_cselect_b64 s[0:1], -1, 0
	s_and_b64 s[6:7], s[0:1], exec
	s_cselect_b32 s6, s20, s15
	s_cselect_b32 s7, s15, s20
	s_cmp_gt_i32 s6, s7
	s_cbranch_scc1 .LBB845_13
; %bb.2:
	s_load_dwordx4 s[16:19], s[4:5], 0x40
	s_load_dword s12, s[4:5], 0x50
	s_load_dwordx2 s[22:23], s[4:5], 0x58
	s_mov_b32 s9, 0
	s_lshl_b64 s[6:7], s[8:9], 3
	s_waitcnt lgkmcnt(0)
	s_add_u32 s18, s18, s6
	s_addc_u32 s19, s19, s7
	s_load_dwordx2 s[18:19], s[18:19], 0x0
	v_add_u32_e32 v10, s20, v0
	s_lshl_b64 s[20:21], s[22:23], 3
	v_add_u32_e32 v12, s15, v1
	v_cmp_gt_i32_e32 vcc, s13, v10
	s_waitcnt lgkmcnt(0)
	s_add_u32 s8, s18, s20
	s_addc_u32 s15, s19, s21
	s_cmp_lt_i32 s14, 1
	v_ashrrev_i32_e32 v11, 31, v10
	s_cbranch_scc1 .LBB845_11
; %bb.3:
	s_load_dword s18, s[4:5], 0x20
	s_load_dwordx4 s[20:23], s[4:5], 0x28
	s_load_dword s19, s[4:5], 0x38
	s_add_u32 s2, s2, s6
	s_addc_u32 s3, s3, s7
	s_load_dwordx2 s[2:3], s[2:3], 0x0
	s_waitcnt lgkmcnt(0)
	s_add_u32 s4, s22, s6
	s_addc_u32 s5, s23, s7
	s_load_dwordx2 s[4:5], s[4:5], 0x0
	s_lshl_b64 s[6:7], s[20:21], 3
	s_add_u32 s6, s2, s6
	v_lshlrev_b64 v[2:3], 3, v[10:11]
	s_addc_u32 s7, s3, s7
	s_lshl_b64 s[2:3], s[16:17], 3
	v_cndmask_b32_e64 v6, v10, v12, s[0:1]
	v_cndmask_b32_e64 v7, v12, v10, s[0:1]
	v_mov_b32_e32 v4, s7
	v_add_co_u32_e64 v15, s[0:1], s6, v2
	v_ashrrev_i32_e32 v13, 31, v12
	s_waitcnt lgkmcnt(0)
	s_add_u32 s2, s4, s2
	v_addc_co_u32_e64 v16, s[0:1], v4, v3, s[0:1]
	v_lshlrev_b64 v[4:5], 3, v[12:13]
	s_addc_u32 s3, s5, s3
	v_mov_b32_e32 v9, s3
	v_add_co_u32_e64 v19, s[2:3], s2, v4
	v_addc_co_u32_e64 v20, s[2:3], v9, v5, s[2:3]
	v_mad_i64_i32 v[4:5], s[2:3], s12, v12, 0
	v_cmp_gt_i32_e64 s[0:1], s13, v12
	v_cmp_le_i32_e64 s[2:3], v7, v6
	v_lshlrev_b64 v[4:5], 3, v[4:5]
	s_and_b64 s[4:5], s[0:1], vcc
	s_and_b64 s[4:5], s[4:5], s[2:3]
	v_mov_b32_e32 v6, s15
	v_add_co_u32_e64 v4, s[2:3], s8, v4
	v_lshlrev_b32_e32 v8, 3, v1
	v_addc_co_u32_e64 v5, s[2:3], v6, v5, s[2:3]
	v_lshlrev_b32_e32 v17, 8, v0
	v_or_b32_e32 v21, 0x2000, v8
	v_add_co_u32_e64 v13, s[2:3], v4, v2
	v_add_u32_e32 v18, v17, v8
	v_addc_co_u32_e64 v14, s[2:3], v5, v3, s[2:3]
	v_add_u32_e32 v22, 0x800, v21
	v_add_u32_e32 v23, 0x1000, v21
	;; [unrolled: 1-line block ×3, first 2 shown]
	s_branch .LBB845_5
.LBB845_4:                              ;   in Loop: Header=BB845_5 Depth=1
	s_or_b64 exec, exec, s[2:3]
	s_add_i32 s9, s9, 32
	s_cmp_ge_i32 s9, s14
	s_waitcnt vmcnt(0) lgkmcnt(0)
	s_barrier
	s_cbranch_scc1 .LBB845_11
.LBB845_5:                              ; =>This Inner Loop Header: Depth=1
	v_add_u32_e32 v5, s9, v1
	v_cmp_gt_i32_e64 s[2:3], s14, v5
	s_and_b64 s[2:3], vcc, s[2:3]
	v_mov_b32_e32 v2, 0
	v_mov_b32_e32 v3, 0
	;; [unrolled: 1-line block ×3, first 2 shown]
	s_and_saveexec_b64 s[6:7], s[2:3]
	s_cbranch_execz .LBB845_7
; %bb.6:                                ;   in Loop: Header=BB845_5 Depth=1
	v_mad_i64_i32 v[3:4], s[2:3], v5, s18, 0
	v_lshlrev_b64 v[3:4], 3, v[3:4]
	v_add_co_u32_e64 v3, s[2:3], v15, v3
	v_addc_co_u32_e64 v4, s[2:3], v16, v4, s[2:3]
	flat_load_dwordx2 v[3:4], v[3:4]
.LBB845_7:                              ;   in Loop: Header=BB845_5 Depth=1
	s_or_b64 exec, exec, s[6:7]
	s_waitcnt vmcnt(0) lgkmcnt(0)
	ds_write_b64 v18, v[3:4]
	v_add_u32_e32 v4, s9, v0
	v_cmp_gt_i32_e64 s[2:3], s14, v4
	s_and_b64 s[2:3], s[0:1], s[2:3]
	v_mov_b32_e32 v3, 0
	s_and_saveexec_b64 s[6:7], s[2:3]
	s_cbranch_execz .LBB845_9
; %bb.8:                                ;   in Loop: Header=BB845_5 Depth=1
	v_mad_i64_i32 v[2:3], s[2:3], v4, s19, 0
	v_lshlrev_b64 v[2:3], 3, v[2:3]
	v_add_co_u32_e64 v2, s[2:3], v19, v2
	v_addc_co_u32_e64 v3, s[2:3], v20, v3, s[2:3]
	flat_load_dwordx2 v[2:3], v[2:3]
	s_waitcnt vmcnt(0) lgkmcnt(0)
	v_xor_b32_e32 v3, 0x80000000, v3
.LBB845_9:                              ;   in Loop: Header=BB845_5 Depth=1
	s_or_b64 exec, exec, s[6:7]
	v_add_u32_e32 v4, v21, v17
	ds_write_b64 v4, v[2:3]
	s_waitcnt lgkmcnt(0)
	s_barrier
	s_and_saveexec_b64 s[2:3], s[4:5]
	s_cbranch_execz .LBB845_4
; %bb.10:                               ;   in Loop: Header=BB845_5 Depth=1
	ds_read2_b64 v[2:5], v21 offset1:32
	ds_read_b128 v[6:9], v17
	ds_read_b128 v[25:28], v17 offset:16
	s_waitcnt lgkmcnt(1)
	v_mul_f32_e32 v29, v3, v7
	v_fma_f32 v34, v2, v6, -v29
	ds_read2_b64 v[29:32], v21 offset0:64 offset1:96
	v_mul_f32_e32 v33, v2, v7
	v_mul_f32_e32 v2, v5, v9
	v_fma_f32 v35, v4, v8, -v2
	v_fmac_f32_e32 v33, v3, v6
	s_waitcnt lgkmcnt(0)
	v_mul_f32_e32 v2, v30, v26
	v_mul_f32_e32 v36, v4, v9
	v_fma_f32 v37, v29, v25, -v2
	v_mul_f32_e32 v29, v29, v26
	v_mul_f32_e32 v2, v32, v28
	v_fmac_f32_e32 v36, v5, v8
	v_fmac_f32_e32 v29, v30, v25
	v_fma_f32 v30, v31, v27, -v2
	v_mul_f32_e32 v31, v31, v28
	v_add_f32_e32 v25, 0, v34
	v_add_f32_e32 v26, 0, v33
	v_fmac_f32_e32 v31, v32, v27
	ds_read_b128 v[2:5], v17 offset:32
	ds_read_b128 v[6:9], v17 offset:48
	v_add_f32_e32 v32, v25, v35
	v_add_f32_e32 v33, v26, v36
	ds_read2_b64 v[25:28], v21 offset0:128 offset1:160
	v_add_f32_e32 v29, v33, v29
	v_add_f32_e32 v29, v29, v31
	;; [unrolled: 1-line block ×4, first 2 shown]
	s_waitcnt lgkmcnt(0)
	v_mul_f32_e32 v31, v26, v3
	v_fma_f32 v31, v25, v2, -v31
	v_mul_f32_e32 v25, v25, v3
	v_fmac_f32_e32 v25, v26, v2
	v_mul_f32_e32 v2, v28, v5
	v_fma_f32 v26, v27, v4, -v2
	v_mul_f32_e32 v27, v27, v5
	v_fmac_f32_e32 v27, v28, v4
	ds_read2_b64 v[2:5], v21 offset0:192 offset1:224
	v_add_f32_e32 v25, v29, v25
	v_add_f32_e32 v28, v30, v31
	;; [unrolled: 1-line block ×4, first 2 shown]
	s_waitcnt lgkmcnt(0)
	v_mul_f32_e32 v25, v3, v7
	v_fma_f32 v25, v2, v6, -v25
	v_mul_f32_e32 v7, v2, v7
	v_mul_f32_e32 v2, v5, v9
	;; [unrolled: 1-line block ×3, first 2 shown]
	v_fmac_f32_e32 v7, v3, v6
	v_add_f32_e32 v6, v26, v25
	v_fma_f32 v30, v4, v8, -v2
	ds_read_b128 v[25:28], v17 offset:64
	v_fmac_f32_e32 v9, v5, v8
	ds_read2_b64 v[2:5], v22 offset1:32
	v_add_f32_e32 v7, v29, v7
	v_add_f32_e32 v29, v6, v30
	;; [unrolled: 1-line block ×3, first 2 shown]
	ds_read_b128 v[6:9], v17 offset:80
	s_waitcnt lgkmcnt(1)
	v_mul_f32_e32 v31, v3, v26
	v_fma_f32 v31, v2, v25, -v31
	v_mul_f32_e32 v26, v2, v26
	v_mul_f32_e32 v2, v5, v28
	;; [unrolled: 1-line block ×3, first 2 shown]
	v_fmac_f32_e32 v26, v3, v25
	v_fma_f32 v25, v4, v27, -v2
	v_fmac_f32_e32 v28, v5, v27
	ds_read2_b64 v[2:5], v22 offset0:64 offset1:96
	v_add_f32_e32 v26, v30, v26
	v_add_f32_e32 v27, v29, v31
	v_add_f32_e32 v29, v26, v28
	v_add_f32_e32 v25, v27, v25
	s_waitcnt lgkmcnt(0)
	v_mul_f32_e32 v26, v3, v7
	v_fma_f32 v26, v2, v6, -v26
	v_mul_f32_e32 v7, v2, v7
	v_mul_f32_e32 v2, v5, v9
	;; [unrolled: 1-line block ×3, first 2 shown]
	v_fmac_f32_e32 v7, v3, v6
	v_add_f32_e32 v6, v25, v26
	v_fma_f32 v30, v4, v8, -v2
	ds_read_b128 v[25:28], v17 offset:96
	v_fmac_f32_e32 v9, v5, v8
	ds_read2_b64 v[2:5], v22 offset0:128 offset1:160
	v_add_f32_e32 v7, v29, v7
	v_add_f32_e32 v29, v6, v30
	;; [unrolled: 1-line block ×3, first 2 shown]
	ds_read_b128 v[6:9], v17 offset:112
	s_waitcnt lgkmcnt(1)
	v_mul_f32_e32 v31, v3, v26
	v_fma_f32 v31, v2, v25, -v31
	v_mul_f32_e32 v26, v2, v26
	v_mul_f32_e32 v2, v5, v28
	;; [unrolled: 1-line block ×3, first 2 shown]
	v_fmac_f32_e32 v26, v3, v25
	v_fma_f32 v25, v4, v27, -v2
	v_fmac_f32_e32 v28, v5, v27
	ds_read2_b64 v[2:5], v22 offset0:192 offset1:224
	v_add_f32_e32 v26, v30, v26
	v_add_f32_e32 v27, v29, v31
	;; [unrolled: 1-line block ×4, first 2 shown]
	s_waitcnt lgkmcnt(0)
	v_mul_f32_e32 v26, v3, v7
	v_fma_f32 v26, v2, v6, -v26
	v_mul_f32_e32 v7, v2, v7
	v_mul_f32_e32 v2, v5, v9
	;; [unrolled: 1-line block ×3, first 2 shown]
	v_fmac_f32_e32 v7, v3, v6
	v_add_f32_e32 v6, v25, v26
	v_fma_f32 v30, v4, v8, -v2
	ds_read_b128 v[25:28], v17 offset:128
	v_fmac_f32_e32 v9, v5, v8
	ds_read2_b64 v[2:5], v23 offset1:32
	v_add_f32_e32 v7, v29, v7
	v_add_f32_e32 v29, v6, v30
	;; [unrolled: 1-line block ×3, first 2 shown]
	ds_read_b128 v[6:9], v17 offset:144
	s_waitcnt lgkmcnt(1)
	v_mul_f32_e32 v31, v3, v26
	v_fma_f32 v31, v2, v25, -v31
	v_mul_f32_e32 v2, v2, v26
	v_fmac_f32_e32 v2, v3, v25
	v_mul_f32_e32 v3, v5, v28
	v_fma_f32 v3, v4, v27, -v3
	v_mul_f32_e32 v4, v4, v28
	v_fmac_f32_e32 v4, v5, v27
	ds_read2_b64 v[25:28], v23 offset0:64 offset1:96
	v_add_f32_e32 v2, v30, v2
	v_add_f32_e32 v30, v2, v4
	;; [unrolled: 1-line block ×4, first 2 shown]
	s_waitcnt lgkmcnt(0)
	v_mul_f32_e32 v2, v26, v7
	v_fma_f32 v31, v25, v6, -v2
	v_mul_f32_e32 v25, v25, v7
	v_mul_f32_e32 v2, v28, v9
	v_fmac_f32_e32 v25, v26, v6
	v_fma_f32 v26, v27, v8, -v2
	v_mul_f32_e32 v27, v27, v9
	ds_read_b128 v[2:5], v17 offset:160
	v_fmac_f32_e32 v27, v28, v8
	ds_read2_b64 v[6:9], v23 offset0:128 offset1:160
	v_add_f32_e32 v28, v29, v31
	v_add_f32_e32 v29, v30, v25
	;; [unrolled: 1-line block ×4, first 2 shown]
	ds_read_b128 v[27:30], v17 offset:176
	s_waitcnt lgkmcnt(1)
	v_mul_f32_e32 v31, v7, v3
	v_fma_f32 v33, v6, v2, -v31
	flat_load_dwordx2 v[31:32], v[13:14]
	v_mul_f32_e32 v6, v6, v3
	v_fmac_f32_e32 v6, v7, v2
	v_mul_f32_e32 v2, v9, v5
	v_fma_f32 v7, v8, v4, -v2
	v_mul_f32_e32 v8, v8, v5
	v_fmac_f32_e32 v8, v9, v4
	ds_read2_b64 v[2:5], v23 offset0:192 offset1:224
	v_add_f32_e32 v6, v26, v6
	v_add_f32_e32 v26, v6, v8
	;; [unrolled: 1-line block ×4, first 2 shown]
	s_waitcnt lgkmcnt(0)
	v_mul_f32_e32 v6, v3, v28
	v_fma_f32 v33, v2, v27, -v6
	v_mul_f32_e32 v28, v2, v28
	v_mul_f32_e32 v2, v5, v30
	;; [unrolled: 1-line block ×3, first 2 shown]
	v_fmac_f32_e32 v28, v3, v27
	v_fma_f32 v27, v4, v29, -v2
	v_fmac_f32_e32 v30, v5, v29
	ds_read_b128 v[2:5], v17 offset:192
	ds_read2_b64 v[6:9], v24 offset1:32
	v_add_f32_e32 v25, v25, v33
	v_add_f32_e32 v26, v26, v28
	;; [unrolled: 1-line block ×4, first 2 shown]
	s_waitcnt lgkmcnt(0)
	v_mul_f32_e32 v33, v7, v3
	v_fma_f32 v33, v6, v2, -v33
	v_mul_f32_e32 v6, v6, v3
	v_fmac_f32_e32 v6, v7, v2
	v_mul_f32_e32 v2, v9, v5
	v_fma_f32 v7, v8, v4, -v2
	v_mul_f32_e32 v8, v8, v5
	ds_read_b128 v[25:28], v17 offset:208
	v_fmac_f32_e32 v8, v9, v4
	ds_read2_b64 v[2:5], v24 offset0:64 offset1:96
	v_add_f32_e32 v6, v30, v6
	v_add_f32_e32 v30, v6, v8
	;; [unrolled: 1-line block ×4, first 2 shown]
	s_waitcnt lgkmcnt(0)
	v_mul_f32_e32 v6, v3, v26
	v_fma_f32 v33, v2, v25, -v6
	v_mul_f32_e32 v26, v2, v26
	v_mul_f32_e32 v2, v5, v28
	;; [unrolled: 1-line block ×3, first 2 shown]
	v_fmac_f32_e32 v26, v3, v25
	v_fma_f32 v25, v4, v27, -v2
	v_fmac_f32_e32 v28, v5, v27
	ds_read_b128 v[2:5], v17 offset:224
	ds_read2_b64 v[6:9], v24 offset0:128 offset1:160
	v_add_f32_e32 v27, v29, v33
	v_add_f32_e32 v26, v30, v26
	;; [unrolled: 1-line block ×4, first 2 shown]
	s_waitcnt lgkmcnt(0)
	v_mul_f32_e32 v33, v7, v3
	v_fma_f32 v33, v6, v2, -v33
	v_mul_f32_e32 v6, v6, v3
	v_fmac_f32_e32 v6, v7, v2
	v_mul_f32_e32 v2, v9, v5
	v_fma_f32 v7, v8, v4, -v2
	v_mul_f32_e32 v8, v8, v5
	ds_read_b128 v[25:28], v17 offset:240
	v_fmac_f32_e32 v8, v9, v4
	ds_read2_b64 v[2:5], v24 offset0:192 offset1:224
	v_add_f32_e32 v6, v30, v6
	v_add_f32_e32 v6, v6, v8
	v_add_f32_e32 v9, v29, v33
	v_add_f32_e32 v7, v9, v7
	s_waitcnt lgkmcnt(0)
	v_mul_f32_e32 v8, v3, v26
	v_fma_f32 v8, v2, v25, -v8
	v_mul_f32_e32 v2, v2, v26
	v_fmac_f32_e32 v2, v3, v25
	v_add_f32_e32 v2, v6, v2
	v_mul_f32_e32 v6, v5, v28
	v_fma_f32 v6, v4, v27, -v6
	v_mul_f32_e32 v4, v4, v28
	v_fmac_f32_e32 v4, v5, v27
	v_add_f32_e32 v3, v7, v8
	v_add_f32_e32 v2, v2, v4
	;; [unrolled: 1-line block ×3, first 2 shown]
	v_mul_f32_e32 v4, s11, v2
	v_mul_f32_e32 v5, s10, v2
	v_fma_f32 v4, s10, v3, -v4
	v_fmac_f32_e32 v5, s11, v3
	s_waitcnt vmcnt(0)
	v_add_f32_e32 v2, v31, v4
	v_add_f32_e32 v3, v32, v5
	flat_store_dwordx2 v[13:14], v[2:3]
	s_branch .LBB845_4
.LBB845_11:
	v_cmp_eq_u32_e32 vcc, v10, v12
	v_cmp_gt_i32_e64 s[0:1], s13, v10
	s_and_b64 s[0:1], vcc, s[0:1]
	s_and_saveexec_b64 s[2:3], s[0:1]
	s_cbranch_execz .LBB845_13
; %bb.12:
	v_mad_i64_i32 v[0:1], s[0:1], s12, v10, 0
	v_mov_b32_e32 v2, s15
	v_lshlrev_b64 v[0:1], 3, v[0:1]
	v_add_co_u32_e32 v3, vcc, s8, v0
	v_addc_co_u32_e32 v2, vcc, v2, v1, vcc
	v_lshlrev_b64 v[0:1], 3, v[10:11]
	v_add_co_u32_e32 v0, vcc, v3, v0
	v_addc_co_u32_e32 v1, vcc, v2, v1, vcc
	v_mov_b32_e32 v2, 0
	flat_store_dword v[0:1], v2 offset:4
.LBB845_13:
	s_endpgm
	.section	.rodata,"a",@progbits
	.p2align	6, 0x0
	.amdhsa_kernel _ZL26rocblas_syr2k_her2k_kernelIiLb0ELb1ELb0ELi32EPK19rocblas_complex_numIfEPKS3_PKPS1_EvbiT_T4_T5_S9_lSB_S9_lT6_S9_li
		.amdhsa_group_segment_fixed_size 16384
		.amdhsa_private_segment_fixed_size 0
		.amdhsa_kernarg_size 100
		.amdhsa_user_sgpr_count 6
		.amdhsa_user_sgpr_private_segment_buffer 1
		.amdhsa_user_sgpr_dispatch_ptr 0
		.amdhsa_user_sgpr_queue_ptr 0
		.amdhsa_user_sgpr_kernarg_segment_ptr 1
		.amdhsa_user_sgpr_dispatch_id 0
		.amdhsa_user_sgpr_flat_scratch_init 0
		.amdhsa_user_sgpr_private_segment_size 0
		.amdhsa_uses_dynamic_stack 0
		.amdhsa_system_sgpr_private_segment_wavefront_offset 0
		.amdhsa_system_sgpr_workgroup_id_x 1
		.amdhsa_system_sgpr_workgroup_id_y 1
		.amdhsa_system_sgpr_workgroup_id_z 1
		.amdhsa_system_sgpr_workgroup_info 0
		.amdhsa_system_vgpr_workitem_id 1
		.amdhsa_next_free_vgpr 38
		.amdhsa_next_free_sgpr 61
		.amdhsa_reserve_vcc 1
		.amdhsa_reserve_flat_scratch 0
		.amdhsa_float_round_mode_32 0
		.amdhsa_float_round_mode_16_64 0
		.amdhsa_float_denorm_mode_32 3
		.amdhsa_float_denorm_mode_16_64 3
		.amdhsa_dx10_clamp 1
		.amdhsa_ieee_mode 1
		.amdhsa_fp16_overflow 0
		.amdhsa_exception_fp_ieee_invalid_op 0
		.amdhsa_exception_fp_denorm_src 0
		.amdhsa_exception_fp_ieee_div_zero 0
		.amdhsa_exception_fp_ieee_overflow 0
		.amdhsa_exception_fp_ieee_underflow 0
		.amdhsa_exception_fp_ieee_inexact 0
		.amdhsa_exception_int_div_zero 0
	.end_amdhsa_kernel
	.section	.text._ZL26rocblas_syr2k_her2k_kernelIiLb0ELb1ELb0ELi32EPK19rocblas_complex_numIfEPKS3_PKPS1_EvbiT_T4_T5_S9_lSB_S9_lT6_S9_li,"axG",@progbits,_ZL26rocblas_syr2k_her2k_kernelIiLb0ELb1ELb0ELi32EPK19rocblas_complex_numIfEPKS3_PKPS1_EvbiT_T4_T5_S9_lSB_S9_lT6_S9_li,comdat
.Lfunc_end845:
	.size	_ZL26rocblas_syr2k_her2k_kernelIiLb0ELb1ELb0ELi32EPK19rocblas_complex_numIfEPKS3_PKPS1_EvbiT_T4_T5_S9_lSB_S9_lT6_S9_li, .Lfunc_end845-_ZL26rocblas_syr2k_her2k_kernelIiLb0ELb1ELb0ELi32EPK19rocblas_complex_numIfEPKS3_PKPS1_EvbiT_T4_T5_S9_lSB_S9_lT6_S9_li
                                        ; -- End function
	.set _ZL26rocblas_syr2k_her2k_kernelIiLb0ELb1ELb0ELi32EPK19rocblas_complex_numIfEPKS3_PKPS1_EvbiT_T4_T5_S9_lSB_S9_lT6_S9_li.num_vgpr, 38
	.set _ZL26rocblas_syr2k_her2k_kernelIiLb0ELb1ELb0ELi32EPK19rocblas_complex_numIfEPKS3_PKPS1_EvbiT_T4_T5_S9_lSB_S9_lT6_S9_li.num_agpr, 0
	.set _ZL26rocblas_syr2k_her2k_kernelIiLb0ELb1ELb0ELi32EPK19rocblas_complex_numIfEPKS3_PKPS1_EvbiT_T4_T5_S9_lSB_S9_lT6_S9_li.numbered_sgpr, 24
	.set _ZL26rocblas_syr2k_her2k_kernelIiLb0ELb1ELb0ELi32EPK19rocblas_complex_numIfEPKS3_PKPS1_EvbiT_T4_T5_S9_lSB_S9_lT6_S9_li.num_named_barrier, 0
	.set _ZL26rocblas_syr2k_her2k_kernelIiLb0ELb1ELb0ELi32EPK19rocblas_complex_numIfEPKS3_PKPS1_EvbiT_T4_T5_S9_lSB_S9_lT6_S9_li.private_seg_size, 0
	.set _ZL26rocblas_syr2k_her2k_kernelIiLb0ELb1ELb0ELi32EPK19rocblas_complex_numIfEPKS3_PKPS1_EvbiT_T4_T5_S9_lSB_S9_lT6_S9_li.uses_vcc, 1
	.set _ZL26rocblas_syr2k_her2k_kernelIiLb0ELb1ELb0ELi32EPK19rocblas_complex_numIfEPKS3_PKPS1_EvbiT_T4_T5_S9_lSB_S9_lT6_S9_li.uses_flat_scratch, 0
	.set _ZL26rocblas_syr2k_her2k_kernelIiLb0ELb1ELb0ELi32EPK19rocblas_complex_numIfEPKS3_PKPS1_EvbiT_T4_T5_S9_lSB_S9_lT6_S9_li.has_dyn_sized_stack, 0
	.set _ZL26rocblas_syr2k_her2k_kernelIiLb0ELb1ELb0ELi32EPK19rocblas_complex_numIfEPKS3_PKPS1_EvbiT_T4_T5_S9_lSB_S9_lT6_S9_li.has_recursion, 0
	.set _ZL26rocblas_syr2k_her2k_kernelIiLb0ELb1ELb0ELi32EPK19rocblas_complex_numIfEPKS3_PKPS1_EvbiT_T4_T5_S9_lSB_S9_lT6_S9_li.has_indirect_call, 0
	.section	.AMDGPU.csdata,"",@progbits
; Kernel info:
; codeLenInByte = 2064
; TotalNumSgprs: 28
; NumVgprs: 38
; ScratchSize: 0
; MemoryBound: 0
; FloatMode: 240
; IeeeMode: 1
; LDSByteSize: 16384 bytes/workgroup (compile time only)
; SGPRBlocks: 8
; VGPRBlocks: 9
; NumSGPRsForWavesPerEU: 65
; NumVGPRsForWavesPerEU: 38
; Occupancy: 6
; WaveLimiterHint : 1
; COMPUTE_PGM_RSRC2:SCRATCH_EN: 0
; COMPUTE_PGM_RSRC2:USER_SGPR: 6
; COMPUTE_PGM_RSRC2:TRAP_HANDLER: 0
; COMPUTE_PGM_RSRC2:TGID_X_EN: 1
; COMPUTE_PGM_RSRC2:TGID_Y_EN: 1
; COMPUTE_PGM_RSRC2:TGID_Z_EN: 1
; COMPUTE_PGM_RSRC2:TIDIG_COMP_CNT: 1
	.section	.text._ZL26rocblas_syr2k_her2k_kernelIiLb0ELb1ELb1ELi32EPK19rocblas_complex_numIfEPKS3_PKPS1_EvbiT_T4_T5_S9_lSB_S9_lT6_S9_li,"axG",@progbits,_ZL26rocblas_syr2k_her2k_kernelIiLb0ELb1ELb1ELi32EPK19rocblas_complex_numIfEPKS3_PKPS1_EvbiT_T4_T5_S9_lSB_S9_lT6_S9_li,comdat
	.globl	_ZL26rocblas_syr2k_her2k_kernelIiLb0ELb1ELb1ELi32EPK19rocblas_complex_numIfEPKS3_PKPS1_EvbiT_T4_T5_S9_lSB_S9_lT6_S9_li ; -- Begin function _ZL26rocblas_syr2k_her2k_kernelIiLb0ELb1ELb1ELi32EPK19rocblas_complex_numIfEPKS3_PKPS1_EvbiT_T4_T5_S9_lSB_S9_lT6_S9_li
	.p2align	8
	.type	_ZL26rocblas_syr2k_her2k_kernelIiLb0ELb1ELb1ELi32EPK19rocblas_complex_numIfEPKS3_PKPS1_EvbiT_T4_T5_S9_lSB_S9_lT6_S9_li,@function
_ZL26rocblas_syr2k_her2k_kernelIiLb0ELb1ELb1ELi32EPK19rocblas_complex_numIfEPKS3_PKPS1_EvbiT_T4_T5_S9_lSB_S9_lT6_S9_li: ; @_ZL26rocblas_syr2k_her2k_kernelIiLb0ELb1ELb1ELi32EPK19rocblas_complex_numIfEPKS3_PKPS1_EvbiT_T4_T5_S9_lSB_S9_lT6_S9_li
; %bb.0:
	s_load_dwordx4 s[0:3], s[4:5], 0x10
	s_waitcnt lgkmcnt(0)
	s_load_dwordx2 s[10:11], s[0:1], 0x0
	s_waitcnt lgkmcnt(0)
	v_cmp_eq_f32_e64 s[0:1], s10, 0
	v_cmp_eq_f32_e64 s[12:13], s11, 0
	s_and_b64 s[0:1], s[0:1], s[12:13]
	s_and_b64 vcc, exec, s[0:1]
	s_cbranch_vccnz .LBB846_13
; %bb.1:
	s_load_dwordx4 s[12:15], s[4:5], 0x0
	s_waitcnt lgkmcnt(0)
	s_lshl_b32 s15, s7, 5
	s_lshl_b32 s20, s6, 5
	s_and_b32 s0, 1, s12
	s_cmp_eq_u32 s0, 1
	s_cselect_b64 s[0:1], -1, 0
	s_and_b64 s[6:7], s[0:1], exec
	s_cselect_b32 s6, s20, s15
	s_cselect_b32 s7, s15, s20
	s_cmp_gt_i32 s6, s7
	s_cbranch_scc1 .LBB846_13
; %bb.2:
	s_load_dwordx4 s[16:19], s[4:5], 0x40
	s_load_dword s12, s[4:5], 0x50
	s_load_dwordx2 s[22:23], s[4:5], 0x58
	s_mov_b32 s9, 0
	s_lshl_b64 s[6:7], s[8:9], 3
	s_waitcnt lgkmcnt(0)
	s_add_u32 s18, s18, s6
	s_addc_u32 s19, s19, s7
	s_load_dwordx2 s[18:19], s[18:19], 0x0
	v_add_u32_e32 v10, s20, v0
	s_lshl_b64 s[20:21], s[22:23], 3
	v_add_u32_e32 v14, s15, v1
	v_cmp_gt_i32_e32 vcc, s13, v10
	s_waitcnt lgkmcnt(0)
	s_add_u32 s8, s18, s20
	s_addc_u32 s15, s19, s21
	s_cmp_lt_i32 s14, 1
	v_ashrrev_i32_e32 v11, 31, v10
	s_cbranch_scc1 .LBB846_11
; %bb.3:
	s_add_u32 s2, s2, s6
	s_load_dword s18, s[4:5], 0x20
	s_load_dwordx4 s[20:23], s[4:5], 0x28
	s_load_dword s19, s[4:5], 0x38
	s_addc_u32 s3, s3, s7
	s_load_dwordx2 s[2:3], s[2:3], 0x0
	v_cndmask_b32_e64 v4, v10, v14, s[0:1]
	s_waitcnt lgkmcnt(0)
	s_add_u32 s4, s22, s6
	s_addc_u32 s5, s23, s7
	s_lshl_b64 s[6:7], s[20:21], 3
	s_add_u32 s20, s2, s6
	s_addc_u32 s21, s3, s7
	v_mad_i64_i32 v[2:3], s[6:7], s18, v10, 0
	s_load_dwordx2 s[4:5], s[4:5], 0x0
	v_cndmask_b32_e64 v5, v14, v10, s[0:1]
	v_lshlrev_b64 v[2:3], 3, v[2:3]
	v_mov_b32_e32 v6, s21
	v_add_co_u32_e64 v15, s[0:1], s20, v2
	v_addc_co_u32_e64 v16, s[0:1], v6, v3, s[0:1]
	v_mad_i64_i32 v[2:3], s[0:1], s19, v14, 0
	s_lshl_b64 s[2:3], s[16:17], 3
	s_waitcnt lgkmcnt(0)
	s_add_u32 s2, s4, s2
	v_lshlrev_b64 v[2:3], 3, v[2:3]
	s_addc_u32 s3, s5, s3
	v_mov_b32_e32 v7, s3
	v_add_co_u32_e64 v19, s[2:3], s2, v2
	v_addc_co_u32_e64 v20, s[2:3], v7, v3, s[2:3]
	v_mad_i64_i32 v[2:3], s[2:3], s12, v14, 0
	v_cmp_gt_i32_e64 s[0:1], s13, v14
	v_cmp_le_i32_e64 s[2:3], v5, v4
	v_lshlrev_b64 v[2:3], 3, v[2:3]
	s_and_b64 s[4:5], s[0:1], vcc
	s_and_b64 s[4:5], s[4:5], s[2:3]
	v_mov_b32_e32 v4, s15
	v_add_co_u32_e64 v5, s[2:3], s8, v2
	v_addc_co_u32_e64 v4, s[2:3], v4, v3, s[2:3]
	v_lshlrev_b64 v[2:3], 3, v[10:11]
	v_lshlrev_b32_e32 v6, 3, v1
	v_lshlrev_b32_e32 v17, 8, v0
	v_or_b32_e32 v21, 0x2000, v6
	v_add_co_u32_e64 v12, s[2:3], v5, v2
	v_add_u32_e32 v18, v17, v6
	v_addc_co_u32_e64 v13, s[2:3], v4, v3, s[2:3]
	v_add_u32_e32 v22, 0x800, v21
	v_add_u32_e32 v23, 0x1000, v21
	;; [unrolled: 1-line block ×3, first 2 shown]
	s_branch .LBB846_5
.LBB846_4:                              ;   in Loop: Header=BB846_5 Depth=1
	s_or_b64 exec, exec, s[2:3]
	s_add_i32 s9, s9, 32
	s_cmp_ge_i32 s9, s14
	s_waitcnt vmcnt(0) lgkmcnt(0)
	s_barrier
	s_cbranch_scc1 .LBB846_11
.LBB846_5:                              ; =>This Inner Loop Header: Depth=1
	v_add_u32_e32 v5, s9, v1
	v_cmp_gt_i32_e64 s[2:3], s14, v5
	s_and_b64 s[2:3], vcc, s[2:3]
	v_mov_b32_e32 v4, 0
	v_mov_b32_e32 v2, 0
	;; [unrolled: 1-line block ×3, first 2 shown]
	s_and_saveexec_b64 s[6:7], s[2:3]
	s_cbranch_execz .LBB846_7
; %bb.6:                                ;   in Loop: Header=BB846_5 Depth=1
	v_ashrrev_i32_e32 v6, 31, v5
	v_lshlrev_b64 v[3:4], 3, v[5:6]
	v_add_co_u32_e64 v3, s[2:3], v15, v3
	v_addc_co_u32_e64 v4, s[2:3], v16, v4, s[2:3]
	flat_load_dwordx2 v[3:4], v[3:4]
	s_waitcnt vmcnt(0) lgkmcnt(0)
	v_xor_b32_e32 v4, 0x80000000, v4
.LBB846_7:                              ;   in Loop: Header=BB846_5 Depth=1
	s_or_b64 exec, exec, s[6:7]
	ds_write_b64 v18, v[3:4]
	v_add_u32_e32 v4, s9, v0
	v_cmp_gt_i32_e64 s[2:3], s14, v4
	s_and_b64 s[2:3], s[0:1], s[2:3]
	v_mov_b32_e32 v3, 0
	s_and_saveexec_b64 s[6:7], s[2:3]
	s_cbranch_execz .LBB846_9
; %bb.8:                                ;   in Loop: Header=BB846_5 Depth=1
	v_ashrrev_i32_e32 v5, 31, v4
	v_lshlrev_b64 v[2:3], 3, v[4:5]
	v_add_co_u32_e64 v2, s[2:3], v19, v2
	v_addc_co_u32_e64 v3, s[2:3], v20, v3, s[2:3]
	flat_load_dwordx2 v[2:3], v[2:3]
.LBB846_9:                              ;   in Loop: Header=BB846_5 Depth=1
	s_or_b64 exec, exec, s[6:7]
	v_add_u32_e32 v4, v21, v17
	s_waitcnt vmcnt(0) lgkmcnt(0)
	ds_write_b64 v4, v[2:3]
	s_waitcnt lgkmcnt(0)
	s_barrier
	s_and_saveexec_b64 s[2:3], s[4:5]
	s_cbranch_execz .LBB846_4
; %bb.10:                               ;   in Loop: Header=BB846_5 Depth=1
	ds_read2_b64 v[2:5], v21 offset1:32
	ds_read_b128 v[6:9], v17
	ds_read_b128 v[25:28], v17 offset:16
	s_waitcnt lgkmcnt(1)
	v_mul_f32_e32 v29, v3, v7
	v_fma_f32 v34, v2, v6, -v29
	ds_read2_b64 v[29:32], v21 offset0:64 offset1:96
	v_mul_f32_e32 v33, v2, v7
	v_mul_f32_e32 v2, v5, v9
	v_fma_f32 v35, v4, v8, -v2
	v_fmac_f32_e32 v33, v3, v6
	s_waitcnt lgkmcnt(0)
	v_mul_f32_e32 v2, v30, v26
	v_mul_f32_e32 v36, v4, v9
	v_fma_f32 v37, v29, v25, -v2
	v_mul_f32_e32 v29, v29, v26
	v_mul_f32_e32 v2, v32, v28
	v_fmac_f32_e32 v36, v5, v8
	v_fmac_f32_e32 v29, v30, v25
	v_fma_f32 v30, v31, v27, -v2
	v_mul_f32_e32 v31, v31, v28
	v_add_f32_e32 v25, 0, v34
	v_add_f32_e32 v26, 0, v33
	v_fmac_f32_e32 v31, v32, v27
	ds_read_b128 v[2:5], v17 offset:32
	ds_read_b128 v[6:9], v17 offset:48
	v_add_f32_e32 v32, v25, v35
	v_add_f32_e32 v33, v26, v36
	ds_read2_b64 v[25:28], v21 offset0:128 offset1:160
	v_add_f32_e32 v29, v33, v29
	v_add_f32_e32 v29, v29, v31
	;; [unrolled: 1-line block ×4, first 2 shown]
	s_waitcnt lgkmcnt(0)
	v_mul_f32_e32 v31, v26, v3
	v_fma_f32 v31, v25, v2, -v31
	v_mul_f32_e32 v25, v25, v3
	v_fmac_f32_e32 v25, v26, v2
	v_mul_f32_e32 v2, v28, v5
	v_fma_f32 v26, v27, v4, -v2
	v_mul_f32_e32 v27, v27, v5
	v_fmac_f32_e32 v27, v28, v4
	ds_read2_b64 v[2:5], v21 offset0:192 offset1:224
	v_add_f32_e32 v25, v29, v25
	v_add_f32_e32 v28, v30, v31
	;; [unrolled: 1-line block ×4, first 2 shown]
	s_waitcnt lgkmcnt(0)
	v_mul_f32_e32 v25, v3, v7
	v_fma_f32 v25, v2, v6, -v25
	v_mul_f32_e32 v7, v2, v7
	v_mul_f32_e32 v2, v5, v9
	;; [unrolled: 1-line block ×3, first 2 shown]
	v_fmac_f32_e32 v7, v3, v6
	v_add_f32_e32 v6, v26, v25
	v_fma_f32 v30, v4, v8, -v2
	ds_read_b128 v[25:28], v17 offset:64
	v_fmac_f32_e32 v9, v5, v8
	ds_read2_b64 v[2:5], v22 offset1:32
	v_add_f32_e32 v7, v29, v7
	v_add_f32_e32 v29, v6, v30
	;; [unrolled: 1-line block ×3, first 2 shown]
	ds_read_b128 v[6:9], v17 offset:80
	s_waitcnt lgkmcnt(1)
	v_mul_f32_e32 v31, v3, v26
	v_fma_f32 v31, v2, v25, -v31
	v_mul_f32_e32 v26, v2, v26
	v_mul_f32_e32 v2, v5, v28
	;; [unrolled: 1-line block ×3, first 2 shown]
	v_fmac_f32_e32 v26, v3, v25
	v_fma_f32 v25, v4, v27, -v2
	v_fmac_f32_e32 v28, v5, v27
	ds_read2_b64 v[2:5], v22 offset0:64 offset1:96
	v_add_f32_e32 v26, v30, v26
	v_add_f32_e32 v27, v29, v31
	;; [unrolled: 1-line block ×4, first 2 shown]
	s_waitcnt lgkmcnt(0)
	v_mul_f32_e32 v26, v3, v7
	v_fma_f32 v26, v2, v6, -v26
	v_mul_f32_e32 v7, v2, v7
	v_mul_f32_e32 v2, v5, v9
	;; [unrolled: 1-line block ×3, first 2 shown]
	v_fmac_f32_e32 v7, v3, v6
	v_add_f32_e32 v6, v25, v26
	v_fma_f32 v30, v4, v8, -v2
	ds_read_b128 v[25:28], v17 offset:96
	v_fmac_f32_e32 v9, v5, v8
	ds_read2_b64 v[2:5], v22 offset0:128 offset1:160
	v_add_f32_e32 v7, v29, v7
	v_add_f32_e32 v29, v6, v30
	;; [unrolled: 1-line block ×3, first 2 shown]
	ds_read_b128 v[6:9], v17 offset:112
	s_waitcnt lgkmcnt(1)
	v_mul_f32_e32 v31, v3, v26
	v_fma_f32 v31, v2, v25, -v31
	v_mul_f32_e32 v26, v2, v26
	v_mul_f32_e32 v2, v5, v28
	;; [unrolled: 1-line block ×3, first 2 shown]
	v_fmac_f32_e32 v26, v3, v25
	v_fma_f32 v25, v4, v27, -v2
	v_fmac_f32_e32 v28, v5, v27
	ds_read2_b64 v[2:5], v22 offset0:192 offset1:224
	v_add_f32_e32 v26, v30, v26
	v_add_f32_e32 v27, v29, v31
	;; [unrolled: 1-line block ×4, first 2 shown]
	s_waitcnt lgkmcnt(0)
	v_mul_f32_e32 v26, v3, v7
	v_fma_f32 v26, v2, v6, -v26
	v_mul_f32_e32 v7, v2, v7
	v_mul_f32_e32 v2, v5, v9
	;; [unrolled: 1-line block ×3, first 2 shown]
	v_fmac_f32_e32 v7, v3, v6
	v_add_f32_e32 v6, v25, v26
	v_fma_f32 v30, v4, v8, -v2
	ds_read_b128 v[25:28], v17 offset:128
	v_fmac_f32_e32 v9, v5, v8
	ds_read2_b64 v[2:5], v23 offset1:32
	v_add_f32_e32 v7, v29, v7
	v_add_f32_e32 v29, v6, v30
	;; [unrolled: 1-line block ×3, first 2 shown]
	ds_read_b128 v[6:9], v17 offset:144
	s_waitcnt lgkmcnt(1)
	v_mul_f32_e32 v31, v3, v26
	v_fma_f32 v31, v2, v25, -v31
	v_mul_f32_e32 v2, v2, v26
	v_fmac_f32_e32 v2, v3, v25
	v_mul_f32_e32 v3, v5, v28
	v_fma_f32 v3, v4, v27, -v3
	v_mul_f32_e32 v4, v4, v28
	v_fmac_f32_e32 v4, v5, v27
	ds_read2_b64 v[25:28], v23 offset0:64 offset1:96
	v_add_f32_e32 v2, v30, v2
	v_add_f32_e32 v30, v2, v4
	;; [unrolled: 1-line block ×4, first 2 shown]
	s_waitcnt lgkmcnt(0)
	v_mul_f32_e32 v2, v26, v7
	v_fma_f32 v31, v25, v6, -v2
	v_mul_f32_e32 v25, v25, v7
	v_mul_f32_e32 v2, v28, v9
	v_fmac_f32_e32 v25, v26, v6
	v_fma_f32 v26, v27, v8, -v2
	v_mul_f32_e32 v27, v27, v9
	ds_read_b128 v[2:5], v17 offset:160
	v_fmac_f32_e32 v27, v28, v8
	ds_read2_b64 v[6:9], v23 offset0:128 offset1:160
	v_add_f32_e32 v28, v29, v31
	v_add_f32_e32 v29, v30, v25
	;; [unrolled: 1-line block ×4, first 2 shown]
	ds_read_b128 v[27:30], v17 offset:176
	s_waitcnt lgkmcnt(1)
	v_mul_f32_e32 v31, v7, v3
	v_fma_f32 v33, v6, v2, -v31
	flat_load_dwordx2 v[31:32], v[12:13]
	v_mul_f32_e32 v6, v6, v3
	v_fmac_f32_e32 v6, v7, v2
	v_mul_f32_e32 v2, v9, v5
	v_fma_f32 v7, v8, v4, -v2
	v_mul_f32_e32 v8, v8, v5
	v_fmac_f32_e32 v8, v9, v4
	ds_read2_b64 v[2:5], v23 offset0:192 offset1:224
	v_add_f32_e32 v6, v26, v6
	v_add_f32_e32 v26, v6, v8
	;; [unrolled: 1-line block ×4, first 2 shown]
	s_waitcnt lgkmcnt(0)
	v_mul_f32_e32 v6, v3, v28
	v_fma_f32 v33, v2, v27, -v6
	v_mul_f32_e32 v28, v2, v28
	v_mul_f32_e32 v2, v5, v30
	;; [unrolled: 1-line block ×3, first 2 shown]
	v_fmac_f32_e32 v28, v3, v27
	v_fma_f32 v27, v4, v29, -v2
	v_fmac_f32_e32 v30, v5, v29
	ds_read_b128 v[2:5], v17 offset:192
	ds_read2_b64 v[6:9], v24 offset1:32
	v_add_f32_e32 v25, v25, v33
	v_add_f32_e32 v26, v26, v28
	;; [unrolled: 1-line block ×4, first 2 shown]
	s_waitcnt lgkmcnt(0)
	v_mul_f32_e32 v33, v7, v3
	v_fma_f32 v33, v6, v2, -v33
	v_mul_f32_e32 v6, v6, v3
	v_fmac_f32_e32 v6, v7, v2
	v_mul_f32_e32 v2, v9, v5
	v_fma_f32 v7, v8, v4, -v2
	v_mul_f32_e32 v8, v8, v5
	ds_read_b128 v[25:28], v17 offset:208
	v_fmac_f32_e32 v8, v9, v4
	ds_read2_b64 v[2:5], v24 offset0:64 offset1:96
	v_add_f32_e32 v6, v30, v6
	v_add_f32_e32 v30, v6, v8
	;; [unrolled: 1-line block ×4, first 2 shown]
	s_waitcnt lgkmcnt(0)
	v_mul_f32_e32 v6, v3, v26
	v_fma_f32 v33, v2, v25, -v6
	v_mul_f32_e32 v26, v2, v26
	v_mul_f32_e32 v2, v5, v28
	;; [unrolled: 1-line block ×3, first 2 shown]
	v_fmac_f32_e32 v26, v3, v25
	v_fma_f32 v25, v4, v27, -v2
	v_fmac_f32_e32 v28, v5, v27
	ds_read_b128 v[2:5], v17 offset:224
	ds_read2_b64 v[6:9], v24 offset0:128 offset1:160
	v_add_f32_e32 v27, v29, v33
	v_add_f32_e32 v26, v30, v26
	;; [unrolled: 1-line block ×4, first 2 shown]
	s_waitcnt lgkmcnt(0)
	v_mul_f32_e32 v33, v7, v3
	v_fma_f32 v33, v6, v2, -v33
	v_mul_f32_e32 v6, v6, v3
	v_fmac_f32_e32 v6, v7, v2
	v_mul_f32_e32 v2, v9, v5
	v_fma_f32 v7, v8, v4, -v2
	v_mul_f32_e32 v8, v8, v5
	ds_read_b128 v[25:28], v17 offset:240
	v_fmac_f32_e32 v8, v9, v4
	ds_read2_b64 v[2:5], v24 offset0:192 offset1:224
	v_add_f32_e32 v6, v30, v6
	v_add_f32_e32 v6, v6, v8
	v_add_f32_e32 v9, v29, v33
	v_add_f32_e32 v7, v9, v7
	s_waitcnt lgkmcnt(0)
	v_mul_f32_e32 v8, v3, v26
	v_fma_f32 v8, v2, v25, -v8
	v_mul_f32_e32 v2, v2, v26
	v_fmac_f32_e32 v2, v3, v25
	v_add_f32_e32 v2, v6, v2
	v_mul_f32_e32 v6, v5, v28
	v_fma_f32 v6, v4, v27, -v6
	v_mul_f32_e32 v4, v4, v28
	v_fmac_f32_e32 v4, v5, v27
	v_add_f32_e32 v3, v7, v8
	v_add_f32_e32 v2, v2, v4
	;; [unrolled: 1-line block ×3, first 2 shown]
	v_mul_f32_e32 v4, s11, v2
	v_mul_f32_e32 v5, s10, v2
	v_fma_f32 v4, s10, v3, -v4
	v_fmac_f32_e32 v5, s11, v3
	s_waitcnt vmcnt(0)
	v_add_f32_e32 v2, v31, v4
	v_add_f32_e32 v3, v32, v5
	flat_store_dwordx2 v[12:13], v[2:3]
	s_branch .LBB846_4
.LBB846_11:
	v_cmp_eq_u32_e32 vcc, v10, v14
	v_cmp_gt_i32_e64 s[0:1], s13, v10
	s_and_b64 s[0:1], vcc, s[0:1]
	s_and_saveexec_b64 s[2:3], s[0:1]
	s_cbranch_execz .LBB846_13
; %bb.12:
	v_mad_i64_i32 v[0:1], s[0:1], s12, v10, 0
	v_mov_b32_e32 v2, s15
	v_lshlrev_b64 v[0:1], 3, v[0:1]
	v_add_co_u32_e32 v3, vcc, s8, v0
	v_addc_co_u32_e32 v2, vcc, v2, v1, vcc
	v_lshlrev_b64 v[0:1], 3, v[10:11]
	v_add_co_u32_e32 v0, vcc, v3, v0
	v_addc_co_u32_e32 v1, vcc, v2, v1, vcc
	v_mov_b32_e32 v2, 0
	flat_store_dword v[0:1], v2 offset:4
.LBB846_13:
	s_endpgm
	.section	.rodata,"a",@progbits
	.p2align	6, 0x0
	.amdhsa_kernel _ZL26rocblas_syr2k_her2k_kernelIiLb0ELb1ELb1ELi32EPK19rocblas_complex_numIfEPKS3_PKPS1_EvbiT_T4_T5_S9_lSB_S9_lT6_S9_li
		.amdhsa_group_segment_fixed_size 16384
		.amdhsa_private_segment_fixed_size 0
		.amdhsa_kernarg_size 100
		.amdhsa_user_sgpr_count 6
		.amdhsa_user_sgpr_private_segment_buffer 1
		.amdhsa_user_sgpr_dispatch_ptr 0
		.amdhsa_user_sgpr_queue_ptr 0
		.amdhsa_user_sgpr_kernarg_segment_ptr 1
		.amdhsa_user_sgpr_dispatch_id 0
		.amdhsa_user_sgpr_flat_scratch_init 0
		.amdhsa_user_sgpr_private_segment_size 0
		.amdhsa_uses_dynamic_stack 0
		.amdhsa_system_sgpr_private_segment_wavefront_offset 0
		.amdhsa_system_sgpr_workgroup_id_x 1
		.amdhsa_system_sgpr_workgroup_id_y 1
		.amdhsa_system_sgpr_workgroup_id_z 1
		.amdhsa_system_sgpr_workgroup_info 0
		.amdhsa_system_vgpr_workitem_id 1
		.amdhsa_next_free_vgpr 38
		.amdhsa_next_free_sgpr 61
		.amdhsa_reserve_vcc 1
		.amdhsa_reserve_flat_scratch 0
		.amdhsa_float_round_mode_32 0
		.amdhsa_float_round_mode_16_64 0
		.amdhsa_float_denorm_mode_32 3
		.amdhsa_float_denorm_mode_16_64 3
		.amdhsa_dx10_clamp 1
		.amdhsa_ieee_mode 1
		.amdhsa_fp16_overflow 0
		.amdhsa_exception_fp_ieee_invalid_op 0
		.amdhsa_exception_fp_denorm_src 0
		.amdhsa_exception_fp_ieee_div_zero 0
		.amdhsa_exception_fp_ieee_overflow 0
		.amdhsa_exception_fp_ieee_underflow 0
		.amdhsa_exception_fp_ieee_inexact 0
		.amdhsa_exception_int_div_zero 0
	.end_amdhsa_kernel
	.section	.text._ZL26rocblas_syr2k_her2k_kernelIiLb0ELb1ELb1ELi32EPK19rocblas_complex_numIfEPKS3_PKPS1_EvbiT_T4_T5_S9_lSB_S9_lT6_S9_li,"axG",@progbits,_ZL26rocblas_syr2k_her2k_kernelIiLb0ELb1ELb1ELi32EPK19rocblas_complex_numIfEPKS3_PKPS1_EvbiT_T4_T5_S9_lSB_S9_lT6_S9_li,comdat
.Lfunc_end846:
	.size	_ZL26rocblas_syr2k_her2k_kernelIiLb0ELb1ELb1ELi32EPK19rocblas_complex_numIfEPKS3_PKPS1_EvbiT_T4_T5_S9_lSB_S9_lT6_S9_li, .Lfunc_end846-_ZL26rocblas_syr2k_her2k_kernelIiLb0ELb1ELb1ELi32EPK19rocblas_complex_numIfEPKS3_PKPS1_EvbiT_T4_T5_S9_lSB_S9_lT6_S9_li
                                        ; -- End function
	.set _ZL26rocblas_syr2k_her2k_kernelIiLb0ELb1ELb1ELi32EPK19rocblas_complex_numIfEPKS3_PKPS1_EvbiT_T4_T5_S9_lSB_S9_lT6_S9_li.num_vgpr, 38
	.set _ZL26rocblas_syr2k_her2k_kernelIiLb0ELb1ELb1ELi32EPK19rocblas_complex_numIfEPKS3_PKPS1_EvbiT_T4_T5_S9_lSB_S9_lT6_S9_li.num_agpr, 0
	.set _ZL26rocblas_syr2k_her2k_kernelIiLb0ELb1ELb1ELi32EPK19rocblas_complex_numIfEPKS3_PKPS1_EvbiT_T4_T5_S9_lSB_S9_lT6_S9_li.numbered_sgpr, 24
	.set _ZL26rocblas_syr2k_her2k_kernelIiLb0ELb1ELb1ELi32EPK19rocblas_complex_numIfEPKS3_PKPS1_EvbiT_T4_T5_S9_lSB_S9_lT6_S9_li.num_named_barrier, 0
	.set _ZL26rocblas_syr2k_her2k_kernelIiLb0ELb1ELb1ELi32EPK19rocblas_complex_numIfEPKS3_PKPS1_EvbiT_T4_T5_S9_lSB_S9_lT6_S9_li.private_seg_size, 0
	.set _ZL26rocblas_syr2k_her2k_kernelIiLb0ELb1ELb1ELi32EPK19rocblas_complex_numIfEPKS3_PKPS1_EvbiT_T4_T5_S9_lSB_S9_lT6_S9_li.uses_vcc, 1
	.set _ZL26rocblas_syr2k_her2k_kernelIiLb0ELb1ELb1ELi32EPK19rocblas_complex_numIfEPKS3_PKPS1_EvbiT_T4_T5_S9_lSB_S9_lT6_S9_li.uses_flat_scratch, 0
	.set _ZL26rocblas_syr2k_her2k_kernelIiLb0ELb1ELb1ELi32EPK19rocblas_complex_numIfEPKS3_PKPS1_EvbiT_T4_T5_S9_lSB_S9_lT6_S9_li.has_dyn_sized_stack, 0
	.set _ZL26rocblas_syr2k_her2k_kernelIiLb0ELb1ELb1ELi32EPK19rocblas_complex_numIfEPKS3_PKPS1_EvbiT_T4_T5_S9_lSB_S9_lT6_S9_li.has_recursion, 0
	.set _ZL26rocblas_syr2k_her2k_kernelIiLb0ELb1ELb1ELi32EPK19rocblas_complex_numIfEPKS3_PKPS1_EvbiT_T4_T5_S9_lSB_S9_lT6_S9_li.has_indirect_call, 0
	.section	.AMDGPU.csdata,"",@progbits
; Kernel info:
; codeLenInByte = 2076
; TotalNumSgprs: 28
; NumVgprs: 38
; ScratchSize: 0
; MemoryBound: 0
; FloatMode: 240
; IeeeMode: 1
; LDSByteSize: 16384 bytes/workgroup (compile time only)
; SGPRBlocks: 8
; VGPRBlocks: 9
; NumSGPRsForWavesPerEU: 65
; NumVGPRsForWavesPerEU: 38
; Occupancy: 6
; WaveLimiterHint : 1
; COMPUTE_PGM_RSRC2:SCRATCH_EN: 0
; COMPUTE_PGM_RSRC2:USER_SGPR: 6
; COMPUTE_PGM_RSRC2:TRAP_HANDLER: 0
; COMPUTE_PGM_RSRC2:TGID_X_EN: 1
; COMPUTE_PGM_RSRC2:TGID_Y_EN: 1
; COMPUTE_PGM_RSRC2:TGID_Z_EN: 1
; COMPUTE_PGM_RSRC2:TIDIG_COMP_CNT: 1
	.section	.text._ZL26rocblas_syr2k_her2k_kernelIiLb0ELb1ELb0ELi32E19rocblas_complex_numIdEPKPKS1_PKPS1_EvbiT_T4_T5_S9_lSB_S9_lT6_S9_li,"axG",@progbits,_ZL26rocblas_syr2k_her2k_kernelIiLb0ELb1ELb0ELi32E19rocblas_complex_numIdEPKPKS1_PKPS1_EvbiT_T4_T5_S9_lSB_S9_lT6_S9_li,comdat
	.globl	_ZL26rocblas_syr2k_her2k_kernelIiLb0ELb1ELb0ELi32E19rocblas_complex_numIdEPKPKS1_PKPS1_EvbiT_T4_T5_S9_lSB_S9_lT6_S9_li ; -- Begin function _ZL26rocblas_syr2k_her2k_kernelIiLb0ELb1ELb0ELi32E19rocblas_complex_numIdEPKPKS1_PKPS1_EvbiT_T4_T5_S9_lSB_S9_lT6_S9_li
	.p2align	8
	.type	_ZL26rocblas_syr2k_her2k_kernelIiLb0ELb1ELb0ELi32E19rocblas_complex_numIdEPKPKS1_PKPS1_EvbiT_T4_T5_S9_lSB_S9_lT6_S9_li,@function
_ZL26rocblas_syr2k_her2k_kernelIiLb0ELb1ELb0ELi32E19rocblas_complex_numIdEPKPKS1_PKPS1_EvbiT_T4_T5_S9_lSB_S9_lT6_S9_li: ; @_ZL26rocblas_syr2k_her2k_kernelIiLb0ELb1ELb0ELi32E19rocblas_complex_numIdEPKPKS1_PKPS1_EvbiT_T4_T5_S9_lSB_S9_lT6_S9_li
; %bb.0:
	s_load_dwordx4 s[12:15], s[4:5], 0x10
	s_waitcnt lgkmcnt(0)
	v_cmp_eq_f64_e64 s[0:1], s[12:13], 0
	v_cmp_eq_f64_e64 s[2:3], s[14:15], 0
	s_and_b64 s[0:1], s[0:1], s[2:3]
	s_and_b64 vcc, exec, s[0:1]
	s_cbranch_vccnz .LBB847_13
; %bb.1:
	s_load_dwordx4 s[16:19], s[4:5], 0x0
	s_lshl_b32 s7, s7, 5
	s_lshl_b32 s6, s6, 5
	s_waitcnt lgkmcnt(0)
	s_and_b32 s0, 1, s16
	s_cmp_eq_u32 s0, 1
	s_cselect_b64 s[0:1], -1, 0
	s_and_b64 s[2:3], s[0:1], exec
	s_cselect_b32 s2, s6, s7
	s_cselect_b32 s3, s7, s6
	s_cmp_gt_i32 s2, s3
	s_cbranch_scc1 .LBB847_13
; %bb.2:
	s_load_dwordx4 s[20:23], s[4:5], 0x48
	s_load_dword s10, s[4:5], 0x58
	s_load_dwordx2 s[24:25], s[4:5], 0x60
	s_mov_b32 s9, 0
	s_lshl_b64 s[2:3], s[8:9], 3
	s_waitcnt lgkmcnt(0)
	s_add_u32 s22, s22, s2
	s_addc_u32 s23, s23, s3
	s_load_dwordx2 s[22:23], s[22:23], 0x0
	v_add_u32_e32 v8, s6, v0
	v_add_u32_e32 v10, s7, v1
	s_lshl_b64 s[6:7], s[24:25], 4
	v_cmp_gt_i32_e32 vcc, s17, v8
	s_waitcnt lgkmcnt(0)
	s_add_u32 s8, s22, s6
	s_addc_u32 s11, s23, s7
	s_cmp_lt_i32 s18, 1
	v_ashrrev_i32_e32 v9, 31, v8
	s_cbranch_scc1 .LBB847_11
; %bb.3:
	s_load_dwordx2 s[6:7], s[4:5], 0x20
	s_load_dword s16, s[4:5], 0x28
	s_load_dwordx4 s[24:27], s[4:5], 0x30
	s_load_dword s19, s[4:5], 0x40
	v_lshlrev_b64 v[2:3], 4, v[8:9]
	s_waitcnt lgkmcnt(0)
	s_add_u32 s4, s6, s2
	s_addc_u32 s5, s7, s3
	s_load_dwordx2 s[4:5], s[4:5], 0x0
	s_add_u32 s2, s26, s2
	s_addc_u32 s3, s27, s3
	s_load_dwordx2 s[2:3], s[2:3], 0x0
	s_lshl_b64 s[6:7], s[24:25], 4
	s_waitcnt lgkmcnt(0)
	s_add_u32 s6, s4, s6
	s_addc_u32 s7, s5, s7
	s_lshl_b64 s[4:5], s[20:21], 4
	v_cndmask_b32_e64 v6, v8, v10, s[0:1]
	v_cndmask_b32_e64 v7, v10, v8, s[0:1]
	v_mov_b32_e32 v4, s7
	v_add_co_u32_e64 v13, s[0:1], s6, v2
	v_ashrrev_i32_e32 v11, 31, v10
	s_add_u32 s2, s2, s4
	v_addc_co_u32_e64 v14, s[0:1], v4, v3, s[0:1]
	v_lshlrev_b64 v[4:5], 4, v[10:11]
	s_addc_u32 s3, s3, s5
	v_mov_b32_e32 v11, s3
	v_add_co_u32_e64 v17, s[2:3], s2, v4
	v_addc_co_u32_e64 v18, s[2:3], v11, v5, s[2:3]
	v_mad_i64_i32 v[4:5], s[2:3], s10, v10, 0
	v_cmp_gt_i32_e64 s[0:1], s17, v10
	v_cmp_le_i32_e64 s[2:3], v7, v6
	v_lshlrev_b64 v[4:5], 4, v[4:5]
	s_and_b64 s[4:5], s[0:1], vcc
	s_and_b64 s[4:5], s[4:5], s[2:3]
	v_mov_b32_e32 v6, s11
	v_add_co_u32_e64 v4, s[2:3], s8, v4
	v_lshlrev_b32_e32 v12, 4, v1
	v_addc_co_u32_e64 v5, s[2:3], v6, v5, s[2:3]
	v_lshlrev_b32_e32 v15, 9, v0
	v_or_b32_e32 v19, 0x4000, v12
	v_add_co_u32_e64 v11, s[2:3], v4, v2
	v_add_u32_e32 v16, v15, v12
	v_add_u32_e32 v20, v19, v15
	v_addc_co_u32_e64 v12, s[2:3], v5, v3, s[2:3]
	s_branch .LBB847_5
.LBB847_4:                              ;   in Loop: Header=BB847_5 Depth=1
	s_or_b64 exec, exec, s[2:3]
	s_add_i32 s9, s9, 32
	s_cmp_ge_i32 s9, s18
	s_waitcnt vmcnt(0) lgkmcnt(0)
	s_barrier
	s_cbranch_scc1 .LBB847_11
.LBB847_5:                              ; =>This Inner Loop Header: Depth=1
	v_add_u32_e32 v21, s9, v1
	v_cmp_gt_i32_e64 s[2:3], s18, v21
	v_mov_b32_e32 v2, 0
	v_mov_b32_e32 v4, 0
	;; [unrolled: 1-line block ×6, first 2 shown]
	s_and_b64 s[2:3], vcc, s[2:3]
	s_and_saveexec_b64 s[6:7], s[2:3]
	s_cbranch_execz .LBB847_7
; %bb.6:                                ;   in Loop: Header=BB847_5 Depth=1
	v_mad_i64_i32 v[4:5], s[2:3], v21, s16, 0
	v_lshlrev_b64 v[4:5], 4, v[4:5]
	v_add_co_u32_e64 v4, s[2:3], v13, v4
	v_addc_co_u32_e64 v5, s[2:3], v14, v5, s[2:3]
	flat_load_dwordx4 v[4:7], v[4:5]
.LBB847_7:                              ;   in Loop: Header=BB847_5 Depth=1
	s_or_b64 exec, exec, s[6:7]
	s_waitcnt vmcnt(0) lgkmcnt(0)
	ds_write_b128 v16, v[4:7]
	v_add_u32_e32 v6, s9, v0
	v_cmp_gt_i32_e64 s[2:3], s18, v6
	v_mov_b32_e32 v4, 0
	v_mov_b32_e32 v5, 0
	s_and_b64 s[2:3], s[0:1], s[2:3]
	s_and_saveexec_b64 s[6:7], s[2:3]
	s_cbranch_execz .LBB847_9
; %bb.8:                                ;   in Loop: Header=BB847_5 Depth=1
	v_mad_i64_i32 v[2:3], s[2:3], v6, s19, 0
	v_lshlrev_b64 v[2:3], 4, v[2:3]
	v_add_co_u32_e64 v2, s[2:3], v17, v2
	v_addc_co_u32_e64 v3, s[2:3], v18, v3, s[2:3]
	flat_load_dwordx4 v[2:5], v[2:3]
	s_waitcnt vmcnt(0) lgkmcnt(0)
	v_xor_b32_e32 v5, 0x80000000, v5
.LBB847_9:                              ;   in Loop: Header=BB847_5 Depth=1
	s_or_b64 exec, exec, s[6:7]
	ds_write_b128 v20, v[2:5]
	s_waitcnt lgkmcnt(0)
	s_barrier
	s_and_saveexec_b64 s[2:3], s[4:5]
	s_cbranch_execz .LBB847_4
; %bb.10:                               ;   in Loop: Header=BB847_5 Depth=1
	ds_read_b128 v[21:24], v19
	ds_read_b128 v[25:28], v15
	ds_read_b128 v[29:32], v15 offset:16
	ds_read_b128 v[33:36], v15 offset:32
	;; [unrolled: 1-line block ×3, first 2 shown]
	s_waitcnt lgkmcnt(3)
	v_mul_f64 v[6:7], v[23:24], v[27:28]
	v_fma_f64 v[6:7], v[21:22], v[25:26], -v[6:7]
	v_mul_f64 v[21:22], v[21:22], v[27:28]
	v_add_f64 v[6:7], v[6:7], 0
	v_fma_f64 v[21:22], v[23:24], v[25:26], v[21:22]
	v_add_f64 v[25:26], v[21:22], 0
	ds_read_b128 v[21:24], v19 offset:512
	s_waitcnt lgkmcnt(0)
	v_mul_f64 v[27:28], v[23:24], v[31:32]
	v_fma_f64 v[27:28], v[21:22], v[29:30], -v[27:28]
	v_mul_f64 v[21:22], v[21:22], v[31:32]
	v_add_f64 v[6:7], v[6:7], v[27:28]
	v_fma_f64 v[21:22], v[23:24], v[29:30], v[21:22]
	v_add_f64 v[25:26], v[25:26], v[21:22]
	ds_read_b128 v[21:24], v19 offset:1024
	s_waitcnt lgkmcnt(0)
	v_mul_f64 v[27:28], v[23:24], v[35:36]
	v_fma_f64 v[27:28], v[21:22], v[33:34], -v[27:28]
	v_mul_f64 v[21:22], v[21:22], v[35:36]
	v_add_f64 v[6:7], v[6:7], v[27:28]
	v_fma_f64 v[21:22], v[23:24], v[33:34], v[21:22]
	v_add_f64 v[25:26], v[25:26], v[21:22]
	ds_read_b128 v[21:24], v19 offset:1536
	s_waitcnt lgkmcnt(0)
	v_mul_f64 v[27:28], v[23:24], v[4:5]
	v_mul_f64 v[4:5], v[21:22], v[4:5]
	v_fma_f64 v[27:28], v[21:22], v[2:3], -v[27:28]
	v_fma_f64 v[2:3], v[23:24], v[2:3], v[4:5]
	v_add_f64 v[6:7], v[6:7], v[27:28]
	v_add_f64 v[25:26], v[25:26], v[2:3]
	ds_read_b128 v[2:5], v19 offset:2048
	ds_read_b128 v[21:24], v15 offset:64
	s_waitcnt lgkmcnt(0)
	v_mul_f64 v[27:28], v[4:5], v[23:24]
	v_fma_f64 v[27:28], v[2:3], v[21:22], -v[27:28]
	v_mul_f64 v[2:3], v[2:3], v[23:24]
	v_add_f64 v[6:7], v[6:7], v[27:28]
	v_fma_f64 v[2:3], v[4:5], v[21:22], v[2:3]
	v_add_f64 v[25:26], v[25:26], v[2:3]
	ds_read_b128 v[2:5], v19 offset:2560
	ds_read_b128 v[21:24], v15 offset:80
	s_waitcnt lgkmcnt(0)
	v_mul_f64 v[27:28], v[4:5], v[23:24]
	v_fma_f64 v[27:28], v[2:3], v[21:22], -v[27:28]
	v_mul_f64 v[2:3], v[2:3], v[23:24]
	v_add_f64 v[6:7], v[6:7], v[27:28]
	v_fma_f64 v[2:3], v[4:5], v[21:22], v[2:3]
	v_add_f64 v[25:26], v[25:26], v[2:3]
	ds_read_b128 v[2:5], v19 offset:3072
	ds_read_b128 v[21:24], v15 offset:96
	s_waitcnt lgkmcnt(0)
	v_mul_f64 v[27:28], v[4:5], v[23:24]
	v_fma_f64 v[27:28], v[2:3], v[21:22], -v[27:28]
	v_mul_f64 v[2:3], v[2:3], v[23:24]
	v_add_f64 v[6:7], v[6:7], v[27:28]
	v_fma_f64 v[2:3], v[4:5], v[21:22], v[2:3]
	v_add_f64 v[25:26], v[25:26], v[2:3]
	ds_read_b128 v[2:5], v19 offset:3584
	ds_read_b128 v[21:24], v15 offset:112
	s_waitcnt lgkmcnt(0)
	v_mul_f64 v[27:28], v[4:5], v[23:24]
	v_fma_f64 v[27:28], v[2:3], v[21:22], -v[27:28]
	v_mul_f64 v[2:3], v[2:3], v[23:24]
	v_add_f64 v[6:7], v[6:7], v[27:28]
	v_fma_f64 v[2:3], v[4:5], v[21:22], v[2:3]
	v_add_f64 v[25:26], v[25:26], v[2:3]
	ds_read_b128 v[2:5], v19 offset:4096
	ds_read_b128 v[21:24], v15 offset:128
	s_waitcnt lgkmcnt(0)
	v_mul_f64 v[27:28], v[4:5], v[23:24]
	v_fma_f64 v[27:28], v[2:3], v[21:22], -v[27:28]
	v_mul_f64 v[2:3], v[2:3], v[23:24]
	v_add_f64 v[6:7], v[6:7], v[27:28]
	v_fma_f64 v[2:3], v[4:5], v[21:22], v[2:3]
	v_add_f64 v[25:26], v[25:26], v[2:3]
	ds_read_b128 v[2:5], v19 offset:4608
	ds_read_b128 v[21:24], v15 offset:144
	s_waitcnt lgkmcnt(0)
	v_mul_f64 v[27:28], v[4:5], v[23:24]
	v_fma_f64 v[27:28], v[2:3], v[21:22], -v[27:28]
	v_mul_f64 v[2:3], v[2:3], v[23:24]
	v_add_f64 v[6:7], v[6:7], v[27:28]
	v_fma_f64 v[2:3], v[4:5], v[21:22], v[2:3]
	v_add_f64 v[25:26], v[25:26], v[2:3]
	ds_read_b128 v[2:5], v19 offset:5120
	ds_read_b128 v[21:24], v15 offset:160
	s_waitcnt lgkmcnt(0)
	v_mul_f64 v[27:28], v[4:5], v[23:24]
	v_fma_f64 v[27:28], v[2:3], v[21:22], -v[27:28]
	v_mul_f64 v[2:3], v[2:3], v[23:24]
	v_add_f64 v[6:7], v[6:7], v[27:28]
	v_fma_f64 v[2:3], v[4:5], v[21:22], v[2:3]
	v_add_f64 v[25:26], v[25:26], v[2:3]
	ds_read_b128 v[2:5], v19 offset:5632
	ds_read_b128 v[21:24], v15 offset:176
	s_waitcnt lgkmcnt(0)
	v_mul_f64 v[27:28], v[4:5], v[23:24]
	v_fma_f64 v[27:28], v[2:3], v[21:22], -v[27:28]
	v_mul_f64 v[2:3], v[2:3], v[23:24]
	v_add_f64 v[6:7], v[6:7], v[27:28]
	v_fma_f64 v[2:3], v[4:5], v[21:22], v[2:3]
	v_add_f64 v[25:26], v[25:26], v[2:3]
	ds_read_b128 v[2:5], v19 offset:6144
	ds_read_b128 v[21:24], v15 offset:192
	s_waitcnt lgkmcnt(0)
	v_mul_f64 v[27:28], v[4:5], v[23:24]
	v_fma_f64 v[27:28], v[2:3], v[21:22], -v[27:28]
	v_mul_f64 v[2:3], v[2:3], v[23:24]
	v_add_f64 v[6:7], v[6:7], v[27:28]
	v_fma_f64 v[2:3], v[4:5], v[21:22], v[2:3]
	v_add_f64 v[25:26], v[25:26], v[2:3]
	ds_read_b128 v[2:5], v19 offset:6656
	ds_read_b128 v[21:24], v15 offset:208
	s_waitcnt lgkmcnt(0)
	v_mul_f64 v[27:28], v[4:5], v[23:24]
	v_fma_f64 v[27:28], v[2:3], v[21:22], -v[27:28]
	v_mul_f64 v[2:3], v[2:3], v[23:24]
	v_add_f64 v[6:7], v[6:7], v[27:28]
	v_fma_f64 v[2:3], v[4:5], v[21:22], v[2:3]
	v_add_f64 v[25:26], v[25:26], v[2:3]
	ds_read_b128 v[2:5], v19 offset:7168
	ds_read_b128 v[21:24], v15 offset:224
	s_waitcnt lgkmcnt(0)
	v_mul_f64 v[27:28], v[4:5], v[23:24]
	v_fma_f64 v[27:28], v[2:3], v[21:22], -v[27:28]
	v_mul_f64 v[2:3], v[2:3], v[23:24]
	v_add_f64 v[6:7], v[6:7], v[27:28]
	v_fma_f64 v[2:3], v[4:5], v[21:22], v[2:3]
	v_add_f64 v[25:26], v[25:26], v[2:3]
	ds_read_b128 v[2:5], v19 offset:7680
	ds_read_b128 v[21:24], v15 offset:240
	s_waitcnt lgkmcnt(0)
	v_mul_f64 v[27:28], v[4:5], v[23:24]
	v_fma_f64 v[27:28], v[2:3], v[21:22], -v[27:28]
	v_mul_f64 v[2:3], v[2:3], v[23:24]
	v_add_f64 v[6:7], v[6:7], v[27:28]
	v_fma_f64 v[2:3], v[4:5], v[21:22], v[2:3]
	v_add_f64 v[25:26], v[25:26], v[2:3]
	ds_read_b128 v[2:5], v19 offset:8192
	ds_read_b128 v[21:24], v15 offset:256
	s_waitcnt lgkmcnt(0)
	v_mul_f64 v[27:28], v[4:5], v[23:24]
	v_fma_f64 v[27:28], v[2:3], v[21:22], -v[27:28]
	v_mul_f64 v[2:3], v[2:3], v[23:24]
	v_add_f64 v[6:7], v[6:7], v[27:28]
	v_fma_f64 v[2:3], v[4:5], v[21:22], v[2:3]
	v_add_f64 v[25:26], v[25:26], v[2:3]
	ds_read_b128 v[2:5], v19 offset:8704
	ds_read_b128 v[21:24], v15 offset:272
	s_waitcnt lgkmcnt(0)
	v_mul_f64 v[27:28], v[4:5], v[23:24]
	v_fma_f64 v[27:28], v[2:3], v[21:22], -v[27:28]
	v_mul_f64 v[2:3], v[2:3], v[23:24]
	v_add_f64 v[6:7], v[6:7], v[27:28]
	v_fma_f64 v[2:3], v[4:5], v[21:22], v[2:3]
	v_add_f64 v[25:26], v[25:26], v[2:3]
	ds_read_b128 v[2:5], v19 offset:9216
	ds_read_b128 v[21:24], v15 offset:288
	s_waitcnt lgkmcnt(0)
	v_mul_f64 v[27:28], v[4:5], v[23:24]
	v_fma_f64 v[27:28], v[2:3], v[21:22], -v[27:28]
	v_mul_f64 v[2:3], v[2:3], v[23:24]
	v_add_f64 v[6:7], v[6:7], v[27:28]
	v_fma_f64 v[2:3], v[4:5], v[21:22], v[2:3]
	v_add_f64 v[25:26], v[25:26], v[2:3]
	ds_read_b128 v[2:5], v19 offset:9728
	ds_read_b128 v[21:24], v15 offset:304
	s_waitcnt lgkmcnt(0)
	v_mul_f64 v[27:28], v[4:5], v[23:24]
	v_fma_f64 v[27:28], v[2:3], v[21:22], -v[27:28]
	v_mul_f64 v[2:3], v[2:3], v[23:24]
	v_add_f64 v[6:7], v[6:7], v[27:28]
	v_fma_f64 v[2:3], v[4:5], v[21:22], v[2:3]
	v_add_f64 v[25:26], v[25:26], v[2:3]
	ds_read_b128 v[2:5], v19 offset:10240
	ds_read_b128 v[21:24], v15 offset:320
	s_waitcnt lgkmcnt(0)
	v_mul_f64 v[27:28], v[4:5], v[23:24]
	v_fma_f64 v[27:28], v[2:3], v[21:22], -v[27:28]
	v_mul_f64 v[2:3], v[2:3], v[23:24]
	v_add_f64 v[6:7], v[6:7], v[27:28]
	v_fma_f64 v[2:3], v[4:5], v[21:22], v[2:3]
	v_add_f64 v[25:26], v[25:26], v[2:3]
	ds_read_b128 v[2:5], v19 offset:10752
	ds_read_b128 v[21:24], v15 offset:336
	s_waitcnt lgkmcnt(0)
	v_mul_f64 v[27:28], v[4:5], v[23:24]
	v_fma_f64 v[27:28], v[2:3], v[21:22], -v[27:28]
	v_mul_f64 v[2:3], v[2:3], v[23:24]
	v_add_f64 v[6:7], v[6:7], v[27:28]
	v_fma_f64 v[2:3], v[4:5], v[21:22], v[2:3]
	v_add_f64 v[25:26], v[25:26], v[2:3]
	ds_read_b128 v[2:5], v19 offset:11264
	ds_read_b128 v[21:24], v15 offset:352
	s_waitcnt lgkmcnt(0)
	v_mul_f64 v[27:28], v[4:5], v[23:24]
	v_fma_f64 v[27:28], v[2:3], v[21:22], -v[27:28]
	v_mul_f64 v[2:3], v[2:3], v[23:24]
	v_add_f64 v[6:7], v[6:7], v[27:28]
	v_fma_f64 v[2:3], v[4:5], v[21:22], v[2:3]
	v_add_f64 v[25:26], v[25:26], v[2:3]
	ds_read_b128 v[2:5], v19 offset:11776
	ds_read_b128 v[21:24], v15 offset:368
	s_waitcnt lgkmcnt(0)
	v_mul_f64 v[27:28], v[4:5], v[23:24]
	v_fma_f64 v[27:28], v[2:3], v[21:22], -v[27:28]
	v_mul_f64 v[2:3], v[2:3], v[23:24]
	v_add_f64 v[6:7], v[6:7], v[27:28]
	v_fma_f64 v[2:3], v[4:5], v[21:22], v[2:3]
	v_add_f64 v[25:26], v[25:26], v[2:3]
	ds_read_b128 v[2:5], v19 offset:12288
	ds_read_b128 v[21:24], v15 offset:384
	s_waitcnt lgkmcnt(0)
	v_mul_f64 v[27:28], v[4:5], v[23:24]
	v_fma_f64 v[27:28], v[2:3], v[21:22], -v[27:28]
	v_mul_f64 v[2:3], v[2:3], v[23:24]
	v_add_f64 v[6:7], v[6:7], v[27:28]
	v_fma_f64 v[2:3], v[4:5], v[21:22], v[2:3]
	v_add_f64 v[25:26], v[25:26], v[2:3]
	ds_read_b128 v[2:5], v19 offset:12800
	ds_read_b128 v[21:24], v15 offset:400
	s_waitcnt lgkmcnt(0)
	v_mul_f64 v[27:28], v[4:5], v[23:24]
	v_fma_f64 v[27:28], v[2:3], v[21:22], -v[27:28]
	v_mul_f64 v[2:3], v[2:3], v[23:24]
	v_add_f64 v[6:7], v[6:7], v[27:28]
	v_fma_f64 v[2:3], v[4:5], v[21:22], v[2:3]
	v_add_f64 v[25:26], v[25:26], v[2:3]
	ds_read_b128 v[2:5], v19 offset:13312
	ds_read_b128 v[21:24], v15 offset:416
	s_waitcnt lgkmcnt(0)
	v_mul_f64 v[27:28], v[4:5], v[23:24]
	v_fma_f64 v[27:28], v[2:3], v[21:22], -v[27:28]
	v_mul_f64 v[2:3], v[2:3], v[23:24]
	v_add_f64 v[6:7], v[6:7], v[27:28]
	v_fma_f64 v[2:3], v[4:5], v[21:22], v[2:3]
	v_add_f64 v[25:26], v[25:26], v[2:3]
	ds_read_b128 v[2:5], v19 offset:13824
	ds_read_b128 v[21:24], v15 offset:432
	s_waitcnt lgkmcnt(0)
	v_mul_f64 v[27:28], v[4:5], v[23:24]
	v_fma_f64 v[27:28], v[2:3], v[21:22], -v[27:28]
	v_mul_f64 v[2:3], v[2:3], v[23:24]
	v_add_f64 v[6:7], v[6:7], v[27:28]
	v_fma_f64 v[2:3], v[4:5], v[21:22], v[2:3]
	v_add_f64 v[25:26], v[25:26], v[2:3]
	ds_read_b128 v[2:5], v19 offset:14336
	ds_read_b128 v[21:24], v15 offset:448
	s_waitcnt lgkmcnt(0)
	v_mul_f64 v[27:28], v[4:5], v[23:24]
	v_fma_f64 v[27:28], v[2:3], v[21:22], -v[27:28]
	v_mul_f64 v[2:3], v[2:3], v[23:24]
	v_add_f64 v[6:7], v[6:7], v[27:28]
	v_fma_f64 v[2:3], v[4:5], v[21:22], v[2:3]
	v_add_f64 v[25:26], v[25:26], v[2:3]
	ds_read_b128 v[2:5], v19 offset:14848
	ds_read_b128 v[21:24], v15 offset:464
	s_waitcnt lgkmcnt(0)
	v_mul_f64 v[27:28], v[4:5], v[23:24]
	v_fma_f64 v[27:28], v[2:3], v[21:22], -v[27:28]
	v_mul_f64 v[2:3], v[2:3], v[23:24]
	v_add_f64 v[6:7], v[6:7], v[27:28]
	v_fma_f64 v[2:3], v[4:5], v[21:22], v[2:3]
	v_add_f64 v[25:26], v[25:26], v[2:3]
	ds_read_b128 v[2:5], v19 offset:15360
	ds_read_b128 v[21:24], v15 offset:480
	s_waitcnt lgkmcnt(0)
	v_mul_f64 v[27:28], v[4:5], v[23:24]
	v_fma_f64 v[27:28], v[2:3], v[21:22], -v[27:28]
	v_mul_f64 v[2:3], v[2:3], v[23:24]
	v_add_f64 v[6:7], v[6:7], v[27:28]
	v_fma_f64 v[2:3], v[4:5], v[21:22], v[2:3]
	v_add_f64 v[25:26], v[25:26], v[2:3]
	ds_read_b128 v[2:5], v19 offset:15872
	ds_read_b128 v[21:24], v15 offset:496
	s_waitcnt lgkmcnt(0)
	v_mul_f64 v[27:28], v[4:5], v[23:24]
	v_fma_f64 v[27:28], v[2:3], v[21:22], -v[27:28]
	v_mul_f64 v[2:3], v[2:3], v[23:24]
	v_fma_f64 v[2:3], v[4:5], v[21:22], v[2:3]
	flat_load_dwordx4 v[21:24], v[11:12]
	v_add_f64 v[4:5], v[6:7], v[27:28]
	v_add_f64 v[6:7], v[25:26], v[2:3]
	v_mul_f64 v[2:3], s[14:15], v[6:7]
	v_mul_f64 v[6:7], s[12:13], v[6:7]
	v_fma_f64 v[2:3], s[12:13], v[4:5], -v[2:3]
	v_fma_f64 v[4:5], s[14:15], v[4:5], v[6:7]
	s_waitcnt vmcnt(0) lgkmcnt(0)
	v_add_f64 v[2:3], v[21:22], v[2:3]
	v_add_f64 v[4:5], v[23:24], v[4:5]
	flat_store_dwordx4 v[11:12], v[2:5]
	s_branch .LBB847_4
.LBB847_11:
	v_cmp_eq_u32_e32 vcc, v8, v10
	v_cmp_gt_i32_e64 s[0:1], s17, v8
	s_and_b64 s[0:1], vcc, s[0:1]
	s_and_saveexec_b64 s[2:3], s[0:1]
	s_cbranch_execz .LBB847_13
; %bb.12:
	v_mad_i64_i32 v[0:1], s[0:1], s10, v8, 0
	v_mov_b32_e32 v2, s11
	v_lshlrev_b64 v[0:1], 4, v[0:1]
	v_add_co_u32_e32 v3, vcc, s8, v0
	v_addc_co_u32_e32 v2, vcc, v2, v1, vcc
	v_lshlrev_b64 v[0:1], 4, v[8:9]
	v_add_co_u32_e32 v0, vcc, v3, v0
	v_addc_co_u32_e32 v1, vcc, v2, v1, vcc
	v_mov_b32_e32 v2, 0
	v_mov_b32_e32 v3, v2
	flat_store_dwordx2 v[0:1], v[2:3] offset:8
.LBB847_13:
	s_endpgm
	.section	.rodata,"a",@progbits
	.p2align	6, 0x0
	.amdhsa_kernel _ZL26rocblas_syr2k_her2k_kernelIiLb0ELb1ELb0ELi32E19rocblas_complex_numIdEPKPKS1_PKPS1_EvbiT_T4_T5_S9_lSB_S9_lT6_S9_li
		.amdhsa_group_segment_fixed_size 32768
		.amdhsa_private_segment_fixed_size 0
		.amdhsa_kernarg_size 108
		.amdhsa_user_sgpr_count 6
		.amdhsa_user_sgpr_private_segment_buffer 1
		.amdhsa_user_sgpr_dispatch_ptr 0
		.amdhsa_user_sgpr_queue_ptr 0
		.amdhsa_user_sgpr_kernarg_segment_ptr 1
		.amdhsa_user_sgpr_dispatch_id 0
		.amdhsa_user_sgpr_flat_scratch_init 0
		.amdhsa_user_sgpr_private_segment_size 0
		.amdhsa_uses_dynamic_stack 0
		.amdhsa_system_sgpr_private_segment_wavefront_offset 0
		.amdhsa_system_sgpr_workgroup_id_x 1
		.amdhsa_system_sgpr_workgroup_id_y 1
		.amdhsa_system_sgpr_workgroup_id_z 1
		.amdhsa_system_sgpr_workgroup_info 0
		.amdhsa_system_vgpr_workitem_id 1
		.amdhsa_next_free_vgpr 37
		.amdhsa_next_free_sgpr 61
		.amdhsa_reserve_vcc 1
		.amdhsa_reserve_flat_scratch 0
		.amdhsa_float_round_mode_32 0
		.amdhsa_float_round_mode_16_64 0
		.amdhsa_float_denorm_mode_32 3
		.amdhsa_float_denorm_mode_16_64 3
		.amdhsa_dx10_clamp 1
		.amdhsa_ieee_mode 1
		.amdhsa_fp16_overflow 0
		.amdhsa_exception_fp_ieee_invalid_op 0
		.amdhsa_exception_fp_denorm_src 0
		.amdhsa_exception_fp_ieee_div_zero 0
		.amdhsa_exception_fp_ieee_overflow 0
		.amdhsa_exception_fp_ieee_underflow 0
		.amdhsa_exception_fp_ieee_inexact 0
		.amdhsa_exception_int_div_zero 0
	.end_amdhsa_kernel
	.section	.text._ZL26rocblas_syr2k_her2k_kernelIiLb0ELb1ELb0ELi32E19rocblas_complex_numIdEPKPKS1_PKPS1_EvbiT_T4_T5_S9_lSB_S9_lT6_S9_li,"axG",@progbits,_ZL26rocblas_syr2k_her2k_kernelIiLb0ELb1ELb0ELi32E19rocblas_complex_numIdEPKPKS1_PKPS1_EvbiT_T4_T5_S9_lSB_S9_lT6_S9_li,comdat
.Lfunc_end847:
	.size	_ZL26rocblas_syr2k_her2k_kernelIiLb0ELb1ELb0ELi32E19rocblas_complex_numIdEPKPKS1_PKPS1_EvbiT_T4_T5_S9_lSB_S9_lT6_S9_li, .Lfunc_end847-_ZL26rocblas_syr2k_her2k_kernelIiLb0ELb1ELb0ELi32E19rocblas_complex_numIdEPKPKS1_PKPS1_EvbiT_T4_T5_S9_lSB_S9_lT6_S9_li
                                        ; -- End function
	.set _ZL26rocblas_syr2k_her2k_kernelIiLb0ELb1ELb0ELi32E19rocblas_complex_numIdEPKPKS1_PKPS1_EvbiT_T4_T5_S9_lSB_S9_lT6_S9_li.num_vgpr, 37
	.set _ZL26rocblas_syr2k_her2k_kernelIiLb0ELb1ELb0ELi32E19rocblas_complex_numIdEPKPKS1_PKPS1_EvbiT_T4_T5_S9_lSB_S9_lT6_S9_li.num_agpr, 0
	.set _ZL26rocblas_syr2k_her2k_kernelIiLb0ELb1ELb0ELi32E19rocblas_complex_numIdEPKPKS1_PKPS1_EvbiT_T4_T5_S9_lSB_S9_lT6_S9_li.numbered_sgpr, 28
	.set _ZL26rocblas_syr2k_her2k_kernelIiLb0ELb1ELb0ELi32E19rocblas_complex_numIdEPKPKS1_PKPS1_EvbiT_T4_T5_S9_lSB_S9_lT6_S9_li.num_named_barrier, 0
	.set _ZL26rocblas_syr2k_her2k_kernelIiLb0ELb1ELb0ELi32E19rocblas_complex_numIdEPKPKS1_PKPS1_EvbiT_T4_T5_S9_lSB_S9_lT6_S9_li.private_seg_size, 0
	.set _ZL26rocblas_syr2k_her2k_kernelIiLb0ELb1ELb0ELi32E19rocblas_complex_numIdEPKPKS1_PKPS1_EvbiT_T4_T5_S9_lSB_S9_lT6_S9_li.uses_vcc, 1
	.set _ZL26rocblas_syr2k_her2k_kernelIiLb0ELb1ELb0ELi32E19rocblas_complex_numIdEPKPKS1_PKPS1_EvbiT_T4_T5_S9_lSB_S9_lT6_S9_li.uses_flat_scratch, 0
	.set _ZL26rocblas_syr2k_her2k_kernelIiLb0ELb1ELb0ELi32E19rocblas_complex_numIdEPKPKS1_PKPS1_EvbiT_T4_T5_S9_lSB_S9_lT6_S9_li.has_dyn_sized_stack, 0
	.set _ZL26rocblas_syr2k_her2k_kernelIiLb0ELb1ELb0ELi32E19rocblas_complex_numIdEPKPKS1_PKPS1_EvbiT_T4_T5_S9_lSB_S9_lT6_S9_li.has_recursion, 0
	.set _ZL26rocblas_syr2k_her2k_kernelIiLb0ELb1ELb0ELi32E19rocblas_complex_numIdEPKPKS1_PKPS1_EvbiT_T4_T5_S9_lSB_S9_lT6_S9_li.has_indirect_call, 0
	.section	.AMDGPU.csdata,"",@progbits
; Kernel info:
; codeLenInByte = 3036
; TotalNumSgprs: 32
; NumVgprs: 37
; ScratchSize: 0
; MemoryBound: 1
; FloatMode: 240
; IeeeMode: 1
; LDSByteSize: 32768 bytes/workgroup (compile time only)
; SGPRBlocks: 8
; VGPRBlocks: 9
; NumSGPRsForWavesPerEU: 65
; NumVGPRsForWavesPerEU: 37
; Occupancy: 6
; WaveLimiterHint : 1
; COMPUTE_PGM_RSRC2:SCRATCH_EN: 0
; COMPUTE_PGM_RSRC2:USER_SGPR: 6
; COMPUTE_PGM_RSRC2:TRAP_HANDLER: 0
; COMPUTE_PGM_RSRC2:TGID_X_EN: 1
; COMPUTE_PGM_RSRC2:TGID_Y_EN: 1
; COMPUTE_PGM_RSRC2:TGID_Z_EN: 1
; COMPUTE_PGM_RSRC2:TIDIG_COMP_CNT: 1
	.section	.text._ZL26rocblas_syr2k_her2k_kernelIiLb0ELb1ELb1ELi32E19rocblas_complex_numIdEPKPKS1_PKPS1_EvbiT_T4_T5_S9_lSB_S9_lT6_S9_li,"axG",@progbits,_ZL26rocblas_syr2k_her2k_kernelIiLb0ELb1ELb1ELi32E19rocblas_complex_numIdEPKPKS1_PKPS1_EvbiT_T4_T5_S9_lSB_S9_lT6_S9_li,comdat
	.globl	_ZL26rocblas_syr2k_her2k_kernelIiLb0ELb1ELb1ELi32E19rocblas_complex_numIdEPKPKS1_PKPS1_EvbiT_T4_T5_S9_lSB_S9_lT6_S9_li ; -- Begin function _ZL26rocblas_syr2k_her2k_kernelIiLb0ELb1ELb1ELi32E19rocblas_complex_numIdEPKPKS1_PKPS1_EvbiT_T4_T5_S9_lSB_S9_lT6_S9_li
	.p2align	8
	.type	_ZL26rocblas_syr2k_her2k_kernelIiLb0ELb1ELb1ELi32E19rocblas_complex_numIdEPKPKS1_PKPS1_EvbiT_T4_T5_S9_lSB_S9_lT6_S9_li,@function
_ZL26rocblas_syr2k_her2k_kernelIiLb0ELb1ELb1ELi32E19rocblas_complex_numIdEPKPKS1_PKPS1_EvbiT_T4_T5_S9_lSB_S9_lT6_S9_li: ; @_ZL26rocblas_syr2k_her2k_kernelIiLb0ELb1ELb1ELi32E19rocblas_complex_numIdEPKPKS1_PKPS1_EvbiT_T4_T5_S9_lSB_S9_lT6_S9_li
; %bb.0:
	s_load_dwordx4 s[12:15], s[4:5], 0x10
	s_waitcnt lgkmcnt(0)
	v_cmp_eq_f64_e64 s[0:1], s[12:13], 0
	v_cmp_eq_f64_e64 s[2:3], s[14:15], 0
	s_and_b64 s[0:1], s[0:1], s[2:3]
	s_and_b64 vcc, exec, s[0:1]
	s_cbranch_vccnz .LBB848_13
; %bb.1:
	s_load_dwordx4 s[16:19], s[4:5], 0x0
	s_lshl_b32 s7, s7, 5
	s_lshl_b32 s6, s6, 5
	s_waitcnt lgkmcnt(0)
	s_and_b32 s0, 1, s16
	s_cmp_eq_u32 s0, 1
	s_cselect_b64 s[0:1], -1, 0
	s_and_b64 s[2:3], s[0:1], exec
	s_cselect_b32 s2, s6, s7
	s_cselect_b32 s3, s7, s6
	s_cmp_gt_i32 s2, s3
	s_cbranch_scc1 .LBB848_13
; %bb.2:
	s_load_dwordx4 s[20:23], s[4:5], 0x48
	s_load_dword s10, s[4:5], 0x58
	s_load_dwordx2 s[24:25], s[4:5], 0x60
	s_mov_b32 s9, 0
	s_lshl_b64 s[2:3], s[8:9], 3
	s_waitcnt lgkmcnt(0)
	s_add_u32 s22, s22, s2
	s_addc_u32 s23, s23, s3
	s_load_dwordx2 s[22:23], s[22:23], 0x0
	v_add_u32_e32 v8, s6, v0
	v_add_u32_e32 v14, s7, v1
	s_lshl_b64 s[6:7], s[24:25], 4
	v_cmp_gt_i32_e32 vcc, s17, v8
	s_waitcnt lgkmcnt(0)
	s_add_u32 s8, s22, s6
	s_addc_u32 s11, s23, s7
	s_cmp_lt_i32 s18, 1
	v_ashrrev_i32_e32 v9, 31, v8
	s_cbranch_scc1 .LBB848_11
; %bb.3:
	s_load_dwordx2 s[6:7], s[4:5], 0x20
	s_load_dword s16, s[4:5], 0x28
	s_load_dwordx4 s[24:27], s[4:5], 0x30
	s_load_dword s19, s[4:5], 0x40
	v_cndmask_b32_e64 v4, v8, v14, s[0:1]
	s_waitcnt lgkmcnt(0)
	s_add_u32 s4, s6, s2
	s_addc_u32 s5, s7, s3
	s_load_dwordx2 s[4:5], s[4:5], 0x0
	s_add_u32 s2, s26, s2
	s_addc_u32 s3, s27, s3
	s_lshl_b64 s[6:7], s[24:25], 4
	s_load_dwordx2 s[2:3], s[2:3], 0x0
	s_waitcnt lgkmcnt(0)
	s_add_u32 s22, s4, s6
	s_addc_u32 s23, s5, s7
	v_mad_i64_i32 v[2:3], s[6:7], s16, v8, 0
	v_cndmask_b32_e64 v5, v14, v8, s[0:1]
	v_mov_b32_e32 v6, s23
	v_lshlrev_b64 v[2:3], 4, v[2:3]
	s_lshl_b64 s[4:5], s[20:21], 4
	v_add_co_u32_e64 v15, s[0:1], s22, v2
	v_addc_co_u32_e64 v16, s[0:1], v6, v3, s[0:1]
	v_mad_i64_i32 v[2:3], s[0:1], s19, v14, 0
	s_add_u32 s2, s2, s4
	s_addc_u32 s3, s3, s5
	v_lshlrev_b64 v[2:3], 4, v[2:3]
	v_mov_b32_e32 v7, s3
	v_add_co_u32_e64 v19, s[2:3], s2, v2
	v_addc_co_u32_e64 v20, s[2:3], v7, v3, s[2:3]
	v_mad_i64_i32 v[2:3], s[2:3], s10, v14, 0
	v_cmp_gt_i32_e64 s[0:1], s17, v14
	v_cmp_le_i32_e64 s[2:3], v5, v4
	v_lshlrev_b64 v[2:3], 4, v[2:3]
	s_and_b64 s[4:5], s[0:1], vcc
	s_and_b64 s[4:5], s[4:5], s[2:3]
	v_mov_b32_e32 v4, s11
	v_add_co_u32_e64 v5, s[2:3], s8, v2
	v_addc_co_u32_e64 v4, s[2:3], v4, v3, s[2:3]
	v_lshlrev_b64 v[2:3], 4, v[8:9]
	v_lshlrev_b32_e32 v6, 4, v1
	v_lshlrev_b32_e32 v17, 9, v0
	v_or_b32_e32 v21, 0x4000, v6
	v_add_co_u32_e64 v10, s[2:3], v5, v2
	v_add_u32_e32 v18, v17, v6
	v_add_u32_e32 v22, v21, v17
	v_addc_co_u32_e64 v11, s[2:3], v4, v3, s[2:3]
	s_branch .LBB848_5
.LBB848_4:                              ;   in Loop: Header=BB848_5 Depth=1
	s_or_b64 exec, exec, s[2:3]
	s_add_i32 s9, s9, 32
	s_cmp_ge_i32 s9, s18
	s_waitcnt vmcnt(0) lgkmcnt(0)
	s_barrier
	s_cbranch_scc1 .LBB848_11
.LBB848_5:                              ; =>This Inner Loop Header: Depth=1
	v_add_u32_e32 v12, s9, v1
	v_cmp_gt_i32_e64 s[2:3], s18, v12
	v_mov_b32_e32 v2, 0
	v_mov_b32_e32 v4, 0
	v_mov_b32_e32 v6, 0
	v_mov_b32_e32 v3, 0
	v_mov_b32_e32 v5, 0
	v_mov_b32_e32 v7, 0
	s_and_b64 s[2:3], vcc, s[2:3]
	s_and_saveexec_b64 s[6:7], s[2:3]
	s_cbranch_execz .LBB848_7
; %bb.6:                                ;   in Loop: Header=BB848_5 Depth=1
	v_ashrrev_i32_e32 v13, 31, v12
	v_lshlrev_b64 v[4:5], 4, v[12:13]
	v_add_co_u32_e64 v4, s[2:3], v15, v4
	v_addc_co_u32_e64 v5, s[2:3], v16, v5, s[2:3]
	flat_load_dwordx4 v[4:7], v[4:5]
	s_waitcnt vmcnt(0) lgkmcnt(0)
	v_xor_b32_e32 v7, 0x80000000, v7
.LBB848_7:                              ;   in Loop: Header=BB848_5 Depth=1
	s_or_b64 exec, exec, s[6:7]
	ds_write_b128 v18, v[4:7]
	v_add_u32_e32 v6, s9, v0
	v_cmp_gt_i32_e64 s[2:3], s18, v6
	v_mov_b32_e32 v4, 0
	v_mov_b32_e32 v5, 0
	s_and_b64 s[2:3], s[0:1], s[2:3]
	s_and_saveexec_b64 s[6:7], s[2:3]
	s_cbranch_execz .LBB848_9
; %bb.8:                                ;   in Loop: Header=BB848_5 Depth=1
	v_ashrrev_i32_e32 v7, 31, v6
	v_lshlrev_b64 v[2:3], 4, v[6:7]
	v_add_co_u32_e64 v2, s[2:3], v19, v2
	v_addc_co_u32_e64 v3, s[2:3], v20, v3, s[2:3]
	flat_load_dwordx4 v[2:5], v[2:3]
.LBB848_9:                              ;   in Loop: Header=BB848_5 Depth=1
	s_or_b64 exec, exec, s[6:7]
	s_waitcnt vmcnt(0) lgkmcnt(0)
	ds_write_b128 v22, v[2:5]
	s_waitcnt lgkmcnt(0)
	s_barrier
	s_and_saveexec_b64 s[2:3], s[4:5]
	s_cbranch_execz .LBB848_4
; %bb.10:                               ;   in Loop: Header=BB848_5 Depth=1
	ds_read_b128 v[23:26], v21
	ds_read_b128 v[27:30], v17
	ds_read_b128 v[31:34], v17 offset:16
	ds_read_b128 v[35:38], v17 offset:32
	;; [unrolled: 1-line block ×3, first 2 shown]
	s_waitcnt lgkmcnt(3)
	v_mul_f64 v[6:7], v[25:26], v[29:30]
	v_mul_f64 v[12:13], v[23:24], v[29:30]
	v_fma_f64 v[6:7], v[23:24], v[27:28], -v[6:7]
	v_fma_f64 v[12:13], v[25:26], v[27:28], v[12:13]
	ds_read_b128 v[23:26], v21 offset:512
	s_waitcnt lgkmcnt(0)
	v_mul_f64 v[27:28], v[25:26], v[33:34]
	v_add_f64 v[6:7], v[6:7], 0
	v_add_f64 v[12:13], v[12:13], 0
	v_fma_f64 v[27:28], v[23:24], v[31:32], -v[27:28]
	v_mul_f64 v[23:24], v[23:24], v[33:34]
	v_add_f64 v[6:7], v[6:7], v[27:28]
	v_fma_f64 v[23:24], v[25:26], v[31:32], v[23:24]
	v_add_f64 v[12:13], v[12:13], v[23:24]
	ds_read_b128 v[23:26], v21 offset:1024
	s_waitcnt lgkmcnt(0)
	v_mul_f64 v[27:28], v[25:26], v[37:38]
	v_fma_f64 v[27:28], v[23:24], v[35:36], -v[27:28]
	v_mul_f64 v[23:24], v[23:24], v[37:38]
	v_add_f64 v[6:7], v[6:7], v[27:28]
	v_fma_f64 v[23:24], v[25:26], v[35:36], v[23:24]
	v_add_f64 v[12:13], v[12:13], v[23:24]
	ds_read_b128 v[23:26], v21 offset:1536
	s_waitcnt lgkmcnt(0)
	v_mul_f64 v[27:28], v[25:26], v[4:5]
	v_mul_f64 v[4:5], v[23:24], v[4:5]
	v_fma_f64 v[27:28], v[23:24], v[2:3], -v[27:28]
	v_fma_f64 v[2:3], v[25:26], v[2:3], v[4:5]
	v_add_f64 v[6:7], v[6:7], v[27:28]
	v_add_f64 v[12:13], v[12:13], v[2:3]
	ds_read_b128 v[2:5], v21 offset:2048
	ds_read_b128 v[23:26], v17 offset:64
	s_waitcnt lgkmcnt(0)
	v_mul_f64 v[27:28], v[4:5], v[25:26]
	v_fma_f64 v[27:28], v[2:3], v[23:24], -v[27:28]
	v_mul_f64 v[2:3], v[2:3], v[25:26]
	v_add_f64 v[6:7], v[6:7], v[27:28]
	v_fma_f64 v[2:3], v[4:5], v[23:24], v[2:3]
	v_add_f64 v[12:13], v[12:13], v[2:3]
	ds_read_b128 v[2:5], v21 offset:2560
	ds_read_b128 v[23:26], v17 offset:80
	s_waitcnt lgkmcnt(0)
	v_mul_f64 v[27:28], v[4:5], v[25:26]
	v_fma_f64 v[27:28], v[2:3], v[23:24], -v[27:28]
	v_mul_f64 v[2:3], v[2:3], v[25:26]
	v_add_f64 v[6:7], v[6:7], v[27:28]
	v_fma_f64 v[2:3], v[4:5], v[23:24], v[2:3]
	;; [unrolled: 9-line block ×27, first 2 shown]
	v_add_f64 v[12:13], v[12:13], v[2:3]
	ds_read_b128 v[2:5], v21 offset:15872
	ds_read_b128 v[23:26], v17 offset:496
	s_waitcnt lgkmcnt(0)
	v_mul_f64 v[27:28], v[4:5], v[25:26]
	v_fma_f64 v[27:28], v[2:3], v[23:24], -v[27:28]
	v_mul_f64 v[2:3], v[2:3], v[25:26]
	v_fma_f64 v[2:3], v[4:5], v[23:24], v[2:3]
	flat_load_dwordx4 v[23:26], v[10:11]
	v_add_f64 v[4:5], v[6:7], v[27:28]
	v_add_f64 v[6:7], v[12:13], v[2:3]
	v_mul_f64 v[2:3], s[14:15], v[6:7]
	v_mul_f64 v[6:7], s[12:13], v[6:7]
	v_fma_f64 v[2:3], s[12:13], v[4:5], -v[2:3]
	v_fma_f64 v[4:5], s[14:15], v[4:5], v[6:7]
	s_waitcnt vmcnt(0) lgkmcnt(0)
	v_add_f64 v[2:3], v[23:24], v[2:3]
	v_add_f64 v[4:5], v[25:26], v[4:5]
	flat_store_dwordx4 v[10:11], v[2:5]
	s_branch .LBB848_4
.LBB848_11:
	v_cmp_eq_u32_e32 vcc, v8, v14
	v_cmp_gt_i32_e64 s[0:1], s17, v8
	s_and_b64 s[0:1], vcc, s[0:1]
	s_and_saveexec_b64 s[2:3], s[0:1]
	s_cbranch_execz .LBB848_13
; %bb.12:
	v_mad_i64_i32 v[0:1], s[0:1], s10, v8, 0
	v_mov_b32_e32 v2, s11
	v_lshlrev_b64 v[0:1], 4, v[0:1]
	v_add_co_u32_e32 v3, vcc, s8, v0
	v_addc_co_u32_e32 v2, vcc, v2, v1, vcc
	v_lshlrev_b64 v[0:1], 4, v[8:9]
	v_add_co_u32_e32 v0, vcc, v3, v0
	v_addc_co_u32_e32 v1, vcc, v2, v1, vcc
	v_mov_b32_e32 v2, 0
	v_mov_b32_e32 v3, v2
	flat_store_dwordx2 v[0:1], v[2:3] offset:8
.LBB848_13:
	s_endpgm
	.section	.rodata,"a",@progbits
	.p2align	6, 0x0
	.amdhsa_kernel _ZL26rocblas_syr2k_her2k_kernelIiLb0ELb1ELb1ELi32E19rocblas_complex_numIdEPKPKS1_PKPS1_EvbiT_T4_T5_S9_lSB_S9_lT6_S9_li
		.amdhsa_group_segment_fixed_size 32768
		.amdhsa_private_segment_fixed_size 0
		.amdhsa_kernarg_size 108
		.amdhsa_user_sgpr_count 6
		.amdhsa_user_sgpr_private_segment_buffer 1
		.amdhsa_user_sgpr_dispatch_ptr 0
		.amdhsa_user_sgpr_queue_ptr 0
		.amdhsa_user_sgpr_kernarg_segment_ptr 1
		.amdhsa_user_sgpr_dispatch_id 0
		.amdhsa_user_sgpr_flat_scratch_init 0
		.amdhsa_user_sgpr_private_segment_size 0
		.amdhsa_uses_dynamic_stack 0
		.amdhsa_system_sgpr_private_segment_wavefront_offset 0
		.amdhsa_system_sgpr_workgroup_id_x 1
		.amdhsa_system_sgpr_workgroup_id_y 1
		.amdhsa_system_sgpr_workgroup_id_z 1
		.amdhsa_system_sgpr_workgroup_info 0
		.amdhsa_system_vgpr_workitem_id 1
		.amdhsa_next_free_vgpr 39
		.amdhsa_next_free_sgpr 61
		.amdhsa_reserve_vcc 1
		.amdhsa_reserve_flat_scratch 0
		.amdhsa_float_round_mode_32 0
		.amdhsa_float_round_mode_16_64 0
		.amdhsa_float_denorm_mode_32 3
		.amdhsa_float_denorm_mode_16_64 3
		.amdhsa_dx10_clamp 1
		.amdhsa_ieee_mode 1
		.amdhsa_fp16_overflow 0
		.amdhsa_exception_fp_ieee_invalid_op 0
		.amdhsa_exception_fp_denorm_src 0
		.amdhsa_exception_fp_ieee_div_zero 0
		.amdhsa_exception_fp_ieee_overflow 0
		.amdhsa_exception_fp_ieee_underflow 0
		.amdhsa_exception_fp_ieee_inexact 0
		.amdhsa_exception_int_div_zero 0
	.end_amdhsa_kernel
	.section	.text._ZL26rocblas_syr2k_her2k_kernelIiLb0ELb1ELb1ELi32E19rocblas_complex_numIdEPKPKS1_PKPS1_EvbiT_T4_T5_S9_lSB_S9_lT6_S9_li,"axG",@progbits,_ZL26rocblas_syr2k_her2k_kernelIiLb0ELb1ELb1ELi32E19rocblas_complex_numIdEPKPKS1_PKPS1_EvbiT_T4_T5_S9_lSB_S9_lT6_S9_li,comdat
.Lfunc_end848:
	.size	_ZL26rocblas_syr2k_her2k_kernelIiLb0ELb1ELb1ELi32E19rocblas_complex_numIdEPKPKS1_PKPS1_EvbiT_T4_T5_S9_lSB_S9_lT6_S9_li, .Lfunc_end848-_ZL26rocblas_syr2k_her2k_kernelIiLb0ELb1ELb1ELi32E19rocblas_complex_numIdEPKPKS1_PKPS1_EvbiT_T4_T5_S9_lSB_S9_lT6_S9_li
                                        ; -- End function
	.set _ZL26rocblas_syr2k_her2k_kernelIiLb0ELb1ELb1ELi32E19rocblas_complex_numIdEPKPKS1_PKPS1_EvbiT_T4_T5_S9_lSB_S9_lT6_S9_li.num_vgpr, 39
	.set _ZL26rocblas_syr2k_her2k_kernelIiLb0ELb1ELb1ELi32E19rocblas_complex_numIdEPKPKS1_PKPS1_EvbiT_T4_T5_S9_lSB_S9_lT6_S9_li.num_agpr, 0
	.set _ZL26rocblas_syr2k_her2k_kernelIiLb0ELb1ELb1ELi32E19rocblas_complex_numIdEPKPKS1_PKPS1_EvbiT_T4_T5_S9_lSB_S9_lT6_S9_li.numbered_sgpr, 28
	.set _ZL26rocblas_syr2k_her2k_kernelIiLb0ELb1ELb1ELi32E19rocblas_complex_numIdEPKPKS1_PKPS1_EvbiT_T4_T5_S9_lSB_S9_lT6_S9_li.num_named_barrier, 0
	.set _ZL26rocblas_syr2k_her2k_kernelIiLb0ELb1ELb1ELi32E19rocblas_complex_numIdEPKPKS1_PKPS1_EvbiT_T4_T5_S9_lSB_S9_lT6_S9_li.private_seg_size, 0
	.set _ZL26rocblas_syr2k_her2k_kernelIiLb0ELb1ELb1ELi32E19rocblas_complex_numIdEPKPKS1_PKPS1_EvbiT_T4_T5_S9_lSB_S9_lT6_S9_li.uses_vcc, 1
	.set _ZL26rocblas_syr2k_her2k_kernelIiLb0ELb1ELb1ELi32E19rocblas_complex_numIdEPKPKS1_PKPS1_EvbiT_T4_T5_S9_lSB_S9_lT6_S9_li.uses_flat_scratch, 0
	.set _ZL26rocblas_syr2k_her2k_kernelIiLb0ELb1ELb1ELi32E19rocblas_complex_numIdEPKPKS1_PKPS1_EvbiT_T4_T5_S9_lSB_S9_lT6_S9_li.has_dyn_sized_stack, 0
	.set _ZL26rocblas_syr2k_her2k_kernelIiLb0ELb1ELb1ELi32E19rocblas_complex_numIdEPKPKS1_PKPS1_EvbiT_T4_T5_S9_lSB_S9_lT6_S9_li.has_recursion, 0
	.set _ZL26rocblas_syr2k_her2k_kernelIiLb0ELb1ELb1ELi32E19rocblas_complex_numIdEPKPKS1_PKPS1_EvbiT_T4_T5_S9_lSB_S9_lT6_S9_li.has_indirect_call, 0
	.section	.AMDGPU.csdata,"",@progbits
; Kernel info:
; codeLenInByte = 3048
; TotalNumSgprs: 32
; NumVgprs: 39
; ScratchSize: 0
; MemoryBound: 1
; FloatMode: 240
; IeeeMode: 1
; LDSByteSize: 32768 bytes/workgroup (compile time only)
; SGPRBlocks: 8
; VGPRBlocks: 9
; NumSGPRsForWavesPerEU: 65
; NumVGPRsForWavesPerEU: 39
; Occupancy: 6
; WaveLimiterHint : 1
; COMPUTE_PGM_RSRC2:SCRATCH_EN: 0
; COMPUTE_PGM_RSRC2:USER_SGPR: 6
; COMPUTE_PGM_RSRC2:TRAP_HANDLER: 0
; COMPUTE_PGM_RSRC2:TGID_X_EN: 1
; COMPUTE_PGM_RSRC2:TGID_Y_EN: 1
; COMPUTE_PGM_RSRC2:TGID_Z_EN: 1
; COMPUTE_PGM_RSRC2:TIDIG_COMP_CNT: 1
	.section	.text._ZL37rocblas_syrkx_herkx_restricted_kernelIi19rocblas_complex_numIdELi16ELi32ELi8ELi1ELi1ELb1ELc84ELc76EKPKS1_KPS1_EviT_PT9_S7_lS9_S7_lPT10_S7_li,"axG",@progbits,_ZL37rocblas_syrkx_herkx_restricted_kernelIi19rocblas_complex_numIdELi16ELi32ELi8ELi1ELi1ELb1ELc84ELc76EKPKS1_KPS1_EviT_PT9_S7_lS9_S7_lPT10_S7_li,comdat
	.globl	_ZL37rocblas_syrkx_herkx_restricted_kernelIi19rocblas_complex_numIdELi16ELi32ELi8ELi1ELi1ELb1ELc84ELc76EKPKS1_KPS1_EviT_PT9_S7_lS9_S7_lPT10_S7_li ; -- Begin function _ZL37rocblas_syrkx_herkx_restricted_kernelIi19rocblas_complex_numIdELi16ELi32ELi8ELi1ELi1ELb1ELc84ELc76EKPKS1_KPS1_EviT_PT9_S7_lS9_S7_lPT10_S7_li
	.p2align	8
	.type	_ZL37rocblas_syrkx_herkx_restricted_kernelIi19rocblas_complex_numIdELi16ELi32ELi8ELi1ELi1ELb1ELc84ELc76EKPKS1_KPS1_EviT_PT9_S7_lS9_S7_lPT10_S7_li,@function
_ZL37rocblas_syrkx_herkx_restricted_kernelIi19rocblas_complex_numIdELi16ELi32ELi8ELi1ELi1ELb1ELc84ELc76EKPKS1_KPS1_EviT_PT9_S7_lS9_S7_lPT10_S7_li: ; @_ZL37rocblas_syrkx_herkx_restricted_kernelIi19rocblas_complex_numIdELi16ELi32ELi8ELi1ELi1ELb1ELc84ELc76EKPKS1_KPS1_EviT_PT9_S7_lS9_S7_lPT10_S7_li
; %bb.0:
	s_load_dwordx2 s[2:3], s[4:5], 0x38
	s_load_dwordx2 s[12:13], s[4:5], 0x0
	s_mov_b32 s9, 0
	s_lshl_b64 s[0:1], s[8:9], 3
	s_waitcnt lgkmcnt(0)
	s_add_u32 s2, s2, s0
	s_addc_u32 s3, s3, s1
	s_load_dwordx2 s[10:11], s[2:3], 0x0
	s_lshl_b32 s2, s6, 5
	s_lshl_b32 s3, s7, 5
	s_cmp_lt_i32 s13, 1
	s_cbranch_scc1 .LBB849_3
; %bb.1:
	s_load_dwordx2 s[6:7], s[4:5], 0x8
	s_load_dword s8, s[4:5], 0x10
	s_load_dwordx2 s[14:15], s[4:5], 0x20
	s_load_dword s16, s[4:5], 0x28
	v_lshl_add_u32 v6, v1, 4, v0
	s_waitcnt lgkmcnt(0)
	s_add_u32 s6, s6, s0
	s_addc_u32 s7, s7, s1
	v_lshrrev_b32_e32 v8, 3, v6
	s_add_u32 s0, s14, s0
	v_add_u32_e32 v4, s3, v8
	v_and_b32_e32 v2, 7, v0
	v_mov_b32_e32 v3, 0
	s_addc_u32 s1, s15, s1
	v_mad_i64_i32 v[4:5], s[14:15], s16, v4, v[2:3]
	v_and_b32_e32 v9, 31, v6
	v_lshlrev_b32_e32 v2, 4, v2
	v_lshrrev_b32_e32 v6, 5, v6
	v_mov_b32_e32 v7, v3
	v_lshlrev_b32_e32 v3, 4, v9
	v_lshl_or_b32 v8, v8, 7, v2
	v_add_u32_e32 v2, s2, v9
	v_lshl_or_b32 v22, v6, 9, v3
	v_mad_i64_i32 v[2:3], s[14:15], s8, v2, v[6:7]
	s_load_dwordx2 s[6:7], s[6:7], 0x0
	v_lshlrev_b64 v[4:5], 4, v[4:5]
	s_load_dwordx2 s[0:1], s[0:1], 0x0
	v_lshlrev_b64 v[2:3], 4, v[2:3]
	v_add_u32_e32 v23, 0x1000, v8
	s_waitcnt lgkmcnt(0)
	v_mov_b32_e32 v6, s7
	v_add_co_u32_e32 v2, vcc, s6, v2
	v_addc_co_u32_e32 v3, vcc, v6, v3, vcc
	v_mov_b32_e32 v6, s1
	v_add_co_u32_e32 v4, vcc, s0, v4
	v_mov_b32_e32 v25, 0x1000
	v_addc_co_u32_e32 v5, vcc, v6, v5, vcc
	v_mov_b32_e32 v10, 0
	v_mov_b32_e32 v12, 0
	v_mov_b32_e32 v20, 0
	v_mov_b32_e32 v16, 0
	v_mov_b32_e32 v8, 0
	v_mov_b32_e32 v6, 0
	v_mov_b32_e32 v18, 0
	v_mov_b32_e32 v14, 0
	v_lshlrev_b32_e32 v24, 4, v0
	v_mov_b32_e32 v11, 0
	v_mov_b32_e32 v13, 0
	;; [unrolled: 1-line block ×8, first 2 shown]
	v_lshl_add_u32 v25, v1, 7, v25
.LBB849_2:                              ; =>This Inner Loop Header: Depth=1
	flat_load_dwordx4 v[26:29], v[2:3]
	v_add_co_u32_e32 v2, vcc, 0x80, v2
	v_addc_co_u32_e32 v3, vcc, 0, v3, vcc
	s_add_i32 s9, s9, 8
	s_cmp_ge_i32 s9, s13
	s_waitcnt vmcnt(0) lgkmcnt(0)
	ds_write_b128 v22, v[26:29]
	flat_load_dwordx4 v[26:29], v[4:5]
	v_add_co_u32_e32 v4, vcc, 0x80, v4
	v_addc_co_u32_e32 v5, vcc, 0, v5, vcc
	s_waitcnt vmcnt(0) lgkmcnt(0)
	ds_write_b128 v23, v[26:29]
	s_waitcnt lgkmcnt(0)
	s_barrier
	ds_read_b128 v[26:29], v25
	ds_read_b128 v[30:33], v25 offset:16
	ds_read_b128 v[34:37], v25 offset:32
	;; [unrolled: 1-line block ×3, first 2 shown]
	ds_read_b128 v[42:45], v24
	s_waitcnt lgkmcnt(0)
	v_mul_f64 v[46:47], v[28:29], v[44:45]
	v_mul_f64 v[48:49], v[26:27], v[44:45]
	v_fma_f64 v[46:47], v[26:27], v[42:43], -v[46:47]
	v_fma_f64 v[48:49], v[28:29], v[42:43], v[48:49]
	v_add_f64 v[14:15], v[14:15], v[46:47]
	v_add_f64 v[18:19], v[48:49], v[18:19]
	ds_read_b128 v[46:49], v24 offset:256
	s_waitcnt lgkmcnt(0)
	v_mul_f64 v[50:51], v[28:29], v[48:49]
	v_fma_f64 v[50:51], v[26:27], v[46:47], -v[50:51]
	v_mul_f64 v[26:27], v[26:27], v[48:49]
	v_fma_f64 v[26:27], v[28:29], v[46:47], v[26:27]
	v_add_f64 v[28:29], v[6:7], v[50:51]
	v_add_f64 v[26:27], v[26:27], v[8:9]
	ds_read_b128 v[6:9], v25 offset:2048
	s_waitcnt lgkmcnt(0)
	v_mul_f64 v[50:51], v[8:9], v[44:45]
	v_mul_f64 v[44:45], v[6:7], v[44:45]
	v_fma_f64 v[50:51], v[6:7], v[42:43], -v[50:51]
	v_fma_f64 v[42:43], v[8:9], v[42:43], v[44:45]
	v_add_f64 v[44:45], v[16:17], v[50:51]
	v_mul_f64 v[16:17], v[8:9], v[48:49]
	v_add_f64 v[20:21], v[42:43], v[20:21]
	v_fma_f64 v[16:17], v[6:7], v[46:47], -v[16:17]
	v_mul_f64 v[6:7], v[6:7], v[48:49]
	v_add_f64 v[42:43], v[12:13], v[16:17]
	v_fma_f64 v[6:7], v[8:9], v[46:47], v[6:7]
	v_add_f64 v[46:47], v[6:7], v[10:11]
	ds_read_b128 v[6:9], v24 offset:512
	s_waitcnt lgkmcnt(0)
	v_mul_f64 v[10:11], v[32:33], v[8:9]
	v_mul_f64 v[12:13], v[30:31], v[8:9]
	v_fma_f64 v[10:11], v[30:31], v[6:7], -v[10:11]
	v_fma_f64 v[12:13], v[32:33], v[6:7], v[12:13]
	v_add_f64 v[48:49], v[14:15], v[10:11]
	v_add_f64 v[18:19], v[12:13], v[18:19]
	ds_read_b128 v[10:13], v24 offset:768
	s_waitcnt lgkmcnt(0)
	v_mul_f64 v[14:15], v[32:33], v[12:13]
	v_mul_f64 v[16:17], v[30:31], v[12:13]
	v_fma_f64 v[14:15], v[30:31], v[10:11], -v[14:15]
	v_fma_f64 v[16:17], v[32:33], v[10:11], v[16:17]
	v_add_f64 v[28:29], v[28:29], v[14:15]
	v_add_f64 v[26:27], v[16:17], v[26:27]
	ds_read_b128 v[14:17], v25 offset:2064
	s_waitcnt lgkmcnt(0)
	v_mul_f64 v[30:31], v[16:17], v[8:9]
	v_mul_f64 v[8:9], v[14:15], v[8:9]
	v_fma_f64 v[30:31], v[14:15], v[6:7], -v[30:31]
	v_fma_f64 v[6:7], v[16:17], v[6:7], v[8:9]
	v_mul_f64 v[8:9], v[14:15], v[12:13]
	v_add_f64 v[30:31], v[44:45], v[30:31]
	v_add_f64 v[20:21], v[6:7], v[20:21]
	v_mul_f64 v[6:7], v[16:17], v[12:13]
	v_fma_f64 v[8:9], v[16:17], v[10:11], v[8:9]
	v_fma_f64 v[6:7], v[14:15], v[10:11], -v[6:7]
	v_add_f64 v[32:33], v[42:43], v[6:7]
	v_add_f64 v[42:43], v[8:9], v[46:47]
	ds_read_b128 v[6:9], v24 offset:1024
	s_waitcnt lgkmcnt(0)
	v_mul_f64 v[10:11], v[36:37], v[8:9]
	v_mul_f64 v[12:13], v[34:35], v[8:9]
	v_fma_f64 v[10:11], v[34:35], v[6:7], -v[10:11]
	v_fma_f64 v[12:13], v[36:37], v[6:7], v[12:13]
	v_add_f64 v[44:45], v[48:49], v[10:11]
	v_add_f64 v[18:19], v[12:13], v[18:19]
	ds_read_b128 v[10:13], v24 offset:1280
	s_waitcnt lgkmcnt(0)
	v_mul_f64 v[14:15], v[36:37], v[12:13]
	v_mul_f64 v[16:17], v[34:35], v[12:13]
	v_fma_f64 v[14:15], v[34:35], v[10:11], -v[14:15]
	v_fma_f64 v[16:17], v[36:37], v[10:11], v[16:17]
	v_add_f64 v[28:29], v[28:29], v[14:15]
	v_add_f64 v[26:27], v[16:17], v[26:27]
	ds_read_b128 v[14:17], v25 offset:2080
	s_waitcnt lgkmcnt(0)
	v_mul_f64 v[34:35], v[16:17], v[8:9]
	v_mul_f64 v[8:9], v[14:15], v[8:9]
	v_fma_f64 v[34:35], v[14:15], v[6:7], -v[34:35]
	v_fma_f64 v[6:7], v[16:17], v[6:7], v[8:9]
	v_mul_f64 v[8:9], v[14:15], v[12:13]
	v_add_f64 v[30:31], v[30:31], v[34:35]
	v_add_f64 v[20:21], v[6:7], v[20:21]
	v_mul_f64 v[6:7], v[16:17], v[12:13]
	v_fma_f64 v[8:9], v[16:17], v[10:11], v[8:9]
	v_fma_f64 v[6:7], v[14:15], v[10:11], -v[6:7]
	v_add_f64 v[34:35], v[8:9], v[42:43]
	;; [unrolled: 30-line block ×3, first 2 shown]
	v_add_f64 v[32:33], v[32:33], v[6:7]
	ds_read_b128 v[6:9], v25 offset:64
	ds_read_b128 v[10:13], v24 offset:2048
	s_waitcnt lgkmcnt(0)
	v_mul_f64 v[14:15], v[8:9], v[12:13]
	v_mul_f64 v[16:17], v[6:7], v[12:13]
	v_fma_f64 v[14:15], v[6:7], v[10:11], -v[14:15]
	v_fma_f64 v[16:17], v[8:9], v[10:11], v[16:17]
	v_add_f64 v[36:37], v[36:37], v[14:15]
	v_add_f64 v[18:19], v[16:17], v[18:19]
	ds_read_b128 v[14:17], v24 offset:2304
	s_waitcnt lgkmcnt(0)
	v_mul_f64 v[38:39], v[8:9], v[16:17]
	v_fma_f64 v[38:39], v[6:7], v[14:15], -v[38:39]
	v_mul_f64 v[6:7], v[6:7], v[16:17]
	v_add_f64 v[28:29], v[28:29], v[38:39]
	v_fma_f64 v[6:7], v[8:9], v[14:15], v[6:7]
	v_add_f64 v[26:27], v[6:7], v[26:27]
	ds_read_b128 v[6:9], v25 offset:2112
	s_waitcnt lgkmcnt(0)
	v_mul_f64 v[38:39], v[8:9], v[12:13]
	v_mul_f64 v[12:13], v[6:7], v[12:13]
	v_fma_f64 v[38:39], v[6:7], v[10:11], -v[38:39]
	v_fma_f64 v[10:11], v[8:9], v[10:11], v[12:13]
	v_add_f64 v[30:31], v[30:31], v[38:39]
	v_add_f64 v[20:21], v[10:11], v[20:21]
	v_mul_f64 v[10:11], v[8:9], v[16:17]
	v_fma_f64 v[10:11], v[6:7], v[14:15], -v[10:11]
	v_mul_f64 v[6:7], v[6:7], v[16:17]
	v_add_f64 v[32:33], v[32:33], v[10:11]
	v_fma_f64 v[6:7], v[8:9], v[14:15], v[6:7]
	v_add_f64 v[34:35], v[6:7], v[34:35]
	ds_read_b128 v[6:9], v25 offset:80
	ds_read_b128 v[10:13], v24 offset:2560
	s_waitcnt lgkmcnt(0)
	v_mul_f64 v[14:15], v[8:9], v[12:13]
	v_mul_f64 v[16:17], v[6:7], v[12:13]
	v_fma_f64 v[14:15], v[6:7], v[10:11], -v[14:15]
	v_fma_f64 v[16:17], v[8:9], v[10:11], v[16:17]
	v_add_f64 v[36:37], v[36:37], v[14:15]
	v_add_f64 v[18:19], v[16:17], v[18:19]
	ds_read_b128 v[14:17], v24 offset:2816
	s_waitcnt lgkmcnt(0)
	v_mul_f64 v[38:39], v[8:9], v[16:17]
	v_fma_f64 v[38:39], v[6:7], v[14:15], -v[38:39]
	v_mul_f64 v[6:7], v[6:7], v[16:17]
	v_add_f64 v[28:29], v[28:29], v[38:39]
	v_fma_f64 v[6:7], v[8:9], v[14:15], v[6:7]
	v_add_f64 v[26:27], v[6:7], v[26:27]
	ds_read_b128 v[6:9], v25 offset:2128
	s_waitcnt lgkmcnt(0)
	v_mul_f64 v[38:39], v[8:9], v[12:13]
	v_mul_f64 v[12:13], v[6:7], v[12:13]
	v_fma_f64 v[38:39], v[6:7], v[10:11], -v[38:39]
	v_fma_f64 v[10:11], v[8:9], v[10:11], v[12:13]
	v_add_f64 v[30:31], v[30:31], v[38:39]
	v_add_f64 v[20:21], v[10:11], v[20:21]
	v_mul_f64 v[10:11], v[8:9], v[16:17]
	v_fma_f64 v[10:11], v[6:7], v[14:15], -v[10:11]
	v_mul_f64 v[6:7], v[6:7], v[16:17]
	v_add_f64 v[32:33], v[32:33], v[10:11]
	v_fma_f64 v[6:7], v[8:9], v[14:15], v[6:7]
	;; [unrolled: 31-line block ×3, first 2 shown]
	v_add_f64 v[34:35], v[6:7], v[34:35]
	ds_read_b128 v[6:9], v25 offset:112
	ds_read_b128 v[10:13], v24 offset:3584
	;; [unrolled: 1-line block ×4, first 2 shown]
	s_waitcnt lgkmcnt(0)
	s_barrier
	v_mul_f64 v[16:17], v[6:7], v[12:13]
	v_mul_f64 v[14:15], v[8:9], v[12:13]
	v_fma_f64 v[16:17], v[8:9], v[10:11], v[16:17]
	v_fma_f64 v[14:15], v[6:7], v[10:11], -v[14:15]
	v_add_f64 v[18:19], v[16:17], v[18:19]
	v_mul_f64 v[16:17], v[8:9], v[28:29]
	v_add_f64 v[14:15], v[36:37], v[14:15]
	v_fma_f64 v[16:17], v[6:7], v[26:27], -v[16:17]
	v_mul_f64 v[6:7], v[6:7], v[28:29]
	v_fma_f64 v[8:9], v[8:9], v[26:27], v[6:7]
	v_add_f64 v[6:7], v[38:39], v[16:17]
	v_mul_f64 v[16:17], v[32:33], v[12:13]
	v_mul_f64 v[12:13], v[30:31], v[12:13]
	v_add_f64 v[8:9], v[8:9], v[40:41]
	v_fma_f64 v[16:17], v[30:31], v[10:11], -v[16:17]
	v_fma_f64 v[10:11], v[32:33], v[10:11], v[12:13]
	v_mul_f64 v[12:13], v[30:31], v[28:29]
	v_add_f64 v[16:17], v[42:43], v[16:17]
	v_add_f64 v[20:21], v[10:11], v[20:21]
	v_mul_f64 v[10:11], v[32:33], v[28:29]
	v_fma_f64 v[10:11], v[30:31], v[26:27], -v[10:11]
	v_fma_f64 v[26:27], v[32:33], v[26:27], v[12:13]
	v_add_f64 v[12:13], v[44:45], v[10:11]
	v_add_f64 v[10:11], v[26:27], v[34:35]
	s_cbranch_scc0 .LBB849_2
	s_branch .LBB849_4
.LBB849_3:
	v_mov_b32_e32 v14, 0
	v_mov_b32_e32 v18, 0
	;; [unrolled: 1-line block ×16, first 2 shown]
.LBB849_4:
	s_load_dword s6, s[4:5], 0x40
	v_add_u32_e32 v4, s3, v1
	s_waitcnt lgkmcnt(0)
	v_mov_b32_e32 v3, s11
	v_add_u32_e32 v0, s2, v0
	v_mad_i64_i32 v[1:2], s[0:1], v4, s6, 0
	v_cmp_le_i32_e64 s[0:1], v4, v0
	v_lshlrev_b64 v[1:2], 4, v[1:2]
	v_add_co_u32_e32 v5, vcc, s10, v1
	v_addc_co_u32_e32 v22, vcc, v3, v2, vcc
	v_cmp_gt_i32_e32 vcc, s12, v0
	s_and_b64 s[0:1], s[0:1], vcc
	s_and_saveexec_b64 s[2:3], s[0:1]
	s_cbranch_execz .LBB849_6
; %bb.5:
	v_ashrrev_i32_e32 v1, 31, v0
	v_lshlrev_b64 v[1:2], 4, v[0:1]
	v_add_co_u32_e64 v1, s[0:1], v5, v1
	v_addc_co_u32_e64 v2, s[0:1], v22, v2, s[0:1]
	flat_load_dwordx4 v[23:26], v[1:2]
	v_cmp_ne_u32_e64 s[0:1], v4, v0
	s_waitcnt vmcnt(0) lgkmcnt(0)
	v_add_f64 v[18:19], v[18:19], v[25:26]
	v_add_f64 v[23:24], v[14:15], v[23:24]
	v_cndmask_b32_e64 v26, 0, v19, s[0:1]
	v_cndmask_b32_e64 v25, 0, v18, s[0:1]
	flat_store_dwordx4 v[1:2], v[23:26]
.LBB849_6:
	s_or_b64 exec, exec, s[2:3]
	v_add_u32_e32 v2, 16, v0
	v_cmp_le_i32_e64 s[2:3], v4, v2
	v_cmp_gt_i32_e64 s[0:1], s12, v2
	s_and_b64 s[2:3], s[2:3], s[0:1]
	s_and_saveexec_b64 s[4:5], s[2:3]
	s_cbranch_execz .LBB849_8
; %bb.7:
	v_ashrrev_i32_e32 v3, 31, v2
	v_lshlrev_b64 v[14:15], 4, v[2:3]
	v_add_co_u32_e64 v14, s[2:3], v5, v14
	v_addc_co_u32_e64 v15, s[2:3], v22, v15, s[2:3]
	flat_load_dwordx4 v[22:25], v[14:15]
	v_cmp_ne_u32_e64 s[2:3], v4, v2
	s_waitcnt vmcnt(0) lgkmcnt(0)
	v_add_f64 v[18:19], v[8:9], v[24:25]
	v_add_f64 v[5:6], v[6:7], v[22:23]
	v_cndmask_b32_e64 v8, 0, v19, s[2:3]
	v_cndmask_b32_e64 v7, 0, v18, s[2:3]
	flat_store_dwordx4 v[14:15], v[5:8]
.LBB849_8:
	s_or_b64 exec, exec, s[4:5]
	v_add_u32_e32 v3, 16, v4
	v_mad_i64_i32 v[5:6], s[2:3], v3, s6, 0
	v_mov_b32_e32 v1, s11
	v_lshlrev_b64 v[5:6], 4, v[5:6]
	v_add_co_u32_e64 v5, s[2:3], s10, v5
	v_addc_co_u32_e64 v6, s[2:3], v1, v6, s[2:3]
	v_cmp_le_i32_e64 s[2:3], v3, v0
	s_and_b64 s[4:5], s[2:3], vcc
	s_and_saveexec_b64 s[2:3], s[4:5]
	s_cbranch_execz .LBB849_10
; %bb.9:
	v_ashrrev_i32_e32 v1, 31, v0
	v_lshlrev_b64 v[7:8], 4, v[0:1]
	v_add_co_u32_e32 v7, vcc, v5, v7
	v_addc_co_u32_e32 v8, vcc, v6, v8, vcc
	flat_load_dwordx4 v[22:25], v[7:8]
	v_cmp_ne_u32_e32 vcc, v3, v0
	s_waitcnt vmcnt(0) lgkmcnt(0)
	v_add_f64 v[18:19], v[20:21], v[24:25]
	v_add_f64 v[14:15], v[16:17], v[22:23]
	v_cndmask_b32_e32 v17, 0, v19, vcc
	v_cndmask_b32_e32 v16, 0, v18, vcc
	flat_store_dwordx4 v[7:8], v[14:17]
.LBB849_10:
	s_or_b64 exec, exec, s[2:3]
	v_cmp_le_i32_e32 vcc, v3, v2
	s_and_b64 s[0:1], vcc, s[0:1]
	s_and_saveexec_b64 s[2:3], s[0:1]
	s_cbranch_execz .LBB849_12
; %bb.11:
	v_ashrrev_i32_e32 v3, 31, v2
	v_lshlrev_b64 v[1:2], 4, v[2:3]
	v_add_co_u32_e32 v14, vcc, v5, v1
	v_addc_co_u32_e32 v15, vcc, v6, v2, vcc
	flat_load_dwordx4 v[5:8], v[14:15]
	v_cmp_ne_u32_e32 vcc, v4, v0
	s_waitcnt vmcnt(0) lgkmcnt(0)
	v_add_f64 v[7:8], v[10:11], v[7:8]
	v_add_f64 v[1:2], v[12:13], v[5:6]
	v_cndmask_b32_e32 v4, 0, v8, vcc
	v_cndmask_b32_e32 v3, 0, v7, vcc
	flat_store_dwordx4 v[14:15], v[1:4]
.LBB849_12:
	s_endpgm
	.section	.rodata,"a",@progbits
	.p2align	6, 0x0
	.amdhsa_kernel _ZL37rocblas_syrkx_herkx_restricted_kernelIi19rocblas_complex_numIdELi16ELi32ELi8ELi1ELi1ELb1ELc84ELc76EKPKS1_KPS1_EviT_PT9_S7_lS9_S7_lPT10_S7_li
		.amdhsa_group_segment_fixed_size 8192
		.amdhsa_private_segment_fixed_size 0
		.amdhsa_kernarg_size 84
		.amdhsa_user_sgpr_count 6
		.amdhsa_user_sgpr_private_segment_buffer 1
		.amdhsa_user_sgpr_dispatch_ptr 0
		.amdhsa_user_sgpr_queue_ptr 0
		.amdhsa_user_sgpr_kernarg_segment_ptr 1
		.amdhsa_user_sgpr_dispatch_id 0
		.amdhsa_user_sgpr_flat_scratch_init 0
		.amdhsa_user_sgpr_private_segment_size 0
		.amdhsa_uses_dynamic_stack 0
		.amdhsa_system_sgpr_private_segment_wavefront_offset 0
		.amdhsa_system_sgpr_workgroup_id_x 1
		.amdhsa_system_sgpr_workgroup_id_y 1
		.amdhsa_system_sgpr_workgroup_id_z 1
		.amdhsa_system_sgpr_workgroup_info 0
		.amdhsa_system_vgpr_workitem_id 1
		.amdhsa_next_free_vgpr 52
		.amdhsa_next_free_sgpr 61
		.amdhsa_reserve_vcc 1
		.amdhsa_reserve_flat_scratch 0
		.amdhsa_float_round_mode_32 0
		.amdhsa_float_round_mode_16_64 0
		.amdhsa_float_denorm_mode_32 3
		.amdhsa_float_denorm_mode_16_64 3
		.amdhsa_dx10_clamp 1
		.amdhsa_ieee_mode 1
		.amdhsa_fp16_overflow 0
		.amdhsa_exception_fp_ieee_invalid_op 0
		.amdhsa_exception_fp_denorm_src 0
		.amdhsa_exception_fp_ieee_div_zero 0
		.amdhsa_exception_fp_ieee_overflow 0
		.amdhsa_exception_fp_ieee_underflow 0
		.amdhsa_exception_fp_ieee_inexact 0
		.amdhsa_exception_int_div_zero 0
	.end_amdhsa_kernel
	.section	.text._ZL37rocblas_syrkx_herkx_restricted_kernelIi19rocblas_complex_numIdELi16ELi32ELi8ELi1ELi1ELb1ELc84ELc76EKPKS1_KPS1_EviT_PT9_S7_lS9_S7_lPT10_S7_li,"axG",@progbits,_ZL37rocblas_syrkx_herkx_restricted_kernelIi19rocblas_complex_numIdELi16ELi32ELi8ELi1ELi1ELb1ELc84ELc76EKPKS1_KPS1_EviT_PT9_S7_lS9_S7_lPT10_S7_li,comdat
.Lfunc_end849:
	.size	_ZL37rocblas_syrkx_herkx_restricted_kernelIi19rocblas_complex_numIdELi16ELi32ELi8ELi1ELi1ELb1ELc84ELc76EKPKS1_KPS1_EviT_PT9_S7_lS9_S7_lPT10_S7_li, .Lfunc_end849-_ZL37rocblas_syrkx_herkx_restricted_kernelIi19rocblas_complex_numIdELi16ELi32ELi8ELi1ELi1ELb1ELc84ELc76EKPKS1_KPS1_EviT_PT9_S7_lS9_S7_lPT10_S7_li
                                        ; -- End function
	.set _ZL37rocblas_syrkx_herkx_restricted_kernelIi19rocblas_complex_numIdELi16ELi32ELi8ELi1ELi1ELb1ELc84ELc76EKPKS1_KPS1_EviT_PT9_S7_lS9_S7_lPT10_S7_li.num_vgpr, 52
	.set _ZL37rocblas_syrkx_herkx_restricted_kernelIi19rocblas_complex_numIdELi16ELi32ELi8ELi1ELi1ELb1ELc84ELc76EKPKS1_KPS1_EviT_PT9_S7_lS9_S7_lPT10_S7_li.num_agpr, 0
	.set _ZL37rocblas_syrkx_herkx_restricted_kernelIi19rocblas_complex_numIdELi16ELi32ELi8ELi1ELi1ELb1ELc84ELc76EKPKS1_KPS1_EviT_PT9_S7_lS9_S7_lPT10_S7_li.numbered_sgpr, 17
	.set _ZL37rocblas_syrkx_herkx_restricted_kernelIi19rocblas_complex_numIdELi16ELi32ELi8ELi1ELi1ELb1ELc84ELc76EKPKS1_KPS1_EviT_PT9_S7_lS9_S7_lPT10_S7_li.num_named_barrier, 0
	.set _ZL37rocblas_syrkx_herkx_restricted_kernelIi19rocblas_complex_numIdELi16ELi32ELi8ELi1ELi1ELb1ELc84ELc76EKPKS1_KPS1_EviT_PT9_S7_lS9_S7_lPT10_S7_li.private_seg_size, 0
	.set _ZL37rocblas_syrkx_herkx_restricted_kernelIi19rocblas_complex_numIdELi16ELi32ELi8ELi1ELi1ELb1ELc84ELc76EKPKS1_KPS1_EviT_PT9_S7_lS9_S7_lPT10_S7_li.uses_vcc, 1
	.set _ZL37rocblas_syrkx_herkx_restricted_kernelIi19rocblas_complex_numIdELi16ELi32ELi8ELi1ELi1ELb1ELc84ELc76EKPKS1_KPS1_EviT_PT9_S7_lS9_S7_lPT10_S7_li.uses_flat_scratch, 0
	.set _ZL37rocblas_syrkx_herkx_restricted_kernelIi19rocblas_complex_numIdELi16ELi32ELi8ELi1ELi1ELb1ELc84ELc76EKPKS1_KPS1_EviT_PT9_S7_lS9_S7_lPT10_S7_li.has_dyn_sized_stack, 0
	.set _ZL37rocblas_syrkx_herkx_restricted_kernelIi19rocblas_complex_numIdELi16ELi32ELi8ELi1ELi1ELb1ELc84ELc76EKPKS1_KPS1_EviT_PT9_S7_lS9_S7_lPT10_S7_li.has_recursion, 0
	.set _ZL37rocblas_syrkx_herkx_restricted_kernelIi19rocblas_complex_numIdELi16ELi32ELi8ELi1ELi1ELb1ELc84ELc76EKPKS1_KPS1_EviT_PT9_S7_lS9_S7_lPT10_S7_li.has_indirect_call, 0
	.section	.AMDGPU.csdata,"",@progbits
; Kernel info:
; codeLenInByte = 2888
; TotalNumSgprs: 21
; NumVgprs: 52
; ScratchSize: 0
; MemoryBound: 0
; FloatMode: 240
; IeeeMode: 1
; LDSByteSize: 8192 bytes/workgroup (compile time only)
; SGPRBlocks: 8
; VGPRBlocks: 12
; NumSGPRsForWavesPerEU: 65
; NumVGPRsForWavesPerEU: 52
; Occupancy: 4
; WaveLimiterHint : 1
; COMPUTE_PGM_RSRC2:SCRATCH_EN: 0
; COMPUTE_PGM_RSRC2:USER_SGPR: 6
; COMPUTE_PGM_RSRC2:TRAP_HANDLER: 0
; COMPUTE_PGM_RSRC2:TGID_X_EN: 1
; COMPUTE_PGM_RSRC2:TGID_Y_EN: 1
; COMPUTE_PGM_RSRC2:TGID_Z_EN: 1
; COMPUTE_PGM_RSRC2:TIDIG_COMP_CNT: 1
	.section	.text._ZL37rocblas_syrkx_herkx_restricted_kernelIi19rocblas_complex_numIdELi16ELi32ELi8ELi1ELi1ELb1ELc67ELc76EKPKS1_KPS1_EviT_PT9_S7_lS9_S7_lPT10_S7_li,"axG",@progbits,_ZL37rocblas_syrkx_herkx_restricted_kernelIi19rocblas_complex_numIdELi16ELi32ELi8ELi1ELi1ELb1ELc67ELc76EKPKS1_KPS1_EviT_PT9_S7_lS9_S7_lPT10_S7_li,comdat
	.globl	_ZL37rocblas_syrkx_herkx_restricted_kernelIi19rocblas_complex_numIdELi16ELi32ELi8ELi1ELi1ELb1ELc67ELc76EKPKS1_KPS1_EviT_PT9_S7_lS9_S7_lPT10_S7_li ; -- Begin function _ZL37rocblas_syrkx_herkx_restricted_kernelIi19rocblas_complex_numIdELi16ELi32ELi8ELi1ELi1ELb1ELc67ELc76EKPKS1_KPS1_EviT_PT9_S7_lS9_S7_lPT10_S7_li
	.p2align	8
	.type	_ZL37rocblas_syrkx_herkx_restricted_kernelIi19rocblas_complex_numIdELi16ELi32ELi8ELi1ELi1ELb1ELc67ELc76EKPKS1_KPS1_EviT_PT9_S7_lS9_S7_lPT10_S7_li,@function
_ZL37rocblas_syrkx_herkx_restricted_kernelIi19rocblas_complex_numIdELi16ELi32ELi8ELi1ELi1ELb1ELc67ELc76EKPKS1_KPS1_EviT_PT9_S7_lS9_S7_lPT10_S7_li: ; @_ZL37rocblas_syrkx_herkx_restricted_kernelIi19rocblas_complex_numIdELi16ELi32ELi8ELi1ELi1ELb1ELc67ELc76EKPKS1_KPS1_EviT_PT9_S7_lS9_S7_lPT10_S7_li
; %bb.0:
	s_load_dwordx2 s[2:3], s[4:5], 0x38
	s_load_dwordx2 s[12:13], s[4:5], 0x0
	s_mov_b32 s9, 0
	s_lshl_b64 s[0:1], s[8:9], 3
	s_waitcnt lgkmcnt(0)
	s_add_u32 s2, s2, s0
	s_addc_u32 s3, s3, s1
	s_load_dwordx2 s[10:11], s[2:3], 0x0
	s_lshl_b32 s2, s6, 5
	s_lshl_b32 s3, s7, 5
	s_cmp_lt_i32 s13, 1
	s_cbranch_scc1 .LBB850_3
; %bb.1:
	s_load_dwordx2 s[6:7], s[4:5], 0x8
	s_load_dword s8, s[4:5], 0x10
	s_load_dwordx2 s[14:15], s[4:5], 0x20
	s_load_dword s16, s[4:5], 0x28
	v_lshl_add_u32 v6, v1, 4, v0
	s_waitcnt lgkmcnt(0)
	s_add_u32 s6, s6, s0
	s_addc_u32 s7, s7, s1
	v_lshrrev_b32_e32 v8, 3, v6
	s_add_u32 s0, s14, s0
	v_add_u32_e32 v4, s3, v8
	v_and_b32_e32 v2, 7, v0
	v_mov_b32_e32 v3, 0
	s_addc_u32 s1, s15, s1
	v_mad_i64_i32 v[4:5], s[14:15], s16, v4, v[2:3]
	v_and_b32_e32 v9, 31, v6
	v_lshlrev_b32_e32 v2, 4, v2
	v_lshrrev_b32_e32 v6, 5, v6
	v_mov_b32_e32 v7, v3
	v_lshlrev_b32_e32 v3, 4, v9
	v_lshl_or_b32 v8, v8, 7, v2
	v_add_u32_e32 v2, s2, v9
	v_lshl_or_b32 v22, v6, 9, v3
	v_mad_i64_i32 v[2:3], s[14:15], s8, v2, v[6:7]
	s_load_dwordx2 s[6:7], s[6:7], 0x0
	v_lshlrev_b64 v[4:5], 4, v[4:5]
	s_load_dwordx2 s[0:1], s[0:1], 0x0
	v_lshlrev_b64 v[2:3], 4, v[2:3]
	v_add_u32_e32 v23, 0x1000, v8
	s_waitcnt lgkmcnt(0)
	v_mov_b32_e32 v6, s7
	v_add_co_u32_e32 v2, vcc, s6, v2
	v_addc_co_u32_e32 v3, vcc, v6, v3, vcc
	v_mov_b32_e32 v6, s1
	v_add_co_u32_e32 v4, vcc, s0, v4
	v_mov_b32_e32 v25, 0x1000
	v_addc_co_u32_e32 v5, vcc, v6, v5, vcc
	v_mov_b32_e32 v10, 0
	v_mov_b32_e32 v12, 0
	;; [unrolled: 1-line block ×8, first 2 shown]
	v_lshlrev_b32_e32 v24, 4, v0
	v_mov_b32_e32 v11, 0
	v_mov_b32_e32 v13, 0
	;; [unrolled: 1-line block ×8, first 2 shown]
	v_lshl_add_u32 v25, v1, 7, v25
.LBB850_2:                              ; =>This Inner Loop Header: Depth=1
	flat_load_dwordx4 v[26:29], v[2:3]
	v_add_co_u32_e32 v2, vcc, 0x80, v2
	v_addc_co_u32_e32 v3, vcc, 0, v3, vcc
	s_add_i32 s9, s9, 8
	s_cmp_ge_i32 s9, s13
	s_waitcnt vmcnt(0) lgkmcnt(0)
	v_xor_b32_e32 v29, 0x80000000, v29
	ds_write_b128 v22, v[26:29]
	flat_load_dwordx4 v[26:29], v[4:5]
	v_add_co_u32_e32 v4, vcc, 0x80, v4
	v_addc_co_u32_e32 v5, vcc, 0, v5, vcc
	s_waitcnt vmcnt(0) lgkmcnt(0)
	ds_write_b128 v23, v[26:29]
	s_waitcnt lgkmcnt(0)
	s_barrier
	ds_read_b128 v[26:29], v25
	ds_read_b128 v[30:33], v25 offset:16
	ds_read_b128 v[34:37], v25 offset:32
	;; [unrolled: 1-line block ×3, first 2 shown]
	ds_read_b128 v[42:45], v24
	s_waitcnt lgkmcnt(0)
	v_mul_f64 v[46:47], v[28:29], v[44:45]
	v_mul_f64 v[48:49], v[26:27], v[44:45]
	v_fma_f64 v[46:47], v[26:27], v[42:43], -v[46:47]
	v_fma_f64 v[48:49], v[28:29], v[42:43], v[48:49]
	v_add_f64 v[14:15], v[14:15], v[46:47]
	v_add_f64 v[18:19], v[48:49], v[18:19]
	ds_read_b128 v[46:49], v24 offset:256
	s_waitcnt lgkmcnt(0)
	v_mul_f64 v[50:51], v[28:29], v[48:49]
	v_fma_f64 v[50:51], v[26:27], v[46:47], -v[50:51]
	v_mul_f64 v[26:27], v[26:27], v[48:49]
	v_fma_f64 v[26:27], v[28:29], v[46:47], v[26:27]
	v_add_f64 v[28:29], v[6:7], v[50:51]
	v_add_f64 v[26:27], v[26:27], v[8:9]
	ds_read_b128 v[6:9], v25 offset:2048
	s_waitcnt lgkmcnt(0)
	v_mul_f64 v[50:51], v[8:9], v[44:45]
	v_mul_f64 v[44:45], v[6:7], v[44:45]
	v_fma_f64 v[50:51], v[6:7], v[42:43], -v[50:51]
	v_fma_f64 v[42:43], v[8:9], v[42:43], v[44:45]
	v_add_f64 v[44:45], v[16:17], v[50:51]
	v_mul_f64 v[16:17], v[8:9], v[48:49]
	v_add_f64 v[20:21], v[42:43], v[20:21]
	v_fma_f64 v[16:17], v[6:7], v[46:47], -v[16:17]
	v_mul_f64 v[6:7], v[6:7], v[48:49]
	v_add_f64 v[42:43], v[12:13], v[16:17]
	v_fma_f64 v[6:7], v[8:9], v[46:47], v[6:7]
	v_add_f64 v[46:47], v[6:7], v[10:11]
	ds_read_b128 v[6:9], v24 offset:512
	s_waitcnt lgkmcnt(0)
	v_mul_f64 v[10:11], v[32:33], v[8:9]
	v_mul_f64 v[12:13], v[30:31], v[8:9]
	v_fma_f64 v[10:11], v[30:31], v[6:7], -v[10:11]
	v_fma_f64 v[12:13], v[32:33], v[6:7], v[12:13]
	v_add_f64 v[48:49], v[14:15], v[10:11]
	v_add_f64 v[18:19], v[12:13], v[18:19]
	ds_read_b128 v[10:13], v24 offset:768
	s_waitcnt lgkmcnt(0)
	v_mul_f64 v[14:15], v[32:33], v[12:13]
	v_mul_f64 v[16:17], v[30:31], v[12:13]
	v_fma_f64 v[14:15], v[30:31], v[10:11], -v[14:15]
	v_fma_f64 v[16:17], v[32:33], v[10:11], v[16:17]
	v_add_f64 v[28:29], v[28:29], v[14:15]
	v_add_f64 v[26:27], v[16:17], v[26:27]
	ds_read_b128 v[14:17], v25 offset:2064
	s_waitcnt lgkmcnt(0)
	v_mul_f64 v[30:31], v[16:17], v[8:9]
	v_mul_f64 v[8:9], v[14:15], v[8:9]
	v_fma_f64 v[30:31], v[14:15], v[6:7], -v[30:31]
	v_fma_f64 v[6:7], v[16:17], v[6:7], v[8:9]
	v_mul_f64 v[8:9], v[14:15], v[12:13]
	v_add_f64 v[30:31], v[44:45], v[30:31]
	v_add_f64 v[20:21], v[6:7], v[20:21]
	v_mul_f64 v[6:7], v[16:17], v[12:13]
	v_fma_f64 v[8:9], v[16:17], v[10:11], v[8:9]
	v_fma_f64 v[6:7], v[14:15], v[10:11], -v[6:7]
	v_add_f64 v[32:33], v[42:43], v[6:7]
	v_add_f64 v[42:43], v[8:9], v[46:47]
	ds_read_b128 v[6:9], v24 offset:1024
	s_waitcnt lgkmcnt(0)
	v_mul_f64 v[10:11], v[36:37], v[8:9]
	v_mul_f64 v[12:13], v[34:35], v[8:9]
	v_fma_f64 v[10:11], v[34:35], v[6:7], -v[10:11]
	v_fma_f64 v[12:13], v[36:37], v[6:7], v[12:13]
	v_add_f64 v[44:45], v[48:49], v[10:11]
	v_add_f64 v[18:19], v[12:13], v[18:19]
	ds_read_b128 v[10:13], v24 offset:1280
	s_waitcnt lgkmcnt(0)
	v_mul_f64 v[14:15], v[36:37], v[12:13]
	v_mul_f64 v[16:17], v[34:35], v[12:13]
	v_fma_f64 v[14:15], v[34:35], v[10:11], -v[14:15]
	v_fma_f64 v[16:17], v[36:37], v[10:11], v[16:17]
	v_add_f64 v[28:29], v[28:29], v[14:15]
	v_add_f64 v[26:27], v[16:17], v[26:27]
	ds_read_b128 v[14:17], v25 offset:2080
	s_waitcnt lgkmcnt(0)
	v_mul_f64 v[34:35], v[16:17], v[8:9]
	v_mul_f64 v[8:9], v[14:15], v[8:9]
	v_fma_f64 v[34:35], v[14:15], v[6:7], -v[34:35]
	v_fma_f64 v[6:7], v[16:17], v[6:7], v[8:9]
	v_mul_f64 v[8:9], v[14:15], v[12:13]
	v_add_f64 v[30:31], v[30:31], v[34:35]
	v_add_f64 v[20:21], v[6:7], v[20:21]
	v_mul_f64 v[6:7], v[16:17], v[12:13]
	v_fma_f64 v[8:9], v[16:17], v[10:11], v[8:9]
	v_fma_f64 v[6:7], v[14:15], v[10:11], -v[6:7]
	v_add_f64 v[34:35], v[8:9], v[42:43]
	v_add_f64 v[32:33], v[32:33], v[6:7]
	ds_read_b128 v[6:9], v24 offset:1536
	s_waitcnt lgkmcnt(0)
	v_mul_f64 v[10:11], v[40:41], v[8:9]
	v_mul_f64 v[12:13], v[38:39], v[8:9]
	v_fma_f64 v[10:11], v[38:39], v[6:7], -v[10:11]
	v_fma_f64 v[12:13], v[40:41], v[6:7], v[12:13]
	v_add_f64 v[36:37], v[44:45], v[10:11]
	v_add_f64 v[18:19], v[12:13], v[18:19]
	ds_read_b128 v[10:13], v24 offset:1792
	s_waitcnt lgkmcnt(0)
	v_mul_f64 v[14:15], v[40:41], v[12:13]
	v_mul_f64 v[16:17], v[38:39], v[12:13]
	v_fma_f64 v[14:15], v[38:39], v[10:11], -v[14:15]
	v_fma_f64 v[16:17], v[40:41], v[10:11], v[16:17]
	v_add_f64 v[28:29], v[28:29], v[14:15]
	v_add_f64 v[26:27], v[16:17], v[26:27]
	ds_read_b128 v[14:17], v25 offset:2096
	s_waitcnt lgkmcnt(0)
	v_mul_f64 v[38:39], v[16:17], v[8:9]
	v_mul_f64 v[8:9], v[14:15], v[8:9]
	v_fma_f64 v[38:39], v[14:15], v[6:7], -v[38:39]
	v_fma_f64 v[6:7], v[16:17], v[6:7], v[8:9]
	v_mul_f64 v[8:9], v[14:15], v[12:13]
	v_add_f64 v[30:31], v[30:31], v[38:39]
	v_add_f64 v[20:21], v[6:7], v[20:21]
	v_mul_f64 v[6:7], v[16:17], v[12:13]
	v_fma_f64 v[8:9], v[16:17], v[10:11], v[8:9]
	v_fma_f64 v[6:7], v[14:15], v[10:11], -v[6:7]
	v_add_f64 v[34:35], v[8:9], v[34:35]
	v_add_f64 v[32:33], v[32:33], v[6:7]
	ds_read_b128 v[6:9], v25 offset:64
	ds_read_b128 v[10:13], v24 offset:2048
	s_waitcnt lgkmcnt(0)
	v_mul_f64 v[14:15], v[8:9], v[12:13]
	v_mul_f64 v[16:17], v[6:7], v[12:13]
	v_fma_f64 v[14:15], v[6:7], v[10:11], -v[14:15]
	v_fma_f64 v[16:17], v[8:9], v[10:11], v[16:17]
	v_add_f64 v[36:37], v[36:37], v[14:15]
	v_add_f64 v[18:19], v[16:17], v[18:19]
	ds_read_b128 v[14:17], v24 offset:2304
	s_waitcnt lgkmcnt(0)
	v_mul_f64 v[38:39], v[8:9], v[16:17]
	v_fma_f64 v[38:39], v[6:7], v[14:15], -v[38:39]
	v_mul_f64 v[6:7], v[6:7], v[16:17]
	v_add_f64 v[28:29], v[28:29], v[38:39]
	v_fma_f64 v[6:7], v[8:9], v[14:15], v[6:7]
	v_add_f64 v[26:27], v[6:7], v[26:27]
	ds_read_b128 v[6:9], v25 offset:2112
	s_waitcnt lgkmcnt(0)
	v_mul_f64 v[38:39], v[8:9], v[12:13]
	v_mul_f64 v[12:13], v[6:7], v[12:13]
	v_fma_f64 v[38:39], v[6:7], v[10:11], -v[38:39]
	v_fma_f64 v[10:11], v[8:9], v[10:11], v[12:13]
	v_add_f64 v[30:31], v[30:31], v[38:39]
	v_add_f64 v[20:21], v[10:11], v[20:21]
	v_mul_f64 v[10:11], v[8:9], v[16:17]
	v_fma_f64 v[10:11], v[6:7], v[14:15], -v[10:11]
	v_mul_f64 v[6:7], v[6:7], v[16:17]
	v_add_f64 v[32:33], v[32:33], v[10:11]
	v_fma_f64 v[6:7], v[8:9], v[14:15], v[6:7]
	v_add_f64 v[34:35], v[6:7], v[34:35]
	ds_read_b128 v[6:9], v25 offset:80
	ds_read_b128 v[10:13], v24 offset:2560
	s_waitcnt lgkmcnt(0)
	v_mul_f64 v[14:15], v[8:9], v[12:13]
	v_mul_f64 v[16:17], v[6:7], v[12:13]
	v_fma_f64 v[14:15], v[6:7], v[10:11], -v[14:15]
	v_fma_f64 v[16:17], v[8:9], v[10:11], v[16:17]
	v_add_f64 v[36:37], v[36:37], v[14:15]
	v_add_f64 v[18:19], v[16:17], v[18:19]
	ds_read_b128 v[14:17], v24 offset:2816
	s_waitcnt lgkmcnt(0)
	v_mul_f64 v[38:39], v[8:9], v[16:17]
	v_fma_f64 v[38:39], v[6:7], v[14:15], -v[38:39]
	v_mul_f64 v[6:7], v[6:7], v[16:17]
	v_add_f64 v[28:29], v[28:29], v[38:39]
	v_fma_f64 v[6:7], v[8:9], v[14:15], v[6:7]
	v_add_f64 v[26:27], v[6:7], v[26:27]
	ds_read_b128 v[6:9], v25 offset:2128
	s_waitcnt lgkmcnt(0)
	v_mul_f64 v[38:39], v[8:9], v[12:13]
	v_mul_f64 v[12:13], v[6:7], v[12:13]
	v_fma_f64 v[38:39], v[6:7], v[10:11], -v[38:39]
	v_fma_f64 v[10:11], v[8:9], v[10:11], v[12:13]
	v_add_f64 v[30:31], v[30:31], v[38:39]
	v_add_f64 v[20:21], v[10:11], v[20:21]
	v_mul_f64 v[10:11], v[8:9], v[16:17]
	v_fma_f64 v[10:11], v[6:7], v[14:15], -v[10:11]
	v_mul_f64 v[6:7], v[6:7], v[16:17]
	v_add_f64 v[32:33], v[32:33], v[10:11]
	v_fma_f64 v[6:7], v[8:9], v[14:15], v[6:7]
	;; [unrolled: 31-line block ×3, first 2 shown]
	v_add_f64 v[34:35], v[6:7], v[34:35]
	ds_read_b128 v[6:9], v25 offset:112
	ds_read_b128 v[10:13], v24 offset:3584
	;; [unrolled: 1-line block ×4, first 2 shown]
	s_waitcnt lgkmcnt(0)
	s_barrier
	v_mul_f64 v[16:17], v[6:7], v[12:13]
	v_mul_f64 v[14:15], v[8:9], v[12:13]
	v_fma_f64 v[16:17], v[8:9], v[10:11], v[16:17]
	v_fma_f64 v[14:15], v[6:7], v[10:11], -v[14:15]
	v_add_f64 v[18:19], v[16:17], v[18:19]
	v_mul_f64 v[16:17], v[8:9], v[28:29]
	v_add_f64 v[14:15], v[36:37], v[14:15]
	v_fma_f64 v[16:17], v[6:7], v[26:27], -v[16:17]
	v_mul_f64 v[6:7], v[6:7], v[28:29]
	v_fma_f64 v[8:9], v[8:9], v[26:27], v[6:7]
	v_add_f64 v[6:7], v[38:39], v[16:17]
	v_mul_f64 v[16:17], v[32:33], v[12:13]
	v_mul_f64 v[12:13], v[30:31], v[12:13]
	v_add_f64 v[8:9], v[8:9], v[40:41]
	v_fma_f64 v[16:17], v[30:31], v[10:11], -v[16:17]
	v_fma_f64 v[10:11], v[32:33], v[10:11], v[12:13]
	v_mul_f64 v[12:13], v[30:31], v[28:29]
	v_add_f64 v[16:17], v[42:43], v[16:17]
	v_add_f64 v[20:21], v[10:11], v[20:21]
	v_mul_f64 v[10:11], v[32:33], v[28:29]
	v_fma_f64 v[10:11], v[30:31], v[26:27], -v[10:11]
	v_fma_f64 v[26:27], v[32:33], v[26:27], v[12:13]
	v_add_f64 v[12:13], v[44:45], v[10:11]
	v_add_f64 v[10:11], v[26:27], v[34:35]
	s_cbranch_scc0 .LBB850_2
	s_branch .LBB850_4
.LBB850_3:
	v_mov_b32_e32 v14, 0
	v_mov_b32_e32 v18, 0
	;; [unrolled: 1-line block ×16, first 2 shown]
.LBB850_4:
	s_load_dword s6, s[4:5], 0x40
	v_add_u32_e32 v4, s3, v1
	s_waitcnt lgkmcnt(0)
	v_mov_b32_e32 v3, s11
	v_add_u32_e32 v0, s2, v0
	v_mad_i64_i32 v[1:2], s[0:1], v4, s6, 0
	v_cmp_le_i32_e64 s[0:1], v4, v0
	v_lshlrev_b64 v[1:2], 4, v[1:2]
	v_add_co_u32_e32 v5, vcc, s10, v1
	v_addc_co_u32_e32 v22, vcc, v3, v2, vcc
	v_cmp_gt_i32_e32 vcc, s12, v0
	s_and_b64 s[0:1], s[0:1], vcc
	s_and_saveexec_b64 s[2:3], s[0:1]
	s_cbranch_execz .LBB850_6
; %bb.5:
	v_ashrrev_i32_e32 v1, 31, v0
	v_lshlrev_b64 v[1:2], 4, v[0:1]
	v_add_co_u32_e64 v1, s[0:1], v5, v1
	v_addc_co_u32_e64 v2, s[0:1], v22, v2, s[0:1]
	flat_load_dwordx4 v[23:26], v[1:2]
	v_cmp_ne_u32_e64 s[0:1], v4, v0
	s_waitcnt vmcnt(0) lgkmcnt(0)
	v_add_f64 v[18:19], v[18:19], v[25:26]
	v_add_f64 v[23:24], v[14:15], v[23:24]
	v_cndmask_b32_e64 v26, 0, v19, s[0:1]
	v_cndmask_b32_e64 v25, 0, v18, s[0:1]
	flat_store_dwordx4 v[1:2], v[23:26]
.LBB850_6:
	s_or_b64 exec, exec, s[2:3]
	v_add_u32_e32 v2, 16, v0
	v_cmp_le_i32_e64 s[2:3], v4, v2
	v_cmp_gt_i32_e64 s[0:1], s12, v2
	s_and_b64 s[2:3], s[2:3], s[0:1]
	s_and_saveexec_b64 s[4:5], s[2:3]
	s_cbranch_execz .LBB850_8
; %bb.7:
	v_ashrrev_i32_e32 v3, 31, v2
	v_lshlrev_b64 v[14:15], 4, v[2:3]
	v_add_co_u32_e64 v14, s[2:3], v5, v14
	v_addc_co_u32_e64 v15, s[2:3], v22, v15, s[2:3]
	flat_load_dwordx4 v[22:25], v[14:15]
	v_cmp_ne_u32_e64 s[2:3], v4, v2
	s_waitcnt vmcnt(0) lgkmcnt(0)
	v_add_f64 v[18:19], v[8:9], v[24:25]
	v_add_f64 v[5:6], v[6:7], v[22:23]
	v_cndmask_b32_e64 v8, 0, v19, s[2:3]
	v_cndmask_b32_e64 v7, 0, v18, s[2:3]
	flat_store_dwordx4 v[14:15], v[5:8]
.LBB850_8:
	s_or_b64 exec, exec, s[4:5]
	v_add_u32_e32 v3, 16, v4
	v_mad_i64_i32 v[5:6], s[2:3], v3, s6, 0
	v_mov_b32_e32 v1, s11
	v_lshlrev_b64 v[5:6], 4, v[5:6]
	v_add_co_u32_e64 v5, s[2:3], s10, v5
	v_addc_co_u32_e64 v6, s[2:3], v1, v6, s[2:3]
	v_cmp_le_i32_e64 s[2:3], v3, v0
	s_and_b64 s[4:5], s[2:3], vcc
	s_and_saveexec_b64 s[2:3], s[4:5]
	s_cbranch_execz .LBB850_10
; %bb.9:
	v_ashrrev_i32_e32 v1, 31, v0
	v_lshlrev_b64 v[7:8], 4, v[0:1]
	v_add_co_u32_e32 v7, vcc, v5, v7
	v_addc_co_u32_e32 v8, vcc, v6, v8, vcc
	flat_load_dwordx4 v[22:25], v[7:8]
	v_cmp_ne_u32_e32 vcc, v3, v0
	s_waitcnt vmcnt(0) lgkmcnt(0)
	v_add_f64 v[18:19], v[20:21], v[24:25]
	v_add_f64 v[14:15], v[16:17], v[22:23]
	v_cndmask_b32_e32 v17, 0, v19, vcc
	v_cndmask_b32_e32 v16, 0, v18, vcc
	flat_store_dwordx4 v[7:8], v[14:17]
.LBB850_10:
	s_or_b64 exec, exec, s[2:3]
	v_cmp_le_i32_e32 vcc, v3, v2
	s_and_b64 s[0:1], vcc, s[0:1]
	s_and_saveexec_b64 s[2:3], s[0:1]
	s_cbranch_execz .LBB850_12
; %bb.11:
	v_ashrrev_i32_e32 v3, 31, v2
	v_lshlrev_b64 v[1:2], 4, v[2:3]
	v_add_co_u32_e32 v14, vcc, v5, v1
	v_addc_co_u32_e32 v15, vcc, v6, v2, vcc
	flat_load_dwordx4 v[5:8], v[14:15]
	v_cmp_ne_u32_e32 vcc, v4, v0
	s_waitcnt vmcnt(0) lgkmcnt(0)
	v_add_f64 v[7:8], v[10:11], v[7:8]
	v_add_f64 v[1:2], v[12:13], v[5:6]
	v_cndmask_b32_e32 v4, 0, v8, vcc
	v_cndmask_b32_e32 v3, 0, v7, vcc
	flat_store_dwordx4 v[14:15], v[1:4]
.LBB850_12:
	s_endpgm
	.section	.rodata,"a",@progbits
	.p2align	6, 0x0
	.amdhsa_kernel _ZL37rocblas_syrkx_herkx_restricted_kernelIi19rocblas_complex_numIdELi16ELi32ELi8ELi1ELi1ELb1ELc67ELc76EKPKS1_KPS1_EviT_PT9_S7_lS9_S7_lPT10_S7_li
		.amdhsa_group_segment_fixed_size 8192
		.amdhsa_private_segment_fixed_size 0
		.amdhsa_kernarg_size 84
		.amdhsa_user_sgpr_count 6
		.amdhsa_user_sgpr_private_segment_buffer 1
		.amdhsa_user_sgpr_dispatch_ptr 0
		.amdhsa_user_sgpr_queue_ptr 0
		.amdhsa_user_sgpr_kernarg_segment_ptr 1
		.amdhsa_user_sgpr_dispatch_id 0
		.amdhsa_user_sgpr_flat_scratch_init 0
		.amdhsa_user_sgpr_private_segment_size 0
		.amdhsa_uses_dynamic_stack 0
		.amdhsa_system_sgpr_private_segment_wavefront_offset 0
		.amdhsa_system_sgpr_workgroup_id_x 1
		.amdhsa_system_sgpr_workgroup_id_y 1
		.amdhsa_system_sgpr_workgroup_id_z 1
		.amdhsa_system_sgpr_workgroup_info 0
		.amdhsa_system_vgpr_workitem_id 1
		.amdhsa_next_free_vgpr 52
		.amdhsa_next_free_sgpr 61
		.amdhsa_reserve_vcc 1
		.amdhsa_reserve_flat_scratch 0
		.amdhsa_float_round_mode_32 0
		.amdhsa_float_round_mode_16_64 0
		.amdhsa_float_denorm_mode_32 3
		.amdhsa_float_denorm_mode_16_64 3
		.amdhsa_dx10_clamp 1
		.amdhsa_ieee_mode 1
		.amdhsa_fp16_overflow 0
		.amdhsa_exception_fp_ieee_invalid_op 0
		.amdhsa_exception_fp_denorm_src 0
		.amdhsa_exception_fp_ieee_div_zero 0
		.amdhsa_exception_fp_ieee_overflow 0
		.amdhsa_exception_fp_ieee_underflow 0
		.amdhsa_exception_fp_ieee_inexact 0
		.amdhsa_exception_int_div_zero 0
	.end_amdhsa_kernel
	.section	.text._ZL37rocblas_syrkx_herkx_restricted_kernelIi19rocblas_complex_numIdELi16ELi32ELi8ELi1ELi1ELb1ELc67ELc76EKPKS1_KPS1_EviT_PT9_S7_lS9_S7_lPT10_S7_li,"axG",@progbits,_ZL37rocblas_syrkx_herkx_restricted_kernelIi19rocblas_complex_numIdELi16ELi32ELi8ELi1ELi1ELb1ELc67ELc76EKPKS1_KPS1_EviT_PT9_S7_lS9_S7_lPT10_S7_li,comdat
.Lfunc_end850:
	.size	_ZL37rocblas_syrkx_herkx_restricted_kernelIi19rocblas_complex_numIdELi16ELi32ELi8ELi1ELi1ELb1ELc67ELc76EKPKS1_KPS1_EviT_PT9_S7_lS9_S7_lPT10_S7_li, .Lfunc_end850-_ZL37rocblas_syrkx_herkx_restricted_kernelIi19rocblas_complex_numIdELi16ELi32ELi8ELi1ELi1ELb1ELc67ELc76EKPKS1_KPS1_EviT_PT9_S7_lS9_S7_lPT10_S7_li
                                        ; -- End function
	.set _ZL37rocblas_syrkx_herkx_restricted_kernelIi19rocblas_complex_numIdELi16ELi32ELi8ELi1ELi1ELb1ELc67ELc76EKPKS1_KPS1_EviT_PT9_S7_lS9_S7_lPT10_S7_li.num_vgpr, 52
	.set _ZL37rocblas_syrkx_herkx_restricted_kernelIi19rocblas_complex_numIdELi16ELi32ELi8ELi1ELi1ELb1ELc67ELc76EKPKS1_KPS1_EviT_PT9_S7_lS9_S7_lPT10_S7_li.num_agpr, 0
	.set _ZL37rocblas_syrkx_herkx_restricted_kernelIi19rocblas_complex_numIdELi16ELi32ELi8ELi1ELi1ELb1ELc67ELc76EKPKS1_KPS1_EviT_PT9_S7_lS9_S7_lPT10_S7_li.numbered_sgpr, 17
	.set _ZL37rocblas_syrkx_herkx_restricted_kernelIi19rocblas_complex_numIdELi16ELi32ELi8ELi1ELi1ELb1ELc67ELc76EKPKS1_KPS1_EviT_PT9_S7_lS9_S7_lPT10_S7_li.num_named_barrier, 0
	.set _ZL37rocblas_syrkx_herkx_restricted_kernelIi19rocblas_complex_numIdELi16ELi32ELi8ELi1ELi1ELb1ELc67ELc76EKPKS1_KPS1_EviT_PT9_S7_lS9_S7_lPT10_S7_li.private_seg_size, 0
	.set _ZL37rocblas_syrkx_herkx_restricted_kernelIi19rocblas_complex_numIdELi16ELi32ELi8ELi1ELi1ELb1ELc67ELc76EKPKS1_KPS1_EviT_PT9_S7_lS9_S7_lPT10_S7_li.uses_vcc, 1
	.set _ZL37rocblas_syrkx_herkx_restricted_kernelIi19rocblas_complex_numIdELi16ELi32ELi8ELi1ELi1ELb1ELc67ELc76EKPKS1_KPS1_EviT_PT9_S7_lS9_S7_lPT10_S7_li.uses_flat_scratch, 0
	.set _ZL37rocblas_syrkx_herkx_restricted_kernelIi19rocblas_complex_numIdELi16ELi32ELi8ELi1ELi1ELb1ELc67ELc76EKPKS1_KPS1_EviT_PT9_S7_lS9_S7_lPT10_S7_li.has_dyn_sized_stack, 0
	.set _ZL37rocblas_syrkx_herkx_restricted_kernelIi19rocblas_complex_numIdELi16ELi32ELi8ELi1ELi1ELb1ELc67ELc76EKPKS1_KPS1_EviT_PT9_S7_lS9_S7_lPT10_S7_li.has_recursion, 0
	.set _ZL37rocblas_syrkx_herkx_restricted_kernelIi19rocblas_complex_numIdELi16ELi32ELi8ELi1ELi1ELb1ELc67ELc76EKPKS1_KPS1_EviT_PT9_S7_lS9_S7_lPT10_S7_li.has_indirect_call, 0
	.section	.AMDGPU.csdata,"",@progbits
; Kernel info:
; codeLenInByte = 2896
; TotalNumSgprs: 21
; NumVgprs: 52
; ScratchSize: 0
; MemoryBound: 0
; FloatMode: 240
; IeeeMode: 1
; LDSByteSize: 8192 bytes/workgroup (compile time only)
; SGPRBlocks: 8
; VGPRBlocks: 12
; NumSGPRsForWavesPerEU: 65
; NumVGPRsForWavesPerEU: 52
; Occupancy: 4
; WaveLimiterHint : 1
; COMPUTE_PGM_RSRC2:SCRATCH_EN: 0
; COMPUTE_PGM_RSRC2:USER_SGPR: 6
; COMPUTE_PGM_RSRC2:TRAP_HANDLER: 0
; COMPUTE_PGM_RSRC2:TGID_X_EN: 1
; COMPUTE_PGM_RSRC2:TGID_Y_EN: 1
; COMPUTE_PGM_RSRC2:TGID_Z_EN: 1
; COMPUTE_PGM_RSRC2:TIDIG_COMP_CNT: 1
	.section	.text._ZL37rocblas_syrkx_herkx_restricted_kernelIi19rocblas_complex_numIdELi16ELi32ELi8ELi1ELi1ELb1ELc78ELc76EKPKS1_KPS1_EviT_PT9_S7_lS9_S7_lPT10_S7_li,"axG",@progbits,_ZL37rocblas_syrkx_herkx_restricted_kernelIi19rocblas_complex_numIdELi16ELi32ELi8ELi1ELi1ELb1ELc78ELc76EKPKS1_KPS1_EviT_PT9_S7_lS9_S7_lPT10_S7_li,comdat
	.globl	_ZL37rocblas_syrkx_herkx_restricted_kernelIi19rocblas_complex_numIdELi16ELi32ELi8ELi1ELi1ELb1ELc78ELc76EKPKS1_KPS1_EviT_PT9_S7_lS9_S7_lPT10_S7_li ; -- Begin function _ZL37rocblas_syrkx_herkx_restricted_kernelIi19rocblas_complex_numIdELi16ELi32ELi8ELi1ELi1ELb1ELc78ELc76EKPKS1_KPS1_EviT_PT9_S7_lS9_S7_lPT10_S7_li
	.p2align	8
	.type	_ZL37rocblas_syrkx_herkx_restricted_kernelIi19rocblas_complex_numIdELi16ELi32ELi8ELi1ELi1ELb1ELc78ELc76EKPKS1_KPS1_EviT_PT9_S7_lS9_S7_lPT10_S7_li,@function
_ZL37rocblas_syrkx_herkx_restricted_kernelIi19rocblas_complex_numIdELi16ELi32ELi8ELi1ELi1ELb1ELc78ELc76EKPKS1_KPS1_EviT_PT9_S7_lS9_S7_lPT10_S7_li: ; @_ZL37rocblas_syrkx_herkx_restricted_kernelIi19rocblas_complex_numIdELi16ELi32ELi8ELi1ELi1ELb1ELc78ELc76EKPKS1_KPS1_EviT_PT9_S7_lS9_S7_lPT10_S7_li
; %bb.0:
	s_load_dwordx2 s[2:3], s[4:5], 0x38
	s_load_dwordx2 s[12:13], s[4:5], 0x0
	s_mov_b32 s9, 0
	s_lshl_b64 s[0:1], s[8:9], 3
	s_waitcnt lgkmcnt(0)
	s_add_u32 s2, s2, s0
	s_addc_u32 s3, s3, s1
	s_load_dwordx2 s[10:11], s[2:3], 0x0
	s_lshl_b32 s6, s6, 5
	s_lshl_b32 s7, s7, 5
	s_cmp_lt_i32 s13, 1
	s_cbranch_scc1 .LBB851_3
; %bb.1:
	s_load_dword s2, s[4:5], 0x10
	s_load_dword s14, s[4:5], 0x28
	s_load_dwordx2 s[16:17], s[4:5], 0x20
	s_load_dwordx2 s[18:19], s[4:5], 0x8
	v_lshl_add_u32 v7, v1, 4, v0
	s_waitcnt lgkmcnt(0)
	s_ashr_i32 s3, s2, 31
	s_ashr_i32 s15, s14, 31
	v_lshrrev_b32_e32 v8, 3, v7
	s_add_u32 s18, s18, s0
	s_addc_u32 s19, s19, s1
	s_add_u32 s0, s16, s0
	v_add_u32_e32 v2, s7, v8
	s_addc_u32 s1, s17, s1
	v_and_b32_e32 v6, 7, v0
	v_ashrrev_i32_e32 v3, 31, v2
	s_load_dwordx2 s[16:17], s[0:1], 0x0
	v_mad_i64_i32 v[4:5], s[0:1], s14, v6, v[2:3]
	v_and_b32_e32 v2, 31, v7
	v_lshrrev_b32_e32 v9, 5, v7
	v_lshlrev_b32_e32 v3, 4, v2
	v_lshl_or_b32 v22, v9, 9, v3
	v_lshlrev_b32_e32 v3, 4, v6
	v_lshl_or_b32 v3, v8, 7, v3
	v_add_u32_e32 v2, s6, v2
	v_add_u32_e32 v23, 0x1000, v3
	v_ashrrev_i32_e32 v3, 31, v2
	v_mad_i64_i32 v[2:3], s[0:1], s2, v9, v[2:3]
	s_load_dwordx2 s[18:19], s[18:19], 0x0
	v_mov_b32_e32 v6, 0x1000
	v_lshlrev_b64 v[2:3], 4, v[2:3]
	v_lshl_add_u32 v25, v1, 7, v6
	v_lshlrev_b64 v[4:5], 4, v[4:5]
	s_waitcnt lgkmcnt(0)
	v_mov_b32_e32 v6, s19
	v_add_co_u32_e32 v2, vcc, s18, v2
	v_addc_co_u32_e32 v3, vcc, v6, v3, vcc
	v_mov_b32_e32 v6, s17
	v_add_co_u32_e32 v4, vcc, s16, v4
	s_lshl_b64 s[0:1], s[2:3], 7
	v_addc_co_u32_e32 v5, vcc, v6, v5, vcc
	s_lshl_b64 s[2:3], s[14:15], 7
	v_mov_b32_e32 v10, 0
	v_mov_b32_e32 v12, 0
	;; [unrolled: 1-line block ×8, first 2 shown]
	v_lshlrev_b32_e32 v24, 4, v0
	v_mov_b32_e32 v11, 0
	v_mov_b32_e32 v26, s1
	;; [unrolled: 1-line block ×10, first 2 shown]
.LBB851_2:                              ; =>This Inner Loop Header: Depth=1
	flat_load_dwordx4 v[28:31], v[2:3]
	v_add_co_u32_e32 v2, vcc, s0, v2
	v_addc_co_u32_e32 v3, vcc, v3, v26, vcc
	s_add_i32 s9, s9, 8
	s_cmp_ge_i32 s9, s13
	s_waitcnt vmcnt(0) lgkmcnt(0)
	ds_write_b128 v22, v[28:31]
	flat_load_dwordx4 v[28:31], v[4:5]
	v_add_co_u32_e32 v4, vcc, s2, v4
	v_addc_co_u32_e32 v5, vcc, v5, v27, vcc
	s_waitcnt vmcnt(0) lgkmcnt(0)
	v_xor_b32_e32 v31, 0x80000000, v31
	ds_write_b128 v23, v[28:31]
	s_waitcnt lgkmcnt(0)
	s_barrier
	ds_read_b128 v[28:31], v25
	ds_read_b128 v[32:35], v25 offset:16
	ds_read_b128 v[36:39], v25 offset:32
	;; [unrolled: 1-line block ×3, first 2 shown]
	ds_read_b128 v[44:47], v24
	s_waitcnt lgkmcnt(0)
	v_mul_f64 v[48:49], v[30:31], v[46:47]
	v_mul_f64 v[50:51], v[28:29], v[46:47]
	v_fma_f64 v[48:49], v[28:29], v[44:45], -v[48:49]
	v_fma_f64 v[50:51], v[30:31], v[44:45], v[50:51]
	v_add_f64 v[48:49], v[18:19], v[48:49]
	v_add_f64 v[50:51], v[50:51], v[20:21]
	ds_read_b128 v[18:21], v24 offset:256
	s_waitcnt lgkmcnt(0)
	v_mul_f64 v[52:53], v[30:31], v[20:21]
	v_fma_f64 v[52:53], v[28:29], v[18:19], -v[52:53]
	v_mul_f64 v[28:29], v[28:29], v[20:21]
	v_fma_f64 v[28:29], v[30:31], v[18:19], v[28:29]
	v_add_f64 v[30:31], v[6:7], v[52:53]
	v_add_f64 v[28:29], v[28:29], v[8:9]
	ds_read_b128 v[6:9], v25 offset:2048
	s_waitcnt lgkmcnt(0)
	v_mul_f64 v[52:53], v[8:9], v[46:47]
	v_mul_f64 v[46:47], v[6:7], v[46:47]
	v_fma_f64 v[52:53], v[6:7], v[44:45], -v[52:53]
	v_fma_f64 v[44:45], v[8:9], v[44:45], v[46:47]
	v_add_f64 v[46:47], v[14:15], v[52:53]
	v_mul_f64 v[14:15], v[8:9], v[20:21]
	v_add_f64 v[44:45], v[44:45], v[16:17]
	v_fma_f64 v[14:15], v[6:7], v[18:19], -v[14:15]
	v_mul_f64 v[6:7], v[6:7], v[20:21]
	v_fma_f64 v[6:7], v[8:9], v[18:19], v[6:7]
	v_add_f64 v[18:19], v[12:13], v[14:15]
	v_add_f64 v[20:21], v[6:7], v[10:11]
	ds_read_b128 v[6:9], v24 offset:512
	s_waitcnt lgkmcnt(0)
	v_mul_f64 v[10:11], v[34:35], v[8:9]
	v_mul_f64 v[12:13], v[32:33], v[8:9]
	v_fma_f64 v[10:11], v[32:33], v[6:7], -v[10:11]
	v_fma_f64 v[12:13], v[34:35], v[6:7], v[12:13]
	v_add_f64 v[48:49], v[48:49], v[10:11]
	v_add_f64 v[50:51], v[12:13], v[50:51]
	ds_read_b128 v[10:13], v24 offset:768
	s_waitcnt lgkmcnt(0)
	v_mul_f64 v[14:15], v[34:35], v[12:13]
	v_mul_f64 v[16:17], v[32:33], v[12:13]
	v_fma_f64 v[14:15], v[32:33], v[10:11], -v[14:15]
	;; [unrolled: 8-line block ×3, first 2 shown]
	v_fma_f64 v[6:7], v[16:17], v[6:7], v[8:9]
	v_mul_f64 v[8:9], v[14:15], v[12:13]
	v_add_f64 v[32:33], v[46:47], v[32:33]
	v_add_f64 v[34:35], v[6:7], v[44:45]
	v_mul_f64 v[6:7], v[16:17], v[12:13]
	v_fma_f64 v[8:9], v[16:17], v[10:11], v[8:9]
	v_fma_f64 v[6:7], v[14:15], v[10:11], -v[6:7]
	v_add_f64 v[20:21], v[8:9], v[20:21]
	v_add_f64 v[18:19], v[18:19], v[6:7]
	ds_read_b128 v[6:9], v24 offset:1024
	s_waitcnt lgkmcnt(0)
	v_mul_f64 v[10:11], v[38:39], v[8:9]
	v_mul_f64 v[12:13], v[36:37], v[8:9]
	v_fma_f64 v[10:11], v[36:37], v[6:7], -v[10:11]
	v_fma_f64 v[12:13], v[38:39], v[6:7], v[12:13]
	v_add_f64 v[44:45], v[48:49], v[10:11]
	v_add_f64 v[46:47], v[12:13], v[50:51]
	ds_read_b128 v[10:13], v24 offset:1280
	s_waitcnt lgkmcnt(0)
	v_mul_f64 v[14:15], v[38:39], v[12:13]
	v_mul_f64 v[16:17], v[36:37], v[12:13]
	v_fma_f64 v[14:15], v[36:37], v[10:11], -v[14:15]
	v_fma_f64 v[16:17], v[38:39], v[10:11], v[16:17]
	;; [unrolled: 8-line block ×3, first 2 shown]
	v_mul_f64 v[8:9], v[14:15], v[12:13]
	v_add_f64 v[32:33], v[32:33], v[36:37]
	v_add_f64 v[34:35], v[6:7], v[34:35]
	v_mul_f64 v[6:7], v[16:17], v[12:13]
	v_fma_f64 v[8:9], v[16:17], v[10:11], v[8:9]
	v_fma_f64 v[6:7], v[14:15], v[10:11], -v[6:7]
	v_add_f64 v[20:21], v[8:9], v[20:21]
	v_add_f64 v[18:19], v[18:19], v[6:7]
	ds_read_b128 v[6:9], v24 offset:1536
	s_waitcnt lgkmcnt(0)
	v_mul_f64 v[10:11], v[42:43], v[8:9]
	v_mul_f64 v[12:13], v[40:41], v[8:9]
	v_fma_f64 v[10:11], v[40:41], v[6:7], -v[10:11]
	v_fma_f64 v[12:13], v[42:43], v[6:7], v[12:13]
	v_add_f64 v[36:37], v[44:45], v[10:11]
	v_add_f64 v[38:39], v[12:13], v[46:47]
	ds_read_b128 v[10:13], v24 offset:1792
	s_waitcnt lgkmcnt(0)
	v_mul_f64 v[14:15], v[42:43], v[12:13]
	v_mul_f64 v[16:17], v[40:41], v[12:13]
	v_fma_f64 v[14:15], v[40:41], v[10:11], -v[14:15]
	v_fma_f64 v[16:17], v[42:43], v[10:11], v[16:17]
	;; [unrolled: 8-line block ×3, first 2 shown]
	v_mul_f64 v[8:9], v[14:15], v[12:13]
	v_add_f64 v[32:33], v[32:33], v[40:41]
	v_add_f64 v[34:35], v[6:7], v[34:35]
	v_mul_f64 v[6:7], v[16:17], v[12:13]
	v_fma_f64 v[8:9], v[16:17], v[10:11], v[8:9]
	v_fma_f64 v[6:7], v[14:15], v[10:11], -v[6:7]
	v_add_f64 v[20:21], v[8:9], v[20:21]
	v_add_f64 v[18:19], v[18:19], v[6:7]
	ds_read_b128 v[6:9], v25 offset:64
	ds_read_b128 v[10:13], v24 offset:2048
	s_waitcnt lgkmcnt(0)
	v_mul_f64 v[14:15], v[8:9], v[12:13]
	v_mul_f64 v[16:17], v[6:7], v[12:13]
	v_fma_f64 v[14:15], v[6:7], v[10:11], -v[14:15]
	v_fma_f64 v[16:17], v[8:9], v[10:11], v[16:17]
	v_add_f64 v[36:37], v[36:37], v[14:15]
	v_add_f64 v[38:39], v[16:17], v[38:39]
	ds_read_b128 v[14:17], v24 offset:2304
	s_waitcnt lgkmcnt(0)
	v_mul_f64 v[40:41], v[8:9], v[16:17]
	v_fma_f64 v[40:41], v[6:7], v[14:15], -v[40:41]
	v_mul_f64 v[6:7], v[6:7], v[16:17]
	v_add_f64 v[30:31], v[30:31], v[40:41]
	v_fma_f64 v[6:7], v[8:9], v[14:15], v[6:7]
	v_add_f64 v[28:29], v[6:7], v[28:29]
	ds_read_b128 v[6:9], v25 offset:2112
	s_waitcnt lgkmcnt(0)
	v_mul_f64 v[40:41], v[8:9], v[12:13]
	v_mul_f64 v[12:13], v[6:7], v[12:13]
	v_fma_f64 v[40:41], v[6:7], v[10:11], -v[40:41]
	v_fma_f64 v[10:11], v[8:9], v[10:11], v[12:13]
	v_add_f64 v[32:33], v[32:33], v[40:41]
	v_add_f64 v[34:35], v[10:11], v[34:35]
	v_mul_f64 v[10:11], v[8:9], v[16:17]
	v_fma_f64 v[10:11], v[6:7], v[14:15], -v[10:11]
	v_mul_f64 v[6:7], v[6:7], v[16:17]
	v_add_f64 v[18:19], v[18:19], v[10:11]
	v_fma_f64 v[6:7], v[8:9], v[14:15], v[6:7]
	v_add_f64 v[20:21], v[6:7], v[20:21]
	ds_read_b128 v[6:9], v25 offset:80
	ds_read_b128 v[10:13], v24 offset:2560
	s_waitcnt lgkmcnt(0)
	v_mul_f64 v[14:15], v[8:9], v[12:13]
	v_mul_f64 v[16:17], v[6:7], v[12:13]
	v_fma_f64 v[14:15], v[6:7], v[10:11], -v[14:15]
	v_fma_f64 v[16:17], v[8:9], v[10:11], v[16:17]
	v_add_f64 v[36:37], v[36:37], v[14:15]
	v_add_f64 v[38:39], v[16:17], v[38:39]
	ds_read_b128 v[14:17], v24 offset:2816
	s_waitcnt lgkmcnt(0)
	v_mul_f64 v[40:41], v[8:9], v[16:17]
	v_fma_f64 v[40:41], v[6:7], v[14:15], -v[40:41]
	v_mul_f64 v[6:7], v[6:7], v[16:17]
	v_add_f64 v[30:31], v[30:31], v[40:41]
	v_fma_f64 v[6:7], v[8:9], v[14:15], v[6:7]
	v_add_f64 v[28:29], v[6:7], v[28:29]
	ds_read_b128 v[6:9], v25 offset:2128
	s_waitcnt lgkmcnt(0)
	v_mul_f64 v[40:41], v[8:9], v[12:13]
	v_mul_f64 v[12:13], v[6:7], v[12:13]
	v_fma_f64 v[40:41], v[6:7], v[10:11], -v[40:41]
	v_fma_f64 v[10:11], v[8:9], v[10:11], v[12:13]
	v_add_f64 v[32:33], v[32:33], v[40:41]
	v_add_f64 v[34:35], v[10:11], v[34:35]
	v_mul_f64 v[10:11], v[8:9], v[16:17]
	v_fma_f64 v[10:11], v[6:7], v[14:15], -v[10:11]
	v_mul_f64 v[6:7], v[6:7], v[16:17]
	v_add_f64 v[18:19], v[18:19], v[10:11]
	v_fma_f64 v[6:7], v[8:9], v[14:15], v[6:7]
	;; [unrolled: 31-line block ×3, first 2 shown]
	v_add_f64 v[50:51], v[6:7], v[20:21]
	ds_read_b128 v[6:9], v25 offset:112
	ds_read_b128 v[10:13], v24 offset:3584
	;; [unrolled: 1-line block ×4, first 2 shown]
	s_waitcnt lgkmcnt(0)
	s_barrier
	v_mul_f64 v[14:15], v[8:9], v[12:13]
	v_mul_f64 v[16:17], v[6:7], v[12:13]
	v_fma_f64 v[14:15], v[6:7], v[10:11], -v[14:15]
	v_fma_f64 v[16:17], v[8:9], v[10:11], v[16:17]
	v_add_f64 v[18:19], v[36:37], v[14:15]
	v_mul_f64 v[14:15], v[8:9], v[30:31]
	v_add_f64 v[20:21], v[16:17], v[38:39]
	v_fma_f64 v[14:15], v[6:7], v[28:29], -v[14:15]
	v_mul_f64 v[6:7], v[6:7], v[30:31]
	v_fma_f64 v[8:9], v[8:9], v[28:29], v[6:7]
	v_add_f64 v[6:7], v[40:41], v[14:15]
	v_mul_f64 v[14:15], v[34:35], v[12:13]
	v_mul_f64 v[12:13], v[32:33], v[12:13]
	v_add_f64 v[8:9], v[8:9], v[42:43]
	v_fma_f64 v[14:15], v[32:33], v[10:11], -v[14:15]
	v_fma_f64 v[10:11], v[34:35], v[10:11], v[12:13]
	v_mul_f64 v[12:13], v[32:33], v[30:31]
	v_add_f64 v[14:15], v[44:45], v[14:15]
	v_add_f64 v[16:17], v[10:11], v[46:47]
	v_mul_f64 v[10:11], v[34:35], v[30:31]
	v_fma_f64 v[10:11], v[32:33], v[28:29], -v[10:11]
	v_fma_f64 v[28:29], v[34:35], v[28:29], v[12:13]
	v_add_f64 v[12:13], v[48:49], v[10:11]
	v_add_f64 v[10:11], v[28:29], v[50:51]
	s_cbranch_scc0 .LBB851_2
	s_branch .LBB851_4
.LBB851_3:
	v_mov_b32_e32 v18, 0
	v_mov_b32_e32 v20, 0
	;; [unrolled: 1-line block ×16, first 2 shown]
.LBB851_4:
	s_load_dword s8, s[4:5], 0x40
	v_add_u32_e32 v4, s7, v1
	s_waitcnt lgkmcnt(0)
	v_mov_b32_e32 v3, s11
	v_add_u32_e32 v0, s6, v0
	v_mad_i64_i32 v[1:2], s[0:1], v4, s8, 0
	v_cmp_le_i32_e64 s[0:1], v4, v0
	v_lshlrev_b64 v[1:2], 4, v[1:2]
	v_add_co_u32_e32 v5, vcc, s10, v1
	v_addc_co_u32_e32 v22, vcc, v3, v2, vcc
	v_cmp_gt_i32_e32 vcc, s12, v0
	s_and_b64 s[0:1], s[0:1], vcc
	s_and_saveexec_b64 s[2:3], s[0:1]
	s_cbranch_execz .LBB851_6
; %bb.5:
	v_ashrrev_i32_e32 v1, 31, v0
	v_lshlrev_b64 v[1:2], 4, v[0:1]
	v_add_co_u32_e64 v1, s[0:1], v5, v1
	v_addc_co_u32_e64 v2, s[0:1], v22, v2, s[0:1]
	flat_load_dwordx4 v[23:26], v[1:2]
	v_cmp_ne_u32_e64 s[0:1], v4, v0
	s_waitcnt vmcnt(0) lgkmcnt(0)
	v_add_f64 v[20:21], v[20:21], v[25:26]
	v_add_f64 v[18:19], v[18:19], v[23:24]
	v_cndmask_b32_e64 v21, 0, v21, s[0:1]
	v_cndmask_b32_e64 v20, 0, v20, s[0:1]
	flat_store_dwordx4 v[1:2], v[18:21]
.LBB851_6:
	s_or_b64 exec, exec, s[2:3]
	v_add_u32_e32 v2, 16, v0
	v_cmp_le_i32_e64 s[2:3], v4, v2
	v_cmp_gt_i32_e64 s[0:1], s12, v2
	s_and_b64 s[2:3], s[2:3], s[0:1]
	s_and_saveexec_b64 s[4:5], s[2:3]
	s_cbranch_execz .LBB851_8
; %bb.7:
	v_ashrrev_i32_e32 v3, 31, v2
	v_lshlrev_b64 v[18:19], 4, v[2:3]
	v_add_co_u32_e64 v23, s[2:3], v5, v18
	v_addc_co_u32_e64 v24, s[2:3], v22, v19, s[2:3]
	flat_load_dwordx4 v[18:21], v[23:24]
	v_cmp_ne_u32_e64 s[2:3], v4, v2
	s_waitcnt vmcnt(0) lgkmcnt(0)
	v_add_f64 v[20:21], v[8:9], v[20:21]
	v_add_f64 v[5:6], v[6:7], v[18:19]
	v_cndmask_b32_e64 v8, 0, v21, s[2:3]
	v_cndmask_b32_e64 v7, 0, v20, s[2:3]
	flat_store_dwordx4 v[23:24], v[5:8]
.LBB851_8:
	s_or_b64 exec, exec, s[4:5]
	v_add_u32_e32 v3, 16, v4
	v_mad_i64_i32 v[5:6], s[2:3], v3, s8, 0
	v_mov_b32_e32 v1, s11
	v_lshlrev_b64 v[5:6], 4, v[5:6]
	v_add_co_u32_e64 v5, s[2:3], s10, v5
	v_addc_co_u32_e64 v6, s[2:3], v1, v6, s[2:3]
	v_cmp_le_i32_e64 s[2:3], v3, v0
	s_and_b64 s[4:5], s[2:3], vcc
	s_and_saveexec_b64 s[2:3], s[4:5]
	s_cbranch_execz .LBB851_10
; %bb.9:
	v_ashrrev_i32_e32 v1, 31, v0
	v_lshlrev_b64 v[7:8], 4, v[0:1]
	v_add_co_u32_e32 v7, vcc, v5, v7
	v_addc_co_u32_e32 v8, vcc, v6, v8, vcc
	flat_load_dwordx4 v[18:21], v[7:8]
	v_cmp_ne_u32_e32 vcc, v3, v0
	s_waitcnt vmcnt(0) lgkmcnt(0)
	v_add_f64 v[16:17], v[16:17], v[20:21]
	v_add_f64 v[14:15], v[14:15], v[18:19]
	v_cndmask_b32_e32 v17, 0, v17, vcc
	v_cndmask_b32_e32 v16, 0, v16, vcc
	flat_store_dwordx4 v[7:8], v[14:17]
.LBB851_10:
	s_or_b64 exec, exec, s[2:3]
	v_cmp_le_i32_e32 vcc, v3, v2
	s_and_b64 s[0:1], vcc, s[0:1]
	s_and_saveexec_b64 s[2:3], s[0:1]
	s_cbranch_execz .LBB851_12
; %bb.11:
	v_ashrrev_i32_e32 v3, 31, v2
	v_lshlrev_b64 v[1:2], 4, v[2:3]
	v_add_co_u32_e32 v14, vcc, v5, v1
	v_addc_co_u32_e32 v15, vcc, v6, v2, vcc
	flat_load_dwordx4 v[5:8], v[14:15]
	v_cmp_ne_u32_e32 vcc, v4, v0
	s_waitcnt vmcnt(0) lgkmcnt(0)
	v_add_f64 v[7:8], v[10:11], v[7:8]
	v_add_f64 v[1:2], v[12:13], v[5:6]
	v_cndmask_b32_e32 v4, 0, v8, vcc
	v_cndmask_b32_e32 v3, 0, v7, vcc
	flat_store_dwordx4 v[14:15], v[1:4]
.LBB851_12:
	s_endpgm
	.section	.rodata,"a",@progbits
	.p2align	6, 0x0
	.amdhsa_kernel _ZL37rocblas_syrkx_herkx_restricted_kernelIi19rocblas_complex_numIdELi16ELi32ELi8ELi1ELi1ELb1ELc78ELc76EKPKS1_KPS1_EviT_PT9_S7_lS9_S7_lPT10_S7_li
		.amdhsa_group_segment_fixed_size 8192
		.amdhsa_private_segment_fixed_size 0
		.amdhsa_kernarg_size 84
		.amdhsa_user_sgpr_count 6
		.amdhsa_user_sgpr_private_segment_buffer 1
		.amdhsa_user_sgpr_dispatch_ptr 0
		.amdhsa_user_sgpr_queue_ptr 0
		.amdhsa_user_sgpr_kernarg_segment_ptr 1
		.amdhsa_user_sgpr_dispatch_id 0
		.amdhsa_user_sgpr_flat_scratch_init 0
		.amdhsa_user_sgpr_private_segment_size 0
		.amdhsa_uses_dynamic_stack 0
		.amdhsa_system_sgpr_private_segment_wavefront_offset 0
		.amdhsa_system_sgpr_workgroup_id_x 1
		.amdhsa_system_sgpr_workgroup_id_y 1
		.amdhsa_system_sgpr_workgroup_id_z 1
		.amdhsa_system_sgpr_workgroup_info 0
		.amdhsa_system_vgpr_workitem_id 1
		.amdhsa_next_free_vgpr 54
		.amdhsa_next_free_sgpr 61
		.amdhsa_reserve_vcc 1
		.amdhsa_reserve_flat_scratch 0
		.amdhsa_float_round_mode_32 0
		.amdhsa_float_round_mode_16_64 0
		.amdhsa_float_denorm_mode_32 3
		.amdhsa_float_denorm_mode_16_64 3
		.amdhsa_dx10_clamp 1
		.amdhsa_ieee_mode 1
		.amdhsa_fp16_overflow 0
		.amdhsa_exception_fp_ieee_invalid_op 0
		.amdhsa_exception_fp_denorm_src 0
		.amdhsa_exception_fp_ieee_div_zero 0
		.amdhsa_exception_fp_ieee_overflow 0
		.amdhsa_exception_fp_ieee_underflow 0
		.amdhsa_exception_fp_ieee_inexact 0
		.amdhsa_exception_int_div_zero 0
	.end_amdhsa_kernel
	.section	.text._ZL37rocblas_syrkx_herkx_restricted_kernelIi19rocblas_complex_numIdELi16ELi32ELi8ELi1ELi1ELb1ELc78ELc76EKPKS1_KPS1_EviT_PT9_S7_lS9_S7_lPT10_S7_li,"axG",@progbits,_ZL37rocblas_syrkx_herkx_restricted_kernelIi19rocblas_complex_numIdELi16ELi32ELi8ELi1ELi1ELb1ELc78ELc76EKPKS1_KPS1_EviT_PT9_S7_lS9_S7_lPT10_S7_li,comdat
.Lfunc_end851:
	.size	_ZL37rocblas_syrkx_herkx_restricted_kernelIi19rocblas_complex_numIdELi16ELi32ELi8ELi1ELi1ELb1ELc78ELc76EKPKS1_KPS1_EviT_PT9_S7_lS9_S7_lPT10_S7_li, .Lfunc_end851-_ZL37rocblas_syrkx_herkx_restricted_kernelIi19rocblas_complex_numIdELi16ELi32ELi8ELi1ELi1ELb1ELc78ELc76EKPKS1_KPS1_EviT_PT9_S7_lS9_S7_lPT10_S7_li
                                        ; -- End function
	.set _ZL37rocblas_syrkx_herkx_restricted_kernelIi19rocblas_complex_numIdELi16ELi32ELi8ELi1ELi1ELb1ELc78ELc76EKPKS1_KPS1_EviT_PT9_S7_lS9_S7_lPT10_S7_li.num_vgpr, 54
	.set _ZL37rocblas_syrkx_herkx_restricted_kernelIi19rocblas_complex_numIdELi16ELi32ELi8ELi1ELi1ELb1ELc78ELc76EKPKS1_KPS1_EviT_PT9_S7_lS9_S7_lPT10_S7_li.num_agpr, 0
	.set _ZL37rocblas_syrkx_herkx_restricted_kernelIi19rocblas_complex_numIdELi16ELi32ELi8ELi1ELi1ELb1ELc78ELc76EKPKS1_KPS1_EviT_PT9_S7_lS9_S7_lPT10_S7_li.numbered_sgpr, 20
	.set _ZL37rocblas_syrkx_herkx_restricted_kernelIi19rocblas_complex_numIdELi16ELi32ELi8ELi1ELi1ELb1ELc78ELc76EKPKS1_KPS1_EviT_PT9_S7_lS9_S7_lPT10_S7_li.num_named_barrier, 0
	.set _ZL37rocblas_syrkx_herkx_restricted_kernelIi19rocblas_complex_numIdELi16ELi32ELi8ELi1ELi1ELb1ELc78ELc76EKPKS1_KPS1_EviT_PT9_S7_lS9_S7_lPT10_S7_li.private_seg_size, 0
	.set _ZL37rocblas_syrkx_herkx_restricted_kernelIi19rocblas_complex_numIdELi16ELi32ELi8ELi1ELi1ELb1ELc78ELc76EKPKS1_KPS1_EviT_PT9_S7_lS9_S7_lPT10_S7_li.uses_vcc, 1
	.set _ZL37rocblas_syrkx_herkx_restricted_kernelIi19rocblas_complex_numIdELi16ELi32ELi8ELi1ELi1ELb1ELc78ELc76EKPKS1_KPS1_EviT_PT9_S7_lS9_S7_lPT10_S7_li.uses_flat_scratch, 0
	.set _ZL37rocblas_syrkx_herkx_restricted_kernelIi19rocblas_complex_numIdELi16ELi32ELi8ELi1ELi1ELb1ELc78ELc76EKPKS1_KPS1_EviT_PT9_S7_lS9_S7_lPT10_S7_li.has_dyn_sized_stack, 0
	.set _ZL37rocblas_syrkx_herkx_restricted_kernelIi19rocblas_complex_numIdELi16ELi32ELi8ELi1ELi1ELb1ELc78ELc76EKPKS1_KPS1_EviT_PT9_S7_lS9_S7_lPT10_S7_li.has_recursion, 0
	.set _ZL37rocblas_syrkx_herkx_restricted_kernelIi19rocblas_complex_numIdELi16ELi32ELi8ELi1ELi1ELb1ELc78ELc76EKPKS1_KPS1_EviT_PT9_S7_lS9_S7_lPT10_S7_li.has_indirect_call, 0
	.section	.AMDGPU.csdata,"",@progbits
; Kernel info:
; codeLenInByte = 2912
; TotalNumSgprs: 24
; NumVgprs: 54
; ScratchSize: 0
; MemoryBound: 0
; FloatMode: 240
; IeeeMode: 1
; LDSByteSize: 8192 bytes/workgroup (compile time only)
; SGPRBlocks: 8
; VGPRBlocks: 13
; NumSGPRsForWavesPerEU: 65
; NumVGPRsForWavesPerEU: 54
; Occupancy: 4
; WaveLimiterHint : 1
; COMPUTE_PGM_RSRC2:SCRATCH_EN: 0
; COMPUTE_PGM_RSRC2:USER_SGPR: 6
; COMPUTE_PGM_RSRC2:TRAP_HANDLER: 0
; COMPUTE_PGM_RSRC2:TGID_X_EN: 1
; COMPUTE_PGM_RSRC2:TGID_Y_EN: 1
; COMPUTE_PGM_RSRC2:TGID_Z_EN: 1
; COMPUTE_PGM_RSRC2:TIDIG_COMP_CNT: 1
	.section	.text._ZL37rocblas_syrkx_herkx_restricted_kernelIi19rocblas_complex_numIdELi16ELi32ELi8ELi1ELi1ELb1ELc84ELc85EKPKS1_KPS1_EviT_PT9_S7_lS9_S7_lPT10_S7_li,"axG",@progbits,_ZL37rocblas_syrkx_herkx_restricted_kernelIi19rocblas_complex_numIdELi16ELi32ELi8ELi1ELi1ELb1ELc84ELc85EKPKS1_KPS1_EviT_PT9_S7_lS9_S7_lPT10_S7_li,comdat
	.globl	_ZL37rocblas_syrkx_herkx_restricted_kernelIi19rocblas_complex_numIdELi16ELi32ELi8ELi1ELi1ELb1ELc84ELc85EKPKS1_KPS1_EviT_PT9_S7_lS9_S7_lPT10_S7_li ; -- Begin function _ZL37rocblas_syrkx_herkx_restricted_kernelIi19rocblas_complex_numIdELi16ELi32ELi8ELi1ELi1ELb1ELc84ELc85EKPKS1_KPS1_EviT_PT9_S7_lS9_S7_lPT10_S7_li
	.p2align	8
	.type	_ZL37rocblas_syrkx_herkx_restricted_kernelIi19rocblas_complex_numIdELi16ELi32ELi8ELi1ELi1ELb1ELc84ELc85EKPKS1_KPS1_EviT_PT9_S7_lS9_S7_lPT10_S7_li,@function
_ZL37rocblas_syrkx_herkx_restricted_kernelIi19rocblas_complex_numIdELi16ELi32ELi8ELi1ELi1ELb1ELc84ELc85EKPKS1_KPS1_EviT_PT9_S7_lS9_S7_lPT10_S7_li: ; @_ZL37rocblas_syrkx_herkx_restricted_kernelIi19rocblas_complex_numIdELi16ELi32ELi8ELi1ELi1ELb1ELc84ELc85EKPKS1_KPS1_EviT_PT9_S7_lS9_S7_lPT10_S7_li
; %bb.0:
	s_load_dwordx2 s[10:11], s[4:5], 0x38
	s_load_dwordx2 s[2:3], s[4:5], 0x0
	s_mov_b32 s9, 0
	s_lshl_b64 s[0:1], s[8:9], 3
	s_waitcnt lgkmcnt(0)
	s_add_u32 s10, s10, s0
	s_addc_u32 s11, s11, s1
	s_load_dwordx2 s[10:11], s[10:11], 0x0
	s_lshl_b32 s6, s6, 5
	s_lshl_b32 s7, s7, 5
	s_cmp_lt_i32 s3, 1
	s_cbranch_scc1 .LBB852_3
; %bb.1:
	s_load_dwordx2 s[12:13], s[4:5], 0x8
	s_load_dword s8, s[4:5], 0x10
	s_load_dwordx2 s[14:15], s[4:5], 0x20
	s_load_dword s16, s[4:5], 0x28
	v_lshl_add_u32 v6, v1, 4, v0
	s_waitcnt lgkmcnt(0)
	s_add_u32 s12, s12, s0
	s_addc_u32 s13, s13, s1
	v_lshrrev_b32_e32 v8, 3, v6
	s_add_u32 s0, s14, s0
	v_add_u32_e32 v4, s7, v8
	v_and_b32_e32 v2, 7, v0
	v_mov_b32_e32 v3, 0
	s_addc_u32 s1, s15, s1
	v_mad_i64_i32 v[4:5], s[14:15], s16, v4, v[2:3]
	v_and_b32_e32 v9, 31, v6
	v_lshlrev_b32_e32 v2, 4, v2
	v_lshrrev_b32_e32 v6, 5, v6
	v_mov_b32_e32 v7, v3
	v_lshlrev_b32_e32 v3, 4, v9
	v_lshl_or_b32 v8, v8, 7, v2
	v_add_u32_e32 v2, s6, v9
	v_lshl_or_b32 v22, v6, 9, v3
	v_mad_i64_i32 v[2:3], s[14:15], s8, v2, v[6:7]
	s_load_dwordx2 s[12:13], s[12:13], 0x0
	v_lshlrev_b64 v[4:5], 4, v[4:5]
	s_load_dwordx2 s[0:1], s[0:1], 0x0
	v_lshlrev_b64 v[2:3], 4, v[2:3]
	v_add_u32_e32 v23, 0x1000, v8
	s_waitcnt lgkmcnt(0)
	v_mov_b32_e32 v6, s13
	v_add_co_u32_e32 v2, vcc, s12, v2
	v_addc_co_u32_e32 v3, vcc, v6, v3, vcc
	v_mov_b32_e32 v6, s1
	v_add_co_u32_e32 v4, vcc, s0, v4
	v_mov_b32_e32 v25, 0x1000
	v_addc_co_u32_e32 v5, vcc, v6, v5, vcc
	v_mov_b32_e32 v10, 0
	v_mov_b32_e32 v12, 0
	;; [unrolled: 1-line block ×8, first 2 shown]
	v_lshlrev_b32_e32 v24, 4, v0
	v_mov_b32_e32 v11, 0
	v_mov_b32_e32 v13, 0
	;; [unrolled: 1-line block ×8, first 2 shown]
	v_lshl_add_u32 v25, v1, 7, v25
.LBB852_2:                              ; =>This Inner Loop Header: Depth=1
	flat_load_dwordx4 v[26:29], v[2:3]
	v_add_co_u32_e32 v2, vcc, 0x80, v2
	v_addc_co_u32_e32 v3, vcc, 0, v3, vcc
	s_add_i32 s9, s9, 8
	s_cmp_ge_i32 s9, s3
	s_waitcnt vmcnt(0) lgkmcnt(0)
	ds_write_b128 v22, v[26:29]
	flat_load_dwordx4 v[26:29], v[4:5]
	v_add_co_u32_e32 v4, vcc, 0x80, v4
	v_addc_co_u32_e32 v5, vcc, 0, v5, vcc
	s_waitcnt vmcnt(0) lgkmcnt(0)
	ds_write_b128 v23, v[26:29]
	s_waitcnt lgkmcnt(0)
	s_barrier
	ds_read_b128 v[26:29], v25
	ds_read_b128 v[30:33], v25 offset:16
	ds_read_b128 v[34:37], v25 offset:32
	;; [unrolled: 1-line block ×3, first 2 shown]
	ds_read_b128 v[42:45], v24
	s_waitcnt lgkmcnt(0)
	v_mul_f64 v[46:47], v[28:29], v[44:45]
	v_mul_f64 v[48:49], v[26:27], v[44:45]
	v_fma_f64 v[46:47], v[26:27], v[42:43], -v[46:47]
	v_fma_f64 v[48:49], v[28:29], v[42:43], v[48:49]
	v_add_f64 v[14:15], v[14:15], v[46:47]
	v_add_f64 v[20:21], v[48:49], v[20:21]
	ds_read_b128 v[46:49], v24 offset:256
	s_waitcnt lgkmcnt(0)
	v_mul_f64 v[50:51], v[28:29], v[48:49]
	v_fma_f64 v[50:51], v[26:27], v[46:47], -v[50:51]
	v_mul_f64 v[26:27], v[26:27], v[48:49]
	v_fma_f64 v[26:27], v[28:29], v[46:47], v[26:27]
	v_add_f64 v[28:29], v[6:7], v[50:51]
	v_add_f64 v[26:27], v[26:27], v[8:9]
	ds_read_b128 v[6:9], v25 offset:2048
	s_waitcnt lgkmcnt(0)
	v_mul_f64 v[50:51], v[8:9], v[44:45]
	v_mul_f64 v[44:45], v[6:7], v[44:45]
	v_fma_f64 v[50:51], v[6:7], v[42:43], -v[50:51]
	v_fma_f64 v[42:43], v[8:9], v[42:43], v[44:45]
	v_add_f64 v[44:45], v[16:17], v[50:51]
	v_mul_f64 v[16:17], v[8:9], v[48:49]
	v_add_f64 v[18:19], v[42:43], v[18:19]
	v_fma_f64 v[16:17], v[6:7], v[46:47], -v[16:17]
	v_mul_f64 v[6:7], v[6:7], v[48:49]
	v_add_f64 v[42:43], v[12:13], v[16:17]
	v_fma_f64 v[6:7], v[8:9], v[46:47], v[6:7]
	v_add_f64 v[46:47], v[6:7], v[10:11]
	ds_read_b128 v[6:9], v24 offset:512
	s_waitcnt lgkmcnt(0)
	v_mul_f64 v[10:11], v[32:33], v[8:9]
	v_mul_f64 v[12:13], v[30:31], v[8:9]
	v_fma_f64 v[10:11], v[30:31], v[6:7], -v[10:11]
	v_fma_f64 v[12:13], v[32:33], v[6:7], v[12:13]
	v_add_f64 v[48:49], v[14:15], v[10:11]
	v_add_f64 v[20:21], v[12:13], v[20:21]
	ds_read_b128 v[10:13], v24 offset:768
	s_waitcnt lgkmcnt(0)
	v_mul_f64 v[14:15], v[32:33], v[12:13]
	v_mul_f64 v[16:17], v[30:31], v[12:13]
	v_fma_f64 v[14:15], v[30:31], v[10:11], -v[14:15]
	v_fma_f64 v[16:17], v[32:33], v[10:11], v[16:17]
	v_add_f64 v[28:29], v[28:29], v[14:15]
	v_add_f64 v[26:27], v[16:17], v[26:27]
	ds_read_b128 v[14:17], v25 offset:2064
	s_waitcnt lgkmcnt(0)
	v_mul_f64 v[30:31], v[16:17], v[8:9]
	v_mul_f64 v[8:9], v[14:15], v[8:9]
	v_fma_f64 v[30:31], v[14:15], v[6:7], -v[30:31]
	v_fma_f64 v[6:7], v[16:17], v[6:7], v[8:9]
	v_mul_f64 v[8:9], v[14:15], v[12:13]
	v_add_f64 v[30:31], v[44:45], v[30:31]
	v_add_f64 v[18:19], v[6:7], v[18:19]
	v_mul_f64 v[6:7], v[16:17], v[12:13]
	v_fma_f64 v[8:9], v[16:17], v[10:11], v[8:9]
	v_fma_f64 v[6:7], v[14:15], v[10:11], -v[6:7]
	v_add_f64 v[32:33], v[42:43], v[6:7]
	v_add_f64 v[42:43], v[8:9], v[46:47]
	ds_read_b128 v[6:9], v24 offset:1024
	s_waitcnt lgkmcnt(0)
	v_mul_f64 v[10:11], v[36:37], v[8:9]
	v_mul_f64 v[12:13], v[34:35], v[8:9]
	v_fma_f64 v[10:11], v[34:35], v[6:7], -v[10:11]
	v_fma_f64 v[12:13], v[36:37], v[6:7], v[12:13]
	v_add_f64 v[44:45], v[48:49], v[10:11]
	v_add_f64 v[20:21], v[12:13], v[20:21]
	ds_read_b128 v[10:13], v24 offset:1280
	s_waitcnt lgkmcnt(0)
	v_mul_f64 v[14:15], v[36:37], v[12:13]
	v_mul_f64 v[16:17], v[34:35], v[12:13]
	v_fma_f64 v[14:15], v[34:35], v[10:11], -v[14:15]
	v_fma_f64 v[16:17], v[36:37], v[10:11], v[16:17]
	v_add_f64 v[28:29], v[28:29], v[14:15]
	v_add_f64 v[26:27], v[16:17], v[26:27]
	ds_read_b128 v[14:17], v25 offset:2080
	s_waitcnt lgkmcnt(0)
	v_mul_f64 v[34:35], v[16:17], v[8:9]
	v_mul_f64 v[8:9], v[14:15], v[8:9]
	v_fma_f64 v[34:35], v[14:15], v[6:7], -v[34:35]
	v_fma_f64 v[6:7], v[16:17], v[6:7], v[8:9]
	v_mul_f64 v[8:9], v[14:15], v[12:13]
	v_add_f64 v[30:31], v[30:31], v[34:35]
	v_add_f64 v[18:19], v[6:7], v[18:19]
	v_mul_f64 v[6:7], v[16:17], v[12:13]
	v_fma_f64 v[8:9], v[16:17], v[10:11], v[8:9]
	v_fma_f64 v[6:7], v[14:15], v[10:11], -v[6:7]
	v_add_f64 v[34:35], v[8:9], v[42:43]
	;; [unrolled: 30-line block ×3, first 2 shown]
	v_add_f64 v[32:33], v[32:33], v[6:7]
	ds_read_b128 v[6:9], v25 offset:64
	ds_read_b128 v[10:13], v24 offset:2048
	s_waitcnt lgkmcnt(0)
	v_mul_f64 v[14:15], v[8:9], v[12:13]
	v_mul_f64 v[16:17], v[6:7], v[12:13]
	v_fma_f64 v[14:15], v[6:7], v[10:11], -v[14:15]
	v_fma_f64 v[16:17], v[8:9], v[10:11], v[16:17]
	v_add_f64 v[36:37], v[36:37], v[14:15]
	v_add_f64 v[20:21], v[16:17], v[20:21]
	ds_read_b128 v[14:17], v24 offset:2304
	s_waitcnt lgkmcnt(0)
	v_mul_f64 v[38:39], v[8:9], v[16:17]
	v_fma_f64 v[38:39], v[6:7], v[14:15], -v[38:39]
	v_mul_f64 v[6:7], v[6:7], v[16:17]
	v_add_f64 v[28:29], v[28:29], v[38:39]
	v_fma_f64 v[6:7], v[8:9], v[14:15], v[6:7]
	v_add_f64 v[26:27], v[6:7], v[26:27]
	ds_read_b128 v[6:9], v25 offset:2112
	s_waitcnt lgkmcnt(0)
	v_mul_f64 v[38:39], v[8:9], v[12:13]
	v_mul_f64 v[12:13], v[6:7], v[12:13]
	v_fma_f64 v[38:39], v[6:7], v[10:11], -v[38:39]
	v_fma_f64 v[10:11], v[8:9], v[10:11], v[12:13]
	v_add_f64 v[30:31], v[30:31], v[38:39]
	v_add_f64 v[18:19], v[10:11], v[18:19]
	v_mul_f64 v[10:11], v[8:9], v[16:17]
	v_fma_f64 v[10:11], v[6:7], v[14:15], -v[10:11]
	v_mul_f64 v[6:7], v[6:7], v[16:17]
	v_add_f64 v[32:33], v[32:33], v[10:11]
	v_fma_f64 v[6:7], v[8:9], v[14:15], v[6:7]
	v_add_f64 v[34:35], v[6:7], v[34:35]
	ds_read_b128 v[6:9], v25 offset:80
	ds_read_b128 v[10:13], v24 offset:2560
	s_waitcnt lgkmcnt(0)
	v_mul_f64 v[14:15], v[8:9], v[12:13]
	v_mul_f64 v[16:17], v[6:7], v[12:13]
	v_fma_f64 v[14:15], v[6:7], v[10:11], -v[14:15]
	v_fma_f64 v[16:17], v[8:9], v[10:11], v[16:17]
	v_add_f64 v[36:37], v[36:37], v[14:15]
	v_add_f64 v[20:21], v[16:17], v[20:21]
	ds_read_b128 v[14:17], v24 offset:2816
	s_waitcnt lgkmcnt(0)
	v_mul_f64 v[38:39], v[8:9], v[16:17]
	v_fma_f64 v[38:39], v[6:7], v[14:15], -v[38:39]
	v_mul_f64 v[6:7], v[6:7], v[16:17]
	v_add_f64 v[28:29], v[28:29], v[38:39]
	v_fma_f64 v[6:7], v[8:9], v[14:15], v[6:7]
	v_add_f64 v[26:27], v[6:7], v[26:27]
	ds_read_b128 v[6:9], v25 offset:2128
	s_waitcnt lgkmcnt(0)
	v_mul_f64 v[38:39], v[8:9], v[12:13]
	v_mul_f64 v[12:13], v[6:7], v[12:13]
	v_fma_f64 v[38:39], v[6:7], v[10:11], -v[38:39]
	v_fma_f64 v[10:11], v[8:9], v[10:11], v[12:13]
	v_add_f64 v[30:31], v[30:31], v[38:39]
	v_add_f64 v[18:19], v[10:11], v[18:19]
	v_mul_f64 v[10:11], v[8:9], v[16:17]
	v_fma_f64 v[10:11], v[6:7], v[14:15], -v[10:11]
	v_mul_f64 v[6:7], v[6:7], v[16:17]
	v_add_f64 v[32:33], v[32:33], v[10:11]
	v_fma_f64 v[6:7], v[8:9], v[14:15], v[6:7]
	;; [unrolled: 31-line block ×3, first 2 shown]
	v_add_f64 v[34:35], v[6:7], v[34:35]
	ds_read_b128 v[6:9], v25 offset:112
	ds_read_b128 v[10:13], v24 offset:3584
	;; [unrolled: 1-line block ×4, first 2 shown]
	s_waitcnt lgkmcnt(0)
	s_barrier
	v_mul_f64 v[16:17], v[6:7], v[12:13]
	v_mul_f64 v[14:15], v[8:9], v[12:13]
	v_fma_f64 v[16:17], v[8:9], v[10:11], v[16:17]
	v_fma_f64 v[14:15], v[6:7], v[10:11], -v[14:15]
	v_add_f64 v[20:21], v[16:17], v[20:21]
	v_mul_f64 v[16:17], v[8:9], v[28:29]
	v_add_f64 v[14:15], v[36:37], v[14:15]
	v_fma_f64 v[16:17], v[6:7], v[26:27], -v[16:17]
	v_mul_f64 v[6:7], v[6:7], v[28:29]
	v_fma_f64 v[8:9], v[8:9], v[26:27], v[6:7]
	v_add_f64 v[6:7], v[38:39], v[16:17]
	v_mul_f64 v[16:17], v[32:33], v[12:13]
	v_mul_f64 v[12:13], v[30:31], v[12:13]
	v_add_f64 v[8:9], v[8:9], v[40:41]
	v_fma_f64 v[16:17], v[30:31], v[10:11], -v[16:17]
	v_fma_f64 v[10:11], v[32:33], v[10:11], v[12:13]
	v_mul_f64 v[12:13], v[30:31], v[28:29]
	v_add_f64 v[16:17], v[42:43], v[16:17]
	v_add_f64 v[18:19], v[10:11], v[18:19]
	v_mul_f64 v[10:11], v[32:33], v[28:29]
	v_fma_f64 v[10:11], v[30:31], v[26:27], -v[10:11]
	v_fma_f64 v[26:27], v[32:33], v[26:27], v[12:13]
	v_add_f64 v[12:13], v[44:45], v[10:11]
	v_add_f64 v[10:11], v[26:27], v[34:35]
	s_cbranch_scc0 .LBB852_2
	s_branch .LBB852_4
.LBB852_3:
	v_mov_b32_e32 v14, 0
	v_mov_b32_e32 v20, 0
	;; [unrolled: 1-line block ×16, first 2 shown]
.LBB852_4:
	s_load_dword s3, s[4:5], 0x40
	v_add_u32_e32 v4, s7, v1
	s_waitcnt lgkmcnt(0)
	v_mov_b32_e32 v3, s11
	v_add_u32_e32 v0, s6, v0
	v_cmp_gt_i32_e32 vcc, s2, v4
	v_mad_i64_i32 v[1:2], s[0:1], v4, s3, 0
	v_lshlrev_b64 v[1:2], 4, v[1:2]
	v_add_co_u32_e64 v5, s[0:1], s10, v1
	v_addc_co_u32_e64 v22, s[0:1], v3, v2, s[0:1]
	v_cmp_le_i32_e64 s[0:1], v0, v4
	s_and_b64 s[0:1], vcc, s[0:1]
	s_and_saveexec_b64 s[4:5], s[0:1]
	s_cbranch_execz .LBB852_6
; %bb.5:
	v_ashrrev_i32_e32 v1, 31, v0
	v_lshlrev_b64 v[1:2], 4, v[0:1]
	v_add_co_u32_e64 v1, s[0:1], v5, v1
	v_addc_co_u32_e64 v2, s[0:1], v22, v2, s[0:1]
	flat_load_dwordx4 v[23:26], v[1:2]
	v_cmp_ne_u32_e64 s[0:1], v4, v0
	s_waitcnt vmcnt(0) lgkmcnt(0)
	v_add_f64 v[20:21], v[20:21], v[25:26]
	v_add_f64 v[23:24], v[14:15], v[23:24]
	v_cndmask_b32_e64 v26, 0, v21, s[0:1]
	v_cndmask_b32_e64 v25, 0, v20, s[0:1]
	flat_store_dwordx4 v[1:2], v[23:26]
.LBB852_6:
	s_or_b64 exec, exec, s[4:5]
	v_add_u32_e32 v2, 16, v0
	v_cmp_le_i32_e64 s[0:1], v2, v4
	s_and_b64 s[4:5], vcc, s[0:1]
	s_and_saveexec_b64 s[0:1], s[4:5]
	s_cbranch_execz .LBB852_8
; %bb.7:
	v_ashrrev_i32_e32 v3, 31, v2
	v_lshlrev_b64 v[14:15], 4, v[2:3]
	v_add_co_u32_e32 v14, vcc, v5, v14
	v_addc_co_u32_e32 v15, vcc, v22, v15, vcc
	flat_load_dwordx4 v[20:23], v[14:15]
	v_cmp_ne_u32_e32 vcc, v4, v2
	s_waitcnt vmcnt(0) lgkmcnt(0)
	v_add_f64 v[22:23], v[8:9], v[22:23]
	v_add_f64 v[5:6], v[6:7], v[20:21]
	v_cndmask_b32_e32 v8, 0, v23, vcc
	v_cndmask_b32_e32 v7, 0, v22, vcc
	flat_store_dwordx4 v[14:15], v[5:8]
.LBB852_8:
	s_or_b64 exec, exec, s[0:1]
	v_add_u32_e32 v3, 16, v4
	v_mad_i64_i32 v[5:6], s[0:1], v3, s3, 0
	v_mov_b32_e32 v1, s11
	v_cmp_gt_i32_e32 vcc, s2, v3
	v_lshlrev_b64 v[5:6], 4, v[5:6]
	v_add_co_u32_e64 v5, s[0:1], s10, v5
	v_addc_co_u32_e64 v6, s[0:1], v1, v6, s[0:1]
	v_cmp_le_i32_e64 s[0:1], v0, v3
	s_and_b64 s[0:1], vcc, s[0:1]
	s_and_saveexec_b64 s[2:3], s[0:1]
	s_cbranch_execz .LBB852_10
; %bb.9:
	v_ashrrev_i32_e32 v1, 31, v0
	v_lshlrev_b64 v[7:8], 4, v[0:1]
	v_add_co_u32_e64 v7, s[0:1], v5, v7
	v_addc_co_u32_e64 v8, s[0:1], v6, v8, s[0:1]
	flat_load_dwordx4 v[20:23], v[7:8]
	v_cmp_ne_u32_e64 s[0:1], v3, v0
	s_waitcnt vmcnt(0) lgkmcnt(0)
	v_add_f64 v[18:19], v[18:19], v[22:23]
	v_add_f64 v[14:15], v[16:17], v[20:21]
	v_cndmask_b32_e64 v17, 0, v19, s[0:1]
	v_cndmask_b32_e64 v16, 0, v18, s[0:1]
	flat_store_dwordx4 v[7:8], v[14:17]
.LBB852_10:
	s_or_b64 exec, exec, s[2:3]
	v_cmp_le_i32_e64 s[0:1], v2, v3
	s_and_b64 s[0:1], vcc, s[0:1]
	s_and_saveexec_b64 s[2:3], s[0:1]
	s_cbranch_execz .LBB852_12
; %bb.11:
	v_ashrrev_i32_e32 v3, 31, v2
	v_lshlrev_b64 v[1:2], 4, v[2:3]
	v_add_co_u32_e32 v14, vcc, v5, v1
	v_addc_co_u32_e32 v15, vcc, v6, v2, vcc
	flat_load_dwordx4 v[5:8], v[14:15]
	v_cmp_ne_u32_e32 vcc, v4, v0
	s_waitcnt vmcnt(0) lgkmcnt(0)
	v_add_f64 v[7:8], v[10:11], v[7:8]
	v_add_f64 v[1:2], v[12:13], v[5:6]
	v_cndmask_b32_e32 v4, 0, v8, vcc
	v_cndmask_b32_e32 v3, 0, v7, vcc
	flat_store_dwordx4 v[14:15], v[1:4]
.LBB852_12:
	s_endpgm
	.section	.rodata,"a",@progbits
	.p2align	6, 0x0
	.amdhsa_kernel _ZL37rocblas_syrkx_herkx_restricted_kernelIi19rocblas_complex_numIdELi16ELi32ELi8ELi1ELi1ELb1ELc84ELc85EKPKS1_KPS1_EviT_PT9_S7_lS9_S7_lPT10_S7_li
		.amdhsa_group_segment_fixed_size 8192
		.amdhsa_private_segment_fixed_size 0
		.amdhsa_kernarg_size 84
		.amdhsa_user_sgpr_count 6
		.amdhsa_user_sgpr_private_segment_buffer 1
		.amdhsa_user_sgpr_dispatch_ptr 0
		.amdhsa_user_sgpr_queue_ptr 0
		.amdhsa_user_sgpr_kernarg_segment_ptr 1
		.amdhsa_user_sgpr_dispatch_id 0
		.amdhsa_user_sgpr_flat_scratch_init 0
		.amdhsa_user_sgpr_private_segment_size 0
		.amdhsa_uses_dynamic_stack 0
		.amdhsa_system_sgpr_private_segment_wavefront_offset 0
		.amdhsa_system_sgpr_workgroup_id_x 1
		.amdhsa_system_sgpr_workgroup_id_y 1
		.amdhsa_system_sgpr_workgroup_id_z 1
		.amdhsa_system_sgpr_workgroup_info 0
		.amdhsa_system_vgpr_workitem_id 1
		.amdhsa_next_free_vgpr 52
		.amdhsa_next_free_sgpr 61
		.amdhsa_reserve_vcc 1
		.amdhsa_reserve_flat_scratch 0
		.amdhsa_float_round_mode_32 0
		.amdhsa_float_round_mode_16_64 0
		.amdhsa_float_denorm_mode_32 3
		.amdhsa_float_denorm_mode_16_64 3
		.amdhsa_dx10_clamp 1
		.amdhsa_ieee_mode 1
		.amdhsa_fp16_overflow 0
		.amdhsa_exception_fp_ieee_invalid_op 0
		.amdhsa_exception_fp_denorm_src 0
		.amdhsa_exception_fp_ieee_div_zero 0
		.amdhsa_exception_fp_ieee_overflow 0
		.amdhsa_exception_fp_ieee_underflow 0
		.amdhsa_exception_fp_ieee_inexact 0
		.amdhsa_exception_int_div_zero 0
	.end_amdhsa_kernel
	.section	.text._ZL37rocblas_syrkx_herkx_restricted_kernelIi19rocblas_complex_numIdELi16ELi32ELi8ELi1ELi1ELb1ELc84ELc85EKPKS1_KPS1_EviT_PT9_S7_lS9_S7_lPT10_S7_li,"axG",@progbits,_ZL37rocblas_syrkx_herkx_restricted_kernelIi19rocblas_complex_numIdELi16ELi32ELi8ELi1ELi1ELb1ELc84ELc85EKPKS1_KPS1_EviT_PT9_S7_lS9_S7_lPT10_S7_li,comdat
.Lfunc_end852:
	.size	_ZL37rocblas_syrkx_herkx_restricted_kernelIi19rocblas_complex_numIdELi16ELi32ELi8ELi1ELi1ELb1ELc84ELc85EKPKS1_KPS1_EviT_PT9_S7_lS9_S7_lPT10_S7_li, .Lfunc_end852-_ZL37rocblas_syrkx_herkx_restricted_kernelIi19rocblas_complex_numIdELi16ELi32ELi8ELi1ELi1ELb1ELc84ELc85EKPKS1_KPS1_EviT_PT9_S7_lS9_S7_lPT10_S7_li
                                        ; -- End function
	.set _ZL37rocblas_syrkx_herkx_restricted_kernelIi19rocblas_complex_numIdELi16ELi32ELi8ELi1ELi1ELb1ELc84ELc85EKPKS1_KPS1_EviT_PT9_S7_lS9_S7_lPT10_S7_li.num_vgpr, 52
	.set _ZL37rocblas_syrkx_herkx_restricted_kernelIi19rocblas_complex_numIdELi16ELi32ELi8ELi1ELi1ELb1ELc84ELc85EKPKS1_KPS1_EviT_PT9_S7_lS9_S7_lPT10_S7_li.num_agpr, 0
	.set _ZL37rocblas_syrkx_herkx_restricted_kernelIi19rocblas_complex_numIdELi16ELi32ELi8ELi1ELi1ELb1ELc84ELc85EKPKS1_KPS1_EviT_PT9_S7_lS9_S7_lPT10_S7_li.numbered_sgpr, 17
	.set _ZL37rocblas_syrkx_herkx_restricted_kernelIi19rocblas_complex_numIdELi16ELi32ELi8ELi1ELi1ELb1ELc84ELc85EKPKS1_KPS1_EviT_PT9_S7_lS9_S7_lPT10_S7_li.num_named_barrier, 0
	.set _ZL37rocblas_syrkx_herkx_restricted_kernelIi19rocblas_complex_numIdELi16ELi32ELi8ELi1ELi1ELb1ELc84ELc85EKPKS1_KPS1_EviT_PT9_S7_lS9_S7_lPT10_S7_li.private_seg_size, 0
	.set _ZL37rocblas_syrkx_herkx_restricted_kernelIi19rocblas_complex_numIdELi16ELi32ELi8ELi1ELi1ELb1ELc84ELc85EKPKS1_KPS1_EviT_PT9_S7_lS9_S7_lPT10_S7_li.uses_vcc, 1
	.set _ZL37rocblas_syrkx_herkx_restricted_kernelIi19rocblas_complex_numIdELi16ELi32ELi8ELi1ELi1ELb1ELc84ELc85EKPKS1_KPS1_EviT_PT9_S7_lS9_S7_lPT10_S7_li.uses_flat_scratch, 0
	.set _ZL37rocblas_syrkx_herkx_restricted_kernelIi19rocblas_complex_numIdELi16ELi32ELi8ELi1ELi1ELb1ELc84ELc85EKPKS1_KPS1_EviT_PT9_S7_lS9_S7_lPT10_S7_li.has_dyn_sized_stack, 0
	.set _ZL37rocblas_syrkx_herkx_restricted_kernelIi19rocblas_complex_numIdELi16ELi32ELi8ELi1ELi1ELb1ELc84ELc85EKPKS1_KPS1_EviT_PT9_S7_lS9_S7_lPT10_S7_li.has_recursion, 0
	.set _ZL37rocblas_syrkx_herkx_restricted_kernelIi19rocblas_complex_numIdELi16ELi32ELi8ELi1ELi1ELb1ELc84ELc85EKPKS1_KPS1_EviT_PT9_S7_lS9_S7_lPT10_S7_li.has_indirect_call, 0
	.section	.AMDGPU.csdata,"",@progbits
; Kernel info:
; codeLenInByte = 2896
; TotalNumSgprs: 21
; NumVgprs: 52
; ScratchSize: 0
; MemoryBound: 0
; FloatMode: 240
; IeeeMode: 1
; LDSByteSize: 8192 bytes/workgroup (compile time only)
; SGPRBlocks: 8
; VGPRBlocks: 12
; NumSGPRsForWavesPerEU: 65
; NumVGPRsForWavesPerEU: 52
; Occupancy: 4
; WaveLimiterHint : 1
; COMPUTE_PGM_RSRC2:SCRATCH_EN: 0
; COMPUTE_PGM_RSRC2:USER_SGPR: 6
; COMPUTE_PGM_RSRC2:TRAP_HANDLER: 0
; COMPUTE_PGM_RSRC2:TGID_X_EN: 1
; COMPUTE_PGM_RSRC2:TGID_Y_EN: 1
; COMPUTE_PGM_RSRC2:TGID_Z_EN: 1
; COMPUTE_PGM_RSRC2:TIDIG_COMP_CNT: 1
	.section	.text._ZL37rocblas_syrkx_herkx_restricted_kernelIi19rocblas_complex_numIdELi16ELi32ELi8ELi1ELi1ELb1ELc67ELc85EKPKS1_KPS1_EviT_PT9_S7_lS9_S7_lPT10_S7_li,"axG",@progbits,_ZL37rocblas_syrkx_herkx_restricted_kernelIi19rocblas_complex_numIdELi16ELi32ELi8ELi1ELi1ELb1ELc67ELc85EKPKS1_KPS1_EviT_PT9_S7_lS9_S7_lPT10_S7_li,comdat
	.globl	_ZL37rocblas_syrkx_herkx_restricted_kernelIi19rocblas_complex_numIdELi16ELi32ELi8ELi1ELi1ELb1ELc67ELc85EKPKS1_KPS1_EviT_PT9_S7_lS9_S7_lPT10_S7_li ; -- Begin function _ZL37rocblas_syrkx_herkx_restricted_kernelIi19rocblas_complex_numIdELi16ELi32ELi8ELi1ELi1ELb1ELc67ELc85EKPKS1_KPS1_EviT_PT9_S7_lS9_S7_lPT10_S7_li
	.p2align	8
	.type	_ZL37rocblas_syrkx_herkx_restricted_kernelIi19rocblas_complex_numIdELi16ELi32ELi8ELi1ELi1ELb1ELc67ELc85EKPKS1_KPS1_EviT_PT9_S7_lS9_S7_lPT10_S7_li,@function
_ZL37rocblas_syrkx_herkx_restricted_kernelIi19rocblas_complex_numIdELi16ELi32ELi8ELi1ELi1ELb1ELc67ELc85EKPKS1_KPS1_EviT_PT9_S7_lS9_S7_lPT10_S7_li: ; @_ZL37rocblas_syrkx_herkx_restricted_kernelIi19rocblas_complex_numIdELi16ELi32ELi8ELi1ELi1ELb1ELc67ELc85EKPKS1_KPS1_EviT_PT9_S7_lS9_S7_lPT10_S7_li
; %bb.0:
	s_load_dwordx2 s[10:11], s[4:5], 0x38
	s_load_dwordx2 s[2:3], s[4:5], 0x0
	s_mov_b32 s9, 0
	s_lshl_b64 s[0:1], s[8:9], 3
	s_waitcnt lgkmcnt(0)
	s_add_u32 s10, s10, s0
	s_addc_u32 s11, s11, s1
	s_load_dwordx2 s[10:11], s[10:11], 0x0
	s_lshl_b32 s6, s6, 5
	s_lshl_b32 s7, s7, 5
	s_cmp_lt_i32 s3, 1
	s_cbranch_scc1 .LBB853_3
; %bb.1:
	s_load_dwordx2 s[12:13], s[4:5], 0x8
	s_load_dword s8, s[4:5], 0x10
	s_load_dwordx2 s[14:15], s[4:5], 0x20
	s_load_dword s16, s[4:5], 0x28
	v_lshl_add_u32 v6, v1, 4, v0
	s_waitcnt lgkmcnt(0)
	s_add_u32 s12, s12, s0
	s_addc_u32 s13, s13, s1
	v_lshrrev_b32_e32 v8, 3, v6
	s_add_u32 s0, s14, s0
	v_add_u32_e32 v4, s7, v8
	v_and_b32_e32 v2, 7, v0
	v_mov_b32_e32 v3, 0
	s_addc_u32 s1, s15, s1
	v_mad_i64_i32 v[4:5], s[14:15], s16, v4, v[2:3]
	v_and_b32_e32 v9, 31, v6
	v_lshlrev_b32_e32 v2, 4, v2
	v_lshrrev_b32_e32 v6, 5, v6
	v_mov_b32_e32 v7, v3
	v_lshlrev_b32_e32 v3, 4, v9
	v_lshl_or_b32 v8, v8, 7, v2
	v_add_u32_e32 v2, s6, v9
	v_lshl_or_b32 v22, v6, 9, v3
	v_mad_i64_i32 v[2:3], s[14:15], s8, v2, v[6:7]
	s_load_dwordx2 s[12:13], s[12:13], 0x0
	v_lshlrev_b64 v[4:5], 4, v[4:5]
	s_load_dwordx2 s[0:1], s[0:1], 0x0
	v_lshlrev_b64 v[2:3], 4, v[2:3]
	v_add_u32_e32 v23, 0x1000, v8
	s_waitcnt lgkmcnt(0)
	v_mov_b32_e32 v6, s13
	v_add_co_u32_e32 v2, vcc, s12, v2
	v_addc_co_u32_e32 v3, vcc, v6, v3, vcc
	v_mov_b32_e32 v6, s1
	v_add_co_u32_e32 v4, vcc, s0, v4
	v_mov_b32_e32 v25, 0x1000
	v_addc_co_u32_e32 v5, vcc, v6, v5, vcc
	v_mov_b32_e32 v10, 0
	v_mov_b32_e32 v12, 0
	;; [unrolled: 1-line block ×8, first 2 shown]
	v_lshlrev_b32_e32 v24, 4, v0
	v_mov_b32_e32 v11, 0
	v_mov_b32_e32 v13, 0
	;; [unrolled: 1-line block ×8, first 2 shown]
	v_lshl_add_u32 v25, v1, 7, v25
.LBB853_2:                              ; =>This Inner Loop Header: Depth=1
	flat_load_dwordx4 v[26:29], v[2:3]
	v_add_co_u32_e32 v2, vcc, 0x80, v2
	v_addc_co_u32_e32 v3, vcc, 0, v3, vcc
	s_add_i32 s9, s9, 8
	s_cmp_ge_i32 s9, s3
	s_waitcnt vmcnt(0) lgkmcnt(0)
	v_xor_b32_e32 v29, 0x80000000, v29
	ds_write_b128 v22, v[26:29]
	flat_load_dwordx4 v[26:29], v[4:5]
	v_add_co_u32_e32 v4, vcc, 0x80, v4
	v_addc_co_u32_e32 v5, vcc, 0, v5, vcc
	s_waitcnt vmcnt(0) lgkmcnt(0)
	ds_write_b128 v23, v[26:29]
	s_waitcnt lgkmcnt(0)
	s_barrier
	ds_read_b128 v[26:29], v25
	ds_read_b128 v[30:33], v25 offset:16
	ds_read_b128 v[34:37], v25 offset:32
	;; [unrolled: 1-line block ×3, first 2 shown]
	ds_read_b128 v[42:45], v24
	s_waitcnt lgkmcnt(0)
	v_mul_f64 v[46:47], v[28:29], v[44:45]
	v_mul_f64 v[48:49], v[26:27], v[44:45]
	v_fma_f64 v[46:47], v[26:27], v[42:43], -v[46:47]
	v_fma_f64 v[48:49], v[28:29], v[42:43], v[48:49]
	v_add_f64 v[14:15], v[14:15], v[46:47]
	v_add_f64 v[20:21], v[48:49], v[20:21]
	ds_read_b128 v[46:49], v24 offset:256
	s_waitcnt lgkmcnt(0)
	v_mul_f64 v[50:51], v[28:29], v[48:49]
	v_fma_f64 v[50:51], v[26:27], v[46:47], -v[50:51]
	v_mul_f64 v[26:27], v[26:27], v[48:49]
	v_fma_f64 v[26:27], v[28:29], v[46:47], v[26:27]
	v_add_f64 v[28:29], v[6:7], v[50:51]
	v_add_f64 v[26:27], v[26:27], v[8:9]
	ds_read_b128 v[6:9], v25 offset:2048
	s_waitcnt lgkmcnt(0)
	v_mul_f64 v[50:51], v[8:9], v[44:45]
	v_mul_f64 v[44:45], v[6:7], v[44:45]
	v_fma_f64 v[50:51], v[6:7], v[42:43], -v[50:51]
	v_fma_f64 v[42:43], v[8:9], v[42:43], v[44:45]
	v_add_f64 v[44:45], v[16:17], v[50:51]
	v_mul_f64 v[16:17], v[8:9], v[48:49]
	v_add_f64 v[18:19], v[42:43], v[18:19]
	v_fma_f64 v[16:17], v[6:7], v[46:47], -v[16:17]
	v_mul_f64 v[6:7], v[6:7], v[48:49]
	v_add_f64 v[42:43], v[12:13], v[16:17]
	v_fma_f64 v[6:7], v[8:9], v[46:47], v[6:7]
	v_add_f64 v[46:47], v[6:7], v[10:11]
	ds_read_b128 v[6:9], v24 offset:512
	s_waitcnt lgkmcnt(0)
	v_mul_f64 v[10:11], v[32:33], v[8:9]
	v_mul_f64 v[12:13], v[30:31], v[8:9]
	v_fma_f64 v[10:11], v[30:31], v[6:7], -v[10:11]
	v_fma_f64 v[12:13], v[32:33], v[6:7], v[12:13]
	v_add_f64 v[48:49], v[14:15], v[10:11]
	v_add_f64 v[20:21], v[12:13], v[20:21]
	ds_read_b128 v[10:13], v24 offset:768
	s_waitcnt lgkmcnt(0)
	v_mul_f64 v[14:15], v[32:33], v[12:13]
	v_mul_f64 v[16:17], v[30:31], v[12:13]
	v_fma_f64 v[14:15], v[30:31], v[10:11], -v[14:15]
	v_fma_f64 v[16:17], v[32:33], v[10:11], v[16:17]
	v_add_f64 v[28:29], v[28:29], v[14:15]
	v_add_f64 v[26:27], v[16:17], v[26:27]
	ds_read_b128 v[14:17], v25 offset:2064
	s_waitcnt lgkmcnt(0)
	v_mul_f64 v[30:31], v[16:17], v[8:9]
	v_mul_f64 v[8:9], v[14:15], v[8:9]
	v_fma_f64 v[30:31], v[14:15], v[6:7], -v[30:31]
	v_fma_f64 v[6:7], v[16:17], v[6:7], v[8:9]
	v_mul_f64 v[8:9], v[14:15], v[12:13]
	v_add_f64 v[30:31], v[44:45], v[30:31]
	v_add_f64 v[18:19], v[6:7], v[18:19]
	v_mul_f64 v[6:7], v[16:17], v[12:13]
	v_fma_f64 v[8:9], v[16:17], v[10:11], v[8:9]
	v_fma_f64 v[6:7], v[14:15], v[10:11], -v[6:7]
	v_add_f64 v[32:33], v[42:43], v[6:7]
	v_add_f64 v[42:43], v[8:9], v[46:47]
	ds_read_b128 v[6:9], v24 offset:1024
	s_waitcnt lgkmcnt(0)
	v_mul_f64 v[10:11], v[36:37], v[8:9]
	v_mul_f64 v[12:13], v[34:35], v[8:9]
	v_fma_f64 v[10:11], v[34:35], v[6:7], -v[10:11]
	v_fma_f64 v[12:13], v[36:37], v[6:7], v[12:13]
	v_add_f64 v[44:45], v[48:49], v[10:11]
	v_add_f64 v[20:21], v[12:13], v[20:21]
	ds_read_b128 v[10:13], v24 offset:1280
	s_waitcnt lgkmcnt(0)
	v_mul_f64 v[14:15], v[36:37], v[12:13]
	v_mul_f64 v[16:17], v[34:35], v[12:13]
	v_fma_f64 v[14:15], v[34:35], v[10:11], -v[14:15]
	v_fma_f64 v[16:17], v[36:37], v[10:11], v[16:17]
	v_add_f64 v[28:29], v[28:29], v[14:15]
	v_add_f64 v[26:27], v[16:17], v[26:27]
	ds_read_b128 v[14:17], v25 offset:2080
	s_waitcnt lgkmcnt(0)
	v_mul_f64 v[34:35], v[16:17], v[8:9]
	v_mul_f64 v[8:9], v[14:15], v[8:9]
	v_fma_f64 v[34:35], v[14:15], v[6:7], -v[34:35]
	v_fma_f64 v[6:7], v[16:17], v[6:7], v[8:9]
	v_mul_f64 v[8:9], v[14:15], v[12:13]
	v_add_f64 v[30:31], v[30:31], v[34:35]
	v_add_f64 v[18:19], v[6:7], v[18:19]
	v_mul_f64 v[6:7], v[16:17], v[12:13]
	v_fma_f64 v[8:9], v[16:17], v[10:11], v[8:9]
	v_fma_f64 v[6:7], v[14:15], v[10:11], -v[6:7]
	v_add_f64 v[34:35], v[8:9], v[42:43]
	;; [unrolled: 30-line block ×3, first 2 shown]
	v_add_f64 v[32:33], v[32:33], v[6:7]
	ds_read_b128 v[6:9], v25 offset:64
	ds_read_b128 v[10:13], v24 offset:2048
	s_waitcnt lgkmcnt(0)
	v_mul_f64 v[14:15], v[8:9], v[12:13]
	v_mul_f64 v[16:17], v[6:7], v[12:13]
	v_fma_f64 v[14:15], v[6:7], v[10:11], -v[14:15]
	v_fma_f64 v[16:17], v[8:9], v[10:11], v[16:17]
	v_add_f64 v[36:37], v[36:37], v[14:15]
	v_add_f64 v[20:21], v[16:17], v[20:21]
	ds_read_b128 v[14:17], v24 offset:2304
	s_waitcnt lgkmcnt(0)
	v_mul_f64 v[38:39], v[8:9], v[16:17]
	v_fma_f64 v[38:39], v[6:7], v[14:15], -v[38:39]
	v_mul_f64 v[6:7], v[6:7], v[16:17]
	v_add_f64 v[28:29], v[28:29], v[38:39]
	v_fma_f64 v[6:7], v[8:9], v[14:15], v[6:7]
	v_add_f64 v[26:27], v[6:7], v[26:27]
	ds_read_b128 v[6:9], v25 offset:2112
	s_waitcnt lgkmcnt(0)
	v_mul_f64 v[38:39], v[8:9], v[12:13]
	v_mul_f64 v[12:13], v[6:7], v[12:13]
	v_fma_f64 v[38:39], v[6:7], v[10:11], -v[38:39]
	v_fma_f64 v[10:11], v[8:9], v[10:11], v[12:13]
	v_add_f64 v[30:31], v[30:31], v[38:39]
	v_add_f64 v[18:19], v[10:11], v[18:19]
	v_mul_f64 v[10:11], v[8:9], v[16:17]
	v_fma_f64 v[10:11], v[6:7], v[14:15], -v[10:11]
	v_mul_f64 v[6:7], v[6:7], v[16:17]
	v_add_f64 v[32:33], v[32:33], v[10:11]
	v_fma_f64 v[6:7], v[8:9], v[14:15], v[6:7]
	v_add_f64 v[34:35], v[6:7], v[34:35]
	ds_read_b128 v[6:9], v25 offset:80
	ds_read_b128 v[10:13], v24 offset:2560
	s_waitcnt lgkmcnt(0)
	v_mul_f64 v[14:15], v[8:9], v[12:13]
	v_mul_f64 v[16:17], v[6:7], v[12:13]
	v_fma_f64 v[14:15], v[6:7], v[10:11], -v[14:15]
	v_fma_f64 v[16:17], v[8:9], v[10:11], v[16:17]
	v_add_f64 v[36:37], v[36:37], v[14:15]
	v_add_f64 v[20:21], v[16:17], v[20:21]
	ds_read_b128 v[14:17], v24 offset:2816
	s_waitcnt lgkmcnt(0)
	v_mul_f64 v[38:39], v[8:9], v[16:17]
	v_fma_f64 v[38:39], v[6:7], v[14:15], -v[38:39]
	v_mul_f64 v[6:7], v[6:7], v[16:17]
	v_add_f64 v[28:29], v[28:29], v[38:39]
	v_fma_f64 v[6:7], v[8:9], v[14:15], v[6:7]
	v_add_f64 v[26:27], v[6:7], v[26:27]
	ds_read_b128 v[6:9], v25 offset:2128
	s_waitcnt lgkmcnt(0)
	v_mul_f64 v[38:39], v[8:9], v[12:13]
	v_mul_f64 v[12:13], v[6:7], v[12:13]
	v_fma_f64 v[38:39], v[6:7], v[10:11], -v[38:39]
	v_fma_f64 v[10:11], v[8:9], v[10:11], v[12:13]
	v_add_f64 v[30:31], v[30:31], v[38:39]
	v_add_f64 v[18:19], v[10:11], v[18:19]
	v_mul_f64 v[10:11], v[8:9], v[16:17]
	v_fma_f64 v[10:11], v[6:7], v[14:15], -v[10:11]
	v_mul_f64 v[6:7], v[6:7], v[16:17]
	v_add_f64 v[32:33], v[32:33], v[10:11]
	v_fma_f64 v[6:7], v[8:9], v[14:15], v[6:7]
	;; [unrolled: 31-line block ×3, first 2 shown]
	v_add_f64 v[34:35], v[6:7], v[34:35]
	ds_read_b128 v[6:9], v25 offset:112
	ds_read_b128 v[10:13], v24 offset:3584
	;; [unrolled: 1-line block ×4, first 2 shown]
	s_waitcnt lgkmcnt(0)
	s_barrier
	v_mul_f64 v[16:17], v[6:7], v[12:13]
	v_mul_f64 v[14:15], v[8:9], v[12:13]
	v_fma_f64 v[16:17], v[8:9], v[10:11], v[16:17]
	v_fma_f64 v[14:15], v[6:7], v[10:11], -v[14:15]
	v_add_f64 v[20:21], v[16:17], v[20:21]
	v_mul_f64 v[16:17], v[8:9], v[28:29]
	v_add_f64 v[14:15], v[36:37], v[14:15]
	v_fma_f64 v[16:17], v[6:7], v[26:27], -v[16:17]
	v_mul_f64 v[6:7], v[6:7], v[28:29]
	v_fma_f64 v[8:9], v[8:9], v[26:27], v[6:7]
	v_add_f64 v[6:7], v[38:39], v[16:17]
	v_mul_f64 v[16:17], v[32:33], v[12:13]
	v_mul_f64 v[12:13], v[30:31], v[12:13]
	v_add_f64 v[8:9], v[8:9], v[40:41]
	v_fma_f64 v[16:17], v[30:31], v[10:11], -v[16:17]
	v_fma_f64 v[10:11], v[32:33], v[10:11], v[12:13]
	v_mul_f64 v[12:13], v[30:31], v[28:29]
	v_add_f64 v[16:17], v[42:43], v[16:17]
	v_add_f64 v[18:19], v[10:11], v[18:19]
	v_mul_f64 v[10:11], v[32:33], v[28:29]
	v_fma_f64 v[10:11], v[30:31], v[26:27], -v[10:11]
	v_fma_f64 v[26:27], v[32:33], v[26:27], v[12:13]
	v_add_f64 v[12:13], v[44:45], v[10:11]
	v_add_f64 v[10:11], v[26:27], v[34:35]
	s_cbranch_scc0 .LBB853_2
	s_branch .LBB853_4
.LBB853_3:
	v_mov_b32_e32 v14, 0
	v_mov_b32_e32 v20, 0
	;; [unrolled: 1-line block ×16, first 2 shown]
.LBB853_4:
	s_load_dword s3, s[4:5], 0x40
	v_add_u32_e32 v4, s7, v1
	s_waitcnt lgkmcnt(0)
	v_mov_b32_e32 v3, s11
	v_add_u32_e32 v0, s6, v0
	v_cmp_gt_i32_e32 vcc, s2, v4
	v_mad_i64_i32 v[1:2], s[0:1], v4, s3, 0
	v_lshlrev_b64 v[1:2], 4, v[1:2]
	v_add_co_u32_e64 v5, s[0:1], s10, v1
	v_addc_co_u32_e64 v22, s[0:1], v3, v2, s[0:1]
	v_cmp_le_i32_e64 s[0:1], v0, v4
	s_and_b64 s[0:1], vcc, s[0:1]
	s_and_saveexec_b64 s[4:5], s[0:1]
	s_cbranch_execz .LBB853_6
; %bb.5:
	v_ashrrev_i32_e32 v1, 31, v0
	v_lshlrev_b64 v[1:2], 4, v[0:1]
	v_add_co_u32_e64 v1, s[0:1], v5, v1
	v_addc_co_u32_e64 v2, s[0:1], v22, v2, s[0:1]
	flat_load_dwordx4 v[23:26], v[1:2]
	v_cmp_ne_u32_e64 s[0:1], v4, v0
	s_waitcnt vmcnt(0) lgkmcnt(0)
	v_add_f64 v[20:21], v[20:21], v[25:26]
	v_add_f64 v[23:24], v[14:15], v[23:24]
	v_cndmask_b32_e64 v26, 0, v21, s[0:1]
	v_cndmask_b32_e64 v25, 0, v20, s[0:1]
	flat_store_dwordx4 v[1:2], v[23:26]
.LBB853_6:
	s_or_b64 exec, exec, s[4:5]
	v_add_u32_e32 v2, 16, v0
	v_cmp_le_i32_e64 s[0:1], v2, v4
	s_and_b64 s[4:5], vcc, s[0:1]
	s_and_saveexec_b64 s[0:1], s[4:5]
	s_cbranch_execz .LBB853_8
; %bb.7:
	v_ashrrev_i32_e32 v3, 31, v2
	v_lshlrev_b64 v[14:15], 4, v[2:3]
	v_add_co_u32_e32 v14, vcc, v5, v14
	v_addc_co_u32_e32 v15, vcc, v22, v15, vcc
	flat_load_dwordx4 v[20:23], v[14:15]
	v_cmp_ne_u32_e32 vcc, v4, v2
	s_waitcnt vmcnt(0) lgkmcnt(0)
	v_add_f64 v[22:23], v[8:9], v[22:23]
	v_add_f64 v[5:6], v[6:7], v[20:21]
	v_cndmask_b32_e32 v8, 0, v23, vcc
	v_cndmask_b32_e32 v7, 0, v22, vcc
	flat_store_dwordx4 v[14:15], v[5:8]
.LBB853_8:
	s_or_b64 exec, exec, s[0:1]
	v_add_u32_e32 v3, 16, v4
	v_mad_i64_i32 v[5:6], s[0:1], v3, s3, 0
	v_mov_b32_e32 v1, s11
	v_cmp_gt_i32_e32 vcc, s2, v3
	v_lshlrev_b64 v[5:6], 4, v[5:6]
	v_add_co_u32_e64 v5, s[0:1], s10, v5
	v_addc_co_u32_e64 v6, s[0:1], v1, v6, s[0:1]
	v_cmp_le_i32_e64 s[0:1], v0, v3
	s_and_b64 s[0:1], vcc, s[0:1]
	s_and_saveexec_b64 s[2:3], s[0:1]
	s_cbranch_execz .LBB853_10
; %bb.9:
	v_ashrrev_i32_e32 v1, 31, v0
	v_lshlrev_b64 v[7:8], 4, v[0:1]
	v_add_co_u32_e64 v7, s[0:1], v5, v7
	v_addc_co_u32_e64 v8, s[0:1], v6, v8, s[0:1]
	flat_load_dwordx4 v[20:23], v[7:8]
	v_cmp_ne_u32_e64 s[0:1], v3, v0
	s_waitcnt vmcnt(0) lgkmcnt(0)
	v_add_f64 v[18:19], v[18:19], v[22:23]
	v_add_f64 v[14:15], v[16:17], v[20:21]
	v_cndmask_b32_e64 v17, 0, v19, s[0:1]
	v_cndmask_b32_e64 v16, 0, v18, s[0:1]
	flat_store_dwordx4 v[7:8], v[14:17]
.LBB853_10:
	s_or_b64 exec, exec, s[2:3]
	v_cmp_le_i32_e64 s[0:1], v2, v3
	s_and_b64 s[0:1], vcc, s[0:1]
	s_and_saveexec_b64 s[2:3], s[0:1]
	s_cbranch_execz .LBB853_12
; %bb.11:
	v_ashrrev_i32_e32 v3, 31, v2
	v_lshlrev_b64 v[1:2], 4, v[2:3]
	v_add_co_u32_e32 v14, vcc, v5, v1
	v_addc_co_u32_e32 v15, vcc, v6, v2, vcc
	flat_load_dwordx4 v[5:8], v[14:15]
	v_cmp_ne_u32_e32 vcc, v4, v0
	s_waitcnt vmcnt(0) lgkmcnt(0)
	v_add_f64 v[7:8], v[10:11], v[7:8]
	v_add_f64 v[1:2], v[12:13], v[5:6]
	v_cndmask_b32_e32 v4, 0, v8, vcc
	v_cndmask_b32_e32 v3, 0, v7, vcc
	flat_store_dwordx4 v[14:15], v[1:4]
.LBB853_12:
	s_endpgm
	.section	.rodata,"a",@progbits
	.p2align	6, 0x0
	.amdhsa_kernel _ZL37rocblas_syrkx_herkx_restricted_kernelIi19rocblas_complex_numIdELi16ELi32ELi8ELi1ELi1ELb1ELc67ELc85EKPKS1_KPS1_EviT_PT9_S7_lS9_S7_lPT10_S7_li
		.amdhsa_group_segment_fixed_size 8192
		.amdhsa_private_segment_fixed_size 0
		.amdhsa_kernarg_size 84
		.amdhsa_user_sgpr_count 6
		.amdhsa_user_sgpr_private_segment_buffer 1
		.amdhsa_user_sgpr_dispatch_ptr 0
		.amdhsa_user_sgpr_queue_ptr 0
		.amdhsa_user_sgpr_kernarg_segment_ptr 1
		.amdhsa_user_sgpr_dispatch_id 0
		.amdhsa_user_sgpr_flat_scratch_init 0
		.amdhsa_user_sgpr_private_segment_size 0
		.amdhsa_uses_dynamic_stack 0
		.amdhsa_system_sgpr_private_segment_wavefront_offset 0
		.amdhsa_system_sgpr_workgroup_id_x 1
		.amdhsa_system_sgpr_workgroup_id_y 1
		.amdhsa_system_sgpr_workgroup_id_z 1
		.amdhsa_system_sgpr_workgroup_info 0
		.amdhsa_system_vgpr_workitem_id 1
		.amdhsa_next_free_vgpr 52
		.amdhsa_next_free_sgpr 61
		.amdhsa_reserve_vcc 1
		.amdhsa_reserve_flat_scratch 0
		.amdhsa_float_round_mode_32 0
		.amdhsa_float_round_mode_16_64 0
		.amdhsa_float_denorm_mode_32 3
		.amdhsa_float_denorm_mode_16_64 3
		.amdhsa_dx10_clamp 1
		.amdhsa_ieee_mode 1
		.amdhsa_fp16_overflow 0
		.amdhsa_exception_fp_ieee_invalid_op 0
		.amdhsa_exception_fp_denorm_src 0
		.amdhsa_exception_fp_ieee_div_zero 0
		.amdhsa_exception_fp_ieee_overflow 0
		.amdhsa_exception_fp_ieee_underflow 0
		.amdhsa_exception_fp_ieee_inexact 0
		.amdhsa_exception_int_div_zero 0
	.end_amdhsa_kernel
	.section	.text._ZL37rocblas_syrkx_herkx_restricted_kernelIi19rocblas_complex_numIdELi16ELi32ELi8ELi1ELi1ELb1ELc67ELc85EKPKS1_KPS1_EviT_PT9_S7_lS9_S7_lPT10_S7_li,"axG",@progbits,_ZL37rocblas_syrkx_herkx_restricted_kernelIi19rocblas_complex_numIdELi16ELi32ELi8ELi1ELi1ELb1ELc67ELc85EKPKS1_KPS1_EviT_PT9_S7_lS9_S7_lPT10_S7_li,comdat
.Lfunc_end853:
	.size	_ZL37rocblas_syrkx_herkx_restricted_kernelIi19rocblas_complex_numIdELi16ELi32ELi8ELi1ELi1ELb1ELc67ELc85EKPKS1_KPS1_EviT_PT9_S7_lS9_S7_lPT10_S7_li, .Lfunc_end853-_ZL37rocblas_syrkx_herkx_restricted_kernelIi19rocblas_complex_numIdELi16ELi32ELi8ELi1ELi1ELb1ELc67ELc85EKPKS1_KPS1_EviT_PT9_S7_lS9_S7_lPT10_S7_li
                                        ; -- End function
	.set _ZL37rocblas_syrkx_herkx_restricted_kernelIi19rocblas_complex_numIdELi16ELi32ELi8ELi1ELi1ELb1ELc67ELc85EKPKS1_KPS1_EviT_PT9_S7_lS9_S7_lPT10_S7_li.num_vgpr, 52
	.set _ZL37rocblas_syrkx_herkx_restricted_kernelIi19rocblas_complex_numIdELi16ELi32ELi8ELi1ELi1ELb1ELc67ELc85EKPKS1_KPS1_EviT_PT9_S7_lS9_S7_lPT10_S7_li.num_agpr, 0
	.set _ZL37rocblas_syrkx_herkx_restricted_kernelIi19rocblas_complex_numIdELi16ELi32ELi8ELi1ELi1ELb1ELc67ELc85EKPKS1_KPS1_EviT_PT9_S7_lS9_S7_lPT10_S7_li.numbered_sgpr, 17
	.set _ZL37rocblas_syrkx_herkx_restricted_kernelIi19rocblas_complex_numIdELi16ELi32ELi8ELi1ELi1ELb1ELc67ELc85EKPKS1_KPS1_EviT_PT9_S7_lS9_S7_lPT10_S7_li.num_named_barrier, 0
	.set _ZL37rocblas_syrkx_herkx_restricted_kernelIi19rocblas_complex_numIdELi16ELi32ELi8ELi1ELi1ELb1ELc67ELc85EKPKS1_KPS1_EviT_PT9_S7_lS9_S7_lPT10_S7_li.private_seg_size, 0
	.set _ZL37rocblas_syrkx_herkx_restricted_kernelIi19rocblas_complex_numIdELi16ELi32ELi8ELi1ELi1ELb1ELc67ELc85EKPKS1_KPS1_EviT_PT9_S7_lS9_S7_lPT10_S7_li.uses_vcc, 1
	.set _ZL37rocblas_syrkx_herkx_restricted_kernelIi19rocblas_complex_numIdELi16ELi32ELi8ELi1ELi1ELb1ELc67ELc85EKPKS1_KPS1_EviT_PT9_S7_lS9_S7_lPT10_S7_li.uses_flat_scratch, 0
	.set _ZL37rocblas_syrkx_herkx_restricted_kernelIi19rocblas_complex_numIdELi16ELi32ELi8ELi1ELi1ELb1ELc67ELc85EKPKS1_KPS1_EviT_PT9_S7_lS9_S7_lPT10_S7_li.has_dyn_sized_stack, 0
	.set _ZL37rocblas_syrkx_herkx_restricted_kernelIi19rocblas_complex_numIdELi16ELi32ELi8ELi1ELi1ELb1ELc67ELc85EKPKS1_KPS1_EviT_PT9_S7_lS9_S7_lPT10_S7_li.has_recursion, 0
	.set _ZL37rocblas_syrkx_herkx_restricted_kernelIi19rocblas_complex_numIdELi16ELi32ELi8ELi1ELi1ELb1ELc67ELc85EKPKS1_KPS1_EviT_PT9_S7_lS9_S7_lPT10_S7_li.has_indirect_call, 0
	.section	.AMDGPU.csdata,"",@progbits
; Kernel info:
; codeLenInByte = 2904
; TotalNumSgprs: 21
; NumVgprs: 52
; ScratchSize: 0
; MemoryBound: 0
; FloatMode: 240
; IeeeMode: 1
; LDSByteSize: 8192 bytes/workgroup (compile time only)
; SGPRBlocks: 8
; VGPRBlocks: 12
; NumSGPRsForWavesPerEU: 65
; NumVGPRsForWavesPerEU: 52
; Occupancy: 4
; WaveLimiterHint : 1
; COMPUTE_PGM_RSRC2:SCRATCH_EN: 0
; COMPUTE_PGM_RSRC2:USER_SGPR: 6
; COMPUTE_PGM_RSRC2:TRAP_HANDLER: 0
; COMPUTE_PGM_RSRC2:TGID_X_EN: 1
; COMPUTE_PGM_RSRC2:TGID_Y_EN: 1
; COMPUTE_PGM_RSRC2:TGID_Z_EN: 1
; COMPUTE_PGM_RSRC2:TIDIG_COMP_CNT: 1
	.section	.text._ZL37rocblas_syrkx_herkx_restricted_kernelIi19rocblas_complex_numIdELi16ELi32ELi8ELi1ELi1ELb1ELc78ELc85EKPKS1_KPS1_EviT_PT9_S7_lS9_S7_lPT10_S7_li,"axG",@progbits,_ZL37rocblas_syrkx_herkx_restricted_kernelIi19rocblas_complex_numIdELi16ELi32ELi8ELi1ELi1ELb1ELc78ELc85EKPKS1_KPS1_EviT_PT9_S7_lS9_S7_lPT10_S7_li,comdat
	.globl	_ZL37rocblas_syrkx_herkx_restricted_kernelIi19rocblas_complex_numIdELi16ELi32ELi8ELi1ELi1ELb1ELc78ELc85EKPKS1_KPS1_EviT_PT9_S7_lS9_S7_lPT10_S7_li ; -- Begin function _ZL37rocblas_syrkx_herkx_restricted_kernelIi19rocblas_complex_numIdELi16ELi32ELi8ELi1ELi1ELb1ELc78ELc85EKPKS1_KPS1_EviT_PT9_S7_lS9_S7_lPT10_S7_li
	.p2align	8
	.type	_ZL37rocblas_syrkx_herkx_restricted_kernelIi19rocblas_complex_numIdELi16ELi32ELi8ELi1ELi1ELb1ELc78ELc85EKPKS1_KPS1_EviT_PT9_S7_lS9_S7_lPT10_S7_li,@function
_ZL37rocblas_syrkx_herkx_restricted_kernelIi19rocblas_complex_numIdELi16ELi32ELi8ELi1ELi1ELb1ELc78ELc85EKPKS1_KPS1_EviT_PT9_S7_lS9_S7_lPT10_S7_li: ; @_ZL37rocblas_syrkx_herkx_restricted_kernelIi19rocblas_complex_numIdELi16ELi32ELi8ELi1ELi1ELb1ELc78ELc85EKPKS1_KPS1_EviT_PT9_S7_lS9_S7_lPT10_S7_li
; %bb.0:
	s_load_dwordx2 s[10:11], s[4:5], 0x38
	s_load_dwordx2 s[2:3], s[4:5], 0x0
	s_mov_b32 s9, 0
	s_lshl_b64 s[0:1], s[8:9], 3
	s_waitcnt lgkmcnt(0)
	s_add_u32 s10, s10, s0
	s_addc_u32 s11, s11, s1
	s_load_dwordx2 s[10:11], s[10:11], 0x0
	s_lshl_b32 s8, s6, 5
	s_lshl_b32 s12, s7, 5
	s_cmp_lt_i32 s3, 1
	s_cbranch_scc1 .LBB854_3
; %bb.1:
	s_load_dword s6, s[4:5], 0x10
	s_load_dword s14, s[4:5], 0x28
	s_load_dwordx2 s[16:17], s[4:5], 0x20
	s_load_dwordx2 s[18:19], s[4:5], 0x8
	v_lshl_add_u32 v7, v1, 4, v0
	s_waitcnt lgkmcnt(0)
	s_ashr_i32 s7, s6, 31
	s_ashr_i32 s15, s14, 31
	v_lshrrev_b32_e32 v8, 3, v7
	s_add_u32 s18, s18, s0
	s_addc_u32 s19, s19, s1
	s_add_u32 s0, s16, s0
	v_add_u32_e32 v2, s12, v8
	s_addc_u32 s1, s17, s1
	v_and_b32_e32 v6, 7, v0
	v_ashrrev_i32_e32 v3, 31, v2
	s_load_dwordx2 s[16:17], s[0:1], 0x0
	v_mad_i64_i32 v[4:5], s[0:1], s14, v6, v[2:3]
	v_and_b32_e32 v2, 31, v7
	v_lshrrev_b32_e32 v9, 5, v7
	v_lshlrev_b32_e32 v3, 4, v2
	v_lshl_or_b32 v22, v9, 9, v3
	v_lshlrev_b32_e32 v3, 4, v6
	v_lshl_or_b32 v3, v8, 7, v3
	v_add_u32_e32 v2, s8, v2
	v_add_u32_e32 v23, 0x1000, v3
	v_ashrrev_i32_e32 v3, 31, v2
	v_mad_i64_i32 v[2:3], s[0:1], s6, v9, v[2:3]
	s_load_dwordx2 s[18:19], s[18:19], 0x0
	v_mov_b32_e32 v6, 0x1000
	v_lshlrev_b64 v[2:3], 4, v[2:3]
	v_lshl_add_u32 v25, v1, 7, v6
	v_lshlrev_b64 v[4:5], 4, v[4:5]
	s_waitcnt lgkmcnt(0)
	v_mov_b32_e32 v6, s19
	v_add_co_u32_e32 v2, vcc, s18, v2
	v_addc_co_u32_e32 v3, vcc, v6, v3, vcc
	v_mov_b32_e32 v6, s17
	v_add_co_u32_e32 v4, vcc, s16, v4
	s_lshl_b64 s[0:1], s[6:7], 7
	v_addc_co_u32_e32 v5, vcc, v6, v5, vcc
	s_lshl_b64 s[6:7], s[14:15], 7
	v_mov_b32_e32 v10, 0
	v_mov_b32_e32 v12, 0
	;; [unrolled: 1-line block ×8, first 2 shown]
	v_lshlrev_b32_e32 v24, 4, v0
	v_mov_b32_e32 v11, 0
	v_mov_b32_e32 v26, s1
	;; [unrolled: 1-line block ×10, first 2 shown]
.LBB854_2:                              ; =>This Inner Loop Header: Depth=1
	flat_load_dwordx4 v[28:31], v[2:3]
	v_add_co_u32_e32 v2, vcc, s0, v2
	v_addc_co_u32_e32 v3, vcc, v3, v26, vcc
	s_add_i32 s9, s9, 8
	s_cmp_ge_i32 s9, s3
	s_waitcnt vmcnt(0) lgkmcnt(0)
	ds_write_b128 v22, v[28:31]
	flat_load_dwordx4 v[28:31], v[4:5]
	v_add_co_u32_e32 v4, vcc, s6, v4
	v_addc_co_u32_e32 v5, vcc, v5, v27, vcc
	s_waitcnt vmcnt(0) lgkmcnt(0)
	v_xor_b32_e32 v31, 0x80000000, v31
	ds_write_b128 v23, v[28:31]
	s_waitcnt lgkmcnt(0)
	s_barrier
	ds_read_b128 v[28:31], v25
	ds_read_b128 v[32:35], v25 offset:16
	ds_read_b128 v[36:39], v25 offset:32
	;; [unrolled: 1-line block ×3, first 2 shown]
	ds_read_b128 v[44:47], v24
	s_waitcnt lgkmcnt(0)
	v_mul_f64 v[48:49], v[30:31], v[46:47]
	v_mul_f64 v[50:51], v[28:29], v[46:47]
	v_fma_f64 v[48:49], v[28:29], v[44:45], -v[48:49]
	v_fma_f64 v[50:51], v[30:31], v[44:45], v[50:51]
	v_add_f64 v[48:49], v[18:19], v[48:49]
	v_add_f64 v[50:51], v[50:51], v[20:21]
	ds_read_b128 v[18:21], v24 offset:256
	s_waitcnt lgkmcnt(0)
	v_mul_f64 v[52:53], v[30:31], v[20:21]
	v_fma_f64 v[52:53], v[28:29], v[18:19], -v[52:53]
	v_mul_f64 v[28:29], v[28:29], v[20:21]
	v_fma_f64 v[28:29], v[30:31], v[18:19], v[28:29]
	v_add_f64 v[30:31], v[6:7], v[52:53]
	v_add_f64 v[28:29], v[28:29], v[8:9]
	ds_read_b128 v[6:9], v25 offset:2048
	s_waitcnt lgkmcnt(0)
	v_mul_f64 v[52:53], v[8:9], v[46:47]
	v_mul_f64 v[46:47], v[6:7], v[46:47]
	v_fma_f64 v[52:53], v[6:7], v[44:45], -v[52:53]
	v_fma_f64 v[44:45], v[8:9], v[44:45], v[46:47]
	v_add_f64 v[46:47], v[14:15], v[52:53]
	v_mul_f64 v[14:15], v[8:9], v[20:21]
	v_add_f64 v[44:45], v[44:45], v[16:17]
	v_fma_f64 v[14:15], v[6:7], v[18:19], -v[14:15]
	v_mul_f64 v[6:7], v[6:7], v[20:21]
	v_fma_f64 v[6:7], v[8:9], v[18:19], v[6:7]
	v_add_f64 v[18:19], v[12:13], v[14:15]
	v_add_f64 v[20:21], v[6:7], v[10:11]
	ds_read_b128 v[6:9], v24 offset:512
	s_waitcnt lgkmcnt(0)
	v_mul_f64 v[10:11], v[34:35], v[8:9]
	v_mul_f64 v[12:13], v[32:33], v[8:9]
	v_fma_f64 v[10:11], v[32:33], v[6:7], -v[10:11]
	v_fma_f64 v[12:13], v[34:35], v[6:7], v[12:13]
	v_add_f64 v[48:49], v[48:49], v[10:11]
	v_add_f64 v[50:51], v[12:13], v[50:51]
	ds_read_b128 v[10:13], v24 offset:768
	s_waitcnt lgkmcnt(0)
	v_mul_f64 v[14:15], v[34:35], v[12:13]
	v_mul_f64 v[16:17], v[32:33], v[12:13]
	v_fma_f64 v[14:15], v[32:33], v[10:11], -v[14:15]
	v_fma_f64 v[16:17], v[34:35], v[10:11], v[16:17]
	v_add_f64 v[30:31], v[30:31], v[14:15]
	v_add_f64 v[28:29], v[16:17], v[28:29]
	ds_read_b128 v[14:17], v25 offset:2064
	s_waitcnt lgkmcnt(0)
	v_mul_f64 v[32:33], v[16:17], v[8:9]
	v_mul_f64 v[8:9], v[14:15], v[8:9]
	v_fma_f64 v[32:33], v[14:15], v[6:7], -v[32:33]
	v_fma_f64 v[6:7], v[16:17], v[6:7], v[8:9]
	v_mul_f64 v[8:9], v[14:15], v[12:13]
	v_add_f64 v[32:33], v[46:47], v[32:33]
	v_add_f64 v[34:35], v[6:7], v[44:45]
	v_mul_f64 v[6:7], v[16:17], v[12:13]
	v_fma_f64 v[8:9], v[16:17], v[10:11], v[8:9]
	v_fma_f64 v[6:7], v[14:15], v[10:11], -v[6:7]
	v_add_f64 v[20:21], v[8:9], v[20:21]
	v_add_f64 v[18:19], v[18:19], v[6:7]
	ds_read_b128 v[6:9], v24 offset:1024
	s_waitcnt lgkmcnt(0)
	v_mul_f64 v[10:11], v[38:39], v[8:9]
	v_mul_f64 v[12:13], v[36:37], v[8:9]
	v_fma_f64 v[10:11], v[36:37], v[6:7], -v[10:11]
	v_fma_f64 v[12:13], v[38:39], v[6:7], v[12:13]
	v_add_f64 v[44:45], v[48:49], v[10:11]
	v_add_f64 v[46:47], v[12:13], v[50:51]
	ds_read_b128 v[10:13], v24 offset:1280
	s_waitcnt lgkmcnt(0)
	v_mul_f64 v[14:15], v[38:39], v[12:13]
	v_mul_f64 v[16:17], v[36:37], v[12:13]
	v_fma_f64 v[14:15], v[36:37], v[10:11], -v[14:15]
	v_fma_f64 v[16:17], v[38:39], v[10:11], v[16:17]
	;; [unrolled: 8-line block ×3, first 2 shown]
	v_mul_f64 v[8:9], v[14:15], v[12:13]
	v_add_f64 v[32:33], v[32:33], v[36:37]
	v_add_f64 v[34:35], v[6:7], v[34:35]
	v_mul_f64 v[6:7], v[16:17], v[12:13]
	v_fma_f64 v[8:9], v[16:17], v[10:11], v[8:9]
	v_fma_f64 v[6:7], v[14:15], v[10:11], -v[6:7]
	v_add_f64 v[20:21], v[8:9], v[20:21]
	v_add_f64 v[18:19], v[18:19], v[6:7]
	ds_read_b128 v[6:9], v24 offset:1536
	s_waitcnt lgkmcnt(0)
	v_mul_f64 v[10:11], v[42:43], v[8:9]
	v_mul_f64 v[12:13], v[40:41], v[8:9]
	v_fma_f64 v[10:11], v[40:41], v[6:7], -v[10:11]
	v_fma_f64 v[12:13], v[42:43], v[6:7], v[12:13]
	v_add_f64 v[36:37], v[44:45], v[10:11]
	v_add_f64 v[38:39], v[12:13], v[46:47]
	ds_read_b128 v[10:13], v24 offset:1792
	s_waitcnt lgkmcnt(0)
	v_mul_f64 v[14:15], v[42:43], v[12:13]
	v_mul_f64 v[16:17], v[40:41], v[12:13]
	v_fma_f64 v[14:15], v[40:41], v[10:11], -v[14:15]
	v_fma_f64 v[16:17], v[42:43], v[10:11], v[16:17]
	;; [unrolled: 8-line block ×3, first 2 shown]
	v_mul_f64 v[8:9], v[14:15], v[12:13]
	v_add_f64 v[32:33], v[32:33], v[40:41]
	v_add_f64 v[34:35], v[6:7], v[34:35]
	v_mul_f64 v[6:7], v[16:17], v[12:13]
	v_fma_f64 v[8:9], v[16:17], v[10:11], v[8:9]
	v_fma_f64 v[6:7], v[14:15], v[10:11], -v[6:7]
	v_add_f64 v[20:21], v[8:9], v[20:21]
	v_add_f64 v[18:19], v[18:19], v[6:7]
	ds_read_b128 v[6:9], v25 offset:64
	ds_read_b128 v[10:13], v24 offset:2048
	s_waitcnt lgkmcnt(0)
	v_mul_f64 v[14:15], v[8:9], v[12:13]
	v_mul_f64 v[16:17], v[6:7], v[12:13]
	v_fma_f64 v[14:15], v[6:7], v[10:11], -v[14:15]
	v_fma_f64 v[16:17], v[8:9], v[10:11], v[16:17]
	v_add_f64 v[36:37], v[36:37], v[14:15]
	v_add_f64 v[38:39], v[16:17], v[38:39]
	ds_read_b128 v[14:17], v24 offset:2304
	s_waitcnt lgkmcnt(0)
	v_mul_f64 v[40:41], v[8:9], v[16:17]
	v_fma_f64 v[40:41], v[6:7], v[14:15], -v[40:41]
	v_mul_f64 v[6:7], v[6:7], v[16:17]
	v_add_f64 v[30:31], v[30:31], v[40:41]
	v_fma_f64 v[6:7], v[8:9], v[14:15], v[6:7]
	v_add_f64 v[28:29], v[6:7], v[28:29]
	ds_read_b128 v[6:9], v25 offset:2112
	s_waitcnt lgkmcnt(0)
	v_mul_f64 v[40:41], v[8:9], v[12:13]
	v_mul_f64 v[12:13], v[6:7], v[12:13]
	v_fma_f64 v[40:41], v[6:7], v[10:11], -v[40:41]
	v_fma_f64 v[10:11], v[8:9], v[10:11], v[12:13]
	v_add_f64 v[32:33], v[32:33], v[40:41]
	v_add_f64 v[34:35], v[10:11], v[34:35]
	v_mul_f64 v[10:11], v[8:9], v[16:17]
	v_fma_f64 v[10:11], v[6:7], v[14:15], -v[10:11]
	v_mul_f64 v[6:7], v[6:7], v[16:17]
	v_add_f64 v[18:19], v[18:19], v[10:11]
	v_fma_f64 v[6:7], v[8:9], v[14:15], v[6:7]
	v_add_f64 v[20:21], v[6:7], v[20:21]
	ds_read_b128 v[6:9], v25 offset:80
	ds_read_b128 v[10:13], v24 offset:2560
	s_waitcnt lgkmcnt(0)
	v_mul_f64 v[14:15], v[8:9], v[12:13]
	v_mul_f64 v[16:17], v[6:7], v[12:13]
	v_fma_f64 v[14:15], v[6:7], v[10:11], -v[14:15]
	v_fma_f64 v[16:17], v[8:9], v[10:11], v[16:17]
	v_add_f64 v[36:37], v[36:37], v[14:15]
	v_add_f64 v[38:39], v[16:17], v[38:39]
	ds_read_b128 v[14:17], v24 offset:2816
	s_waitcnt lgkmcnt(0)
	v_mul_f64 v[40:41], v[8:9], v[16:17]
	v_fma_f64 v[40:41], v[6:7], v[14:15], -v[40:41]
	v_mul_f64 v[6:7], v[6:7], v[16:17]
	v_add_f64 v[30:31], v[30:31], v[40:41]
	v_fma_f64 v[6:7], v[8:9], v[14:15], v[6:7]
	v_add_f64 v[28:29], v[6:7], v[28:29]
	ds_read_b128 v[6:9], v25 offset:2128
	s_waitcnt lgkmcnt(0)
	v_mul_f64 v[40:41], v[8:9], v[12:13]
	v_mul_f64 v[12:13], v[6:7], v[12:13]
	v_fma_f64 v[40:41], v[6:7], v[10:11], -v[40:41]
	v_fma_f64 v[10:11], v[8:9], v[10:11], v[12:13]
	v_add_f64 v[32:33], v[32:33], v[40:41]
	v_add_f64 v[34:35], v[10:11], v[34:35]
	v_mul_f64 v[10:11], v[8:9], v[16:17]
	v_fma_f64 v[10:11], v[6:7], v[14:15], -v[10:11]
	v_mul_f64 v[6:7], v[6:7], v[16:17]
	v_add_f64 v[18:19], v[18:19], v[10:11]
	v_fma_f64 v[6:7], v[8:9], v[14:15], v[6:7]
	;; [unrolled: 31-line block ×3, first 2 shown]
	v_add_f64 v[50:51], v[6:7], v[20:21]
	ds_read_b128 v[6:9], v25 offset:112
	ds_read_b128 v[10:13], v24 offset:3584
	;; [unrolled: 1-line block ×4, first 2 shown]
	s_waitcnt lgkmcnt(0)
	s_barrier
	v_mul_f64 v[14:15], v[8:9], v[12:13]
	v_mul_f64 v[16:17], v[6:7], v[12:13]
	v_fma_f64 v[14:15], v[6:7], v[10:11], -v[14:15]
	v_fma_f64 v[16:17], v[8:9], v[10:11], v[16:17]
	v_add_f64 v[18:19], v[36:37], v[14:15]
	v_mul_f64 v[14:15], v[8:9], v[30:31]
	v_add_f64 v[20:21], v[16:17], v[38:39]
	v_fma_f64 v[14:15], v[6:7], v[28:29], -v[14:15]
	v_mul_f64 v[6:7], v[6:7], v[30:31]
	v_fma_f64 v[8:9], v[8:9], v[28:29], v[6:7]
	v_add_f64 v[6:7], v[40:41], v[14:15]
	v_mul_f64 v[14:15], v[34:35], v[12:13]
	v_mul_f64 v[12:13], v[32:33], v[12:13]
	v_add_f64 v[8:9], v[8:9], v[42:43]
	v_fma_f64 v[14:15], v[32:33], v[10:11], -v[14:15]
	v_fma_f64 v[10:11], v[34:35], v[10:11], v[12:13]
	v_mul_f64 v[12:13], v[32:33], v[30:31]
	v_add_f64 v[14:15], v[44:45], v[14:15]
	v_add_f64 v[16:17], v[10:11], v[46:47]
	v_mul_f64 v[10:11], v[34:35], v[30:31]
	v_fma_f64 v[10:11], v[32:33], v[28:29], -v[10:11]
	v_fma_f64 v[28:29], v[34:35], v[28:29], v[12:13]
	v_add_f64 v[12:13], v[48:49], v[10:11]
	v_add_f64 v[10:11], v[28:29], v[50:51]
	s_cbranch_scc0 .LBB854_2
	s_branch .LBB854_4
.LBB854_3:
	v_mov_b32_e32 v18, 0
	v_mov_b32_e32 v20, 0
	;; [unrolled: 1-line block ×16, first 2 shown]
.LBB854_4:
	s_load_dword s3, s[4:5], 0x40
	v_add_u32_e32 v4, s12, v1
	s_waitcnt lgkmcnt(0)
	v_mov_b32_e32 v3, s11
	v_add_u32_e32 v0, s8, v0
	v_cmp_gt_i32_e32 vcc, s2, v4
	v_mad_i64_i32 v[1:2], s[0:1], v4, s3, 0
	v_lshlrev_b64 v[1:2], 4, v[1:2]
	v_add_co_u32_e64 v5, s[0:1], s10, v1
	v_addc_co_u32_e64 v22, s[0:1], v3, v2, s[0:1]
	v_cmp_le_i32_e64 s[0:1], v0, v4
	s_and_b64 s[0:1], vcc, s[0:1]
	s_and_saveexec_b64 s[4:5], s[0:1]
	s_cbranch_execz .LBB854_6
; %bb.5:
	v_ashrrev_i32_e32 v1, 31, v0
	v_lshlrev_b64 v[1:2], 4, v[0:1]
	v_add_co_u32_e64 v1, s[0:1], v5, v1
	v_addc_co_u32_e64 v2, s[0:1], v22, v2, s[0:1]
	flat_load_dwordx4 v[23:26], v[1:2]
	v_cmp_ne_u32_e64 s[0:1], v4, v0
	s_waitcnt vmcnt(0) lgkmcnt(0)
	v_add_f64 v[20:21], v[20:21], v[25:26]
	v_add_f64 v[18:19], v[18:19], v[23:24]
	v_cndmask_b32_e64 v21, 0, v21, s[0:1]
	v_cndmask_b32_e64 v20, 0, v20, s[0:1]
	flat_store_dwordx4 v[1:2], v[18:21]
.LBB854_6:
	s_or_b64 exec, exec, s[4:5]
	v_add_u32_e32 v2, 16, v0
	v_cmp_le_i32_e64 s[0:1], v2, v4
	s_and_b64 s[4:5], vcc, s[0:1]
	s_and_saveexec_b64 s[0:1], s[4:5]
	s_cbranch_execz .LBB854_8
; %bb.7:
	v_ashrrev_i32_e32 v3, 31, v2
	v_lshlrev_b64 v[18:19], 4, v[2:3]
	v_add_co_u32_e32 v23, vcc, v5, v18
	v_addc_co_u32_e32 v24, vcc, v22, v19, vcc
	flat_load_dwordx4 v[18:21], v[23:24]
	v_cmp_ne_u32_e32 vcc, v4, v2
	s_waitcnt vmcnt(0) lgkmcnt(0)
	v_add_f64 v[20:21], v[8:9], v[20:21]
	v_add_f64 v[5:6], v[6:7], v[18:19]
	v_cndmask_b32_e32 v8, 0, v21, vcc
	v_cndmask_b32_e32 v7, 0, v20, vcc
	flat_store_dwordx4 v[23:24], v[5:8]
.LBB854_8:
	s_or_b64 exec, exec, s[0:1]
	v_add_u32_e32 v3, 16, v4
	v_mad_i64_i32 v[5:6], s[0:1], v3, s3, 0
	v_mov_b32_e32 v1, s11
	v_cmp_gt_i32_e32 vcc, s2, v3
	v_lshlrev_b64 v[5:6], 4, v[5:6]
	v_add_co_u32_e64 v5, s[0:1], s10, v5
	v_addc_co_u32_e64 v6, s[0:1], v1, v6, s[0:1]
	v_cmp_le_i32_e64 s[0:1], v0, v3
	s_and_b64 s[0:1], vcc, s[0:1]
	s_and_saveexec_b64 s[2:3], s[0:1]
	s_cbranch_execz .LBB854_10
; %bb.9:
	v_ashrrev_i32_e32 v1, 31, v0
	v_lshlrev_b64 v[7:8], 4, v[0:1]
	v_add_co_u32_e64 v7, s[0:1], v5, v7
	v_addc_co_u32_e64 v8, s[0:1], v6, v8, s[0:1]
	flat_load_dwordx4 v[18:21], v[7:8]
	v_cmp_ne_u32_e64 s[0:1], v3, v0
	s_waitcnt vmcnt(0) lgkmcnt(0)
	v_add_f64 v[16:17], v[16:17], v[20:21]
	v_add_f64 v[14:15], v[14:15], v[18:19]
	v_cndmask_b32_e64 v17, 0, v17, s[0:1]
	v_cndmask_b32_e64 v16, 0, v16, s[0:1]
	flat_store_dwordx4 v[7:8], v[14:17]
.LBB854_10:
	s_or_b64 exec, exec, s[2:3]
	v_cmp_le_i32_e64 s[0:1], v2, v3
	s_and_b64 s[0:1], vcc, s[0:1]
	s_and_saveexec_b64 s[2:3], s[0:1]
	s_cbranch_execz .LBB854_12
; %bb.11:
	v_ashrrev_i32_e32 v3, 31, v2
	v_lshlrev_b64 v[1:2], 4, v[2:3]
	v_add_co_u32_e32 v14, vcc, v5, v1
	v_addc_co_u32_e32 v15, vcc, v6, v2, vcc
	flat_load_dwordx4 v[5:8], v[14:15]
	v_cmp_ne_u32_e32 vcc, v4, v0
	s_waitcnt vmcnt(0) lgkmcnt(0)
	v_add_f64 v[7:8], v[10:11], v[7:8]
	v_add_f64 v[1:2], v[12:13], v[5:6]
	v_cndmask_b32_e32 v4, 0, v8, vcc
	v_cndmask_b32_e32 v3, 0, v7, vcc
	flat_store_dwordx4 v[14:15], v[1:4]
.LBB854_12:
	s_endpgm
	.section	.rodata,"a",@progbits
	.p2align	6, 0x0
	.amdhsa_kernel _ZL37rocblas_syrkx_herkx_restricted_kernelIi19rocblas_complex_numIdELi16ELi32ELi8ELi1ELi1ELb1ELc78ELc85EKPKS1_KPS1_EviT_PT9_S7_lS9_S7_lPT10_S7_li
		.amdhsa_group_segment_fixed_size 8192
		.amdhsa_private_segment_fixed_size 0
		.amdhsa_kernarg_size 84
		.amdhsa_user_sgpr_count 6
		.amdhsa_user_sgpr_private_segment_buffer 1
		.amdhsa_user_sgpr_dispatch_ptr 0
		.amdhsa_user_sgpr_queue_ptr 0
		.amdhsa_user_sgpr_kernarg_segment_ptr 1
		.amdhsa_user_sgpr_dispatch_id 0
		.amdhsa_user_sgpr_flat_scratch_init 0
		.amdhsa_user_sgpr_private_segment_size 0
		.amdhsa_uses_dynamic_stack 0
		.amdhsa_system_sgpr_private_segment_wavefront_offset 0
		.amdhsa_system_sgpr_workgroup_id_x 1
		.amdhsa_system_sgpr_workgroup_id_y 1
		.amdhsa_system_sgpr_workgroup_id_z 1
		.amdhsa_system_sgpr_workgroup_info 0
		.amdhsa_system_vgpr_workitem_id 1
		.amdhsa_next_free_vgpr 54
		.amdhsa_next_free_sgpr 61
		.amdhsa_reserve_vcc 1
		.amdhsa_reserve_flat_scratch 0
		.amdhsa_float_round_mode_32 0
		.amdhsa_float_round_mode_16_64 0
		.amdhsa_float_denorm_mode_32 3
		.amdhsa_float_denorm_mode_16_64 3
		.amdhsa_dx10_clamp 1
		.amdhsa_ieee_mode 1
		.amdhsa_fp16_overflow 0
		.amdhsa_exception_fp_ieee_invalid_op 0
		.amdhsa_exception_fp_denorm_src 0
		.amdhsa_exception_fp_ieee_div_zero 0
		.amdhsa_exception_fp_ieee_overflow 0
		.amdhsa_exception_fp_ieee_underflow 0
		.amdhsa_exception_fp_ieee_inexact 0
		.amdhsa_exception_int_div_zero 0
	.end_amdhsa_kernel
	.section	.text._ZL37rocblas_syrkx_herkx_restricted_kernelIi19rocblas_complex_numIdELi16ELi32ELi8ELi1ELi1ELb1ELc78ELc85EKPKS1_KPS1_EviT_PT9_S7_lS9_S7_lPT10_S7_li,"axG",@progbits,_ZL37rocblas_syrkx_herkx_restricted_kernelIi19rocblas_complex_numIdELi16ELi32ELi8ELi1ELi1ELb1ELc78ELc85EKPKS1_KPS1_EviT_PT9_S7_lS9_S7_lPT10_S7_li,comdat
.Lfunc_end854:
	.size	_ZL37rocblas_syrkx_herkx_restricted_kernelIi19rocblas_complex_numIdELi16ELi32ELi8ELi1ELi1ELb1ELc78ELc85EKPKS1_KPS1_EviT_PT9_S7_lS9_S7_lPT10_S7_li, .Lfunc_end854-_ZL37rocblas_syrkx_herkx_restricted_kernelIi19rocblas_complex_numIdELi16ELi32ELi8ELi1ELi1ELb1ELc78ELc85EKPKS1_KPS1_EviT_PT9_S7_lS9_S7_lPT10_S7_li
                                        ; -- End function
	.set _ZL37rocblas_syrkx_herkx_restricted_kernelIi19rocblas_complex_numIdELi16ELi32ELi8ELi1ELi1ELb1ELc78ELc85EKPKS1_KPS1_EviT_PT9_S7_lS9_S7_lPT10_S7_li.num_vgpr, 54
	.set _ZL37rocblas_syrkx_herkx_restricted_kernelIi19rocblas_complex_numIdELi16ELi32ELi8ELi1ELi1ELb1ELc78ELc85EKPKS1_KPS1_EviT_PT9_S7_lS9_S7_lPT10_S7_li.num_agpr, 0
	.set _ZL37rocblas_syrkx_herkx_restricted_kernelIi19rocblas_complex_numIdELi16ELi32ELi8ELi1ELi1ELb1ELc78ELc85EKPKS1_KPS1_EviT_PT9_S7_lS9_S7_lPT10_S7_li.numbered_sgpr, 20
	.set _ZL37rocblas_syrkx_herkx_restricted_kernelIi19rocblas_complex_numIdELi16ELi32ELi8ELi1ELi1ELb1ELc78ELc85EKPKS1_KPS1_EviT_PT9_S7_lS9_S7_lPT10_S7_li.num_named_barrier, 0
	.set _ZL37rocblas_syrkx_herkx_restricted_kernelIi19rocblas_complex_numIdELi16ELi32ELi8ELi1ELi1ELb1ELc78ELc85EKPKS1_KPS1_EviT_PT9_S7_lS9_S7_lPT10_S7_li.private_seg_size, 0
	.set _ZL37rocblas_syrkx_herkx_restricted_kernelIi19rocblas_complex_numIdELi16ELi32ELi8ELi1ELi1ELb1ELc78ELc85EKPKS1_KPS1_EviT_PT9_S7_lS9_S7_lPT10_S7_li.uses_vcc, 1
	.set _ZL37rocblas_syrkx_herkx_restricted_kernelIi19rocblas_complex_numIdELi16ELi32ELi8ELi1ELi1ELb1ELc78ELc85EKPKS1_KPS1_EviT_PT9_S7_lS9_S7_lPT10_S7_li.uses_flat_scratch, 0
	.set _ZL37rocblas_syrkx_herkx_restricted_kernelIi19rocblas_complex_numIdELi16ELi32ELi8ELi1ELi1ELb1ELc78ELc85EKPKS1_KPS1_EviT_PT9_S7_lS9_S7_lPT10_S7_li.has_dyn_sized_stack, 0
	.set _ZL37rocblas_syrkx_herkx_restricted_kernelIi19rocblas_complex_numIdELi16ELi32ELi8ELi1ELi1ELb1ELc78ELc85EKPKS1_KPS1_EviT_PT9_S7_lS9_S7_lPT10_S7_li.has_recursion, 0
	.set _ZL37rocblas_syrkx_herkx_restricted_kernelIi19rocblas_complex_numIdELi16ELi32ELi8ELi1ELi1ELb1ELc78ELc85EKPKS1_KPS1_EviT_PT9_S7_lS9_S7_lPT10_S7_li.has_indirect_call, 0
	.section	.AMDGPU.csdata,"",@progbits
; Kernel info:
; codeLenInByte = 2920
; TotalNumSgprs: 24
; NumVgprs: 54
; ScratchSize: 0
; MemoryBound: 0
; FloatMode: 240
; IeeeMode: 1
; LDSByteSize: 8192 bytes/workgroup (compile time only)
; SGPRBlocks: 8
; VGPRBlocks: 13
; NumSGPRsForWavesPerEU: 65
; NumVGPRsForWavesPerEU: 54
; Occupancy: 4
; WaveLimiterHint : 1
; COMPUTE_PGM_RSRC2:SCRATCH_EN: 0
; COMPUTE_PGM_RSRC2:USER_SGPR: 6
; COMPUTE_PGM_RSRC2:TRAP_HANDLER: 0
; COMPUTE_PGM_RSRC2:TGID_X_EN: 1
; COMPUTE_PGM_RSRC2:TGID_Y_EN: 1
; COMPUTE_PGM_RSRC2:TGID_Z_EN: 1
; COMPUTE_PGM_RSRC2:TIDIG_COMP_CNT: 1
	.section	.text._ZL37rocblas_syrkx_herkx_restricted_kernelIi19rocblas_complex_numIdELi16ELi32ELi8ELi1ELin1ELb1ELc84ELc76EKPKS1_KPS1_EviT_PT9_S7_lS9_S7_lPT10_S7_li,"axG",@progbits,_ZL37rocblas_syrkx_herkx_restricted_kernelIi19rocblas_complex_numIdELi16ELi32ELi8ELi1ELin1ELb1ELc84ELc76EKPKS1_KPS1_EviT_PT9_S7_lS9_S7_lPT10_S7_li,comdat
	.globl	_ZL37rocblas_syrkx_herkx_restricted_kernelIi19rocblas_complex_numIdELi16ELi32ELi8ELi1ELin1ELb1ELc84ELc76EKPKS1_KPS1_EviT_PT9_S7_lS9_S7_lPT10_S7_li ; -- Begin function _ZL37rocblas_syrkx_herkx_restricted_kernelIi19rocblas_complex_numIdELi16ELi32ELi8ELi1ELin1ELb1ELc84ELc76EKPKS1_KPS1_EviT_PT9_S7_lS9_S7_lPT10_S7_li
	.p2align	8
	.type	_ZL37rocblas_syrkx_herkx_restricted_kernelIi19rocblas_complex_numIdELi16ELi32ELi8ELi1ELin1ELb1ELc84ELc76EKPKS1_KPS1_EviT_PT9_S7_lS9_S7_lPT10_S7_li,@function
_ZL37rocblas_syrkx_herkx_restricted_kernelIi19rocblas_complex_numIdELi16ELi32ELi8ELi1ELin1ELb1ELc84ELc76EKPKS1_KPS1_EviT_PT9_S7_lS9_S7_lPT10_S7_li: ; @_ZL37rocblas_syrkx_herkx_restricted_kernelIi19rocblas_complex_numIdELi16ELi32ELi8ELi1ELin1ELb1ELc84ELc76EKPKS1_KPS1_EviT_PT9_S7_lS9_S7_lPT10_S7_li
; %bb.0:
	s_load_dwordx2 s[2:3], s[4:5], 0x38
	s_load_dwordx2 s[12:13], s[4:5], 0x0
	s_mov_b32 s9, 0
	s_lshl_b64 s[0:1], s[8:9], 3
	s_waitcnt lgkmcnt(0)
	s_add_u32 s2, s2, s0
	s_addc_u32 s3, s3, s1
	s_load_dwordx2 s[10:11], s[2:3], 0x0
	s_lshl_b32 s2, s6, 5
	s_lshl_b32 s3, s7, 5
	s_cmp_lt_i32 s13, 1
	s_cbranch_scc1 .LBB855_3
; %bb.1:
	s_load_dwordx2 s[6:7], s[4:5], 0x8
	s_load_dword s8, s[4:5], 0x10
	s_load_dwordx2 s[14:15], s[4:5], 0x20
	s_load_dword s16, s[4:5], 0x28
	v_lshl_add_u32 v6, v1, 4, v0
	s_waitcnt lgkmcnt(0)
	s_add_u32 s6, s6, s0
	s_addc_u32 s7, s7, s1
	v_lshrrev_b32_e32 v8, 3, v6
	s_add_u32 s0, s14, s0
	v_add_u32_e32 v4, s3, v8
	v_and_b32_e32 v2, 7, v0
	v_mov_b32_e32 v3, 0
	s_addc_u32 s1, s15, s1
	v_mad_i64_i32 v[4:5], s[14:15], s16, v4, v[2:3]
	v_and_b32_e32 v9, 31, v6
	v_lshlrev_b32_e32 v2, 4, v2
	v_lshrrev_b32_e32 v6, 5, v6
	v_mov_b32_e32 v7, v3
	v_lshlrev_b32_e32 v3, 4, v9
	v_lshl_or_b32 v8, v8, 7, v2
	v_add_u32_e32 v2, s2, v9
	v_lshl_or_b32 v22, v6, 9, v3
	v_mad_i64_i32 v[2:3], s[14:15], s8, v2, v[6:7]
	s_load_dwordx2 s[6:7], s[6:7], 0x0
	v_lshlrev_b64 v[4:5], 4, v[4:5]
	s_load_dwordx2 s[0:1], s[0:1], 0x0
	v_lshlrev_b64 v[2:3], 4, v[2:3]
	v_add_u32_e32 v23, 0x1000, v8
	s_waitcnt lgkmcnt(0)
	v_mov_b32_e32 v6, s7
	v_add_co_u32_e32 v2, vcc, s6, v2
	v_addc_co_u32_e32 v3, vcc, v6, v3, vcc
	v_mov_b32_e32 v6, s1
	v_add_co_u32_e32 v4, vcc, s0, v4
	v_mov_b32_e32 v25, 0x1000
	v_addc_co_u32_e32 v5, vcc, v6, v5, vcc
	v_mov_b32_e32 v10, 0
	v_mov_b32_e32 v12, 0
	;; [unrolled: 1-line block ×8, first 2 shown]
	v_lshlrev_b32_e32 v24, 4, v0
	v_mov_b32_e32 v11, 0
	v_mov_b32_e32 v13, 0
	;; [unrolled: 1-line block ×8, first 2 shown]
	v_lshl_add_u32 v25, v1, 7, v25
.LBB855_2:                              ; =>This Inner Loop Header: Depth=1
	flat_load_dwordx4 v[26:29], v[2:3]
	v_add_co_u32_e32 v2, vcc, 0x80, v2
	v_addc_co_u32_e32 v3, vcc, 0, v3, vcc
	s_add_i32 s9, s9, 8
	s_cmp_ge_i32 s9, s13
	s_waitcnt vmcnt(0) lgkmcnt(0)
	ds_write_b128 v22, v[26:29]
	flat_load_dwordx4 v[26:29], v[4:5]
	v_add_co_u32_e32 v4, vcc, 0x80, v4
	v_addc_co_u32_e32 v5, vcc, 0, v5, vcc
	s_waitcnt vmcnt(0) lgkmcnt(0)
	ds_write_b128 v23, v[26:29]
	s_waitcnt lgkmcnt(0)
	s_barrier
	ds_read_b128 v[26:29], v25
	ds_read_b128 v[30:33], v25 offset:16
	ds_read_b128 v[34:37], v25 offset:32
	;; [unrolled: 1-line block ×3, first 2 shown]
	ds_read_b128 v[42:45], v24
	s_waitcnt lgkmcnt(0)
	v_mul_f64 v[46:47], v[28:29], v[44:45]
	v_mul_f64 v[48:49], v[26:27], v[44:45]
	v_fma_f64 v[46:47], v[26:27], v[42:43], -v[46:47]
	v_fma_f64 v[48:49], v[28:29], v[42:43], v[48:49]
	v_add_f64 v[14:15], v[14:15], v[46:47]
	v_add_f64 v[18:19], v[48:49], v[18:19]
	ds_read_b128 v[46:49], v24 offset:256
	s_waitcnt lgkmcnt(0)
	v_mul_f64 v[50:51], v[28:29], v[48:49]
	v_fma_f64 v[50:51], v[26:27], v[46:47], -v[50:51]
	v_mul_f64 v[26:27], v[26:27], v[48:49]
	v_fma_f64 v[26:27], v[28:29], v[46:47], v[26:27]
	v_add_f64 v[28:29], v[6:7], v[50:51]
	v_add_f64 v[26:27], v[26:27], v[8:9]
	ds_read_b128 v[6:9], v25 offset:2048
	s_waitcnt lgkmcnt(0)
	v_mul_f64 v[50:51], v[8:9], v[44:45]
	v_mul_f64 v[44:45], v[6:7], v[44:45]
	v_fma_f64 v[50:51], v[6:7], v[42:43], -v[50:51]
	v_fma_f64 v[42:43], v[8:9], v[42:43], v[44:45]
	v_add_f64 v[44:45], v[16:17], v[50:51]
	v_mul_f64 v[16:17], v[8:9], v[48:49]
	v_add_f64 v[20:21], v[42:43], v[20:21]
	v_fma_f64 v[16:17], v[6:7], v[46:47], -v[16:17]
	v_mul_f64 v[6:7], v[6:7], v[48:49]
	v_add_f64 v[42:43], v[12:13], v[16:17]
	v_fma_f64 v[6:7], v[8:9], v[46:47], v[6:7]
	v_add_f64 v[46:47], v[6:7], v[10:11]
	ds_read_b128 v[6:9], v24 offset:512
	s_waitcnt lgkmcnt(0)
	v_mul_f64 v[10:11], v[32:33], v[8:9]
	v_mul_f64 v[12:13], v[30:31], v[8:9]
	v_fma_f64 v[10:11], v[30:31], v[6:7], -v[10:11]
	v_fma_f64 v[12:13], v[32:33], v[6:7], v[12:13]
	v_add_f64 v[48:49], v[14:15], v[10:11]
	v_add_f64 v[18:19], v[12:13], v[18:19]
	ds_read_b128 v[10:13], v24 offset:768
	s_waitcnt lgkmcnt(0)
	v_mul_f64 v[14:15], v[32:33], v[12:13]
	v_mul_f64 v[16:17], v[30:31], v[12:13]
	v_fma_f64 v[14:15], v[30:31], v[10:11], -v[14:15]
	v_fma_f64 v[16:17], v[32:33], v[10:11], v[16:17]
	v_add_f64 v[28:29], v[28:29], v[14:15]
	v_add_f64 v[26:27], v[16:17], v[26:27]
	ds_read_b128 v[14:17], v25 offset:2064
	s_waitcnt lgkmcnt(0)
	v_mul_f64 v[30:31], v[16:17], v[8:9]
	v_mul_f64 v[8:9], v[14:15], v[8:9]
	v_fma_f64 v[30:31], v[14:15], v[6:7], -v[30:31]
	v_fma_f64 v[6:7], v[16:17], v[6:7], v[8:9]
	v_mul_f64 v[8:9], v[14:15], v[12:13]
	v_add_f64 v[30:31], v[44:45], v[30:31]
	v_add_f64 v[20:21], v[6:7], v[20:21]
	v_mul_f64 v[6:7], v[16:17], v[12:13]
	v_fma_f64 v[8:9], v[16:17], v[10:11], v[8:9]
	v_fma_f64 v[6:7], v[14:15], v[10:11], -v[6:7]
	v_add_f64 v[32:33], v[42:43], v[6:7]
	v_add_f64 v[42:43], v[8:9], v[46:47]
	ds_read_b128 v[6:9], v24 offset:1024
	s_waitcnt lgkmcnt(0)
	v_mul_f64 v[10:11], v[36:37], v[8:9]
	v_mul_f64 v[12:13], v[34:35], v[8:9]
	v_fma_f64 v[10:11], v[34:35], v[6:7], -v[10:11]
	v_fma_f64 v[12:13], v[36:37], v[6:7], v[12:13]
	v_add_f64 v[44:45], v[48:49], v[10:11]
	v_add_f64 v[18:19], v[12:13], v[18:19]
	ds_read_b128 v[10:13], v24 offset:1280
	s_waitcnt lgkmcnt(0)
	v_mul_f64 v[14:15], v[36:37], v[12:13]
	v_mul_f64 v[16:17], v[34:35], v[12:13]
	v_fma_f64 v[14:15], v[34:35], v[10:11], -v[14:15]
	v_fma_f64 v[16:17], v[36:37], v[10:11], v[16:17]
	v_add_f64 v[28:29], v[28:29], v[14:15]
	v_add_f64 v[26:27], v[16:17], v[26:27]
	ds_read_b128 v[14:17], v25 offset:2080
	s_waitcnt lgkmcnt(0)
	v_mul_f64 v[34:35], v[16:17], v[8:9]
	v_mul_f64 v[8:9], v[14:15], v[8:9]
	v_fma_f64 v[34:35], v[14:15], v[6:7], -v[34:35]
	v_fma_f64 v[6:7], v[16:17], v[6:7], v[8:9]
	v_mul_f64 v[8:9], v[14:15], v[12:13]
	v_add_f64 v[30:31], v[30:31], v[34:35]
	v_add_f64 v[20:21], v[6:7], v[20:21]
	v_mul_f64 v[6:7], v[16:17], v[12:13]
	v_fma_f64 v[8:9], v[16:17], v[10:11], v[8:9]
	v_fma_f64 v[6:7], v[14:15], v[10:11], -v[6:7]
	v_add_f64 v[34:35], v[8:9], v[42:43]
	;; [unrolled: 30-line block ×3, first 2 shown]
	v_add_f64 v[32:33], v[32:33], v[6:7]
	ds_read_b128 v[6:9], v25 offset:64
	ds_read_b128 v[10:13], v24 offset:2048
	s_waitcnt lgkmcnt(0)
	v_mul_f64 v[14:15], v[8:9], v[12:13]
	v_mul_f64 v[16:17], v[6:7], v[12:13]
	v_fma_f64 v[14:15], v[6:7], v[10:11], -v[14:15]
	v_fma_f64 v[16:17], v[8:9], v[10:11], v[16:17]
	v_add_f64 v[36:37], v[36:37], v[14:15]
	v_add_f64 v[18:19], v[16:17], v[18:19]
	ds_read_b128 v[14:17], v24 offset:2304
	s_waitcnt lgkmcnt(0)
	v_mul_f64 v[38:39], v[8:9], v[16:17]
	v_fma_f64 v[38:39], v[6:7], v[14:15], -v[38:39]
	v_mul_f64 v[6:7], v[6:7], v[16:17]
	v_add_f64 v[28:29], v[28:29], v[38:39]
	v_fma_f64 v[6:7], v[8:9], v[14:15], v[6:7]
	v_add_f64 v[26:27], v[6:7], v[26:27]
	ds_read_b128 v[6:9], v25 offset:2112
	s_waitcnt lgkmcnt(0)
	v_mul_f64 v[38:39], v[8:9], v[12:13]
	v_mul_f64 v[12:13], v[6:7], v[12:13]
	v_fma_f64 v[38:39], v[6:7], v[10:11], -v[38:39]
	v_fma_f64 v[10:11], v[8:9], v[10:11], v[12:13]
	v_add_f64 v[30:31], v[30:31], v[38:39]
	v_add_f64 v[20:21], v[10:11], v[20:21]
	v_mul_f64 v[10:11], v[8:9], v[16:17]
	v_fma_f64 v[10:11], v[6:7], v[14:15], -v[10:11]
	v_mul_f64 v[6:7], v[6:7], v[16:17]
	v_add_f64 v[32:33], v[32:33], v[10:11]
	v_fma_f64 v[6:7], v[8:9], v[14:15], v[6:7]
	v_add_f64 v[34:35], v[6:7], v[34:35]
	ds_read_b128 v[6:9], v25 offset:80
	ds_read_b128 v[10:13], v24 offset:2560
	s_waitcnt lgkmcnt(0)
	v_mul_f64 v[14:15], v[8:9], v[12:13]
	v_mul_f64 v[16:17], v[6:7], v[12:13]
	v_fma_f64 v[14:15], v[6:7], v[10:11], -v[14:15]
	v_fma_f64 v[16:17], v[8:9], v[10:11], v[16:17]
	v_add_f64 v[36:37], v[36:37], v[14:15]
	v_add_f64 v[18:19], v[16:17], v[18:19]
	ds_read_b128 v[14:17], v24 offset:2816
	s_waitcnt lgkmcnt(0)
	v_mul_f64 v[38:39], v[8:9], v[16:17]
	v_fma_f64 v[38:39], v[6:7], v[14:15], -v[38:39]
	v_mul_f64 v[6:7], v[6:7], v[16:17]
	v_add_f64 v[28:29], v[28:29], v[38:39]
	v_fma_f64 v[6:7], v[8:9], v[14:15], v[6:7]
	v_add_f64 v[26:27], v[6:7], v[26:27]
	ds_read_b128 v[6:9], v25 offset:2128
	s_waitcnt lgkmcnt(0)
	v_mul_f64 v[38:39], v[8:9], v[12:13]
	v_mul_f64 v[12:13], v[6:7], v[12:13]
	v_fma_f64 v[38:39], v[6:7], v[10:11], -v[38:39]
	v_fma_f64 v[10:11], v[8:9], v[10:11], v[12:13]
	v_add_f64 v[30:31], v[30:31], v[38:39]
	v_add_f64 v[20:21], v[10:11], v[20:21]
	v_mul_f64 v[10:11], v[8:9], v[16:17]
	v_fma_f64 v[10:11], v[6:7], v[14:15], -v[10:11]
	v_mul_f64 v[6:7], v[6:7], v[16:17]
	v_add_f64 v[32:33], v[32:33], v[10:11]
	v_fma_f64 v[6:7], v[8:9], v[14:15], v[6:7]
	;; [unrolled: 31-line block ×3, first 2 shown]
	v_add_f64 v[34:35], v[6:7], v[34:35]
	ds_read_b128 v[6:9], v25 offset:112
	ds_read_b128 v[10:13], v24 offset:3584
	;; [unrolled: 1-line block ×4, first 2 shown]
	s_waitcnt lgkmcnt(0)
	s_barrier
	v_mul_f64 v[16:17], v[6:7], v[12:13]
	v_mul_f64 v[14:15], v[8:9], v[12:13]
	v_fma_f64 v[16:17], v[8:9], v[10:11], v[16:17]
	v_fma_f64 v[14:15], v[6:7], v[10:11], -v[14:15]
	v_add_f64 v[18:19], v[16:17], v[18:19]
	v_mul_f64 v[16:17], v[8:9], v[28:29]
	v_add_f64 v[14:15], v[36:37], v[14:15]
	v_fma_f64 v[16:17], v[6:7], v[26:27], -v[16:17]
	v_mul_f64 v[6:7], v[6:7], v[28:29]
	v_fma_f64 v[8:9], v[8:9], v[26:27], v[6:7]
	v_add_f64 v[6:7], v[38:39], v[16:17]
	v_mul_f64 v[16:17], v[32:33], v[12:13]
	v_mul_f64 v[12:13], v[30:31], v[12:13]
	v_add_f64 v[8:9], v[8:9], v[40:41]
	v_fma_f64 v[16:17], v[30:31], v[10:11], -v[16:17]
	v_fma_f64 v[10:11], v[32:33], v[10:11], v[12:13]
	v_mul_f64 v[12:13], v[30:31], v[28:29]
	v_add_f64 v[16:17], v[42:43], v[16:17]
	v_add_f64 v[20:21], v[10:11], v[20:21]
	v_mul_f64 v[10:11], v[32:33], v[28:29]
	v_fma_f64 v[10:11], v[30:31], v[26:27], -v[10:11]
	v_fma_f64 v[26:27], v[32:33], v[26:27], v[12:13]
	v_add_f64 v[12:13], v[44:45], v[10:11]
	v_add_f64 v[10:11], v[26:27], v[34:35]
	s_cbranch_scc0 .LBB855_2
	s_branch .LBB855_4
.LBB855_3:
	v_mov_b32_e32 v14, 0
	v_mov_b32_e32 v18, 0
	;; [unrolled: 1-line block ×16, first 2 shown]
.LBB855_4:
	s_load_dword s6, s[4:5], 0x40
	v_add_u32_e32 v4, s3, v1
	s_waitcnt lgkmcnt(0)
	v_mov_b32_e32 v3, s11
	v_add_u32_e32 v0, s2, v0
	v_mad_i64_i32 v[1:2], s[0:1], v4, s6, 0
	v_cmp_le_i32_e64 s[0:1], v4, v0
	v_lshlrev_b64 v[1:2], 4, v[1:2]
	v_add_co_u32_e32 v5, vcc, s10, v1
	v_addc_co_u32_e32 v22, vcc, v3, v2, vcc
	v_cmp_gt_i32_e32 vcc, s12, v0
	s_and_b64 s[0:1], s[0:1], vcc
	s_and_saveexec_b64 s[2:3], s[0:1]
	s_cbranch_execz .LBB855_6
; %bb.5:
	v_ashrrev_i32_e32 v1, 31, v0
	v_lshlrev_b64 v[1:2], 4, v[0:1]
	v_add_co_u32_e64 v1, s[0:1], v5, v1
	v_addc_co_u32_e64 v2, s[0:1], v22, v2, s[0:1]
	flat_load_dwordx4 v[23:26], v[1:2]
	v_cmp_ne_u32_e64 s[0:1], v4, v0
	s_waitcnt vmcnt(0) lgkmcnt(0)
	v_add_f64 v[18:19], v[18:19], -v[25:26]
	v_add_f64 v[23:24], v[14:15], -v[23:24]
	v_cndmask_b32_e64 v26, 0, v19, s[0:1]
	v_cndmask_b32_e64 v25, 0, v18, s[0:1]
	flat_store_dwordx4 v[1:2], v[23:26]
.LBB855_6:
	s_or_b64 exec, exec, s[2:3]
	v_add_u32_e32 v2, 16, v0
	v_cmp_le_i32_e64 s[2:3], v4, v2
	v_cmp_gt_i32_e64 s[0:1], s12, v2
	s_and_b64 s[2:3], s[2:3], s[0:1]
	s_and_saveexec_b64 s[4:5], s[2:3]
	s_cbranch_execz .LBB855_8
; %bb.7:
	v_ashrrev_i32_e32 v3, 31, v2
	v_lshlrev_b64 v[14:15], 4, v[2:3]
	v_add_co_u32_e64 v14, s[2:3], v5, v14
	v_addc_co_u32_e64 v15, s[2:3], v22, v15, s[2:3]
	flat_load_dwordx4 v[22:25], v[14:15]
	v_cmp_ne_u32_e64 s[2:3], v4, v2
	s_waitcnt vmcnt(0) lgkmcnt(0)
	v_add_f64 v[18:19], v[8:9], -v[24:25]
	v_add_f64 v[5:6], v[6:7], -v[22:23]
	v_cndmask_b32_e64 v8, 0, v19, s[2:3]
	v_cndmask_b32_e64 v7, 0, v18, s[2:3]
	flat_store_dwordx4 v[14:15], v[5:8]
.LBB855_8:
	s_or_b64 exec, exec, s[4:5]
	v_add_u32_e32 v3, 16, v4
	v_mad_i64_i32 v[5:6], s[2:3], v3, s6, 0
	v_mov_b32_e32 v1, s11
	v_lshlrev_b64 v[5:6], 4, v[5:6]
	v_add_co_u32_e64 v5, s[2:3], s10, v5
	v_addc_co_u32_e64 v6, s[2:3], v1, v6, s[2:3]
	v_cmp_le_i32_e64 s[2:3], v3, v0
	s_and_b64 s[4:5], s[2:3], vcc
	s_and_saveexec_b64 s[2:3], s[4:5]
	s_cbranch_execz .LBB855_10
; %bb.9:
	v_ashrrev_i32_e32 v1, 31, v0
	v_lshlrev_b64 v[7:8], 4, v[0:1]
	v_add_co_u32_e32 v7, vcc, v5, v7
	v_addc_co_u32_e32 v8, vcc, v6, v8, vcc
	flat_load_dwordx4 v[22:25], v[7:8]
	v_cmp_ne_u32_e32 vcc, v3, v0
	s_waitcnt vmcnt(0) lgkmcnt(0)
	v_add_f64 v[18:19], v[20:21], -v[24:25]
	v_add_f64 v[14:15], v[16:17], -v[22:23]
	v_cndmask_b32_e32 v17, 0, v19, vcc
	v_cndmask_b32_e32 v16, 0, v18, vcc
	flat_store_dwordx4 v[7:8], v[14:17]
.LBB855_10:
	s_or_b64 exec, exec, s[2:3]
	v_cmp_le_i32_e32 vcc, v3, v2
	s_and_b64 s[0:1], vcc, s[0:1]
	s_and_saveexec_b64 s[2:3], s[0:1]
	s_cbranch_execz .LBB855_12
; %bb.11:
	v_ashrrev_i32_e32 v3, 31, v2
	v_lshlrev_b64 v[1:2], 4, v[2:3]
	v_add_co_u32_e32 v14, vcc, v5, v1
	v_addc_co_u32_e32 v15, vcc, v6, v2, vcc
	flat_load_dwordx4 v[5:8], v[14:15]
	v_cmp_ne_u32_e32 vcc, v4, v0
	s_waitcnt vmcnt(0) lgkmcnt(0)
	v_add_f64 v[7:8], v[10:11], -v[7:8]
	v_add_f64 v[1:2], v[12:13], -v[5:6]
	v_cndmask_b32_e32 v4, 0, v8, vcc
	v_cndmask_b32_e32 v3, 0, v7, vcc
	flat_store_dwordx4 v[14:15], v[1:4]
.LBB855_12:
	s_endpgm
	.section	.rodata,"a",@progbits
	.p2align	6, 0x0
	.amdhsa_kernel _ZL37rocblas_syrkx_herkx_restricted_kernelIi19rocblas_complex_numIdELi16ELi32ELi8ELi1ELin1ELb1ELc84ELc76EKPKS1_KPS1_EviT_PT9_S7_lS9_S7_lPT10_S7_li
		.amdhsa_group_segment_fixed_size 8192
		.amdhsa_private_segment_fixed_size 0
		.amdhsa_kernarg_size 84
		.amdhsa_user_sgpr_count 6
		.amdhsa_user_sgpr_private_segment_buffer 1
		.amdhsa_user_sgpr_dispatch_ptr 0
		.amdhsa_user_sgpr_queue_ptr 0
		.amdhsa_user_sgpr_kernarg_segment_ptr 1
		.amdhsa_user_sgpr_dispatch_id 0
		.amdhsa_user_sgpr_flat_scratch_init 0
		.amdhsa_user_sgpr_private_segment_size 0
		.amdhsa_uses_dynamic_stack 0
		.amdhsa_system_sgpr_private_segment_wavefront_offset 0
		.amdhsa_system_sgpr_workgroup_id_x 1
		.amdhsa_system_sgpr_workgroup_id_y 1
		.amdhsa_system_sgpr_workgroup_id_z 1
		.amdhsa_system_sgpr_workgroup_info 0
		.amdhsa_system_vgpr_workitem_id 1
		.amdhsa_next_free_vgpr 52
		.amdhsa_next_free_sgpr 61
		.amdhsa_reserve_vcc 1
		.amdhsa_reserve_flat_scratch 0
		.amdhsa_float_round_mode_32 0
		.amdhsa_float_round_mode_16_64 0
		.amdhsa_float_denorm_mode_32 3
		.amdhsa_float_denorm_mode_16_64 3
		.amdhsa_dx10_clamp 1
		.amdhsa_ieee_mode 1
		.amdhsa_fp16_overflow 0
		.amdhsa_exception_fp_ieee_invalid_op 0
		.amdhsa_exception_fp_denorm_src 0
		.amdhsa_exception_fp_ieee_div_zero 0
		.amdhsa_exception_fp_ieee_overflow 0
		.amdhsa_exception_fp_ieee_underflow 0
		.amdhsa_exception_fp_ieee_inexact 0
		.amdhsa_exception_int_div_zero 0
	.end_amdhsa_kernel
	.section	.text._ZL37rocblas_syrkx_herkx_restricted_kernelIi19rocblas_complex_numIdELi16ELi32ELi8ELi1ELin1ELb1ELc84ELc76EKPKS1_KPS1_EviT_PT9_S7_lS9_S7_lPT10_S7_li,"axG",@progbits,_ZL37rocblas_syrkx_herkx_restricted_kernelIi19rocblas_complex_numIdELi16ELi32ELi8ELi1ELin1ELb1ELc84ELc76EKPKS1_KPS1_EviT_PT9_S7_lS9_S7_lPT10_S7_li,comdat
.Lfunc_end855:
	.size	_ZL37rocblas_syrkx_herkx_restricted_kernelIi19rocblas_complex_numIdELi16ELi32ELi8ELi1ELin1ELb1ELc84ELc76EKPKS1_KPS1_EviT_PT9_S7_lS9_S7_lPT10_S7_li, .Lfunc_end855-_ZL37rocblas_syrkx_herkx_restricted_kernelIi19rocblas_complex_numIdELi16ELi32ELi8ELi1ELin1ELb1ELc84ELc76EKPKS1_KPS1_EviT_PT9_S7_lS9_S7_lPT10_S7_li
                                        ; -- End function
	.set _ZL37rocblas_syrkx_herkx_restricted_kernelIi19rocblas_complex_numIdELi16ELi32ELi8ELi1ELin1ELb1ELc84ELc76EKPKS1_KPS1_EviT_PT9_S7_lS9_S7_lPT10_S7_li.num_vgpr, 52
	.set _ZL37rocblas_syrkx_herkx_restricted_kernelIi19rocblas_complex_numIdELi16ELi32ELi8ELi1ELin1ELb1ELc84ELc76EKPKS1_KPS1_EviT_PT9_S7_lS9_S7_lPT10_S7_li.num_agpr, 0
	.set _ZL37rocblas_syrkx_herkx_restricted_kernelIi19rocblas_complex_numIdELi16ELi32ELi8ELi1ELin1ELb1ELc84ELc76EKPKS1_KPS1_EviT_PT9_S7_lS9_S7_lPT10_S7_li.numbered_sgpr, 17
	.set _ZL37rocblas_syrkx_herkx_restricted_kernelIi19rocblas_complex_numIdELi16ELi32ELi8ELi1ELin1ELb1ELc84ELc76EKPKS1_KPS1_EviT_PT9_S7_lS9_S7_lPT10_S7_li.num_named_barrier, 0
	.set _ZL37rocblas_syrkx_herkx_restricted_kernelIi19rocblas_complex_numIdELi16ELi32ELi8ELi1ELin1ELb1ELc84ELc76EKPKS1_KPS1_EviT_PT9_S7_lS9_S7_lPT10_S7_li.private_seg_size, 0
	.set _ZL37rocblas_syrkx_herkx_restricted_kernelIi19rocblas_complex_numIdELi16ELi32ELi8ELi1ELin1ELb1ELc84ELc76EKPKS1_KPS1_EviT_PT9_S7_lS9_S7_lPT10_S7_li.uses_vcc, 1
	.set _ZL37rocblas_syrkx_herkx_restricted_kernelIi19rocblas_complex_numIdELi16ELi32ELi8ELi1ELin1ELb1ELc84ELc76EKPKS1_KPS1_EviT_PT9_S7_lS9_S7_lPT10_S7_li.uses_flat_scratch, 0
	.set _ZL37rocblas_syrkx_herkx_restricted_kernelIi19rocblas_complex_numIdELi16ELi32ELi8ELi1ELin1ELb1ELc84ELc76EKPKS1_KPS1_EviT_PT9_S7_lS9_S7_lPT10_S7_li.has_dyn_sized_stack, 0
	.set _ZL37rocblas_syrkx_herkx_restricted_kernelIi19rocblas_complex_numIdELi16ELi32ELi8ELi1ELin1ELb1ELc84ELc76EKPKS1_KPS1_EviT_PT9_S7_lS9_S7_lPT10_S7_li.has_recursion, 0
	.set _ZL37rocblas_syrkx_herkx_restricted_kernelIi19rocblas_complex_numIdELi16ELi32ELi8ELi1ELin1ELb1ELc84ELc76EKPKS1_KPS1_EviT_PT9_S7_lS9_S7_lPT10_S7_li.has_indirect_call, 0
	.section	.AMDGPU.csdata,"",@progbits
; Kernel info:
; codeLenInByte = 2888
; TotalNumSgprs: 21
; NumVgprs: 52
; ScratchSize: 0
; MemoryBound: 0
; FloatMode: 240
; IeeeMode: 1
; LDSByteSize: 8192 bytes/workgroup (compile time only)
; SGPRBlocks: 8
; VGPRBlocks: 12
; NumSGPRsForWavesPerEU: 65
; NumVGPRsForWavesPerEU: 52
; Occupancy: 4
; WaveLimiterHint : 1
; COMPUTE_PGM_RSRC2:SCRATCH_EN: 0
; COMPUTE_PGM_RSRC2:USER_SGPR: 6
; COMPUTE_PGM_RSRC2:TRAP_HANDLER: 0
; COMPUTE_PGM_RSRC2:TGID_X_EN: 1
; COMPUTE_PGM_RSRC2:TGID_Y_EN: 1
; COMPUTE_PGM_RSRC2:TGID_Z_EN: 1
; COMPUTE_PGM_RSRC2:TIDIG_COMP_CNT: 1
	.section	.text._ZL37rocblas_syrkx_herkx_restricted_kernelIi19rocblas_complex_numIdELi16ELi32ELi8ELi1ELin1ELb1ELc67ELc76EKPKS1_KPS1_EviT_PT9_S7_lS9_S7_lPT10_S7_li,"axG",@progbits,_ZL37rocblas_syrkx_herkx_restricted_kernelIi19rocblas_complex_numIdELi16ELi32ELi8ELi1ELin1ELb1ELc67ELc76EKPKS1_KPS1_EviT_PT9_S7_lS9_S7_lPT10_S7_li,comdat
	.globl	_ZL37rocblas_syrkx_herkx_restricted_kernelIi19rocblas_complex_numIdELi16ELi32ELi8ELi1ELin1ELb1ELc67ELc76EKPKS1_KPS1_EviT_PT9_S7_lS9_S7_lPT10_S7_li ; -- Begin function _ZL37rocblas_syrkx_herkx_restricted_kernelIi19rocblas_complex_numIdELi16ELi32ELi8ELi1ELin1ELb1ELc67ELc76EKPKS1_KPS1_EviT_PT9_S7_lS9_S7_lPT10_S7_li
	.p2align	8
	.type	_ZL37rocblas_syrkx_herkx_restricted_kernelIi19rocblas_complex_numIdELi16ELi32ELi8ELi1ELin1ELb1ELc67ELc76EKPKS1_KPS1_EviT_PT9_S7_lS9_S7_lPT10_S7_li,@function
_ZL37rocblas_syrkx_herkx_restricted_kernelIi19rocblas_complex_numIdELi16ELi32ELi8ELi1ELin1ELb1ELc67ELc76EKPKS1_KPS1_EviT_PT9_S7_lS9_S7_lPT10_S7_li: ; @_ZL37rocblas_syrkx_herkx_restricted_kernelIi19rocblas_complex_numIdELi16ELi32ELi8ELi1ELin1ELb1ELc67ELc76EKPKS1_KPS1_EviT_PT9_S7_lS9_S7_lPT10_S7_li
; %bb.0:
	s_load_dwordx2 s[2:3], s[4:5], 0x38
	s_load_dwordx2 s[12:13], s[4:5], 0x0
	s_mov_b32 s9, 0
	s_lshl_b64 s[0:1], s[8:9], 3
	s_waitcnt lgkmcnt(0)
	s_add_u32 s2, s2, s0
	s_addc_u32 s3, s3, s1
	s_load_dwordx2 s[10:11], s[2:3], 0x0
	s_lshl_b32 s2, s6, 5
	s_lshl_b32 s3, s7, 5
	s_cmp_lt_i32 s13, 1
	s_cbranch_scc1 .LBB856_3
; %bb.1:
	s_load_dwordx2 s[6:7], s[4:5], 0x8
	s_load_dword s8, s[4:5], 0x10
	s_load_dwordx2 s[14:15], s[4:5], 0x20
	s_load_dword s16, s[4:5], 0x28
	v_lshl_add_u32 v6, v1, 4, v0
	s_waitcnt lgkmcnt(0)
	s_add_u32 s6, s6, s0
	s_addc_u32 s7, s7, s1
	v_lshrrev_b32_e32 v8, 3, v6
	s_add_u32 s0, s14, s0
	v_add_u32_e32 v4, s3, v8
	v_and_b32_e32 v2, 7, v0
	v_mov_b32_e32 v3, 0
	s_addc_u32 s1, s15, s1
	v_mad_i64_i32 v[4:5], s[14:15], s16, v4, v[2:3]
	v_and_b32_e32 v9, 31, v6
	v_lshlrev_b32_e32 v2, 4, v2
	v_lshrrev_b32_e32 v6, 5, v6
	v_mov_b32_e32 v7, v3
	v_lshlrev_b32_e32 v3, 4, v9
	v_lshl_or_b32 v8, v8, 7, v2
	v_add_u32_e32 v2, s2, v9
	v_lshl_or_b32 v22, v6, 9, v3
	v_mad_i64_i32 v[2:3], s[14:15], s8, v2, v[6:7]
	s_load_dwordx2 s[6:7], s[6:7], 0x0
	v_lshlrev_b64 v[4:5], 4, v[4:5]
	s_load_dwordx2 s[0:1], s[0:1], 0x0
	v_lshlrev_b64 v[2:3], 4, v[2:3]
	v_add_u32_e32 v23, 0x1000, v8
	s_waitcnt lgkmcnt(0)
	v_mov_b32_e32 v6, s7
	v_add_co_u32_e32 v2, vcc, s6, v2
	v_addc_co_u32_e32 v3, vcc, v6, v3, vcc
	v_mov_b32_e32 v6, s1
	v_add_co_u32_e32 v4, vcc, s0, v4
	v_mov_b32_e32 v25, 0x1000
	v_addc_co_u32_e32 v5, vcc, v6, v5, vcc
	v_mov_b32_e32 v10, 0
	v_mov_b32_e32 v12, 0
	;; [unrolled: 1-line block ×8, first 2 shown]
	v_lshlrev_b32_e32 v24, 4, v0
	v_mov_b32_e32 v11, 0
	v_mov_b32_e32 v13, 0
	;; [unrolled: 1-line block ×8, first 2 shown]
	v_lshl_add_u32 v25, v1, 7, v25
.LBB856_2:                              ; =>This Inner Loop Header: Depth=1
	flat_load_dwordx4 v[26:29], v[2:3]
	v_add_co_u32_e32 v2, vcc, 0x80, v2
	v_addc_co_u32_e32 v3, vcc, 0, v3, vcc
	s_add_i32 s9, s9, 8
	s_cmp_ge_i32 s9, s13
	s_waitcnt vmcnt(0) lgkmcnt(0)
	v_xor_b32_e32 v29, 0x80000000, v29
	ds_write_b128 v22, v[26:29]
	flat_load_dwordx4 v[26:29], v[4:5]
	v_add_co_u32_e32 v4, vcc, 0x80, v4
	v_addc_co_u32_e32 v5, vcc, 0, v5, vcc
	s_waitcnt vmcnt(0) lgkmcnt(0)
	ds_write_b128 v23, v[26:29]
	s_waitcnt lgkmcnt(0)
	s_barrier
	ds_read_b128 v[26:29], v25
	ds_read_b128 v[30:33], v25 offset:16
	ds_read_b128 v[34:37], v25 offset:32
	;; [unrolled: 1-line block ×3, first 2 shown]
	ds_read_b128 v[42:45], v24
	s_waitcnt lgkmcnt(0)
	v_mul_f64 v[46:47], v[28:29], v[44:45]
	v_mul_f64 v[48:49], v[26:27], v[44:45]
	v_fma_f64 v[46:47], v[26:27], v[42:43], -v[46:47]
	v_fma_f64 v[48:49], v[28:29], v[42:43], v[48:49]
	v_add_f64 v[14:15], v[14:15], v[46:47]
	v_add_f64 v[18:19], v[48:49], v[18:19]
	ds_read_b128 v[46:49], v24 offset:256
	s_waitcnt lgkmcnt(0)
	v_mul_f64 v[50:51], v[28:29], v[48:49]
	v_fma_f64 v[50:51], v[26:27], v[46:47], -v[50:51]
	v_mul_f64 v[26:27], v[26:27], v[48:49]
	v_fma_f64 v[26:27], v[28:29], v[46:47], v[26:27]
	v_add_f64 v[28:29], v[6:7], v[50:51]
	v_add_f64 v[26:27], v[26:27], v[8:9]
	ds_read_b128 v[6:9], v25 offset:2048
	s_waitcnt lgkmcnt(0)
	v_mul_f64 v[50:51], v[8:9], v[44:45]
	v_mul_f64 v[44:45], v[6:7], v[44:45]
	v_fma_f64 v[50:51], v[6:7], v[42:43], -v[50:51]
	v_fma_f64 v[42:43], v[8:9], v[42:43], v[44:45]
	v_add_f64 v[44:45], v[16:17], v[50:51]
	v_mul_f64 v[16:17], v[8:9], v[48:49]
	v_add_f64 v[20:21], v[42:43], v[20:21]
	v_fma_f64 v[16:17], v[6:7], v[46:47], -v[16:17]
	v_mul_f64 v[6:7], v[6:7], v[48:49]
	v_add_f64 v[42:43], v[12:13], v[16:17]
	v_fma_f64 v[6:7], v[8:9], v[46:47], v[6:7]
	v_add_f64 v[46:47], v[6:7], v[10:11]
	ds_read_b128 v[6:9], v24 offset:512
	s_waitcnt lgkmcnt(0)
	v_mul_f64 v[10:11], v[32:33], v[8:9]
	v_mul_f64 v[12:13], v[30:31], v[8:9]
	v_fma_f64 v[10:11], v[30:31], v[6:7], -v[10:11]
	v_fma_f64 v[12:13], v[32:33], v[6:7], v[12:13]
	v_add_f64 v[48:49], v[14:15], v[10:11]
	v_add_f64 v[18:19], v[12:13], v[18:19]
	ds_read_b128 v[10:13], v24 offset:768
	s_waitcnt lgkmcnt(0)
	v_mul_f64 v[14:15], v[32:33], v[12:13]
	v_mul_f64 v[16:17], v[30:31], v[12:13]
	v_fma_f64 v[14:15], v[30:31], v[10:11], -v[14:15]
	v_fma_f64 v[16:17], v[32:33], v[10:11], v[16:17]
	v_add_f64 v[28:29], v[28:29], v[14:15]
	v_add_f64 v[26:27], v[16:17], v[26:27]
	ds_read_b128 v[14:17], v25 offset:2064
	s_waitcnt lgkmcnt(0)
	v_mul_f64 v[30:31], v[16:17], v[8:9]
	v_mul_f64 v[8:9], v[14:15], v[8:9]
	v_fma_f64 v[30:31], v[14:15], v[6:7], -v[30:31]
	v_fma_f64 v[6:7], v[16:17], v[6:7], v[8:9]
	v_mul_f64 v[8:9], v[14:15], v[12:13]
	v_add_f64 v[30:31], v[44:45], v[30:31]
	v_add_f64 v[20:21], v[6:7], v[20:21]
	v_mul_f64 v[6:7], v[16:17], v[12:13]
	v_fma_f64 v[8:9], v[16:17], v[10:11], v[8:9]
	v_fma_f64 v[6:7], v[14:15], v[10:11], -v[6:7]
	v_add_f64 v[32:33], v[42:43], v[6:7]
	v_add_f64 v[42:43], v[8:9], v[46:47]
	ds_read_b128 v[6:9], v24 offset:1024
	s_waitcnt lgkmcnt(0)
	v_mul_f64 v[10:11], v[36:37], v[8:9]
	v_mul_f64 v[12:13], v[34:35], v[8:9]
	v_fma_f64 v[10:11], v[34:35], v[6:7], -v[10:11]
	v_fma_f64 v[12:13], v[36:37], v[6:7], v[12:13]
	v_add_f64 v[44:45], v[48:49], v[10:11]
	v_add_f64 v[18:19], v[12:13], v[18:19]
	ds_read_b128 v[10:13], v24 offset:1280
	s_waitcnt lgkmcnt(0)
	v_mul_f64 v[14:15], v[36:37], v[12:13]
	v_mul_f64 v[16:17], v[34:35], v[12:13]
	v_fma_f64 v[14:15], v[34:35], v[10:11], -v[14:15]
	v_fma_f64 v[16:17], v[36:37], v[10:11], v[16:17]
	v_add_f64 v[28:29], v[28:29], v[14:15]
	v_add_f64 v[26:27], v[16:17], v[26:27]
	ds_read_b128 v[14:17], v25 offset:2080
	s_waitcnt lgkmcnt(0)
	v_mul_f64 v[34:35], v[16:17], v[8:9]
	v_mul_f64 v[8:9], v[14:15], v[8:9]
	v_fma_f64 v[34:35], v[14:15], v[6:7], -v[34:35]
	v_fma_f64 v[6:7], v[16:17], v[6:7], v[8:9]
	v_mul_f64 v[8:9], v[14:15], v[12:13]
	v_add_f64 v[30:31], v[30:31], v[34:35]
	v_add_f64 v[20:21], v[6:7], v[20:21]
	v_mul_f64 v[6:7], v[16:17], v[12:13]
	v_fma_f64 v[8:9], v[16:17], v[10:11], v[8:9]
	v_fma_f64 v[6:7], v[14:15], v[10:11], -v[6:7]
	v_add_f64 v[34:35], v[8:9], v[42:43]
	;; [unrolled: 30-line block ×3, first 2 shown]
	v_add_f64 v[32:33], v[32:33], v[6:7]
	ds_read_b128 v[6:9], v25 offset:64
	ds_read_b128 v[10:13], v24 offset:2048
	s_waitcnt lgkmcnt(0)
	v_mul_f64 v[14:15], v[8:9], v[12:13]
	v_mul_f64 v[16:17], v[6:7], v[12:13]
	v_fma_f64 v[14:15], v[6:7], v[10:11], -v[14:15]
	v_fma_f64 v[16:17], v[8:9], v[10:11], v[16:17]
	v_add_f64 v[36:37], v[36:37], v[14:15]
	v_add_f64 v[18:19], v[16:17], v[18:19]
	ds_read_b128 v[14:17], v24 offset:2304
	s_waitcnt lgkmcnt(0)
	v_mul_f64 v[38:39], v[8:9], v[16:17]
	v_fma_f64 v[38:39], v[6:7], v[14:15], -v[38:39]
	v_mul_f64 v[6:7], v[6:7], v[16:17]
	v_add_f64 v[28:29], v[28:29], v[38:39]
	v_fma_f64 v[6:7], v[8:9], v[14:15], v[6:7]
	v_add_f64 v[26:27], v[6:7], v[26:27]
	ds_read_b128 v[6:9], v25 offset:2112
	s_waitcnt lgkmcnt(0)
	v_mul_f64 v[38:39], v[8:9], v[12:13]
	v_mul_f64 v[12:13], v[6:7], v[12:13]
	v_fma_f64 v[38:39], v[6:7], v[10:11], -v[38:39]
	v_fma_f64 v[10:11], v[8:9], v[10:11], v[12:13]
	v_add_f64 v[30:31], v[30:31], v[38:39]
	v_add_f64 v[20:21], v[10:11], v[20:21]
	v_mul_f64 v[10:11], v[8:9], v[16:17]
	v_fma_f64 v[10:11], v[6:7], v[14:15], -v[10:11]
	v_mul_f64 v[6:7], v[6:7], v[16:17]
	v_add_f64 v[32:33], v[32:33], v[10:11]
	v_fma_f64 v[6:7], v[8:9], v[14:15], v[6:7]
	v_add_f64 v[34:35], v[6:7], v[34:35]
	ds_read_b128 v[6:9], v25 offset:80
	ds_read_b128 v[10:13], v24 offset:2560
	s_waitcnt lgkmcnt(0)
	v_mul_f64 v[14:15], v[8:9], v[12:13]
	v_mul_f64 v[16:17], v[6:7], v[12:13]
	v_fma_f64 v[14:15], v[6:7], v[10:11], -v[14:15]
	v_fma_f64 v[16:17], v[8:9], v[10:11], v[16:17]
	v_add_f64 v[36:37], v[36:37], v[14:15]
	v_add_f64 v[18:19], v[16:17], v[18:19]
	ds_read_b128 v[14:17], v24 offset:2816
	s_waitcnt lgkmcnt(0)
	v_mul_f64 v[38:39], v[8:9], v[16:17]
	v_fma_f64 v[38:39], v[6:7], v[14:15], -v[38:39]
	v_mul_f64 v[6:7], v[6:7], v[16:17]
	v_add_f64 v[28:29], v[28:29], v[38:39]
	v_fma_f64 v[6:7], v[8:9], v[14:15], v[6:7]
	v_add_f64 v[26:27], v[6:7], v[26:27]
	ds_read_b128 v[6:9], v25 offset:2128
	s_waitcnt lgkmcnt(0)
	v_mul_f64 v[38:39], v[8:9], v[12:13]
	v_mul_f64 v[12:13], v[6:7], v[12:13]
	v_fma_f64 v[38:39], v[6:7], v[10:11], -v[38:39]
	v_fma_f64 v[10:11], v[8:9], v[10:11], v[12:13]
	v_add_f64 v[30:31], v[30:31], v[38:39]
	v_add_f64 v[20:21], v[10:11], v[20:21]
	v_mul_f64 v[10:11], v[8:9], v[16:17]
	v_fma_f64 v[10:11], v[6:7], v[14:15], -v[10:11]
	v_mul_f64 v[6:7], v[6:7], v[16:17]
	v_add_f64 v[32:33], v[32:33], v[10:11]
	v_fma_f64 v[6:7], v[8:9], v[14:15], v[6:7]
	;; [unrolled: 31-line block ×3, first 2 shown]
	v_add_f64 v[34:35], v[6:7], v[34:35]
	ds_read_b128 v[6:9], v25 offset:112
	ds_read_b128 v[10:13], v24 offset:3584
	ds_read_b128 v[26:29], v24 offset:3840
	ds_read_b128 v[30:33], v25 offset:2160
	s_waitcnt lgkmcnt(0)
	s_barrier
	v_mul_f64 v[16:17], v[6:7], v[12:13]
	v_mul_f64 v[14:15], v[8:9], v[12:13]
	v_fma_f64 v[16:17], v[8:9], v[10:11], v[16:17]
	v_fma_f64 v[14:15], v[6:7], v[10:11], -v[14:15]
	v_add_f64 v[18:19], v[16:17], v[18:19]
	v_mul_f64 v[16:17], v[8:9], v[28:29]
	v_add_f64 v[14:15], v[36:37], v[14:15]
	v_fma_f64 v[16:17], v[6:7], v[26:27], -v[16:17]
	v_mul_f64 v[6:7], v[6:7], v[28:29]
	v_fma_f64 v[8:9], v[8:9], v[26:27], v[6:7]
	v_add_f64 v[6:7], v[38:39], v[16:17]
	v_mul_f64 v[16:17], v[32:33], v[12:13]
	v_mul_f64 v[12:13], v[30:31], v[12:13]
	v_add_f64 v[8:9], v[8:9], v[40:41]
	v_fma_f64 v[16:17], v[30:31], v[10:11], -v[16:17]
	v_fma_f64 v[10:11], v[32:33], v[10:11], v[12:13]
	v_mul_f64 v[12:13], v[30:31], v[28:29]
	v_add_f64 v[16:17], v[42:43], v[16:17]
	v_add_f64 v[20:21], v[10:11], v[20:21]
	v_mul_f64 v[10:11], v[32:33], v[28:29]
	v_fma_f64 v[10:11], v[30:31], v[26:27], -v[10:11]
	v_fma_f64 v[26:27], v[32:33], v[26:27], v[12:13]
	v_add_f64 v[12:13], v[44:45], v[10:11]
	v_add_f64 v[10:11], v[26:27], v[34:35]
	s_cbranch_scc0 .LBB856_2
	s_branch .LBB856_4
.LBB856_3:
	v_mov_b32_e32 v14, 0
	v_mov_b32_e32 v18, 0
	v_mov_b32_e32 v6, 0
	v_mov_b32_e32 v8, 0
	v_mov_b32_e32 v16, 0
	v_mov_b32_e32 v20, 0
	v_mov_b32_e32 v12, 0
	v_mov_b32_e32 v10, 0
	v_mov_b32_e32 v15, 0
	v_mov_b32_e32 v19, 0
	v_mov_b32_e32 v7, 0
	v_mov_b32_e32 v9, 0
	v_mov_b32_e32 v17, 0
	v_mov_b32_e32 v21, 0
	v_mov_b32_e32 v13, 0
	v_mov_b32_e32 v11, 0
.LBB856_4:
	s_load_dword s6, s[4:5], 0x40
	v_add_u32_e32 v4, s3, v1
	s_waitcnt lgkmcnt(0)
	v_mov_b32_e32 v3, s11
	v_add_u32_e32 v0, s2, v0
	v_mad_i64_i32 v[1:2], s[0:1], v4, s6, 0
	v_cmp_le_i32_e64 s[0:1], v4, v0
	v_lshlrev_b64 v[1:2], 4, v[1:2]
	v_add_co_u32_e32 v5, vcc, s10, v1
	v_addc_co_u32_e32 v22, vcc, v3, v2, vcc
	v_cmp_gt_i32_e32 vcc, s12, v0
	s_and_b64 s[0:1], s[0:1], vcc
	s_and_saveexec_b64 s[2:3], s[0:1]
	s_cbranch_execz .LBB856_6
; %bb.5:
	v_ashrrev_i32_e32 v1, 31, v0
	v_lshlrev_b64 v[1:2], 4, v[0:1]
	v_add_co_u32_e64 v1, s[0:1], v5, v1
	v_addc_co_u32_e64 v2, s[0:1], v22, v2, s[0:1]
	flat_load_dwordx4 v[23:26], v[1:2]
	v_cmp_ne_u32_e64 s[0:1], v4, v0
	s_waitcnt vmcnt(0) lgkmcnt(0)
	v_add_f64 v[18:19], v[18:19], -v[25:26]
	v_add_f64 v[23:24], v[14:15], -v[23:24]
	v_cndmask_b32_e64 v26, 0, v19, s[0:1]
	v_cndmask_b32_e64 v25, 0, v18, s[0:1]
	flat_store_dwordx4 v[1:2], v[23:26]
.LBB856_6:
	s_or_b64 exec, exec, s[2:3]
	v_add_u32_e32 v2, 16, v0
	v_cmp_le_i32_e64 s[2:3], v4, v2
	v_cmp_gt_i32_e64 s[0:1], s12, v2
	s_and_b64 s[2:3], s[2:3], s[0:1]
	s_and_saveexec_b64 s[4:5], s[2:3]
	s_cbranch_execz .LBB856_8
; %bb.7:
	v_ashrrev_i32_e32 v3, 31, v2
	v_lshlrev_b64 v[14:15], 4, v[2:3]
	v_add_co_u32_e64 v14, s[2:3], v5, v14
	v_addc_co_u32_e64 v15, s[2:3], v22, v15, s[2:3]
	flat_load_dwordx4 v[22:25], v[14:15]
	v_cmp_ne_u32_e64 s[2:3], v4, v2
	s_waitcnt vmcnt(0) lgkmcnt(0)
	v_add_f64 v[18:19], v[8:9], -v[24:25]
	v_add_f64 v[5:6], v[6:7], -v[22:23]
	v_cndmask_b32_e64 v8, 0, v19, s[2:3]
	v_cndmask_b32_e64 v7, 0, v18, s[2:3]
	flat_store_dwordx4 v[14:15], v[5:8]
.LBB856_8:
	s_or_b64 exec, exec, s[4:5]
	v_add_u32_e32 v3, 16, v4
	v_mad_i64_i32 v[5:6], s[2:3], v3, s6, 0
	v_mov_b32_e32 v1, s11
	v_lshlrev_b64 v[5:6], 4, v[5:6]
	v_add_co_u32_e64 v5, s[2:3], s10, v5
	v_addc_co_u32_e64 v6, s[2:3], v1, v6, s[2:3]
	v_cmp_le_i32_e64 s[2:3], v3, v0
	s_and_b64 s[4:5], s[2:3], vcc
	s_and_saveexec_b64 s[2:3], s[4:5]
	s_cbranch_execz .LBB856_10
; %bb.9:
	v_ashrrev_i32_e32 v1, 31, v0
	v_lshlrev_b64 v[7:8], 4, v[0:1]
	v_add_co_u32_e32 v7, vcc, v5, v7
	v_addc_co_u32_e32 v8, vcc, v6, v8, vcc
	flat_load_dwordx4 v[22:25], v[7:8]
	v_cmp_ne_u32_e32 vcc, v3, v0
	s_waitcnt vmcnt(0) lgkmcnt(0)
	v_add_f64 v[18:19], v[20:21], -v[24:25]
	v_add_f64 v[14:15], v[16:17], -v[22:23]
	v_cndmask_b32_e32 v17, 0, v19, vcc
	v_cndmask_b32_e32 v16, 0, v18, vcc
	flat_store_dwordx4 v[7:8], v[14:17]
.LBB856_10:
	s_or_b64 exec, exec, s[2:3]
	v_cmp_le_i32_e32 vcc, v3, v2
	s_and_b64 s[0:1], vcc, s[0:1]
	s_and_saveexec_b64 s[2:3], s[0:1]
	s_cbranch_execz .LBB856_12
; %bb.11:
	v_ashrrev_i32_e32 v3, 31, v2
	v_lshlrev_b64 v[1:2], 4, v[2:3]
	v_add_co_u32_e32 v14, vcc, v5, v1
	v_addc_co_u32_e32 v15, vcc, v6, v2, vcc
	flat_load_dwordx4 v[5:8], v[14:15]
	v_cmp_ne_u32_e32 vcc, v4, v0
	s_waitcnt vmcnt(0) lgkmcnt(0)
	v_add_f64 v[7:8], v[10:11], -v[7:8]
	v_add_f64 v[1:2], v[12:13], -v[5:6]
	v_cndmask_b32_e32 v4, 0, v8, vcc
	v_cndmask_b32_e32 v3, 0, v7, vcc
	flat_store_dwordx4 v[14:15], v[1:4]
.LBB856_12:
	s_endpgm
	.section	.rodata,"a",@progbits
	.p2align	6, 0x0
	.amdhsa_kernel _ZL37rocblas_syrkx_herkx_restricted_kernelIi19rocblas_complex_numIdELi16ELi32ELi8ELi1ELin1ELb1ELc67ELc76EKPKS1_KPS1_EviT_PT9_S7_lS9_S7_lPT10_S7_li
		.amdhsa_group_segment_fixed_size 8192
		.amdhsa_private_segment_fixed_size 0
		.amdhsa_kernarg_size 84
		.amdhsa_user_sgpr_count 6
		.amdhsa_user_sgpr_private_segment_buffer 1
		.amdhsa_user_sgpr_dispatch_ptr 0
		.amdhsa_user_sgpr_queue_ptr 0
		.amdhsa_user_sgpr_kernarg_segment_ptr 1
		.amdhsa_user_sgpr_dispatch_id 0
		.amdhsa_user_sgpr_flat_scratch_init 0
		.amdhsa_user_sgpr_private_segment_size 0
		.amdhsa_uses_dynamic_stack 0
		.amdhsa_system_sgpr_private_segment_wavefront_offset 0
		.amdhsa_system_sgpr_workgroup_id_x 1
		.amdhsa_system_sgpr_workgroup_id_y 1
		.amdhsa_system_sgpr_workgroup_id_z 1
		.amdhsa_system_sgpr_workgroup_info 0
		.amdhsa_system_vgpr_workitem_id 1
		.amdhsa_next_free_vgpr 52
		.amdhsa_next_free_sgpr 61
		.amdhsa_reserve_vcc 1
		.amdhsa_reserve_flat_scratch 0
		.amdhsa_float_round_mode_32 0
		.amdhsa_float_round_mode_16_64 0
		.amdhsa_float_denorm_mode_32 3
		.amdhsa_float_denorm_mode_16_64 3
		.amdhsa_dx10_clamp 1
		.amdhsa_ieee_mode 1
		.amdhsa_fp16_overflow 0
		.amdhsa_exception_fp_ieee_invalid_op 0
		.amdhsa_exception_fp_denorm_src 0
		.amdhsa_exception_fp_ieee_div_zero 0
		.amdhsa_exception_fp_ieee_overflow 0
		.amdhsa_exception_fp_ieee_underflow 0
		.amdhsa_exception_fp_ieee_inexact 0
		.amdhsa_exception_int_div_zero 0
	.end_amdhsa_kernel
	.section	.text._ZL37rocblas_syrkx_herkx_restricted_kernelIi19rocblas_complex_numIdELi16ELi32ELi8ELi1ELin1ELb1ELc67ELc76EKPKS1_KPS1_EviT_PT9_S7_lS9_S7_lPT10_S7_li,"axG",@progbits,_ZL37rocblas_syrkx_herkx_restricted_kernelIi19rocblas_complex_numIdELi16ELi32ELi8ELi1ELin1ELb1ELc67ELc76EKPKS1_KPS1_EviT_PT9_S7_lS9_S7_lPT10_S7_li,comdat
.Lfunc_end856:
	.size	_ZL37rocblas_syrkx_herkx_restricted_kernelIi19rocblas_complex_numIdELi16ELi32ELi8ELi1ELin1ELb1ELc67ELc76EKPKS1_KPS1_EviT_PT9_S7_lS9_S7_lPT10_S7_li, .Lfunc_end856-_ZL37rocblas_syrkx_herkx_restricted_kernelIi19rocblas_complex_numIdELi16ELi32ELi8ELi1ELin1ELb1ELc67ELc76EKPKS1_KPS1_EviT_PT9_S7_lS9_S7_lPT10_S7_li
                                        ; -- End function
	.set _ZL37rocblas_syrkx_herkx_restricted_kernelIi19rocblas_complex_numIdELi16ELi32ELi8ELi1ELin1ELb1ELc67ELc76EKPKS1_KPS1_EviT_PT9_S7_lS9_S7_lPT10_S7_li.num_vgpr, 52
	.set _ZL37rocblas_syrkx_herkx_restricted_kernelIi19rocblas_complex_numIdELi16ELi32ELi8ELi1ELin1ELb1ELc67ELc76EKPKS1_KPS1_EviT_PT9_S7_lS9_S7_lPT10_S7_li.num_agpr, 0
	.set _ZL37rocblas_syrkx_herkx_restricted_kernelIi19rocblas_complex_numIdELi16ELi32ELi8ELi1ELin1ELb1ELc67ELc76EKPKS1_KPS1_EviT_PT9_S7_lS9_S7_lPT10_S7_li.numbered_sgpr, 17
	.set _ZL37rocblas_syrkx_herkx_restricted_kernelIi19rocblas_complex_numIdELi16ELi32ELi8ELi1ELin1ELb1ELc67ELc76EKPKS1_KPS1_EviT_PT9_S7_lS9_S7_lPT10_S7_li.num_named_barrier, 0
	.set _ZL37rocblas_syrkx_herkx_restricted_kernelIi19rocblas_complex_numIdELi16ELi32ELi8ELi1ELin1ELb1ELc67ELc76EKPKS1_KPS1_EviT_PT9_S7_lS9_S7_lPT10_S7_li.private_seg_size, 0
	.set _ZL37rocblas_syrkx_herkx_restricted_kernelIi19rocblas_complex_numIdELi16ELi32ELi8ELi1ELin1ELb1ELc67ELc76EKPKS1_KPS1_EviT_PT9_S7_lS9_S7_lPT10_S7_li.uses_vcc, 1
	.set _ZL37rocblas_syrkx_herkx_restricted_kernelIi19rocblas_complex_numIdELi16ELi32ELi8ELi1ELin1ELb1ELc67ELc76EKPKS1_KPS1_EviT_PT9_S7_lS9_S7_lPT10_S7_li.uses_flat_scratch, 0
	.set _ZL37rocblas_syrkx_herkx_restricted_kernelIi19rocblas_complex_numIdELi16ELi32ELi8ELi1ELin1ELb1ELc67ELc76EKPKS1_KPS1_EviT_PT9_S7_lS9_S7_lPT10_S7_li.has_dyn_sized_stack, 0
	.set _ZL37rocblas_syrkx_herkx_restricted_kernelIi19rocblas_complex_numIdELi16ELi32ELi8ELi1ELin1ELb1ELc67ELc76EKPKS1_KPS1_EviT_PT9_S7_lS9_S7_lPT10_S7_li.has_recursion, 0
	.set _ZL37rocblas_syrkx_herkx_restricted_kernelIi19rocblas_complex_numIdELi16ELi32ELi8ELi1ELin1ELb1ELc67ELc76EKPKS1_KPS1_EviT_PT9_S7_lS9_S7_lPT10_S7_li.has_indirect_call, 0
	.section	.AMDGPU.csdata,"",@progbits
; Kernel info:
; codeLenInByte = 2896
; TotalNumSgprs: 21
; NumVgprs: 52
; ScratchSize: 0
; MemoryBound: 0
; FloatMode: 240
; IeeeMode: 1
; LDSByteSize: 8192 bytes/workgroup (compile time only)
; SGPRBlocks: 8
; VGPRBlocks: 12
; NumSGPRsForWavesPerEU: 65
; NumVGPRsForWavesPerEU: 52
; Occupancy: 4
; WaveLimiterHint : 1
; COMPUTE_PGM_RSRC2:SCRATCH_EN: 0
; COMPUTE_PGM_RSRC2:USER_SGPR: 6
; COMPUTE_PGM_RSRC2:TRAP_HANDLER: 0
; COMPUTE_PGM_RSRC2:TGID_X_EN: 1
; COMPUTE_PGM_RSRC2:TGID_Y_EN: 1
; COMPUTE_PGM_RSRC2:TGID_Z_EN: 1
; COMPUTE_PGM_RSRC2:TIDIG_COMP_CNT: 1
	.section	.text._ZL37rocblas_syrkx_herkx_restricted_kernelIi19rocblas_complex_numIdELi16ELi32ELi8ELi1ELin1ELb1ELc78ELc76EKPKS1_KPS1_EviT_PT9_S7_lS9_S7_lPT10_S7_li,"axG",@progbits,_ZL37rocblas_syrkx_herkx_restricted_kernelIi19rocblas_complex_numIdELi16ELi32ELi8ELi1ELin1ELb1ELc78ELc76EKPKS1_KPS1_EviT_PT9_S7_lS9_S7_lPT10_S7_li,comdat
	.globl	_ZL37rocblas_syrkx_herkx_restricted_kernelIi19rocblas_complex_numIdELi16ELi32ELi8ELi1ELin1ELb1ELc78ELc76EKPKS1_KPS1_EviT_PT9_S7_lS9_S7_lPT10_S7_li ; -- Begin function _ZL37rocblas_syrkx_herkx_restricted_kernelIi19rocblas_complex_numIdELi16ELi32ELi8ELi1ELin1ELb1ELc78ELc76EKPKS1_KPS1_EviT_PT9_S7_lS9_S7_lPT10_S7_li
	.p2align	8
	.type	_ZL37rocblas_syrkx_herkx_restricted_kernelIi19rocblas_complex_numIdELi16ELi32ELi8ELi1ELin1ELb1ELc78ELc76EKPKS1_KPS1_EviT_PT9_S7_lS9_S7_lPT10_S7_li,@function
_ZL37rocblas_syrkx_herkx_restricted_kernelIi19rocblas_complex_numIdELi16ELi32ELi8ELi1ELin1ELb1ELc78ELc76EKPKS1_KPS1_EviT_PT9_S7_lS9_S7_lPT10_S7_li: ; @_ZL37rocblas_syrkx_herkx_restricted_kernelIi19rocblas_complex_numIdELi16ELi32ELi8ELi1ELin1ELb1ELc78ELc76EKPKS1_KPS1_EviT_PT9_S7_lS9_S7_lPT10_S7_li
; %bb.0:
	s_load_dwordx2 s[2:3], s[4:5], 0x38
	s_load_dwordx2 s[12:13], s[4:5], 0x0
	s_mov_b32 s9, 0
	s_lshl_b64 s[0:1], s[8:9], 3
	s_waitcnt lgkmcnt(0)
	s_add_u32 s2, s2, s0
	s_addc_u32 s3, s3, s1
	s_load_dwordx2 s[10:11], s[2:3], 0x0
	s_lshl_b32 s6, s6, 5
	s_lshl_b32 s7, s7, 5
	s_cmp_lt_i32 s13, 1
	s_cbranch_scc1 .LBB857_3
; %bb.1:
	s_load_dword s2, s[4:5], 0x10
	s_load_dword s14, s[4:5], 0x28
	s_load_dwordx2 s[16:17], s[4:5], 0x20
	s_load_dwordx2 s[18:19], s[4:5], 0x8
	v_lshl_add_u32 v7, v1, 4, v0
	s_waitcnt lgkmcnt(0)
	s_ashr_i32 s3, s2, 31
	s_ashr_i32 s15, s14, 31
	v_lshrrev_b32_e32 v8, 3, v7
	s_add_u32 s18, s18, s0
	s_addc_u32 s19, s19, s1
	s_add_u32 s0, s16, s0
	v_add_u32_e32 v2, s7, v8
	s_addc_u32 s1, s17, s1
	v_and_b32_e32 v6, 7, v0
	v_ashrrev_i32_e32 v3, 31, v2
	s_load_dwordx2 s[16:17], s[0:1], 0x0
	v_mad_i64_i32 v[4:5], s[0:1], s14, v6, v[2:3]
	v_and_b32_e32 v2, 31, v7
	v_lshrrev_b32_e32 v9, 5, v7
	v_lshlrev_b32_e32 v3, 4, v2
	v_lshl_or_b32 v22, v9, 9, v3
	v_lshlrev_b32_e32 v3, 4, v6
	v_lshl_or_b32 v3, v8, 7, v3
	v_add_u32_e32 v2, s6, v2
	v_add_u32_e32 v23, 0x1000, v3
	v_ashrrev_i32_e32 v3, 31, v2
	v_mad_i64_i32 v[2:3], s[0:1], s2, v9, v[2:3]
	s_load_dwordx2 s[18:19], s[18:19], 0x0
	v_mov_b32_e32 v6, 0x1000
	v_lshlrev_b64 v[2:3], 4, v[2:3]
	v_lshl_add_u32 v25, v1, 7, v6
	v_lshlrev_b64 v[4:5], 4, v[4:5]
	s_waitcnt lgkmcnt(0)
	v_mov_b32_e32 v6, s19
	v_add_co_u32_e32 v2, vcc, s18, v2
	v_addc_co_u32_e32 v3, vcc, v6, v3, vcc
	v_mov_b32_e32 v6, s17
	v_add_co_u32_e32 v4, vcc, s16, v4
	s_lshl_b64 s[0:1], s[2:3], 7
	v_addc_co_u32_e32 v5, vcc, v6, v5, vcc
	s_lshl_b64 s[2:3], s[14:15], 7
	v_mov_b32_e32 v10, 0
	v_mov_b32_e32 v12, 0
	;; [unrolled: 1-line block ×8, first 2 shown]
	v_lshlrev_b32_e32 v24, 4, v0
	v_mov_b32_e32 v11, 0
	v_mov_b32_e32 v26, s1
	;; [unrolled: 1-line block ×10, first 2 shown]
.LBB857_2:                              ; =>This Inner Loop Header: Depth=1
	flat_load_dwordx4 v[28:31], v[2:3]
	v_add_co_u32_e32 v2, vcc, s0, v2
	v_addc_co_u32_e32 v3, vcc, v3, v26, vcc
	s_add_i32 s9, s9, 8
	s_cmp_ge_i32 s9, s13
	s_waitcnt vmcnt(0) lgkmcnt(0)
	ds_write_b128 v22, v[28:31]
	flat_load_dwordx4 v[28:31], v[4:5]
	v_add_co_u32_e32 v4, vcc, s2, v4
	v_addc_co_u32_e32 v5, vcc, v5, v27, vcc
	s_waitcnt vmcnt(0) lgkmcnt(0)
	v_xor_b32_e32 v31, 0x80000000, v31
	ds_write_b128 v23, v[28:31]
	s_waitcnt lgkmcnt(0)
	s_barrier
	ds_read_b128 v[28:31], v25
	ds_read_b128 v[32:35], v25 offset:16
	ds_read_b128 v[36:39], v25 offset:32
	;; [unrolled: 1-line block ×3, first 2 shown]
	ds_read_b128 v[44:47], v24
	s_waitcnt lgkmcnt(0)
	v_mul_f64 v[48:49], v[30:31], v[46:47]
	v_mul_f64 v[50:51], v[28:29], v[46:47]
	v_fma_f64 v[48:49], v[28:29], v[44:45], -v[48:49]
	v_fma_f64 v[50:51], v[30:31], v[44:45], v[50:51]
	v_add_f64 v[48:49], v[18:19], v[48:49]
	v_add_f64 v[50:51], v[50:51], v[20:21]
	ds_read_b128 v[18:21], v24 offset:256
	s_waitcnt lgkmcnt(0)
	v_mul_f64 v[52:53], v[30:31], v[20:21]
	v_fma_f64 v[52:53], v[28:29], v[18:19], -v[52:53]
	v_mul_f64 v[28:29], v[28:29], v[20:21]
	v_fma_f64 v[28:29], v[30:31], v[18:19], v[28:29]
	v_add_f64 v[30:31], v[6:7], v[52:53]
	v_add_f64 v[28:29], v[28:29], v[8:9]
	ds_read_b128 v[6:9], v25 offset:2048
	s_waitcnt lgkmcnt(0)
	v_mul_f64 v[52:53], v[8:9], v[46:47]
	v_mul_f64 v[46:47], v[6:7], v[46:47]
	v_fma_f64 v[52:53], v[6:7], v[44:45], -v[52:53]
	v_fma_f64 v[44:45], v[8:9], v[44:45], v[46:47]
	v_add_f64 v[46:47], v[14:15], v[52:53]
	v_mul_f64 v[14:15], v[8:9], v[20:21]
	v_add_f64 v[44:45], v[44:45], v[16:17]
	v_fma_f64 v[14:15], v[6:7], v[18:19], -v[14:15]
	v_mul_f64 v[6:7], v[6:7], v[20:21]
	v_fma_f64 v[6:7], v[8:9], v[18:19], v[6:7]
	v_add_f64 v[18:19], v[12:13], v[14:15]
	v_add_f64 v[20:21], v[6:7], v[10:11]
	ds_read_b128 v[6:9], v24 offset:512
	s_waitcnt lgkmcnt(0)
	v_mul_f64 v[10:11], v[34:35], v[8:9]
	v_mul_f64 v[12:13], v[32:33], v[8:9]
	v_fma_f64 v[10:11], v[32:33], v[6:7], -v[10:11]
	v_fma_f64 v[12:13], v[34:35], v[6:7], v[12:13]
	v_add_f64 v[48:49], v[48:49], v[10:11]
	v_add_f64 v[50:51], v[12:13], v[50:51]
	ds_read_b128 v[10:13], v24 offset:768
	s_waitcnt lgkmcnt(0)
	v_mul_f64 v[14:15], v[34:35], v[12:13]
	v_mul_f64 v[16:17], v[32:33], v[12:13]
	v_fma_f64 v[14:15], v[32:33], v[10:11], -v[14:15]
	;; [unrolled: 8-line block ×3, first 2 shown]
	v_fma_f64 v[6:7], v[16:17], v[6:7], v[8:9]
	v_mul_f64 v[8:9], v[14:15], v[12:13]
	v_add_f64 v[32:33], v[46:47], v[32:33]
	v_add_f64 v[34:35], v[6:7], v[44:45]
	v_mul_f64 v[6:7], v[16:17], v[12:13]
	v_fma_f64 v[8:9], v[16:17], v[10:11], v[8:9]
	v_fma_f64 v[6:7], v[14:15], v[10:11], -v[6:7]
	v_add_f64 v[20:21], v[8:9], v[20:21]
	v_add_f64 v[18:19], v[18:19], v[6:7]
	ds_read_b128 v[6:9], v24 offset:1024
	s_waitcnt lgkmcnt(0)
	v_mul_f64 v[10:11], v[38:39], v[8:9]
	v_mul_f64 v[12:13], v[36:37], v[8:9]
	v_fma_f64 v[10:11], v[36:37], v[6:7], -v[10:11]
	v_fma_f64 v[12:13], v[38:39], v[6:7], v[12:13]
	v_add_f64 v[44:45], v[48:49], v[10:11]
	v_add_f64 v[46:47], v[12:13], v[50:51]
	ds_read_b128 v[10:13], v24 offset:1280
	s_waitcnt lgkmcnt(0)
	v_mul_f64 v[14:15], v[38:39], v[12:13]
	v_mul_f64 v[16:17], v[36:37], v[12:13]
	v_fma_f64 v[14:15], v[36:37], v[10:11], -v[14:15]
	v_fma_f64 v[16:17], v[38:39], v[10:11], v[16:17]
	;; [unrolled: 8-line block ×3, first 2 shown]
	v_mul_f64 v[8:9], v[14:15], v[12:13]
	v_add_f64 v[32:33], v[32:33], v[36:37]
	v_add_f64 v[34:35], v[6:7], v[34:35]
	v_mul_f64 v[6:7], v[16:17], v[12:13]
	v_fma_f64 v[8:9], v[16:17], v[10:11], v[8:9]
	v_fma_f64 v[6:7], v[14:15], v[10:11], -v[6:7]
	v_add_f64 v[20:21], v[8:9], v[20:21]
	v_add_f64 v[18:19], v[18:19], v[6:7]
	ds_read_b128 v[6:9], v24 offset:1536
	s_waitcnt lgkmcnt(0)
	v_mul_f64 v[10:11], v[42:43], v[8:9]
	v_mul_f64 v[12:13], v[40:41], v[8:9]
	v_fma_f64 v[10:11], v[40:41], v[6:7], -v[10:11]
	v_fma_f64 v[12:13], v[42:43], v[6:7], v[12:13]
	v_add_f64 v[36:37], v[44:45], v[10:11]
	v_add_f64 v[38:39], v[12:13], v[46:47]
	ds_read_b128 v[10:13], v24 offset:1792
	s_waitcnt lgkmcnt(0)
	v_mul_f64 v[14:15], v[42:43], v[12:13]
	v_mul_f64 v[16:17], v[40:41], v[12:13]
	v_fma_f64 v[14:15], v[40:41], v[10:11], -v[14:15]
	v_fma_f64 v[16:17], v[42:43], v[10:11], v[16:17]
	;; [unrolled: 8-line block ×3, first 2 shown]
	v_mul_f64 v[8:9], v[14:15], v[12:13]
	v_add_f64 v[32:33], v[32:33], v[40:41]
	v_add_f64 v[34:35], v[6:7], v[34:35]
	v_mul_f64 v[6:7], v[16:17], v[12:13]
	v_fma_f64 v[8:9], v[16:17], v[10:11], v[8:9]
	v_fma_f64 v[6:7], v[14:15], v[10:11], -v[6:7]
	v_add_f64 v[20:21], v[8:9], v[20:21]
	v_add_f64 v[18:19], v[18:19], v[6:7]
	ds_read_b128 v[6:9], v25 offset:64
	ds_read_b128 v[10:13], v24 offset:2048
	s_waitcnt lgkmcnt(0)
	v_mul_f64 v[14:15], v[8:9], v[12:13]
	v_mul_f64 v[16:17], v[6:7], v[12:13]
	v_fma_f64 v[14:15], v[6:7], v[10:11], -v[14:15]
	v_fma_f64 v[16:17], v[8:9], v[10:11], v[16:17]
	v_add_f64 v[36:37], v[36:37], v[14:15]
	v_add_f64 v[38:39], v[16:17], v[38:39]
	ds_read_b128 v[14:17], v24 offset:2304
	s_waitcnt lgkmcnt(0)
	v_mul_f64 v[40:41], v[8:9], v[16:17]
	v_fma_f64 v[40:41], v[6:7], v[14:15], -v[40:41]
	v_mul_f64 v[6:7], v[6:7], v[16:17]
	v_add_f64 v[30:31], v[30:31], v[40:41]
	v_fma_f64 v[6:7], v[8:9], v[14:15], v[6:7]
	v_add_f64 v[28:29], v[6:7], v[28:29]
	ds_read_b128 v[6:9], v25 offset:2112
	s_waitcnt lgkmcnt(0)
	v_mul_f64 v[40:41], v[8:9], v[12:13]
	v_mul_f64 v[12:13], v[6:7], v[12:13]
	v_fma_f64 v[40:41], v[6:7], v[10:11], -v[40:41]
	v_fma_f64 v[10:11], v[8:9], v[10:11], v[12:13]
	v_add_f64 v[32:33], v[32:33], v[40:41]
	v_add_f64 v[34:35], v[10:11], v[34:35]
	v_mul_f64 v[10:11], v[8:9], v[16:17]
	v_fma_f64 v[10:11], v[6:7], v[14:15], -v[10:11]
	v_mul_f64 v[6:7], v[6:7], v[16:17]
	v_add_f64 v[18:19], v[18:19], v[10:11]
	v_fma_f64 v[6:7], v[8:9], v[14:15], v[6:7]
	v_add_f64 v[20:21], v[6:7], v[20:21]
	ds_read_b128 v[6:9], v25 offset:80
	ds_read_b128 v[10:13], v24 offset:2560
	s_waitcnt lgkmcnt(0)
	v_mul_f64 v[14:15], v[8:9], v[12:13]
	v_mul_f64 v[16:17], v[6:7], v[12:13]
	v_fma_f64 v[14:15], v[6:7], v[10:11], -v[14:15]
	v_fma_f64 v[16:17], v[8:9], v[10:11], v[16:17]
	v_add_f64 v[36:37], v[36:37], v[14:15]
	v_add_f64 v[38:39], v[16:17], v[38:39]
	ds_read_b128 v[14:17], v24 offset:2816
	s_waitcnt lgkmcnt(0)
	v_mul_f64 v[40:41], v[8:9], v[16:17]
	v_fma_f64 v[40:41], v[6:7], v[14:15], -v[40:41]
	v_mul_f64 v[6:7], v[6:7], v[16:17]
	v_add_f64 v[30:31], v[30:31], v[40:41]
	v_fma_f64 v[6:7], v[8:9], v[14:15], v[6:7]
	v_add_f64 v[28:29], v[6:7], v[28:29]
	ds_read_b128 v[6:9], v25 offset:2128
	s_waitcnt lgkmcnt(0)
	v_mul_f64 v[40:41], v[8:9], v[12:13]
	v_mul_f64 v[12:13], v[6:7], v[12:13]
	v_fma_f64 v[40:41], v[6:7], v[10:11], -v[40:41]
	v_fma_f64 v[10:11], v[8:9], v[10:11], v[12:13]
	v_add_f64 v[32:33], v[32:33], v[40:41]
	v_add_f64 v[34:35], v[10:11], v[34:35]
	v_mul_f64 v[10:11], v[8:9], v[16:17]
	v_fma_f64 v[10:11], v[6:7], v[14:15], -v[10:11]
	v_mul_f64 v[6:7], v[6:7], v[16:17]
	v_add_f64 v[18:19], v[18:19], v[10:11]
	v_fma_f64 v[6:7], v[8:9], v[14:15], v[6:7]
	;; [unrolled: 31-line block ×3, first 2 shown]
	v_add_f64 v[50:51], v[6:7], v[20:21]
	ds_read_b128 v[6:9], v25 offset:112
	ds_read_b128 v[10:13], v24 offset:3584
	;; [unrolled: 1-line block ×4, first 2 shown]
	s_waitcnt lgkmcnt(0)
	s_barrier
	v_mul_f64 v[14:15], v[8:9], v[12:13]
	v_mul_f64 v[16:17], v[6:7], v[12:13]
	v_fma_f64 v[14:15], v[6:7], v[10:11], -v[14:15]
	v_fma_f64 v[16:17], v[8:9], v[10:11], v[16:17]
	v_add_f64 v[18:19], v[36:37], v[14:15]
	v_mul_f64 v[14:15], v[8:9], v[30:31]
	v_add_f64 v[20:21], v[16:17], v[38:39]
	v_fma_f64 v[14:15], v[6:7], v[28:29], -v[14:15]
	v_mul_f64 v[6:7], v[6:7], v[30:31]
	v_fma_f64 v[8:9], v[8:9], v[28:29], v[6:7]
	v_add_f64 v[6:7], v[40:41], v[14:15]
	v_mul_f64 v[14:15], v[34:35], v[12:13]
	v_mul_f64 v[12:13], v[32:33], v[12:13]
	v_add_f64 v[8:9], v[8:9], v[42:43]
	v_fma_f64 v[14:15], v[32:33], v[10:11], -v[14:15]
	v_fma_f64 v[10:11], v[34:35], v[10:11], v[12:13]
	v_mul_f64 v[12:13], v[32:33], v[30:31]
	v_add_f64 v[14:15], v[44:45], v[14:15]
	v_add_f64 v[16:17], v[10:11], v[46:47]
	v_mul_f64 v[10:11], v[34:35], v[30:31]
	v_fma_f64 v[10:11], v[32:33], v[28:29], -v[10:11]
	v_fma_f64 v[28:29], v[34:35], v[28:29], v[12:13]
	v_add_f64 v[12:13], v[48:49], v[10:11]
	v_add_f64 v[10:11], v[28:29], v[50:51]
	s_cbranch_scc0 .LBB857_2
	s_branch .LBB857_4
.LBB857_3:
	v_mov_b32_e32 v18, 0
	v_mov_b32_e32 v20, 0
	;; [unrolled: 1-line block ×16, first 2 shown]
.LBB857_4:
	s_load_dword s8, s[4:5], 0x40
	v_add_u32_e32 v4, s7, v1
	s_waitcnt lgkmcnt(0)
	v_mov_b32_e32 v3, s11
	v_add_u32_e32 v0, s6, v0
	v_mad_i64_i32 v[1:2], s[0:1], v4, s8, 0
	v_cmp_le_i32_e64 s[0:1], v4, v0
	v_lshlrev_b64 v[1:2], 4, v[1:2]
	v_add_co_u32_e32 v5, vcc, s10, v1
	v_addc_co_u32_e32 v22, vcc, v3, v2, vcc
	v_cmp_gt_i32_e32 vcc, s12, v0
	s_and_b64 s[0:1], s[0:1], vcc
	s_and_saveexec_b64 s[2:3], s[0:1]
	s_cbranch_execz .LBB857_6
; %bb.5:
	v_ashrrev_i32_e32 v1, 31, v0
	v_lshlrev_b64 v[1:2], 4, v[0:1]
	v_add_co_u32_e64 v1, s[0:1], v5, v1
	v_addc_co_u32_e64 v2, s[0:1], v22, v2, s[0:1]
	flat_load_dwordx4 v[23:26], v[1:2]
	v_cmp_ne_u32_e64 s[0:1], v4, v0
	s_waitcnt vmcnt(0) lgkmcnt(0)
	v_add_f64 v[20:21], v[20:21], -v[25:26]
	v_add_f64 v[18:19], v[18:19], -v[23:24]
	v_cndmask_b32_e64 v21, 0, v21, s[0:1]
	v_cndmask_b32_e64 v20, 0, v20, s[0:1]
	flat_store_dwordx4 v[1:2], v[18:21]
.LBB857_6:
	s_or_b64 exec, exec, s[2:3]
	v_add_u32_e32 v2, 16, v0
	v_cmp_le_i32_e64 s[2:3], v4, v2
	v_cmp_gt_i32_e64 s[0:1], s12, v2
	s_and_b64 s[2:3], s[2:3], s[0:1]
	s_and_saveexec_b64 s[4:5], s[2:3]
	s_cbranch_execz .LBB857_8
; %bb.7:
	v_ashrrev_i32_e32 v3, 31, v2
	v_lshlrev_b64 v[18:19], 4, v[2:3]
	v_add_co_u32_e64 v23, s[2:3], v5, v18
	v_addc_co_u32_e64 v24, s[2:3], v22, v19, s[2:3]
	flat_load_dwordx4 v[18:21], v[23:24]
	v_cmp_ne_u32_e64 s[2:3], v4, v2
	s_waitcnt vmcnt(0) lgkmcnt(0)
	v_add_f64 v[20:21], v[8:9], -v[20:21]
	v_add_f64 v[5:6], v[6:7], -v[18:19]
	v_cndmask_b32_e64 v8, 0, v21, s[2:3]
	v_cndmask_b32_e64 v7, 0, v20, s[2:3]
	flat_store_dwordx4 v[23:24], v[5:8]
.LBB857_8:
	s_or_b64 exec, exec, s[4:5]
	v_add_u32_e32 v3, 16, v4
	v_mad_i64_i32 v[5:6], s[2:3], v3, s8, 0
	v_mov_b32_e32 v1, s11
	v_lshlrev_b64 v[5:6], 4, v[5:6]
	v_add_co_u32_e64 v5, s[2:3], s10, v5
	v_addc_co_u32_e64 v6, s[2:3], v1, v6, s[2:3]
	v_cmp_le_i32_e64 s[2:3], v3, v0
	s_and_b64 s[4:5], s[2:3], vcc
	s_and_saveexec_b64 s[2:3], s[4:5]
	s_cbranch_execz .LBB857_10
; %bb.9:
	v_ashrrev_i32_e32 v1, 31, v0
	v_lshlrev_b64 v[7:8], 4, v[0:1]
	v_add_co_u32_e32 v7, vcc, v5, v7
	v_addc_co_u32_e32 v8, vcc, v6, v8, vcc
	flat_load_dwordx4 v[18:21], v[7:8]
	v_cmp_ne_u32_e32 vcc, v3, v0
	s_waitcnt vmcnt(0) lgkmcnt(0)
	v_add_f64 v[16:17], v[16:17], -v[20:21]
	v_add_f64 v[14:15], v[14:15], -v[18:19]
	v_cndmask_b32_e32 v17, 0, v17, vcc
	v_cndmask_b32_e32 v16, 0, v16, vcc
	flat_store_dwordx4 v[7:8], v[14:17]
.LBB857_10:
	s_or_b64 exec, exec, s[2:3]
	v_cmp_le_i32_e32 vcc, v3, v2
	s_and_b64 s[0:1], vcc, s[0:1]
	s_and_saveexec_b64 s[2:3], s[0:1]
	s_cbranch_execz .LBB857_12
; %bb.11:
	v_ashrrev_i32_e32 v3, 31, v2
	v_lshlrev_b64 v[1:2], 4, v[2:3]
	v_add_co_u32_e32 v14, vcc, v5, v1
	v_addc_co_u32_e32 v15, vcc, v6, v2, vcc
	flat_load_dwordx4 v[5:8], v[14:15]
	v_cmp_ne_u32_e32 vcc, v4, v0
	s_waitcnt vmcnt(0) lgkmcnt(0)
	v_add_f64 v[7:8], v[10:11], -v[7:8]
	v_add_f64 v[1:2], v[12:13], -v[5:6]
	v_cndmask_b32_e32 v4, 0, v8, vcc
	v_cndmask_b32_e32 v3, 0, v7, vcc
	flat_store_dwordx4 v[14:15], v[1:4]
.LBB857_12:
	s_endpgm
	.section	.rodata,"a",@progbits
	.p2align	6, 0x0
	.amdhsa_kernel _ZL37rocblas_syrkx_herkx_restricted_kernelIi19rocblas_complex_numIdELi16ELi32ELi8ELi1ELin1ELb1ELc78ELc76EKPKS1_KPS1_EviT_PT9_S7_lS9_S7_lPT10_S7_li
		.amdhsa_group_segment_fixed_size 8192
		.amdhsa_private_segment_fixed_size 0
		.amdhsa_kernarg_size 84
		.amdhsa_user_sgpr_count 6
		.amdhsa_user_sgpr_private_segment_buffer 1
		.amdhsa_user_sgpr_dispatch_ptr 0
		.amdhsa_user_sgpr_queue_ptr 0
		.amdhsa_user_sgpr_kernarg_segment_ptr 1
		.amdhsa_user_sgpr_dispatch_id 0
		.amdhsa_user_sgpr_flat_scratch_init 0
		.amdhsa_user_sgpr_private_segment_size 0
		.amdhsa_uses_dynamic_stack 0
		.amdhsa_system_sgpr_private_segment_wavefront_offset 0
		.amdhsa_system_sgpr_workgroup_id_x 1
		.amdhsa_system_sgpr_workgroup_id_y 1
		.amdhsa_system_sgpr_workgroup_id_z 1
		.amdhsa_system_sgpr_workgroup_info 0
		.amdhsa_system_vgpr_workitem_id 1
		.amdhsa_next_free_vgpr 54
		.amdhsa_next_free_sgpr 61
		.amdhsa_reserve_vcc 1
		.amdhsa_reserve_flat_scratch 0
		.amdhsa_float_round_mode_32 0
		.amdhsa_float_round_mode_16_64 0
		.amdhsa_float_denorm_mode_32 3
		.amdhsa_float_denorm_mode_16_64 3
		.amdhsa_dx10_clamp 1
		.amdhsa_ieee_mode 1
		.amdhsa_fp16_overflow 0
		.amdhsa_exception_fp_ieee_invalid_op 0
		.amdhsa_exception_fp_denorm_src 0
		.amdhsa_exception_fp_ieee_div_zero 0
		.amdhsa_exception_fp_ieee_overflow 0
		.amdhsa_exception_fp_ieee_underflow 0
		.amdhsa_exception_fp_ieee_inexact 0
		.amdhsa_exception_int_div_zero 0
	.end_amdhsa_kernel
	.section	.text._ZL37rocblas_syrkx_herkx_restricted_kernelIi19rocblas_complex_numIdELi16ELi32ELi8ELi1ELin1ELb1ELc78ELc76EKPKS1_KPS1_EviT_PT9_S7_lS9_S7_lPT10_S7_li,"axG",@progbits,_ZL37rocblas_syrkx_herkx_restricted_kernelIi19rocblas_complex_numIdELi16ELi32ELi8ELi1ELin1ELb1ELc78ELc76EKPKS1_KPS1_EviT_PT9_S7_lS9_S7_lPT10_S7_li,comdat
.Lfunc_end857:
	.size	_ZL37rocblas_syrkx_herkx_restricted_kernelIi19rocblas_complex_numIdELi16ELi32ELi8ELi1ELin1ELb1ELc78ELc76EKPKS1_KPS1_EviT_PT9_S7_lS9_S7_lPT10_S7_li, .Lfunc_end857-_ZL37rocblas_syrkx_herkx_restricted_kernelIi19rocblas_complex_numIdELi16ELi32ELi8ELi1ELin1ELb1ELc78ELc76EKPKS1_KPS1_EviT_PT9_S7_lS9_S7_lPT10_S7_li
                                        ; -- End function
	.set _ZL37rocblas_syrkx_herkx_restricted_kernelIi19rocblas_complex_numIdELi16ELi32ELi8ELi1ELin1ELb1ELc78ELc76EKPKS1_KPS1_EviT_PT9_S7_lS9_S7_lPT10_S7_li.num_vgpr, 54
	.set _ZL37rocblas_syrkx_herkx_restricted_kernelIi19rocblas_complex_numIdELi16ELi32ELi8ELi1ELin1ELb1ELc78ELc76EKPKS1_KPS1_EviT_PT9_S7_lS9_S7_lPT10_S7_li.num_agpr, 0
	.set _ZL37rocblas_syrkx_herkx_restricted_kernelIi19rocblas_complex_numIdELi16ELi32ELi8ELi1ELin1ELb1ELc78ELc76EKPKS1_KPS1_EviT_PT9_S7_lS9_S7_lPT10_S7_li.numbered_sgpr, 20
	.set _ZL37rocblas_syrkx_herkx_restricted_kernelIi19rocblas_complex_numIdELi16ELi32ELi8ELi1ELin1ELb1ELc78ELc76EKPKS1_KPS1_EviT_PT9_S7_lS9_S7_lPT10_S7_li.num_named_barrier, 0
	.set _ZL37rocblas_syrkx_herkx_restricted_kernelIi19rocblas_complex_numIdELi16ELi32ELi8ELi1ELin1ELb1ELc78ELc76EKPKS1_KPS1_EviT_PT9_S7_lS9_S7_lPT10_S7_li.private_seg_size, 0
	.set _ZL37rocblas_syrkx_herkx_restricted_kernelIi19rocblas_complex_numIdELi16ELi32ELi8ELi1ELin1ELb1ELc78ELc76EKPKS1_KPS1_EviT_PT9_S7_lS9_S7_lPT10_S7_li.uses_vcc, 1
	.set _ZL37rocblas_syrkx_herkx_restricted_kernelIi19rocblas_complex_numIdELi16ELi32ELi8ELi1ELin1ELb1ELc78ELc76EKPKS1_KPS1_EviT_PT9_S7_lS9_S7_lPT10_S7_li.uses_flat_scratch, 0
	.set _ZL37rocblas_syrkx_herkx_restricted_kernelIi19rocblas_complex_numIdELi16ELi32ELi8ELi1ELin1ELb1ELc78ELc76EKPKS1_KPS1_EviT_PT9_S7_lS9_S7_lPT10_S7_li.has_dyn_sized_stack, 0
	.set _ZL37rocblas_syrkx_herkx_restricted_kernelIi19rocblas_complex_numIdELi16ELi32ELi8ELi1ELin1ELb1ELc78ELc76EKPKS1_KPS1_EviT_PT9_S7_lS9_S7_lPT10_S7_li.has_recursion, 0
	.set _ZL37rocblas_syrkx_herkx_restricted_kernelIi19rocblas_complex_numIdELi16ELi32ELi8ELi1ELin1ELb1ELc78ELc76EKPKS1_KPS1_EviT_PT9_S7_lS9_S7_lPT10_S7_li.has_indirect_call, 0
	.section	.AMDGPU.csdata,"",@progbits
; Kernel info:
; codeLenInByte = 2912
; TotalNumSgprs: 24
; NumVgprs: 54
; ScratchSize: 0
; MemoryBound: 0
; FloatMode: 240
; IeeeMode: 1
; LDSByteSize: 8192 bytes/workgroup (compile time only)
; SGPRBlocks: 8
; VGPRBlocks: 13
; NumSGPRsForWavesPerEU: 65
; NumVGPRsForWavesPerEU: 54
; Occupancy: 4
; WaveLimiterHint : 1
; COMPUTE_PGM_RSRC2:SCRATCH_EN: 0
; COMPUTE_PGM_RSRC2:USER_SGPR: 6
; COMPUTE_PGM_RSRC2:TRAP_HANDLER: 0
; COMPUTE_PGM_RSRC2:TGID_X_EN: 1
; COMPUTE_PGM_RSRC2:TGID_Y_EN: 1
; COMPUTE_PGM_RSRC2:TGID_Z_EN: 1
; COMPUTE_PGM_RSRC2:TIDIG_COMP_CNT: 1
	.section	.text._ZL37rocblas_syrkx_herkx_restricted_kernelIi19rocblas_complex_numIdELi16ELi32ELi8ELi1ELin1ELb1ELc84ELc85EKPKS1_KPS1_EviT_PT9_S7_lS9_S7_lPT10_S7_li,"axG",@progbits,_ZL37rocblas_syrkx_herkx_restricted_kernelIi19rocblas_complex_numIdELi16ELi32ELi8ELi1ELin1ELb1ELc84ELc85EKPKS1_KPS1_EviT_PT9_S7_lS9_S7_lPT10_S7_li,comdat
	.globl	_ZL37rocblas_syrkx_herkx_restricted_kernelIi19rocblas_complex_numIdELi16ELi32ELi8ELi1ELin1ELb1ELc84ELc85EKPKS1_KPS1_EviT_PT9_S7_lS9_S7_lPT10_S7_li ; -- Begin function _ZL37rocblas_syrkx_herkx_restricted_kernelIi19rocblas_complex_numIdELi16ELi32ELi8ELi1ELin1ELb1ELc84ELc85EKPKS1_KPS1_EviT_PT9_S7_lS9_S7_lPT10_S7_li
	.p2align	8
	.type	_ZL37rocblas_syrkx_herkx_restricted_kernelIi19rocblas_complex_numIdELi16ELi32ELi8ELi1ELin1ELb1ELc84ELc85EKPKS1_KPS1_EviT_PT9_S7_lS9_S7_lPT10_S7_li,@function
_ZL37rocblas_syrkx_herkx_restricted_kernelIi19rocblas_complex_numIdELi16ELi32ELi8ELi1ELin1ELb1ELc84ELc85EKPKS1_KPS1_EviT_PT9_S7_lS9_S7_lPT10_S7_li: ; @_ZL37rocblas_syrkx_herkx_restricted_kernelIi19rocblas_complex_numIdELi16ELi32ELi8ELi1ELin1ELb1ELc84ELc85EKPKS1_KPS1_EviT_PT9_S7_lS9_S7_lPT10_S7_li
; %bb.0:
	s_load_dwordx2 s[10:11], s[4:5], 0x38
	s_load_dwordx2 s[2:3], s[4:5], 0x0
	s_mov_b32 s9, 0
	s_lshl_b64 s[0:1], s[8:9], 3
	s_waitcnt lgkmcnt(0)
	s_add_u32 s10, s10, s0
	s_addc_u32 s11, s11, s1
	s_load_dwordx2 s[10:11], s[10:11], 0x0
	s_lshl_b32 s6, s6, 5
	s_lshl_b32 s7, s7, 5
	s_cmp_lt_i32 s3, 1
	s_cbranch_scc1 .LBB858_3
; %bb.1:
	s_load_dwordx2 s[12:13], s[4:5], 0x8
	s_load_dword s8, s[4:5], 0x10
	s_load_dwordx2 s[14:15], s[4:5], 0x20
	s_load_dword s16, s[4:5], 0x28
	v_lshl_add_u32 v6, v1, 4, v0
	s_waitcnt lgkmcnt(0)
	s_add_u32 s12, s12, s0
	s_addc_u32 s13, s13, s1
	v_lshrrev_b32_e32 v8, 3, v6
	s_add_u32 s0, s14, s0
	v_add_u32_e32 v4, s7, v8
	v_and_b32_e32 v2, 7, v0
	v_mov_b32_e32 v3, 0
	s_addc_u32 s1, s15, s1
	v_mad_i64_i32 v[4:5], s[14:15], s16, v4, v[2:3]
	v_and_b32_e32 v9, 31, v6
	v_lshlrev_b32_e32 v2, 4, v2
	v_lshrrev_b32_e32 v6, 5, v6
	v_mov_b32_e32 v7, v3
	v_lshlrev_b32_e32 v3, 4, v9
	v_lshl_or_b32 v8, v8, 7, v2
	v_add_u32_e32 v2, s6, v9
	v_lshl_or_b32 v22, v6, 9, v3
	v_mad_i64_i32 v[2:3], s[14:15], s8, v2, v[6:7]
	s_load_dwordx2 s[12:13], s[12:13], 0x0
	v_lshlrev_b64 v[4:5], 4, v[4:5]
	s_load_dwordx2 s[0:1], s[0:1], 0x0
	v_lshlrev_b64 v[2:3], 4, v[2:3]
	v_add_u32_e32 v23, 0x1000, v8
	s_waitcnt lgkmcnt(0)
	v_mov_b32_e32 v6, s13
	v_add_co_u32_e32 v2, vcc, s12, v2
	v_addc_co_u32_e32 v3, vcc, v6, v3, vcc
	v_mov_b32_e32 v6, s1
	v_add_co_u32_e32 v4, vcc, s0, v4
	v_mov_b32_e32 v25, 0x1000
	v_addc_co_u32_e32 v5, vcc, v6, v5, vcc
	v_mov_b32_e32 v10, 0
	v_mov_b32_e32 v12, 0
	;; [unrolled: 1-line block ×8, first 2 shown]
	v_lshlrev_b32_e32 v24, 4, v0
	v_mov_b32_e32 v11, 0
	v_mov_b32_e32 v13, 0
	;; [unrolled: 1-line block ×8, first 2 shown]
	v_lshl_add_u32 v25, v1, 7, v25
.LBB858_2:                              ; =>This Inner Loop Header: Depth=1
	flat_load_dwordx4 v[26:29], v[2:3]
	v_add_co_u32_e32 v2, vcc, 0x80, v2
	v_addc_co_u32_e32 v3, vcc, 0, v3, vcc
	s_add_i32 s9, s9, 8
	s_cmp_ge_i32 s9, s3
	s_waitcnt vmcnt(0) lgkmcnt(0)
	ds_write_b128 v22, v[26:29]
	flat_load_dwordx4 v[26:29], v[4:5]
	v_add_co_u32_e32 v4, vcc, 0x80, v4
	v_addc_co_u32_e32 v5, vcc, 0, v5, vcc
	s_waitcnt vmcnt(0) lgkmcnt(0)
	ds_write_b128 v23, v[26:29]
	s_waitcnt lgkmcnt(0)
	s_barrier
	ds_read_b128 v[26:29], v25
	ds_read_b128 v[30:33], v25 offset:16
	ds_read_b128 v[34:37], v25 offset:32
	;; [unrolled: 1-line block ×3, first 2 shown]
	ds_read_b128 v[42:45], v24
	s_waitcnt lgkmcnt(0)
	v_mul_f64 v[46:47], v[28:29], v[44:45]
	v_mul_f64 v[48:49], v[26:27], v[44:45]
	v_fma_f64 v[46:47], v[26:27], v[42:43], -v[46:47]
	v_fma_f64 v[48:49], v[28:29], v[42:43], v[48:49]
	v_add_f64 v[14:15], v[14:15], v[46:47]
	v_add_f64 v[20:21], v[48:49], v[20:21]
	ds_read_b128 v[46:49], v24 offset:256
	s_waitcnt lgkmcnt(0)
	v_mul_f64 v[50:51], v[28:29], v[48:49]
	v_fma_f64 v[50:51], v[26:27], v[46:47], -v[50:51]
	v_mul_f64 v[26:27], v[26:27], v[48:49]
	v_fma_f64 v[26:27], v[28:29], v[46:47], v[26:27]
	v_add_f64 v[28:29], v[6:7], v[50:51]
	v_add_f64 v[26:27], v[26:27], v[8:9]
	ds_read_b128 v[6:9], v25 offset:2048
	s_waitcnt lgkmcnt(0)
	v_mul_f64 v[50:51], v[8:9], v[44:45]
	v_mul_f64 v[44:45], v[6:7], v[44:45]
	v_fma_f64 v[50:51], v[6:7], v[42:43], -v[50:51]
	v_fma_f64 v[42:43], v[8:9], v[42:43], v[44:45]
	v_add_f64 v[44:45], v[16:17], v[50:51]
	v_mul_f64 v[16:17], v[8:9], v[48:49]
	v_add_f64 v[18:19], v[42:43], v[18:19]
	v_fma_f64 v[16:17], v[6:7], v[46:47], -v[16:17]
	v_mul_f64 v[6:7], v[6:7], v[48:49]
	v_add_f64 v[42:43], v[12:13], v[16:17]
	v_fma_f64 v[6:7], v[8:9], v[46:47], v[6:7]
	v_add_f64 v[46:47], v[6:7], v[10:11]
	ds_read_b128 v[6:9], v24 offset:512
	s_waitcnt lgkmcnt(0)
	v_mul_f64 v[10:11], v[32:33], v[8:9]
	v_mul_f64 v[12:13], v[30:31], v[8:9]
	v_fma_f64 v[10:11], v[30:31], v[6:7], -v[10:11]
	v_fma_f64 v[12:13], v[32:33], v[6:7], v[12:13]
	v_add_f64 v[48:49], v[14:15], v[10:11]
	v_add_f64 v[20:21], v[12:13], v[20:21]
	ds_read_b128 v[10:13], v24 offset:768
	s_waitcnt lgkmcnt(0)
	v_mul_f64 v[14:15], v[32:33], v[12:13]
	v_mul_f64 v[16:17], v[30:31], v[12:13]
	v_fma_f64 v[14:15], v[30:31], v[10:11], -v[14:15]
	v_fma_f64 v[16:17], v[32:33], v[10:11], v[16:17]
	v_add_f64 v[28:29], v[28:29], v[14:15]
	v_add_f64 v[26:27], v[16:17], v[26:27]
	ds_read_b128 v[14:17], v25 offset:2064
	s_waitcnt lgkmcnt(0)
	v_mul_f64 v[30:31], v[16:17], v[8:9]
	v_mul_f64 v[8:9], v[14:15], v[8:9]
	v_fma_f64 v[30:31], v[14:15], v[6:7], -v[30:31]
	v_fma_f64 v[6:7], v[16:17], v[6:7], v[8:9]
	v_mul_f64 v[8:9], v[14:15], v[12:13]
	v_add_f64 v[30:31], v[44:45], v[30:31]
	v_add_f64 v[18:19], v[6:7], v[18:19]
	v_mul_f64 v[6:7], v[16:17], v[12:13]
	v_fma_f64 v[8:9], v[16:17], v[10:11], v[8:9]
	v_fma_f64 v[6:7], v[14:15], v[10:11], -v[6:7]
	v_add_f64 v[32:33], v[42:43], v[6:7]
	v_add_f64 v[42:43], v[8:9], v[46:47]
	ds_read_b128 v[6:9], v24 offset:1024
	s_waitcnt lgkmcnt(0)
	v_mul_f64 v[10:11], v[36:37], v[8:9]
	v_mul_f64 v[12:13], v[34:35], v[8:9]
	v_fma_f64 v[10:11], v[34:35], v[6:7], -v[10:11]
	v_fma_f64 v[12:13], v[36:37], v[6:7], v[12:13]
	v_add_f64 v[44:45], v[48:49], v[10:11]
	v_add_f64 v[20:21], v[12:13], v[20:21]
	ds_read_b128 v[10:13], v24 offset:1280
	s_waitcnt lgkmcnt(0)
	v_mul_f64 v[14:15], v[36:37], v[12:13]
	v_mul_f64 v[16:17], v[34:35], v[12:13]
	v_fma_f64 v[14:15], v[34:35], v[10:11], -v[14:15]
	v_fma_f64 v[16:17], v[36:37], v[10:11], v[16:17]
	v_add_f64 v[28:29], v[28:29], v[14:15]
	v_add_f64 v[26:27], v[16:17], v[26:27]
	ds_read_b128 v[14:17], v25 offset:2080
	s_waitcnt lgkmcnt(0)
	v_mul_f64 v[34:35], v[16:17], v[8:9]
	v_mul_f64 v[8:9], v[14:15], v[8:9]
	v_fma_f64 v[34:35], v[14:15], v[6:7], -v[34:35]
	v_fma_f64 v[6:7], v[16:17], v[6:7], v[8:9]
	v_mul_f64 v[8:9], v[14:15], v[12:13]
	v_add_f64 v[30:31], v[30:31], v[34:35]
	v_add_f64 v[18:19], v[6:7], v[18:19]
	v_mul_f64 v[6:7], v[16:17], v[12:13]
	v_fma_f64 v[8:9], v[16:17], v[10:11], v[8:9]
	v_fma_f64 v[6:7], v[14:15], v[10:11], -v[6:7]
	v_add_f64 v[34:35], v[8:9], v[42:43]
	;; [unrolled: 30-line block ×3, first 2 shown]
	v_add_f64 v[32:33], v[32:33], v[6:7]
	ds_read_b128 v[6:9], v25 offset:64
	ds_read_b128 v[10:13], v24 offset:2048
	s_waitcnt lgkmcnt(0)
	v_mul_f64 v[14:15], v[8:9], v[12:13]
	v_mul_f64 v[16:17], v[6:7], v[12:13]
	v_fma_f64 v[14:15], v[6:7], v[10:11], -v[14:15]
	v_fma_f64 v[16:17], v[8:9], v[10:11], v[16:17]
	v_add_f64 v[36:37], v[36:37], v[14:15]
	v_add_f64 v[20:21], v[16:17], v[20:21]
	ds_read_b128 v[14:17], v24 offset:2304
	s_waitcnt lgkmcnt(0)
	v_mul_f64 v[38:39], v[8:9], v[16:17]
	v_fma_f64 v[38:39], v[6:7], v[14:15], -v[38:39]
	v_mul_f64 v[6:7], v[6:7], v[16:17]
	v_add_f64 v[28:29], v[28:29], v[38:39]
	v_fma_f64 v[6:7], v[8:9], v[14:15], v[6:7]
	v_add_f64 v[26:27], v[6:7], v[26:27]
	ds_read_b128 v[6:9], v25 offset:2112
	s_waitcnt lgkmcnt(0)
	v_mul_f64 v[38:39], v[8:9], v[12:13]
	v_mul_f64 v[12:13], v[6:7], v[12:13]
	v_fma_f64 v[38:39], v[6:7], v[10:11], -v[38:39]
	v_fma_f64 v[10:11], v[8:9], v[10:11], v[12:13]
	v_add_f64 v[30:31], v[30:31], v[38:39]
	v_add_f64 v[18:19], v[10:11], v[18:19]
	v_mul_f64 v[10:11], v[8:9], v[16:17]
	v_fma_f64 v[10:11], v[6:7], v[14:15], -v[10:11]
	v_mul_f64 v[6:7], v[6:7], v[16:17]
	v_add_f64 v[32:33], v[32:33], v[10:11]
	v_fma_f64 v[6:7], v[8:9], v[14:15], v[6:7]
	v_add_f64 v[34:35], v[6:7], v[34:35]
	ds_read_b128 v[6:9], v25 offset:80
	ds_read_b128 v[10:13], v24 offset:2560
	s_waitcnt lgkmcnt(0)
	v_mul_f64 v[14:15], v[8:9], v[12:13]
	v_mul_f64 v[16:17], v[6:7], v[12:13]
	v_fma_f64 v[14:15], v[6:7], v[10:11], -v[14:15]
	v_fma_f64 v[16:17], v[8:9], v[10:11], v[16:17]
	v_add_f64 v[36:37], v[36:37], v[14:15]
	v_add_f64 v[20:21], v[16:17], v[20:21]
	ds_read_b128 v[14:17], v24 offset:2816
	s_waitcnt lgkmcnt(0)
	v_mul_f64 v[38:39], v[8:9], v[16:17]
	v_fma_f64 v[38:39], v[6:7], v[14:15], -v[38:39]
	v_mul_f64 v[6:7], v[6:7], v[16:17]
	v_add_f64 v[28:29], v[28:29], v[38:39]
	v_fma_f64 v[6:7], v[8:9], v[14:15], v[6:7]
	v_add_f64 v[26:27], v[6:7], v[26:27]
	ds_read_b128 v[6:9], v25 offset:2128
	s_waitcnt lgkmcnt(0)
	v_mul_f64 v[38:39], v[8:9], v[12:13]
	v_mul_f64 v[12:13], v[6:7], v[12:13]
	v_fma_f64 v[38:39], v[6:7], v[10:11], -v[38:39]
	v_fma_f64 v[10:11], v[8:9], v[10:11], v[12:13]
	v_add_f64 v[30:31], v[30:31], v[38:39]
	v_add_f64 v[18:19], v[10:11], v[18:19]
	v_mul_f64 v[10:11], v[8:9], v[16:17]
	v_fma_f64 v[10:11], v[6:7], v[14:15], -v[10:11]
	v_mul_f64 v[6:7], v[6:7], v[16:17]
	v_add_f64 v[32:33], v[32:33], v[10:11]
	v_fma_f64 v[6:7], v[8:9], v[14:15], v[6:7]
	v_add_f64 v[34:35], v[6:7], v[34:35]
	ds_read_b128 v[6:9], v25 offset:96
	ds_read_b128 v[10:13], v24 offset:3072
	s_waitcnt lgkmcnt(0)
	v_mul_f64 v[14:15], v[8:9], v[12:13]
	v_mul_f64 v[16:17], v[6:7], v[12:13]
	v_fma_f64 v[14:15], v[6:7], v[10:11], -v[14:15]
	v_fma_f64 v[16:17], v[8:9], v[10:11], v[16:17]
	v_add_f64 v[36:37], v[36:37], v[14:15]
	v_add_f64 v[20:21], v[16:17], v[20:21]
	ds_read_b128 v[14:17], v24 offset:3328
	s_waitcnt lgkmcnt(0)
	v_mul_f64 v[38:39], v[8:9], v[16:17]
	v_fma_f64 v[38:39], v[6:7], v[14:15], -v[38:39]
	v_mul_f64 v[6:7], v[6:7], v[16:17]
	v_add_f64 v[38:39], v[28:29], v[38:39]
	v_fma_f64 v[6:7], v[8:9], v[14:15], v[6:7]
	v_add_f64 v[40:41], v[6:7], v[26:27]
	ds_read_b128 v[6:9], v25 offset:2144
	s_waitcnt lgkmcnt(0)
	v_mul_f64 v[26:27], v[8:9], v[12:13]
	v_mul_f64 v[12:13], v[6:7], v[12:13]
	v_fma_f64 v[26:27], v[6:7], v[10:11], -v[26:27]
	v_fma_f64 v[10:11], v[8:9], v[10:11], v[12:13]
	v_add_f64 v[42:43], v[30:31], v[26:27]
	v_add_f64 v[18:19], v[10:11], v[18:19]
	v_mul_f64 v[10:11], v[8:9], v[16:17]
	v_fma_f64 v[10:11], v[6:7], v[14:15], -v[10:11]
	v_mul_f64 v[6:7], v[6:7], v[16:17]
	v_add_f64 v[44:45], v[32:33], v[10:11]
	v_fma_f64 v[6:7], v[8:9], v[14:15], v[6:7]
	v_add_f64 v[34:35], v[6:7], v[34:35]
	ds_read_b128 v[6:9], v25 offset:112
	ds_read_b128 v[10:13], v24 offset:3584
	;; [unrolled: 1-line block ×4, first 2 shown]
	s_waitcnt lgkmcnt(0)
	s_barrier
	v_mul_f64 v[16:17], v[6:7], v[12:13]
	v_mul_f64 v[14:15], v[8:9], v[12:13]
	v_fma_f64 v[16:17], v[8:9], v[10:11], v[16:17]
	v_fma_f64 v[14:15], v[6:7], v[10:11], -v[14:15]
	v_add_f64 v[20:21], v[16:17], v[20:21]
	v_mul_f64 v[16:17], v[8:9], v[28:29]
	v_add_f64 v[14:15], v[36:37], v[14:15]
	v_fma_f64 v[16:17], v[6:7], v[26:27], -v[16:17]
	v_mul_f64 v[6:7], v[6:7], v[28:29]
	v_fma_f64 v[8:9], v[8:9], v[26:27], v[6:7]
	v_add_f64 v[6:7], v[38:39], v[16:17]
	v_mul_f64 v[16:17], v[32:33], v[12:13]
	v_mul_f64 v[12:13], v[30:31], v[12:13]
	v_add_f64 v[8:9], v[8:9], v[40:41]
	v_fma_f64 v[16:17], v[30:31], v[10:11], -v[16:17]
	v_fma_f64 v[10:11], v[32:33], v[10:11], v[12:13]
	v_mul_f64 v[12:13], v[30:31], v[28:29]
	v_add_f64 v[16:17], v[42:43], v[16:17]
	v_add_f64 v[18:19], v[10:11], v[18:19]
	v_mul_f64 v[10:11], v[32:33], v[28:29]
	v_fma_f64 v[10:11], v[30:31], v[26:27], -v[10:11]
	v_fma_f64 v[26:27], v[32:33], v[26:27], v[12:13]
	v_add_f64 v[12:13], v[44:45], v[10:11]
	v_add_f64 v[10:11], v[26:27], v[34:35]
	s_cbranch_scc0 .LBB858_2
	s_branch .LBB858_4
.LBB858_3:
	v_mov_b32_e32 v14, 0
	v_mov_b32_e32 v20, 0
	;; [unrolled: 1-line block ×16, first 2 shown]
.LBB858_4:
	s_load_dword s3, s[4:5], 0x40
	v_add_u32_e32 v4, s7, v1
	s_waitcnt lgkmcnt(0)
	v_mov_b32_e32 v3, s11
	v_add_u32_e32 v0, s6, v0
	v_cmp_gt_i32_e32 vcc, s2, v4
	v_mad_i64_i32 v[1:2], s[0:1], v4, s3, 0
	v_lshlrev_b64 v[1:2], 4, v[1:2]
	v_add_co_u32_e64 v5, s[0:1], s10, v1
	v_addc_co_u32_e64 v22, s[0:1], v3, v2, s[0:1]
	v_cmp_le_i32_e64 s[0:1], v0, v4
	s_and_b64 s[0:1], vcc, s[0:1]
	s_and_saveexec_b64 s[4:5], s[0:1]
	s_cbranch_execz .LBB858_6
; %bb.5:
	v_ashrrev_i32_e32 v1, 31, v0
	v_lshlrev_b64 v[1:2], 4, v[0:1]
	v_add_co_u32_e64 v1, s[0:1], v5, v1
	v_addc_co_u32_e64 v2, s[0:1], v22, v2, s[0:1]
	flat_load_dwordx4 v[23:26], v[1:2]
	v_cmp_ne_u32_e64 s[0:1], v4, v0
	s_waitcnt vmcnt(0) lgkmcnt(0)
	v_add_f64 v[20:21], v[20:21], -v[25:26]
	v_add_f64 v[23:24], v[14:15], -v[23:24]
	v_cndmask_b32_e64 v26, 0, v21, s[0:1]
	v_cndmask_b32_e64 v25, 0, v20, s[0:1]
	flat_store_dwordx4 v[1:2], v[23:26]
.LBB858_6:
	s_or_b64 exec, exec, s[4:5]
	v_add_u32_e32 v2, 16, v0
	v_cmp_le_i32_e64 s[0:1], v2, v4
	s_and_b64 s[4:5], vcc, s[0:1]
	s_and_saveexec_b64 s[0:1], s[4:5]
	s_cbranch_execz .LBB858_8
; %bb.7:
	v_ashrrev_i32_e32 v3, 31, v2
	v_lshlrev_b64 v[14:15], 4, v[2:3]
	v_add_co_u32_e32 v14, vcc, v5, v14
	v_addc_co_u32_e32 v15, vcc, v22, v15, vcc
	flat_load_dwordx4 v[20:23], v[14:15]
	v_cmp_ne_u32_e32 vcc, v4, v2
	s_waitcnt vmcnt(0) lgkmcnt(0)
	v_add_f64 v[22:23], v[8:9], -v[22:23]
	v_add_f64 v[5:6], v[6:7], -v[20:21]
	v_cndmask_b32_e32 v8, 0, v23, vcc
	v_cndmask_b32_e32 v7, 0, v22, vcc
	flat_store_dwordx4 v[14:15], v[5:8]
.LBB858_8:
	s_or_b64 exec, exec, s[0:1]
	v_add_u32_e32 v3, 16, v4
	v_mad_i64_i32 v[5:6], s[0:1], v3, s3, 0
	v_mov_b32_e32 v1, s11
	v_cmp_gt_i32_e32 vcc, s2, v3
	v_lshlrev_b64 v[5:6], 4, v[5:6]
	v_add_co_u32_e64 v5, s[0:1], s10, v5
	v_addc_co_u32_e64 v6, s[0:1], v1, v6, s[0:1]
	v_cmp_le_i32_e64 s[0:1], v0, v3
	s_and_b64 s[0:1], vcc, s[0:1]
	s_and_saveexec_b64 s[2:3], s[0:1]
	s_cbranch_execz .LBB858_10
; %bb.9:
	v_ashrrev_i32_e32 v1, 31, v0
	v_lshlrev_b64 v[7:8], 4, v[0:1]
	v_add_co_u32_e64 v7, s[0:1], v5, v7
	v_addc_co_u32_e64 v8, s[0:1], v6, v8, s[0:1]
	flat_load_dwordx4 v[20:23], v[7:8]
	v_cmp_ne_u32_e64 s[0:1], v3, v0
	s_waitcnt vmcnt(0) lgkmcnt(0)
	v_add_f64 v[18:19], v[18:19], -v[22:23]
	v_add_f64 v[14:15], v[16:17], -v[20:21]
	v_cndmask_b32_e64 v17, 0, v19, s[0:1]
	v_cndmask_b32_e64 v16, 0, v18, s[0:1]
	flat_store_dwordx4 v[7:8], v[14:17]
.LBB858_10:
	s_or_b64 exec, exec, s[2:3]
	v_cmp_le_i32_e64 s[0:1], v2, v3
	s_and_b64 s[0:1], vcc, s[0:1]
	s_and_saveexec_b64 s[2:3], s[0:1]
	s_cbranch_execz .LBB858_12
; %bb.11:
	v_ashrrev_i32_e32 v3, 31, v2
	v_lshlrev_b64 v[1:2], 4, v[2:3]
	v_add_co_u32_e32 v14, vcc, v5, v1
	v_addc_co_u32_e32 v15, vcc, v6, v2, vcc
	flat_load_dwordx4 v[5:8], v[14:15]
	v_cmp_ne_u32_e32 vcc, v4, v0
	s_waitcnt vmcnt(0) lgkmcnt(0)
	v_add_f64 v[7:8], v[10:11], -v[7:8]
	v_add_f64 v[1:2], v[12:13], -v[5:6]
	v_cndmask_b32_e32 v4, 0, v8, vcc
	v_cndmask_b32_e32 v3, 0, v7, vcc
	flat_store_dwordx4 v[14:15], v[1:4]
.LBB858_12:
	s_endpgm
	.section	.rodata,"a",@progbits
	.p2align	6, 0x0
	.amdhsa_kernel _ZL37rocblas_syrkx_herkx_restricted_kernelIi19rocblas_complex_numIdELi16ELi32ELi8ELi1ELin1ELb1ELc84ELc85EKPKS1_KPS1_EviT_PT9_S7_lS9_S7_lPT10_S7_li
		.amdhsa_group_segment_fixed_size 8192
		.amdhsa_private_segment_fixed_size 0
		.amdhsa_kernarg_size 84
		.amdhsa_user_sgpr_count 6
		.amdhsa_user_sgpr_private_segment_buffer 1
		.amdhsa_user_sgpr_dispatch_ptr 0
		.amdhsa_user_sgpr_queue_ptr 0
		.amdhsa_user_sgpr_kernarg_segment_ptr 1
		.amdhsa_user_sgpr_dispatch_id 0
		.amdhsa_user_sgpr_flat_scratch_init 0
		.amdhsa_user_sgpr_private_segment_size 0
		.amdhsa_uses_dynamic_stack 0
		.amdhsa_system_sgpr_private_segment_wavefront_offset 0
		.amdhsa_system_sgpr_workgroup_id_x 1
		.amdhsa_system_sgpr_workgroup_id_y 1
		.amdhsa_system_sgpr_workgroup_id_z 1
		.amdhsa_system_sgpr_workgroup_info 0
		.amdhsa_system_vgpr_workitem_id 1
		.amdhsa_next_free_vgpr 52
		.amdhsa_next_free_sgpr 61
		.amdhsa_reserve_vcc 1
		.amdhsa_reserve_flat_scratch 0
		.amdhsa_float_round_mode_32 0
		.amdhsa_float_round_mode_16_64 0
		.amdhsa_float_denorm_mode_32 3
		.amdhsa_float_denorm_mode_16_64 3
		.amdhsa_dx10_clamp 1
		.amdhsa_ieee_mode 1
		.amdhsa_fp16_overflow 0
		.amdhsa_exception_fp_ieee_invalid_op 0
		.amdhsa_exception_fp_denorm_src 0
		.amdhsa_exception_fp_ieee_div_zero 0
		.amdhsa_exception_fp_ieee_overflow 0
		.amdhsa_exception_fp_ieee_underflow 0
		.amdhsa_exception_fp_ieee_inexact 0
		.amdhsa_exception_int_div_zero 0
	.end_amdhsa_kernel
	.section	.text._ZL37rocblas_syrkx_herkx_restricted_kernelIi19rocblas_complex_numIdELi16ELi32ELi8ELi1ELin1ELb1ELc84ELc85EKPKS1_KPS1_EviT_PT9_S7_lS9_S7_lPT10_S7_li,"axG",@progbits,_ZL37rocblas_syrkx_herkx_restricted_kernelIi19rocblas_complex_numIdELi16ELi32ELi8ELi1ELin1ELb1ELc84ELc85EKPKS1_KPS1_EviT_PT9_S7_lS9_S7_lPT10_S7_li,comdat
.Lfunc_end858:
	.size	_ZL37rocblas_syrkx_herkx_restricted_kernelIi19rocblas_complex_numIdELi16ELi32ELi8ELi1ELin1ELb1ELc84ELc85EKPKS1_KPS1_EviT_PT9_S7_lS9_S7_lPT10_S7_li, .Lfunc_end858-_ZL37rocblas_syrkx_herkx_restricted_kernelIi19rocblas_complex_numIdELi16ELi32ELi8ELi1ELin1ELb1ELc84ELc85EKPKS1_KPS1_EviT_PT9_S7_lS9_S7_lPT10_S7_li
                                        ; -- End function
	.set _ZL37rocblas_syrkx_herkx_restricted_kernelIi19rocblas_complex_numIdELi16ELi32ELi8ELi1ELin1ELb1ELc84ELc85EKPKS1_KPS1_EviT_PT9_S7_lS9_S7_lPT10_S7_li.num_vgpr, 52
	.set _ZL37rocblas_syrkx_herkx_restricted_kernelIi19rocblas_complex_numIdELi16ELi32ELi8ELi1ELin1ELb1ELc84ELc85EKPKS1_KPS1_EviT_PT9_S7_lS9_S7_lPT10_S7_li.num_agpr, 0
	.set _ZL37rocblas_syrkx_herkx_restricted_kernelIi19rocblas_complex_numIdELi16ELi32ELi8ELi1ELin1ELb1ELc84ELc85EKPKS1_KPS1_EviT_PT9_S7_lS9_S7_lPT10_S7_li.numbered_sgpr, 17
	.set _ZL37rocblas_syrkx_herkx_restricted_kernelIi19rocblas_complex_numIdELi16ELi32ELi8ELi1ELin1ELb1ELc84ELc85EKPKS1_KPS1_EviT_PT9_S7_lS9_S7_lPT10_S7_li.num_named_barrier, 0
	.set _ZL37rocblas_syrkx_herkx_restricted_kernelIi19rocblas_complex_numIdELi16ELi32ELi8ELi1ELin1ELb1ELc84ELc85EKPKS1_KPS1_EviT_PT9_S7_lS9_S7_lPT10_S7_li.private_seg_size, 0
	.set _ZL37rocblas_syrkx_herkx_restricted_kernelIi19rocblas_complex_numIdELi16ELi32ELi8ELi1ELin1ELb1ELc84ELc85EKPKS1_KPS1_EviT_PT9_S7_lS9_S7_lPT10_S7_li.uses_vcc, 1
	.set _ZL37rocblas_syrkx_herkx_restricted_kernelIi19rocblas_complex_numIdELi16ELi32ELi8ELi1ELin1ELb1ELc84ELc85EKPKS1_KPS1_EviT_PT9_S7_lS9_S7_lPT10_S7_li.uses_flat_scratch, 0
	.set _ZL37rocblas_syrkx_herkx_restricted_kernelIi19rocblas_complex_numIdELi16ELi32ELi8ELi1ELin1ELb1ELc84ELc85EKPKS1_KPS1_EviT_PT9_S7_lS9_S7_lPT10_S7_li.has_dyn_sized_stack, 0
	.set _ZL37rocblas_syrkx_herkx_restricted_kernelIi19rocblas_complex_numIdELi16ELi32ELi8ELi1ELin1ELb1ELc84ELc85EKPKS1_KPS1_EviT_PT9_S7_lS9_S7_lPT10_S7_li.has_recursion, 0
	.set _ZL37rocblas_syrkx_herkx_restricted_kernelIi19rocblas_complex_numIdELi16ELi32ELi8ELi1ELin1ELb1ELc84ELc85EKPKS1_KPS1_EviT_PT9_S7_lS9_S7_lPT10_S7_li.has_indirect_call, 0
	.section	.AMDGPU.csdata,"",@progbits
; Kernel info:
; codeLenInByte = 2896
; TotalNumSgprs: 21
; NumVgprs: 52
; ScratchSize: 0
; MemoryBound: 0
; FloatMode: 240
; IeeeMode: 1
; LDSByteSize: 8192 bytes/workgroup (compile time only)
; SGPRBlocks: 8
; VGPRBlocks: 12
; NumSGPRsForWavesPerEU: 65
; NumVGPRsForWavesPerEU: 52
; Occupancy: 4
; WaveLimiterHint : 1
; COMPUTE_PGM_RSRC2:SCRATCH_EN: 0
; COMPUTE_PGM_RSRC2:USER_SGPR: 6
; COMPUTE_PGM_RSRC2:TRAP_HANDLER: 0
; COMPUTE_PGM_RSRC2:TGID_X_EN: 1
; COMPUTE_PGM_RSRC2:TGID_Y_EN: 1
; COMPUTE_PGM_RSRC2:TGID_Z_EN: 1
; COMPUTE_PGM_RSRC2:TIDIG_COMP_CNT: 1
	.section	.text._ZL37rocblas_syrkx_herkx_restricted_kernelIi19rocblas_complex_numIdELi16ELi32ELi8ELi1ELin1ELb1ELc67ELc85EKPKS1_KPS1_EviT_PT9_S7_lS9_S7_lPT10_S7_li,"axG",@progbits,_ZL37rocblas_syrkx_herkx_restricted_kernelIi19rocblas_complex_numIdELi16ELi32ELi8ELi1ELin1ELb1ELc67ELc85EKPKS1_KPS1_EviT_PT9_S7_lS9_S7_lPT10_S7_li,comdat
	.globl	_ZL37rocblas_syrkx_herkx_restricted_kernelIi19rocblas_complex_numIdELi16ELi32ELi8ELi1ELin1ELb1ELc67ELc85EKPKS1_KPS1_EviT_PT9_S7_lS9_S7_lPT10_S7_li ; -- Begin function _ZL37rocblas_syrkx_herkx_restricted_kernelIi19rocblas_complex_numIdELi16ELi32ELi8ELi1ELin1ELb1ELc67ELc85EKPKS1_KPS1_EviT_PT9_S7_lS9_S7_lPT10_S7_li
	.p2align	8
	.type	_ZL37rocblas_syrkx_herkx_restricted_kernelIi19rocblas_complex_numIdELi16ELi32ELi8ELi1ELin1ELb1ELc67ELc85EKPKS1_KPS1_EviT_PT9_S7_lS9_S7_lPT10_S7_li,@function
_ZL37rocblas_syrkx_herkx_restricted_kernelIi19rocblas_complex_numIdELi16ELi32ELi8ELi1ELin1ELb1ELc67ELc85EKPKS1_KPS1_EviT_PT9_S7_lS9_S7_lPT10_S7_li: ; @_ZL37rocblas_syrkx_herkx_restricted_kernelIi19rocblas_complex_numIdELi16ELi32ELi8ELi1ELin1ELb1ELc67ELc85EKPKS1_KPS1_EviT_PT9_S7_lS9_S7_lPT10_S7_li
; %bb.0:
	s_load_dwordx2 s[10:11], s[4:5], 0x38
	s_load_dwordx2 s[2:3], s[4:5], 0x0
	s_mov_b32 s9, 0
	s_lshl_b64 s[0:1], s[8:9], 3
	s_waitcnt lgkmcnt(0)
	s_add_u32 s10, s10, s0
	s_addc_u32 s11, s11, s1
	s_load_dwordx2 s[10:11], s[10:11], 0x0
	s_lshl_b32 s6, s6, 5
	s_lshl_b32 s7, s7, 5
	s_cmp_lt_i32 s3, 1
	s_cbranch_scc1 .LBB859_3
; %bb.1:
	s_load_dwordx2 s[12:13], s[4:5], 0x8
	s_load_dword s8, s[4:5], 0x10
	s_load_dwordx2 s[14:15], s[4:5], 0x20
	s_load_dword s16, s[4:5], 0x28
	v_lshl_add_u32 v6, v1, 4, v0
	s_waitcnt lgkmcnt(0)
	s_add_u32 s12, s12, s0
	s_addc_u32 s13, s13, s1
	v_lshrrev_b32_e32 v8, 3, v6
	s_add_u32 s0, s14, s0
	v_add_u32_e32 v4, s7, v8
	v_and_b32_e32 v2, 7, v0
	v_mov_b32_e32 v3, 0
	s_addc_u32 s1, s15, s1
	v_mad_i64_i32 v[4:5], s[14:15], s16, v4, v[2:3]
	v_and_b32_e32 v9, 31, v6
	v_lshlrev_b32_e32 v2, 4, v2
	v_lshrrev_b32_e32 v6, 5, v6
	v_mov_b32_e32 v7, v3
	v_lshlrev_b32_e32 v3, 4, v9
	v_lshl_or_b32 v8, v8, 7, v2
	v_add_u32_e32 v2, s6, v9
	v_lshl_or_b32 v22, v6, 9, v3
	v_mad_i64_i32 v[2:3], s[14:15], s8, v2, v[6:7]
	s_load_dwordx2 s[12:13], s[12:13], 0x0
	v_lshlrev_b64 v[4:5], 4, v[4:5]
	s_load_dwordx2 s[0:1], s[0:1], 0x0
	v_lshlrev_b64 v[2:3], 4, v[2:3]
	v_add_u32_e32 v23, 0x1000, v8
	s_waitcnt lgkmcnt(0)
	v_mov_b32_e32 v6, s13
	v_add_co_u32_e32 v2, vcc, s12, v2
	v_addc_co_u32_e32 v3, vcc, v6, v3, vcc
	v_mov_b32_e32 v6, s1
	v_add_co_u32_e32 v4, vcc, s0, v4
	v_mov_b32_e32 v25, 0x1000
	v_addc_co_u32_e32 v5, vcc, v6, v5, vcc
	v_mov_b32_e32 v10, 0
	v_mov_b32_e32 v12, 0
	;; [unrolled: 1-line block ×8, first 2 shown]
	v_lshlrev_b32_e32 v24, 4, v0
	v_mov_b32_e32 v11, 0
	v_mov_b32_e32 v13, 0
	;; [unrolled: 1-line block ×8, first 2 shown]
	v_lshl_add_u32 v25, v1, 7, v25
.LBB859_2:                              ; =>This Inner Loop Header: Depth=1
	flat_load_dwordx4 v[26:29], v[2:3]
	v_add_co_u32_e32 v2, vcc, 0x80, v2
	v_addc_co_u32_e32 v3, vcc, 0, v3, vcc
	s_add_i32 s9, s9, 8
	s_cmp_ge_i32 s9, s3
	s_waitcnt vmcnt(0) lgkmcnt(0)
	v_xor_b32_e32 v29, 0x80000000, v29
	ds_write_b128 v22, v[26:29]
	flat_load_dwordx4 v[26:29], v[4:5]
	v_add_co_u32_e32 v4, vcc, 0x80, v4
	v_addc_co_u32_e32 v5, vcc, 0, v5, vcc
	s_waitcnt vmcnt(0) lgkmcnt(0)
	ds_write_b128 v23, v[26:29]
	s_waitcnt lgkmcnt(0)
	s_barrier
	ds_read_b128 v[26:29], v25
	ds_read_b128 v[30:33], v25 offset:16
	ds_read_b128 v[34:37], v25 offset:32
	;; [unrolled: 1-line block ×3, first 2 shown]
	ds_read_b128 v[42:45], v24
	s_waitcnt lgkmcnt(0)
	v_mul_f64 v[46:47], v[28:29], v[44:45]
	v_mul_f64 v[48:49], v[26:27], v[44:45]
	v_fma_f64 v[46:47], v[26:27], v[42:43], -v[46:47]
	v_fma_f64 v[48:49], v[28:29], v[42:43], v[48:49]
	v_add_f64 v[14:15], v[14:15], v[46:47]
	v_add_f64 v[20:21], v[48:49], v[20:21]
	ds_read_b128 v[46:49], v24 offset:256
	s_waitcnt lgkmcnt(0)
	v_mul_f64 v[50:51], v[28:29], v[48:49]
	v_fma_f64 v[50:51], v[26:27], v[46:47], -v[50:51]
	v_mul_f64 v[26:27], v[26:27], v[48:49]
	v_fma_f64 v[26:27], v[28:29], v[46:47], v[26:27]
	v_add_f64 v[28:29], v[6:7], v[50:51]
	v_add_f64 v[26:27], v[26:27], v[8:9]
	ds_read_b128 v[6:9], v25 offset:2048
	s_waitcnt lgkmcnt(0)
	v_mul_f64 v[50:51], v[8:9], v[44:45]
	v_mul_f64 v[44:45], v[6:7], v[44:45]
	v_fma_f64 v[50:51], v[6:7], v[42:43], -v[50:51]
	v_fma_f64 v[42:43], v[8:9], v[42:43], v[44:45]
	v_add_f64 v[44:45], v[16:17], v[50:51]
	v_mul_f64 v[16:17], v[8:9], v[48:49]
	v_add_f64 v[18:19], v[42:43], v[18:19]
	v_fma_f64 v[16:17], v[6:7], v[46:47], -v[16:17]
	v_mul_f64 v[6:7], v[6:7], v[48:49]
	v_add_f64 v[42:43], v[12:13], v[16:17]
	v_fma_f64 v[6:7], v[8:9], v[46:47], v[6:7]
	v_add_f64 v[46:47], v[6:7], v[10:11]
	ds_read_b128 v[6:9], v24 offset:512
	s_waitcnt lgkmcnt(0)
	v_mul_f64 v[10:11], v[32:33], v[8:9]
	v_mul_f64 v[12:13], v[30:31], v[8:9]
	v_fma_f64 v[10:11], v[30:31], v[6:7], -v[10:11]
	v_fma_f64 v[12:13], v[32:33], v[6:7], v[12:13]
	v_add_f64 v[48:49], v[14:15], v[10:11]
	v_add_f64 v[20:21], v[12:13], v[20:21]
	ds_read_b128 v[10:13], v24 offset:768
	s_waitcnt lgkmcnt(0)
	v_mul_f64 v[14:15], v[32:33], v[12:13]
	v_mul_f64 v[16:17], v[30:31], v[12:13]
	v_fma_f64 v[14:15], v[30:31], v[10:11], -v[14:15]
	v_fma_f64 v[16:17], v[32:33], v[10:11], v[16:17]
	v_add_f64 v[28:29], v[28:29], v[14:15]
	v_add_f64 v[26:27], v[16:17], v[26:27]
	ds_read_b128 v[14:17], v25 offset:2064
	s_waitcnt lgkmcnt(0)
	v_mul_f64 v[30:31], v[16:17], v[8:9]
	v_mul_f64 v[8:9], v[14:15], v[8:9]
	v_fma_f64 v[30:31], v[14:15], v[6:7], -v[30:31]
	v_fma_f64 v[6:7], v[16:17], v[6:7], v[8:9]
	v_mul_f64 v[8:9], v[14:15], v[12:13]
	v_add_f64 v[30:31], v[44:45], v[30:31]
	v_add_f64 v[18:19], v[6:7], v[18:19]
	v_mul_f64 v[6:7], v[16:17], v[12:13]
	v_fma_f64 v[8:9], v[16:17], v[10:11], v[8:9]
	v_fma_f64 v[6:7], v[14:15], v[10:11], -v[6:7]
	v_add_f64 v[32:33], v[42:43], v[6:7]
	v_add_f64 v[42:43], v[8:9], v[46:47]
	ds_read_b128 v[6:9], v24 offset:1024
	s_waitcnt lgkmcnt(0)
	v_mul_f64 v[10:11], v[36:37], v[8:9]
	v_mul_f64 v[12:13], v[34:35], v[8:9]
	v_fma_f64 v[10:11], v[34:35], v[6:7], -v[10:11]
	v_fma_f64 v[12:13], v[36:37], v[6:7], v[12:13]
	v_add_f64 v[44:45], v[48:49], v[10:11]
	v_add_f64 v[20:21], v[12:13], v[20:21]
	ds_read_b128 v[10:13], v24 offset:1280
	s_waitcnt lgkmcnt(0)
	v_mul_f64 v[14:15], v[36:37], v[12:13]
	v_mul_f64 v[16:17], v[34:35], v[12:13]
	v_fma_f64 v[14:15], v[34:35], v[10:11], -v[14:15]
	v_fma_f64 v[16:17], v[36:37], v[10:11], v[16:17]
	v_add_f64 v[28:29], v[28:29], v[14:15]
	v_add_f64 v[26:27], v[16:17], v[26:27]
	ds_read_b128 v[14:17], v25 offset:2080
	s_waitcnt lgkmcnt(0)
	v_mul_f64 v[34:35], v[16:17], v[8:9]
	v_mul_f64 v[8:9], v[14:15], v[8:9]
	v_fma_f64 v[34:35], v[14:15], v[6:7], -v[34:35]
	v_fma_f64 v[6:7], v[16:17], v[6:7], v[8:9]
	v_mul_f64 v[8:9], v[14:15], v[12:13]
	v_add_f64 v[30:31], v[30:31], v[34:35]
	v_add_f64 v[18:19], v[6:7], v[18:19]
	v_mul_f64 v[6:7], v[16:17], v[12:13]
	v_fma_f64 v[8:9], v[16:17], v[10:11], v[8:9]
	v_fma_f64 v[6:7], v[14:15], v[10:11], -v[6:7]
	v_add_f64 v[34:35], v[8:9], v[42:43]
	;; [unrolled: 30-line block ×3, first 2 shown]
	v_add_f64 v[32:33], v[32:33], v[6:7]
	ds_read_b128 v[6:9], v25 offset:64
	ds_read_b128 v[10:13], v24 offset:2048
	s_waitcnt lgkmcnt(0)
	v_mul_f64 v[14:15], v[8:9], v[12:13]
	v_mul_f64 v[16:17], v[6:7], v[12:13]
	v_fma_f64 v[14:15], v[6:7], v[10:11], -v[14:15]
	v_fma_f64 v[16:17], v[8:9], v[10:11], v[16:17]
	v_add_f64 v[36:37], v[36:37], v[14:15]
	v_add_f64 v[20:21], v[16:17], v[20:21]
	ds_read_b128 v[14:17], v24 offset:2304
	s_waitcnt lgkmcnt(0)
	v_mul_f64 v[38:39], v[8:9], v[16:17]
	v_fma_f64 v[38:39], v[6:7], v[14:15], -v[38:39]
	v_mul_f64 v[6:7], v[6:7], v[16:17]
	v_add_f64 v[28:29], v[28:29], v[38:39]
	v_fma_f64 v[6:7], v[8:9], v[14:15], v[6:7]
	v_add_f64 v[26:27], v[6:7], v[26:27]
	ds_read_b128 v[6:9], v25 offset:2112
	s_waitcnt lgkmcnt(0)
	v_mul_f64 v[38:39], v[8:9], v[12:13]
	v_mul_f64 v[12:13], v[6:7], v[12:13]
	v_fma_f64 v[38:39], v[6:7], v[10:11], -v[38:39]
	v_fma_f64 v[10:11], v[8:9], v[10:11], v[12:13]
	v_add_f64 v[30:31], v[30:31], v[38:39]
	v_add_f64 v[18:19], v[10:11], v[18:19]
	v_mul_f64 v[10:11], v[8:9], v[16:17]
	v_fma_f64 v[10:11], v[6:7], v[14:15], -v[10:11]
	v_mul_f64 v[6:7], v[6:7], v[16:17]
	v_add_f64 v[32:33], v[32:33], v[10:11]
	v_fma_f64 v[6:7], v[8:9], v[14:15], v[6:7]
	v_add_f64 v[34:35], v[6:7], v[34:35]
	ds_read_b128 v[6:9], v25 offset:80
	ds_read_b128 v[10:13], v24 offset:2560
	s_waitcnt lgkmcnt(0)
	v_mul_f64 v[14:15], v[8:9], v[12:13]
	v_mul_f64 v[16:17], v[6:7], v[12:13]
	v_fma_f64 v[14:15], v[6:7], v[10:11], -v[14:15]
	v_fma_f64 v[16:17], v[8:9], v[10:11], v[16:17]
	v_add_f64 v[36:37], v[36:37], v[14:15]
	v_add_f64 v[20:21], v[16:17], v[20:21]
	ds_read_b128 v[14:17], v24 offset:2816
	s_waitcnt lgkmcnt(0)
	v_mul_f64 v[38:39], v[8:9], v[16:17]
	v_fma_f64 v[38:39], v[6:7], v[14:15], -v[38:39]
	v_mul_f64 v[6:7], v[6:7], v[16:17]
	v_add_f64 v[28:29], v[28:29], v[38:39]
	v_fma_f64 v[6:7], v[8:9], v[14:15], v[6:7]
	v_add_f64 v[26:27], v[6:7], v[26:27]
	ds_read_b128 v[6:9], v25 offset:2128
	s_waitcnt lgkmcnt(0)
	v_mul_f64 v[38:39], v[8:9], v[12:13]
	v_mul_f64 v[12:13], v[6:7], v[12:13]
	v_fma_f64 v[38:39], v[6:7], v[10:11], -v[38:39]
	v_fma_f64 v[10:11], v[8:9], v[10:11], v[12:13]
	v_add_f64 v[30:31], v[30:31], v[38:39]
	v_add_f64 v[18:19], v[10:11], v[18:19]
	v_mul_f64 v[10:11], v[8:9], v[16:17]
	v_fma_f64 v[10:11], v[6:7], v[14:15], -v[10:11]
	v_mul_f64 v[6:7], v[6:7], v[16:17]
	v_add_f64 v[32:33], v[32:33], v[10:11]
	v_fma_f64 v[6:7], v[8:9], v[14:15], v[6:7]
	;; [unrolled: 31-line block ×3, first 2 shown]
	v_add_f64 v[34:35], v[6:7], v[34:35]
	ds_read_b128 v[6:9], v25 offset:112
	ds_read_b128 v[10:13], v24 offset:3584
	;; [unrolled: 1-line block ×4, first 2 shown]
	s_waitcnt lgkmcnt(0)
	s_barrier
	v_mul_f64 v[16:17], v[6:7], v[12:13]
	v_mul_f64 v[14:15], v[8:9], v[12:13]
	v_fma_f64 v[16:17], v[8:9], v[10:11], v[16:17]
	v_fma_f64 v[14:15], v[6:7], v[10:11], -v[14:15]
	v_add_f64 v[20:21], v[16:17], v[20:21]
	v_mul_f64 v[16:17], v[8:9], v[28:29]
	v_add_f64 v[14:15], v[36:37], v[14:15]
	v_fma_f64 v[16:17], v[6:7], v[26:27], -v[16:17]
	v_mul_f64 v[6:7], v[6:7], v[28:29]
	v_fma_f64 v[8:9], v[8:9], v[26:27], v[6:7]
	v_add_f64 v[6:7], v[38:39], v[16:17]
	v_mul_f64 v[16:17], v[32:33], v[12:13]
	v_mul_f64 v[12:13], v[30:31], v[12:13]
	v_add_f64 v[8:9], v[8:9], v[40:41]
	v_fma_f64 v[16:17], v[30:31], v[10:11], -v[16:17]
	v_fma_f64 v[10:11], v[32:33], v[10:11], v[12:13]
	v_mul_f64 v[12:13], v[30:31], v[28:29]
	v_add_f64 v[16:17], v[42:43], v[16:17]
	v_add_f64 v[18:19], v[10:11], v[18:19]
	v_mul_f64 v[10:11], v[32:33], v[28:29]
	v_fma_f64 v[10:11], v[30:31], v[26:27], -v[10:11]
	v_fma_f64 v[26:27], v[32:33], v[26:27], v[12:13]
	v_add_f64 v[12:13], v[44:45], v[10:11]
	v_add_f64 v[10:11], v[26:27], v[34:35]
	s_cbranch_scc0 .LBB859_2
	s_branch .LBB859_4
.LBB859_3:
	v_mov_b32_e32 v14, 0
	v_mov_b32_e32 v20, 0
	;; [unrolled: 1-line block ×16, first 2 shown]
.LBB859_4:
	s_load_dword s3, s[4:5], 0x40
	v_add_u32_e32 v4, s7, v1
	s_waitcnt lgkmcnt(0)
	v_mov_b32_e32 v3, s11
	v_add_u32_e32 v0, s6, v0
	v_cmp_gt_i32_e32 vcc, s2, v4
	v_mad_i64_i32 v[1:2], s[0:1], v4, s3, 0
	v_lshlrev_b64 v[1:2], 4, v[1:2]
	v_add_co_u32_e64 v5, s[0:1], s10, v1
	v_addc_co_u32_e64 v22, s[0:1], v3, v2, s[0:1]
	v_cmp_le_i32_e64 s[0:1], v0, v4
	s_and_b64 s[0:1], vcc, s[0:1]
	s_and_saveexec_b64 s[4:5], s[0:1]
	s_cbranch_execz .LBB859_6
; %bb.5:
	v_ashrrev_i32_e32 v1, 31, v0
	v_lshlrev_b64 v[1:2], 4, v[0:1]
	v_add_co_u32_e64 v1, s[0:1], v5, v1
	v_addc_co_u32_e64 v2, s[0:1], v22, v2, s[0:1]
	flat_load_dwordx4 v[23:26], v[1:2]
	v_cmp_ne_u32_e64 s[0:1], v4, v0
	s_waitcnt vmcnt(0) lgkmcnt(0)
	v_add_f64 v[20:21], v[20:21], -v[25:26]
	v_add_f64 v[23:24], v[14:15], -v[23:24]
	v_cndmask_b32_e64 v26, 0, v21, s[0:1]
	v_cndmask_b32_e64 v25, 0, v20, s[0:1]
	flat_store_dwordx4 v[1:2], v[23:26]
.LBB859_6:
	s_or_b64 exec, exec, s[4:5]
	v_add_u32_e32 v2, 16, v0
	v_cmp_le_i32_e64 s[0:1], v2, v4
	s_and_b64 s[4:5], vcc, s[0:1]
	s_and_saveexec_b64 s[0:1], s[4:5]
	s_cbranch_execz .LBB859_8
; %bb.7:
	v_ashrrev_i32_e32 v3, 31, v2
	v_lshlrev_b64 v[14:15], 4, v[2:3]
	v_add_co_u32_e32 v14, vcc, v5, v14
	v_addc_co_u32_e32 v15, vcc, v22, v15, vcc
	flat_load_dwordx4 v[20:23], v[14:15]
	v_cmp_ne_u32_e32 vcc, v4, v2
	s_waitcnt vmcnt(0) lgkmcnt(0)
	v_add_f64 v[22:23], v[8:9], -v[22:23]
	v_add_f64 v[5:6], v[6:7], -v[20:21]
	v_cndmask_b32_e32 v8, 0, v23, vcc
	v_cndmask_b32_e32 v7, 0, v22, vcc
	flat_store_dwordx4 v[14:15], v[5:8]
.LBB859_8:
	s_or_b64 exec, exec, s[0:1]
	v_add_u32_e32 v3, 16, v4
	v_mad_i64_i32 v[5:6], s[0:1], v3, s3, 0
	v_mov_b32_e32 v1, s11
	v_cmp_gt_i32_e32 vcc, s2, v3
	v_lshlrev_b64 v[5:6], 4, v[5:6]
	v_add_co_u32_e64 v5, s[0:1], s10, v5
	v_addc_co_u32_e64 v6, s[0:1], v1, v6, s[0:1]
	v_cmp_le_i32_e64 s[0:1], v0, v3
	s_and_b64 s[0:1], vcc, s[0:1]
	s_and_saveexec_b64 s[2:3], s[0:1]
	s_cbranch_execz .LBB859_10
; %bb.9:
	v_ashrrev_i32_e32 v1, 31, v0
	v_lshlrev_b64 v[7:8], 4, v[0:1]
	v_add_co_u32_e64 v7, s[0:1], v5, v7
	v_addc_co_u32_e64 v8, s[0:1], v6, v8, s[0:1]
	flat_load_dwordx4 v[20:23], v[7:8]
	v_cmp_ne_u32_e64 s[0:1], v3, v0
	s_waitcnt vmcnt(0) lgkmcnt(0)
	v_add_f64 v[18:19], v[18:19], -v[22:23]
	v_add_f64 v[14:15], v[16:17], -v[20:21]
	v_cndmask_b32_e64 v17, 0, v19, s[0:1]
	v_cndmask_b32_e64 v16, 0, v18, s[0:1]
	flat_store_dwordx4 v[7:8], v[14:17]
.LBB859_10:
	s_or_b64 exec, exec, s[2:3]
	v_cmp_le_i32_e64 s[0:1], v2, v3
	s_and_b64 s[0:1], vcc, s[0:1]
	s_and_saveexec_b64 s[2:3], s[0:1]
	s_cbranch_execz .LBB859_12
; %bb.11:
	v_ashrrev_i32_e32 v3, 31, v2
	v_lshlrev_b64 v[1:2], 4, v[2:3]
	v_add_co_u32_e32 v14, vcc, v5, v1
	v_addc_co_u32_e32 v15, vcc, v6, v2, vcc
	flat_load_dwordx4 v[5:8], v[14:15]
	v_cmp_ne_u32_e32 vcc, v4, v0
	s_waitcnt vmcnt(0) lgkmcnt(0)
	v_add_f64 v[7:8], v[10:11], -v[7:8]
	v_add_f64 v[1:2], v[12:13], -v[5:6]
	v_cndmask_b32_e32 v4, 0, v8, vcc
	v_cndmask_b32_e32 v3, 0, v7, vcc
	flat_store_dwordx4 v[14:15], v[1:4]
.LBB859_12:
	s_endpgm
	.section	.rodata,"a",@progbits
	.p2align	6, 0x0
	.amdhsa_kernel _ZL37rocblas_syrkx_herkx_restricted_kernelIi19rocblas_complex_numIdELi16ELi32ELi8ELi1ELin1ELb1ELc67ELc85EKPKS1_KPS1_EviT_PT9_S7_lS9_S7_lPT10_S7_li
		.amdhsa_group_segment_fixed_size 8192
		.amdhsa_private_segment_fixed_size 0
		.amdhsa_kernarg_size 84
		.amdhsa_user_sgpr_count 6
		.amdhsa_user_sgpr_private_segment_buffer 1
		.amdhsa_user_sgpr_dispatch_ptr 0
		.amdhsa_user_sgpr_queue_ptr 0
		.amdhsa_user_sgpr_kernarg_segment_ptr 1
		.amdhsa_user_sgpr_dispatch_id 0
		.amdhsa_user_sgpr_flat_scratch_init 0
		.amdhsa_user_sgpr_private_segment_size 0
		.amdhsa_uses_dynamic_stack 0
		.amdhsa_system_sgpr_private_segment_wavefront_offset 0
		.amdhsa_system_sgpr_workgroup_id_x 1
		.amdhsa_system_sgpr_workgroup_id_y 1
		.amdhsa_system_sgpr_workgroup_id_z 1
		.amdhsa_system_sgpr_workgroup_info 0
		.amdhsa_system_vgpr_workitem_id 1
		.amdhsa_next_free_vgpr 52
		.amdhsa_next_free_sgpr 61
		.amdhsa_reserve_vcc 1
		.amdhsa_reserve_flat_scratch 0
		.amdhsa_float_round_mode_32 0
		.amdhsa_float_round_mode_16_64 0
		.amdhsa_float_denorm_mode_32 3
		.amdhsa_float_denorm_mode_16_64 3
		.amdhsa_dx10_clamp 1
		.amdhsa_ieee_mode 1
		.amdhsa_fp16_overflow 0
		.amdhsa_exception_fp_ieee_invalid_op 0
		.amdhsa_exception_fp_denorm_src 0
		.amdhsa_exception_fp_ieee_div_zero 0
		.amdhsa_exception_fp_ieee_overflow 0
		.amdhsa_exception_fp_ieee_underflow 0
		.amdhsa_exception_fp_ieee_inexact 0
		.amdhsa_exception_int_div_zero 0
	.end_amdhsa_kernel
	.section	.text._ZL37rocblas_syrkx_herkx_restricted_kernelIi19rocblas_complex_numIdELi16ELi32ELi8ELi1ELin1ELb1ELc67ELc85EKPKS1_KPS1_EviT_PT9_S7_lS9_S7_lPT10_S7_li,"axG",@progbits,_ZL37rocblas_syrkx_herkx_restricted_kernelIi19rocblas_complex_numIdELi16ELi32ELi8ELi1ELin1ELb1ELc67ELc85EKPKS1_KPS1_EviT_PT9_S7_lS9_S7_lPT10_S7_li,comdat
.Lfunc_end859:
	.size	_ZL37rocblas_syrkx_herkx_restricted_kernelIi19rocblas_complex_numIdELi16ELi32ELi8ELi1ELin1ELb1ELc67ELc85EKPKS1_KPS1_EviT_PT9_S7_lS9_S7_lPT10_S7_li, .Lfunc_end859-_ZL37rocblas_syrkx_herkx_restricted_kernelIi19rocblas_complex_numIdELi16ELi32ELi8ELi1ELin1ELb1ELc67ELc85EKPKS1_KPS1_EviT_PT9_S7_lS9_S7_lPT10_S7_li
                                        ; -- End function
	.set _ZL37rocblas_syrkx_herkx_restricted_kernelIi19rocblas_complex_numIdELi16ELi32ELi8ELi1ELin1ELb1ELc67ELc85EKPKS1_KPS1_EviT_PT9_S7_lS9_S7_lPT10_S7_li.num_vgpr, 52
	.set _ZL37rocblas_syrkx_herkx_restricted_kernelIi19rocblas_complex_numIdELi16ELi32ELi8ELi1ELin1ELb1ELc67ELc85EKPKS1_KPS1_EviT_PT9_S7_lS9_S7_lPT10_S7_li.num_agpr, 0
	.set _ZL37rocblas_syrkx_herkx_restricted_kernelIi19rocblas_complex_numIdELi16ELi32ELi8ELi1ELin1ELb1ELc67ELc85EKPKS1_KPS1_EviT_PT9_S7_lS9_S7_lPT10_S7_li.numbered_sgpr, 17
	.set _ZL37rocblas_syrkx_herkx_restricted_kernelIi19rocblas_complex_numIdELi16ELi32ELi8ELi1ELin1ELb1ELc67ELc85EKPKS1_KPS1_EviT_PT9_S7_lS9_S7_lPT10_S7_li.num_named_barrier, 0
	.set _ZL37rocblas_syrkx_herkx_restricted_kernelIi19rocblas_complex_numIdELi16ELi32ELi8ELi1ELin1ELb1ELc67ELc85EKPKS1_KPS1_EviT_PT9_S7_lS9_S7_lPT10_S7_li.private_seg_size, 0
	.set _ZL37rocblas_syrkx_herkx_restricted_kernelIi19rocblas_complex_numIdELi16ELi32ELi8ELi1ELin1ELb1ELc67ELc85EKPKS1_KPS1_EviT_PT9_S7_lS9_S7_lPT10_S7_li.uses_vcc, 1
	.set _ZL37rocblas_syrkx_herkx_restricted_kernelIi19rocblas_complex_numIdELi16ELi32ELi8ELi1ELin1ELb1ELc67ELc85EKPKS1_KPS1_EviT_PT9_S7_lS9_S7_lPT10_S7_li.uses_flat_scratch, 0
	.set _ZL37rocblas_syrkx_herkx_restricted_kernelIi19rocblas_complex_numIdELi16ELi32ELi8ELi1ELin1ELb1ELc67ELc85EKPKS1_KPS1_EviT_PT9_S7_lS9_S7_lPT10_S7_li.has_dyn_sized_stack, 0
	.set _ZL37rocblas_syrkx_herkx_restricted_kernelIi19rocblas_complex_numIdELi16ELi32ELi8ELi1ELin1ELb1ELc67ELc85EKPKS1_KPS1_EviT_PT9_S7_lS9_S7_lPT10_S7_li.has_recursion, 0
	.set _ZL37rocblas_syrkx_herkx_restricted_kernelIi19rocblas_complex_numIdELi16ELi32ELi8ELi1ELin1ELb1ELc67ELc85EKPKS1_KPS1_EviT_PT9_S7_lS9_S7_lPT10_S7_li.has_indirect_call, 0
	.section	.AMDGPU.csdata,"",@progbits
; Kernel info:
; codeLenInByte = 2904
; TotalNumSgprs: 21
; NumVgprs: 52
; ScratchSize: 0
; MemoryBound: 0
; FloatMode: 240
; IeeeMode: 1
; LDSByteSize: 8192 bytes/workgroup (compile time only)
; SGPRBlocks: 8
; VGPRBlocks: 12
; NumSGPRsForWavesPerEU: 65
; NumVGPRsForWavesPerEU: 52
; Occupancy: 4
; WaveLimiterHint : 1
; COMPUTE_PGM_RSRC2:SCRATCH_EN: 0
; COMPUTE_PGM_RSRC2:USER_SGPR: 6
; COMPUTE_PGM_RSRC2:TRAP_HANDLER: 0
; COMPUTE_PGM_RSRC2:TGID_X_EN: 1
; COMPUTE_PGM_RSRC2:TGID_Y_EN: 1
; COMPUTE_PGM_RSRC2:TGID_Z_EN: 1
; COMPUTE_PGM_RSRC2:TIDIG_COMP_CNT: 1
	.section	.text._ZL37rocblas_syrkx_herkx_restricted_kernelIi19rocblas_complex_numIdELi16ELi32ELi8ELi1ELin1ELb1ELc78ELc85EKPKS1_KPS1_EviT_PT9_S7_lS9_S7_lPT10_S7_li,"axG",@progbits,_ZL37rocblas_syrkx_herkx_restricted_kernelIi19rocblas_complex_numIdELi16ELi32ELi8ELi1ELin1ELb1ELc78ELc85EKPKS1_KPS1_EviT_PT9_S7_lS9_S7_lPT10_S7_li,comdat
	.globl	_ZL37rocblas_syrkx_herkx_restricted_kernelIi19rocblas_complex_numIdELi16ELi32ELi8ELi1ELin1ELb1ELc78ELc85EKPKS1_KPS1_EviT_PT9_S7_lS9_S7_lPT10_S7_li ; -- Begin function _ZL37rocblas_syrkx_herkx_restricted_kernelIi19rocblas_complex_numIdELi16ELi32ELi8ELi1ELin1ELb1ELc78ELc85EKPKS1_KPS1_EviT_PT9_S7_lS9_S7_lPT10_S7_li
	.p2align	8
	.type	_ZL37rocblas_syrkx_herkx_restricted_kernelIi19rocblas_complex_numIdELi16ELi32ELi8ELi1ELin1ELb1ELc78ELc85EKPKS1_KPS1_EviT_PT9_S7_lS9_S7_lPT10_S7_li,@function
_ZL37rocblas_syrkx_herkx_restricted_kernelIi19rocblas_complex_numIdELi16ELi32ELi8ELi1ELin1ELb1ELc78ELc85EKPKS1_KPS1_EviT_PT9_S7_lS9_S7_lPT10_S7_li: ; @_ZL37rocblas_syrkx_herkx_restricted_kernelIi19rocblas_complex_numIdELi16ELi32ELi8ELi1ELin1ELb1ELc78ELc85EKPKS1_KPS1_EviT_PT9_S7_lS9_S7_lPT10_S7_li
; %bb.0:
	s_load_dwordx2 s[10:11], s[4:5], 0x38
	s_load_dwordx2 s[2:3], s[4:5], 0x0
	s_mov_b32 s9, 0
	s_lshl_b64 s[0:1], s[8:9], 3
	s_waitcnt lgkmcnt(0)
	s_add_u32 s10, s10, s0
	s_addc_u32 s11, s11, s1
	s_load_dwordx2 s[10:11], s[10:11], 0x0
	s_lshl_b32 s8, s6, 5
	s_lshl_b32 s12, s7, 5
	s_cmp_lt_i32 s3, 1
	s_cbranch_scc1 .LBB860_3
; %bb.1:
	s_load_dword s6, s[4:5], 0x10
	s_load_dword s14, s[4:5], 0x28
	s_load_dwordx2 s[16:17], s[4:5], 0x20
	s_load_dwordx2 s[18:19], s[4:5], 0x8
	v_lshl_add_u32 v7, v1, 4, v0
	s_waitcnt lgkmcnt(0)
	s_ashr_i32 s7, s6, 31
	s_ashr_i32 s15, s14, 31
	v_lshrrev_b32_e32 v8, 3, v7
	s_add_u32 s18, s18, s0
	s_addc_u32 s19, s19, s1
	s_add_u32 s0, s16, s0
	v_add_u32_e32 v2, s12, v8
	s_addc_u32 s1, s17, s1
	v_and_b32_e32 v6, 7, v0
	v_ashrrev_i32_e32 v3, 31, v2
	s_load_dwordx2 s[16:17], s[0:1], 0x0
	v_mad_i64_i32 v[4:5], s[0:1], s14, v6, v[2:3]
	v_and_b32_e32 v2, 31, v7
	v_lshrrev_b32_e32 v9, 5, v7
	v_lshlrev_b32_e32 v3, 4, v2
	v_lshl_or_b32 v22, v9, 9, v3
	v_lshlrev_b32_e32 v3, 4, v6
	v_lshl_or_b32 v3, v8, 7, v3
	v_add_u32_e32 v2, s8, v2
	v_add_u32_e32 v23, 0x1000, v3
	v_ashrrev_i32_e32 v3, 31, v2
	v_mad_i64_i32 v[2:3], s[0:1], s6, v9, v[2:3]
	s_load_dwordx2 s[18:19], s[18:19], 0x0
	v_mov_b32_e32 v6, 0x1000
	v_lshlrev_b64 v[2:3], 4, v[2:3]
	v_lshl_add_u32 v25, v1, 7, v6
	v_lshlrev_b64 v[4:5], 4, v[4:5]
	s_waitcnt lgkmcnt(0)
	v_mov_b32_e32 v6, s19
	v_add_co_u32_e32 v2, vcc, s18, v2
	v_addc_co_u32_e32 v3, vcc, v6, v3, vcc
	v_mov_b32_e32 v6, s17
	v_add_co_u32_e32 v4, vcc, s16, v4
	s_lshl_b64 s[0:1], s[6:7], 7
	v_addc_co_u32_e32 v5, vcc, v6, v5, vcc
	s_lshl_b64 s[6:7], s[14:15], 7
	v_mov_b32_e32 v10, 0
	v_mov_b32_e32 v12, 0
	;; [unrolled: 1-line block ×8, first 2 shown]
	v_lshlrev_b32_e32 v24, 4, v0
	v_mov_b32_e32 v11, 0
	v_mov_b32_e32 v26, s1
	;; [unrolled: 1-line block ×10, first 2 shown]
.LBB860_2:                              ; =>This Inner Loop Header: Depth=1
	flat_load_dwordx4 v[28:31], v[2:3]
	v_add_co_u32_e32 v2, vcc, s0, v2
	v_addc_co_u32_e32 v3, vcc, v3, v26, vcc
	s_add_i32 s9, s9, 8
	s_cmp_ge_i32 s9, s3
	s_waitcnt vmcnt(0) lgkmcnt(0)
	ds_write_b128 v22, v[28:31]
	flat_load_dwordx4 v[28:31], v[4:5]
	v_add_co_u32_e32 v4, vcc, s6, v4
	v_addc_co_u32_e32 v5, vcc, v5, v27, vcc
	s_waitcnt vmcnt(0) lgkmcnt(0)
	v_xor_b32_e32 v31, 0x80000000, v31
	ds_write_b128 v23, v[28:31]
	s_waitcnt lgkmcnt(0)
	s_barrier
	ds_read_b128 v[28:31], v25
	ds_read_b128 v[32:35], v25 offset:16
	ds_read_b128 v[36:39], v25 offset:32
	;; [unrolled: 1-line block ×3, first 2 shown]
	ds_read_b128 v[44:47], v24
	s_waitcnt lgkmcnt(0)
	v_mul_f64 v[48:49], v[30:31], v[46:47]
	v_mul_f64 v[50:51], v[28:29], v[46:47]
	v_fma_f64 v[48:49], v[28:29], v[44:45], -v[48:49]
	v_fma_f64 v[50:51], v[30:31], v[44:45], v[50:51]
	v_add_f64 v[48:49], v[18:19], v[48:49]
	v_add_f64 v[50:51], v[50:51], v[20:21]
	ds_read_b128 v[18:21], v24 offset:256
	s_waitcnt lgkmcnt(0)
	v_mul_f64 v[52:53], v[30:31], v[20:21]
	v_fma_f64 v[52:53], v[28:29], v[18:19], -v[52:53]
	v_mul_f64 v[28:29], v[28:29], v[20:21]
	v_fma_f64 v[28:29], v[30:31], v[18:19], v[28:29]
	v_add_f64 v[30:31], v[6:7], v[52:53]
	v_add_f64 v[28:29], v[28:29], v[8:9]
	ds_read_b128 v[6:9], v25 offset:2048
	s_waitcnt lgkmcnt(0)
	v_mul_f64 v[52:53], v[8:9], v[46:47]
	v_mul_f64 v[46:47], v[6:7], v[46:47]
	v_fma_f64 v[52:53], v[6:7], v[44:45], -v[52:53]
	v_fma_f64 v[44:45], v[8:9], v[44:45], v[46:47]
	v_add_f64 v[46:47], v[14:15], v[52:53]
	v_mul_f64 v[14:15], v[8:9], v[20:21]
	v_add_f64 v[44:45], v[44:45], v[16:17]
	v_fma_f64 v[14:15], v[6:7], v[18:19], -v[14:15]
	v_mul_f64 v[6:7], v[6:7], v[20:21]
	v_fma_f64 v[6:7], v[8:9], v[18:19], v[6:7]
	v_add_f64 v[18:19], v[12:13], v[14:15]
	v_add_f64 v[20:21], v[6:7], v[10:11]
	ds_read_b128 v[6:9], v24 offset:512
	s_waitcnt lgkmcnt(0)
	v_mul_f64 v[10:11], v[34:35], v[8:9]
	v_mul_f64 v[12:13], v[32:33], v[8:9]
	v_fma_f64 v[10:11], v[32:33], v[6:7], -v[10:11]
	v_fma_f64 v[12:13], v[34:35], v[6:7], v[12:13]
	v_add_f64 v[48:49], v[48:49], v[10:11]
	v_add_f64 v[50:51], v[12:13], v[50:51]
	ds_read_b128 v[10:13], v24 offset:768
	s_waitcnt lgkmcnt(0)
	v_mul_f64 v[14:15], v[34:35], v[12:13]
	v_mul_f64 v[16:17], v[32:33], v[12:13]
	v_fma_f64 v[14:15], v[32:33], v[10:11], -v[14:15]
	;; [unrolled: 8-line block ×3, first 2 shown]
	v_fma_f64 v[6:7], v[16:17], v[6:7], v[8:9]
	v_mul_f64 v[8:9], v[14:15], v[12:13]
	v_add_f64 v[32:33], v[46:47], v[32:33]
	v_add_f64 v[34:35], v[6:7], v[44:45]
	v_mul_f64 v[6:7], v[16:17], v[12:13]
	v_fma_f64 v[8:9], v[16:17], v[10:11], v[8:9]
	v_fma_f64 v[6:7], v[14:15], v[10:11], -v[6:7]
	v_add_f64 v[20:21], v[8:9], v[20:21]
	v_add_f64 v[18:19], v[18:19], v[6:7]
	ds_read_b128 v[6:9], v24 offset:1024
	s_waitcnt lgkmcnt(0)
	v_mul_f64 v[10:11], v[38:39], v[8:9]
	v_mul_f64 v[12:13], v[36:37], v[8:9]
	v_fma_f64 v[10:11], v[36:37], v[6:7], -v[10:11]
	v_fma_f64 v[12:13], v[38:39], v[6:7], v[12:13]
	v_add_f64 v[44:45], v[48:49], v[10:11]
	v_add_f64 v[46:47], v[12:13], v[50:51]
	ds_read_b128 v[10:13], v24 offset:1280
	s_waitcnt lgkmcnt(0)
	v_mul_f64 v[14:15], v[38:39], v[12:13]
	v_mul_f64 v[16:17], v[36:37], v[12:13]
	v_fma_f64 v[14:15], v[36:37], v[10:11], -v[14:15]
	v_fma_f64 v[16:17], v[38:39], v[10:11], v[16:17]
	;; [unrolled: 8-line block ×3, first 2 shown]
	v_mul_f64 v[8:9], v[14:15], v[12:13]
	v_add_f64 v[32:33], v[32:33], v[36:37]
	v_add_f64 v[34:35], v[6:7], v[34:35]
	v_mul_f64 v[6:7], v[16:17], v[12:13]
	v_fma_f64 v[8:9], v[16:17], v[10:11], v[8:9]
	v_fma_f64 v[6:7], v[14:15], v[10:11], -v[6:7]
	v_add_f64 v[20:21], v[8:9], v[20:21]
	v_add_f64 v[18:19], v[18:19], v[6:7]
	ds_read_b128 v[6:9], v24 offset:1536
	s_waitcnt lgkmcnt(0)
	v_mul_f64 v[10:11], v[42:43], v[8:9]
	v_mul_f64 v[12:13], v[40:41], v[8:9]
	v_fma_f64 v[10:11], v[40:41], v[6:7], -v[10:11]
	v_fma_f64 v[12:13], v[42:43], v[6:7], v[12:13]
	v_add_f64 v[36:37], v[44:45], v[10:11]
	v_add_f64 v[38:39], v[12:13], v[46:47]
	ds_read_b128 v[10:13], v24 offset:1792
	s_waitcnt lgkmcnt(0)
	v_mul_f64 v[14:15], v[42:43], v[12:13]
	v_mul_f64 v[16:17], v[40:41], v[12:13]
	v_fma_f64 v[14:15], v[40:41], v[10:11], -v[14:15]
	v_fma_f64 v[16:17], v[42:43], v[10:11], v[16:17]
	v_add_f64 v[30:31], v[30:31], v[14:15]
	v_add_f64 v[28:29], v[16:17], v[28:29]
	ds_read_b128 v[14:17], v25 offset:2096
	s_waitcnt lgkmcnt(0)
	v_mul_f64 v[40:41], v[16:17], v[8:9]
	v_mul_f64 v[8:9], v[14:15], v[8:9]
	v_fma_f64 v[40:41], v[14:15], v[6:7], -v[40:41]
	v_fma_f64 v[6:7], v[16:17], v[6:7], v[8:9]
	v_mul_f64 v[8:9], v[14:15], v[12:13]
	v_add_f64 v[32:33], v[32:33], v[40:41]
	v_add_f64 v[34:35], v[6:7], v[34:35]
	v_mul_f64 v[6:7], v[16:17], v[12:13]
	v_fma_f64 v[8:9], v[16:17], v[10:11], v[8:9]
	v_fma_f64 v[6:7], v[14:15], v[10:11], -v[6:7]
	v_add_f64 v[20:21], v[8:9], v[20:21]
	v_add_f64 v[18:19], v[18:19], v[6:7]
	ds_read_b128 v[6:9], v25 offset:64
	ds_read_b128 v[10:13], v24 offset:2048
	s_waitcnt lgkmcnt(0)
	v_mul_f64 v[14:15], v[8:9], v[12:13]
	v_mul_f64 v[16:17], v[6:7], v[12:13]
	v_fma_f64 v[14:15], v[6:7], v[10:11], -v[14:15]
	v_fma_f64 v[16:17], v[8:9], v[10:11], v[16:17]
	v_add_f64 v[36:37], v[36:37], v[14:15]
	v_add_f64 v[38:39], v[16:17], v[38:39]
	ds_read_b128 v[14:17], v24 offset:2304
	s_waitcnt lgkmcnt(0)
	v_mul_f64 v[40:41], v[8:9], v[16:17]
	v_fma_f64 v[40:41], v[6:7], v[14:15], -v[40:41]
	v_mul_f64 v[6:7], v[6:7], v[16:17]
	v_add_f64 v[30:31], v[30:31], v[40:41]
	v_fma_f64 v[6:7], v[8:9], v[14:15], v[6:7]
	v_add_f64 v[28:29], v[6:7], v[28:29]
	ds_read_b128 v[6:9], v25 offset:2112
	s_waitcnt lgkmcnt(0)
	v_mul_f64 v[40:41], v[8:9], v[12:13]
	v_mul_f64 v[12:13], v[6:7], v[12:13]
	v_fma_f64 v[40:41], v[6:7], v[10:11], -v[40:41]
	v_fma_f64 v[10:11], v[8:9], v[10:11], v[12:13]
	v_add_f64 v[32:33], v[32:33], v[40:41]
	v_add_f64 v[34:35], v[10:11], v[34:35]
	v_mul_f64 v[10:11], v[8:9], v[16:17]
	v_fma_f64 v[10:11], v[6:7], v[14:15], -v[10:11]
	v_mul_f64 v[6:7], v[6:7], v[16:17]
	v_add_f64 v[18:19], v[18:19], v[10:11]
	v_fma_f64 v[6:7], v[8:9], v[14:15], v[6:7]
	v_add_f64 v[20:21], v[6:7], v[20:21]
	ds_read_b128 v[6:9], v25 offset:80
	ds_read_b128 v[10:13], v24 offset:2560
	s_waitcnt lgkmcnt(0)
	v_mul_f64 v[14:15], v[8:9], v[12:13]
	v_mul_f64 v[16:17], v[6:7], v[12:13]
	v_fma_f64 v[14:15], v[6:7], v[10:11], -v[14:15]
	v_fma_f64 v[16:17], v[8:9], v[10:11], v[16:17]
	v_add_f64 v[36:37], v[36:37], v[14:15]
	v_add_f64 v[38:39], v[16:17], v[38:39]
	ds_read_b128 v[14:17], v24 offset:2816
	s_waitcnt lgkmcnt(0)
	v_mul_f64 v[40:41], v[8:9], v[16:17]
	v_fma_f64 v[40:41], v[6:7], v[14:15], -v[40:41]
	v_mul_f64 v[6:7], v[6:7], v[16:17]
	v_add_f64 v[30:31], v[30:31], v[40:41]
	v_fma_f64 v[6:7], v[8:9], v[14:15], v[6:7]
	v_add_f64 v[28:29], v[6:7], v[28:29]
	ds_read_b128 v[6:9], v25 offset:2128
	s_waitcnt lgkmcnt(0)
	v_mul_f64 v[40:41], v[8:9], v[12:13]
	v_mul_f64 v[12:13], v[6:7], v[12:13]
	v_fma_f64 v[40:41], v[6:7], v[10:11], -v[40:41]
	v_fma_f64 v[10:11], v[8:9], v[10:11], v[12:13]
	v_add_f64 v[32:33], v[32:33], v[40:41]
	v_add_f64 v[34:35], v[10:11], v[34:35]
	v_mul_f64 v[10:11], v[8:9], v[16:17]
	v_fma_f64 v[10:11], v[6:7], v[14:15], -v[10:11]
	v_mul_f64 v[6:7], v[6:7], v[16:17]
	v_add_f64 v[18:19], v[18:19], v[10:11]
	v_fma_f64 v[6:7], v[8:9], v[14:15], v[6:7]
	;; [unrolled: 31-line block ×3, first 2 shown]
	v_add_f64 v[50:51], v[6:7], v[20:21]
	ds_read_b128 v[6:9], v25 offset:112
	ds_read_b128 v[10:13], v24 offset:3584
	;; [unrolled: 1-line block ×4, first 2 shown]
	s_waitcnt lgkmcnt(0)
	s_barrier
	v_mul_f64 v[14:15], v[8:9], v[12:13]
	v_mul_f64 v[16:17], v[6:7], v[12:13]
	v_fma_f64 v[14:15], v[6:7], v[10:11], -v[14:15]
	v_fma_f64 v[16:17], v[8:9], v[10:11], v[16:17]
	v_add_f64 v[18:19], v[36:37], v[14:15]
	v_mul_f64 v[14:15], v[8:9], v[30:31]
	v_add_f64 v[20:21], v[16:17], v[38:39]
	v_fma_f64 v[14:15], v[6:7], v[28:29], -v[14:15]
	v_mul_f64 v[6:7], v[6:7], v[30:31]
	v_fma_f64 v[8:9], v[8:9], v[28:29], v[6:7]
	v_add_f64 v[6:7], v[40:41], v[14:15]
	v_mul_f64 v[14:15], v[34:35], v[12:13]
	v_mul_f64 v[12:13], v[32:33], v[12:13]
	v_add_f64 v[8:9], v[8:9], v[42:43]
	v_fma_f64 v[14:15], v[32:33], v[10:11], -v[14:15]
	v_fma_f64 v[10:11], v[34:35], v[10:11], v[12:13]
	v_mul_f64 v[12:13], v[32:33], v[30:31]
	v_add_f64 v[14:15], v[44:45], v[14:15]
	v_add_f64 v[16:17], v[10:11], v[46:47]
	v_mul_f64 v[10:11], v[34:35], v[30:31]
	v_fma_f64 v[10:11], v[32:33], v[28:29], -v[10:11]
	v_fma_f64 v[28:29], v[34:35], v[28:29], v[12:13]
	v_add_f64 v[12:13], v[48:49], v[10:11]
	v_add_f64 v[10:11], v[28:29], v[50:51]
	s_cbranch_scc0 .LBB860_2
	s_branch .LBB860_4
.LBB860_3:
	v_mov_b32_e32 v18, 0
	v_mov_b32_e32 v20, 0
	v_mov_b32_e32 v6, 0
	v_mov_b32_e32 v8, 0
	v_mov_b32_e32 v14, 0
	v_mov_b32_e32 v16, 0
	v_mov_b32_e32 v12, 0
	v_mov_b32_e32 v10, 0
	v_mov_b32_e32 v19, 0
	v_mov_b32_e32 v21, 0
	v_mov_b32_e32 v7, 0
	v_mov_b32_e32 v9, 0
	v_mov_b32_e32 v15, 0
	v_mov_b32_e32 v17, 0
	v_mov_b32_e32 v13, 0
	v_mov_b32_e32 v11, 0
.LBB860_4:
	s_load_dword s3, s[4:5], 0x40
	v_add_u32_e32 v4, s12, v1
	s_waitcnt lgkmcnt(0)
	v_mov_b32_e32 v3, s11
	v_add_u32_e32 v0, s8, v0
	v_cmp_gt_i32_e32 vcc, s2, v4
	v_mad_i64_i32 v[1:2], s[0:1], v4, s3, 0
	v_lshlrev_b64 v[1:2], 4, v[1:2]
	v_add_co_u32_e64 v5, s[0:1], s10, v1
	v_addc_co_u32_e64 v22, s[0:1], v3, v2, s[0:1]
	v_cmp_le_i32_e64 s[0:1], v0, v4
	s_and_b64 s[0:1], vcc, s[0:1]
	s_and_saveexec_b64 s[4:5], s[0:1]
	s_cbranch_execz .LBB860_6
; %bb.5:
	v_ashrrev_i32_e32 v1, 31, v0
	v_lshlrev_b64 v[1:2], 4, v[0:1]
	v_add_co_u32_e64 v1, s[0:1], v5, v1
	v_addc_co_u32_e64 v2, s[0:1], v22, v2, s[0:1]
	flat_load_dwordx4 v[23:26], v[1:2]
	v_cmp_ne_u32_e64 s[0:1], v4, v0
	s_waitcnt vmcnt(0) lgkmcnt(0)
	v_add_f64 v[20:21], v[20:21], -v[25:26]
	v_add_f64 v[18:19], v[18:19], -v[23:24]
	v_cndmask_b32_e64 v21, 0, v21, s[0:1]
	v_cndmask_b32_e64 v20, 0, v20, s[0:1]
	flat_store_dwordx4 v[1:2], v[18:21]
.LBB860_6:
	s_or_b64 exec, exec, s[4:5]
	v_add_u32_e32 v2, 16, v0
	v_cmp_le_i32_e64 s[0:1], v2, v4
	s_and_b64 s[4:5], vcc, s[0:1]
	s_and_saveexec_b64 s[0:1], s[4:5]
	s_cbranch_execz .LBB860_8
; %bb.7:
	v_ashrrev_i32_e32 v3, 31, v2
	v_lshlrev_b64 v[18:19], 4, v[2:3]
	v_add_co_u32_e32 v23, vcc, v5, v18
	v_addc_co_u32_e32 v24, vcc, v22, v19, vcc
	flat_load_dwordx4 v[18:21], v[23:24]
	v_cmp_ne_u32_e32 vcc, v4, v2
	s_waitcnt vmcnt(0) lgkmcnt(0)
	v_add_f64 v[20:21], v[8:9], -v[20:21]
	v_add_f64 v[5:6], v[6:7], -v[18:19]
	v_cndmask_b32_e32 v8, 0, v21, vcc
	v_cndmask_b32_e32 v7, 0, v20, vcc
	flat_store_dwordx4 v[23:24], v[5:8]
.LBB860_8:
	s_or_b64 exec, exec, s[0:1]
	v_add_u32_e32 v3, 16, v4
	v_mad_i64_i32 v[5:6], s[0:1], v3, s3, 0
	v_mov_b32_e32 v1, s11
	v_cmp_gt_i32_e32 vcc, s2, v3
	v_lshlrev_b64 v[5:6], 4, v[5:6]
	v_add_co_u32_e64 v5, s[0:1], s10, v5
	v_addc_co_u32_e64 v6, s[0:1], v1, v6, s[0:1]
	v_cmp_le_i32_e64 s[0:1], v0, v3
	s_and_b64 s[0:1], vcc, s[0:1]
	s_and_saveexec_b64 s[2:3], s[0:1]
	s_cbranch_execz .LBB860_10
; %bb.9:
	v_ashrrev_i32_e32 v1, 31, v0
	v_lshlrev_b64 v[7:8], 4, v[0:1]
	v_add_co_u32_e64 v7, s[0:1], v5, v7
	v_addc_co_u32_e64 v8, s[0:1], v6, v8, s[0:1]
	flat_load_dwordx4 v[18:21], v[7:8]
	v_cmp_ne_u32_e64 s[0:1], v3, v0
	s_waitcnt vmcnt(0) lgkmcnt(0)
	v_add_f64 v[16:17], v[16:17], -v[20:21]
	v_add_f64 v[14:15], v[14:15], -v[18:19]
	v_cndmask_b32_e64 v17, 0, v17, s[0:1]
	v_cndmask_b32_e64 v16, 0, v16, s[0:1]
	flat_store_dwordx4 v[7:8], v[14:17]
.LBB860_10:
	s_or_b64 exec, exec, s[2:3]
	v_cmp_le_i32_e64 s[0:1], v2, v3
	s_and_b64 s[0:1], vcc, s[0:1]
	s_and_saveexec_b64 s[2:3], s[0:1]
	s_cbranch_execz .LBB860_12
; %bb.11:
	v_ashrrev_i32_e32 v3, 31, v2
	v_lshlrev_b64 v[1:2], 4, v[2:3]
	v_add_co_u32_e32 v14, vcc, v5, v1
	v_addc_co_u32_e32 v15, vcc, v6, v2, vcc
	flat_load_dwordx4 v[5:8], v[14:15]
	v_cmp_ne_u32_e32 vcc, v4, v0
	s_waitcnt vmcnt(0) lgkmcnt(0)
	v_add_f64 v[7:8], v[10:11], -v[7:8]
	v_add_f64 v[1:2], v[12:13], -v[5:6]
	v_cndmask_b32_e32 v4, 0, v8, vcc
	v_cndmask_b32_e32 v3, 0, v7, vcc
	flat_store_dwordx4 v[14:15], v[1:4]
.LBB860_12:
	s_endpgm
	.section	.rodata,"a",@progbits
	.p2align	6, 0x0
	.amdhsa_kernel _ZL37rocblas_syrkx_herkx_restricted_kernelIi19rocblas_complex_numIdELi16ELi32ELi8ELi1ELin1ELb1ELc78ELc85EKPKS1_KPS1_EviT_PT9_S7_lS9_S7_lPT10_S7_li
		.amdhsa_group_segment_fixed_size 8192
		.amdhsa_private_segment_fixed_size 0
		.amdhsa_kernarg_size 84
		.amdhsa_user_sgpr_count 6
		.amdhsa_user_sgpr_private_segment_buffer 1
		.amdhsa_user_sgpr_dispatch_ptr 0
		.amdhsa_user_sgpr_queue_ptr 0
		.amdhsa_user_sgpr_kernarg_segment_ptr 1
		.amdhsa_user_sgpr_dispatch_id 0
		.amdhsa_user_sgpr_flat_scratch_init 0
		.amdhsa_user_sgpr_private_segment_size 0
		.amdhsa_uses_dynamic_stack 0
		.amdhsa_system_sgpr_private_segment_wavefront_offset 0
		.amdhsa_system_sgpr_workgroup_id_x 1
		.amdhsa_system_sgpr_workgroup_id_y 1
		.amdhsa_system_sgpr_workgroup_id_z 1
		.amdhsa_system_sgpr_workgroup_info 0
		.amdhsa_system_vgpr_workitem_id 1
		.amdhsa_next_free_vgpr 54
		.amdhsa_next_free_sgpr 61
		.amdhsa_reserve_vcc 1
		.amdhsa_reserve_flat_scratch 0
		.amdhsa_float_round_mode_32 0
		.amdhsa_float_round_mode_16_64 0
		.amdhsa_float_denorm_mode_32 3
		.amdhsa_float_denorm_mode_16_64 3
		.amdhsa_dx10_clamp 1
		.amdhsa_ieee_mode 1
		.amdhsa_fp16_overflow 0
		.amdhsa_exception_fp_ieee_invalid_op 0
		.amdhsa_exception_fp_denorm_src 0
		.amdhsa_exception_fp_ieee_div_zero 0
		.amdhsa_exception_fp_ieee_overflow 0
		.amdhsa_exception_fp_ieee_underflow 0
		.amdhsa_exception_fp_ieee_inexact 0
		.amdhsa_exception_int_div_zero 0
	.end_amdhsa_kernel
	.section	.text._ZL37rocblas_syrkx_herkx_restricted_kernelIi19rocblas_complex_numIdELi16ELi32ELi8ELi1ELin1ELb1ELc78ELc85EKPKS1_KPS1_EviT_PT9_S7_lS9_S7_lPT10_S7_li,"axG",@progbits,_ZL37rocblas_syrkx_herkx_restricted_kernelIi19rocblas_complex_numIdELi16ELi32ELi8ELi1ELin1ELb1ELc78ELc85EKPKS1_KPS1_EviT_PT9_S7_lS9_S7_lPT10_S7_li,comdat
.Lfunc_end860:
	.size	_ZL37rocblas_syrkx_herkx_restricted_kernelIi19rocblas_complex_numIdELi16ELi32ELi8ELi1ELin1ELb1ELc78ELc85EKPKS1_KPS1_EviT_PT9_S7_lS9_S7_lPT10_S7_li, .Lfunc_end860-_ZL37rocblas_syrkx_herkx_restricted_kernelIi19rocblas_complex_numIdELi16ELi32ELi8ELi1ELin1ELb1ELc78ELc85EKPKS1_KPS1_EviT_PT9_S7_lS9_S7_lPT10_S7_li
                                        ; -- End function
	.set _ZL37rocblas_syrkx_herkx_restricted_kernelIi19rocblas_complex_numIdELi16ELi32ELi8ELi1ELin1ELb1ELc78ELc85EKPKS1_KPS1_EviT_PT9_S7_lS9_S7_lPT10_S7_li.num_vgpr, 54
	.set _ZL37rocblas_syrkx_herkx_restricted_kernelIi19rocblas_complex_numIdELi16ELi32ELi8ELi1ELin1ELb1ELc78ELc85EKPKS1_KPS1_EviT_PT9_S7_lS9_S7_lPT10_S7_li.num_agpr, 0
	.set _ZL37rocblas_syrkx_herkx_restricted_kernelIi19rocblas_complex_numIdELi16ELi32ELi8ELi1ELin1ELb1ELc78ELc85EKPKS1_KPS1_EviT_PT9_S7_lS9_S7_lPT10_S7_li.numbered_sgpr, 20
	.set _ZL37rocblas_syrkx_herkx_restricted_kernelIi19rocblas_complex_numIdELi16ELi32ELi8ELi1ELin1ELb1ELc78ELc85EKPKS1_KPS1_EviT_PT9_S7_lS9_S7_lPT10_S7_li.num_named_barrier, 0
	.set _ZL37rocblas_syrkx_herkx_restricted_kernelIi19rocblas_complex_numIdELi16ELi32ELi8ELi1ELin1ELb1ELc78ELc85EKPKS1_KPS1_EviT_PT9_S7_lS9_S7_lPT10_S7_li.private_seg_size, 0
	.set _ZL37rocblas_syrkx_herkx_restricted_kernelIi19rocblas_complex_numIdELi16ELi32ELi8ELi1ELin1ELb1ELc78ELc85EKPKS1_KPS1_EviT_PT9_S7_lS9_S7_lPT10_S7_li.uses_vcc, 1
	.set _ZL37rocblas_syrkx_herkx_restricted_kernelIi19rocblas_complex_numIdELi16ELi32ELi8ELi1ELin1ELb1ELc78ELc85EKPKS1_KPS1_EviT_PT9_S7_lS9_S7_lPT10_S7_li.uses_flat_scratch, 0
	.set _ZL37rocblas_syrkx_herkx_restricted_kernelIi19rocblas_complex_numIdELi16ELi32ELi8ELi1ELin1ELb1ELc78ELc85EKPKS1_KPS1_EviT_PT9_S7_lS9_S7_lPT10_S7_li.has_dyn_sized_stack, 0
	.set _ZL37rocblas_syrkx_herkx_restricted_kernelIi19rocblas_complex_numIdELi16ELi32ELi8ELi1ELin1ELb1ELc78ELc85EKPKS1_KPS1_EviT_PT9_S7_lS9_S7_lPT10_S7_li.has_recursion, 0
	.set _ZL37rocblas_syrkx_herkx_restricted_kernelIi19rocblas_complex_numIdELi16ELi32ELi8ELi1ELin1ELb1ELc78ELc85EKPKS1_KPS1_EviT_PT9_S7_lS9_S7_lPT10_S7_li.has_indirect_call, 0
	.section	.AMDGPU.csdata,"",@progbits
; Kernel info:
; codeLenInByte = 2920
; TotalNumSgprs: 24
; NumVgprs: 54
; ScratchSize: 0
; MemoryBound: 0
; FloatMode: 240
; IeeeMode: 1
; LDSByteSize: 8192 bytes/workgroup (compile time only)
; SGPRBlocks: 8
; VGPRBlocks: 13
; NumSGPRsForWavesPerEU: 65
; NumVGPRsForWavesPerEU: 54
; Occupancy: 4
; WaveLimiterHint : 1
; COMPUTE_PGM_RSRC2:SCRATCH_EN: 0
; COMPUTE_PGM_RSRC2:USER_SGPR: 6
; COMPUTE_PGM_RSRC2:TRAP_HANDLER: 0
; COMPUTE_PGM_RSRC2:TGID_X_EN: 1
; COMPUTE_PGM_RSRC2:TGID_Y_EN: 1
; COMPUTE_PGM_RSRC2:TGID_Z_EN: 1
; COMPUTE_PGM_RSRC2:TIDIG_COMP_CNT: 1
	.section	.text._ZL37rocblas_syrkx_herkx_restricted_kernelIi19rocblas_complex_numIdELi16ELi32ELi8ELi1ELi0ELb1ELc84ELc76EKPKS1_KPS1_EviT_PT9_S7_lS9_S7_lPT10_S7_li,"axG",@progbits,_ZL37rocblas_syrkx_herkx_restricted_kernelIi19rocblas_complex_numIdELi16ELi32ELi8ELi1ELi0ELb1ELc84ELc76EKPKS1_KPS1_EviT_PT9_S7_lS9_S7_lPT10_S7_li,comdat
	.globl	_ZL37rocblas_syrkx_herkx_restricted_kernelIi19rocblas_complex_numIdELi16ELi32ELi8ELi1ELi0ELb1ELc84ELc76EKPKS1_KPS1_EviT_PT9_S7_lS9_S7_lPT10_S7_li ; -- Begin function _ZL37rocblas_syrkx_herkx_restricted_kernelIi19rocblas_complex_numIdELi16ELi32ELi8ELi1ELi0ELb1ELc84ELc76EKPKS1_KPS1_EviT_PT9_S7_lS9_S7_lPT10_S7_li
	.p2align	8
	.type	_ZL37rocblas_syrkx_herkx_restricted_kernelIi19rocblas_complex_numIdELi16ELi32ELi8ELi1ELi0ELb1ELc84ELc76EKPKS1_KPS1_EviT_PT9_S7_lS9_S7_lPT10_S7_li,@function
_ZL37rocblas_syrkx_herkx_restricted_kernelIi19rocblas_complex_numIdELi16ELi32ELi8ELi1ELi0ELb1ELc84ELc76EKPKS1_KPS1_EviT_PT9_S7_lS9_S7_lPT10_S7_li: ; @_ZL37rocblas_syrkx_herkx_restricted_kernelIi19rocblas_complex_numIdELi16ELi32ELi8ELi1ELi0ELb1ELc84ELc76EKPKS1_KPS1_EviT_PT9_S7_lS9_S7_lPT10_S7_li
; %bb.0:
	s_load_dwordx2 s[2:3], s[4:5], 0x38
	s_load_dwordx2 s[12:13], s[4:5], 0x0
	s_mov_b32 s9, 0
	s_lshl_b64 s[0:1], s[8:9], 3
	s_waitcnt lgkmcnt(0)
	s_add_u32 s2, s2, s0
	s_addc_u32 s3, s3, s1
	s_load_dwordx2 s[10:11], s[2:3], 0x0
	s_lshl_b32 s2, s6, 5
	s_lshl_b32 s3, s7, 5
	s_cmp_lt_i32 s13, 1
	s_cbranch_scc1 .LBB861_3
; %bb.1:
	s_load_dwordx2 s[6:7], s[4:5], 0x8
	s_load_dword s8, s[4:5], 0x10
	s_load_dwordx2 s[14:15], s[4:5], 0x20
	s_load_dword s16, s[4:5], 0x28
	v_lshl_add_u32 v4, v1, 4, v0
	s_waitcnt lgkmcnt(0)
	s_add_u32 s6, s6, s0
	s_addc_u32 s7, s7, s1
	v_lshrrev_b32_e32 v8, 3, v4
	s_add_u32 s0, s14, s0
	v_add_u32_e32 v5, s3, v8
	v_and_b32_e32 v2, 7, v0
	v_mov_b32_e32 v3, 0
	s_addc_u32 s1, s15, s1
	v_mad_i64_i32 v[6:7], s[14:15], s16, v5, v[2:3]
	v_lshlrev_b32_e32 v2, 4, v2
	v_and_b32_e32 v9, 31, v4
	v_lshl_or_b32 v2, v8, 7, v2
	v_lshrrev_b32_e32 v4, 5, v4
	v_mov_b32_e32 v5, v3
	v_lshlrev_b32_e32 v3, 4, v9
	v_add_u32_e32 v23, 0x1000, v2
	v_add_u32_e32 v2, s2, v9
	v_lshl_or_b32 v22, v4, 9, v3
	v_mad_i64_i32 v[2:3], s[14:15], s8, v2, v[4:5]
	s_load_dwordx2 s[6:7], s[6:7], 0x0
	v_mov_b32_e32 v4, 0x1000
	s_load_dwordx2 s[0:1], s[0:1], 0x0
	v_lshlrev_b64 v[2:3], 4, v[2:3]
	v_lshl_add_u32 v25, v1, 7, v4
	s_waitcnt lgkmcnt(0)
	v_mov_b32_e32 v5, s7
	v_add_co_u32_e32 v4, vcc, s6, v2
	v_lshlrev_b64 v[12:13], 4, v[6:7]
	v_addc_co_u32_e32 v5, vcc, v5, v3, vcc
	v_mov_b32_e32 v26, s1
	v_mov_b32_e32 v16, 0
	v_mov_b32_e32 v6, 0
	v_mov_b32_e32 v18, 0
	v_mov_b32_e32 v8, 0
	v_mov_b32_e32 v14, 0
	v_mov_b32_e32 v2, 0
	v_mov_b32_e32 v20, 0
	v_mov_b32_e32 v10, 0
	v_add_co_u32_e32 v12, vcc, s0, v12
	v_lshlrev_b32_e32 v24, 4, v0
	v_mov_b32_e32 v17, 0
	v_mov_b32_e32 v7, 0
	;; [unrolled: 1-line block ×8, first 2 shown]
	v_addc_co_u32_e32 v13, vcc, v26, v13, vcc
.LBB861_2:                              ; =>This Inner Loop Header: Depth=1
	flat_load_dwordx4 v[26:29], v[4:5]
	v_add_co_u32_e32 v4, vcc, 0x80, v4
	v_addc_co_u32_e32 v5, vcc, 0, v5, vcc
	s_add_i32 s9, s9, 8
	s_cmp_ge_i32 s9, s13
	s_waitcnt vmcnt(0) lgkmcnt(0)
	ds_write_b128 v22, v[26:29]
	flat_load_dwordx4 v[26:29], v[12:13]
	v_add_co_u32_e32 v12, vcc, 0x80, v12
	v_addc_co_u32_e32 v13, vcc, 0, v13, vcc
	s_waitcnt vmcnt(0) lgkmcnt(0)
	ds_write_b128 v23, v[26:29]
	s_waitcnt lgkmcnt(0)
	s_barrier
	ds_read_b128 v[26:29], v25
	ds_read_b128 v[30:33], v25 offset:16
	ds_read_b128 v[34:37], v25 offset:32
	;; [unrolled: 1-line block ×3, first 2 shown]
	ds_read_b128 v[42:45], v24
	s_waitcnt lgkmcnt(0)
	v_mul_f64 v[46:47], v[28:29], v[44:45]
	v_mul_f64 v[48:49], v[26:27], v[44:45]
	v_fma_f64 v[46:47], v[26:27], v[42:43], -v[46:47]
	v_fma_f64 v[48:49], v[28:29], v[42:43], v[48:49]
	v_add_f64 v[10:11], v[10:11], v[46:47]
	v_add_f64 v[20:21], v[48:49], v[20:21]
	ds_read_b128 v[46:49], v24 offset:256
	s_waitcnt lgkmcnt(0)
	v_mul_f64 v[50:51], v[28:29], v[48:49]
	v_fma_f64 v[50:51], v[26:27], v[46:47], -v[50:51]
	v_mul_f64 v[26:27], v[26:27], v[48:49]
	v_add_f64 v[2:3], v[2:3], v[50:51]
	v_fma_f64 v[26:27], v[28:29], v[46:47], v[26:27]
	v_add_f64 v[50:51], v[26:27], v[14:15]
	ds_read_b128 v[26:29], v25 offset:2048
	s_waitcnt lgkmcnt(0)
	v_mul_f64 v[14:15], v[28:29], v[44:45]
	v_mul_f64 v[44:45], v[26:27], v[44:45]
	v_fma_f64 v[14:15], v[26:27], v[42:43], -v[14:15]
	v_fma_f64 v[42:43], v[28:29], v[42:43], v[44:45]
	v_add_f64 v[44:45], v[8:9], v[14:15]
	v_mul_f64 v[8:9], v[28:29], v[48:49]
	v_mul_f64 v[14:15], v[26:27], v[48:49]
	v_add_f64 v[42:43], v[42:43], v[18:19]
	v_fma_f64 v[8:9], v[26:27], v[46:47], -v[8:9]
	v_fma_f64 v[14:15], v[28:29], v[46:47], v[14:15]
	v_add_f64 v[26:27], v[6:7], v[8:9]
	ds_read_b128 v[6:9], v24 offset:512
	v_add_f64 v[28:29], v[14:15], v[16:17]
	s_waitcnt lgkmcnt(0)
	v_mul_f64 v[14:15], v[32:33], v[8:9]
	v_mul_f64 v[16:17], v[30:31], v[8:9]
	v_fma_f64 v[14:15], v[30:31], v[6:7], -v[14:15]
	v_fma_f64 v[16:17], v[32:33], v[6:7], v[16:17]
	v_add_f64 v[10:11], v[10:11], v[14:15]
	v_add_f64 v[46:47], v[16:17], v[20:21]
	ds_read_b128 v[14:17], v24 offset:768
	s_waitcnt lgkmcnt(0)
	v_mul_f64 v[18:19], v[32:33], v[16:17]
	v_mul_f64 v[20:21], v[30:31], v[16:17]
	v_fma_f64 v[18:19], v[30:31], v[14:15], -v[18:19]
	v_fma_f64 v[20:21], v[32:33], v[14:15], v[20:21]
	v_add_f64 v[2:3], v[2:3], v[18:19]
	v_add_f64 v[30:31], v[20:21], v[50:51]
	ds_read_b128 v[18:21], v25 offset:2064
	s_waitcnt lgkmcnt(0)
	v_mul_f64 v[32:33], v[20:21], v[8:9]
	v_mul_f64 v[8:9], v[18:19], v[8:9]
	v_fma_f64 v[32:33], v[18:19], v[6:7], -v[32:33]
	v_fma_f64 v[6:7], v[20:21], v[6:7], v[8:9]
	v_mul_f64 v[8:9], v[18:19], v[16:17]
	v_add_f64 v[32:33], v[44:45], v[32:33]
	v_add_f64 v[42:43], v[6:7], v[42:43]
	v_mul_f64 v[6:7], v[20:21], v[16:17]
	v_fma_f64 v[8:9], v[20:21], v[14:15], v[8:9]
	v_fma_f64 v[6:7], v[18:19], v[14:15], -v[6:7]
	v_add_f64 v[28:29], v[8:9], v[28:29]
	v_add_f64 v[26:27], v[26:27], v[6:7]
	ds_read_b128 v[6:9], v24 offset:1024
	s_waitcnt lgkmcnt(0)
	v_mul_f64 v[14:15], v[36:37], v[8:9]
	v_mul_f64 v[16:17], v[34:35], v[8:9]
	v_fma_f64 v[14:15], v[34:35], v[6:7], -v[14:15]
	v_fma_f64 v[16:17], v[36:37], v[6:7], v[16:17]
	v_add_f64 v[10:11], v[10:11], v[14:15]
	v_add_f64 v[44:45], v[16:17], v[46:47]
	ds_read_b128 v[14:17], v24 offset:1280
	s_waitcnt lgkmcnt(0)
	v_mul_f64 v[18:19], v[36:37], v[16:17]
	v_mul_f64 v[20:21], v[34:35], v[16:17]
	v_fma_f64 v[18:19], v[34:35], v[14:15], -v[18:19]
	v_fma_f64 v[20:21], v[36:37], v[14:15], v[20:21]
	v_add_f64 v[2:3], v[2:3], v[18:19]
	v_add_f64 v[30:31], v[20:21], v[30:31]
	ds_read_b128 v[18:21], v25 offset:2080
	s_waitcnt lgkmcnt(0)
	v_mul_f64 v[34:35], v[20:21], v[8:9]
	v_mul_f64 v[8:9], v[18:19], v[8:9]
	v_fma_f64 v[34:35], v[18:19], v[6:7], -v[34:35]
	v_fma_f64 v[6:7], v[20:21], v[6:7], v[8:9]
	v_mul_f64 v[8:9], v[18:19], v[16:17]
	v_add_f64 v[32:33], v[32:33], v[34:35]
	v_add_f64 v[34:35], v[6:7], v[42:43]
	v_mul_f64 v[6:7], v[20:21], v[16:17]
	v_fma_f64 v[8:9], v[20:21], v[14:15], v[8:9]
	v_fma_f64 v[6:7], v[18:19], v[14:15], -v[6:7]
	v_add_f64 v[28:29], v[8:9], v[28:29]
	v_add_f64 v[26:27], v[26:27], v[6:7]
	ds_read_b128 v[6:9], v24 offset:1536
	;; [unrolled: 30-line block ×3, first 2 shown]
	ds_read_b128 v[14:17], v24 offset:2048
	s_waitcnt lgkmcnt(0)
	v_mul_f64 v[18:19], v[8:9], v[16:17]
	v_mul_f64 v[20:21], v[6:7], v[16:17]
	v_fma_f64 v[18:19], v[6:7], v[14:15], -v[18:19]
	v_fma_f64 v[20:21], v[8:9], v[14:15], v[20:21]
	v_add_f64 v[10:11], v[10:11], v[18:19]
	v_add_f64 v[36:37], v[20:21], v[36:37]
	ds_read_b128 v[18:21], v24 offset:2304
	s_waitcnt lgkmcnt(0)
	v_mul_f64 v[38:39], v[8:9], v[20:21]
	v_fma_f64 v[38:39], v[6:7], v[18:19], -v[38:39]
	v_mul_f64 v[6:7], v[6:7], v[20:21]
	v_add_f64 v[2:3], v[2:3], v[38:39]
	v_fma_f64 v[6:7], v[8:9], v[18:19], v[6:7]
	v_add_f64 v[30:31], v[6:7], v[30:31]
	ds_read_b128 v[6:9], v25 offset:2112
	s_waitcnt lgkmcnt(0)
	v_mul_f64 v[38:39], v[8:9], v[16:17]
	v_mul_f64 v[16:17], v[6:7], v[16:17]
	v_fma_f64 v[38:39], v[6:7], v[14:15], -v[38:39]
	v_fma_f64 v[14:15], v[8:9], v[14:15], v[16:17]
	v_add_f64 v[32:33], v[32:33], v[38:39]
	v_add_f64 v[34:35], v[14:15], v[34:35]
	v_mul_f64 v[14:15], v[8:9], v[20:21]
	v_fma_f64 v[14:15], v[6:7], v[18:19], -v[14:15]
	v_mul_f64 v[6:7], v[6:7], v[20:21]
	v_add_f64 v[26:27], v[26:27], v[14:15]
	v_fma_f64 v[6:7], v[8:9], v[18:19], v[6:7]
	v_add_f64 v[28:29], v[6:7], v[28:29]
	ds_read_b128 v[6:9], v25 offset:80
	ds_read_b128 v[14:17], v24 offset:2560
	s_waitcnt lgkmcnt(0)
	v_mul_f64 v[18:19], v[8:9], v[16:17]
	v_mul_f64 v[20:21], v[6:7], v[16:17]
	v_fma_f64 v[18:19], v[6:7], v[14:15], -v[18:19]
	v_fma_f64 v[20:21], v[8:9], v[14:15], v[20:21]
	v_add_f64 v[10:11], v[10:11], v[18:19]
	v_add_f64 v[36:37], v[20:21], v[36:37]
	ds_read_b128 v[18:21], v24 offset:2816
	s_waitcnt lgkmcnt(0)
	v_mul_f64 v[38:39], v[8:9], v[20:21]
	v_fma_f64 v[38:39], v[6:7], v[18:19], -v[38:39]
	v_mul_f64 v[6:7], v[6:7], v[20:21]
	v_add_f64 v[2:3], v[2:3], v[38:39]
	v_fma_f64 v[6:7], v[8:9], v[18:19], v[6:7]
	v_add_f64 v[30:31], v[6:7], v[30:31]
	ds_read_b128 v[6:9], v25 offset:2128
	s_waitcnt lgkmcnt(0)
	v_mul_f64 v[38:39], v[8:9], v[16:17]
	v_mul_f64 v[16:17], v[6:7], v[16:17]
	v_fma_f64 v[38:39], v[6:7], v[14:15], -v[38:39]
	v_fma_f64 v[14:15], v[8:9], v[14:15], v[16:17]
	v_add_f64 v[32:33], v[32:33], v[38:39]
	v_add_f64 v[34:35], v[14:15], v[34:35]
	v_mul_f64 v[14:15], v[8:9], v[20:21]
	v_fma_f64 v[14:15], v[6:7], v[18:19], -v[14:15]
	v_mul_f64 v[6:7], v[6:7], v[20:21]
	v_add_f64 v[26:27], v[26:27], v[14:15]
	v_fma_f64 v[6:7], v[8:9], v[18:19], v[6:7]
	v_add_f64 v[28:29], v[6:7], v[28:29]
	ds_read_b128 v[6:9], v25 offset:96
	;; [unrolled: 31-line block ×3, first 2 shown]
	ds_read_b128 v[16:19], v24 offset:3584
	ds_read_b128 v[26:29], v24 offset:3840
	s_waitcnt lgkmcnt(1)
	v_mul_f64 v[14:15], v[8:9], v[18:19]
	v_mul_f64 v[20:21], v[6:7], v[18:19]
	v_fma_f64 v[14:15], v[6:7], v[16:17], -v[14:15]
	v_fma_f64 v[20:21], v[8:9], v[16:17], v[20:21]
	v_add_f64 v[10:11], v[10:11], v[14:15]
	s_waitcnt lgkmcnt(0)
	v_mul_f64 v[14:15], v[8:9], v[28:29]
	v_add_f64 v[20:21], v[20:21], v[36:37]
	v_fma_f64 v[14:15], v[6:7], v[26:27], -v[14:15]
	v_mul_f64 v[6:7], v[6:7], v[28:29]
	v_add_f64 v[2:3], v[2:3], v[14:15]
	v_fma_f64 v[6:7], v[8:9], v[26:27], v[6:7]
	v_add_f64 v[14:15], v[6:7], v[30:31]
	ds_read_b128 v[30:33], v25 offset:2160
	s_waitcnt lgkmcnt(0)
	s_barrier
	v_mul_f64 v[6:7], v[32:33], v[18:19]
	v_mul_f64 v[8:9], v[30:31], v[18:19]
	v_fma_f64 v[6:7], v[30:31], v[16:17], -v[6:7]
	v_fma_f64 v[16:17], v[32:33], v[16:17], v[8:9]
	v_add_f64 v[8:9], v[38:39], v[6:7]
	v_add_f64 v[18:19], v[16:17], v[34:35]
	v_mul_f64 v[6:7], v[32:33], v[28:29]
	v_mul_f64 v[16:17], v[30:31], v[28:29]
	v_fma_f64 v[6:7], v[30:31], v[26:27], -v[6:7]
	v_fma_f64 v[16:17], v[32:33], v[26:27], v[16:17]
	v_add_f64 v[6:7], v[40:41], v[6:7]
	v_add_f64 v[16:17], v[16:17], v[42:43]
	s_cbranch_scc0 .LBB861_2
	s_branch .LBB861_4
.LBB861_3:
	v_mov_b32_e32 v10, 0
	v_mov_b32_e32 v20, 0
	;; [unrolled: 1-line block ×16, first 2 shown]
.LBB861_4:
	s_load_dword s6, s[4:5], 0x40
	v_add_u32_e32 v22, s3, v1
	s_waitcnt lgkmcnt(0)
	v_mov_b32_e32 v1, s11
	v_add_u32_e32 v0, s2, v0
	v_mad_i64_i32 v[4:5], s[0:1], v22, s6, 0
	v_cmp_le_i32_e64 s[0:1], v22, v0
	v_lshlrev_b64 v[4:5], 4, v[4:5]
	v_add_co_u32_e32 v4, vcc, s10, v4
	v_addc_co_u32_e32 v5, vcc, v1, v5, vcc
	v_cmp_gt_i32_e32 vcc, s12, v0
	s_and_b64 s[0:1], s[0:1], vcc
	s_and_saveexec_b64 s[2:3], s[0:1]
	s_cbranch_execz .LBB861_6
; %bb.5:
	v_ashrrev_i32_e32 v1, 31, v0
	v_lshlrev_b64 v[12:13], 4, v[0:1]
	v_add_co_u32_e64 v23, s[0:1], v4, v12
	v_addc_co_u32_e64 v24, s[0:1], v5, v13, s[0:1]
	v_cmp_ne_u32_e64 s[0:1], v22, v0
	v_cndmask_b32_e64 v13, 0, v21, s[0:1]
	v_cndmask_b32_e64 v12, 0, v20, s[0:1]
	flat_store_dwordx4 v[23:24], v[10:13]
.LBB861_6:
	s_or_b64 exec, exec, s[2:3]
	v_add_u32_e32 v12, 16, v0
	v_cmp_le_i32_e64 s[2:3], v22, v12
	v_cmp_gt_i32_e64 s[0:1], s12, v12
	s_and_b64 s[2:3], s[2:3], s[0:1]
	s_and_saveexec_b64 s[4:5], s[2:3]
	s_cbranch_execz .LBB861_8
; %bb.7:
	v_ashrrev_i32_e32 v13, 31, v12
	v_lshlrev_b64 v[10:11], 4, v[12:13]
	v_add_co_u32_e64 v10, s[2:3], v4, v10
	v_addc_co_u32_e64 v11, s[2:3], v5, v11, s[2:3]
	v_cmp_ne_u32_e64 s[2:3], v22, v12
	v_cndmask_b32_e64 v5, 0, v15, s[2:3]
	v_cndmask_b32_e64 v4, 0, v14, s[2:3]
	flat_store_dwordx4 v[10:11], v[2:5]
.LBB861_8:
	s_or_b64 exec, exec, s[4:5]
	v_add_u32_e32 v4, 16, v22
	v_mad_i64_i32 v[1:2], s[2:3], v4, s6, 0
	v_mov_b32_e32 v5, s11
	v_lshlrev_b64 v[2:3], 4, v[1:2]
	v_add_co_u32_e64 v2, s[2:3], s10, v2
	v_addc_co_u32_e64 v3, s[2:3], v5, v3, s[2:3]
	v_cmp_le_i32_e64 s[2:3], v4, v0
	s_and_b64 s[4:5], s[2:3], vcc
	s_and_saveexec_b64 s[2:3], s[4:5]
	s_cbranch_execz .LBB861_10
; %bb.9:
	v_ashrrev_i32_e32 v1, 31, v0
	v_lshlrev_b64 v[10:11], 4, v[0:1]
	v_add_co_u32_e32 v13, vcc, v2, v10
	v_addc_co_u32_e32 v14, vcc, v3, v11, vcc
	v_cmp_ne_u32_e32 vcc, v4, v0
	v_cndmask_b32_e32 v11, 0, v19, vcc
	v_cndmask_b32_e32 v10, 0, v18, vcc
	flat_store_dwordx4 v[13:14], v[8:11]
.LBB861_10:
	s_or_b64 exec, exec, s[2:3]
	v_cmp_le_i32_e32 vcc, v4, v12
	s_and_b64 s[0:1], vcc, s[0:1]
	s_and_saveexec_b64 s[2:3], s[0:1]
	s_cbranch_execz .LBB861_12
; %bb.11:
	v_ashrrev_i32_e32 v13, 31, v12
	v_lshlrev_b64 v[4:5], 4, v[12:13]
	v_add_co_u32_e32 v1, vcc, v2, v4
	v_addc_co_u32_e32 v2, vcc, v3, v5, vcc
	v_cmp_ne_u32_e32 vcc, v22, v0
	v_cndmask_b32_e32 v9, 0, v17, vcc
	v_cndmask_b32_e32 v8, 0, v16, vcc
	flat_store_dwordx4 v[1:2], v[6:9]
.LBB861_12:
	s_endpgm
	.section	.rodata,"a",@progbits
	.p2align	6, 0x0
	.amdhsa_kernel _ZL37rocblas_syrkx_herkx_restricted_kernelIi19rocblas_complex_numIdELi16ELi32ELi8ELi1ELi0ELb1ELc84ELc76EKPKS1_KPS1_EviT_PT9_S7_lS9_S7_lPT10_S7_li
		.amdhsa_group_segment_fixed_size 8192
		.amdhsa_private_segment_fixed_size 0
		.amdhsa_kernarg_size 84
		.amdhsa_user_sgpr_count 6
		.amdhsa_user_sgpr_private_segment_buffer 1
		.amdhsa_user_sgpr_dispatch_ptr 0
		.amdhsa_user_sgpr_queue_ptr 0
		.amdhsa_user_sgpr_kernarg_segment_ptr 1
		.amdhsa_user_sgpr_dispatch_id 0
		.amdhsa_user_sgpr_flat_scratch_init 0
		.amdhsa_user_sgpr_private_segment_size 0
		.amdhsa_uses_dynamic_stack 0
		.amdhsa_system_sgpr_private_segment_wavefront_offset 0
		.amdhsa_system_sgpr_workgroup_id_x 1
		.amdhsa_system_sgpr_workgroup_id_y 1
		.amdhsa_system_sgpr_workgroup_id_z 1
		.amdhsa_system_sgpr_workgroup_info 0
		.amdhsa_system_vgpr_workitem_id 1
		.amdhsa_next_free_vgpr 52
		.amdhsa_next_free_sgpr 61
		.amdhsa_reserve_vcc 1
		.amdhsa_reserve_flat_scratch 0
		.amdhsa_float_round_mode_32 0
		.amdhsa_float_round_mode_16_64 0
		.amdhsa_float_denorm_mode_32 3
		.amdhsa_float_denorm_mode_16_64 3
		.amdhsa_dx10_clamp 1
		.amdhsa_ieee_mode 1
		.amdhsa_fp16_overflow 0
		.amdhsa_exception_fp_ieee_invalid_op 0
		.amdhsa_exception_fp_denorm_src 0
		.amdhsa_exception_fp_ieee_div_zero 0
		.amdhsa_exception_fp_ieee_overflow 0
		.amdhsa_exception_fp_ieee_underflow 0
		.amdhsa_exception_fp_ieee_inexact 0
		.amdhsa_exception_int_div_zero 0
	.end_amdhsa_kernel
	.section	.text._ZL37rocblas_syrkx_herkx_restricted_kernelIi19rocblas_complex_numIdELi16ELi32ELi8ELi1ELi0ELb1ELc84ELc76EKPKS1_KPS1_EviT_PT9_S7_lS9_S7_lPT10_S7_li,"axG",@progbits,_ZL37rocblas_syrkx_herkx_restricted_kernelIi19rocblas_complex_numIdELi16ELi32ELi8ELi1ELi0ELb1ELc84ELc76EKPKS1_KPS1_EviT_PT9_S7_lS9_S7_lPT10_S7_li,comdat
.Lfunc_end861:
	.size	_ZL37rocblas_syrkx_herkx_restricted_kernelIi19rocblas_complex_numIdELi16ELi32ELi8ELi1ELi0ELb1ELc84ELc76EKPKS1_KPS1_EviT_PT9_S7_lS9_S7_lPT10_S7_li, .Lfunc_end861-_ZL37rocblas_syrkx_herkx_restricted_kernelIi19rocblas_complex_numIdELi16ELi32ELi8ELi1ELi0ELb1ELc84ELc76EKPKS1_KPS1_EviT_PT9_S7_lS9_S7_lPT10_S7_li
                                        ; -- End function
	.set _ZL37rocblas_syrkx_herkx_restricted_kernelIi19rocblas_complex_numIdELi16ELi32ELi8ELi1ELi0ELb1ELc84ELc76EKPKS1_KPS1_EviT_PT9_S7_lS9_S7_lPT10_S7_li.num_vgpr, 52
	.set _ZL37rocblas_syrkx_herkx_restricted_kernelIi19rocblas_complex_numIdELi16ELi32ELi8ELi1ELi0ELb1ELc84ELc76EKPKS1_KPS1_EviT_PT9_S7_lS9_S7_lPT10_S7_li.num_agpr, 0
	.set _ZL37rocblas_syrkx_herkx_restricted_kernelIi19rocblas_complex_numIdELi16ELi32ELi8ELi1ELi0ELb1ELc84ELc76EKPKS1_KPS1_EviT_PT9_S7_lS9_S7_lPT10_S7_li.numbered_sgpr, 17
	.set _ZL37rocblas_syrkx_herkx_restricted_kernelIi19rocblas_complex_numIdELi16ELi32ELi8ELi1ELi0ELb1ELc84ELc76EKPKS1_KPS1_EviT_PT9_S7_lS9_S7_lPT10_S7_li.num_named_barrier, 0
	.set _ZL37rocblas_syrkx_herkx_restricted_kernelIi19rocblas_complex_numIdELi16ELi32ELi8ELi1ELi0ELb1ELc84ELc76EKPKS1_KPS1_EviT_PT9_S7_lS9_S7_lPT10_S7_li.private_seg_size, 0
	.set _ZL37rocblas_syrkx_herkx_restricted_kernelIi19rocblas_complex_numIdELi16ELi32ELi8ELi1ELi0ELb1ELc84ELc76EKPKS1_KPS1_EviT_PT9_S7_lS9_S7_lPT10_S7_li.uses_vcc, 1
	.set _ZL37rocblas_syrkx_herkx_restricted_kernelIi19rocblas_complex_numIdELi16ELi32ELi8ELi1ELi0ELb1ELc84ELc76EKPKS1_KPS1_EviT_PT9_S7_lS9_S7_lPT10_S7_li.uses_flat_scratch, 0
	.set _ZL37rocblas_syrkx_herkx_restricted_kernelIi19rocblas_complex_numIdELi16ELi32ELi8ELi1ELi0ELb1ELc84ELc76EKPKS1_KPS1_EviT_PT9_S7_lS9_S7_lPT10_S7_li.has_dyn_sized_stack, 0
	.set _ZL37rocblas_syrkx_herkx_restricted_kernelIi19rocblas_complex_numIdELi16ELi32ELi8ELi1ELi0ELb1ELc84ELc76EKPKS1_KPS1_EviT_PT9_S7_lS9_S7_lPT10_S7_li.has_recursion, 0
	.set _ZL37rocblas_syrkx_herkx_restricted_kernelIi19rocblas_complex_numIdELi16ELi32ELi8ELi1ELi0ELb1ELc84ELc76EKPKS1_KPS1_EviT_PT9_S7_lS9_S7_lPT10_S7_li.has_indirect_call, 0
	.section	.AMDGPU.csdata,"",@progbits
; Kernel info:
; codeLenInByte = 2784
; TotalNumSgprs: 21
; NumVgprs: 52
; ScratchSize: 0
; MemoryBound: 0
; FloatMode: 240
; IeeeMode: 1
; LDSByteSize: 8192 bytes/workgroup (compile time only)
; SGPRBlocks: 8
; VGPRBlocks: 12
; NumSGPRsForWavesPerEU: 65
; NumVGPRsForWavesPerEU: 52
; Occupancy: 4
; WaveLimiterHint : 1
; COMPUTE_PGM_RSRC2:SCRATCH_EN: 0
; COMPUTE_PGM_RSRC2:USER_SGPR: 6
; COMPUTE_PGM_RSRC2:TRAP_HANDLER: 0
; COMPUTE_PGM_RSRC2:TGID_X_EN: 1
; COMPUTE_PGM_RSRC2:TGID_Y_EN: 1
; COMPUTE_PGM_RSRC2:TGID_Z_EN: 1
; COMPUTE_PGM_RSRC2:TIDIG_COMP_CNT: 1
	.section	.text._ZL37rocblas_syrkx_herkx_restricted_kernelIi19rocblas_complex_numIdELi16ELi32ELi8ELi1ELi0ELb1ELc67ELc76EKPKS1_KPS1_EviT_PT9_S7_lS9_S7_lPT10_S7_li,"axG",@progbits,_ZL37rocblas_syrkx_herkx_restricted_kernelIi19rocblas_complex_numIdELi16ELi32ELi8ELi1ELi0ELb1ELc67ELc76EKPKS1_KPS1_EviT_PT9_S7_lS9_S7_lPT10_S7_li,comdat
	.globl	_ZL37rocblas_syrkx_herkx_restricted_kernelIi19rocblas_complex_numIdELi16ELi32ELi8ELi1ELi0ELb1ELc67ELc76EKPKS1_KPS1_EviT_PT9_S7_lS9_S7_lPT10_S7_li ; -- Begin function _ZL37rocblas_syrkx_herkx_restricted_kernelIi19rocblas_complex_numIdELi16ELi32ELi8ELi1ELi0ELb1ELc67ELc76EKPKS1_KPS1_EviT_PT9_S7_lS9_S7_lPT10_S7_li
	.p2align	8
	.type	_ZL37rocblas_syrkx_herkx_restricted_kernelIi19rocblas_complex_numIdELi16ELi32ELi8ELi1ELi0ELb1ELc67ELc76EKPKS1_KPS1_EviT_PT9_S7_lS9_S7_lPT10_S7_li,@function
_ZL37rocblas_syrkx_herkx_restricted_kernelIi19rocblas_complex_numIdELi16ELi32ELi8ELi1ELi0ELb1ELc67ELc76EKPKS1_KPS1_EviT_PT9_S7_lS9_S7_lPT10_S7_li: ; @_ZL37rocblas_syrkx_herkx_restricted_kernelIi19rocblas_complex_numIdELi16ELi32ELi8ELi1ELi0ELb1ELc67ELc76EKPKS1_KPS1_EviT_PT9_S7_lS9_S7_lPT10_S7_li
; %bb.0:
	s_load_dwordx2 s[2:3], s[4:5], 0x38
	s_load_dwordx2 s[12:13], s[4:5], 0x0
	s_mov_b32 s9, 0
	s_lshl_b64 s[0:1], s[8:9], 3
	s_waitcnt lgkmcnt(0)
	s_add_u32 s2, s2, s0
	s_addc_u32 s3, s3, s1
	s_load_dwordx2 s[10:11], s[2:3], 0x0
	s_lshl_b32 s2, s6, 5
	s_lshl_b32 s3, s7, 5
	s_cmp_lt_i32 s13, 1
	s_cbranch_scc1 .LBB862_3
; %bb.1:
	s_load_dwordx2 s[6:7], s[4:5], 0x8
	s_load_dword s8, s[4:5], 0x10
	s_load_dwordx2 s[14:15], s[4:5], 0x20
	s_load_dword s16, s[4:5], 0x28
	v_lshl_add_u32 v4, v1, 4, v0
	s_waitcnt lgkmcnt(0)
	s_add_u32 s6, s6, s0
	s_addc_u32 s7, s7, s1
	v_lshrrev_b32_e32 v8, 3, v4
	s_add_u32 s0, s14, s0
	v_add_u32_e32 v5, s3, v8
	v_and_b32_e32 v2, 7, v0
	v_mov_b32_e32 v3, 0
	s_addc_u32 s1, s15, s1
	v_mad_i64_i32 v[6:7], s[14:15], s16, v5, v[2:3]
	v_lshlrev_b32_e32 v2, 4, v2
	v_and_b32_e32 v9, 31, v4
	v_lshl_or_b32 v2, v8, 7, v2
	v_lshrrev_b32_e32 v4, 5, v4
	v_mov_b32_e32 v5, v3
	v_lshlrev_b32_e32 v3, 4, v9
	v_add_u32_e32 v23, 0x1000, v2
	v_add_u32_e32 v2, s2, v9
	v_lshl_or_b32 v22, v4, 9, v3
	v_mad_i64_i32 v[2:3], s[14:15], s8, v2, v[4:5]
	s_load_dwordx2 s[6:7], s[6:7], 0x0
	v_mov_b32_e32 v4, 0x1000
	s_load_dwordx2 s[0:1], s[0:1], 0x0
	v_lshlrev_b64 v[2:3], 4, v[2:3]
	v_lshl_add_u32 v25, v1, 7, v4
	s_waitcnt lgkmcnt(0)
	v_mov_b32_e32 v5, s7
	v_add_co_u32_e32 v4, vcc, s6, v2
	v_lshlrev_b64 v[12:13], 4, v[6:7]
	v_addc_co_u32_e32 v5, vcc, v5, v3, vcc
	v_mov_b32_e32 v26, s1
	v_mov_b32_e32 v16, 0
	;; [unrolled: 1-line block ×9, first 2 shown]
	v_add_co_u32_e32 v12, vcc, s0, v12
	v_lshlrev_b32_e32 v24, 4, v0
	v_mov_b32_e32 v17, 0
	v_mov_b32_e32 v7, 0
	;; [unrolled: 1-line block ×8, first 2 shown]
	v_addc_co_u32_e32 v13, vcc, v26, v13, vcc
.LBB862_2:                              ; =>This Inner Loop Header: Depth=1
	flat_load_dwordx4 v[26:29], v[4:5]
	v_add_co_u32_e32 v4, vcc, 0x80, v4
	v_addc_co_u32_e32 v5, vcc, 0, v5, vcc
	s_add_i32 s9, s9, 8
	s_cmp_ge_i32 s9, s13
	s_waitcnt vmcnt(0) lgkmcnt(0)
	v_xor_b32_e32 v29, 0x80000000, v29
	ds_write_b128 v22, v[26:29]
	flat_load_dwordx4 v[26:29], v[12:13]
	v_add_co_u32_e32 v12, vcc, 0x80, v12
	v_addc_co_u32_e32 v13, vcc, 0, v13, vcc
	s_waitcnt vmcnt(0) lgkmcnt(0)
	ds_write_b128 v23, v[26:29]
	s_waitcnt lgkmcnt(0)
	s_barrier
	ds_read_b128 v[26:29], v25
	ds_read_b128 v[30:33], v25 offset:16
	ds_read_b128 v[34:37], v25 offset:32
	;; [unrolled: 1-line block ×3, first 2 shown]
	ds_read_b128 v[42:45], v24
	s_waitcnt lgkmcnt(0)
	v_mul_f64 v[46:47], v[28:29], v[44:45]
	v_mul_f64 v[48:49], v[26:27], v[44:45]
	v_fma_f64 v[46:47], v[26:27], v[42:43], -v[46:47]
	v_fma_f64 v[48:49], v[28:29], v[42:43], v[48:49]
	v_add_f64 v[10:11], v[10:11], v[46:47]
	v_add_f64 v[20:21], v[48:49], v[20:21]
	ds_read_b128 v[46:49], v24 offset:256
	s_waitcnt lgkmcnt(0)
	v_mul_f64 v[50:51], v[28:29], v[48:49]
	v_fma_f64 v[50:51], v[26:27], v[46:47], -v[50:51]
	v_mul_f64 v[26:27], v[26:27], v[48:49]
	v_add_f64 v[2:3], v[2:3], v[50:51]
	v_fma_f64 v[26:27], v[28:29], v[46:47], v[26:27]
	v_add_f64 v[50:51], v[26:27], v[14:15]
	ds_read_b128 v[26:29], v25 offset:2048
	s_waitcnt lgkmcnt(0)
	v_mul_f64 v[14:15], v[28:29], v[44:45]
	v_mul_f64 v[44:45], v[26:27], v[44:45]
	v_fma_f64 v[14:15], v[26:27], v[42:43], -v[14:15]
	v_fma_f64 v[42:43], v[28:29], v[42:43], v[44:45]
	v_add_f64 v[44:45], v[8:9], v[14:15]
	v_mul_f64 v[8:9], v[28:29], v[48:49]
	v_mul_f64 v[14:15], v[26:27], v[48:49]
	v_add_f64 v[42:43], v[42:43], v[18:19]
	v_fma_f64 v[8:9], v[26:27], v[46:47], -v[8:9]
	v_fma_f64 v[14:15], v[28:29], v[46:47], v[14:15]
	v_add_f64 v[26:27], v[6:7], v[8:9]
	ds_read_b128 v[6:9], v24 offset:512
	v_add_f64 v[28:29], v[14:15], v[16:17]
	s_waitcnt lgkmcnt(0)
	v_mul_f64 v[14:15], v[32:33], v[8:9]
	v_mul_f64 v[16:17], v[30:31], v[8:9]
	v_fma_f64 v[14:15], v[30:31], v[6:7], -v[14:15]
	v_fma_f64 v[16:17], v[32:33], v[6:7], v[16:17]
	v_add_f64 v[10:11], v[10:11], v[14:15]
	v_add_f64 v[46:47], v[16:17], v[20:21]
	ds_read_b128 v[14:17], v24 offset:768
	s_waitcnt lgkmcnt(0)
	v_mul_f64 v[18:19], v[32:33], v[16:17]
	v_mul_f64 v[20:21], v[30:31], v[16:17]
	v_fma_f64 v[18:19], v[30:31], v[14:15], -v[18:19]
	v_fma_f64 v[20:21], v[32:33], v[14:15], v[20:21]
	v_add_f64 v[2:3], v[2:3], v[18:19]
	v_add_f64 v[30:31], v[20:21], v[50:51]
	ds_read_b128 v[18:21], v25 offset:2064
	s_waitcnt lgkmcnt(0)
	v_mul_f64 v[32:33], v[20:21], v[8:9]
	v_mul_f64 v[8:9], v[18:19], v[8:9]
	v_fma_f64 v[32:33], v[18:19], v[6:7], -v[32:33]
	v_fma_f64 v[6:7], v[20:21], v[6:7], v[8:9]
	v_mul_f64 v[8:9], v[18:19], v[16:17]
	v_add_f64 v[32:33], v[44:45], v[32:33]
	v_add_f64 v[42:43], v[6:7], v[42:43]
	v_mul_f64 v[6:7], v[20:21], v[16:17]
	v_fma_f64 v[8:9], v[20:21], v[14:15], v[8:9]
	v_fma_f64 v[6:7], v[18:19], v[14:15], -v[6:7]
	v_add_f64 v[28:29], v[8:9], v[28:29]
	v_add_f64 v[26:27], v[26:27], v[6:7]
	ds_read_b128 v[6:9], v24 offset:1024
	s_waitcnt lgkmcnt(0)
	v_mul_f64 v[14:15], v[36:37], v[8:9]
	v_mul_f64 v[16:17], v[34:35], v[8:9]
	v_fma_f64 v[14:15], v[34:35], v[6:7], -v[14:15]
	v_fma_f64 v[16:17], v[36:37], v[6:7], v[16:17]
	v_add_f64 v[10:11], v[10:11], v[14:15]
	v_add_f64 v[44:45], v[16:17], v[46:47]
	ds_read_b128 v[14:17], v24 offset:1280
	s_waitcnt lgkmcnt(0)
	v_mul_f64 v[18:19], v[36:37], v[16:17]
	v_mul_f64 v[20:21], v[34:35], v[16:17]
	v_fma_f64 v[18:19], v[34:35], v[14:15], -v[18:19]
	v_fma_f64 v[20:21], v[36:37], v[14:15], v[20:21]
	v_add_f64 v[2:3], v[2:3], v[18:19]
	v_add_f64 v[30:31], v[20:21], v[30:31]
	ds_read_b128 v[18:21], v25 offset:2080
	s_waitcnt lgkmcnt(0)
	v_mul_f64 v[34:35], v[20:21], v[8:9]
	v_mul_f64 v[8:9], v[18:19], v[8:9]
	v_fma_f64 v[34:35], v[18:19], v[6:7], -v[34:35]
	v_fma_f64 v[6:7], v[20:21], v[6:7], v[8:9]
	v_mul_f64 v[8:9], v[18:19], v[16:17]
	v_add_f64 v[32:33], v[32:33], v[34:35]
	v_add_f64 v[34:35], v[6:7], v[42:43]
	v_mul_f64 v[6:7], v[20:21], v[16:17]
	v_fma_f64 v[8:9], v[20:21], v[14:15], v[8:9]
	v_fma_f64 v[6:7], v[18:19], v[14:15], -v[6:7]
	v_add_f64 v[28:29], v[8:9], v[28:29]
	v_add_f64 v[26:27], v[26:27], v[6:7]
	ds_read_b128 v[6:9], v24 offset:1536
	;; [unrolled: 30-line block ×3, first 2 shown]
	ds_read_b128 v[14:17], v24 offset:2048
	s_waitcnt lgkmcnt(0)
	v_mul_f64 v[18:19], v[8:9], v[16:17]
	v_mul_f64 v[20:21], v[6:7], v[16:17]
	v_fma_f64 v[18:19], v[6:7], v[14:15], -v[18:19]
	v_fma_f64 v[20:21], v[8:9], v[14:15], v[20:21]
	v_add_f64 v[10:11], v[10:11], v[18:19]
	v_add_f64 v[36:37], v[20:21], v[36:37]
	ds_read_b128 v[18:21], v24 offset:2304
	s_waitcnt lgkmcnt(0)
	v_mul_f64 v[38:39], v[8:9], v[20:21]
	v_fma_f64 v[38:39], v[6:7], v[18:19], -v[38:39]
	v_mul_f64 v[6:7], v[6:7], v[20:21]
	v_add_f64 v[2:3], v[2:3], v[38:39]
	v_fma_f64 v[6:7], v[8:9], v[18:19], v[6:7]
	v_add_f64 v[30:31], v[6:7], v[30:31]
	ds_read_b128 v[6:9], v25 offset:2112
	s_waitcnt lgkmcnt(0)
	v_mul_f64 v[38:39], v[8:9], v[16:17]
	v_mul_f64 v[16:17], v[6:7], v[16:17]
	v_fma_f64 v[38:39], v[6:7], v[14:15], -v[38:39]
	v_fma_f64 v[14:15], v[8:9], v[14:15], v[16:17]
	v_add_f64 v[32:33], v[32:33], v[38:39]
	v_add_f64 v[34:35], v[14:15], v[34:35]
	v_mul_f64 v[14:15], v[8:9], v[20:21]
	v_fma_f64 v[14:15], v[6:7], v[18:19], -v[14:15]
	v_mul_f64 v[6:7], v[6:7], v[20:21]
	v_add_f64 v[26:27], v[26:27], v[14:15]
	v_fma_f64 v[6:7], v[8:9], v[18:19], v[6:7]
	v_add_f64 v[28:29], v[6:7], v[28:29]
	ds_read_b128 v[6:9], v25 offset:80
	ds_read_b128 v[14:17], v24 offset:2560
	s_waitcnt lgkmcnt(0)
	v_mul_f64 v[18:19], v[8:9], v[16:17]
	v_mul_f64 v[20:21], v[6:7], v[16:17]
	v_fma_f64 v[18:19], v[6:7], v[14:15], -v[18:19]
	v_fma_f64 v[20:21], v[8:9], v[14:15], v[20:21]
	v_add_f64 v[10:11], v[10:11], v[18:19]
	v_add_f64 v[36:37], v[20:21], v[36:37]
	ds_read_b128 v[18:21], v24 offset:2816
	s_waitcnt lgkmcnt(0)
	v_mul_f64 v[38:39], v[8:9], v[20:21]
	v_fma_f64 v[38:39], v[6:7], v[18:19], -v[38:39]
	v_mul_f64 v[6:7], v[6:7], v[20:21]
	v_add_f64 v[2:3], v[2:3], v[38:39]
	v_fma_f64 v[6:7], v[8:9], v[18:19], v[6:7]
	v_add_f64 v[30:31], v[6:7], v[30:31]
	ds_read_b128 v[6:9], v25 offset:2128
	s_waitcnt lgkmcnt(0)
	v_mul_f64 v[38:39], v[8:9], v[16:17]
	v_mul_f64 v[16:17], v[6:7], v[16:17]
	v_fma_f64 v[38:39], v[6:7], v[14:15], -v[38:39]
	v_fma_f64 v[14:15], v[8:9], v[14:15], v[16:17]
	v_add_f64 v[32:33], v[32:33], v[38:39]
	v_add_f64 v[34:35], v[14:15], v[34:35]
	v_mul_f64 v[14:15], v[8:9], v[20:21]
	v_fma_f64 v[14:15], v[6:7], v[18:19], -v[14:15]
	v_mul_f64 v[6:7], v[6:7], v[20:21]
	v_add_f64 v[26:27], v[26:27], v[14:15]
	v_fma_f64 v[6:7], v[8:9], v[18:19], v[6:7]
	v_add_f64 v[28:29], v[6:7], v[28:29]
	ds_read_b128 v[6:9], v25 offset:96
	;; [unrolled: 31-line block ×3, first 2 shown]
	ds_read_b128 v[16:19], v24 offset:3584
	ds_read_b128 v[26:29], v24 offset:3840
	s_waitcnt lgkmcnt(1)
	v_mul_f64 v[14:15], v[8:9], v[18:19]
	v_mul_f64 v[20:21], v[6:7], v[18:19]
	v_fma_f64 v[14:15], v[6:7], v[16:17], -v[14:15]
	v_fma_f64 v[20:21], v[8:9], v[16:17], v[20:21]
	v_add_f64 v[10:11], v[10:11], v[14:15]
	s_waitcnt lgkmcnt(0)
	v_mul_f64 v[14:15], v[8:9], v[28:29]
	v_add_f64 v[20:21], v[20:21], v[36:37]
	v_fma_f64 v[14:15], v[6:7], v[26:27], -v[14:15]
	v_mul_f64 v[6:7], v[6:7], v[28:29]
	v_add_f64 v[2:3], v[2:3], v[14:15]
	v_fma_f64 v[6:7], v[8:9], v[26:27], v[6:7]
	v_add_f64 v[14:15], v[6:7], v[30:31]
	ds_read_b128 v[30:33], v25 offset:2160
	s_waitcnt lgkmcnt(0)
	s_barrier
	v_mul_f64 v[6:7], v[32:33], v[18:19]
	v_mul_f64 v[8:9], v[30:31], v[18:19]
	v_fma_f64 v[6:7], v[30:31], v[16:17], -v[6:7]
	v_fma_f64 v[16:17], v[32:33], v[16:17], v[8:9]
	v_add_f64 v[8:9], v[38:39], v[6:7]
	v_add_f64 v[18:19], v[16:17], v[34:35]
	v_mul_f64 v[6:7], v[32:33], v[28:29]
	v_mul_f64 v[16:17], v[30:31], v[28:29]
	v_fma_f64 v[6:7], v[30:31], v[26:27], -v[6:7]
	v_fma_f64 v[16:17], v[32:33], v[26:27], v[16:17]
	v_add_f64 v[6:7], v[40:41], v[6:7]
	v_add_f64 v[16:17], v[16:17], v[42:43]
	s_cbranch_scc0 .LBB862_2
	s_branch .LBB862_4
.LBB862_3:
	v_mov_b32_e32 v10, 0
	v_mov_b32_e32 v20, 0
	;; [unrolled: 1-line block ×16, first 2 shown]
.LBB862_4:
	s_load_dword s6, s[4:5], 0x40
	v_add_u32_e32 v22, s3, v1
	s_waitcnt lgkmcnt(0)
	v_mov_b32_e32 v1, s11
	v_add_u32_e32 v0, s2, v0
	v_mad_i64_i32 v[4:5], s[0:1], v22, s6, 0
	v_cmp_le_i32_e64 s[0:1], v22, v0
	v_lshlrev_b64 v[4:5], 4, v[4:5]
	v_add_co_u32_e32 v4, vcc, s10, v4
	v_addc_co_u32_e32 v5, vcc, v1, v5, vcc
	v_cmp_gt_i32_e32 vcc, s12, v0
	s_and_b64 s[0:1], s[0:1], vcc
	s_and_saveexec_b64 s[2:3], s[0:1]
	s_cbranch_execz .LBB862_6
; %bb.5:
	v_ashrrev_i32_e32 v1, 31, v0
	v_lshlrev_b64 v[12:13], 4, v[0:1]
	v_add_co_u32_e64 v23, s[0:1], v4, v12
	v_addc_co_u32_e64 v24, s[0:1], v5, v13, s[0:1]
	v_cmp_ne_u32_e64 s[0:1], v22, v0
	v_cndmask_b32_e64 v13, 0, v21, s[0:1]
	v_cndmask_b32_e64 v12, 0, v20, s[0:1]
	flat_store_dwordx4 v[23:24], v[10:13]
.LBB862_6:
	s_or_b64 exec, exec, s[2:3]
	v_add_u32_e32 v12, 16, v0
	v_cmp_le_i32_e64 s[2:3], v22, v12
	v_cmp_gt_i32_e64 s[0:1], s12, v12
	s_and_b64 s[2:3], s[2:3], s[0:1]
	s_and_saveexec_b64 s[4:5], s[2:3]
	s_cbranch_execz .LBB862_8
; %bb.7:
	v_ashrrev_i32_e32 v13, 31, v12
	v_lshlrev_b64 v[10:11], 4, v[12:13]
	v_add_co_u32_e64 v10, s[2:3], v4, v10
	v_addc_co_u32_e64 v11, s[2:3], v5, v11, s[2:3]
	v_cmp_ne_u32_e64 s[2:3], v22, v12
	v_cndmask_b32_e64 v5, 0, v15, s[2:3]
	v_cndmask_b32_e64 v4, 0, v14, s[2:3]
	flat_store_dwordx4 v[10:11], v[2:5]
.LBB862_8:
	s_or_b64 exec, exec, s[4:5]
	v_add_u32_e32 v4, 16, v22
	v_mad_i64_i32 v[1:2], s[2:3], v4, s6, 0
	v_mov_b32_e32 v5, s11
	v_lshlrev_b64 v[2:3], 4, v[1:2]
	v_add_co_u32_e64 v2, s[2:3], s10, v2
	v_addc_co_u32_e64 v3, s[2:3], v5, v3, s[2:3]
	v_cmp_le_i32_e64 s[2:3], v4, v0
	s_and_b64 s[4:5], s[2:3], vcc
	s_and_saveexec_b64 s[2:3], s[4:5]
	s_cbranch_execz .LBB862_10
; %bb.9:
	v_ashrrev_i32_e32 v1, 31, v0
	v_lshlrev_b64 v[10:11], 4, v[0:1]
	v_add_co_u32_e32 v13, vcc, v2, v10
	v_addc_co_u32_e32 v14, vcc, v3, v11, vcc
	v_cmp_ne_u32_e32 vcc, v4, v0
	v_cndmask_b32_e32 v11, 0, v19, vcc
	v_cndmask_b32_e32 v10, 0, v18, vcc
	flat_store_dwordx4 v[13:14], v[8:11]
.LBB862_10:
	s_or_b64 exec, exec, s[2:3]
	v_cmp_le_i32_e32 vcc, v4, v12
	s_and_b64 s[0:1], vcc, s[0:1]
	s_and_saveexec_b64 s[2:3], s[0:1]
	s_cbranch_execz .LBB862_12
; %bb.11:
	v_ashrrev_i32_e32 v13, 31, v12
	v_lshlrev_b64 v[4:5], 4, v[12:13]
	v_add_co_u32_e32 v1, vcc, v2, v4
	v_addc_co_u32_e32 v2, vcc, v3, v5, vcc
	v_cmp_ne_u32_e32 vcc, v22, v0
	v_cndmask_b32_e32 v9, 0, v17, vcc
	v_cndmask_b32_e32 v8, 0, v16, vcc
	flat_store_dwordx4 v[1:2], v[6:9]
.LBB862_12:
	s_endpgm
	.section	.rodata,"a",@progbits
	.p2align	6, 0x0
	.amdhsa_kernel _ZL37rocblas_syrkx_herkx_restricted_kernelIi19rocblas_complex_numIdELi16ELi32ELi8ELi1ELi0ELb1ELc67ELc76EKPKS1_KPS1_EviT_PT9_S7_lS9_S7_lPT10_S7_li
		.amdhsa_group_segment_fixed_size 8192
		.amdhsa_private_segment_fixed_size 0
		.amdhsa_kernarg_size 84
		.amdhsa_user_sgpr_count 6
		.amdhsa_user_sgpr_private_segment_buffer 1
		.amdhsa_user_sgpr_dispatch_ptr 0
		.amdhsa_user_sgpr_queue_ptr 0
		.amdhsa_user_sgpr_kernarg_segment_ptr 1
		.amdhsa_user_sgpr_dispatch_id 0
		.amdhsa_user_sgpr_flat_scratch_init 0
		.amdhsa_user_sgpr_private_segment_size 0
		.amdhsa_uses_dynamic_stack 0
		.amdhsa_system_sgpr_private_segment_wavefront_offset 0
		.amdhsa_system_sgpr_workgroup_id_x 1
		.amdhsa_system_sgpr_workgroup_id_y 1
		.amdhsa_system_sgpr_workgroup_id_z 1
		.amdhsa_system_sgpr_workgroup_info 0
		.amdhsa_system_vgpr_workitem_id 1
		.amdhsa_next_free_vgpr 52
		.amdhsa_next_free_sgpr 61
		.amdhsa_reserve_vcc 1
		.amdhsa_reserve_flat_scratch 0
		.amdhsa_float_round_mode_32 0
		.amdhsa_float_round_mode_16_64 0
		.amdhsa_float_denorm_mode_32 3
		.amdhsa_float_denorm_mode_16_64 3
		.amdhsa_dx10_clamp 1
		.amdhsa_ieee_mode 1
		.amdhsa_fp16_overflow 0
		.amdhsa_exception_fp_ieee_invalid_op 0
		.amdhsa_exception_fp_denorm_src 0
		.amdhsa_exception_fp_ieee_div_zero 0
		.amdhsa_exception_fp_ieee_overflow 0
		.amdhsa_exception_fp_ieee_underflow 0
		.amdhsa_exception_fp_ieee_inexact 0
		.amdhsa_exception_int_div_zero 0
	.end_amdhsa_kernel
	.section	.text._ZL37rocblas_syrkx_herkx_restricted_kernelIi19rocblas_complex_numIdELi16ELi32ELi8ELi1ELi0ELb1ELc67ELc76EKPKS1_KPS1_EviT_PT9_S7_lS9_S7_lPT10_S7_li,"axG",@progbits,_ZL37rocblas_syrkx_herkx_restricted_kernelIi19rocblas_complex_numIdELi16ELi32ELi8ELi1ELi0ELb1ELc67ELc76EKPKS1_KPS1_EviT_PT9_S7_lS9_S7_lPT10_S7_li,comdat
.Lfunc_end862:
	.size	_ZL37rocblas_syrkx_herkx_restricted_kernelIi19rocblas_complex_numIdELi16ELi32ELi8ELi1ELi0ELb1ELc67ELc76EKPKS1_KPS1_EviT_PT9_S7_lS9_S7_lPT10_S7_li, .Lfunc_end862-_ZL37rocblas_syrkx_herkx_restricted_kernelIi19rocblas_complex_numIdELi16ELi32ELi8ELi1ELi0ELb1ELc67ELc76EKPKS1_KPS1_EviT_PT9_S7_lS9_S7_lPT10_S7_li
                                        ; -- End function
	.set _ZL37rocblas_syrkx_herkx_restricted_kernelIi19rocblas_complex_numIdELi16ELi32ELi8ELi1ELi0ELb1ELc67ELc76EKPKS1_KPS1_EviT_PT9_S7_lS9_S7_lPT10_S7_li.num_vgpr, 52
	.set _ZL37rocblas_syrkx_herkx_restricted_kernelIi19rocblas_complex_numIdELi16ELi32ELi8ELi1ELi0ELb1ELc67ELc76EKPKS1_KPS1_EviT_PT9_S7_lS9_S7_lPT10_S7_li.num_agpr, 0
	.set _ZL37rocblas_syrkx_herkx_restricted_kernelIi19rocblas_complex_numIdELi16ELi32ELi8ELi1ELi0ELb1ELc67ELc76EKPKS1_KPS1_EviT_PT9_S7_lS9_S7_lPT10_S7_li.numbered_sgpr, 17
	.set _ZL37rocblas_syrkx_herkx_restricted_kernelIi19rocblas_complex_numIdELi16ELi32ELi8ELi1ELi0ELb1ELc67ELc76EKPKS1_KPS1_EviT_PT9_S7_lS9_S7_lPT10_S7_li.num_named_barrier, 0
	.set _ZL37rocblas_syrkx_herkx_restricted_kernelIi19rocblas_complex_numIdELi16ELi32ELi8ELi1ELi0ELb1ELc67ELc76EKPKS1_KPS1_EviT_PT9_S7_lS9_S7_lPT10_S7_li.private_seg_size, 0
	.set _ZL37rocblas_syrkx_herkx_restricted_kernelIi19rocblas_complex_numIdELi16ELi32ELi8ELi1ELi0ELb1ELc67ELc76EKPKS1_KPS1_EviT_PT9_S7_lS9_S7_lPT10_S7_li.uses_vcc, 1
	.set _ZL37rocblas_syrkx_herkx_restricted_kernelIi19rocblas_complex_numIdELi16ELi32ELi8ELi1ELi0ELb1ELc67ELc76EKPKS1_KPS1_EviT_PT9_S7_lS9_S7_lPT10_S7_li.uses_flat_scratch, 0
	.set _ZL37rocblas_syrkx_herkx_restricted_kernelIi19rocblas_complex_numIdELi16ELi32ELi8ELi1ELi0ELb1ELc67ELc76EKPKS1_KPS1_EviT_PT9_S7_lS9_S7_lPT10_S7_li.has_dyn_sized_stack, 0
	.set _ZL37rocblas_syrkx_herkx_restricted_kernelIi19rocblas_complex_numIdELi16ELi32ELi8ELi1ELi0ELb1ELc67ELc76EKPKS1_KPS1_EviT_PT9_S7_lS9_S7_lPT10_S7_li.has_recursion, 0
	.set _ZL37rocblas_syrkx_herkx_restricted_kernelIi19rocblas_complex_numIdELi16ELi32ELi8ELi1ELi0ELb1ELc67ELc76EKPKS1_KPS1_EviT_PT9_S7_lS9_S7_lPT10_S7_li.has_indirect_call, 0
	.section	.AMDGPU.csdata,"",@progbits
; Kernel info:
; codeLenInByte = 2792
; TotalNumSgprs: 21
; NumVgprs: 52
; ScratchSize: 0
; MemoryBound: 0
; FloatMode: 240
; IeeeMode: 1
; LDSByteSize: 8192 bytes/workgroup (compile time only)
; SGPRBlocks: 8
; VGPRBlocks: 12
; NumSGPRsForWavesPerEU: 65
; NumVGPRsForWavesPerEU: 52
; Occupancy: 4
; WaveLimiterHint : 1
; COMPUTE_PGM_RSRC2:SCRATCH_EN: 0
; COMPUTE_PGM_RSRC2:USER_SGPR: 6
; COMPUTE_PGM_RSRC2:TRAP_HANDLER: 0
; COMPUTE_PGM_RSRC2:TGID_X_EN: 1
; COMPUTE_PGM_RSRC2:TGID_Y_EN: 1
; COMPUTE_PGM_RSRC2:TGID_Z_EN: 1
; COMPUTE_PGM_RSRC2:TIDIG_COMP_CNT: 1
	.section	.text._ZL37rocblas_syrkx_herkx_restricted_kernelIi19rocblas_complex_numIdELi16ELi32ELi8ELi1ELi0ELb1ELc78ELc76EKPKS1_KPS1_EviT_PT9_S7_lS9_S7_lPT10_S7_li,"axG",@progbits,_ZL37rocblas_syrkx_herkx_restricted_kernelIi19rocblas_complex_numIdELi16ELi32ELi8ELi1ELi0ELb1ELc78ELc76EKPKS1_KPS1_EviT_PT9_S7_lS9_S7_lPT10_S7_li,comdat
	.globl	_ZL37rocblas_syrkx_herkx_restricted_kernelIi19rocblas_complex_numIdELi16ELi32ELi8ELi1ELi0ELb1ELc78ELc76EKPKS1_KPS1_EviT_PT9_S7_lS9_S7_lPT10_S7_li ; -- Begin function _ZL37rocblas_syrkx_herkx_restricted_kernelIi19rocblas_complex_numIdELi16ELi32ELi8ELi1ELi0ELb1ELc78ELc76EKPKS1_KPS1_EviT_PT9_S7_lS9_S7_lPT10_S7_li
	.p2align	8
	.type	_ZL37rocblas_syrkx_herkx_restricted_kernelIi19rocblas_complex_numIdELi16ELi32ELi8ELi1ELi0ELb1ELc78ELc76EKPKS1_KPS1_EviT_PT9_S7_lS9_S7_lPT10_S7_li,@function
_ZL37rocblas_syrkx_herkx_restricted_kernelIi19rocblas_complex_numIdELi16ELi32ELi8ELi1ELi0ELb1ELc78ELc76EKPKS1_KPS1_EviT_PT9_S7_lS9_S7_lPT10_S7_li: ; @_ZL37rocblas_syrkx_herkx_restricted_kernelIi19rocblas_complex_numIdELi16ELi32ELi8ELi1ELi0ELb1ELc78ELc76EKPKS1_KPS1_EviT_PT9_S7_lS9_S7_lPT10_S7_li
; %bb.0:
	s_load_dwordx2 s[2:3], s[4:5], 0x38
	s_load_dwordx2 s[12:13], s[4:5], 0x0
	s_mov_b32 s9, 0
	s_lshl_b64 s[0:1], s[8:9], 3
	s_waitcnt lgkmcnt(0)
	s_add_u32 s2, s2, s0
	s_addc_u32 s3, s3, s1
	s_load_dwordx2 s[10:11], s[2:3], 0x0
	s_lshl_b32 s6, s6, 5
	s_lshl_b32 s7, s7, 5
	s_cmp_lt_i32 s13, 1
	s_cbranch_scc1 .LBB863_3
; %bb.1:
	s_load_dword s2, s[4:5], 0x10
	s_load_dword s14, s[4:5], 0x28
	s_load_dwordx2 s[16:17], s[4:5], 0x20
	s_load_dwordx2 s[18:19], s[4:5], 0x8
	v_lshl_add_u32 v5, v1, 4, v0
	s_waitcnt lgkmcnt(0)
	s_ashr_i32 s3, s2, 31
	s_ashr_i32 s15, s14, 31
	v_lshrrev_b32_e32 v6, 3, v5
	s_add_u32 s18, s18, s0
	s_addc_u32 s19, s19, s1
	s_add_u32 s0, s16, s0
	v_add_u32_e32 v2, s7, v6
	s_addc_u32 s1, s17, s1
	v_and_b32_e32 v4, 7, v0
	v_ashrrev_i32_e32 v3, 31, v2
	s_load_dwordx2 s[16:17], s[0:1], 0x0
	v_mad_i64_i32 v[2:3], s[0:1], s14, v4, v[2:3]
	v_lshlrev_b32_e32 v4, 4, v4
	v_lshrrev_b32_e32 v7, 5, v5
	v_and_b32_e32 v5, 31, v5
	v_lshl_or_b32 v4, v6, 7, v4
	v_add_u32_e32 v23, 0x1000, v4
	v_add_u32_e32 v4, s6, v5
	v_lshlrev_b32_e32 v8, 4, v5
	v_ashrrev_i32_e32 v5, 31, v4
	v_mad_i64_i32 v[4:5], s[0:1], s2, v7, v[4:5]
	s_load_dwordx2 s[18:19], s[18:19], 0x0
	v_mov_b32_e32 v6, 0x1000
	v_lshlrev_b64 v[4:5], 4, v[4:5]
	v_lshl_add_u32 v25, v1, 7, v6
	v_lshlrev_b64 v[2:3], 4, v[2:3]
	s_waitcnt lgkmcnt(0)
	v_mov_b32_e32 v6, s19
	v_add_co_u32_e32 v4, vcc, s18, v4
	v_addc_co_u32_e32 v5, vcc, v6, v5, vcc
	v_mov_b32_e32 v6, s17
	v_add_co_u32_e32 v12, vcc, s16, v2
	v_lshl_or_b32 v22, v7, 9, v8
	s_lshl_b64 s[0:1], s[2:3], 7
	v_addc_co_u32_e32 v13, vcc, v6, v3, vcc
	s_lshl_b64 s[2:3], s[14:15], 7
	v_mov_b32_e32 v16, 0
	v_mov_b32_e32 v6, 0
	;; [unrolled: 1-line block ×8, first 2 shown]
	v_lshlrev_b32_e32 v24, 4, v0
	v_mov_b32_e32 v17, 0
	v_mov_b32_e32 v26, s1
	;; [unrolled: 1-line block ×10, first 2 shown]
.LBB863_2:                              ; =>This Inner Loop Header: Depth=1
	flat_load_dwordx4 v[28:31], v[4:5]
	v_add_co_u32_e32 v4, vcc, s0, v4
	v_addc_co_u32_e32 v5, vcc, v5, v26, vcc
	s_add_i32 s9, s9, 8
	s_cmp_ge_i32 s9, s13
	s_waitcnt vmcnt(0) lgkmcnt(0)
	ds_write_b128 v22, v[28:31]
	flat_load_dwordx4 v[28:31], v[12:13]
	v_add_co_u32_e32 v12, vcc, s2, v12
	v_addc_co_u32_e32 v13, vcc, v13, v27, vcc
	s_waitcnt vmcnt(0) lgkmcnt(0)
	v_xor_b32_e32 v31, 0x80000000, v31
	ds_write_b128 v23, v[28:31]
	s_waitcnt lgkmcnt(0)
	s_barrier
	ds_read_b128 v[28:31], v25
	ds_read_b128 v[32:35], v25 offset:16
	ds_read_b128 v[36:39], v25 offset:32
	;; [unrolled: 1-line block ×3, first 2 shown]
	ds_read_b128 v[44:47], v24
	s_waitcnt lgkmcnt(0)
	v_mul_f64 v[48:49], v[30:31], v[46:47]
	v_mul_f64 v[50:51], v[28:29], v[46:47]
	v_fma_f64 v[48:49], v[28:29], v[44:45], -v[48:49]
	v_fma_f64 v[50:51], v[30:31], v[44:45], v[50:51]
	v_add_f64 v[10:11], v[10:11], v[48:49]
	v_add_f64 v[20:21], v[50:51], v[20:21]
	ds_read_b128 v[48:51], v24 offset:256
	s_waitcnt lgkmcnt(0)
	v_mul_f64 v[52:53], v[30:31], v[50:51]
	v_fma_f64 v[52:53], v[28:29], v[48:49], -v[52:53]
	v_mul_f64 v[28:29], v[28:29], v[50:51]
	v_add_f64 v[2:3], v[2:3], v[52:53]
	v_fma_f64 v[28:29], v[30:31], v[48:49], v[28:29]
	v_add_f64 v[52:53], v[28:29], v[14:15]
	ds_read_b128 v[28:31], v25 offset:2048
	s_waitcnt lgkmcnt(0)
	v_mul_f64 v[14:15], v[30:31], v[46:47]
	v_mul_f64 v[46:47], v[28:29], v[46:47]
	v_fma_f64 v[14:15], v[28:29], v[44:45], -v[14:15]
	v_fma_f64 v[44:45], v[30:31], v[44:45], v[46:47]
	v_add_f64 v[46:47], v[8:9], v[14:15]
	v_mul_f64 v[8:9], v[30:31], v[50:51]
	v_mul_f64 v[14:15], v[28:29], v[50:51]
	v_add_f64 v[44:45], v[44:45], v[18:19]
	v_fma_f64 v[8:9], v[28:29], v[48:49], -v[8:9]
	v_fma_f64 v[14:15], v[30:31], v[48:49], v[14:15]
	v_add_f64 v[28:29], v[6:7], v[8:9]
	ds_read_b128 v[6:9], v24 offset:512
	v_add_f64 v[30:31], v[14:15], v[16:17]
	s_waitcnt lgkmcnt(0)
	v_mul_f64 v[14:15], v[34:35], v[8:9]
	v_mul_f64 v[16:17], v[32:33], v[8:9]
	v_fma_f64 v[14:15], v[32:33], v[6:7], -v[14:15]
	v_fma_f64 v[16:17], v[34:35], v[6:7], v[16:17]
	v_add_f64 v[10:11], v[10:11], v[14:15]
	v_add_f64 v[48:49], v[16:17], v[20:21]
	ds_read_b128 v[14:17], v24 offset:768
	s_waitcnt lgkmcnt(0)
	v_mul_f64 v[18:19], v[34:35], v[16:17]
	v_mul_f64 v[20:21], v[32:33], v[16:17]
	v_fma_f64 v[18:19], v[32:33], v[14:15], -v[18:19]
	v_fma_f64 v[20:21], v[34:35], v[14:15], v[20:21]
	v_add_f64 v[2:3], v[2:3], v[18:19]
	v_add_f64 v[32:33], v[20:21], v[52:53]
	ds_read_b128 v[18:21], v25 offset:2064
	s_waitcnt lgkmcnt(0)
	v_mul_f64 v[34:35], v[20:21], v[8:9]
	v_mul_f64 v[8:9], v[18:19], v[8:9]
	v_fma_f64 v[34:35], v[18:19], v[6:7], -v[34:35]
	v_fma_f64 v[6:7], v[20:21], v[6:7], v[8:9]
	v_mul_f64 v[8:9], v[18:19], v[16:17]
	v_add_f64 v[34:35], v[46:47], v[34:35]
	v_add_f64 v[44:45], v[6:7], v[44:45]
	v_mul_f64 v[6:7], v[20:21], v[16:17]
	v_fma_f64 v[8:9], v[20:21], v[14:15], v[8:9]
	v_fma_f64 v[6:7], v[18:19], v[14:15], -v[6:7]
	v_add_f64 v[30:31], v[8:9], v[30:31]
	v_add_f64 v[28:29], v[28:29], v[6:7]
	ds_read_b128 v[6:9], v24 offset:1024
	s_waitcnt lgkmcnt(0)
	v_mul_f64 v[14:15], v[38:39], v[8:9]
	v_mul_f64 v[16:17], v[36:37], v[8:9]
	v_fma_f64 v[14:15], v[36:37], v[6:7], -v[14:15]
	v_fma_f64 v[16:17], v[38:39], v[6:7], v[16:17]
	v_add_f64 v[10:11], v[10:11], v[14:15]
	v_add_f64 v[46:47], v[16:17], v[48:49]
	ds_read_b128 v[14:17], v24 offset:1280
	s_waitcnt lgkmcnt(0)
	v_mul_f64 v[18:19], v[38:39], v[16:17]
	v_mul_f64 v[20:21], v[36:37], v[16:17]
	v_fma_f64 v[18:19], v[36:37], v[14:15], -v[18:19]
	v_fma_f64 v[20:21], v[38:39], v[14:15], v[20:21]
	v_add_f64 v[2:3], v[2:3], v[18:19]
	v_add_f64 v[32:33], v[20:21], v[32:33]
	ds_read_b128 v[18:21], v25 offset:2080
	s_waitcnt lgkmcnt(0)
	v_mul_f64 v[36:37], v[20:21], v[8:9]
	v_mul_f64 v[8:9], v[18:19], v[8:9]
	v_fma_f64 v[36:37], v[18:19], v[6:7], -v[36:37]
	v_fma_f64 v[6:7], v[20:21], v[6:7], v[8:9]
	v_mul_f64 v[8:9], v[18:19], v[16:17]
	v_add_f64 v[34:35], v[34:35], v[36:37]
	v_add_f64 v[36:37], v[6:7], v[44:45]
	v_mul_f64 v[6:7], v[20:21], v[16:17]
	v_fma_f64 v[8:9], v[20:21], v[14:15], v[8:9]
	v_fma_f64 v[6:7], v[18:19], v[14:15], -v[6:7]
	v_add_f64 v[30:31], v[8:9], v[30:31]
	v_add_f64 v[28:29], v[28:29], v[6:7]
	ds_read_b128 v[6:9], v24 offset:1536
	;; [unrolled: 30-line block ×3, first 2 shown]
	ds_read_b128 v[14:17], v24 offset:2048
	s_waitcnt lgkmcnt(0)
	v_mul_f64 v[18:19], v[8:9], v[16:17]
	v_mul_f64 v[20:21], v[6:7], v[16:17]
	v_fma_f64 v[18:19], v[6:7], v[14:15], -v[18:19]
	v_fma_f64 v[20:21], v[8:9], v[14:15], v[20:21]
	v_add_f64 v[10:11], v[10:11], v[18:19]
	v_add_f64 v[38:39], v[20:21], v[38:39]
	ds_read_b128 v[18:21], v24 offset:2304
	s_waitcnt lgkmcnt(0)
	v_mul_f64 v[40:41], v[8:9], v[20:21]
	v_fma_f64 v[40:41], v[6:7], v[18:19], -v[40:41]
	v_mul_f64 v[6:7], v[6:7], v[20:21]
	v_add_f64 v[2:3], v[2:3], v[40:41]
	v_fma_f64 v[6:7], v[8:9], v[18:19], v[6:7]
	v_add_f64 v[32:33], v[6:7], v[32:33]
	ds_read_b128 v[6:9], v25 offset:2112
	s_waitcnt lgkmcnt(0)
	v_mul_f64 v[40:41], v[8:9], v[16:17]
	v_mul_f64 v[16:17], v[6:7], v[16:17]
	v_fma_f64 v[40:41], v[6:7], v[14:15], -v[40:41]
	v_fma_f64 v[14:15], v[8:9], v[14:15], v[16:17]
	v_add_f64 v[34:35], v[34:35], v[40:41]
	v_add_f64 v[36:37], v[14:15], v[36:37]
	v_mul_f64 v[14:15], v[8:9], v[20:21]
	v_fma_f64 v[14:15], v[6:7], v[18:19], -v[14:15]
	v_mul_f64 v[6:7], v[6:7], v[20:21]
	v_add_f64 v[28:29], v[28:29], v[14:15]
	v_fma_f64 v[6:7], v[8:9], v[18:19], v[6:7]
	v_add_f64 v[30:31], v[6:7], v[30:31]
	ds_read_b128 v[6:9], v25 offset:80
	ds_read_b128 v[14:17], v24 offset:2560
	s_waitcnt lgkmcnt(0)
	v_mul_f64 v[18:19], v[8:9], v[16:17]
	v_mul_f64 v[20:21], v[6:7], v[16:17]
	v_fma_f64 v[18:19], v[6:7], v[14:15], -v[18:19]
	v_fma_f64 v[20:21], v[8:9], v[14:15], v[20:21]
	v_add_f64 v[10:11], v[10:11], v[18:19]
	v_add_f64 v[38:39], v[20:21], v[38:39]
	ds_read_b128 v[18:21], v24 offset:2816
	s_waitcnt lgkmcnt(0)
	v_mul_f64 v[40:41], v[8:9], v[20:21]
	v_fma_f64 v[40:41], v[6:7], v[18:19], -v[40:41]
	v_mul_f64 v[6:7], v[6:7], v[20:21]
	v_add_f64 v[2:3], v[2:3], v[40:41]
	v_fma_f64 v[6:7], v[8:9], v[18:19], v[6:7]
	v_add_f64 v[32:33], v[6:7], v[32:33]
	ds_read_b128 v[6:9], v25 offset:2128
	s_waitcnt lgkmcnt(0)
	v_mul_f64 v[40:41], v[8:9], v[16:17]
	v_mul_f64 v[16:17], v[6:7], v[16:17]
	v_fma_f64 v[40:41], v[6:7], v[14:15], -v[40:41]
	v_fma_f64 v[14:15], v[8:9], v[14:15], v[16:17]
	v_add_f64 v[34:35], v[34:35], v[40:41]
	v_add_f64 v[36:37], v[14:15], v[36:37]
	v_mul_f64 v[14:15], v[8:9], v[20:21]
	v_fma_f64 v[14:15], v[6:7], v[18:19], -v[14:15]
	v_mul_f64 v[6:7], v[6:7], v[20:21]
	v_add_f64 v[28:29], v[28:29], v[14:15]
	v_fma_f64 v[6:7], v[8:9], v[18:19], v[6:7]
	v_add_f64 v[30:31], v[6:7], v[30:31]
	ds_read_b128 v[6:9], v25 offset:96
	;; [unrolled: 31-line block ×3, first 2 shown]
	ds_read_b128 v[16:19], v24 offset:3584
	ds_read_b128 v[28:31], v24 offset:3840
	s_waitcnt lgkmcnt(1)
	v_mul_f64 v[14:15], v[8:9], v[18:19]
	v_mul_f64 v[20:21], v[6:7], v[18:19]
	v_fma_f64 v[14:15], v[6:7], v[16:17], -v[14:15]
	v_fma_f64 v[20:21], v[8:9], v[16:17], v[20:21]
	v_add_f64 v[10:11], v[10:11], v[14:15]
	s_waitcnt lgkmcnt(0)
	v_mul_f64 v[14:15], v[8:9], v[30:31]
	v_add_f64 v[20:21], v[20:21], v[38:39]
	v_fma_f64 v[14:15], v[6:7], v[28:29], -v[14:15]
	v_mul_f64 v[6:7], v[6:7], v[30:31]
	v_add_f64 v[2:3], v[2:3], v[14:15]
	v_fma_f64 v[6:7], v[8:9], v[28:29], v[6:7]
	v_add_f64 v[14:15], v[6:7], v[32:33]
	ds_read_b128 v[32:35], v25 offset:2160
	s_waitcnt lgkmcnt(0)
	s_barrier
	v_mul_f64 v[6:7], v[34:35], v[18:19]
	v_mul_f64 v[8:9], v[32:33], v[18:19]
	v_fma_f64 v[6:7], v[32:33], v[16:17], -v[6:7]
	v_fma_f64 v[16:17], v[34:35], v[16:17], v[8:9]
	v_add_f64 v[8:9], v[40:41], v[6:7]
	v_add_f64 v[18:19], v[16:17], v[36:37]
	v_mul_f64 v[6:7], v[34:35], v[30:31]
	v_mul_f64 v[16:17], v[32:33], v[30:31]
	v_fma_f64 v[6:7], v[32:33], v[28:29], -v[6:7]
	v_fma_f64 v[16:17], v[34:35], v[28:29], v[16:17]
	v_add_f64 v[6:7], v[42:43], v[6:7]
	v_add_f64 v[16:17], v[16:17], v[44:45]
	s_cbranch_scc0 .LBB863_2
	s_branch .LBB863_4
.LBB863_3:
	v_mov_b32_e32 v10, 0
	v_mov_b32_e32 v20, 0
	;; [unrolled: 1-line block ×16, first 2 shown]
.LBB863_4:
	s_load_dword s8, s[4:5], 0x40
	v_add_u32_e32 v22, s7, v1
	s_waitcnt lgkmcnt(0)
	v_mov_b32_e32 v1, s11
	v_add_u32_e32 v0, s6, v0
	v_mad_i64_i32 v[4:5], s[0:1], v22, s8, 0
	v_cmp_le_i32_e64 s[0:1], v22, v0
	v_lshlrev_b64 v[4:5], 4, v[4:5]
	v_add_co_u32_e32 v4, vcc, s10, v4
	v_addc_co_u32_e32 v5, vcc, v1, v5, vcc
	v_cmp_gt_i32_e32 vcc, s12, v0
	s_and_b64 s[0:1], s[0:1], vcc
	s_and_saveexec_b64 s[2:3], s[0:1]
	s_cbranch_execz .LBB863_6
; %bb.5:
	v_ashrrev_i32_e32 v1, 31, v0
	v_lshlrev_b64 v[12:13], 4, v[0:1]
	v_add_co_u32_e64 v23, s[0:1], v4, v12
	v_addc_co_u32_e64 v24, s[0:1], v5, v13, s[0:1]
	v_cmp_ne_u32_e64 s[0:1], v22, v0
	v_cndmask_b32_e64 v13, 0, v21, s[0:1]
	v_cndmask_b32_e64 v12, 0, v20, s[0:1]
	flat_store_dwordx4 v[23:24], v[10:13]
.LBB863_6:
	s_or_b64 exec, exec, s[2:3]
	v_add_u32_e32 v12, 16, v0
	v_cmp_le_i32_e64 s[2:3], v22, v12
	v_cmp_gt_i32_e64 s[0:1], s12, v12
	s_and_b64 s[2:3], s[2:3], s[0:1]
	s_and_saveexec_b64 s[4:5], s[2:3]
	s_cbranch_execz .LBB863_8
; %bb.7:
	v_ashrrev_i32_e32 v13, 31, v12
	v_lshlrev_b64 v[10:11], 4, v[12:13]
	v_add_co_u32_e64 v10, s[2:3], v4, v10
	v_addc_co_u32_e64 v11, s[2:3], v5, v11, s[2:3]
	v_cmp_ne_u32_e64 s[2:3], v22, v12
	v_cndmask_b32_e64 v5, 0, v15, s[2:3]
	v_cndmask_b32_e64 v4, 0, v14, s[2:3]
	flat_store_dwordx4 v[10:11], v[2:5]
.LBB863_8:
	s_or_b64 exec, exec, s[4:5]
	v_add_u32_e32 v4, 16, v22
	v_mad_i64_i32 v[1:2], s[2:3], v4, s8, 0
	v_mov_b32_e32 v5, s11
	v_lshlrev_b64 v[2:3], 4, v[1:2]
	v_add_co_u32_e64 v2, s[2:3], s10, v2
	v_addc_co_u32_e64 v3, s[2:3], v5, v3, s[2:3]
	v_cmp_le_i32_e64 s[2:3], v4, v0
	s_and_b64 s[4:5], s[2:3], vcc
	s_and_saveexec_b64 s[2:3], s[4:5]
	s_cbranch_execz .LBB863_10
; %bb.9:
	v_ashrrev_i32_e32 v1, 31, v0
	v_lshlrev_b64 v[10:11], 4, v[0:1]
	v_add_co_u32_e32 v13, vcc, v2, v10
	v_addc_co_u32_e32 v14, vcc, v3, v11, vcc
	v_cmp_ne_u32_e32 vcc, v4, v0
	v_cndmask_b32_e32 v11, 0, v19, vcc
	v_cndmask_b32_e32 v10, 0, v18, vcc
	flat_store_dwordx4 v[13:14], v[8:11]
.LBB863_10:
	s_or_b64 exec, exec, s[2:3]
	v_cmp_le_i32_e32 vcc, v4, v12
	s_and_b64 s[0:1], vcc, s[0:1]
	s_and_saveexec_b64 s[2:3], s[0:1]
	s_cbranch_execz .LBB863_12
; %bb.11:
	v_ashrrev_i32_e32 v13, 31, v12
	v_lshlrev_b64 v[4:5], 4, v[12:13]
	v_add_co_u32_e32 v1, vcc, v2, v4
	v_addc_co_u32_e32 v2, vcc, v3, v5, vcc
	v_cmp_ne_u32_e32 vcc, v22, v0
	v_cndmask_b32_e32 v9, 0, v17, vcc
	v_cndmask_b32_e32 v8, 0, v16, vcc
	flat_store_dwordx4 v[1:2], v[6:9]
.LBB863_12:
	s_endpgm
	.section	.rodata,"a",@progbits
	.p2align	6, 0x0
	.amdhsa_kernel _ZL37rocblas_syrkx_herkx_restricted_kernelIi19rocblas_complex_numIdELi16ELi32ELi8ELi1ELi0ELb1ELc78ELc76EKPKS1_KPS1_EviT_PT9_S7_lS9_S7_lPT10_S7_li
		.amdhsa_group_segment_fixed_size 8192
		.amdhsa_private_segment_fixed_size 0
		.amdhsa_kernarg_size 84
		.amdhsa_user_sgpr_count 6
		.amdhsa_user_sgpr_private_segment_buffer 1
		.amdhsa_user_sgpr_dispatch_ptr 0
		.amdhsa_user_sgpr_queue_ptr 0
		.amdhsa_user_sgpr_kernarg_segment_ptr 1
		.amdhsa_user_sgpr_dispatch_id 0
		.amdhsa_user_sgpr_flat_scratch_init 0
		.amdhsa_user_sgpr_private_segment_size 0
		.amdhsa_uses_dynamic_stack 0
		.amdhsa_system_sgpr_private_segment_wavefront_offset 0
		.amdhsa_system_sgpr_workgroup_id_x 1
		.amdhsa_system_sgpr_workgroup_id_y 1
		.amdhsa_system_sgpr_workgroup_id_z 1
		.amdhsa_system_sgpr_workgroup_info 0
		.amdhsa_system_vgpr_workitem_id 1
		.amdhsa_next_free_vgpr 54
		.amdhsa_next_free_sgpr 61
		.amdhsa_reserve_vcc 1
		.amdhsa_reserve_flat_scratch 0
		.amdhsa_float_round_mode_32 0
		.amdhsa_float_round_mode_16_64 0
		.amdhsa_float_denorm_mode_32 3
		.amdhsa_float_denorm_mode_16_64 3
		.amdhsa_dx10_clamp 1
		.amdhsa_ieee_mode 1
		.amdhsa_fp16_overflow 0
		.amdhsa_exception_fp_ieee_invalid_op 0
		.amdhsa_exception_fp_denorm_src 0
		.amdhsa_exception_fp_ieee_div_zero 0
		.amdhsa_exception_fp_ieee_overflow 0
		.amdhsa_exception_fp_ieee_underflow 0
		.amdhsa_exception_fp_ieee_inexact 0
		.amdhsa_exception_int_div_zero 0
	.end_amdhsa_kernel
	.section	.text._ZL37rocblas_syrkx_herkx_restricted_kernelIi19rocblas_complex_numIdELi16ELi32ELi8ELi1ELi0ELb1ELc78ELc76EKPKS1_KPS1_EviT_PT9_S7_lS9_S7_lPT10_S7_li,"axG",@progbits,_ZL37rocblas_syrkx_herkx_restricted_kernelIi19rocblas_complex_numIdELi16ELi32ELi8ELi1ELi0ELb1ELc78ELc76EKPKS1_KPS1_EviT_PT9_S7_lS9_S7_lPT10_S7_li,comdat
.Lfunc_end863:
	.size	_ZL37rocblas_syrkx_herkx_restricted_kernelIi19rocblas_complex_numIdELi16ELi32ELi8ELi1ELi0ELb1ELc78ELc76EKPKS1_KPS1_EviT_PT9_S7_lS9_S7_lPT10_S7_li, .Lfunc_end863-_ZL37rocblas_syrkx_herkx_restricted_kernelIi19rocblas_complex_numIdELi16ELi32ELi8ELi1ELi0ELb1ELc78ELc76EKPKS1_KPS1_EviT_PT9_S7_lS9_S7_lPT10_S7_li
                                        ; -- End function
	.set _ZL37rocblas_syrkx_herkx_restricted_kernelIi19rocblas_complex_numIdELi16ELi32ELi8ELi1ELi0ELb1ELc78ELc76EKPKS1_KPS1_EviT_PT9_S7_lS9_S7_lPT10_S7_li.num_vgpr, 54
	.set _ZL37rocblas_syrkx_herkx_restricted_kernelIi19rocblas_complex_numIdELi16ELi32ELi8ELi1ELi0ELb1ELc78ELc76EKPKS1_KPS1_EviT_PT9_S7_lS9_S7_lPT10_S7_li.num_agpr, 0
	.set _ZL37rocblas_syrkx_herkx_restricted_kernelIi19rocblas_complex_numIdELi16ELi32ELi8ELi1ELi0ELb1ELc78ELc76EKPKS1_KPS1_EviT_PT9_S7_lS9_S7_lPT10_S7_li.numbered_sgpr, 20
	.set _ZL37rocblas_syrkx_herkx_restricted_kernelIi19rocblas_complex_numIdELi16ELi32ELi8ELi1ELi0ELb1ELc78ELc76EKPKS1_KPS1_EviT_PT9_S7_lS9_S7_lPT10_S7_li.num_named_barrier, 0
	.set _ZL37rocblas_syrkx_herkx_restricted_kernelIi19rocblas_complex_numIdELi16ELi32ELi8ELi1ELi0ELb1ELc78ELc76EKPKS1_KPS1_EviT_PT9_S7_lS9_S7_lPT10_S7_li.private_seg_size, 0
	.set _ZL37rocblas_syrkx_herkx_restricted_kernelIi19rocblas_complex_numIdELi16ELi32ELi8ELi1ELi0ELb1ELc78ELc76EKPKS1_KPS1_EviT_PT9_S7_lS9_S7_lPT10_S7_li.uses_vcc, 1
	.set _ZL37rocblas_syrkx_herkx_restricted_kernelIi19rocblas_complex_numIdELi16ELi32ELi8ELi1ELi0ELb1ELc78ELc76EKPKS1_KPS1_EviT_PT9_S7_lS9_S7_lPT10_S7_li.uses_flat_scratch, 0
	.set _ZL37rocblas_syrkx_herkx_restricted_kernelIi19rocblas_complex_numIdELi16ELi32ELi8ELi1ELi0ELb1ELc78ELc76EKPKS1_KPS1_EviT_PT9_S7_lS9_S7_lPT10_S7_li.has_dyn_sized_stack, 0
	.set _ZL37rocblas_syrkx_herkx_restricted_kernelIi19rocblas_complex_numIdELi16ELi32ELi8ELi1ELi0ELb1ELc78ELc76EKPKS1_KPS1_EviT_PT9_S7_lS9_S7_lPT10_S7_li.has_recursion, 0
	.set _ZL37rocblas_syrkx_herkx_restricted_kernelIi19rocblas_complex_numIdELi16ELi32ELi8ELi1ELi0ELb1ELc78ELc76EKPKS1_KPS1_EviT_PT9_S7_lS9_S7_lPT10_S7_li.has_indirect_call, 0
	.section	.AMDGPU.csdata,"",@progbits
; Kernel info:
; codeLenInByte = 2808
; TotalNumSgprs: 24
; NumVgprs: 54
; ScratchSize: 0
; MemoryBound: 0
; FloatMode: 240
; IeeeMode: 1
; LDSByteSize: 8192 bytes/workgroup (compile time only)
; SGPRBlocks: 8
; VGPRBlocks: 13
; NumSGPRsForWavesPerEU: 65
; NumVGPRsForWavesPerEU: 54
; Occupancy: 4
; WaveLimiterHint : 1
; COMPUTE_PGM_RSRC2:SCRATCH_EN: 0
; COMPUTE_PGM_RSRC2:USER_SGPR: 6
; COMPUTE_PGM_RSRC2:TRAP_HANDLER: 0
; COMPUTE_PGM_RSRC2:TGID_X_EN: 1
; COMPUTE_PGM_RSRC2:TGID_Y_EN: 1
; COMPUTE_PGM_RSRC2:TGID_Z_EN: 1
; COMPUTE_PGM_RSRC2:TIDIG_COMP_CNT: 1
	.section	.text._ZL37rocblas_syrkx_herkx_restricted_kernelIi19rocblas_complex_numIdELi16ELi32ELi8ELi1ELi0ELb1ELc84ELc85EKPKS1_KPS1_EviT_PT9_S7_lS9_S7_lPT10_S7_li,"axG",@progbits,_ZL37rocblas_syrkx_herkx_restricted_kernelIi19rocblas_complex_numIdELi16ELi32ELi8ELi1ELi0ELb1ELc84ELc85EKPKS1_KPS1_EviT_PT9_S7_lS9_S7_lPT10_S7_li,comdat
	.globl	_ZL37rocblas_syrkx_herkx_restricted_kernelIi19rocblas_complex_numIdELi16ELi32ELi8ELi1ELi0ELb1ELc84ELc85EKPKS1_KPS1_EviT_PT9_S7_lS9_S7_lPT10_S7_li ; -- Begin function _ZL37rocblas_syrkx_herkx_restricted_kernelIi19rocblas_complex_numIdELi16ELi32ELi8ELi1ELi0ELb1ELc84ELc85EKPKS1_KPS1_EviT_PT9_S7_lS9_S7_lPT10_S7_li
	.p2align	8
	.type	_ZL37rocblas_syrkx_herkx_restricted_kernelIi19rocblas_complex_numIdELi16ELi32ELi8ELi1ELi0ELb1ELc84ELc85EKPKS1_KPS1_EviT_PT9_S7_lS9_S7_lPT10_S7_li,@function
_ZL37rocblas_syrkx_herkx_restricted_kernelIi19rocblas_complex_numIdELi16ELi32ELi8ELi1ELi0ELb1ELc84ELc85EKPKS1_KPS1_EviT_PT9_S7_lS9_S7_lPT10_S7_li: ; @_ZL37rocblas_syrkx_herkx_restricted_kernelIi19rocblas_complex_numIdELi16ELi32ELi8ELi1ELi0ELb1ELc84ELc85EKPKS1_KPS1_EviT_PT9_S7_lS9_S7_lPT10_S7_li
; %bb.0:
	s_load_dwordx2 s[10:11], s[4:5], 0x38
	s_load_dwordx2 s[2:3], s[4:5], 0x0
	s_mov_b32 s9, 0
	s_lshl_b64 s[0:1], s[8:9], 3
	s_waitcnt lgkmcnt(0)
	s_add_u32 s10, s10, s0
	s_addc_u32 s11, s11, s1
	s_load_dwordx2 s[10:11], s[10:11], 0x0
	s_lshl_b32 s6, s6, 5
	s_lshl_b32 s7, s7, 5
	s_cmp_lt_i32 s3, 1
	s_cbranch_scc1 .LBB864_3
; %bb.1:
	s_load_dwordx2 s[12:13], s[4:5], 0x8
	s_load_dword s8, s[4:5], 0x10
	s_load_dwordx2 s[14:15], s[4:5], 0x20
	s_load_dword s16, s[4:5], 0x28
	v_lshl_add_u32 v4, v1, 4, v0
	s_waitcnt lgkmcnt(0)
	s_add_u32 s12, s12, s0
	s_addc_u32 s13, s13, s1
	v_lshrrev_b32_e32 v8, 3, v4
	s_add_u32 s0, s14, s0
	v_add_u32_e32 v5, s7, v8
	v_and_b32_e32 v2, 7, v0
	v_mov_b32_e32 v3, 0
	s_addc_u32 s1, s15, s1
	v_mad_i64_i32 v[6:7], s[14:15], s16, v5, v[2:3]
	v_lshlrev_b32_e32 v2, 4, v2
	v_and_b32_e32 v9, 31, v4
	v_lshl_or_b32 v2, v8, 7, v2
	v_lshrrev_b32_e32 v4, 5, v4
	v_mov_b32_e32 v5, v3
	v_lshlrev_b32_e32 v3, 4, v9
	v_add_u32_e32 v23, 0x1000, v2
	v_add_u32_e32 v2, s6, v9
	v_lshl_or_b32 v22, v4, 9, v3
	v_mad_i64_i32 v[2:3], s[14:15], s8, v2, v[4:5]
	s_load_dwordx2 s[12:13], s[12:13], 0x0
	v_mov_b32_e32 v4, 0x1000
	s_load_dwordx2 s[0:1], s[0:1], 0x0
	v_lshlrev_b64 v[2:3], 4, v[2:3]
	v_lshl_add_u32 v25, v1, 7, v4
	s_waitcnt lgkmcnt(0)
	v_mov_b32_e32 v5, s13
	v_add_co_u32_e32 v4, vcc, s12, v2
	v_lshlrev_b64 v[12:13], 4, v[6:7]
	v_addc_co_u32_e32 v5, vcc, v5, v3, vcc
	v_mov_b32_e32 v26, s1
	v_mov_b32_e32 v16, 0
	;; [unrolled: 1-line block ×9, first 2 shown]
	v_add_co_u32_e32 v12, vcc, s0, v12
	v_lshlrev_b32_e32 v24, 4, v0
	v_mov_b32_e32 v17, 0
	v_mov_b32_e32 v7, 0
	;; [unrolled: 1-line block ×8, first 2 shown]
	v_addc_co_u32_e32 v13, vcc, v26, v13, vcc
.LBB864_2:                              ; =>This Inner Loop Header: Depth=1
	flat_load_dwordx4 v[26:29], v[4:5]
	v_add_co_u32_e32 v4, vcc, 0x80, v4
	v_addc_co_u32_e32 v5, vcc, 0, v5, vcc
	s_add_i32 s9, s9, 8
	s_cmp_ge_i32 s9, s3
	s_waitcnt vmcnt(0) lgkmcnt(0)
	ds_write_b128 v22, v[26:29]
	flat_load_dwordx4 v[26:29], v[12:13]
	v_add_co_u32_e32 v12, vcc, 0x80, v12
	v_addc_co_u32_e32 v13, vcc, 0, v13, vcc
	s_waitcnt vmcnt(0) lgkmcnt(0)
	ds_write_b128 v23, v[26:29]
	s_waitcnt lgkmcnt(0)
	s_barrier
	ds_read_b128 v[26:29], v25
	ds_read_b128 v[30:33], v25 offset:16
	ds_read_b128 v[34:37], v25 offset:32
	;; [unrolled: 1-line block ×3, first 2 shown]
	ds_read_b128 v[42:45], v24
	s_waitcnt lgkmcnt(0)
	v_mul_f64 v[46:47], v[28:29], v[44:45]
	v_mul_f64 v[48:49], v[26:27], v[44:45]
	v_fma_f64 v[46:47], v[26:27], v[42:43], -v[46:47]
	v_fma_f64 v[48:49], v[28:29], v[42:43], v[48:49]
	v_add_f64 v[10:11], v[10:11], v[46:47]
	v_add_f64 v[20:21], v[48:49], v[20:21]
	ds_read_b128 v[46:49], v24 offset:256
	s_waitcnt lgkmcnt(0)
	v_mul_f64 v[50:51], v[28:29], v[48:49]
	v_fma_f64 v[50:51], v[26:27], v[46:47], -v[50:51]
	v_mul_f64 v[26:27], v[26:27], v[48:49]
	v_add_f64 v[2:3], v[2:3], v[50:51]
	v_fma_f64 v[26:27], v[28:29], v[46:47], v[26:27]
	v_add_f64 v[50:51], v[26:27], v[14:15]
	ds_read_b128 v[26:29], v25 offset:2048
	s_waitcnt lgkmcnt(0)
	v_mul_f64 v[14:15], v[28:29], v[44:45]
	v_mul_f64 v[44:45], v[26:27], v[44:45]
	v_fma_f64 v[14:15], v[26:27], v[42:43], -v[14:15]
	v_fma_f64 v[42:43], v[28:29], v[42:43], v[44:45]
	v_add_f64 v[44:45], v[8:9], v[14:15]
	v_mul_f64 v[8:9], v[28:29], v[48:49]
	v_mul_f64 v[14:15], v[26:27], v[48:49]
	v_add_f64 v[42:43], v[42:43], v[18:19]
	v_fma_f64 v[8:9], v[26:27], v[46:47], -v[8:9]
	v_fma_f64 v[14:15], v[28:29], v[46:47], v[14:15]
	v_add_f64 v[26:27], v[6:7], v[8:9]
	ds_read_b128 v[6:9], v24 offset:512
	v_add_f64 v[28:29], v[14:15], v[16:17]
	s_waitcnt lgkmcnt(0)
	v_mul_f64 v[14:15], v[32:33], v[8:9]
	v_mul_f64 v[16:17], v[30:31], v[8:9]
	v_fma_f64 v[14:15], v[30:31], v[6:7], -v[14:15]
	v_fma_f64 v[16:17], v[32:33], v[6:7], v[16:17]
	v_add_f64 v[10:11], v[10:11], v[14:15]
	v_add_f64 v[46:47], v[16:17], v[20:21]
	ds_read_b128 v[14:17], v24 offset:768
	s_waitcnt lgkmcnt(0)
	v_mul_f64 v[18:19], v[32:33], v[16:17]
	v_mul_f64 v[20:21], v[30:31], v[16:17]
	v_fma_f64 v[18:19], v[30:31], v[14:15], -v[18:19]
	v_fma_f64 v[20:21], v[32:33], v[14:15], v[20:21]
	v_add_f64 v[2:3], v[2:3], v[18:19]
	v_add_f64 v[30:31], v[20:21], v[50:51]
	ds_read_b128 v[18:21], v25 offset:2064
	s_waitcnt lgkmcnt(0)
	v_mul_f64 v[32:33], v[20:21], v[8:9]
	v_mul_f64 v[8:9], v[18:19], v[8:9]
	v_fma_f64 v[32:33], v[18:19], v[6:7], -v[32:33]
	v_fma_f64 v[6:7], v[20:21], v[6:7], v[8:9]
	v_mul_f64 v[8:9], v[18:19], v[16:17]
	v_add_f64 v[32:33], v[44:45], v[32:33]
	v_add_f64 v[42:43], v[6:7], v[42:43]
	v_mul_f64 v[6:7], v[20:21], v[16:17]
	v_fma_f64 v[8:9], v[20:21], v[14:15], v[8:9]
	v_fma_f64 v[6:7], v[18:19], v[14:15], -v[6:7]
	v_add_f64 v[28:29], v[8:9], v[28:29]
	v_add_f64 v[26:27], v[26:27], v[6:7]
	ds_read_b128 v[6:9], v24 offset:1024
	s_waitcnt lgkmcnt(0)
	v_mul_f64 v[14:15], v[36:37], v[8:9]
	v_mul_f64 v[16:17], v[34:35], v[8:9]
	v_fma_f64 v[14:15], v[34:35], v[6:7], -v[14:15]
	v_fma_f64 v[16:17], v[36:37], v[6:7], v[16:17]
	v_add_f64 v[10:11], v[10:11], v[14:15]
	v_add_f64 v[44:45], v[16:17], v[46:47]
	ds_read_b128 v[14:17], v24 offset:1280
	s_waitcnt lgkmcnt(0)
	v_mul_f64 v[18:19], v[36:37], v[16:17]
	v_mul_f64 v[20:21], v[34:35], v[16:17]
	v_fma_f64 v[18:19], v[34:35], v[14:15], -v[18:19]
	v_fma_f64 v[20:21], v[36:37], v[14:15], v[20:21]
	v_add_f64 v[2:3], v[2:3], v[18:19]
	v_add_f64 v[30:31], v[20:21], v[30:31]
	ds_read_b128 v[18:21], v25 offset:2080
	s_waitcnt lgkmcnt(0)
	v_mul_f64 v[34:35], v[20:21], v[8:9]
	v_mul_f64 v[8:9], v[18:19], v[8:9]
	v_fma_f64 v[34:35], v[18:19], v[6:7], -v[34:35]
	v_fma_f64 v[6:7], v[20:21], v[6:7], v[8:9]
	v_mul_f64 v[8:9], v[18:19], v[16:17]
	v_add_f64 v[32:33], v[32:33], v[34:35]
	v_add_f64 v[34:35], v[6:7], v[42:43]
	v_mul_f64 v[6:7], v[20:21], v[16:17]
	v_fma_f64 v[8:9], v[20:21], v[14:15], v[8:9]
	v_fma_f64 v[6:7], v[18:19], v[14:15], -v[6:7]
	v_add_f64 v[28:29], v[8:9], v[28:29]
	v_add_f64 v[26:27], v[26:27], v[6:7]
	ds_read_b128 v[6:9], v24 offset:1536
	;; [unrolled: 30-line block ×3, first 2 shown]
	ds_read_b128 v[14:17], v24 offset:2048
	s_waitcnt lgkmcnt(0)
	v_mul_f64 v[18:19], v[8:9], v[16:17]
	v_mul_f64 v[20:21], v[6:7], v[16:17]
	v_fma_f64 v[18:19], v[6:7], v[14:15], -v[18:19]
	v_fma_f64 v[20:21], v[8:9], v[14:15], v[20:21]
	v_add_f64 v[10:11], v[10:11], v[18:19]
	v_add_f64 v[36:37], v[20:21], v[36:37]
	ds_read_b128 v[18:21], v24 offset:2304
	s_waitcnt lgkmcnt(0)
	v_mul_f64 v[38:39], v[8:9], v[20:21]
	v_fma_f64 v[38:39], v[6:7], v[18:19], -v[38:39]
	v_mul_f64 v[6:7], v[6:7], v[20:21]
	v_add_f64 v[2:3], v[2:3], v[38:39]
	v_fma_f64 v[6:7], v[8:9], v[18:19], v[6:7]
	v_add_f64 v[30:31], v[6:7], v[30:31]
	ds_read_b128 v[6:9], v25 offset:2112
	s_waitcnt lgkmcnt(0)
	v_mul_f64 v[38:39], v[8:9], v[16:17]
	v_mul_f64 v[16:17], v[6:7], v[16:17]
	v_fma_f64 v[38:39], v[6:7], v[14:15], -v[38:39]
	v_fma_f64 v[14:15], v[8:9], v[14:15], v[16:17]
	v_add_f64 v[32:33], v[32:33], v[38:39]
	v_add_f64 v[34:35], v[14:15], v[34:35]
	v_mul_f64 v[14:15], v[8:9], v[20:21]
	v_fma_f64 v[14:15], v[6:7], v[18:19], -v[14:15]
	v_mul_f64 v[6:7], v[6:7], v[20:21]
	v_add_f64 v[26:27], v[26:27], v[14:15]
	v_fma_f64 v[6:7], v[8:9], v[18:19], v[6:7]
	v_add_f64 v[28:29], v[6:7], v[28:29]
	ds_read_b128 v[6:9], v25 offset:80
	ds_read_b128 v[14:17], v24 offset:2560
	s_waitcnt lgkmcnt(0)
	v_mul_f64 v[18:19], v[8:9], v[16:17]
	v_mul_f64 v[20:21], v[6:7], v[16:17]
	v_fma_f64 v[18:19], v[6:7], v[14:15], -v[18:19]
	v_fma_f64 v[20:21], v[8:9], v[14:15], v[20:21]
	v_add_f64 v[10:11], v[10:11], v[18:19]
	v_add_f64 v[36:37], v[20:21], v[36:37]
	ds_read_b128 v[18:21], v24 offset:2816
	s_waitcnt lgkmcnt(0)
	v_mul_f64 v[38:39], v[8:9], v[20:21]
	v_fma_f64 v[38:39], v[6:7], v[18:19], -v[38:39]
	v_mul_f64 v[6:7], v[6:7], v[20:21]
	v_add_f64 v[2:3], v[2:3], v[38:39]
	v_fma_f64 v[6:7], v[8:9], v[18:19], v[6:7]
	v_add_f64 v[30:31], v[6:7], v[30:31]
	ds_read_b128 v[6:9], v25 offset:2128
	s_waitcnt lgkmcnt(0)
	v_mul_f64 v[38:39], v[8:9], v[16:17]
	v_mul_f64 v[16:17], v[6:7], v[16:17]
	v_fma_f64 v[38:39], v[6:7], v[14:15], -v[38:39]
	v_fma_f64 v[14:15], v[8:9], v[14:15], v[16:17]
	v_add_f64 v[32:33], v[32:33], v[38:39]
	v_add_f64 v[34:35], v[14:15], v[34:35]
	v_mul_f64 v[14:15], v[8:9], v[20:21]
	v_fma_f64 v[14:15], v[6:7], v[18:19], -v[14:15]
	v_mul_f64 v[6:7], v[6:7], v[20:21]
	v_add_f64 v[26:27], v[26:27], v[14:15]
	v_fma_f64 v[6:7], v[8:9], v[18:19], v[6:7]
	v_add_f64 v[28:29], v[6:7], v[28:29]
	ds_read_b128 v[6:9], v25 offset:96
	;; [unrolled: 31-line block ×3, first 2 shown]
	ds_read_b128 v[16:19], v24 offset:3584
	ds_read_b128 v[26:29], v24 offset:3840
	s_waitcnt lgkmcnt(1)
	v_mul_f64 v[14:15], v[8:9], v[18:19]
	v_mul_f64 v[20:21], v[6:7], v[18:19]
	v_fma_f64 v[14:15], v[6:7], v[16:17], -v[14:15]
	v_fma_f64 v[20:21], v[8:9], v[16:17], v[20:21]
	v_add_f64 v[10:11], v[10:11], v[14:15]
	s_waitcnt lgkmcnt(0)
	v_mul_f64 v[14:15], v[8:9], v[28:29]
	v_add_f64 v[20:21], v[20:21], v[36:37]
	v_fma_f64 v[14:15], v[6:7], v[26:27], -v[14:15]
	v_mul_f64 v[6:7], v[6:7], v[28:29]
	v_add_f64 v[2:3], v[2:3], v[14:15]
	v_fma_f64 v[6:7], v[8:9], v[26:27], v[6:7]
	v_add_f64 v[14:15], v[6:7], v[30:31]
	ds_read_b128 v[30:33], v25 offset:2160
	s_waitcnt lgkmcnt(0)
	s_barrier
	v_mul_f64 v[6:7], v[32:33], v[18:19]
	v_mul_f64 v[8:9], v[30:31], v[18:19]
	v_fma_f64 v[6:7], v[30:31], v[16:17], -v[6:7]
	v_fma_f64 v[16:17], v[32:33], v[16:17], v[8:9]
	v_add_f64 v[8:9], v[38:39], v[6:7]
	v_add_f64 v[18:19], v[16:17], v[34:35]
	v_mul_f64 v[6:7], v[32:33], v[28:29]
	v_mul_f64 v[16:17], v[30:31], v[28:29]
	v_fma_f64 v[6:7], v[30:31], v[26:27], -v[6:7]
	v_fma_f64 v[16:17], v[32:33], v[26:27], v[16:17]
	v_add_f64 v[6:7], v[40:41], v[6:7]
	v_add_f64 v[16:17], v[16:17], v[42:43]
	s_cbranch_scc0 .LBB864_2
	s_branch .LBB864_4
.LBB864_3:
	v_mov_b32_e32 v10, 0
	v_mov_b32_e32 v20, 0
	;; [unrolled: 1-line block ×16, first 2 shown]
.LBB864_4:
	s_load_dword s3, s[4:5], 0x40
	v_add_u32_e32 v22, s7, v1
	s_waitcnt lgkmcnt(0)
	v_mov_b32_e32 v1, s11
	v_add_u32_e32 v0, s6, v0
	v_cmp_gt_i32_e32 vcc, s2, v22
	v_mad_i64_i32 v[4:5], s[0:1], v22, s3, 0
	v_lshlrev_b64 v[4:5], 4, v[4:5]
	v_add_co_u32_e64 v4, s[0:1], s10, v4
	v_addc_co_u32_e64 v5, s[0:1], v1, v5, s[0:1]
	v_cmp_le_i32_e64 s[0:1], v0, v22
	s_and_b64 s[0:1], vcc, s[0:1]
	s_and_saveexec_b64 s[4:5], s[0:1]
	s_cbranch_execz .LBB864_6
; %bb.5:
	v_ashrrev_i32_e32 v1, 31, v0
	v_lshlrev_b64 v[12:13], 4, v[0:1]
	v_add_co_u32_e64 v23, s[0:1], v4, v12
	v_addc_co_u32_e64 v24, s[0:1], v5, v13, s[0:1]
	v_cmp_ne_u32_e64 s[0:1], v22, v0
	v_cndmask_b32_e64 v13, 0, v21, s[0:1]
	v_cndmask_b32_e64 v12, 0, v20, s[0:1]
	flat_store_dwordx4 v[23:24], v[10:13]
.LBB864_6:
	s_or_b64 exec, exec, s[4:5]
	v_add_u32_e32 v12, 16, v0
	v_cmp_le_i32_e64 s[0:1], v12, v22
	s_and_b64 s[4:5], vcc, s[0:1]
	s_and_saveexec_b64 s[0:1], s[4:5]
	s_cbranch_execz .LBB864_8
; %bb.7:
	v_ashrrev_i32_e32 v13, 31, v12
	v_lshlrev_b64 v[10:11], 4, v[12:13]
	v_add_co_u32_e32 v10, vcc, v4, v10
	v_addc_co_u32_e32 v11, vcc, v5, v11, vcc
	v_cmp_ne_u32_e32 vcc, v22, v12
	v_cndmask_b32_e32 v5, 0, v15, vcc
	v_cndmask_b32_e32 v4, 0, v14, vcc
	flat_store_dwordx4 v[10:11], v[2:5]
.LBB864_8:
	s_or_b64 exec, exec, s[0:1]
	v_add_u32_e32 v4, 16, v22
	v_mad_i64_i32 v[1:2], s[0:1], v4, s3, 0
	v_mov_b32_e32 v5, s11
	v_cmp_gt_i32_e32 vcc, s2, v4
	v_lshlrev_b64 v[2:3], 4, v[1:2]
	v_add_co_u32_e64 v2, s[0:1], s10, v2
	v_addc_co_u32_e64 v3, s[0:1], v5, v3, s[0:1]
	v_cmp_le_i32_e64 s[0:1], v0, v4
	s_and_b64 s[0:1], vcc, s[0:1]
	s_and_saveexec_b64 s[2:3], s[0:1]
	s_cbranch_execz .LBB864_10
; %bb.9:
	v_ashrrev_i32_e32 v1, 31, v0
	v_lshlrev_b64 v[10:11], 4, v[0:1]
	v_add_co_u32_e64 v13, s[0:1], v2, v10
	v_addc_co_u32_e64 v14, s[0:1], v3, v11, s[0:1]
	v_cmp_ne_u32_e64 s[0:1], v4, v0
	v_cndmask_b32_e64 v11, 0, v19, s[0:1]
	v_cndmask_b32_e64 v10, 0, v18, s[0:1]
	flat_store_dwordx4 v[13:14], v[8:11]
.LBB864_10:
	s_or_b64 exec, exec, s[2:3]
	v_cmp_le_i32_e64 s[0:1], v12, v4
	s_and_b64 s[0:1], vcc, s[0:1]
	s_and_saveexec_b64 s[2:3], s[0:1]
	s_cbranch_execz .LBB864_12
; %bb.11:
	v_ashrrev_i32_e32 v13, 31, v12
	v_lshlrev_b64 v[4:5], 4, v[12:13]
	v_add_co_u32_e32 v1, vcc, v2, v4
	v_addc_co_u32_e32 v2, vcc, v3, v5, vcc
	v_cmp_ne_u32_e32 vcc, v22, v0
	v_cndmask_b32_e32 v9, 0, v17, vcc
	v_cndmask_b32_e32 v8, 0, v16, vcc
	flat_store_dwordx4 v[1:2], v[6:9]
.LBB864_12:
	s_endpgm
	.section	.rodata,"a",@progbits
	.p2align	6, 0x0
	.amdhsa_kernel _ZL37rocblas_syrkx_herkx_restricted_kernelIi19rocblas_complex_numIdELi16ELi32ELi8ELi1ELi0ELb1ELc84ELc85EKPKS1_KPS1_EviT_PT9_S7_lS9_S7_lPT10_S7_li
		.amdhsa_group_segment_fixed_size 8192
		.amdhsa_private_segment_fixed_size 0
		.amdhsa_kernarg_size 84
		.amdhsa_user_sgpr_count 6
		.amdhsa_user_sgpr_private_segment_buffer 1
		.amdhsa_user_sgpr_dispatch_ptr 0
		.amdhsa_user_sgpr_queue_ptr 0
		.amdhsa_user_sgpr_kernarg_segment_ptr 1
		.amdhsa_user_sgpr_dispatch_id 0
		.amdhsa_user_sgpr_flat_scratch_init 0
		.amdhsa_user_sgpr_private_segment_size 0
		.amdhsa_uses_dynamic_stack 0
		.amdhsa_system_sgpr_private_segment_wavefront_offset 0
		.amdhsa_system_sgpr_workgroup_id_x 1
		.amdhsa_system_sgpr_workgroup_id_y 1
		.amdhsa_system_sgpr_workgroup_id_z 1
		.amdhsa_system_sgpr_workgroup_info 0
		.amdhsa_system_vgpr_workitem_id 1
		.amdhsa_next_free_vgpr 52
		.amdhsa_next_free_sgpr 61
		.amdhsa_reserve_vcc 1
		.amdhsa_reserve_flat_scratch 0
		.amdhsa_float_round_mode_32 0
		.amdhsa_float_round_mode_16_64 0
		.amdhsa_float_denorm_mode_32 3
		.amdhsa_float_denorm_mode_16_64 3
		.amdhsa_dx10_clamp 1
		.amdhsa_ieee_mode 1
		.amdhsa_fp16_overflow 0
		.amdhsa_exception_fp_ieee_invalid_op 0
		.amdhsa_exception_fp_denorm_src 0
		.amdhsa_exception_fp_ieee_div_zero 0
		.amdhsa_exception_fp_ieee_overflow 0
		.amdhsa_exception_fp_ieee_underflow 0
		.amdhsa_exception_fp_ieee_inexact 0
		.amdhsa_exception_int_div_zero 0
	.end_amdhsa_kernel
	.section	.text._ZL37rocblas_syrkx_herkx_restricted_kernelIi19rocblas_complex_numIdELi16ELi32ELi8ELi1ELi0ELb1ELc84ELc85EKPKS1_KPS1_EviT_PT9_S7_lS9_S7_lPT10_S7_li,"axG",@progbits,_ZL37rocblas_syrkx_herkx_restricted_kernelIi19rocblas_complex_numIdELi16ELi32ELi8ELi1ELi0ELb1ELc84ELc85EKPKS1_KPS1_EviT_PT9_S7_lS9_S7_lPT10_S7_li,comdat
.Lfunc_end864:
	.size	_ZL37rocblas_syrkx_herkx_restricted_kernelIi19rocblas_complex_numIdELi16ELi32ELi8ELi1ELi0ELb1ELc84ELc85EKPKS1_KPS1_EviT_PT9_S7_lS9_S7_lPT10_S7_li, .Lfunc_end864-_ZL37rocblas_syrkx_herkx_restricted_kernelIi19rocblas_complex_numIdELi16ELi32ELi8ELi1ELi0ELb1ELc84ELc85EKPKS1_KPS1_EviT_PT9_S7_lS9_S7_lPT10_S7_li
                                        ; -- End function
	.set _ZL37rocblas_syrkx_herkx_restricted_kernelIi19rocblas_complex_numIdELi16ELi32ELi8ELi1ELi0ELb1ELc84ELc85EKPKS1_KPS1_EviT_PT9_S7_lS9_S7_lPT10_S7_li.num_vgpr, 52
	.set _ZL37rocblas_syrkx_herkx_restricted_kernelIi19rocblas_complex_numIdELi16ELi32ELi8ELi1ELi0ELb1ELc84ELc85EKPKS1_KPS1_EviT_PT9_S7_lS9_S7_lPT10_S7_li.num_agpr, 0
	.set _ZL37rocblas_syrkx_herkx_restricted_kernelIi19rocblas_complex_numIdELi16ELi32ELi8ELi1ELi0ELb1ELc84ELc85EKPKS1_KPS1_EviT_PT9_S7_lS9_S7_lPT10_S7_li.numbered_sgpr, 17
	.set _ZL37rocblas_syrkx_herkx_restricted_kernelIi19rocblas_complex_numIdELi16ELi32ELi8ELi1ELi0ELb1ELc84ELc85EKPKS1_KPS1_EviT_PT9_S7_lS9_S7_lPT10_S7_li.num_named_barrier, 0
	.set _ZL37rocblas_syrkx_herkx_restricted_kernelIi19rocblas_complex_numIdELi16ELi32ELi8ELi1ELi0ELb1ELc84ELc85EKPKS1_KPS1_EviT_PT9_S7_lS9_S7_lPT10_S7_li.private_seg_size, 0
	.set _ZL37rocblas_syrkx_herkx_restricted_kernelIi19rocblas_complex_numIdELi16ELi32ELi8ELi1ELi0ELb1ELc84ELc85EKPKS1_KPS1_EviT_PT9_S7_lS9_S7_lPT10_S7_li.uses_vcc, 1
	.set _ZL37rocblas_syrkx_herkx_restricted_kernelIi19rocblas_complex_numIdELi16ELi32ELi8ELi1ELi0ELb1ELc84ELc85EKPKS1_KPS1_EviT_PT9_S7_lS9_S7_lPT10_S7_li.uses_flat_scratch, 0
	.set _ZL37rocblas_syrkx_herkx_restricted_kernelIi19rocblas_complex_numIdELi16ELi32ELi8ELi1ELi0ELb1ELc84ELc85EKPKS1_KPS1_EviT_PT9_S7_lS9_S7_lPT10_S7_li.has_dyn_sized_stack, 0
	.set _ZL37rocblas_syrkx_herkx_restricted_kernelIi19rocblas_complex_numIdELi16ELi32ELi8ELi1ELi0ELb1ELc84ELc85EKPKS1_KPS1_EviT_PT9_S7_lS9_S7_lPT10_S7_li.has_recursion, 0
	.set _ZL37rocblas_syrkx_herkx_restricted_kernelIi19rocblas_complex_numIdELi16ELi32ELi8ELi1ELi0ELb1ELc84ELc85EKPKS1_KPS1_EviT_PT9_S7_lS9_S7_lPT10_S7_li.has_indirect_call, 0
	.section	.AMDGPU.csdata,"",@progbits
; Kernel info:
; codeLenInByte = 2792
; TotalNumSgprs: 21
; NumVgprs: 52
; ScratchSize: 0
; MemoryBound: 0
; FloatMode: 240
; IeeeMode: 1
; LDSByteSize: 8192 bytes/workgroup (compile time only)
; SGPRBlocks: 8
; VGPRBlocks: 12
; NumSGPRsForWavesPerEU: 65
; NumVGPRsForWavesPerEU: 52
; Occupancy: 4
; WaveLimiterHint : 1
; COMPUTE_PGM_RSRC2:SCRATCH_EN: 0
; COMPUTE_PGM_RSRC2:USER_SGPR: 6
; COMPUTE_PGM_RSRC2:TRAP_HANDLER: 0
; COMPUTE_PGM_RSRC2:TGID_X_EN: 1
; COMPUTE_PGM_RSRC2:TGID_Y_EN: 1
; COMPUTE_PGM_RSRC2:TGID_Z_EN: 1
; COMPUTE_PGM_RSRC2:TIDIG_COMP_CNT: 1
	.section	.text._ZL37rocblas_syrkx_herkx_restricted_kernelIi19rocblas_complex_numIdELi16ELi32ELi8ELi1ELi0ELb1ELc67ELc85EKPKS1_KPS1_EviT_PT9_S7_lS9_S7_lPT10_S7_li,"axG",@progbits,_ZL37rocblas_syrkx_herkx_restricted_kernelIi19rocblas_complex_numIdELi16ELi32ELi8ELi1ELi0ELb1ELc67ELc85EKPKS1_KPS1_EviT_PT9_S7_lS9_S7_lPT10_S7_li,comdat
	.globl	_ZL37rocblas_syrkx_herkx_restricted_kernelIi19rocblas_complex_numIdELi16ELi32ELi8ELi1ELi0ELb1ELc67ELc85EKPKS1_KPS1_EviT_PT9_S7_lS9_S7_lPT10_S7_li ; -- Begin function _ZL37rocblas_syrkx_herkx_restricted_kernelIi19rocblas_complex_numIdELi16ELi32ELi8ELi1ELi0ELb1ELc67ELc85EKPKS1_KPS1_EviT_PT9_S7_lS9_S7_lPT10_S7_li
	.p2align	8
	.type	_ZL37rocblas_syrkx_herkx_restricted_kernelIi19rocblas_complex_numIdELi16ELi32ELi8ELi1ELi0ELb1ELc67ELc85EKPKS1_KPS1_EviT_PT9_S7_lS9_S7_lPT10_S7_li,@function
_ZL37rocblas_syrkx_herkx_restricted_kernelIi19rocblas_complex_numIdELi16ELi32ELi8ELi1ELi0ELb1ELc67ELc85EKPKS1_KPS1_EviT_PT9_S7_lS9_S7_lPT10_S7_li: ; @_ZL37rocblas_syrkx_herkx_restricted_kernelIi19rocblas_complex_numIdELi16ELi32ELi8ELi1ELi0ELb1ELc67ELc85EKPKS1_KPS1_EviT_PT9_S7_lS9_S7_lPT10_S7_li
; %bb.0:
	s_load_dwordx2 s[10:11], s[4:5], 0x38
	s_load_dwordx2 s[2:3], s[4:5], 0x0
	s_mov_b32 s9, 0
	s_lshl_b64 s[0:1], s[8:9], 3
	s_waitcnt lgkmcnt(0)
	s_add_u32 s10, s10, s0
	s_addc_u32 s11, s11, s1
	s_load_dwordx2 s[10:11], s[10:11], 0x0
	s_lshl_b32 s6, s6, 5
	s_lshl_b32 s7, s7, 5
	s_cmp_lt_i32 s3, 1
	s_cbranch_scc1 .LBB865_3
; %bb.1:
	s_load_dwordx2 s[12:13], s[4:5], 0x8
	s_load_dword s8, s[4:5], 0x10
	s_load_dwordx2 s[14:15], s[4:5], 0x20
	s_load_dword s16, s[4:5], 0x28
	v_lshl_add_u32 v4, v1, 4, v0
	s_waitcnt lgkmcnt(0)
	s_add_u32 s12, s12, s0
	s_addc_u32 s13, s13, s1
	v_lshrrev_b32_e32 v8, 3, v4
	s_add_u32 s0, s14, s0
	v_add_u32_e32 v5, s7, v8
	v_and_b32_e32 v2, 7, v0
	v_mov_b32_e32 v3, 0
	s_addc_u32 s1, s15, s1
	v_mad_i64_i32 v[6:7], s[14:15], s16, v5, v[2:3]
	v_lshlrev_b32_e32 v2, 4, v2
	v_and_b32_e32 v9, 31, v4
	v_lshl_or_b32 v2, v8, 7, v2
	v_lshrrev_b32_e32 v4, 5, v4
	v_mov_b32_e32 v5, v3
	v_lshlrev_b32_e32 v3, 4, v9
	v_add_u32_e32 v23, 0x1000, v2
	v_add_u32_e32 v2, s6, v9
	v_lshl_or_b32 v22, v4, 9, v3
	v_mad_i64_i32 v[2:3], s[14:15], s8, v2, v[4:5]
	s_load_dwordx2 s[12:13], s[12:13], 0x0
	v_mov_b32_e32 v4, 0x1000
	s_load_dwordx2 s[0:1], s[0:1], 0x0
	v_lshlrev_b64 v[2:3], 4, v[2:3]
	v_lshl_add_u32 v25, v1, 7, v4
	s_waitcnt lgkmcnt(0)
	v_mov_b32_e32 v5, s13
	v_add_co_u32_e32 v4, vcc, s12, v2
	v_lshlrev_b64 v[12:13], 4, v[6:7]
	v_addc_co_u32_e32 v5, vcc, v5, v3, vcc
	v_mov_b32_e32 v26, s1
	v_mov_b32_e32 v16, 0
	;; [unrolled: 1-line block ×9, first 2 shown]
	v_add_co_u32_e32 v12, vcc, s0, v12
	v_lshlrev_b32_e32 v24, 4, v0
	v_mov_b32_e32 v17, 0
	v_mov_b32_e32 v7, 0
	;; [unrolled: 1-line block ×8, first 2 shown]
	v_addc_co_u32_e32 v13, vcc, v26, v13, vcc
.LBB865_2:                              ; =>This Inner Loop Header: Depth=1
	flat_load_dwordx4 v[26:29], v[4:5]
	v_add_co_u32_e32 v4, vcc, 0x80, v4
	v_addc_co_u32_e32 v5, vcc, 0, v5, vcc
	s_add_i32 s9, s9, 8
	s_cmp_ge_i32 s9, s3
	s_waitcnt vmcnt(0) lgkmcnt(0)
	v_xor_b32_e32 v29, 0x80000000, v29
	ds_write_b128 v22, v[26:29]
	flat_load_dwordx4 v[26:29], v[12:13]
	v_add_co_u32_e32 v12, vcc, 0x80, v12
	v_addc_co_u32_e32 v13, vcc, 0, v13, vcc
	s_waitcnt vmcnt(0) lgkmcnt(0)
	ds_write_b128 v23, v[26:29]
	s_waitcnt lgkmcnt(0)
	s_barrier
	ds_read_b128 v[26:29], v25
	ds_read_b128 v[30:33], v25 offset:16
	ds_read_b128 v[34:37], v25 offset:32
	;; [unrolled: 1-line block ×3, first 2 shown]
	ds_read_b128 v[42:45], v24
	s_waitcnt lgkmcnt(0)
	v_mul_f64 v[46:47], v[28:29], v[44:45]
	v_mul_f64 v[48:49], v[26:27], v[44:45]
	v_fma_f64 v[46:47], v[26:27], v[42:43], -v[46:47]
	v_fma_f64 v[48:49], v[28:29], v[42:43], v[48:49]
	v_add_f64 v[10:11], v[10:11], v[46:47]
	v_add_f64 v[20:21], v[48:49], v[20:21]
	ds_read_b128 v[46:49], v24 offset:256
	s_waitcnt lgkmcnt(0)
	v_mul_f64 v[50:51], v[28:29], v[48:49]
	v_fma_f64 v[50:51], v[26:27], v[46:47], -v[50:51]
	v_mul_f64 v[26:27], v[26:27], v[48:49]
	v_add_f64 v[2:3], v[2:3], v[50:51]
	v_fma_f64 v[26:27], v[28:29], v[46:47], v[26:27]
	v_add_f64 v[50:51], v[26:27], v[14:15]
	ds_read_b128 v[26:29], v25 offset:2048
	s_waitcnt lgkmcnt(0)
	v_mul_f64 v[14:15], v[28:29], v[44:45]
	v_mul_f64 v[44:45], v[26:27], v[44:45]
	v_fma_f64 v[14:15], v[26:27], v[42:43], -v[14:15]
	v_fma_f64 v[42:43], v[28:29], v[42:43], v[44:45]
	v_add_f64 v[44:45], v[8:9], v[14:15]
	v_mul_f64 v[8:9], v[28:29], v[48:49]
	v_mul_f64 v[14:15], v[26:27], v[48:49]
	v_add_f64 v[42:43], v[42:43], v[18:19]
	v_fma_f64 v[8:9], v[26:27], v[46:47], -v[8:9]
	v_fma_f64 v[14:15], v[28:29], v[46:47], v[14:15]
	v_add_f64 v[26:27], v[6:7], v[8:9]
	ds_read_b128 v[6:9], v24 offset:512
	v_add_f64 v[28:29], v[14:15], v[16:17]
	s_waitcnt lgkmcnt(0)
	v_mul_f64 v[14:15], v[32:33], v[8:9]
	v_mul_f64 v[16:17], v[30:31], v[8:9]
	v_fma_f64 v[14:15], v[30:31], v[6:7], -v[14:15]
	v_fma_f64 v[16:17], v[32:33], v[6:7], v[16:17]
	v_add_f64 v[10:11], v[10:11], v[14:15]
	v_add_f64 v[46:47], v[16:17], v[20:21]
	ds_read_b128 v[14:17], v24 offset:768
	s_waitcnt lgkmcnt(0)
	v_mul_f64 v[18:19], v[32:33], v[16:17]
	v_mul_f64 v[20:21], v[30:31], v[16:17]
	v_fma_f64 v[18:19], v[30:31], v[14:15], -v[18:19]
	v_fma_f64 v[20:21], v[32:33], v[14:15], v[20:21]
	v_add_f64 v[2:3], v[2:3], v[18:19]
	v_add_f64 v[30:31], v[20:21], v[50:51]
	ds_read_b128 v[18:21], v25 offset:2064
	s_waitcnt lgkmcnt(0)
	v_mul_f64 v[32:33], v[20:21], v[8:9]
	v_mul_f64 v[8:9], v[18:19], v[8:9]
	v_fma_f64 v[32:33], v[18:19], v[6:7], -v[32:33]
	v_fma_f64 v[6:7], v[20:21], v[6:7], v[8:9]
	v_mul_f64 v[8:9], v[18:19], v[16:17]
	v_add_f64 v[32:33], v[44:45], v[32:33]
	v_add_f64 v[42:43], v[6:7], v[42:43]
	v_mul_f64 v[6:7], v[20:21], v[16:17]
	v_fma_f64 v[8:9], v[20:21], v[14:15], v[8:9]
	v_fma_f64 v[6:7], v[18:19], v[14:15], -v[6:7]
	v_add_f64 v[28:29], v[8:9], v[28:29]
	v_add_f64 v[26:27], v[26:27], v[6:7]
	ds_read_b128 v[6:9], v24 offset:1024
	s_waitcnt lgkmcnt(0)
	v_mul_f64 v[14:15], v[36:37], v[8:9]
	v_mul_f64 v[16:17], v[34:35], v[8:9]
	v_fma_f64 v[14:15], v[34:35], v[6:7], -v[14:15]
	v_fma_f64 v[16:17], v[36:37], v[6:7], v[16:17]
	v_add_f64 v[10:11], v[10:11], v[14:15]
	v_add_f64 v[44:45], v[16:17], v[46:47]
	ds_read_b128 v[14:17], v24 offset:1280
	s_waitcnt lgkmcnt(0)
	v_mul_f64 v[18:19], v[36:37], v[16:17]
	v_mul_f64 v[20:21], v[34:35], v[16:17]
	v_fma_f64 v[18:19], v[34:35], v[14:15], -v[18:19]
	v_fma_f64 v[20:21], v[36:37], v[14:15], v[20:21]
	v_add_f64 v[2:3], v[2:3], v[18:19]
	v_add_f64 v[30:31], v[20:21], v[30:31]
	ds_read_b128 v[18:21], v25 offset:2080
	s_waitcnt lgkmcnt(0)
	v_mul_f64 v[34:35], v[20:21], v[8:9]
	v_mul_f64 v[8:9], v[18:19], v[8:9]
	v_fma_f64 v[34:35], v[18:19], v[6:7], -v[34:35]
	v_fma_f64 v[6:7], v[20:21], v[6:7], v[8:9]
	v_mul_f64 v[8:9], v[18:19], v[16:17]
	v_add_f64 v[32:33], v[32:33], v[34:35]
	v_add_f64 v[34:35], v[6:7], v[42:43]
	v_mul_f64 v[6:7], v[20:21], v[16:17]
	v_fma_f64 v[8:9], v[20:21], v[14:15], v[8:9]
	v_fma_f64 v[6:7], v[18:19], v[14:15], -v[6:7]
	v_add_f64 v[28:29], v[8:9], v[28:29]
	v_add_f64 v[26:27], v[26:27], v[6:7]
	ds_read_b128 v[6:9], v24 offset:1536
	;; [unrolled: 30-line block ×3, first 2 shown]
	ds_read_b128 v[14:17], v24 offset:2048
	s_waitcnt lgkmcnt(0)
	v_mul_f64 v[18:19], v[8:9], v[16:17]
	v_mul_f64 v[20:21], v[6:7], v[16:17]
	v_fma_f64 v[18:19], v[6:7], v[14:15], -v[18:19]
	v_fma_f64 v[20:21], v[8:9], v[14:15], v[20:21]
	v_add_f64 v[10:11], v[10:11], v[18:19]
	v_add_f64 v[36:37], v[20:21], v[36:37]
	ds_read_b128 v[18:21], v24 offset:2304
	s_waitcnt lgkmcnt(0)
	v_mul_f64 v[38:39], v[8:9], v[20:21]
	v_fma_f64 v[38:39], v[6:7], v[18:19], -v[38:39]
	v_mul_f64 v[6:7], v[6:7], v[20:21]
	v_add_f64 v[2:3], v[2:3], v[38:39]
	v_fma_f64 v[6:7], v[8:9], v[18:19], v[6:7]
	v_add_f64 v[30:31], v[6:7], v[30:31]
	ds_read_b128 v[6:9], v25 offset:2112
	s_waitcnt lgkmcnt(0)
	v_mul_f64 v[38:39], v[8:9], v[16:17]
	v_mul_f64 v[16:17], v[6:7], v[16:17]
	v_fma_f64 v[38:39], v[6:7], v[14:15], -v[38:39]
	v_fma_f64 v[14:15], v[8:9], v[14:15], v[16:17]
	v_add_f64 v[32:33], v[32:33], v[38:39]
	v_add_f64 v[34:35], v[14:15], v[34:35]
	v_mul_f64 v[14:15], v[8:9], v[20:21]
	v_fma_f64 v[14:15], v[6:7], v[18:19], -v[14:15]
	v_mul_f64 v[6:7], v[6:7], v[20:21]
	v_add_f64 v[26:27], v[26:27], v[14:15]
	v_fma_f64 v[6:7], v[8:9], v[18:19], v[6:7]
	v_add_f64 v[28:29], v[6:7], v[28:29]
	ds_read_b128 v[6:9], v25 offset:80
	ds_read_b128 v[14:17], v24 offset:2560
	s_waitcnt lgkmcnt(0)
	v_mul_f64 v[18:19], v[8:9], v[16:17]
	v_mul_f64 v[20:21], v[6:7], v[16:17]
	v_fma_f64 v[18:19], v[6:7], v[14:15], -v[18:19]
	v_fma_f64 v[20:21], v[8:9], v[14:15], v[20:21]
	v_add_f64 v[10:11], v[10:11], v[18:19]
	v_add_f64 v[36:37], v[20:21], v[36:37]
	ds_read_b128 v[18:21], v24 offset:2816
	s_waitcnt lgkmcnt(0)
	v_mul_f64 v[38:39], v[8:9], v[20:21]
	v_fma_f64 v[38:39], v[6:7], v[18:19], -v[38:39]
	v_mul_f64 v[6:7], v[6:7], v[20:21]
	v_add_f64 v[2:3], v[2:3], v[38:39]
	v_fma_f64 v[6:7], v[8:9], v[18:19], v[6:7]
	v_add_f64 v[30:31], v[6:7], v[30:31]
	ds_read_b128 v[6:9], v25 offset:2128
	s_waitcnt lgkmcnt(0)
	v_mul_f64 v[38:39], v[8:9], v[16:17]
	v_mul_f64 v[16:17], v[6:7], v[16:17]
	v_fma_f64 v[38:39], v[6:7], v[14:15], -v[38:39]
	v_fma_f64 v[14:15], v[8:9], v[14:15], v[16:17]
	v_add_f64 v[32:33], v[32:33], v[38:39]
	v_add_f64 v[34:35], v[14:15], v[34:35]
	v_mul_f64 v[14:15], v[8:9], v[20:21]
	v_fma_f64 v[14:15], v[6:7], v[18:19], -v[14:15]
	v_mul_f64 v[6:7], v[6:7], v[20:21]
	v_add_f64 v[26:27], v[26:27], v[14:15]
	v_fma_f64 v[6:7], v[8:9], v[18:19], v[6:7]
	v_add_f64 v[28:29], v[6:7], v[28:29]
	ds_read_b128 v[6:9], v25 offset:96
	;; [unrolled: 31-line block ×3, first 2 shown]
	ds_read_b128 v[16:19], v24 offset:3584
	ds_read_b128 v[26:29], v24 offset:3840
	s_waitcnt lgkmcnt(1)
	v_mul_f64 v[14:15], v[8:9], v[18:19]
	v_mul_f64 v[20:21], v[6:7], v[18:19]
	v_fma_f64 v[14:15], v[6:7], v[16:17], -v[14:15]
	v_fma_f64 v[20:21], v[8:9], v[16:17], v[20:21]
	v_add_f64 v[10:11], v[10:11], v[14:15]
	s_waitcnt lgkmcnt(0)
	v_mul_f64 v[14:15], v[8:9], v[28:29]
	v_add_f64 v[20:21], v[20:21], v[36:37]
	v_fma_f64 v[14:15], v[6:7], v[26:27], -v[14:15]
	v_mul_f64 v[6:7], v[6:7], v[28:29]
	v_add_f64 v[2:3], v[2:3], v[14:15]
	v_fma_f64 v[6:7], v[8:9], v[26:27], v[6:7]
	v_add_f64 v[14:15], v[6:7], v[30:31]
	ds_read_b128 v[30:33], v25 offset:2160
	s_waitcnt lgkmcnt(0)
	s_barrier
	v_mul_f64 v[6:7], v[32:33], v[18:19]
	v_mul_f64 v[8:9], v[30:31], v[18:19]
	v_fma_f64 v[6:7], v[30:31], v[16:17], -v[6:7]
	v_fma_f64 v[16:17], v[32:33], v[16:17], v[8:9]
	v_add_f64 v[8:9], v[38:39], v[6:7]
	v_add_f64 v[18:19], v[16:17], v[34:35]
	v_mul_f64 v[6:7], v[32:33], v[28:29]
	v_mul_f64 v[16:17], v[30:31], v[28:29]
	v_fma_f64 v[6:7], v[30:31], v[26:27], -v[6:7]
	v_fma_f64 v[16:17], v[32:33], v[26:27], v[16:17]
	v_add_f64 v[6:7], v[40:41], v[6:7]
	v_add_f64 v[16:17], v[16:17], v[42:43]
	s_cbranch_scc0 .LBB865_2
	s_branch .LBB865_4
.LBB865_3:
	v_mov_b32_e32 v10, 0
	v_mov_b32_e32 v20, 0
	;; [unrolled: 1-line block ×16, first 2 shown]
.LBB865_4:
	s_load_dword s3, s[4:5], 0x40
	v_add_u32_e32 v22, s7, v1
	s_waitcnt lgkmcnt(0)
	v_mov_b32_e32 v1, s11
	v_add_u32_e32 v0, s6, v0
	v_cmp_gt_i32_e32 vcc, s2, v22
	v_mad_i64_i32 v[4:5], s[0:1], v22, s3, 0
	v_lshlrev_b64 v[4:5], 4, v[4:5]
	v_add_co_u32_e64 v4, s[0:1], s10, v4
	v_addc_co_u32_e64 v5, s[0:1], v1, v5, s[0:1]
	v_cmp_le_i32_e64 s[0:1], v0, v22
	s_and_b64 s[0:1], vcc, s[0:1]
	s_and_saveexec_b64 s[4:5], s[0:1]
	s_cbranch_execz .LBB865_6
; %bb.5:
	v_ashrrev_i32_e32 v1, 31, v0
	v_lshlrev_b64 v[12:13], 4, v[0:1]
	v_add_co_u32_e64 v23, s[0:1], v4, v12
	v_addc_co_u32_e64 v24, s[0:1], v5, v13, s[0:1]
	v_cmp_ne_u32_e64 s[0:1], v22, v0
	v_cndmask_b32_e64 v13, 0, v21, s[0:1]
	v_cndmask_b32_e64 v12, 0, v20, s[0:1]
	flat_store_dwordx4 v[23:24], v[10:13]
.LBB865_6:
	s_or_b64 exec, exec, s[4:5]
	v_add_u32_e32 v12, 16, v0
	v_cmp_le_i32_e64 s[0:1], v12, v22
	s_and_b64 s[4:5], vcc, s[0:1]
	s_and_saveexec_b64 s[0:1], s[4:5]
	s_cbranch_execz .LBB865_8
; %bb.7:
	v_ashrrev_i32_e32 v13, 31, v12
	v_lshlrev_b64 v[10:11], 4, v[12:13]
	v_add_co_u32_e32 v10, vcc, v4, v10
	v_addc_co_u32_e32 v11, vcc, v5, v11, vcc
	v_cmp_ne_u32_e32 vcc, v22, v12
	v_cndmask_b32_e32 v5, 0, v15, vcc
	v_cndmask_b32_e32 v4, 0, v14, vcc
	flat_store_dwordx4 v[10:11], v[2:5]
.LBB865_8:
	s_or_b64 exec, exec, s[0:1]
	v_add_u32_e32 v4, 16, v22
	v_mad_i64_i32 v[1:2], s[0:1], v4, s3, 0
	v_mov_b32_e32 v5, s11
	v_cmp_gt_i32_e32 vcc, s2, v4
	v_lshlrev_b64 v[2:3], 4, v[1:2]
	v_add_co_u32_e64 v2, s[0:1], s10, v2
	v_addc_co_u32_e64 v3, s[0:1], v5, v3, s[0:1]
	v_cmp_le_i32_e64 s[0:1], v0, v4
	s_and_b64 s[0:1], vcc, s[0:1]
	s_and_saveexec_b64 s[2:3], s[0:1]
	s_cbranch_execz .LBB865_10
; %bb.9:
	v_ashrrev_i32_e32 v1, 31, v0
	v_lshlrev_b64 v[10:11], 4, v[0:1]
	v_add_co_u32_e64 v13, s[0:1], v2, v10
	v_addc_co_u32_e64 v14, s[0:1], v3, v11, s[0:1]
	v_cmp_ne_u32_e64 s[0:1], v4, v0
	v_cndmask_b32_e64 v11, 0, v19, s[0:1]
	v_cndmask_b32_e64 v10, 0, v18, s[0:1]
	flat_store_dwordx4 v[13:14], v[8:11]
.LBB865_10:
	s_or_b64 exec, exec, s[2:3]
	v_cmp_le_i32_e64 s[0:1], v12, v4
	s_and_b64 s[0:1], vcc, s[0:1]
	s_and_saveexec_b64 s[2:3], s[0:1]
	s_cbranch_execz .LBB865_12
; %bb.11:
	v_ashrrev_i32_e32 v13, 31, v12
	v_lshlrev_b64 v[4:5], 4, v[12:13]
	v_add_co_u32_e32 v1, vcc, v2, v4
	v_addc_co_u32_e32 v2, vcc, v3, v5, vcc
	v_cmp_ne_u32_e32 vcc, v22, v0
	v_cndmask_b32_e32 v9, 0, v17, vcc
	v_cndmask_b32_e32 v8, 0, v16, vcc
	flat_store_dwordx4 v[1:2], v[6:9]
.LBB865_12:
	s_endpgm
	.section	.rodata,"a",@progbits
	.p2align	6, 0x0
	.amdhsa_kernel _ZL37rocblas_syrkx_herkx_restricted_kernelIi19rocblas_complex_numIdELi16ELi32ELi8ELi1ELi0ELb1ELc67ELc85EKPKS1_KPS1_EviT_PT9_S7_lS9_S7_lPT10_S7_li
		.amdhsa_group_segment_fixed_size 8192
		.amdhsa_private_segment_fixed_size 0
		.amdhsa_kernarg_size 84
		.amdhsa_user_sgpr_count 6
		.amdhsa_user_sgpr_private_segment_buffer 1
		.amdhsa_user_sgpr_dispatch_ptr 0
		.amdhsa_user_sgpr_queue_ptr 0
		.amdhsa_user_sgpr_kernarg_segment_ptr 1
		.amdhsa_user_sgpr_dispatch_id 0
		.amdhsa_user_sgpr_flat_scratch_init 0
		.amdhsa_user_sgpr_private_segment_size 0
		.amdhsa_uses_dynamic_stack 0
		.amdhsa_system_sgpr_private_segment_wavefront_offset 0
		.amdhsa_system_sgpr_workgroup_id_x 1
		.amdhsa_system_sgpr_workgroup_id_y 1
		.amdhsa_system_sgpr_workgroup_id_z 1
		.amdhsa_system_sgpr_workgroup_info 0
		.amdhsa_system_vgpr_workitem_id 1
		.amdhsa_next_free_vgpr 52
		.amdhsa_next_free_sgpr 61
		.amdhsa_reserve_vcc 1
		.amdhsa_reserve_flat_scratch 0
		.amdhsa_float_round_mode_32 0
		.amdhsa_float_round_mode_16_64 0
		.amdhsa_float_denorm_mode_32 3
		.amdhsa_float_denorm_mode_16_64 3
		.amdhsa_dx10_clamp 1
		.amdhsa_ieee_mode 1
		.amdhsa_fp16_overflow 0
		.amdhsa_exception_fp_ieee_invalid_op 0
		.amdhsa_exception_fp_denorm_src 0
		.amdhsa_exception_fp_ieee_div_zero 0
		.amdhsa_exception_fp_ieee_overflow 0
		.amdhsa_exception_fp_ieee_underflow 0
		.amdhsa_exception_fp_ieee_inexact 0
		.amdhsa_exception_int_div_zero 0
	.end_amdhsa_kernel
	.section	.text._ZL37rocblas_syrkx_herkx_restricted_kernelIi19rocblas_complex_numIdELi16ELi32ELi8ELi1ELi0ELb1ELc67ELc85EKPKS1_KPS1_EviT_PT9_S7_lS9_S7_lPT10_S7_li,"axG",@progbits,_ZL37rocblas_syrkx_herkx_restricted_kernelIi19rocblas_complex_numIdELi16ELi32ELi8ELi1ELi0ELb1ELc67ELc85EKPKS1_KPS1_EviT_PT9_S7_lS9_S7_lPT10_S7_li,comdat
.Lfunc_end865:
	.size	_ZL37rocblas_syrkx_herkx_restricted_kernelIi19rocblas_complex_numIdELi16ELi32ELi8ELi1ELi0ELb1ELc67ELc85EKPKS1_KPS1_EviT_PT9_S7_lS9_S7_lPT10_S7_li, .Lfunc_end865-_ZL37rocblas_syrkx_herkx_restricted_kernelIi19rocblas_complex_numIdELi16ELi32ELi8ELi1ELi0ELb1ELc67ELc85EKPKS1_KPS1_EviT_PT9_S7_lS9_S7_lPT10_S7_li
                                        ; -- End function
	.set _ZL37rocblas_syrkx_herkx_restricted_kernelIi19rocblas_complex_numIdELi16ELi32ELi8ELi1ELi0ELb1ELc67ELc85EKPKS1_KPS1_EviT_PT9_S7_lS9_S7_lPT10_S7_li.num_vgpr, 52
	.set _ZL37rocblas_syrkx_herkx_restricted_kernelIi19rocblas_complex_numIdELi16ELi32ELi8ELi1ELi0ELb1ELc67ELc85EKPKS1_KPS1_EviT_PT9_S7_lS9_S7_lPT10_S7_li.num_agpr, 0
	.set _ZL37rocblas_syrkx_herkx_restricted_kernelIi19rocblas_complex_numIdELi16ELi32ELi8ELi1ELi0ELb1ELc67ELc85EKPKS1_KPS1_EviT_PT9_S7_lS9_S7_lPT10_S7_li.numbered_sgpr, 17
	.set _ZL37rocblas_syrkx_herkx_restricted_kernelIi19rocblas_complex_numIdELi16ELi32ELi8ELi1ELi0ELb1ELc67ELc85EKPKS1_KPS1_EviT_PT9_S7_lS9_S7_lPT10_S7_li.num_named_barrier, 0
	.set _ZL37rocblas_syrkx_herkx_restricted_kernelIi19rocblas_complex_numIdELi16ELi32ELi8ELi1ELi0ELb1ELc67ELc85EKPKS1_KPS1_EviT_PT9_S7_lS9_S7_lPT10_S7_li.private_seg_size, 0
	.set _ZL37rocblas_syrkx_herkx_restricted_kernelIi19rocblas_complex_numIdELi16ELi32ELi8ELi1ELi0ELb1ELc67ELc85EKPKS1_KPS1_EviT_PT9_S7_lS9_S7_lPT10_S7_li.uses_vcc, 1
	.set _ZL37rocblas_syrkx_herkx_restricted_kernelIi19rocblas_complex_numIdELi16ELi32ELi8ELi1ELi0ELb1ELc67ELc85EKPKS1_KPS1_EviT_PT9_S7_lS9_S7_lPT10_S7_li.uses_flat_scratch, 0
	.set _ZL37rocblas_syrkx_herkx_restricted_kernelIi19rocblas_complex_numIdELi16ELi32ELi8ELi1ELi0ELb1ELc67ELc85EKPKS1_KPS1_EviT_PT9_S7_lS9_S7_lPT10_S7_li.has_dyn_sized_stack, 0
	.set _ZL37rocblas_syrkx_herkx_restricted_kernelIi19rocblas_complex_numIdELi16ELi32ELi8ELi1ELi0ELb1ELc67ELc85EKPKS1_KPS1_EviT_PT9_S7_lS9_S7_lPT10_S7_li.has_recursion, 0
	.set _ZL37rocblas_syrkx_herkx_restricted_kernelIi19rocblas_complex_numIdELi16ELi32ELi8ELi1ELi0ELb1ELc67ELc85EKPKS1_KPS1_EviT_PT9_S7_lS9_S7_lPT10_S7_li.has_indirect_call, 0
	.section	.AMDGPU.csdata,"",@progbits
; Kernel info:
; codeLenInByte = 2800
; TotalNumSgprs: 21
; NumVgprs: 52
; ScratchSize: 0
; MemoryBound: 0
; FloatMode: 240
; IeeeMode: 1
; LDSByteSize: 8192 bytes/workgroup (compile time only)
; SGPRBlocks: 8
; VGPRBlocks: 12
; NumSGPRsForWavesPerEU: 65
; NumVGPRsForWavesPerEU: 52
; Occupancy: 4
; WaveLimiterHint : 1
; COMPUTE_PGM_RSRC2:SCRATCH_EN: 0
; COMPUTE_PGM_RSRC2:USER_SGPR: 6
; COMPUTE_PGM_RSRC2:TRAP_HANDLER: 0
; COMPUTE_PGM_RSRC2:TGID_X_EN: 1
; COMPUTE_PGM_RSRC2:TGID_Y_EN: 1
; COMPUTE_PGM_RSRC2:TGID_Z_EN: 1
; COMPUTE_PGM_RSRC2:TIDIG_COMP_CNT: 1
	.section	.text._ZL37rocblas_syrkx_herkx_restricted_kernelIi19rocblas_complex_numIdELi16ELi32ELi8ELi1ELi0ELb1ELc78ELc85EKPKS1_KPS1_EviT_PT9_S7_lS9_S7_lPT10_S7_li,"axG",@progbits,_ZL37rocblas_syrkx_herkx_restricted_kernelIi19rocblas_complex_numIdELi16ELi32ELi8ELi1ELi0ELb1ELc78ELc85EKPKS1_KPS1_EviT_PT9_S7_lS9_S7_lPT10_S7_li,comdat
	.globl	_ZL37rocblas_syrkx_herkx_restricted_kernelIi19rocblas_complex_numIdELi16ELi32ELi8ELi1ELi0ELb1ELc78ELc85EKPKS1_KPS1_EviT_PT9_S7_lS9_S7_lPT10_S7_li ; -- Begin function _ZL37rocblas_syrkx_herkx_restricted_kernelIi19rocblas_complex_numIdELi16ELi32ELi8ELi1ELi0ELb1ELc78ELc85EKPKS1_KPS1_EviT_PT9_S7_lS9_S7_lPT10_S7_li
	.p2align	8
	.type	_ZL37rocblas_syrkx_herkx_restricted_kernelIi19rocblas_complex_numIdELi16ELi32ELi8ELi1ELi0ELb1ELc78ELc85EKPKS1_KPS1_EviT_PT9_S7_lS9_S7_lPT10_S7_li,@function
_ZL37rocblas_syrkx_herkx_restricted_kernelIi19rocblas_complex_numIdELi16ELi32ELi8ELi1ELi0ELb1ELc78ELc85EKPKS1_KPS1_EviT_PT9_S7_lS9_S7_lPT10_S7_li: ; @_ZL37rocblas_syrkx_herkx_restricted_kernelIi19rocblas_complex_numIdELi16ELi32ELi8ELi1ELi0ELb1ELc78ELc85EKPKS1_KPS1_EviT_PT9_S7_lS9_S7_lPT10_S7_li
; %bb.0:
	s_load_dwordx2 s[10:11], s[4:5], 0x38
	s_load_dwordx2 s[2:3], s[4:5], 0x0
	s_mov_b32 s9, 0
	s_lshl_b64 s[0:1], s[8:9], 3
	s_waitcnt lgkmcnt(0)
	s_add_u32 s10, s10, s0
	s_addc_u32 s11, s11, s1
	s_load_dwordx2 s[10:11], s[10:11], 0x0
	s_lshl_b32 s8, s6, 5
	s_lshl_b32 s12, s7, 5
	s_cmp_lt_i32 s3, 1
	s_cbranch_scc1 .LBB866_3
; %bb.1:
	s_load_dword s6, s[4:5], 0x10
	s_load_dword s14, s[4:5], 0x28
	s_load_dwordx2 s[16:17], s[4:5], 0x20
	s_load_dwordx2 s[18:19], s[4:5], 0x8
	v_lshl_add_u32 v5, v1, 4, v0
	s_waitcnt lgkmcnt(0)
	s_ashr_i32 s7, s6, 31
	s_ashr_i32 s15, s14, 31
	v_lshrrev_b32_e32 v6, 3, v5
	s_add_u32 s18, s18, s0
	s_addc_u32 s19, s19, s1
	s_add_u32 s0, s16, s0
	v_add_u32_e32 v2, s12, v6
	s_addc_u32 s1, s17, s1
	v_and_b32_e32 v4, 7, v0
	v_ashrrev_i32_e32 v3, 31, v2
	s_load_dwordx2 s[16:17], s[0:1], 0x0
	v_mad_i64_i32 v[2:3], s[0:1], s14, v4, v[2:3]
	v_lshlrev_b32_e32 v4, 4, v4
	v_lshrrev_b32_e32 v7, 5, v5
	v_and_b32_e32 v5, 31, v5
	v_lshl_or_b32 v4, v6, 7, v4
	v_add_u32_e32 v23, 0x1000, v4
	v_add_u32_e32 v4, s8, v5
	v_lshlrev_b32_e32 v8, 4, v5
	v_ashrrev_i32_e32 v5, 31, v4
	v_mad_i64_i32 v[4:5], s[0:1], s6, v7, v[4:5]
	s_load_dwordx2 s[18:19], s[18:19], 0x0
	v_mov_b32_e32 v6, 0x1000
	v_lshlrev_b64 v[4:5], 4, v[4:5]
	v_lshl_add_u32 v25, v1, 7, v6
	v_lshlrev_b64 v[2:3], 4, v[2:3]
	s_waitcnt lgkmcnt(0)
	v_mov_b32_e32 v6, s19
	v_add_co_u32_e32 v4, vcc, s18, v4
	v_addc_co_u32_e32 v5, vcc, v6, v5, vcc
	v_mov_b32_e32 v6, s17
	v_add_co_u32_e32 v12, vcc, s16, v2
	v_lshl_or_b32 v22, v7, 9, v8
	s_lshl_b64 s[0:1], s[6:7], 7
	v_addc_co_u32_e32 v13, vcc, v6, v3, vcc
	s_lshl_b64 s[6:7], s[14:15], 7
	v_mov_b32_e32 v16, 0
	v_mov_b32_e32 v6, 0
	v_mov_b32_e32 v18, 0
	v_mov_b32_e32 v8, 0
	v_mov_b32_e32 v14, 0
	v_mov_b32_e32 v20, 0
	v_mov_b32_e32 v2, 0
	v_mov_b32_e32 v10, 0
	v_lshlrev_b32_e32 v24, 4, v0
	v_mov_b32_e32 v17, 0
	v_mov_b32_e32 v26, s1
	;; [unrolled: 1-line block ×10, first 2 shown]
.LBB866_2:                              ; =>This Inner Loop Header: Depth=1
	flat_load_dwordx4 v[28:31], v[4:5]
	v_add_co_u32_e32 v4, vcc, s0, v4
	v_addc_co_u32_e32 v5, vcc, v5, v26, vcc
	s_add_i32 s9, s9, 8
	s_cmp_ge_i32 s9, s3
	s_waitcnt vmcnt(0) lgkmcnt(0)
	ds_write_b128 v22, v[28:31]
	flat_load_dwordx4 v[28:31], v[12:13]
	v_add_co_u32_e32 v12, vcc, s6, v12
	v_addc_co_u32_e32 v13, vcc, v13, v27, vcc
	s_waitcnt vmcnt(0) lgkmcnt(0)
	v_xor_b32_e32 v31, 0x80000000, v31
	ds_write_b128 v23, v[28:31]
	s_waitcnt lgkmcnt(0)
	s_barrier
	ds_read_b128 v[28:31], v25
	ds_read_b128 v[32:35], v25 offset:16
	ds_read_b128 v[36:39], v25 offset:32
	;; [unrolled: 1-line block ×3, first 2 shown]
	ds_read_b128 v[44:47], v24
	s_waitcnt lgkmcnt(0)
	v_mul_f64 v[48:49], v[30:31], v[46:47]
	v_mul_f64 v[50:51], v[28:29], v[46:47]
	v_fma_f64 v[48:49], v[28:29], v[44:45], -v[48:49]
	v_fma_f64 v[50:51], v[30:31], v[44:45], v[50:51]
	v_add_f64 v[10:11], v[10:11], v[48:49]
	v_add_f64 v[20:21], v[50:51], v[20:21]
	ds_read_b128 v[48:51], v24 offset:256
	s_waitcnt lgkmcnt(0)
	v_mul_f64 v[52:53], v[30:31], v[50:51]
	v_fma_f64 v[52:53], v[28:29], v[48:49], -v[52:53]
	v_mul_f64 v[28:29], v[28:29], v[50:51]
	v_add_f64 v[2:3], v[2:3], v[52:53]
	v_fma_f64 v[28:29], v[30:31], v[48:49], v[28:29]
	v_add_f64 v[52:53], v[28:29], v[14:15]
	ds_read_b128 v[28:31], v25 offset:2048
	s_waitcnt lgkmcnt(0)
	v_mul_f64 v[14:15], v[30:31], v[46:47]
	v_mul_f64 v[46:47], v[28:29], v[46:47]
	v_fma_f64 v[14:15], v[28:29], v[44:45], -v[14:15]
	v_fma_f64 v[44:45], v[30:31], v[44:45], v[46:47]
	v_add_f64 v[46:47], v[8:9], v[14:15]
	v_mul_f64 v[8:9], v[30:31], v[50:51]
	v_mul_f64 v[14:15], v[28:29], v[50:51]
	v_add_f64 v[44:45], v[44:45], v[18:19]
	v_fma_f64 v[8:9], v[28:29], v[48:49], -v[8:9]
	v_fma_f64 v[14:15], v[30:31], v[48:49], v[14:15]
	v_add_f64 v[28:29], v[6:7], v[8:9]
	ds_read_b128 v[6:9], v24 offset:512
	v_add_f64 v[30:31], v[14:15], v[16:17]
	s_waitcnt lgkmcnt(0)
	v_mul_f64 v[14:15], v[34:35], v[8:9]
	v_mul_f64 v[16:17], v[32:33], v[8:9]
	v_fma_f64 v[14:15], v[32:33], v[6:7], -v[14:15]
	v_fma_f64 v[16:17], v[34:35], v[6:7], v[16:17]
	v_add_f64 v[10:11], v[10:11], v[14:15]
	v_add_f64 v[48:49], v[16:17], v[20:21]
	ds_read_b128 v[14:17], v24 offset:768
	s_waitcnt lgkmcnt(0)
	v_mul_f64 v[18:19], v[34:35], v[16:17]
	v_mul_f64 v[20:21], v[32:33], v[16:17]
	v_fma_f64 v[18:19], v[32:33], v[14:15], -v[18:19]
	v_fma_f64 v[20:21], v[34:35], v[14:15], v[20:21]
	v_add_f64 v[2:3], v[2:3], v[18:19]
	v_add_f64 v[32:33], v[20:21], v[52:53]
	ds_read_b128 v[18:21], v25 offset:2064
	s_waitcnt lgkmcnt(0)
	v_mul_f64 v[34:35], v[20:21], v[8:9]
	v_mul_f64 v[8:9], v[18:19], v[8:9]
	v_fma_f64 v[34:35], v[18:19], v[6:7], -v[34:35]
	v_fma_f64 v[6:7], v[20:21], v[6:7], v[8:9]
	v_mul_f64 v[8:9], v[18:19], v[16:17]
	v_add_f64 v[34:35], v[46:47], v[34:35]
	v_add_f64 v[44:45], v[6:7], v[44:45]
	v_mul_f64 v[6:7], v[20:21], v[16:17]
	v_fma_f64 v[8:9], v[20:21], v[14:15], v[8:9]
	v_fma_f64 v[6:7], v[18:19], v[14:15], -v[6:7]
	v_add_f64 v[30:31], v[8:9], v[30:31]
	v_add_f64 v[28:29], v[28:29], v[6:7]
	ds_read_b128 v[6:9], v24 offset:1024
	s_waitcnt lgkmcnt(0)
	v_mul_f64 v[14:15], v[38:39], v[8:9]
	v_mul_f64 v[16:17], v[36:37], v[8:9]
	v_fma_f64 v[14:15], v[36:37], v[6:7], -v[14:15]
	v_fma_f64 v[16:17], v[38:39], v[6:7], v[16:17]
	v_add_f64 v[10:11], v[10:11], v[14:15]
	v_add_f64 v[46:47], v[16:17], v[48:49]
	ds_read_b128 v[14:17], v24 offset:1280
	s_waitcnt lgkmcnt(0)
	v_mul_f64 v[18:19], v[38:39], v[16:17]
	v_mul_f64 v[20:21], v[36:37], v[16:17]
	v_fma_f64 v[18:19], v[36:37], v[14:15], -v[18:19]
	v_fma_f64 v[20:21], v[38:39], v[14:15], v[20:21]
	v_add_f64 v[2:3], v[2:3], v[18:19]
	v_add_f64 v[32:33], v[20:21], v[32:33]
	ds_read_b128 v[18:21], v25 offset:2080
	s_waitcnt lgkmcnt(0)
	v_mul_f64 v[36:37], v[20:21], v[8:9]
	v_mul_f64 v[8:9], v[18:19], v[8:9]
	v_fma_f64 v[36:37], v[18:19], v[6:7], -v[36:37]
	v_fma_f64 v[6:7], v[20:21], v[6:7], v[8:9]
	v_mul_f64 v[8:9], v[18:19], v[16:17]
	v_add_f64 v[34:35], v[34:35], v[36:37]
	v_add_f64 v[36:37], v[6:7], v[44:45]
	v_mul_f64 v[6:7], v[20:21], v[16:17]
	v_fma_f64 v[8:9], v[20:21], v[14:15], v[8:9]
	v_fma_f64 v[6:7], v[18:19], v[14:15], -v[6:7]
	v_add_f64 v[30:31], v[8:9], v[30:31]
	v_add_f64 v[28:29], v[28:29], v[6:7]
	ds_read_b128 v[6:9], v24 offset:1536
	;; [unrolled: 30-line block ×3, first 2 shown]
	ds_read_b128 v[14:17], v24 offset:2048
	s_waitcnt lgkmcnt(0)
	v_mul_f64 v[18:19], v[8:9], v[16:17]
	v_mul_f64 v[20:21], v[6:7], v[16:17]
	v_fma_f64 v[18:19], v[6:7], v[14:15], -v[18:19]
	v_fma_f64 v[20:21], v[8:9], v[14:15], v[20:21]
	v_add_f64 v[10:11], v[10:11], v[18:19]
	v_add_f64 v[38:39], v[20:21], v[38:39]
	ds_read_b128 v[18:21], v24 offset:2304
	s_waitcnt lgkmcnt(0)
	v_mul_f64 v[40:41], v[8:9], v[20:21]
	v_fma_f64 v[40:41], v[6:7], v[18:19], -v[40:41]
	v_mul_f64 v[6:7], v[6:7], v[20:21]
	v_add_f64 v[2:3], v[2:3], v[40:41]
	v_fma_f64 v[6:7], v[8:9], v[18:19], v[6:7]
	v_add_f64 v[32:33], v[6:7], v[32:33]
	ds_read_b128 v[6:9], v25 offset:2112
	s_waitcnt lgkmcnt(0)
	v_mul_f64 v[40:41], v[8:9], v[16:17]
	v_mul_f64 v[16:17], v[6:7], v[16:17]
	v_fma_f64 v[40:41], v[6:7], v[14:15], -v[40:41]
	v_fma_f64 v[14:15], v[8:9], v[14:15], v[16:17]
	v_add_f64 v[34:35], v[34:35], v[40:41]
	v_add_f64 v[36:37], v[14:15], v[36:37]
	v_mul_f64 v[14:15], v[8:9], v[20:21]
	v_fma_f64 v[14:15], v[6:7], v[18:19], -v[14:15]
	v_mul_f64 v[6:7], v[6:7], v[20:21]
	v_add_f64 v[28:29], v[28:29], v[14:15]
	v_fma_f64 v[6:7], v[8:9], v[18:19], v[6:7]
	v_add_f64 v[30:31], v[6:7], v[30:31]
	ds_read_b128 v[6:9], v25 offset:80
	ds_read_b128 v[14:17], v24 offset:2560
	s_waitcnt lgkmcnt(0)
	v_mul_f64 v[18:19], v[8:9], v[16:17]
	v_mul_f64 v[20:21], v[6:7], v[16:17]
	v_fma_f64 v[18:19], v[6:7], v[14:15], -v[18:19]
	v_fma_f64 v[20:21], v[8:9], v[14:15], v[20:21]
	v_add_f64 v[10:11], v[10:11], v[18:19]
	v_add_f64 v[38:39], v[20:21], v[38:39]
	ds_read_b128 v[18:21], v24 offset:2816
	s_waitcnt lgkmcnt(0)
	v_mul_f64 v[40:41], v[8:9], v[20:21]
	v_fma_f64 v[40:41], v[6:7], v[18:19], -v[40:41]
	v_mul_f64 v[6:7], v[6:7], v[20:21]
	v_add_f64 v[2:3], v[2:3], v[40:41]
	v_fma_f64 v[6:7], v[8:9], v[18:19], v[6:7]
	v_add_f64 v[32:33], v[6:7], v[32:33]
	ds_read_b128 v[6:9], v25 offset:2128
	s_waitcnt lgkmcnt(0)
	v_mul_f64 v[40:41], v[8:9], v[16:17]
	v_mul_f64 v[16:17], v[6:7], v[16:17]
	v_fma_f64 v[40:41], v[6:7], v[14:15], -v[40:41]
	v_fma_f64 v[14:15], v[8:9], v[14:15], v[16:17]
	v_add_f64 v[34:35], v[34:35], v[40:41]
	v_add_f64 v[36:37], v[14:15], v[36:37]
	v_mul_f64 v[14:15], v[8:9], v[20:21]
	v_fma_f64 v[14:15], v[6:7], v[18:19], -v[14:15]
	v_mul_f64 v[6:7], v[6:7], v[20:21]
	v_add_f64 v[28:29], v[28:29], v[14:15]
	v_fma_f64 v[6:7], v[8:9], v[18:19], v[6:7]
	v_add_f64 v[30:31], v[6:7], v[30:31]
	ds_read_b128 v[6:9], v25 offset:96
	;; [unrolled: 31-line block ×3, first 2 shown]
	ds_read_b128 v[16:19], v24 offset:3584
	ds_read_b128 v[28:31], v24 offset:3840
	s_waitcnt lgkmcnt(1)
	v_mul_f64 v[14:15], v[8:9], v[18:19]
	v_mul_f64 v[20:21], v[6:7], v[18:19]
	v_fma_f64 v[14:15], v[6:7], v[16:17], -v[14:15]
	v_fma_f64 v[20:21], v[8:9], v[16:17], v[20:21]
	v_add_f64 v[10:11], v[10:11], v[14:15]
	s_waitcnt lgkmcnt(0)
	v_mul_f64 v[14:15], v[8:9], v[30:31]
	v_add_f64 v[20:21], v[20:21], v[38:39]
	v_fma_f64 v[14:15], v[6:7], v[28:29], -v[14:15]
	v_mul_f64 v[6:7], v[6:7], v[30:31]
	v_add_f64 v[2:3], v[2:3], v[14:15]
	v_fma_f64 v[6:7], v[8:9], v[28:29], v[6:7]
	v_add_f64 v[14:15], v[6:7], v[32:33]
	ds_read_b128 v[32:35], v25 offset:2160
	s_waitcnt lgkmcnt(0)
	s_barrier
	v_mul_f64 v[6:7], v[34:35], v[18:19]
	v_mul_f64 v[8:9], v[32:33], v[18:19]
	v_fma_f64 v[6:7], v[32:33], v[16:17], -v[6:7]
	v_fma_f64 v[16:17], v[34:35], v[16:17], v[8:9]
	v_add_f64 v[8:9], v[40:41], v[6:7]
	v_add_f64 v[18:19], v[16:17], v[36:37]
	v_mul_f64 v[6:7], v[34:35], v[30:31]
	v_mul_f64 v[16:17], v[32:33], v[30:31]
	v_fma_f64 v[6:7], v[32:33], v[28:29], -v[6:7]
	v_fma_f64 v[16:17], v[34:35], v[28:29], v[16:17]
	v_add_f64 v[6:7], v[42:43], v[6:7]
	v_add_f64 v[16:17], v[16:17], v[44:45]
	s_cbranch_scc0 .LBB866_2
	s_branch .LBB866_4
.LBB866_3:
	v_mov_b32_e32 v10, 0
	v_mov_b32_e32 v20, 0
	;; [unrolled: 1-line block ×16, first 2 shown]
.LBB866_4:
	s_load_dword s3, s[4:5], 0x40
	v_add_u32_e32 v22, s12, v1
	s_waitcnt lgkmcnt(0)
	v_mov_b32_e32 v1, s11
	v_add_u32_e32 v0, s8, v0
	v_cmp_gt_i32_e32 vcc, s2, v22
	v_mad_i64_i32 v[4:5], s[0:1], v22, s3, 0
	v_lshlrev_b64 v[4:5], 4, v[4:5]
	v_add_co_u32_e64 v4, s[0:1], s10, v4
	v_addc_co_u32_e64 v5, s[0:1], v1, v5, s[0:1]
	v_cmp_le_i32_e64 s[0:1], v0, v22
	s_and_b64 s[0:1], vcc, s[0:1]
	s_and_saveexec_b64 s[4:5], s[0:1]
	s_cbranch_execz .LBB866_6
; %bb.5:
	v_ashrrev_i32_e32 v1, 31, v0
	v_lshlrev_b64 v[12:13], 4, v[0:1]
	v_add_co_u32_e64 v23, s[0:1], v4, v12
	v_addc_co_u32_e64 v24, s[0:1], v5, v13, s[0:1]
	v_cmp_ne_u32_e64 s[0:1], v22, v0
	v_cndmask_b32_e64 v13, 0, v21, s[0:1]
	v_cndmask_b32_e64 v12, 0, v20, s[0:1]
	flat_store_dwordx4 v[23:24], v[10:13]
.LBB866_6:
	s_or_b64 exec, exec, s[4:5]
	v_add_u32_e32 v12, 16, v0
	v_cmp_le_i32_e64 s[0:1], v12, v22
	s_and_b64 s[4:5], vcc, s[0:1]
	s_and_saveexec_b64 s[0:1], s[4:5]
	s_cbranch_execz .LBB866_8
; %bb.7:
	v_ashrrev_i32_e32 v13, 31, v12
	v_lshlrev_b64 v[10:11], 4, v[12:13]
	v_add_co_u32_e32 v10, vcc, v4, v10
	v_addc_co_u32_e32 v11, vcc, v5, v11, vcc
	v_cmp_ne_u32_e32 vcc, v22, v12
	v_cndmask_b32_e32 v5, 0, v15, vcc
	v_cndmask_b32_e32 v4, 0, v14, vcc
	flat_store_dwordx4 v[10:11], v[2:5]
.LBB866_8:
	s_or_b64 exec, exec, s[0:1]
	v_add_u32_e32 v4, 16, v22
	v_mad_i64_i32 v[1:2], s[0:1], v4, s3, 0
	v_mov_b32_e32 v5, s11
	v_cmp_gt_i32_e32 vcc, s2, v4
	v_lshlrev_b64 v[2:3], 4, v[1:2]
	v_add_co_u32_e64 v2, s[0:1], s10, v2
	v_addc_co_u32_e64 v3, s[0:1], v5, v3, s[0:1]
	v_cmp_le_i32_e64 s[0:1], v0, v4
	s_and_b64 s[0:1], vcc, s[0:1]
	s_and_saveexec_b64 s[2:3], s[0:1]
	s_cbranch_execz .LBB866_10
; %bb.9:
	v_ashrrev_i32_e32 v1, 31, v0
	v_lshlrev_b64 v[10:11], 4, v[0:1]
	v_add_co_u32_e64 v13, s[0:1], v2, v10
	v_addc_co_u32_e64 v14, s[0:1], v3, v11, s[0:1]
	v_cmp_ne_u32_e64 s[0:1], v4, v0
	v_cndmask_b32_e64 v11, 0, v19, s[0:1]
	v_cndmask_b32_e64 v10, 0, v18, s[0:1]
	flat_store_dwordx4 v[13:14], v[8:11]
.LBB866_10:
	s_or_b64 exec, exec, s[2:3]
	v_cmp_le_i32_e64 s[0:1], v12, v4
	s_and_b64 s[0:1], vcc, s[0:1]
	s_and_saveexec_b64 s[2:3], s[0:1]
	s_cbranch_execz .LBB866_12
; %bb.11:
	v_ashrrev_i32_e32 v13, 31, v12
	v_lshlrev_b64 v[4:5], 4, v[12:13]
	v_add_co_u32_e32 v1, vcc, v2, v4
	v_addc_co_u32_e32 v2, vcc, v3, v5, vcc
	v_cmp_ne_u32_e32 vcc, v22, v0
	v_cndmask_b32_e32 v9, 0, v17, vcc
	v_cndmask_b32_e32 v8, 0, v16, vcc
	flat_store_dwordx4 v[1:2], v[6:9]
.LBB866_12:
	s_endpgm
	.section	.rodata,"a",@progbits
	.p2align	6, 0x0
	.amdhsa_kernel _ZL37rocblas_syrkx_herkx_restricted_kernelIi19rocblas_complex_numIdELi16ELi32ELi8ELi1ELi0ELb1ELc78ELc85EKPKS1_KPS1_EviT_PT9_S7_lS9_S7_lPT10_S7_li
		.amdhsa_group_segment_fixed_size 8192
		.amdhsa_private_segment_fixed_size 0
		.amdhsa_kernarg_size 84
		.amdhsa_user_sgpr_count 6
		.amdhsa_user_sgpr_private_segment_buffer 1
		.amdhsa_user_sgpr_dispatch_ptr 0
		.amdhsa_user_sgpr_queue_ptr 0
		.amdhsa_user_sgpr_kernarg_segment_ptr 1
		.amdhsa_user_sgpr_dispatch_id 0
		.amdhsa_user_sgpr_flat_scratch_init 0
		.amdhsa_user_sgpr_private_segment_size 0
		.amdhsa_uses_dynamic_stack 0
		.amdhsa_system_sgpr_private_segment_wavefront_offset 0
		.amdhsa_system_sgpr_workgroup_id_x 1
		.amdhsa_system_sgpr_workgroup_id_y 1
		.amdhsa_system_sgpr_workgroup_id_z 1
		.amdhsa_system_sgpr_workgroup_info 0
		.amdhsa_system_vgpr_workitem_id 1
		.amdhsa_next_free_vgpr 54
		.amdhsa_next_free_sgpr 61
		.amdhsa_reserve_vcc 1
		.amdhsa_reserve_flat_scratch 0
		.amdhsa_float_round_mode_32 0
		.amdhsa_float_round_mode_16_64 0
		.amdhsa_float_denorm_mode_32 3
		.amdhsa_float_denorm_mode_16_64 3
		.amdhsa_dx10_clamp 1
		.amdhsa_ieee_mode 1
		.amdhsa_fp16_overflow 0
		.amdhsa_exception_fp_ieee_invalid_op 0
		.amdhsa_exception_fp_denorm_src 0
		.amdhsa_exception_fp_ieee_div_zero 0
		.amdhsa_exception_fp_ieee_overflow 0
		.amdhsa_exception_fp_ieee_underflow 0
		.amdhsa_exception_fp_ieee_inexact 0
		.amdhsa_exception_int_div_zero 0
	.end_amdhsa_kernel
	.section	.text._ZL37rocblas_syrkx_herkx_restricted_kernelIi19rocblas_complex_numIdELi16ELi32ELi8ELi1ELi0ELb1ELc78ELc85EKPKS1_KPS1_EviT_PT9_S7_lS9_S7_lPT10_S7_li,"axG",@progbits,_ZL37rocblas_syrkx_herkx_restricted_kernelIi19rocblas_complex_numIdELi16ELi32ELi8ELi1ELi0ELb1ELc78ELc85EKPKS1_KPS1_EviT_PT9_S7_lS9_S7_lPT10_S7_li,comdat
.Lfunc_end866:
	.size	_ZL37rocblas_syrkx_herkx_restricted_kernelIi19rocblas_complex_numIdELi16ELi32ELi8ELi1ELi0ELb1ELc78ELc85EKPKS1_KPS1_EviT_PT9_S7_lS9_S7_lPT10_S7_li, .Lfunc_end866-_ZL37rocblas_syrkx_herkx_restricted_kernelIi19rocblas_complex_numIdELi16ELi32ELi8ELi1ELi0ELb1ELc78ELc85EKPKS1_KPS1_EviT_PT9_S7_lS9_S7_lPT10_S7_li
                                        ; -- End function
	.set _ZL37rocblas_syrkx_herkx_restricted_kernelIi19rocblas_complex_numIdELi16ELi32ELi8ELi1ELi0ELb1ELc78ELc85EKPKS1_KPS1_EviT_PT9_S7_lS9_S7_lPT10_S7_li.num_vgpr, 54
	.set _ZL37rocblas_syrkx_herkx_restricted_kernelIi19rocblas_complex_numIdELi16ELi32ELi8ELi1ELi0ELb1ELc78ELc85EKPKS1_KPS1_EviT_PT9_S7_lS9_S7_lPT10_S7_li.num_agpr, 0
	.set _ZL37rocblas_syrkx_herkx_restricted_kernelIi19rocblas_complex_numIdELi16ELi32ELi8ELi1ELi0ELb1ELc78ELc85EKPKS1_KPS1_EviT_PT9_S7_lS9_S7_lPT10_S7_li.numbered_sgpr, 20
	.set _ZL37rocblas_syrkx_herkx_restricted_kernelIi19rocblas_complex_numIdELi16ELi32ELi8ELi1ELi0ELb1ELc78ELc85EKPKS1_KPS1_EviT_PT9_S7_lS9_S7_lPT10_S7_li.num_named_barrier, 0
	.set _ZL37rocblas_syrkx_herkx_restricted_kernelIi19rocblas_complex_numIdELi16ELi32ELi8ELi1ELi0ELb1ELc78ELc85EKPKS1_KPS1_EviT_PT9_S7_lS9_S7_lPT10_S7_li.private_seg_size, 0
	.set _ZL37rocblas_syrkx_herkx_restricted_kernelIi19rocblas_complex_numIdELi16ELi32ELi8ELi1ELi0ELb1ELc78ELc85EKPKS1_KPS1_EviT_PT9_S7_lS9_S7_lPT10_S7_li.uses_vcc, 1
	.set _ZL37rocblas_syrkx_herkx_restricted_kernelIi19rocblas_complex_numIdELi16ELi32ELi8ELi1ELi0ELb1ELc78ELc85EKPKS1_KPS1_EviT_PT9_S7_lS9_S7_lPT10_S7_li.uses_flat_scratch, 0
	.set _ZL37rocblas_syrkx_herkx_restricted_kernelIi19rocblas_complex_numIdELi16ELi32ELi8ELi1ELi0ELb1ELc78ELc85EKPKS1_KPS1_EviT_PT9_S7_lS9_S7_lPT10_S7_li.has_dyn_sized_stack, 0
	.set _ZL37rocblas_syrkx_herkx_restricted_kernelIi19rocblas_complex_numIdELi16ELi32ELi8ELi1ELi0ELb1ELc78ELc85EKPKS1_KPS1_EviT_PT9_S7_lS9_S7_lPT10_S7_li.has_recursion, 0
	.set _ZL37rocblas_syrkx_herkx_restricted_kernelIi19rocblas_complex_numIdELi16ELi32ELi8ELi1ELi0ELb1ELc78ELc85EKPKS1_KPS1_EviT_PT9_S7_lS9_S7_lPT10_S7_li.has_indirect_call, 0
	.section	.AMDGPU.csdata,"",@progbits
; Kernel info:
; codeLenInByte = 2816
; TotalNumSgprs: 24
; NumVgprs: 54
; ScratchSize: 0
; MemoryBound: 0
; FloatMode: 240
; IeeeMode: 1
; LDSByteSize: 8192 bytes/workgroup (compile time only)
; SGPRBlocks: 8
; VGPRBlocks: 13
; NumSGPRsForWavesPerEU: 65
; NumVGPRsForWavesPerEU: 54
; Occupancy: 4
; WaveLimiterHint : 1
; COMPUTE_PGM_RSRC2:SCRATCH_EN: 0
; COMPUTE_PGM_RSRC2:USER_SGPR: 6
; COMPUTE_PGM_RSRC2:TRAP_HANDLER: 0
; COMPUTE_PGM_RSRC2:TGID_X_EN: 1
; COMPUTE_PGM_RSRC2:TGID_Y_EN: 1
; COMPUTE_PGM_RSRC2:TGID_Z_EN: 1
; COMPUTE_PGM_RSRC2:TIDIG_COMP_CNT: 1
	.section	.text._ZL37rocblas_syrkx_herkx_restricted_kernelIi19rocblas_complex_numIdELi16ELi32ELi8ELin1ELi0ELb1ELc84ELc76EKPKS1_KPS1_EviT_PT9_S7_lS9_S7_lPT10_S7_li,"axG",@progbits,_ZL37rocblas_syrkx_herkx_restricted_kernelIi19rocblas_complex_numIdELi16ELi32ELi8ELin1ELi0ELb1ELc84ELc76EKPKS1_KPS1_EviT_PT9_S7_lS9_S7_lPT10_S7_li,comdat
	.globl	_ZL37rocblas_syrkx_herkx_restricted_kernelIi19rocblas_complex_numIdELi16ELi32ELi8ELin1ELi0ELb1ELc84ELc76EKPKS1_KPS1_EviT_PT9_S7_lS9_S7_lPT10_S7_li ; -- Begin function _ZL37rocblas_syrkx_herkx_restricted_kernelIi19rocblas_complex_numIdELi16ELi32ELi8ELin1ELi0ELb1ELc84ELc76EKPKS1_KPS1_EviT_PT9_S7_lS9_S7_lPT10_S7_li
	.p2align	8
	.type	_ZL37rocblas_syrkx_herkx_restricted_kernelIi19rocblas_complex_numIdELi16ELi32ELi8ELin1ELi0ELb1ELc84ELc76EKPKS1_KPS1_EviT_PT9_S7_lS9_S7_lPT10_S7_li,@function
_ZL37rocblas_syrkx_herkx_restricted_kernelIi19rocblas_complex_numIdELi16ELi32ELi8ELin1ELi0ELb1ELc84ELc76EKPKS1_KPS1_EviT_PT9_S7_lS9_S7_lPT10_S7_li: ; @_ZL37rocblas_syrkx_herkx_restricted_kernelIi19rocblas_complex_numIdELi16ELi32ELi8ELin1ELi0ELb1ELc84ELc76EKPKS1_KPS1_EviT_PT9_S7_lS9_S7_lPT10_S7_li
; %bb.0:
	s_load_dwordx2 s[2:3], s[4:5], 0x38
	s_load_dwordx2 s[12:13], s[4:5], 0x0
	s_mov_b32 s9, 0
	s_lshl_b64 s[0:1], s[8:9], 3
	s_waitcnt lgkmcnt(0)
	s_add_u32 s2, s2, s0
	s_addc_u32 s3, s3, s1
	s_load_dwordx2 s[10:11], s[2:3], 0x0
	s_lshl_b32 s2, s6, 5
	s_lshl_b32 s3, s7, 5
	s_cmp_lt_i32 s13, 1
	s_cbranch_scc1 .LBB867_3
; %bb.1:
	s_load_dwordx2 s[6:7], s[4:5], 0x8
	s_load_dword s8, s[4:5], 0x10
	s_load_dwordx2 s[14:15], s[4:5], 0x20
	s_load_dword s16, s[4:5], 0x28
	v_lshl_add_u32 v4, v1, 4, v0
	s_waitcnt lgkmcnt(0)
	s_add_u32 s6, s6, s0
	s_addc_u32 s7, s7, s1
	v_lshrrev_b32_e32 v8, 3, v4
	s_add_u32 s0, s14, s0
	v_add_u32_e32 v5, s3, v8
	v_and_b32_e32 v2, 7, v0
	v_mov_b32_e32 v3, 0
	s_addc_u32 s1, s15, s1
	v_mad_i64_i32 v[6:7], s[14:15], s16, v5, v[2:3]
	v_lshlrev_b32_e32 v2, 4, v2
	v_and_b32_e32 v9, 31, v4
	v_lshl_or_b32 v2, v8, 7, v2
	v_lshrrev_b32_e32 v4, 5, v4
	v_mov_b32_e32 v5, v3
	v_lshlrev_b32_e32 v3, 4, v9
	v_add_u32_e32 v23, 0x1000, v2
	v_add_u32_e32 v2, s2, v9
	v_lshl_or_b32 v22, v4, 9, v3
	v_mad_i64_i32 v[2:3], s[14:15], s8, v2, v[4:5]
	s_load_dwordx2 s[6:7], s[6:7], 0x0
	v_mov_b32_e32 v4, 0x1000
	s_load_dwordx2 s[0:1], s[0:1], 0x0
	v_lshlrev_b64 v[2:3], 4, v[2:3]
	v_lshl_add_u32 v25, v1, 7, v4
	s_waitcnt lgkmcnt(0)
	v_mov_b32_e32 v5, s7
	v_add_co_u32_e32 v4, vcc, s6, v2
	v_lshlrev_b64 v[12:13], 4, v[6:7]
	v_addc_co_u32_e32 v5, vcc, v5, v3, vcc
	v_mov_b32_e32 v26, s1
	v_mov_b32_e32 v16, 0
	;; [unrolled: 1-line block ×9, first 2 shown]
	v_add_co_u32_e32 v12, vcc, s0, v12
	v_lshlrev_b32_e32 v24, 4, v0
	v_mov_b32_e32 v17, 0
	v_mov_b32_e32 v7, 0
	;; [unrolled: 1-line block ×8, first 2 shown]
	v_addc_co_u32_e32 v13, vcc, v26, v13, vcc
.LBB867_2:                              ; =>This Inner Loop Header: Depth=1
	flat_load_dwordx4 v[26:29], v[4:5]
	v_add_co_u32_e32 v4, vcc, 0x80, v4
	v_addc_co_u32_e32 v5, vcc, 0, v5, vcc
	s_add_i32 s9, s9, 8
	s_cmp_ge_i32 s9, s13
	s_waitcnt vmcnt(0) lgkmcnt(0)
	ds_write_b128 v22, v[26:29]
	flat_load_dwordx4 v[26:29], v[12:13]
	v_add_co_u32_e32 v12, vcc, 0x80, v12
	v_addc_co_u32_e32 v13, vcc, 0, v13, vcc
	s_waitcnt vmcnt(0) lgkmcnt(0)
	ds_write_b128 v23, v[26:29]
	s_waitcnt lgkmcnt(0)
	s_barrier
	ds_read_b128 v[26:29], v25
	ds_read_b128 v[30:33], v25 offset:16
	ds_read_b128 v[34:37], v25 offset:32
	;; [unrolled: 1-line block ×3, first 2 shown]
	ds_read_b128 v[42:45], v24
	s_waitcnt lgkmcnt(0)
	v_mul_f64 v[46:47], v[28:29], v[44:45]
	v_mul_f64 v[48:49], v[26:27], v[44:45]
	v_fma_f64 v[46:47], v[26:27], v[42:43], -v[46:47]
	v_fma_f64 v[48:49], v[28:29], v[42:43], v[48:49]
	v_add_f64 v[10:11], v[10:11], v[46:47]
	v_add_f64 v[20:21], v[48:49], v[20:21]
	ds_read_b128 v[46:49], v24 offset:256
	s_waitcnt lgkmcnt(0)
	v_mul_f64 v[50:51], v[28:29], v[48:49]
	v_fma_f64 v[50:51], v[26:27], v[46:47], -v[50:51]
	v_mul_f64 v[26:27], v[26:27], v[48:49]
	v_add_f64 v[2:3], v[2:3], v[50:51]
	v_fma_f64 v[26:27], v[28:29], v[46:47], v[26:27]
	v_add_f64 v[50:51], v[26:27], v[14:15]
	ds_read_b128 v[26:29], v25 offset:2048
	s_waitcnt lgkmcnt(0)
	v_mul_f64 v[14:15], v[28:29], v[44:45]
	v_mul_f64 v[44:45], v[26:27], v[44:45]
	v_fma_f64 v[14:15], v[26:27], v[42:43], -v[14:15]
	v_fma_f64 v[42:43], v[28:29], v[42:43], v[44:45]
	v_add_f64 v[44:45], v[8:9], v[14:15]
	v_mul_f64 v[8:9], v[28:29], v[48:49]
	v_mul_f64 v[14:15], v[26:27], v[48:49]
	v_add_f64 v[42:43], v[42:43], v[18:19]
	v_fma_f64 v[8:9], v[26:27], v[46:47], -v[8:9]
	v_fma_f64 v[14:15], v[28:29], v[46:47], v[14:15]
	v_add_f64 v[26:27], v[6:7], v[8:9]
	ds_read_b128 v[6:9], v24 offset:512
	v_add_f64 v[28:29], v[14:15], v[16:17]
	s_waitcnt lgkmcnt(0)
	v_mul_f64 v[14:15], v[32:33], v[8:9]
	v_mul_f64 v[16:17], v[30:31], v[8:9]
	v_fma_f64 v[14:15], v[30:31], v[6:7], -v[14:15]
	v_fma_f64 v[16:17], v[32:33], v[6:7], v[16:17]
	v_add_f64 v[10:11], v[10:11], v[14:15]
	v_add_f64 v[46:47], v[16:17], v[20:21]
	ds_read_b128 v[14:17], v24 offset:768
	s_waitcnt lgkmcnt(0)
	v_mul_f64 v[18:19], v[32:33], v[16:17]
	v_mul_f64 v[20:21], v[30:31], v[16:17]
	v_fma_f64 v[18:19], v[30:31], v[14:15], -v[18:19]
	v_fma_f64 v[20:21], v[32:33], v[14:15], v[20:21]
	v_add_f64 v[2:3], v[2:3], v[18:19]
	v_add_f64 v[30:31], v[20:21], v[50:51]
	ds_read_b128 v[18:21], v25 offset:2064
	s_waitcnt lgkmcnt(0)
	v_mul_f64 v[32:33], v[20:21], v[8:9]
	v_mul_f64 v[8:9], v[18:19], v[8:9]
	v_fma_f64 v[32:33], v[18:19], v[6:7], -v[32:33]
	v_fma_f64 v[6:7], v[20:21], v[6:7], v[8:9]
	v_mul_f64 v[8:9], v[18:19], v[16:17]
	v_add_f64 v[32:33], v[44:45], v[32:33]
	v_add_f64 v[42:43], v[6:7], v[42:43]
	v_mul_f64 v[6:7], v[20:21], v[16:17]
	v_fma_f64 v[8:9], v[20:21], v[14:15], v[8:9]
	v_fma_f64 v[6:7], v[18:19], v[14:15], -v[6:7]
	v_add_f64 v[28:29], v[8:9], v[28:29]
	v_add_f64 v[26:27], v[26:27], v[6:7]
	ds_read_b128 v[6:9], v24 offset:1024
	s_waitcnt lgkmcnt(0)
	v_mul_f64 v[14:15], v[36:37], v[8:9]
	v_mul_f64 v[16:17], v[34:35], v[8:9]
	v_fma_f64 v[14:15], v[34:35], v[6:7], -v[14:15]
	v_fma_f64 v[16:17], v[36:37], v[6:7], v[16:17]
	v_add_f64 v[10:11], v[10:11], v[14:15]
	v_add_f64 v[44:45], v[16:17], v[46:47]
	ds_read_b128 v[14:17], v24 offset:1280
	s_waitcnt lgkmcnt(0)
	v_mul_f64 v[18:19], v[36:37], v[16:17]
	v_mul_f64 v[20:21], v[34:35], v[16:17]
	v_fma_f64 v[18:19], v[34:35], v[14:15], -v[18:19]
	v_fma_f64 v[20:21], v[36:37], v[14:15], v[20:21]
	v_add_f64 v[2:3], v[2:3], v[18:19]
	v_add_f64 v[30:31], v[20:21], v[30:31]
	ds_read_b128 v[18:21], v25 offset:2080
	s_waitcnt lgkmcnt(0)
	v_mul_f64 v[34:35], v[20:21], v[8:9]
	v_mul_f64 v[8:9], v[18:19], v[8:9]
	v_fma_f64 v[34:35], v[18:19], v[6:7], -v[34:35]
	v_fma_f64 v[6:7], v[20:21], v[6:7], v[8:9]
	v_mul_f64 v[8:9], v[18:19], v[16:17]
	v_add_f64 v[32:33], v[32:33], v[34:35]
	v_add_f64 v[34:35], v[6:7], v[42:43]
	v_mul_f64 v[6:7], v[20:21], v[16:17]
	v_fma_f64 v[8:9], v[20:21], v[14:15], v[8:9]
	v_fma_f64 v[6:7], v[18:19], v[14:15], -v[6:7]
	v_add_f64 v[28:29], v[8:9], v[28:29]
	v_add_f64 v[26:27], v[26:27], v[6:7]
	ds_read_b128 v[6:9], v24 offset:1536
	;; [unrolled: 30-line block ×3, first 2 shown]
	ds_read_b128 v[14:17], v24 offset:2048
	s_waitcnt lgkmcnt(0)
	v_mul_f64 v[18:19], v[8:9], v[16:17]
	v_mul_f64 v[20:21], v[6:7], v[16:17]
	v_fma_f64 v[18:19], v[6:7], v[14:15], -v[18:19]
	v_fma_f64 v[20:21], v[8:9], v[14:15], v[20:21]
	v_add_f64 v[10:11], v[10:11], v[18:19]
	v_add_f64 v[36:37], v[20:21], v[36:37]
	ds_read_b128 v[18:21], v24 offset:2304
	s_waitcnt lgkmcnt(0)
	v_mul_f64 v[38:39], v[8:9], v[20:21]
	v_fma_f64 v[38:39], v[6:7], v[18:19], -v[38:39]
	v_mul_f64 v[6:7], v[6:7], v[20:21]
	v_add_f64 v[2:3], v[2:3], v[38:39]
	v_fma_f64 v[6:7], v[8:9], v[18:19], v[6:7]
	v_add_f64 v[30:31], v[6:7], v[30:31]
	ds_read_b128 v[6:9], v25 offset:2112
	s_waitcnt lgkmcnt(0)
	v_mul_f64 v[38:39], v[8:9], v[16:17]
	v_mul_f64 v[16:17], v[6:7], v[16:17]
	v_fma_f64 v[38:39], v[6:7], v[14:15], -v[38:39]
	v_fma_f64 v[14:15], v[8:9], v[14:15], v[16:17]
	v_add_f64 v[32:33], v[32:33], v[38:39]
	v_add_f64 v[34:35], v[14:15], v[34:35]
	v_mul_f64 v[14:15], v[8:9], v[20:21]
	v_fma_f64 v[14:15], v[6:7], v[18:19], -v[14:15]
	v_mul_f64 v[6:7], v[6:7], v[20:21]
	v_add_f64 v[26:27], v[26:27], v[14:15]
	v_fma_f64 v[6:7], v[8:9], v[18:19], v[6:7]
	v_add_f64 v[28:29], v[6:7], v[28:29]
	ds_read_b128 v[6:9], v25 offset:80
	ds_read_b128 v[14:17], v24 offset:2560
	s_waitcnt lgkmcnt(0)
	v_mul_f64 v[18:19], v[8:9], v[16:17]
	v_mul_f64 v[20:21], v[6:7], v[16:17]
	v_fma_f64 v[18:19], v[6:7], v[14:15], -v[18:19]
	v_fma_f64 v[20:21], v[8:9], v[14:15], v[20:21]
	v_add_f64 v[10:11], v[10:11], v[18:19]
	v_add_f64 v[36:37], v[20:21], v[36:37]
	ds_read_b128 v[18:21], v24 offset:2816
	s_waitcnt lgkmcnt(0)
	v_mul_f64 v[38:39], v[8:9], v[20:21]
	v_fma_f64 v[38:39], v[6:7], v[18:19], -v[38:39]
	v_mul_f64 v[6:7], v[6:7], v[20:21]
	v_add_f64 v[2:3], v[2:3], v[38:39]
	v_fma_f64 v[6:7], v[8:9], v[18:19], v[6:7]
	v_add_f64 v[30:31], v[6:7], v[30:31]
	ds_read_b128 v[6:9], v25 offset:2128
	s_waitcnt lgkmcnt(0)
	v_mul_f64 v[38:39], v[8:9], v[16:17]
	v_mul_f64 v[16:17], v[6:7], v[16:17]
	v_fma_f64 v[38:39], v[6:7], v[14:15], -v[38:39]
	v_fma_f64 v[14:15], v[8:9], v[14:15], v[16:17]
	v_add_f64 v[32:33], v[32:33], v[38:39]
	v_add_f64 v[34:35], v[14:15], v[34:35]
	v_mul_f64 v[14:15], v[8:9], v[20:21]
	v_fma_f64 v[14:15], v[6:7], v[18:19], -v[14:15]
	v_mul_f64 v[6:7], v[6:7], v[20:21]
	v_add_f64 v[26:27], v[26:27], v[14:15]
	v_fma_f64 v[6:7], v[8:9], v[18:19], v[6:7]
	v_add_f64 v[28:29], v[6:7], v[28:29]
	ds_read_b128 v[6:9], v25 offset:96
	;; [unrolled: 31-line block ×3, first 2 shown]
	ds_read_b128 v[16:19], v24 offset:3584
	ds_read_b128 v[26:29], v24 offset:3840
	s_waitcnt lgkmcnt(1)
	v_mul_f64 v[14:15], v[8:9], v[18:19]
	v_mul_f64 v[20:21], v[6:7], v[18:19]
	v_fma_f64 v[14:15], v[6:7], v[16:17], -v[14:15]
	v_fma_f64 v[20:21], v[8:9], v[16:17], v[20:21]
	v_add_f64 v[10:11], v[10:11], v[14:15]
	s_waitcnt lgkmcnt(0)
	v_mul_f64 v[14:15], v[8:9], v[28:29]
	v_add_f64 v[20:21], v[20:21], v[36:37]
	v_fma_f64 v[14:15], v[6:7], v[26:27], -v[14:15]
	v_mul_f64 v[6:7], v[6:7], v[28:29]
	v_add_f64 v[2:3], v[2:3], v[14:15]
	v_fma_f64 v[6:7], v[8:9], v[26:27], v[6:7]
	v_add_f64 v[14:15], v[6:7], v[30:31]
	ds_read_b128 v[30:33], v25 offset:2160
	s_waitcnt lgkmcnt(0)
	s_barrier
	v_mul_f64 v[6:7], v[32:33], v[18:19]
	v_mul_f64 v[8:9], v[30:31], v[18:19]
	v_fma_f64 v[6:7], v[30:31], v[16:17], -v[6:7]
	v_fma_f64 v[16:17], v[32:33], v[16:17], v[8:9]
	v_add_f64 v[8:9], v[38:39], v[6:7]
	v_add_f64 v[18:19], v[16:17], v[34:35]
	v_mul_f64 v[6:7], v[32:33], v[28:29]
	v_mul_f64 v[16:17], v[30:31], v[28:29]
	v_fma_f64 v[6:7], v[30:31], v[26:27], -v[6:7]
	v_fma_f64 v[16:17], v[32:33], v[26:27], v[16:17]
	v_add_f64 v[6:7], v[40:41], v[6:7]
	v_add_f64 v[16:17], v[16:17], v[42:43]
	s_cbranch_scc0 .LBB867_2
	s_branch .LBB867_4
.LBB867_3:
	v_mov_b32_e32 v10, 0
	v_mov_b32_e32 v20, 0
	;; [unrolled: 1-line block ×16, first 2 shown]
.LBB867_4:
	s_load_dword s6, s[4:5], 0x40
	v_add_u32_e32 v22, s3, v1
	s_waitcnt lgkmcnt(0)
	v_mov_b32_e32 v1, s11
	v_add_u32_e32 v0, s2, v0
	v_mad_i64_i32 v[4:5], s[0:1], v22, s6, 0
	v_cmp_le_i32_e64 s[0:1], v22, v0
	v_lshlrev_b64 v[4:5], 4, v[4:5]
	v_add_co_u32_e32 v4, vcc, s10, v4
	v_addc_co_u32_e32 v5, vcc, v1, v5, vcc
	v_cmp_gt_i32_e32 vcc, s12, v0
	s_and_b64 s[0:1], s[0:1], vcc
	s_and_saveexec_b64 s[2:3], s[0:1]
	s_cbranch_execz .LBB867_6
; %bb.5:
	v_ashrrev_i32_e32 v1, 31, v0
	v_lshlrev_b64 v[12:13], 4, v[0:1]
	v_xor_b32_e32 v11, 0x80000000, v11
	v_add_co_u32_e64 v23, s[0:1], v4, v12
	v_addc_co_u32_e64 v24, s[0:1], v5, v13, s[0:1]
	v_cmp_ne_u32_e64 s[0:1], v22, v0
	v_cndmask_b32_e64 v13, 0, -v21, s[0:1]
	v_cndmask_b32_e64 v12, 0, v20, s[0:1]
	flat_store_dwordx4 v[23:24], v[10:13]
.LBB867_6:
	s_or_b64 exec, exec, s[2:3]
	v_add_u32_e32 v12, 16, v0
	v_cmp_le_i32_e64 s[2:3], v22, v12
	v_cmp_gt_i32_e64 s[0:1], s12, v12
	s_and_b64 s[2:3], s[2:3], s[0:1]
	s_and_saveexec_b64 s[4:5], s[2:3]
	s_cbranch_execz .LBB867_8
; %bb.7:
	v_ashrrev_i32_e32 v13, 31, v12
	v_lshlrev_b64 v[10:11], 4, v[12:13]
	v_xor_b32_e32 v3, 0x80000000, v3
	v_add_co_u32_e64 v10, s[2:3], v4, v10
	v_addc_co_u32_e64 v11, s[2:3], v5, v11, s[2:3]
	v_cmp_ne_u32_e64 s[2:3], v22, v12
	v_cndmask_b32_e64 v5, 0, -v15, s[2:3]
	v_cndmask_b32_e64 v4, 0, v14, s[2:3]
	flat_store_dwordx4 v[10:11], v[2:5]
.LBB867_8:
	s_or_b64 exec, exec, s[4:5]
	v_add_u32_e32 v4, 16, v22
	v_mad_i64_i32 v[1:2], s[2:3], v4, s6, 0
	v_mov_b32_e32 v5, s11
	v_lshlrev_b64 v[2:3], 4, v[1:2]
	v_add_co_u32_e64 v2, s[2:3], s10, v2
	v_addc_co_u32_e64 v3, s[2:3], v5, v3, s[2:3]
	v_cmp_le_i32_e64 s[2:3], v4, v0
	s_and_b64 s[4:5], s[2:3], vcc
	s_and_saveexec_b64 s[2:3], s[4:5]
	s_cbranch_execz .LBB867_10
; %bb.9:
	v_ashrrev_i32_e32 v1, 31, v0
	v_lshlrev_b64 v[10:11], 4, v[0:1]
	v_xor_b32_e32 v9, 0x80000000, v9
	v_add_co_u32_e32 v13, vcc, v2, v10
	v_addc_co_u32_e32 v14, vcc, v3, v11, vcc
	v_cmp_ne_u32_e32 vcc, v4, v0
	v_cndmask_b32_e64 v11, 0, -v19, vcc
	v_cndmask_b32_e32 v10, 0, v18, vcc
	flat_store_dwordx4 v[13:14], v[8:11]
.LBB867_10:
	s_or_b64 exec, exec, s[2:3]
	v_cmp_le_i32_e32 vcc, v4, v12
	s_and_b64 s[0:1], vcc, s[0:1]
	s_and_saveexec_b64 s[2:3], s[0:1]
	s_cbranch_execz .LBB867_12
; %bb.11:
	v_ashrrev_i32_e32 v13, 31, v12
	v_lshlrev_b64 v[4:5], 4, v[12:13]
	v_xor_b32_e32 v7, 0x80000000, v7
	v_add_co_u32_e32 v1, vcc, v2, v4
	v_addc_co_u32_e32 v2, vcc, v3, v5, vcc
	v_cmp_ne_u32_e32 vcc, v22, v0
	v_cndmask_b32_e64 v9, 0, -v17, vcc
	v_cndmask_b32_e32 v8, 0, v16, vcc
	flat_store_dwordx4 v[1:2], v[6:9]
.LBB867_12:
	s_endpgm
	.section	.rodata,"a",@progbits
	.p2align	6, 0x0
	.amdhsa_kernel _ZL37rocblas_syrkx_herkx_restricted_kernelIi19rocblas_complex_numIdELi16ELi32ELi8ELin1ELi0ELb1ELc84ELc76EKPKS1_KPS1_EviT_PT9_S7_lS9_S7_lPT10_S7_li
		.amdhsa_group_segment_fixed_size 8192
		.amdhsa_private_segment_fixed_size 0
		.amdhsa_kernarg_size 84
		.amdhsa_user_sgpr_count 6
		.amdhsa_user_sgpr_private_segment_buffer 1
		.amdhsa_user_sgpr_dispatch_ptr 0
		.amdhsa_user_sgpr_queue_ptr 0
		.amdhsa_user_sgpr_kernarg_segment_ptr 1
		.amdhsa_user_sgpr_dispatch_id 0
		.amdhsa_user_sgpr_flat_scratch_init 0
		.amdhsa_user_sgpr_private_segment_size 0
		.amdhsa_uses_dynamic_stack 0
		.amdhsa_system_sgpr_private_segment_wavefront_offset 0
		.amdhsa_system_sgpr_workgroup_id_x 1
		.amdhsa_system_sgpr_workgroup_id_y 1
		.amdhsa_system_sgpr_workgroup_id_z 1
		.amdhsa_system_sgpr_workgroup_info 0
		.amdhsa_system_vgpr_workitem_id 1
		.amdhsa_next_free_vgpr 52
		.amdhsa_next_free_sgpr 61
		.amdhsa_reserve_vcc 1
		.amdhsa_reserve_flat_scratch 0
		.amdhsa_float_round_mode_32 0
		.amdhsa_float_round_mode_16_64 0
		.amdhsa_float_denorm_mode_32 3
		.amdhsa_float_denorm_mode_16_64 3
		.amdhsa_dx10_clamp 1
		.amdhsa_ieee_mode 1
		.amdhsa_fp16_overflow 0
		.amdhsa_exception_fp_ieee_invalid_op 0
		.amdhsa_exception_fp_denorm_src 0
		.amdhsa_exception_fp_ieee_div_zero 0
		.amdhsa_exception_fp_ieee_overflow 0
		.amdhsa_exception_fp_ieee_underflow 0
		.amdhsa_exception_fp_ieee_inexact 0
		.amdhsa_exception_int_div_zero 0
	.end_amdhsa_kernel
	.section	.text._ZL37rocblas_syrkx_herkx_restricted_kernelIi19rocblas_complex_numIdELi16ELi32ELi8ELin1ELi0ELb1ELc84ELc76EKPKS1_KPS1_EviT_PT9_S7_lS9_S7_lPT10_S7_li,"axG",@progbits,_ZL37rocblas_syrkx_herkx_restricted_kernelIi19rocblas_complex_numIdELi16ELi32ELi8ELin1ELi0ELb1ELc84ELc76EKPKS1_KPS1_EviT_PT9_S7_lS9_S7_lPT10_S7_li,comdat
.Lfunc_end867:
	.size	_ZL37rocblas_syrkx_herkx_restricted_kernelIi19rocblas_complex_numIdELi16ELi32ELi8ELin1ELi0ELb1ELc84ELc76EKPKS1_KPS1_EviT_PT9_S7_lS9_S7_lPT10_S7_li, .Lfunc_end867-_ZL37rocblas_syrkx_herkx_restricted_kernelIi19rocblas_complex_numIdELi16ELi32ELi8ELin1ELi0ELb1ELc84ELc76EKPKS1_KPS1_EviT_PT9_S7_lS9_S7_lPT10_S7_li
                                        ; -- End function
	.set _ZL37rocblas_syrkx_herkx_restricted_kernelIi19rocblas_complex_numIdELi16ELi32ELi8ELin1ELi0ELb1ELc84ELc76EKPKS1_KPS1_EviT_PT9_S7_lS9_S7_lPT10_S7_li.num_vgpr, 52
	.set _ZL37rocblas_syrkx_herkx_restricted_kernelIi19rocblas_complex_numIdELi16ELi32ELi8ELin1ELi0ELb1ELc84ELc76EKPKS1_KPS1_EviT_PT9_S7_lS9_S7_lPT10_S7_li.num_agpr, 0
	.set _ZL37rocblas_syrkx_herkx_restricted_kernelIi19rocblas_complex_numIdELi16ELi32ELi8ELin1ELi0ELb1ELc84ELc76EKPKS1_KPS1_EviT_PT9_S7_lS9_S7_lPT10_S7_li.numbered_sgpr, 17
	.set _ZL37rocblas_syrkx_herkx_restricted_kernelIi19rocblas_complex_numIdELi16ELi32ELi8ELin1ELi0ELb1ELc84ELc76EKPKS1_KPS1_EviT_PT9_S7_lS9_S7_lPT10_S7_li.num_named_barrier, 0
	.set _ZL37rocblas_syrkx_herkx_restricted_kernelIi19rocblas_complex_numIdELi16ELi32ELi8ELin1ELi0ELb1ELc84ELc76EKPKS1_KPS1_EviT_PT9_S7_lS9_S7_lPT10_S7_li.private_seg_size, 0
	.set _ZL37rocblas_syrkx_herkx_restricted_kernelIi19rocblas_complex_numIdELi16ELi32ELi8ELin1ELi0ELb1ELc84ELc76EKPKS1_KPS1_EviT_PT9_S7_lS9_S7_lPT10_S7_li.uses_vcc, 1
	.set _ZL37rocblas_syrkx_herkx_restricted_kernelIi19rocblas_complex_numIdELi16ELi32ELi8ELin1ELi0ELb1ELc84ELc76EKPKS1_KPS1_EviT_PT9_S7_lS9_S7_lPT10_S7_li.uses_flat_scratch, 0
	.set _ZL37rocblas_syrkx_herkx_restricted_kernelIi19rocblas_complex_numIdELi16ELi32ELi8ELin1ELi0ELb1ELc84ELc76EKPKS1_KPS1_EviT_PT9_S7_lS9_S7_lPT10_S7_li.has_dyn_sized_stack, 0
	.set _ZL37rocblas_syrkx_herkx_restricted_kernelIi19rocblas_complex_numIdELi16ELi32ELi8ELin1ELi0ELb1ELc84ELc76EKPKS1_KPS1_EviT_PT9_S7_lS9_S7_lPT10_S7_li.has_recursion, 0
	.set _ZL37rocblas_syrkx_herkx_restricted_kernelIi19rocblas_complex_numIdELi16ELi32ELi8ELin1ELi0ELb1ELc84ELc76EKPKS1_KPS1_EviT_PT9_S7_lS9_S7_lPT10_S7_li.has_indirect_call, 0
	.section	.AMDGPU.csdata,"",@progbits
; Kernel info:
; codeLenInByte = 2824
; TotalNumSgprs: 21
; NumVgprs: 52
; ScratchSize: 0
; MemoryBound: 0
; FloatMode: 240
; IeeeMode: 1
; LDSByteSize: 8192 bytes/workgroup (compile time only)
; SGPRBlocks: 8
; VGPRBlocks: 12
; NumSGPRsForWavesPerEU: 65
; NumVGPRsForWavesPerEU: 52
; Occupancy: 4
; WaveLimiterHint : 1
; COMPUTE_PGM_RSRC2:SCRATCH_EN: 0
; COMPUTE_PGM_RSRC2:USER_SGPR: 6
; COMPUTE_PGM_RSRC2:TRAP_HANDLER: 0
; COMPUTE_PGM_RSRC2:TGID_X_EN: 1
; COMPUTE_PGM_RSRC2:TGID_Y_EN: 1
; COMPUTE_PGM_RSRC2:TGID_Z_EN: 1
; COMPUTE_PGM_RSRC2:TIDIG_COMP_CNT: 1
	.section	.text._ZL37rocblas_syrkx_herkx_restricted_kernelIi19rocblas_complex_numIdELi16ELi32ELi8ELin1ELi0ELb1ELc67ELc76EKPKS1_KPS1_EviT_PT9_S7_lS9_S7_lPT10_S7_li,"axG",@progbits,_ZL37rocblas_syrkx_herkx_restricted_kernelIi19rocblas_complex_numIdELi16ELi32ELi8ELin1ELi0ELb1ELc67ELc76EKPKS1_KPS1_EviT_PT9_S7_lS9_S7_lPT10_S7_li,comdat
	.globl	_ZL37rocblas_syrkx_herkx_restricted_kernelIi19rocblas_complex_numIdELi16ELi32ELi8ELin1ELi0ELb1ELc67ELc76EKPKS1_KPS1_EviT_PT9_S7_lS9_S7_lPT10_S7_li ; -- Begin function _ZL37rocblas_syrkx_herkx_restricted_kernelIi19rocblas_complex_numIdELi16ELi32ELi8ELin1ELi0ELb1ELc67ELc76EKPKS1_KPS1_EviT_PT9_S7_lS9_S7_lPT10_S7_li
	.p2align	8
	.type	_ZL37rocblas_syrkx_herkx_restricted_kernelIi19rocblas_complex_numIdELi16ELi32ELi8ELin1ELi0ELb1ELc67ELc76EKPKS1_KPS1_EviT_PT9_S7_lS9_S7_lPT10_S7_li,@function
_ZL37rocblas_syrkx_herkx_restricted_kernelIi19rocblas_complex_numIdELi16ELi32ELi8ELin1ELi0ELb1ELc67ELc76EKPKS1_KPS1_EviT_PT9_S7_lS9_S7_lPT10_S7_li: ; @_ZL37rocblas_syrkx_herkx_restricted_kernelIi19rocblas_complex_numIdELi16ELi32ELi8ELin1ELi0ELb1ELc67ELc76EKPKS1_KPS1_EviT_PT9_S7_lS9_S7_lPT10_S7_li
; %bb.0:
	s_load_dwordx2 s[2:3], s[4:5], 0x38
	s_load_dwordx2 s[12:13], s[4:5], 0x0
	s_mov_b32 s9, 0
	s_lshl_b64 s[0:1], s[8:9], 3
	s_waitcnt lgkmcnt(0)
	s_add_u32 s2, s2, s0
	s_addc_u32 s3, s3, s1
	s_load_dwordx2 s[10:11], s[2:3], 0x0
	s_lshl_b32 s2, s6, 5
	s_lshl_b32 s3, s7, 5
	s_cmp_lt_i32 s13, 1
	s_cbranch_scc1 .LBB868_3
; %bb.1:
	s_load_dwordx2 s[6:7], s[4:5], 0x8
	s_load_dword s8, s[4:5], 0x10
	s_load_dwordx2 s[14:15], s[4:5], 0x20
	s_load_dword s16, s[4:5], 0x28
	v_lshl_add_u32 v4, v1, 4, v0
	s_waitcnt lgkmcnt(0)
	s_add_u32 s6, s6, s0
	s_addc_u32 s7, s7, s1
	v_lshrrev_b32_e32 v8, 3, v4
	s_add_u32 s0, s14, s0
	v_add_u32_e32 v5, s3, v8
	v_and_b32_e32 v2, 7, v0
	v_mov_b32_e32 v3, 0
	s_addc_u32 s1, s15, s1
	v_mad_i64_i32 v[6:7], s[14:15], s16, v5, v[2:3]
	v_lshlrev_b32_e32 v2, 4, v2
	v_and_b32_e32 v9, 31, v4
	v_lshl_or_b32 v2, v8, 7, v2
	v_lshrrev_b32_e32 v4, 5, v4
	v_mov_b32_e32 v5, v3
	v_lshlrev_b32_e32 v3, 4, v9
	v_add_u32_e32 v23, 0x1000, v2
	v_add_u32_e32 v2, s2, v9
	v_lshl_or_b32 v22, v4, 9, v3
	v_mad_i64_i32 v[2:3], s[14:15], s8, v2, v[4:5]
	s_load_dwordx2 s[6:7], s[6:7], 0x0
	v_mov_b32_e32 v4, 0x1000
	s_load_dwordx2 s[0:1], s[0:1], 0x0
	v_lshlrev_b64 v[2:3], 4, v[2:3]
	v_lshl_add_u32 v25, v1, 7, v4
	s_waitcnt lgkmcnt(0)
	v_mov_b32_e32 v5, s7
	v_add_co_u32_e32 v4, vcc, s6, v2
	v_lshlrev_b64 v[12:13], 4, v[6:7]
	v_addc_co_u32_e32 v5, vcc, v5, v3, vcc
	v_mov_b32_e32 v26, s1
	v_mov_b32_e32 v16, 0
	;; [unrolled: 1-line block ×9, first 2 shown]
	v_add_co_u32_e32 v12, vcc, s0, v12
	v_lshlrev_b32_e32 v24, 4, v0
	v_mov_b32_e32 v17, 0
	v_mov_b32_e32 v7, 0
	;; [unrolled: 1-line block ×8, first 2 shown]
	v_addc_co_u32_e32 v13, vcc, v26, v13, vcc
.LBB868_2:                              ; =>This Inner Loop Header: Depth=1
	flat_load_dwordx4 v[26:29], v[4:5]
	v_add_co_u32_e32 v4, vcc, 0x80, v4
	v_addc_co_u32_e32 v5, vcc, 0, v5, vcc
	s_add_i32 s9, s9, 8
	s_cmp_ge_i32 s9, s13
	s_waitcnt vmcnt(0) lgkmcnt(0)
	v_xor_b32_e32 v29, 0x80000000, v29
	ds_write_b128 v22, v[26:29]
	flat_load_dwordx4 v[26:29], v[12:13]
	v_add_co_u32_e32 v12, vcc, 0x80, v12
	v_addc_co_u32_e32 v13, vcc, 0, v13, vcc
	s_waitcnt vmcnt(0) lgkmcnt(0)
	ds_write_b128 v23, v[26:29]
	s_waitcnt lgkmcnt(0)
	s_barrier
	ds_read_b128 v[26:29], v25
	ds_read_b128 v[30:33], v25 offset:16
	ds_read_b128 v[34:37], v25 offset:32
	;; [unrolled: 1-line block ×3, first 2 shown]
	ds_read_b128 v[42:45], v24
	s_waitcnt lgkmcnt(0)
	v_mul_f64 v[46:47], v[28:29], v[44:45]
	v_mul_f64 v[48:49], v[26:27], v[44:45]
	v_fma_f64 v[46:47], v[26:27], v[42:43], -v[46:47]
	v_fma_f64 v[48:49], v[28:29], v[42:43], v[48:49]
	v_add_f64 v[10:11], v[10:11], v[46:47]
	v_add_f64 v[20:21], v[48:49], v[20:21]
	ds_read_b128 v[46:49], v24 offset:256
	s_waitcnt lgkmcnt(0)
	v_mul_f64 v[50:51], v[28:29], v[48:49]
	v_fma_f64 v[50:51], v[26:27], v[46:47], -v[50:51]
	v_mul_f64 v[26:27], v[26:27], v[48:49]
	v_add_f64 v[2:3], v[2:3], v[50:51]
	v_fma_f64 v[26:27], v[28:29], v[46:47], v[26:27]
	v_add_f64 v[50:51], v[26:27], v[14:15]
	ds_read_b128 v[26:29], v25 offset:2048
	s_waitcnt lgkmcnt(0)
	v_mul_f64 v[14:15], v[28:29], v[44:45]
	v_mul_f64 v[44:45], v[26:27], v[44:45]
	v_fma_f64 v[14:15], v[26:27], v[42:43], -v[14:15]
	v_fma_f64 v[42:43], v[28:29], v[42:43], v[44:45]
	v_add_f64 v[44:45], v[8:9], v[14:15]
	v_mul_f64 v[8:9], v[28:29], v[48:49]
	v_mul_f64 v[14:15], v[26:27], v[48:49]
	v_add_f64 v[42:43], v[42:43], v[18:19]
	v_fma_f64 v[8:9], v[26:27], v[46:47], -v[8:9]
	v_fma_f64 v[14:15], v[28:29], v[46:47], v[14:15]
	v_add_f64 v[26:27], v[6:7], v[8:9]
	ds_read_b128 v[6:9], v24 offset:512
	v_add_f64 v[28:29], v[14:15], v[16:17]
	s_waitcnt lgkmcnt(0)
	v_mul_f64 v[14:15], v[32:33], v[8:9]
	v_mul_f64 v[16:17], v[30:31], v[8:9]
	v_fma_f64 v[14:15], v[30:31], v[6:7], -v[14:15]
	v_fma_f64 v[16:17], v[32:33], v[6:7], v[16:17]
	v_add_f64 v[10:11], v[10:11], v[14:15]
	v_add_f64 v[46:47], v[16:17], v[20:21]
	ds_read_b128 v[14:17], v24 offset:768
	s_waitcnt lgkmcnt(0)
	v_mul_f64 v[18:19], v[32:33], v[16:17]
	v_mul_f64 v[20:21], v[30:31], v[16:17]
	v_fma_f64 v[18:19], v[30:31], v[14:15], -v[18:19]
	v_fma_f64 v[20:21], v[32:33], v[14:15], v[20:21]
	v_add_f64 v[2:3], v[2:3], v[18:19]
	v_add_f64 v[30:31], v[20:21], v[50:51]
	ds_read_b128 v[18:21], v25 offset:2064
	s_waitcnt lgkmcnt(0)
	v_mul_f64 v[32:33], v[20:21], v[8:9]
	v_mul_f64 v[8:9], v[18:19], v[8:9]
	v_fma_f64 v[32:33], v[18:19], v[6:7], -v[32:33]
	v_fma_f64 v[6:7], v[20:21], v[6:7], v[8:9]
	v_mul_f64 v[8:9], v[18:19], v[16:17]
	v_add_f64 v[32:33], v[44:45], v[32:33]
	v_add_f64 v[42:43], v[6:7], v[42:43]
	v_mul_f64 v[6:7], v[20:21], v[16:17]
	v_fma_f64 v[8:9], v[20:21], v[14:15], v[8:9]
	v_fma_f64 v[6:7], v[18:19], v[14:15], -v[6:7]
	v_add_f64 v[28:29], v[8:9], v[28:29]
	v_add_f64 v[26:27], v[26:27], v[6:7]
	ds_read_b128 v[6:9], v24 offset:1024
	s_waitcnt lgkmcnt(0)
	v_mul_f64 v[14:15], v[36:37], v[8:9]
	v_mul_f64 v[16:17], v[34:35], v[8:9]
	v_fma_f64 v[14:15], v[34:35], v[6:7], -v[14:15]
	v_fma_f64 v[16:17], v[36:37], v[6:7], v[16:17]
	v_add_f64 v[10:11], v[10:11], v[14:15]
	v_add_f64 v[44:45], v[16:17], v[46:47]
	ds_read_b128 v[14:17], v24 offset:1280
	s_waitcnt lgkmcnt(0)
	v_mul_f64 v[18:19], v[36:37], v[16:17]
	v_mul_f64 v[20:21], v[34:35], v[16:17]
	v_fma_f64 v[18:19], v[34:35], v[14:15], -v[18:19]
	v_fma_f64 v[20:21], v[36:37], v[14:15], v[20:21]
	v_add_f64 v[2:3], v[2:3], v[18:19]
	v_add_f64 v[30:31], v[20:21], v[30:31]
	ds_read_b128 v[18:21], v25 offset:2080
	s_waitcnt lgkmcnt(0)
	v_mul_f64 v[34:35], v[20:21], v[8:9]
	v_mul_f64 v[8:9], v[18:19], v[8:9]
	v_fma_f64 v[34:35], v[18:19], v[6:7], -v[34:35]
	v_fma_f64 v[6:7], v[20:21], v[6:7], v[8:9]
	v_mul_f64 v[8:9], v[18:19], v[16:17]
	v_add_f64 v[32:33], v[32:33], v[34:35]
	v_add_f64 v[34:35], v[6:7], v[42:43]
	v_mul_f64 v[6:7], v[20:21], v[16:17]
	v_fma_f64 v[8:9], v[20:21], v[14:15], v[8:9]
	v_fma_f64 v[6:7], v[18:19], v[14:15], -v[6:7]
	v_add_f64 v[28:29], v[8:9], v[28:29]
	v_add_f64 v[26:27], v[26:27], v[6:7]
	ds_read_b128 v[6:9], v24 offset:1536
	;; [unrolled: 30-line block ×3, first 2 shown]
	ds_read_b128 v[14:17], v24 offset:2048
	s_waitcnt lgkmcnt(0)
	v_mul_f64 v[18:19], v[8:9], v[16:17]
	v_mul_f64 v[20:21], v[6:7], v[16:17]
	v_fma_f64 v[18:19], v[6:7], v[14:15], -v[18:19]
	v_fma_f64 v[20:21], v[8:9], v[14:15], v[20:21]
	v_add_f64 v[10:11], v[10:11], v[18:19]
	v_add_f64 v[36:37], v[20:21], v[36:37]
	ds_read_b128 v[18:21], v24 offset:2304
	s_waitcnt lgkmcnt(0)
	v_mul_f64 v[38:39], v[8:9], v[20:21]
	v_fma_f64 v[38:39], v[6:7], v[18:19], -v[38:39]
	v_mul_f64 v[6:7], v[6:7], v[20:21]
	v_add_f64 v[2:3], v[2:3], v[38:39]
	v_fma_f64 v[6:7], v[8:9], v[18:19], v[6:7]
	v_add_f64 v[30:31], v[6:7], v[30:31]
	ds_read_b128 v[6:9], v25 offset:2112
	s_waitcnt lgkmcnt(0)
	v_mul_f64 v[38:39], v[8:9], v[16:17]
	v_mul_f64 v[16:17], v[6:7], v[16:17]
	v_fma_f64 v[38:39], v[6:7], v[14:15], -v[38:39]
	v_fma_f64 v[14:15], v[8:9], v[14:15], v[16:17]
	v_add_f64 v[32:33], v[32:33], v[38:39]
	v_add_f64 v[34:35], v[14:15], v[34:35]
	v_mul_f64 v[14:15], v[8:9], v[20:21]
	v_fma_f64 v[14:15], v[6:7], v[18:19], -v[14:15]
	v_mul_f64 v[6:7], v[6:7], v[20:21]
	v_add_f64 v[26:27], v[26:27], v[14:15]
	v_fma_f64 v[6:7], v[8:9], v[18:19], v[6:7]
	v_add_f64 v[28:29], v[6:7], v[28:29]
	ds_read_b128 v[6:9], v25 offset:80
	ds_read_b128 v[14:17], v24 offset:2560
	s_waitcnt lgkmcnt(0)
	v_mul_f64 v[18:19], v[8:9], v[16:17]
	v_mul_f64 v[20:21], v[6:7], v[16:17]
	v_fma_f64 v[18:19], v[6:7], v[14:15], -v[18:19]
	v_fma_f64 v[20:21], v[8:9], v[14:15], v[20:21]
	v_add_f64 v[10:11], v[10:11], v[18:19]
	v_add_f64 v[36:37], v[20:21], v[36:37]
	ds_read_b128 v[18:21], v24 offset:2816
	s_waitcnt lgkmcnt(0)
	v_mul_f64 v[38:39], v[8:9], v[20:21]
	v_fma_f64 v[38:39], v[6:7], v[18:19], -v[38:39]
	v_mul_f64 v[6:7], v[6:7], v[20:21]
	v_add_f64 v[2:3], v[2:3], v[38:39]
	v_fma_f64 v[6:7], v[8:9], v[18:19], v[6:7]
	v_add_f64 v[30:31], v[6:7], v[30:31]
	ds_read_b128 v[6:9], v25 offset:2128
	s_waitcnt lgkmcnt(0)
	v_mul_f64 v[38:39], v[8:9], v[16:17]
	v_mul_f64 v[16:17], v[6:7], v[16:17]
	v_fma_f64 v[38:39], v[6:7], v[14:15], -v[38:39]
	v_fma_f64 v[14:15], v[8:9], v[14:15], v[16:17]
	v_add_f64 v[32:33], v[32:33], v[38:39]
	v_add_f64 v[34:35], v[14:15], v[34:35]
	v_mul_f64 v[14:15], v[8:9], v[20:21]
	v_fma_f64 v[14:15], v[6:7], v[18:19], -v[14:15]
	v_mul_f64 v[6:7], v[6:7], v[20:21]
	v_add_f64 v[26:27], v[26:27], v[14:15]
	v_fma_f64 v[6:7], v[8:9], v[18:19], v[6:7]
	v_add_f64 v[28:29], v[6:7], v[28:29]
	ds_read_b128 v[6:9], v25 offset:96
	;; [unrolled: 31-line block ×3, first 2 shown]
	ds_read_b128 v[16:19], v24 offset:3584
	ds_read_b128 v[26:29], v24 offset:3840
	s_waitcnt lgkmcnt(1)
	v_mul_f64 v[14:15], v[8:9], v[18:19]
	v_mul_f64 v[20:21], v[6:7], v[18:19]
	v_fma_f64 v[14:15], v[6:7], v[16:17], -v[14:15]
	v_fma_f64 v[20:21], v[8:9], v[16:17], v[20:21]
	v_add_f64 v[10:11], v[10:11], v[14:15]
	s_waitcnt lgkmcnt(0)
	v_mul_f64 v[14:15], v[8:9], v[28:29]
	v_add_f64 v[20:21], v[20:21], v[36:37]
	v_fma_f64 v[14:15], v[6:7], v[26:27], -v[14:15]
	v_mul_f64 v[6:7], v[6:7], v[28:29]
	v_add_f64 v[2:3], v[2:3], v[14:15]
	v_fma_f64 v[6:7], v[8:9], v[26:27], v[6:7]
	v_add_f64 v[14:15], v[6:7], v[30:31]
	ds_read_b128 v[30:33], v25 offset:2160
	s_waitcnt lgkmcnt(0)
	s_barrier
	v_mul_f64 v[6:7], v[32:33], v[18:19]
	v_mul_f64 v[8:9], v[30:31], v[18:19]
	v_fma_f64 v[6:7], v[30:31], v[16:17], -v[6:7]
	v_fma_f64 v[16:17], v[32:33], v[16:17], v[8:9]
	v_add_f64 v[8:9], v[38:39], v[6:7]
	v_add_f64 v[18:19], v[16:17], v[34:35]
	v_mul_f64 v[6:7], v[32:33], v[28:29]
	v_mul_f64 v[16:17], v[30:31], v[28:29]
	v_fma_f64 v[6:7], v[30:31], v[26:27], -v[6:7]
	v_fma_f64 v[16:17], v[32:33], v[26:27], v[16:17]
	v_add_f64 v[6:7], v[40:41], v[6:7]
	v_add_f64 v[16:17], v[16:17], v[42:43]
	s_cbranch_scc0 .LBB868_2
	s_branch .LBB868_4
.LBB868_3:
	v_mov_b32_e32 v10, 0
	v_mov_b32_e32 v20, 0
	;; [unrolled: 1-line block ×16, first 2 shown]
.LBB868_4:
	s_load_dword s6, s[4:5], 0x40
	v_add_u32_e32 v22, s3, v1
	s_waitcnt lgkmcnt(0)
	v_mov_b32_e32 v1, s11
	v_add_u32_e32 v0, s2, v0
	v_mad_i64_i32 v[4:5], s[0:1], v22, s6, 0
	v_cmp_le_i32_e64 s[0:1], v22, v0
	v_lshlrev_b64 v[4:5], 4, v[4:5]
	v_add_co_u32_e32 v4, vcc, s10, v4
	v_addc_co_u32_e32 v5, vcc, v1, v5, vcc
	v_cmp_gt_i32_e32 vcc, s12, v0
	s_and_b64 s[0:1], s[0:1], vcc
	s_and_saveexec_b64 s[2:3], s[0:1]
	s_cbranch_execz .LBB868_6
; %bb.5:
	v_ashrrev_i32_e32 v1, 31, v0
	v_lshlrev_b64 v[12:13], 4, v[0:1]
	v_xor_b32_e32 v11, 0x80000000, v11
	v_add_co_u32_e64 v23, s[0:1], v4, v12
	v_addc_co_u32_e64 v24, s[0:1], v5, v13, s[0:1]
	v_cmp_ne_u32_e64 s[0:1], v22, v0
	v_cndmask_b32_e64 v13, 0, -v21, s[0:1]
	v_cndmask_b32_e64 v12, 0, v20, s[0:1]
	flat_store_dwordx4 v[23:24], v[10:13]
.LBB868_6:
	s_or_b64 exec, exec, s[2:3]
	v_add_u32_e32 v12, 16, v0
	v_cmp_le_i32_e64 s[2:3], v22, v12
	v_cmp_gt_i32_e64 s[0:1], s12, v12
	s_and_b64 s[2:3], s[2:3], s[0:1]
	s_and_saveexec_b64 s[4:5], s[2:3]
	s_cbranch_execz .LBB868_8
; %bb.7:
	v_ashrrev_i32_e32 v13, 31, v12
	v_lshlrev_b64 v[10:11], 4, v[12:13]
	v_xor_b32_e32 v3, 0x80000000, v3
	v_add_co_u32_e64 v10, s[2:3], v4, v10
	v_addc_co_u32_e64 v11, s[2:3], v5, v11, s[2:3]
	v_cmp_ne_u32_e64 s[2:3], v22, v12
	v_cndmask_b32_e64 v5, 0, -v15, s[2:3]
	v_cndmask_b32_e64 v4, 0, v14, s[2:3]
	flat_store_dwordx4 v[10:11], v[2:5]
.LBB868_8:
	s_or_b64 exec, exec, s[4:5]
	v_add_u32_e32 v4, 16, v22
	v_mad_i64_i32 v[1:2], s[2:3], v4, s6, 0
	v_mov_b32_e32 v5, s11
	v_lshlrev_b64 v[2:3], 4, v[1:2]
	v_add_co_u32_e64 v2, s[2:3], s10, v2
	v_addc_co_u32_e64 v3, s[2:3], v5, v3, s[2:3]
	v_cmp_le_i32_e64 s[2:3], v4, v0
	s_and_b64 s[4:5], s[2:3], vcc
	s_and_saveexec_b64 s[2:3], s[4:5]
	s_cbranch_execz .LBB868_10
; %bb.9:
	v_ashrrev_i32_e32 v1, 31, v0
	v_lshlrev_b64 v[10:11], 4, v[0:1]
	v_xor_b32_e32 v9, 0x80000000, v9
	v_add_co_u32_e32 v13, vcc, v2, v10
	v_addc_co_u32_e32 v14, vcc, v3, v11, vcc
	v_cmp_ne_u32_e32 vcc, v4, v0
	v_cndmask_b32_e64 v11, 0, -v19, vcc
	v_cndmask_b32_e32 v10, 0, v18, vcc
	flat_store_dwordx4 v[13:14], v[8:11]
.LBB868_10:
	s_or_b64 exec, exec, s[2:3]
	v_cmp_le_i32_e32 vcc, v4, v12
	s_and_b64 s[0:1], vcc, s[0:1]
	s_and_saveexec_b64 s[2:3], s[0:1]
	s_cbranch_execz .LBB868_12
; %bb.11:
	v_ashrrev_i32_e32 v13, 31, v12
	v_lshlrev_b64 v[4:5], 4, v[12:13]
	v_xor_b32_e32 v7, 0x80000000, v7
	v_add_co_u32_e32 v1, vcc, v2, v4
	v_addc_co_u32_e32 v2, vcc, v3, v5, vcc
	v_cmp_ne_u32_e32 vcc, v22, v0
	v_cndmask_b32_e64 v9, 0, -v17, vcc
	v_cndmask_b32_e32 v8, 0, v16, vcc
	flat_store_dwordx4 v[1:2], v[6:9]
.LBB868_12:
	s_endpgm
	.section	.rodata,"a",@progbits
	.p2align	6, 0x0
	.amdhsa_kernel _ZL37rocblas_syrkx_herkx_restricted_kernelIi19rocblas_complex_numIdELi16ELi32ELi8ELin1ELi0ELb1ELc67ELc76EKPKS1_KPS1_EviT_PT9_S7_lS9_S7_lPT10_S7_li
		.amdhsa_group_segment_fixed_size 8192
		.amdhsa_private_segment_fixed_size 0
		.amdhsa_kernarg_size 84
		.amdhsa_user_sgpr_count 6
		.amdhsa_user_sgpr_private_segment_buffer 1
		.amdhsa_user_sgpr_dispatch_ptr 0
		.amdhsa_user_sgpr_queue_ptr 0
		.amdhsa_user_sgpr_kernarg_segment_ptr 1
		.amdhsa_user_sgpr_dispatch_id 0
		.amdhsa_user_sgpr_flat_scratch_init 0
		.amdhsa_user_sgpr_private_segment_size 0
		.amdhsa_uses_dynamic_stack 0
		.amdhsa_system_sgpr_private_segment_wavefront_offset 0
		.amdhsa_system_sgpr_workgroup_id_x 1
		.amdhsa_system_sgpr_workgroup_id_y 1
		.amdhsa_system_sgpr_workgroup_id_z 1
		.amdhsa_system_sgpr_workgroup_info 0
		.amdhsa_system_vgpr_workitem_id 1
		.amdhsa_next_free_vgpr 52
		.amdhsa_next_free_sgpr 61
		.amdhsa_reserve_vcc 1
		.amdhsa_reserve_flat_scratch 0
		.amdhsa_float_round_mode_32 0
		.amdhsa_float_round_mode_16_64 0
		.amdhsa_float_denorm_mode_32 3
		.amdhsa_float_denorm_mode_16_64 3
		.amdhsa_dx10_clamp 1
		.amdhsa_ieee_mode 1
		.amdhsa_fp16_overflow 0
		.amdhsa_exception_fp_ieee_invalid_op 0
		.amdhsa_exception_fp_denorm_src 0
		.amdhsa_exception_fp_ieee_div_zero 0
		.amdhsa_exception_fp_ieee_overflow 0
		.amdhsa_exception_fp_ieee_underflow 0
		.amdhsa_exception_fp_ieee_inexact 0
		.amdhsa_exception_int_div_zero 0
	.end_amdhsa_kernel
	.section	.text._ZL37rocblas_syrkx_herkx_restricted_kernelIi19rocblas_complex_numIdELi16ELi32ELi8ELin1ELi0ELb1ELc67ELc76EKPKS1_KPS1_EviT_PT9_S7_lS9_S7_lPT10_S7_li,"axG",@progbits,_ZL37rocblas_syrkx_herkx_restricted_kernelIi19rocblas_complex_numIdELi16ELi32ELi8ELin1ELi0ELb1ELc67ELc76EKPKS1_KPS1_EviT_PT9_S7_lS9_S7_lPT10_S7_li,comdat
.Lfunc_end868:
	.size	_ZL37rocblas_syrkx_herkx_restricted_kernelIi19rocblas_complex_numIdELi16ELi32ELi8ELin1ELi0ELb1ELc67ELc76EKPKS1_KPS1_EviT_PT9_S7_lS9_S7_lPT10_S7_li, .Lfunc_end868-_ZL37rocblas_syrkx_herkx_restricted_kernelIi19rocblas_complex_numIdELi16ELi32ELi8ELin1ELi0ELb1ELc67ELc76EKPKS1_KPS1_EviT_PT9_S7_lS9_S7_lPT10_S7_li
                                        ; -- End function
	.set _ZL37rocblas_syrkx_herkx_restricted_kernelIi19rocblas_complex_numIdELi16ELi32ELi8ELin1ELi0ELb1ELc67ELc76EKPKS1_KPS1_EviT_PT9_S7_lS9_S7_lPT10_S7_li.num_vgpr, 52
	.set _ZL37rocblas_syrkx_herkx_restricted_kernelIi19rocblas_complex_numIdELi16ELi32ELi8ELin1ELi0ELb1ELc67ELc76EKPKS1_KPS1_EviT_PT9_S7_lS9_S7_lPT10_S7_li.num_agpr, 0
	.set _ZL37rocblas_syrkx_herkx_restricted_kernelIi19rocblas_complex_numIdELi16ELi32ELi8ELin1ELi0ELb1ELc67ELc76EKPKS1_KPS1_EviT_PT9_S7_lS9_S7_lPT10_S7_li.numbered_sgpr, 17
	.set _ZL37rocblas_syrkx_herkx_restricted_kernelIi19rocblas_complex_numIdELi16ELi32ELi8ELin1ELi0ELb1ELc67ELc76EKPKS1_KPS1_EviT_PT9_S7_lS9_S7_lPT10_S7_li.num_named_barrier, 0
	.set _ZL37rocblas_syrkx_herkx_restricted_kernelIi19rocblas_complex_numIdELi16ELi32ELi8ELin1ELi0ELb1ELc67ELc76EKPKS1_KPS1_EviT_PT9_S7_lS9_S7_lPT10_S7_li.private_seg_size, 0
	.set _ZL37rocblas_syrkx_herkx_restricted_kernelIi19rocblas_complex_numIdELi16ELi32ELi8ELin1ELi0ELb1ELc67ELc76EKPKS1_KPS1_EviT_PT9_S7_lS9_S7_lPT10_S7_li.uses_vcc, 1
	.set _ZL37rocblas_syrkx_herkx_restricted_kernelIi19rocblas_complex_numIdELi16ELi32ELi8ELin1ELi0ELb1ELc67ELc76EKPKS1_KPS1_EviT_PT9_S7_lS9_S7_lPT10_S7_li.uses_flat_scratch, 0
	.set _ZL37rocblas_syrkx_herkx_restricted_kernelIi19rocblas_complex_numIdELi16ELi32ELi8ELin1ELi0ELb1ELc67ELc76EKPKS1_KPS1_EviT_PT9_S7_lS9_S7_lPT10_S7_li.has_dyn_sized_stack, 0
	.set _ZL37rocblas_syrkx_herkx_restricted_kernelIi19rocblas_complex_numIdELi16ELi32ELi8ELin1ELi0ELb1ELc67ELc76EKPKS1_KPS1_EviT_PT9_S7_lS9_S7_lPT10_S7_li.has_recursion, 0
	.set _ZL37rocblas_syrkx_herkx_restricted_kernelIi19rocblas_complex_numIdELi16ELi32ELi8ELin1ELi0ELb1ELc67ELc76EKPKS1_KPS1_EviT_PT9_S7_lS9_S7_lPT10_S7_li.has_indirect_call, 0
	.section	.AMDGPU.csdata,"",@progbits
; Kernel info:
; codeLenInByte = 2832
; TotalNumSgprs: 21
; NumVgprs: 52
; ScratchSize: 0
; MemoryBound: 0
; FloatMode: 240
; IeeeMode: 1
; LDSByteSize: 8192 bytes/workgroup (compile time only)
; SGPRBlocks: 8
; VGPRBlocks: 12
; NumSGPRsForWavesPerEU: 65
; NumVGPRsForWavesPerEU: 52
; Occupancy: 4
; WaveLimiterHint : 1
; COMPUTE_PGM_RSRC2:SCRATCH_EN: 0
; COMPUTE_PGM_RSRC2:USER_SGPR: 6
; COMPUTE_PGM_RSRC2:TRAP_HANDLER: 0
; COMPUTE_PGM_RSRC2:TGID_X_EN: 1
; COMPUTE_PGM_RSRC2:TGID_Y_EN: 1
; COMPUTE_PGM_RSRC2:TGID_Z_EN: 1
; COMPUTE_PGM_RSRC2:TIDIG_COMP_CNT: 1
	.section	.text._ZL37rocblas_syrkx_herkx_restricted_kernelIi19rocblas_complex_numIdELi16ELi32ELi8ELin1ELi0ELb1ELc78ELc76EKPKS1_KPS1_EviT_PT9_S7_lS9_S7_lPT10_S7_li,"axG",@progbits,_ZL37rocblas_syrkx_herkx_restricted_kernelIi19rocblas_complex_numIdELi16ELi32ELi8ELin1ELi0ELb1ELc78ELc76EKPKS1_KPS1_EviT_PT9_S7_lS9_S7_lPT10_S7_li,comdat
	.globl	_ZL37rocblas_syrkx_herkx_restricted_kernelIi19rocblas_complex_numIdELi16ELi32ELi8ELin1ELi0ELb1ELc78ELc76EKPKS1_KPS1_EviT_PT9_S7_lS9_S7_lPT10_S7_li ; -- Begin function _ZL37rocblas_syrkx_herkx_restricted_kernelIi19rocblas_complex_numIdELi16ELi32ELi8ELin1ELi0ELb1ELc78ELc76EKPKS1_KPS1_EviT_PT9_S7_lS9_S7_lPT10_S7_li
	.p2align	8
	.type	_ZL37rocblas_syrkx_herkx_restricted_kernelIi19rocblas_complex_numIdELi16ELi32ELi8ELin1ELi0ELb1ELc78ELc76EKPKS1_KPS1_EviT_PT9_S7_lS9_S7_lPT10_S7_li,@function
_ZL37rocblas_syrkx_herkx_restricted_kernelIi19rocblas_complex_numIdELi16ELi32ELi8ELin1ELi0ELb1ELc78ELc76EKPKS1_KPS1_EviT_PT9_S7_lS9_S7_lPT10_S7_li: ; @_ZL37rocblas_syrkx_herkx_restricted_kernelIi19rocblas_complex_numIdELi16ELi32ELi8ELin1ELi0ELb1ELc78ELc76EKPKS1_KPS1_EviT_PT9_S7_lS9_S7_lPT10_S7_li
; %bb.0:
	s_load_dwordx2 s[2:3], s[4:5], 0x38
	s_load_dwordx2 s[12:13], s[4:5], 0x0
	s_mov_b32 s9, 0
	s_lshl_b64 s[0:1], s[8:9], 3
	s_waitcnt lgkmcnt(0)
	s_add_u32 s2, s2, s0
	s_addc_u32 s3, s3, s1
	s_load_dwordx2 s[10:11], s[2:3], 0x0
	s_lshl_b32 s6, s6, 5
	s_lshl_b32 s7, s7, 5
	s_cmp_lt_i32 s13, 1
	s_cbranch_scc1 .LBB869_3
; %bb.1:
	s_load_dword s2, s[4:5], 0x10
	s_load_dword s14, s[4:5], 0x28
	s_load_dwordx2 s[16:17], s[4:5], 0x20
	s_load_dwordx2 s[18:19], s[4:5], 0x8
	v_lshl_add_u32 v5, v1, 4, v0
	s_waitcnt lgkmcnt(0)
	s_ashr_i32 s3, s2, 31
	s_ashr_i32 s15, s14, 31
	v_lshrrev_b32_e32 v6, 3, v5
	s_add_u32 s18, s18, s0
	s_addc_u32 s19, s19, s1
	s_add_u32 s0, s16, s0
	v_add_u32_e32 v2, s7, v6
	s_addc_u32 s1, s17, s1
	v_and_b32_e32 v4, 7, v0
	v_ashrrev_i32_e32 v3, 31, v2
	s_load_dwordx2 s[16:17], s[0:1], 0x0
	v_mad_i64_i32 v[2:3], s[0:1], s14, v4, v[2:3]
	v_lshlrev_b32_e32 v4, 4, v4
	v_lshrrev_b32_e32 v7, 5, v5
	v_and_b32_e32 v5, 31, v5
	v_lshl_or_b32 v4, v6, 7, v4
	v_add_u32_e32 v23, 0x1000, v4
	v_add_u32_e32 v4, s6, v5
	v_lshlrev_b32_e32 v8, 4, v5
	v_ashrrev_i32_e32 v5, 31, v4
	v_mad_i64_i32 v[4:5], s[0:1], s2, v7, v[4:5]
	s_load_dwordx2 s[18:19], s[18:19], 0x0
	v_mov_b32_e32 v6, 0x1000
	v_lshlrev_b64 v[4:5], 4, v[4:5]
	v_lshl_add_u32 v25, v1, 7, v6
	v_lshlrev_b64 v[2:3], 4, v[2:3]
	s_waitcnt lgkmcnt(0)
	v_mov_b32_e32 v6, s19
	v_add_co_u32_e32 v4, vcc, s18, v4
	v_addc_co_u32_e32 v5, vcc, v6, v5, vcc
	v_mov_b32_e32 v6, s17
	v_add_co_u32_e32 v12, vcc, s16, v2
	v_lshl_or_b32 v22, v7, 9, v8
	s_lshl_b64 s[0:1], s[2:3], 7
	v_addc_co_u32_e32 v13, vcc, v6, v3, vcc
	s_lshl_b64 s[2:3], s[14:15], 7
	v_mov_b32_e32 v16, 0
	v_mov_b32_e32 v6, 0
	;; [unrolled: 1-line block ×8, first 2 shown]
	v_lshlrev_b32_e32 v24, 4, v0
	v_mov_b32_e32 v17, 0
	v_mov_b32_e32 v26, s1
	;; [unrolled: 1-line block ×10, first 2 shown]
.LBB869_2:                              ; =>This Inner Loop Header: Depth=1
	flat_load_dwordx4 v[28:31], v[4:5]
	v_add_co_u32_e32 v4, vcc, s0, v4
	v_addc_co_u32_e32 v5, vcc, v5, v26, vcc
	s_add_i32 s9, s9, 8
	s_cmp_ge_i32 s9, s13
	s_waitcnt vmcnt(0) lgkmcnt(0)
	ds_write_b128 v22, v[28:31]
	flat_load_dwordx4 v[28:31], v[12:13]
	v_add_co_u32_e32 v12, vcc, s2, v12
	v_addc_co_u32_e32 v13, vcc, v13, v27, vcc
	s_waitcnt vmcnt(0) lgkmcnt(0)
	v_xor_b32_e32 v31, 0x80000000, v31
	ds_write_b128 v23, v[28:31]
	s_waitcnt lgkmcnt(0)
	s_barrier
	ds_read_b128 v[28:31], v25
	ds_read_b128 v[32:35], v25 offset:16
	ds_read_b128 v[36:39], v25 offset:32
	;; [unrolled: 1-line block ×3, first 2 shown]
	ds_read_b128 v[44:47], v24
	s_waitcnt lgkmcnt(0)
	v_mul_f64 v[48:49], v[30:31], v[46:47]
	v_mul_f64 v[50:51], v[28:29], v[46:47]
	v_fma_f64 v[48:49], v[28:29], v[44:45], -v[48:49]
	v_fma_f64 v[50:51], v[30:31], v[44:45], v[50:51]
	v_add_f64 v[10:11], v[10:11], v[48:49]
	v_add_f64 v[20:21], v[50:51], v[20:21]
	ds_read_b128 v[48:51], v24 offset:256
	s_waitcnt lgkmcnt(0)
	v_mul_f64 v[52:53], v[30:31], v[50:51]
	v_fma_f64 v[52:53], v[28:29], v[48:49], -v[52:53]
	v_mul_f64 v[28:29], v[28:29], v[50:51]
	v_add_f64 v[2:3], v[2:3], v[52:53]
	v_fma_f64 v[28:29], v[30:31], v[48:49], v[28:29]
	v_add_f64 v[52:53], v[28:29], v[14:15]
	ds_read_b128 v[28:31], v25 offset:2048
	s_waitcnt lgkmcnt(0)
	v_mul_f64 v[14:15], v[30:31], v[46:47]
	v_mul_f64 v[46:47], v[28:29], v[46:47]
	v_fma_f64 v[14:15], v[28:29], v[44:45], -v[14:15]
	v_fma_f64 v[44:45], v[30:31], v[44:45], v[46:47]
	v_add_f64 v[46:47], v[8:9], v[14:15]
	v_mul_f64 v[8:9], v[30:31], v[50:51]
	v_mul_f64 v[14:15], v[28:29], v[50:51]
	v_add_f64 v[44:45], v[44:45], v[18:19]
	v_fma_f64 v[8:9], v[28:29], v[48:49], -v[8:9]
	v_fma_f64 v[14:15], v[30:31], v[48:49], v[14:15]
	v_add_f64 v[28:29], v[6:7], v[8:9]
	ds_read_b128 v[6:9], v24 offset:512
	v_add_f64 v[30:31], v[14:15], v[16:17]
	s_waitcnt lgkmcnt(0)
	v_mul_f64 v[14:15], v[34:35], v[8:9]
	v_mul_f64 v[16:17], v[32:33], v[8:9]
	v_fma_f64 v[14:15], v[32:33], v[6:7], -v[14:15]
	v_fma_f64 v[16:17], v[34:35], v[6:7], v[16:17]
	v_add_f64 v[10:11], v[10:11], v[14:15]
	v_add_f64 v[48:49], v[16:17], v[20:21]
	ds_read_b128 v[14:17], v24 offset:768
	s_waitcnt lgkmcnt(0)
	v_mul_f64 v[18:19], v[34:35], v[16:17]
	v_mul_f64 v[20:21], v[32:33], v[16:17]
	v_fma_f64 v[18:19], v[32:33], v[14:15], -v[18:19]
	v_fma_f64 v[20:21], v[34:35], v[14:15], v[20:21]
	v_add_f64 v[2:3], v[2:3], v[18:19]
	v_add_f64 v[32:33], v[20:21], v[52:53]
	ds_read_b128 v[18:21], v25 offset:2064
	s_waitcnt lgkmcnt(0)
	v_mul_f64 v[34:35], v[20:21], v[8:9]
	v_mul_f64 v[8:9], v[18:19], v[8:9]
	v_fma_f64 v[34:35], v[18:19], v[6:7], -v[34:35]
	v_fma_f64 v[6:7], v[20:21], v[6:7], v[8:9]
	v_mul_f64 v[8:9], v[18:19], v[16:17]
	v_add_f64 v[34:35], v[46:47], v[34:35]
	v_add_f64 v[44:45], v[6:7], v[44:45]
	v_mul_f64 v[6:7], v[20:21], v[16:17]
	v_fma_f64 v[8:9], v[20:21], v[14:15], v[8:9]
	v_fma_f64 v[6:7], v[18:19], v[14:15], -v[6:7]
	v_add_f64 v[30:31], v[8:9], v[30:31]
	v_add_f64 v[28:29], v[28:29], v[6:7]
	ds_read_b128 v[6:9], v24 offset:1024
	s_waitcnt lgkmcnt(0)
	v_mul_f64 v[14:15], v[38:39], v[8:9]
	v_mul_f64 v[16:17], v[36:37], v[8:9]
	v_fma_f64 v[14:15], v[36:37], v[6:7], -v[14:15]
	v_fma_f64 v[16:17], v[38:39], v[6:7], v[16:17]
	v_add_f64 v[10:11], v[10:11], v[14:15]
	v_add_f64 v[46:47], v[16:17], v[48:49]
	ds_read_b128 v[14:17], v24 offset:1280
	s_waitcnt lgkmcnt(0)
	v_mul_f64 v[18:19], v[38:39], v[16:17]
	v_mul_f64 v[20:21], v[36:37], v[16:17]
	v_fma_f64 v[18:19], v[36:37], v[14:15], -v[18:19]
	v_fma_f64 v[20:21], v[38:39], v[14:15], v[20:21]
	v_add_f64 v[2:3], v[2:3], v[18:19]
	v_add_f64 v[32:33], v[20:21], v[32:33]
	ds_read_b128 v[18:21], v25 offset:2080
	s_waitcnt lgkmcnt(0)
	v_mul_f64 v[36:37], v[20:21], v[8:9]
	v_mul_f64 v[8:9], v[18:19], v[8:9]
	v_fma_f64 v[36:37], v[18:19], v[6:7], -v[36:37]
	v_fma_f64 v[6:7], v[20:21], v[6:7], v[8:9]
	v_mul_f64 v[8:9], v[18:19], v[16:17]
	v_add_f64 v[34:35], v[34:35], v[36:37]
	v_add_f64 v[36:37], v[6:7], v[44:45]
	v_mul_f64 v[6:7], v[20:21], v[16:17]
	v_fma_f64 v[8:9], v[20:21], v[14:15], v[8:9]
	v_fma_f64 v[6:7], v[18:19], v[14:15], -v[6:7]
	v_add_f64 v[30:31], v[8:9], v[30:31]
	v_add_f64 v[28:29], v[28:29], v[6:7]
	ds_read_b128 v[6:9], v24 offset:1536
	;; [unrolled: 30-line block ×3, first 2 shown]
	ds_read_b128 v[14:17], v24 offset:2048
	s_waitcnt lgkmcnt(0)
	v_mul_f64 v[18:19], v[8:9], v[16:17]
	v_mul_f64 v[20:21], v[6:7], v[16:17]
	v_fma_f64 v[18:19], v[6:7], v[14:15], -v[18:19]
	v_fma_f64 v[20:21], v[8:9], v[14:15], v[20:21]
	v_add_f64 v[10:11], v[10:11], v[18:19]
	v_add_f64 v[38:39], v[20:21], v[38:39]
	ds_read_b128 v[18:21], v24 offset:2304
	s_waitcnt lgkmcnt(0)
	v_mul_f64 v[40:41], v[8:9], v[20:21]
	v_fma_f64 v[40:41], v[6:7], v[18:19], -v[40:41]
	v_mul_f64 v[6:7], v[6:7], v[20:21]
	v_add_f64 v[2:3], v[2:3], v[40:41]
	v_fma_f64 v[6:7], v[8:9], v[18:19], v[6:7]
	v_add_f64 v[32:33], v[6:7], v[32:33]
	ds_read_b128 v[6:9], v25 offset:2112
	s_waitcnt lgkmcnt(0)
	v_mul_f64 v[40:41], v[8:9], v[16:17]
	v_mul_f64 v[16:17], v[6:7], v[16:17]
	v_fma_f64 v[40:41], v[6:7], v[14:15], -v[40:41]
	v_fma_f64 v[14:15], v[8:9], v[14:15], v[16:17]
	v_add_f64 v[34:35], v[34:35], v[40:41]
	v_add_f64 v[36:37], v[14:15], v[36:37]
	v_mul_f64 v[14:15], v[8:9], v[20:21]
	v_fma_f64 v[14:15], v[6:7], v[18:19], -v[14:15]
	v_mul_f64 v[6:7], v[6:7], v[20:21]
	v_add_f64 v[28:29], v[28:29], v[14:15]
	v_fma_f64 v[6:7], v[8:9], v[18:19], v[6:7]
	v_add_f64 v[30:31], v[6:7], v[30:31]
	ds_read_b128 v[6:9], v25 offset:80
	ds_read_b128 v[14:17], v24 offset:2560
	s_waitcnt lgkmcnt(0)
	v_mul_f64 v[18:19], v[8:9], v[16:17]
	v_mul_f64 v[20:21], v[6:7], v[16:17]
	v_fma_f64 v[18:19], v[6:7], v[14:15], -v[18:19]
	v_fma_f64 v[20:21], v[8:9], v[14:15], v[20:21]
	v_add_f64 v[10:11], v[10:11], v[18:19]
	v_add_f64 v[38:39], v[20:21], v[38:39]
	ds_read_b128 v[18:21], v24 offset:2816
	s_waitcnt lgkmcnt(0)
	v_mul_f64 v[40:41], v[8:9], v[20:21]
	v_fma_f64 v[40:41], v[6:7], v[18:19], -v[40:41]
	v_mul_f64 v[6:7], v[6:7], v[20:21]
	v_add_f64 v[2:3], v[2:3], v[40:41]
	v_fma_f64 v[6:7], v[8:9], v[18:19], v[6:7]
	v_add_f64 v[32:33], v[6:7], v[32:33]
	ds_read_b128 v[6:9], v25 offset:2128
	s_waitcnt lgkmcnt(0)
	v_mul_f64 v[40:41], v[8:9], v[16:17]
	v_mul_f64 v[16:17], v[6:7], v[16:17]
	v_fma_f64 v[40:41], v[6:7], v[14:15], -v[40:41]
	v_fma_f64 v[14:15], v[8:9], v[14:15], v[16:17]
	v_add_f64 v[34:35], v[34:35], v[40:41]
	v_add_f64 v[36:37], v[14:15], v[36:37]
	v_mul_f64 v[14:15], v[8:9], v[20:21]
	v_fma_f64 v[14:15], v[6:7], v[18:19], -v[14:15]
	v_mul_f64 v[6:7], v[6:7], v[20:21]
	v_add_f64 v[28:29], v[28:29], v[14:15]
	v_fma_f64 v[6:7], v[8:9], v[18:19], v[6:7]
	v_add_f64 v[30:31], v[6:7], v[30:31]
	ds_read_b128 v[6:9], v25 offset:96
	ds_read_b128 v[14:17], v24 offset:3072
	s_waitcnt lgkmcnt(0)
	v_mul_f64 v[18:19], v[8:9], v[16:17]
	v_mul_f64 v[20:21], v[6:7], v[16:17]
	v_fma_f64 v[18:19], v[6:7], v[14:15], -v[18:19]
	v_fma_f64 v[20:21], v[8:9], v[14:15], v[20:21]
	v_add_f64 v[10:11], v[10:11], v[18:19]
	v_add_f64 v[38:39], v[20:21], v[38:39]
	ds_read_b128 v[18:21], v24 offset:3328
	s_waitcnt lgkmcnt(0)
	v_mul_f64 v[40:41], v[8:9], v[20:21]
	v_fma_f64 v[40:41], v[6:7], v[18:19], -v[40:41]
	v_mul_f64 v[6:7], v[6:7], v[20:21]
	v_add_f64 v[2:3], v[2:3], v[40:41]
	v_fma_f64 v[6:7], v[8:9], v[18:19], v[6:7]
	v_add_f64 v[32:33], v[6:7], v[32:33]
	ds_read_b128 v[6:9], v25 offset:2144
	s_waitcnt lgkmcnt(0)
	v_mul_f64 v[40:41], v[8:9], v[16:17]
	v_mul_f64 v[16:17], v[6:7], v[16:17]
	v_fma_f64 v[40:41], v[6:7], v[14:15], -v[40:41]
	v_fma_f64 v[14:15], v[8:9], v[14:15], v[16:17]
	v_add_f64 v[40:41], v[34:35], v[40:41]
	v_add_f64 v[36:37], v[14:15], v[36:37]
	v_mul_f64 v[14:15], v[8:9], v[20:21]
	v_fma_f64 v[14:15], v[6:7], v[18:19], -v[14:15]
	v_mul_f64 v[6:7], v[6:7], v[20:21]
	v_add_f64 v[42:43], v[28:29], v[14:15]
	v_fma_f64 v[6:7], v[8:9], v[18:19], v[6:7]
	v_add_f64 v[44:45], v[6:7], v[30:31]
	ds_read_b128 v[6:9], v25 offset:112
	ds_read_b128 v[16:19], v24 offset:3584
	ds_read_b128 v[28:31], v24 offset:3840
	s_waitcnt lgkmcnt(1)
	v_mul_f64 v[14:15], v[8:9], v[18:19]
	v_mul_f64 v[20:21], v[6:7], v[18:19]
	v_fma_f64 v[14:15], v[6:7], v[16:17], -v[14:15]
	v_fma_f64 v[20:21], v[8:9], v[16:17], v[20:21]
	v_add_f64 v[10:11], v[10:11], v[14:15]
	s_waitcnt lgkmcnt(0)
	v_mul_f64 v[14:15], v[8:9], v[30:31]
	v_add_f64 v[20:21], v[20:21], v[38:39]
	v_fma_f64 v[14:15], v[6:7], v[28:29], -v[14:15]
	v_mul_f64 v[6:7], v[6:7], v[30:31]
	v_add_f64 v[2:3], v[2:3], v[14:15]
	v_fma_f64 v[6:7], v[8:9], v[28:29], v[6:7]
	v_add_f64 v[14:15], v[6:7], v[32:33]
	ds_read_b128 v[32:35], v25 offset:2160
	s_waitcnt lgkmcnt(0)
	s_barrier
	v_mul_f64 v[6:7], v[34:35], v[18:19]
	v_mul_f64 v[8:9], v[32:33], v[18:19]
	v_fma_f64 v[6:7], v[32:33], v[16:17], -v[6:7]
	v_fma_f64 v[16:17], v[34:35], v[16:17], v[8:9]
	v_add_f64 v[8:9], v[40:41], v[6:7]
	v_add_f64 v[18:19], v[16:17], v[36:37]
	v_mul_f64 v[6:7], v[34:35], v[30:31]
	v_mul_f64 v[16:17], v[32:33], v[30:31]
	v_fma_f64 v[6:7], v[32:33], v[28:29], -v[6:7]
	v_fma_f64 v[16:17], v[34:35], v[28:29], v[16:17]
	v_add_f64 v[6:7], v[42:43], v[6:7]
	v_add_f64 v[16:17], v[16:17], v[44:45]
	s_cbranch_scc0 .LBB869_2
	s_branch .LBB869_4
.LBB869_3:
	v_mov_b32_e32 v10, 0
	v_mov_b32_e32 v20, 0
	;; [unrolled: 1-line block ×16, first 2 shown]
.LBB869_4:
	s_load_dword s8, s[4:5], 0x40
	v_add_u32_e32 v22, s7, v1
	s_waitcnt lgkmcnt(0)
	v_mov_b32_e32 v1, s11
	v_add_u32_e32 v0, s6, v0
	v_mad_i64_i32 v[4:5], s[0:1], v22, s8, 0
	v_cmp_le_i32_e64 s[0:1], v22, v0
	v_lshlrev_b64 v[4:5], 4, v[4:5]
	v_add_co_u32_e32 v4, vcc, s10, v4
	v_addc_co_u32_e32 v5, vcc, v1, v5, vcc
	v_cmp_gt_i32_e32 vcc, s12, v0
	s_and_b64 s[0:1], s[0:1], vcc
	s_and_saveexec_b64 s[2:3], s[0:1]
	s_cbranch_execz .LBB869_6
; %bb.5:
	v_ashrrev_i32_e32 v1, 31, v0
	v_lshlrev_b64 v[12:13], 4, v[0:1]
	v_xor_b32_e32 v11, 0x80000000, v11
	v_add_co_u32_e64 v23, s[0:1], v4, v12
	v_addc_co_u32_e64 v24, s[0:1], v5, v13, s[0:1]
	v_cmp_ne_u32_e64 s[0:1], v22, v0
	v_cndmask_b32_e64 v13, 0, -v21, s[0:1]
	v_cndmask_b32_e64 v12, 0, v20, s[0:1]
	flat_store_dwordx4 v[23:24], v[10:13]
.LBB869_6:
	s_or_b64 exec, exec, s[2:3]
	v_add_u32_e32 v12, 16, v0
	v_cmp_le_i32_e64 s[2:3], v22, v12
	v_cmp_gt_i32_e64 s[0:1], s12, v12
	s_and_b64 s[2:3], s[2:3], s[0:1]
	s_and_saveexec_b64 s[4:5], s[2:3]
	s_cbranch_execz .LBB869_8
; %bb.7:
	v_ashrrev_i32_e32 v13, 31, v12
	v_lshlrev_b64 v[10:11], 4, v[12:13]
	v_xor_b32_e32 v3, 0x80000000, v3
	v_add_co_u32_e64 v10, s[2:3], v4, v10
	v_addc_co_u32_e64 v11, s[2:3], v5, v11, s[2:3]
	v_cmp_ne_u32_e64 s[2:3], v22, v12
	v_cndmask_b32_e64 v5, 0, -v15, s[2:3]
	v_cndmask_b32_e64 v4, 0, v14, s[2:3]
	flat_store_dwordx4 v[10:11], v[2:5]
.LBB869_8:
	s_or_b64 exec, exec, s[4:5]
	v_add_u32_e32 v4, 16, v22
	v_mad_i64_i32 v[1:2], s[2:3], v4, s8, 0
	v_mov_b32_e32 v5, s11
	v_lshlrev_b64 v[2:3], 4, v[1:2]
	v_add_co_u32_e64 v2, s[2:3], s10, v2
	v_addc_co_u32_e64 v3, s[2:3], v5, v3, s[2:3]
	v_cmp_le_i32_e64 s[2:3], v4, v0
	s_and_b64 s[4:5], s[2:3], vcc
	s_and_saveexec_b64 s[2:3], s[4:5]
	s_cbranch_execz .LBB869_10
; %bb.9:
	v_ashrrev_i32_e32 v1, 31, v0
	v_lshlrev_b64 v[10:11], 4, v[0:1]
	v_xor_b32_e32 v9, 0x80000000, v9
	v_add_co_u32_e32 v13, vcc, v2, v10
	v_addc_co_u32_e32 v14, vcc, v3, v11, vcc
	v_cmp_ne_u32_e32 vcc, v4, v0
	v_cndmask_b32_e64 v11, 0, -v19, vcc
	v_cndmask_b32_e32 v10, 0, v18, vcc
	flat_store_dwordx4 v[13:14], v[8:11]
.LBB869_10:
	s_or_b64 exec, exec, s[2:3]
	v_cmp_le_i32_e32 vcc, v4, v12
	s_and_b64 s[0:1], vcc, s[0:1]
	s_and_saveexec_b64 s[2:3], s[0:1]
	s_cbranch_execz .LBB869_12
; %bb.11:
	v_ashrrev_i32_e32 v13, 31, v12
	v_lshlrev_b64 v[4:5], 4, v[12:13]
	v_xor_b32_e32 v7, 0x80000000, v7
	v_add_co_u32_e32 v1, vcc, v2, v4
	v_addc_co_u32_e32 v2, vcc, v3, v5, vcc
	v_cmp_ne_u32_e32 vcc, v22, v0
	v_cndmask_b32_e64 v9, 0, -v17, vcc
	v_cndmask_b32_e32 v8, 0, v16, vcc
	flat_store_dwordx4 v[1:2], v[6:9]
.LBB869_12:
	s_endpgm
	.section	.rodata,"a",@progbits
	.p2align	6, 0x0
	.amdhsa_kernel _ZL37rocblas_syrkx_herkx_restricted_kernelIi19rocblas_complex_numIdELi16ELi32ELi8ELin1ELi0ELb1ELc78ELc76EKPKS1_KPS1_EviT_PT9_S7_lS9_S7_lPT10_S7_li
		.amdhsa_group_segment_fixed_size 8192
		.amdhsa_private_segment_fixed_size 0
		.amdhsa_kernarg_size 84
		.amdhsa_user_sgpr_count 6
		.amdhsa_user_sgpr_private_segment_buffer 1
		.amdhsa_user_sgpr_dispatch_ptr 0
		.amdhsa_user_sgpr_queue_ptr 0
		.amdhsa_user_sgpr_kernarg_segment_ptr 1
		.amdhsa_user_sgpr_dispatch_id 0
		.amdhsa_user_sgpr_flat_scratch_init 0
		.amdhsa_user_sgpr_private_segment_size 0
		.amdhsa_uses_dynamic_stack 0
		.amdhsa_system_sgpr_private_segment_wavefront_offset 0
		.amdhsa_system_sgpr_workgroup_id_x 1
		.amdhsa_system_sgpr_workgroup_id_y 1
		.amdhsa_system_sgpr_workgroup_id_z 1
		.amdhsa_system_sgpr_workgroup_info 0
		.amdhsa_system_vgpr_workitem_id 1
		.amdhsa_next_free_vgpr 54
		.amdhsa_next_free_sgpr 61
		.amdhsa_reserve_vcc 1
		.amdhsa_reserve_flat_scratch 0
		.amdhsa_float_round_mode_32 0
		.amdhsa_float_round_mode_16_64 0
		.amdhsa_float_denorm_mode_32 3
		.amdhsa_float_denorm_mode_16_64 3
		.amdhsa_dx10_clamp 1
		.amdhsa_ieee_mode 1
		.amdhsa_fp16_overflow 0
		.amdhsa_exception_fp_ieee_invalid_op 0
		.amdhsa_exception_fp_denorm_src 0
		.amdhsa_exception_fp_ieee_div_zero 0
		.amdhsa_exception_fp_ieee_overflow 0
		.amdhsa_exception_fp_ieee_underflow 0
		.amdhsa_exception_fp_ieee_inexact 0
		.amdhsa_exception_int_div_zero 0
	.end_amdhsa_kernel
	.section	.text._ZL37rocblas_syrkx_herkx_restricted_kernelIi19rocblas_complex_numIdELi16ELi32ELi8ELin1ELi0ELb1ELc78ELc76EKPKS1_KPS1_EviT_PT9_S7_lS9_S7_lPT10_S7_li,"axG",@progbits,_ZL37rocblas_syrkx_herkx_restricted_kernelIi19rocblas_complex_numIdELi16ELi32ELi8ELin1ELi0ELb1ELc78ELc76EKPKS1_KPS1_EviT_PT9_S7_lS9_S7_lPT10_S7_li,comdat
.Lfunc_end869:
	.size	_ZL37rocblas_syrkx_herkx_restricted_kernelIi19rocblas_complex_numIdELi16ELi32ELi8ELin1ELi0ELb1ELc78ELc76EKPKS1_KPS1_EviT_PT9_S7_lS9_S7_lPT10_S7_li, .Lfunc_end869-_ZL37rocblas_syrkx_herkx_restricted_kernelIi19rocblas_complex_numIdELi16ELi32ELi8ELin1ELi0ELb1ELc78ELc76EKPKS1_KPS1_EviT_PT9_S7_lS9_S7_lPT10_S7_li
                                        ; -- End function
	.set _ZL37rocblas_syrkx_herkx_restricted_kernelIi19rocblas_complex_numIdELi16ELi32ELi8ELin1ELi0ELb1ELc78ELc76EKPKS1_KPS1_EviT_PT9_S7_lS9_S7_lPT10_S7_li.num_vgpr, 54
	.set _ZL37rocblas_syrkx_herkx_restricted_kernelIi19rocblas_complex_numIdELi16ELi32ELi8ELin1ELi0ELb1ELc78ELc76EKPKS1_KPS1_EviT_PT9_S7_lS9_S7_lPT10_S7_li.num_agpr, 0
	.set _ZL37rocblas_syrkx_herkx_restricted_kernelIi19rocblas_complex_numIdELi16ELi32ELi8ELin1ELi0ELb1ELc78ELc76EKPKS1_KPS1_EviT_PT9_S7_lS9_S7_lPT10_S7_li.numbered_sgpr, 20
	.set _ZL37rocblas_syrkx_herkx_restricted_kernelIi19rocblas_complex_numIdELi16ELi32ELi8ELin1ELi0ELb1ELc78ELc76EKPKS1_KPS1_EviT_PT9_S7_lS9_S7_lPT10_S7_li.num_named_barrier, 0
	.set _ZL37rocblas_syrkx_herkx_restricted_kernelIi19rocblas_complex_numIdELi16ELi32ELi8ELin1ELi0ELb1ELc78ELc76EKPKS1_KPS1_EviT_PT9_S7_lS9_S7_lPT10_S7_li.private_seg_size, 0
	.set _ZL37rocblas_syrkx_herkx_restricted_kernelIi19rocblas_complex_numIdELi16ELi32ELi8ELin1ELi0ELb1ELc78ELc76EKPKS1_KPS1_EviT_PT9_S7_lS9_S7_lPT10_S7_li.uses_vcc, 1
	.set _ZL37rocblas_syrkx_herkx_restricted_kernelIi19rocblas_complex_numIdELi16ELi32ELi8ELin1ELi0ELb1ELc78ELc76EKPKS1_KPS1_EviT_PT9_S7_lS9_S7_lPT10_S7_li.uses_flat_scratch, 0
	.set _ZL37rocblas_syrkx_herkx_restricted_kernelIi19rocblas_complex_numIdELi16ELi32ELi8ELin1ELi0ELb1ELc78ELc76EKPKS1_KPS1_EviT_PT9_S7_lS9_S7_lPT10_S7_li.has_dyn_sized_stack, 0
	.set _ZL37rocblas_syrkx_herkx_restricted_kernelIi19rocblas_complex_numIdELi16ELi32ELi8ELin1ELi0ELb1ELc78ELc76EKPKS1_KPS1_EviT_PT9_S7_lS9_S7_lPT10_S7_li.has_recursion, 0
	.set _ZL37rocblas_syrkx_herkx_restricted_kernelIi19rocblas_complex_numIdELi16ELi32ELi8ELin1ELi0ELb1ELc78ELc76EKPKS1_KPS1_EviT_PT9_S7_lS9_S7_lPT10_S7_li.has_indirect_call, 0
	.section	.AMDGPU.csdata,"",@progbits
; Kernel info:
; codeLenInByte = 2848
; TotalNumSgprs: 24
; NumVgprs: 54
; ScratchSize: 0
; MemoryBound: 0
; FloatMode: 240
; IeeeMode: 1
; LDSByteSize: 8192 bytes/workgroup (compile time only)
; SGPRBlocks: 8
; VGPRBlocks: 13
; NumSGPRsForWavesPerEU: 65
; NumVGPRsForWavesPerEU: 54
; Occupancy: 4
; WaveLimiterHint : 1
; COMPUTE_PGM_RSRC2:SCRATCH_EN: 0
; COMPUTE_PGM_RSRC2:USER_SGPR: 6
; COMPUTE_PGM_RSRC2:TRAP_HANDLER: 0
; COMPUTE_PGM_RSRC2:TGID_X_EN: 1
; COMPUTE_PGM_RSRC2:TGID_Y_EN: 1
; COMPUTE_PGM_RSRC2:TGID_Z_EN: 1
; COMPUTE_PGM_RSRC2:TIDIG_COMP_CNT: 1
	.section	.text._ZL37rocblas_syrkx_herkx_restricted_kernelIi19rocblas_complex_numIdELi16ELi32ELi8ELin1ELi0ELb1ELc84ELc85EKPKS1_KPS1_EviT_PT9_S7_lS9_S7_lPT10_S7_li,"axG",@progbits,_ZL37rocblas_syrkx_herkx_restricted_kernelIi19rocblas_complex_numIdELi16ELi32ELi8ELin1ELi0ELb1ELc84ELc85EKPKS1_KPS1_EviT_PT9_S7_lS9_S7_lPT10_S7_li,comdat
	.globl	_ZL37rocblas_syrkx_herkx_restricted_kernelIi19rocblas_complex_numIdELi16ELi32ELi8ELin1ELi0ELb1ELc84ELc85EKPKS1_KPS1_EviT_PT9_S7_lS9_S7_lPT10_S7_li ; -- Begin function _ZL37rocblas_syrkx_herkx_restricted_kernelIi19rocblas_complex_numIdELi16ELi32ELi8ELin1ELi0ELb1ELc84ELc85EKPKS1_KPS1_EviT_PT9_S7_lS9_S7_lPT10_S7_li
	.p2align	8
	.type	_ZL37rocblas_syrkx_herkx_restricted_kernelIi19rocblas_complex_numIdELi16ELi32ELi8ELin1ELi0ELb1ELc84ELc85EKPKS1_KPS1_EviT_PT9_S7_lS9_S7_lPT10_S7_li,@function
_ZL37rocblas_syrkx_herkx_restricted_kernelIi19rocblas_complex_numIdELi16ELi32ELi8ELin1ELi0ELb1ELc84ELc85EKPKS1_KPS1_EviT_PT9_S7_lS9_S7_lPT10_S7_li: ; @_ZL37rocblas_syrkx_herkx_restricted_kernelIi19rocblas_complex_numIdELi16ELi32ELi8ELin1ELi0ELb1ELc84ELc85EKPKS1_KPS1_EviT_PT9_S7_lS9_S7_lPT10_S7_li
; %bb.0:
	s_load_dwordx2 s[10:11], s[4:5], 0x38
	s_load_dwordx2 s[2:3], s[4:5], 0x0
	s_mov_b32 s9, 0
	s_lshl_b64 s[0:1], s[8:9], 3
	s_waitcnt lgkmcnt(0)
	s_add_u32 s10, s10, s0
	s_addc_u32 s11, s11, s1
	s_load_dwordx2 s[10:11], s[10:11], 0x0
	s_lshl_b32 s6, s6, 5
	s_lshl_b32 s7, s7, 5
	s_cmp_lt_i32 s3, 1
	s_cbranch_scc1 .LBB870_3
; %bb.1:
	s_load_dwordx2 s[12:13], s[4:5], 0x8
	s_load_dword s8, s[4:5], 0x10
	s_load_dwordx2 s[14:15], s[4:5], 0x20
	s_load_dword s16, s[4:5], 0x28
	v_lshl_add_u32 v4, v1, 4, v0
	s_waitcnt lgkmcnt(0)
	s_add_u32 s12, s12, s0
	s_addc_u32 s13, s13, s1
	v_lshrrev_b32_e32 v8, 3, v4
	s_add_u32 s0, s14, s0
	v_add_u32_e32 v5, s7, v8
	v_and_b32_e32 v2, 7, v0
	v_mov_b32_e32 v3, 0
	s_addc_u32 s1, s15, s1
	v_mad_i64_i32 v[6:7], s[14:15], s16, v5, v[2:3]
	v_lshlrev_b32_e32 v2, 4, v2
	v_and_b32_e32 v9, 31, v4
	v_lshl_or_b32 v2, v8, 7, v2
	v_lshrrev_b32_e32 v4, 5, v4
	v_mov_b32_e32 v5, v3
	v_lshlrev_b32_e32 v3, 4, v9
	v_add_u32_e32 v23, 0x1000, v2
	v_add_u32_e32 v2, s6, v9
	v_lshl_or_b32 v22, v4, 9, v3
	v_mad_i64_i32 v[2:3], s[14:15], s8, v2, v[4:5]
	s_load_dwordx2 s[12:13], s[12:13], 0x0
	v_mov_b32_e32 v4, 0x1000
	s_load_dwordx2 s[0:1], s[0:1], 0x0
	v_lshlrev_b64 v[2:3], 4, v[2:3]
	v_lshl_add_u32 v25, v1, 7, v4
	s_waitcnt lgkmcnt(0)
	v_mov_b32_e32 v5, s13
	v_add_co_u32_e32 v4, vcc, s12, v2
	v_lshlrev_b64 v[12:13], 4, v[6:7]
	v_addc_co_u32_e32 v5, vcc, v5, v3, vcc
	v_mov_b32_e32 v26, s1
	v_mov_b32_e32 v16, 0
	;; [unrolled: 1-line block ×9, first 2 shown]
	v_add_co_u32_e32 v12, vcc, s0, v12
	v_lshlrev_b32_e32 v24, 4, v0
	v_mov_b32_e32 v17, 0
	v_mov_b32_e32 v7, 0
	v_mov_b32_e32 v19, 0
	v_mov_b32_e32 v9, 0
	v_mov_b32_e32 v15, 0
	v_mov_b32_e32 v3, 0
	v_mov_b32_e32 v21, 0
	v_mov_b32_e32 v11, 0
	v_addc_co_u32_e32 v13, vcc, v26, v13, vcc
.LBB870_2:                              ; =>This Inner Loop Header: Depth=1
	flat_load_dwordx4 v[26:29], v[4:5]
	v_add_co_u32_e32 v4, vcc, 0x80, v4
	v_addc_co_u32_e32 v5, vcc, 0, v5, vcc
	s_add_i32 s9, s9, 8
	s_cmp_ge_i32 s9, s3
	s_waitcnt vmcnt(0) lgkmcnt(0)
	ds_write_b128 v22, v[26:29]
	flat_load_dwordx4 v[26:29], v[12:13]
	v_add_co_u32_e32 v12, vcc, 0x80, v12
	v_addc_co_u32_e32 v13, vcc, 0, v13, vcc
	s_waitcnt vmcnt(0) lgkmcnt(0)
	ds_write_b128 v23, v[26:29]
	s_waitcnt lgkmcnt(0)
	s_barrier
	ds_read_b128 v[26:29], v25
	ds_read_b128 v[30:33], v25 offset:16
	ds_read_b128 v[34:37], v25 offset:32
	;; [unrolled: 1-line block ×3, first 2 shown]
	ds_read_b128 v[42:45], v24
	s_waitcnt lgkmcnt(0)
	v_mul_f64 v[46:47], v[28:29], v[44:45]
	v_mul_f64 v[48:49], v[26:27], v[44:45]
	v_fma_f64 v[46:47], v[26:27], v[42:43], -v[46:47]
	v_fma_f64 v[48:49], v[28:29], v[42:43], v[48:49]
	v_add_f64 v[10:11], v[10:11], v[46:47]
	v_add_f64 v[20:21], v[48:49], v[20:21]
	ds_read_b128 v[46:49], v24 offset:256
	s_waitcnt lgkmcnt(0)
	v_mul_f64 v[50:51], v[28:29], v[48:49]
	v_fma_f64 v[50:51], v[26:27], v[46:47], -v[50:51]
	v_mul_f64 v[26:27], v[26:27], v[48:49]
	v_add_f64 v[2:3], v[2:3], v[50:51]
	v_fma_f64 v[26:27], v[28:29], v[46:47], v[26:27]
	v_add_f64 v[50:51], v[26:27], v[14:15]
	ds_read_b128 v[26:29], v25 offset:2048
	s_waitcnt lgkmcnt(0)
	v_mul_f64 v[14:15], v[28:29], v[44:45]
	v_mul_f64 v[44:45], v[26:27], v[44:45]
	v_fma_f64 v[14:15], v[26:27], v[42:43], -v[14:15]
	v_fma_f64 v[42:43], v[28:29], v[42:43], v[44:45]
	v_add_f64 v[44:45], v[8:9], v[14:15]
	v_mul_f64 v[8:9], v[28:29], v[48:49]
	v_mul_f64 v[14:15], v[26:27], v[48:49]
	v_add_f64 v[42:43], v[42:43], v[18:19]
	v_fma_f64 v[8:9], v[26:27], v[46:47], -v[8:9]
	v_fma_f64 v[14:15], v[28:29], v[46:47], v[14:15]
	v_add_f64 v[26:27], v[6:7], v[8:9]
	ds_read_b128 v[6:9], v24 offset:512
	v_add_f64 v[28:29], v[14:15], v[16:17]
	s_waitcnt lgkmcnt(0)
	v_mul_f64 v[14:15], v[32:33], v[8:9]
	v_mul_f64 v[16:17], v[30:31], v[8:9]
	v_fma_f64 v[14:15], v[30:31], v[6:7], -v[14:15]
	v_fma_f64 v[16:17], v[32:33], v[6:7], v[16:17]
	v_add_f64 v[10:11], v[10:11], v[14:15]
	v_add_f64 v[46:47], v[16:17], v[20:21]
	ds_read_b128 v[14:17], v24 offset:768
	s_waitcnt lgkmcnt(0)
	v_mul_f64 v[18:19], v[32:33], v[16:17]
	v_mul_f64 v[20:21], v[30:31], v[16:17]
	v_fma_f64 v[18:19], v[30:31], v[14:15], -v[18:19]
	v_fma_f64 v[20:21], v[32:33], v[14:15], v[20:21]
	v_add_f64 v[2:3], v[2:3], v[18:19]
	v_add_f64 v[30:31], v[20:21], v[50:51]
	ds_read_b128 v[18:21], v25 offset:2064
	s_waitcnt lgkmcnt(0)
	v_mul_f64 v[32:33], v[20:21], v[8:9]
	v_mul_f64 v[8:9], v[18:19], v[8:9]
	v_fma_f64 v[32:33], v[18:19], v[6:7], -v[32:33]
	v_fma_f64 v[6:7], v[20:21], v[6:7], v[8:9]
	v_mul_f64 v[8:9], v[18:19], v[16:17]
	v_add_f64 v[32:33], v[44:45], v[32:33]
	v_add_f64 v[42:43], v[6:7], v[42:43]
	v_mul_f64 v[6:7], v[20:21], v[16:17]
	v_fma_f64 v[8:9], v[20:21], v[14:15], v[8:9]
	v_fma_f64 v[6:7], v[18:19], v[14:15], -v[6:7]
	v_add_f64 v[28:29], v[8:9], v[28:29]
	v_add_f64 v[26:27], v[26:27], v[6:7]
	ds_read_b128 v[6:9], v24 offset:1024
	s_waitcnt lgkmcnt(0)
	v_mul_f64 v[14:15], v[36:37], v[8:9]
	v_mul_f64 v[16:17], v[34:35], v[8:9]
	v_fma_f64 v[14:15], v[34:35], v[6:7], -v[14:15]
	v_fma_f64 v[16:17], v[36:37], v[6:7], v[16:17]
	v_add_f64 v[10:11], v[10:11], v[14:15]
	v_add_f64 v[44:45], v[16:17], v[46:47]
	ds_read_b128 v[14:17], v24 offset:1280
	s_waitcnt lgkmcnt(0)
	v_mul_f64 v[18:19], v[36:37], v[16:17]
	v_mul_f64 v[20:21], v[34:35], v[16:17]
	v_fma_f64 v[18:19], v[34:35], v[14:15], -v[18:19]
	v_fma_f64 v[20:21], v[36:37], v[14:15], v[20:21]
	v_add_f64 v[2:3], v[2:3], v[18:19]
	v_add_f64 v[30:31], v[20:21], v[30:31]
	ds_read_b128 v[18:21], v25 offset:2080
	s_waitcnt lgkmcnt(0)
	v_mul_f64 v[34:35], v[20:21], v[8:9]
	v_mul_f64 v[8:9], v[18:19], v[8:9]
	v_fma_f64 v[34:35], v[18:19], v[6:7], -v[34:35]
	v_fma_f64 v[6:7], v[20:21], v[6:7], v[8:9]
	v_mul_f64 v[8:9], v[18:19], v[16:17]
	v_add_f64 v[32:33], v[32:33], v[34:35]
	v_add_f64 v[34:35], v[6:7], v[42:43]
	v_mul_f64 v[6:7], v[20:21], v[16:17]
	v_fma_f64 v[8:9], v[20:21], v[14:15], v[8:9]
	v_fma_f64 v[6:7], v[18:19], v[14:15], -v[6:7]
	v_add_f64 v[28:29], v[8:9], v[28:29]
	v_add_f64 v[26:27], v[26:27], v[6:7]
	ds_read_b128 v[6:9], v24 offset:1536
	;; [unrolled: 30-line block ×3, first 2 shown]
	ds_read_b128 v[14:17], v24 offset:2048
	s_waitcnt lgkmcnt(0)
	v_mul_f64 v[18:19], v[8:9], v[16:17]
	v_mul_f64 v[20:21], v[6:7], v[16:17]
	v_fma_f64 v[18:19], v[6:7], v[14:15], -v[18:19]
	v_fma_f64 v[20:21], v[8:9], v[14:15], v[20:21]
	v_add_f64 v[10:11], v[10:11], v[18:19]
	v_add_f64 v[36:37], v[20:21], v[36:37]
	ds_read_b128 v[18:21], v24 offset:2304
	s_waitcnt lgkmcnt(0)
	v_mul_f64 v[38:39], v[8:9], v[20:21]
	v_fma_f64 v[38:39], v[6:7], v[18:19], -v[38:39]
	v_mul_f64 v[6:7], v[6:7], v[20:21]
	v_add_f64 v[2:3], v[2:3], v[38:39]
	v_fma_f64 v[6:7], v[8:9], v[18:19], v[6:7]
	v_add_f64 v[30:31], v[6:7], v[30:31]
	ds_read_b128 v[6:9], v25 offset:2112
	s_waitcnt lgkmcnt(0)
	v_mul_f64 v[38:39], v[8:9], v[16:17]
	v_mul_f64 v[16:17], v[6:7], v[16:17]
	v_fma_f64 v[38:39], v[6:7], v[14:15], -v[38:39]
	v_fma_f64 v[14:15], v[8:9], v[14:15], v[16:17]
	v_add_f64 v[32:33], v[32:33], v[38:39]
	v_add_f64 v[34:35], v[14:15], v[34:35]
	v_mul_f64 v[14:15], v[8:9], v[20:21]
	v_fma_f64 v[14:15], v[6:7], v[18:19], -v[14:15]
	v_mul_f64 v[6:7], v[6:7], v[20:21]
	v_add_f64 v[26:27], v[26:27], v[14:15]
	v_fma_f64 v[6:7], v[8:9], v[18:19], v[6:7]
	v_add_f64 v[28:29], v[6:7], v[28:29]
	ds_read_b128 v[6:9], v25 offset:80
	ds_read_b128 v[14:17], v24 offset:2560
	s_waitcnt lgkmcnt(0)
	v_mul_f64 v[18:19], v[8:9], v[16:17]
	v_mul_f64 v[20:21], v[6:7], v[16:17]
	v_fma_f64 v[18:19], v[6:7], v[14:15], -v[18:19]
	v_fma_f64 v[20:21], v[8:9], v[14:15], v[20:21]
	v_add_f64 v[10:11], v[10:11], v[18:19]
	v_add_f64 v[36:37], v[20:21], v[36:37]
	ds_read_b128 v[18:21], v24 offset:2816
	s_waitcnt lgkmcnt(0)
	v_mul_f64 v[38:39], v[8:9], v[20:21]
	v_fma_f64 v[38:39], v[6:7], v[18:19], -v[38:39]
	v_mul_f64 v[6:7], v[6:7], v[20:21]
	v_add_f64 v[2:3], v[2:3], v[38:39]
	v_fma_f64 v[6:7], v[8:9], v[18:19], v[6:7]
	v_add_f64 v[30:31], v[6:7], v[30:31]
	ds_read_b128 v[6:9], v25 offset:2128
	s_waitcnt lgkmcnt(0)
	v_mul_f64 v[38:39], v[8:9], v[16:17]
	v_mul_f64 v[16:17], v[6:7], v[16:17]
	v_fma_f64 v[38:39], v[6:7], v[14:15], -v[38:39]
	v_fma_f64 v[14:15], v[8:9], v[14:15], v[16:17]
	v_add_f64 v[32:33], v[32:33], v[38:39]
	v_add_f64 v[34:35], v[14:15], v[34:35]
	v_mul_f64 v[14:15], v[8:9], v[20:21]
	v_fma_f64 v[14:15], v[6:7], v[18:19], -v[14:15]
	v_mul_f64 v[6:7], v[6:7], v[20:21]
	v_add_f64 v[26:27], v[26:27], v[14:15]
	v_fma_f64 v[6:7], v[8:9], v[18:19], v[6:7]
	v_add_f64 v[28:29], v[6:7], v[28:29]
	ds_read_b128 v[6:9], v25 offset:96
	;; [unrolled: 31-line block ×3, first 2 shown]
	ds_read_b128 v[16:19], v24 offset:3584
	ds_read_b128 v[26:29], v24 offset:3840
	s_waitcnt lgkmcnt(1)
	v_mul_f64 v[14:15], v[8:9], v[18:19]
	v_mul_f64 v[20:21], v[6:7], v[18:19]
	v_fma_f64 v[14:15], v[6:7], v[16:17], -v[14:15]
	v_fma_f64 v[20:21], v[8:9], v[16:17], v[20:21]
	v_add_f64 v[10:11], v[10:11], v[14:15]
	s_waitcnt lgkmcnt(0)
	v_mul_f64 v[14:15], v[8:9], v[28:29]
	v_add_f64 v[20:21], v[20:21], v[36:37]
	v_fma_f64 v[14:15], v[6:7], v[26:27], -v[14:15]
	v_mul_f64 v[6:7], v[6:7], v[28:29]
	v_add_f64 v[2:3], v[2:3], v[14:15]
	v_fma_f64 v[6:7], v[8:9], v[26:27], v[6:7]
	v_add_f64 v[14:15], v[6:7], v[30:31]
	ds_read_b128 v[30:33], v25 offset:2160
	s_waitcnt lgkmcnt(0)
	s_barrier
	v_mul_f64 v[6:7], v[32:33], v[18:19]
	v_mul_f64 v[8:9], v[30:31], v[18:19]
	v_fma_f64 v[6:7], v[30:31], v[16:17], -v[6:7]
	v_fma_f64 v[16:17], v[32:33], v[16:17], v[8:9]
	v_add_f64 v[8:9], v[38:39], v[6:7]
	v_add_f64 v[18:19], v[16:17], v[34:35]
	v_mul_f64 v[6:7], v[32:33], v[28:29]
	v_mul_f64 v[16:17], v[30:31], v[28:29]
	v_fma_f64 v[6:7], v[30:31], v[26:27], -v[6:7]
	v_fma_f64 v[16:17], v[32:33], v[26:27], v[16:17]
	v_add_f64 v[6:7], v[40:41], v[6:7]
	v_add_f64 v[16:17], v[16:17], v[42:43]
	s_cbranch_scc0 .LBB870_2
	s_branch .LBB870_4
.LBB870_3:
	v_mov_b32_e32 v10, 0
	v_mov_b32_e32 v20, 0
	v_mov_b32_e32 v2, 0
	v_mov_b32_e32 v14, 0
	v_mov_b32_e32 v8, 0
	v_mov_b32_e32 v18, 0
	v_mov_b32_e32 v6, 0
	v_mov_b32_e32 v16, 0
	v_mov_b32_e32 v11, 0
	v_mov_b32_e32 v21, 0
	v_mov_b32_e32 v3, 0
	v_mov_b32_e32 v15, 0
	v_mov_b32_e32 v9, 0
	v_mov_b32_e32 v19, 0
	v_mov_b32_e32 v7, 0
	v_mov_b32_e32 v17, 0
.LBB870_4:
	s_load_dword s3, s[4:5], 0x40
	v_add_u32_e32 v22, s7, v1
	s_waitcnt lgkmcnt(0)
	v_mov_b32_e32 v1, s11
	v_add_u32_e32 v0, s6, v0
	v_cmp_gt_i32_e32 vcc, s2, v22
	v_mad_i64_i32 v[4:5], s[0:1], v22, s3, 0
	v_lshlrev_b64 v[4:5], 4, v[4:5]
	v_add_co_u32_e64 v4, s[0:1], s10, v4
	v_addc_co_u32_e64 v5, s[0:1], v1, v5, s[0:1]
	v_cmp_le_i32_e64 s[0:1], v0, v22
	s_and_b64 s[0:1], vcc, s[0:1]
	s_and_saveexec_b64 s[4:5], s[0:1]
	s_cbranch_execz .LBB870_6
; %bb.5:
	v_ashrrev_i32_e32 v1, 31, v0
	v_lshlrev_b64 v[12:13], 4, v[0:1]
	v_xor_b32_e32 v11, 0x80000000, v11
	v_add_co_u32_e64 v23, s[0:1], v4, v12
	v_addc_co_u32_e64 v24, s[0:1], v5, v13, s[0:1]
	v_cmp_ne_u32_e64 s[0:1], v22, v0
	v_cndmask_b32_e64 v13, 0, -v21, s[0:1]
	v_cndmask_b32_e64 v12, 0, v20, s[0:1]
	flat_store_dwordx4 v[23:24], v[10:13]
.LBB870_6:
	s_or_b64 exec, exec, s[4:5]
	v_add_u32_e32 v12, 16, v0
	v_cmp_le_i32_e64 s[0:1], v12, v22
	s_and_b64 s[4:5], vcc, s[0:1]
	s_and_saveexec_b64 s[0:1], s[4:5]
	s_cbranch_execz .LBB870_8
; %bb.7:
	v_ashrrev_i32_e32 v13, 31, v12
	v_lshlrev_b64 v[10:11], 4, v[12:13]
	v_xor_b32_e32 v3, 0x80000000, v3
	v_add_co_u32_e32 v10, vcc, v4, v10
	v_addc_co_u32_e32 v11, vcc, v5, v11, vcc
	v_cmp_ne_u32_e32 vcc, v22, v12
	v_cndmask_b32_e64 v5, 0, -v15, vcc
	v_cndmask_b32_e32 v4, 0, v14, vcc
	flat_store_dwordx4 v[10:11], v[2:5]
.LBB870_8:
	s_or_b64 exec, exec, s[0:1]
	v_add_u32_e32 v4, 16, v22
	v_mad_i64_i32 v[1:2], s[0:1], v4, s3, 0
	v_mov_b32_e32 v5, s11
	v_cmp_gt_i32_e32 vcc, s2, v4
	v_lshlrev_b64 v[2:3], 4, v[1:2]
	v_add_co_u32_e64 v2, s[0:1], s10, v2
	v_addc_co_u32_e64 v3, s[0:1], v5, v3, s[0:1]
	v_cmp_le_i32_e64 s[0:1], v0, v4
	s_and_b64 s[0:1], vcc, s[0:1]
	s_and_saveexec_b64 s[2:3], s[0:1]
	s_cbranch_execz .LBB870_10
; %bb.9:
	v_ashrrev_i32_e32 v1, 31, v0
	v_lshlrev_b64 v[10:11], 4, v[0:1]
	v_xor_b32_e32 v9, 0x80000000, v9
	v_add_co_u32_e64 v13, s[0:1], v2, v10
	v_addc_co_u32_e64 v14, s[0:1], v3, v11, s[0:1]
	v_cmp_ne_u32_e64 s[0:1], v4, v0
	v_cndmask_b32_e64 v11, 0, -v19, s[0:1]
	v_cndmask_b32_e64 v10, 0, v18, s[0:1]
	flat_store_dwordx4 v[13:14], v[8:11]
.LBB870_10:
	s_or_b64 exec, exec, s[2:3]
	v_cmp_le_i32_e64 s[0:1], v12, v4
	s_and_b64 s[0:1], vcc, s[0:1]
	s_and_saveexec_b64 s[2:3], s[0:1]
	s_cbranch_execz .LBB870_12
; %bb.11:
	v_ashrrev_i32_e32 v13, 31, v12
	v_lshlrev_b64 v[4:5], 4, v[12:13]
	v_xor_b32_e32 v7, 0x80000000, v7
	v_add_co_u32_e32 v1, vcc, v2, v4
	v_addc_co_u32_e32 v2, vcc, v3, v5, vcc
	v_cmp_ne_u32_e32 vcc, v22, v0
	v_cndmask_b32_e64 v9, 0, -v17, vcc
	v_cndmask_b32_e32 v8, 0, v16, vcc
	flat_store_dwordx4 v[1:2], v[6:9]
.LBB870_12:
	s_endpgm
	.section	.rodata,"a",@progbits
	.p2align	6, 0x0
	.amdhsa_kernel _ZL37rocblas_syrkx_herkx_restricted_kernelIi19rocblas_complex_numIdELi16ELi32ELi8ELin1ELi0ELb1ELc84ELc85EKPKS1_KPS1_EviT_PT9_S7_lS9_S7_lPT10_S7_li
		.amdhsa_group_segment_fixed_size 8192
		.amdhsa_private_segment_fixed_size 0
		.amdhsa_kernarg_size 84
		.amdhsa_user_sgpr_count 6
		.amdhsa_user_sgpr_private_segment_buffer 1
		.amdhsa_user_sgpr_dispatch_ptr 0
		.amdhsa_user_sgpr_queue_ptr 0
		.amdhsa_user_sgpr_kernarg_segment_ptr 1
		.amdhsa_user_sgpr_dispatch_id 0
		.amdhsa_user_sgpr_flat_scratch_init 0
		.amdhsa_user_sgpr_private_segment_size 0
		.amdhsa_uses_dynamic_stack 0
		.amdhsa_system_sgpr_private_segment_wavefront_offset 0
		.amdhsa_system_sgpr_workgroup_id_x 1
		.amdhsa_system_sgpr_workgroup_id_y 1
		.amdhsa_system_sgpr_workgroup_id_z 1
		.amdhsa_system_sgpr_workgroup_info 0
		.amdhsa_system_vgpr_workitem_id 1
		.amdhsa_next_free_vgpr 52
		.amdhsa_next_free_sgpr 61
		.amdhsa_reserve_vcc 1
		.amdhsa_reserve_flat_scratch 0
		.amdhsa_float_round_mode_32 0
		.amdhsa_float_round_mode_16_64 0
		.amdhsa_float_denorm_mode_32 3
		.amdhsa_float_denorm_mode_16_64 3
		.amdhsa_dx10_clamp 1
		.amdhsa_ieee_mode 1
		.amdhsa_fp16_overflow 0
		.amdhsa_exception_fp_ieee_invalid_op 0
		.amdhsa_exception_fp_denorm_src 0
		.amdhsa_exception_fp_ieee_div_zero 0
		.amdhsa_exception_fp_ieee_overflow 0
		.amdhsa_exception_fp_ieee_underflow 0
		.amdhsa_exception_fp_ieee_inexact 0
		.amdhsa_exception_int_div_zero 0
	.end_amdhsa_kernel
	.section	.text._ZL37rocblas_syrkx_herkx_restricted_kernelIi19rocblas_complex_numIdELi16ELi32ELi8ELin1ELi0ELb1ELc84ELc85EKPKS1_KPS1_EviT_PT9_S7_lS9_S7_lPT10_S7_li,"axG",@progbits,_ZL37rocblas_syrkx_herkx_restricted_kernelIi19rocblas_complex_numIdELi16ELi32ELi8ELin1ELi0ELb1ELc84ELc85EKPKS1_KPS1_EviT_PT9_S7_lS9_S7_lPT10_S7_li,comdat
.Lfunc_end870:
	.size	_ZL37rocblas_syrkx_herkx_restricted_kernelIi19rocblas_complex_numIdELi16ELi32ELi8ELin1ELi0ELb1ELc84ELc85EKPKS1_KPS1_EviT_PT9_S7_lS9_S7_lPT10_S7_li, .Lfunc_end870-_ZL37rocblas_syrkx_herkx_restricted_kernelIi19rocblas_complex_numIdELi16ELi32ELi8ELin1ELi0ELb1ELc84ELc85EKPKS1_KPS1_EviT_PT9_S7_lS9_S7_lPT10_S7_li
                                        ; -- End function
	.set _ZL37rocblas_syrkx_herkx_restricted_kernelIi19rocblas_complex_numIdELi16ELi32ELi8ELin1ELi0ELb1ELc84ELc85EKPKS1_KPS1_EviT_PT9_S7_lS9_S7_lPT10_S7_li.num_vgpr, 52
	.set _ZL37rocblas_syrkx_herkx_restricted_kernelIi19rocblas_complex_numIdELi16ELi32ELi8ELin1ELi0ELb1ELc84ELc85EKPKS1_KPS1_EviT_PT9_S7_lS9_S7_lPT10_S7_li.num_agpr, 0
	.set _ZL37rocblas_syrkx_herkx_restricted_kernelIi19rocblas_complex_numIdELi16ELi32ELi8ELin1ELi0ELb1ELc84ELc85EKPKS1_KPS1_EviT_PT9_S7_lS9_S7_lPT10_S7_li.numbered_sgpr, 17
	.set _ZL37rocblas_syrkx_herkx_restricted_kernelIi19rocblas_complex_numIdELi16ELi32ELi8ELin1ELi0ELb1ELc84ELc85EKPKS1_KPS1_EviT_PT9_S7_lS9_S7_lPT10_S7_li.num_named_barrier, 0
	.set _ZL37rocblas_syrkx_herkx_restricted_kernelIi19rocblas_complex_numIdELi16ELi32ELi8ELin1ELi0ELb1ELc84ELc85EKPKS1_KPS1_EviT_PT9_S7_lS9_S7_lPT10_S7_li.private_seg_size, 0
	.set _ZL37rocblas_syrkx_herkx_restricted_kernelIi19rocblas_complex_numIdELi16ELi32ELi8ELin1ELi0ELb1ELc84ELc85EKPKS1_KPS1_EviT_PT9_S7_lS9_S7_lPT10_S7_li.uses_vcc, 1
	.set _ZL37rocblas_syrkx_herkx_restricted_kernelIi19rocblas_complex_numIdELi16ELi32ELi8ELin1ELi0ELb1ELc84ELc85EKPKS1_KPS1_EviT_PT9_S7_lS9_S7_lPT10_S7_li.uses_flat_scratch, 0
	.set _ZL37rocblas_syrkx_herkx_restricted_kernelIi19rocblas_complex_numIdELi16ELi32ELi8ELin1ELi0ELb1ELc84ELc85EKPKS1_KPS1_EviT_PT9_S7_lS9_S7_lPT10_S7_li.has_dyn_sized_stack, 0
	.set _ZL37rocblas_syrkx_herkx_restricted_kernelIi19rocblas_complex_numIdELi16ELi32ELi8ELin1ELi0ELb1ELc84ELc85EKPKS1_KPS1_EviT_PT9_S7_lS9_S7_lPT10_S7_li.has_recursion, 0
	.set _ZL37rocblas_syrkx_herkx_restricted_kernelIi19rocblas_complex_numIdELi16ELi32ELi8ELin1ELi0ELb1ELc84ELc85EKPKS1_KPS1_EviT_PT9_S7_lS9_S7_lPT10_S7_li.has_indirect_call, 0
	.section	.AMDGPU.csdata,"",@progbits
; Kernel info:
; codeLenInByte = 2832
; TotalNumSgprs: 21
; NumVgprs: 52
; ScratchSize: 0
; MemoryBound: 0
; FloatMode: 240
; IeeeMode: 1
; LDSByteSize: 8192 bytes/workgroup (compile time only)
; SGPRBlocks: 8
; VGPRBlocks: 12
; NumSGPRsForWavesPerEU: 65
; NumVGPRsForWavesPerEU: 52
; Occupancy: 4
; WaveLimiterHint : 1
; COMPUTE_PGM_RSRC2:SCRATCH_EN: 0
; COMPUTE_PGM_RSRC2:USER_SGPR: 6
; COMPUTE_PGM_RSRC2:TRAP_HANDLER: 0
; COMPUTE_PGM_RSRC2:TGID_X_EN: 1
; COMPUTE_PGM_RSRC2:TGID_Y_EN: 1
; COMPUTE_PGM_RSRC2:TGID_Z_EN: 1
; COMPUTE_PGM_RSRC2:TIDIG_COMP_CNT: 1
	.section	.text._ZL37rocblas_syrkx_herkx_restricted_kernelIi19rocblas_complex_numIdELi16ELi32ELi8ELin1ELi0ELb1ELc67ELc85EKPKS1_KPS1_EviT_PT9_S7_lS9_S7_lPT10_S7_li,"axG",@progbits,_ZL37rocblas_syrkx_herkx_restricted_kernelIi19rocblas_complex_numIdELi16ELi32ELi8ELin1ELi0ELb1ELc67ELc85EKPKS1_KPS1_EviT_PT9_S7_lS9_S7_lPT10_S7_li,comdat
	.globl	_ZL37rocblas_syrkx_herkx_restricted_kernelIi19rocblas_complex_numIdELi16ELi32ELi8ELin1ELi0ELb1ELc67ELc85EKPKS1_KPS1_EviT_PT9_S7_lS9_S7_lPT10_S7_li ; -- Begin function _ZL37rocblas_syrkx_herkx_restricted_kernelIi19rocblas_complex_numIdELi16ELi32ELi8ELin1ELi0ELb1ELc67ELc85EKPKS1_KPS1_EviT_PT9_S7_lS9_S7_lPT10_S7_li
	.p2align	8
	.type	_ZL37rocblas_syrkx_herkx_restricted_kernelIi19rocblas_complex_numIdELi16ELi32ELi8ELin1ELi0ELb1ELc67ELc85EKPKS1_KPS1_EviT_PT9_S7_lS9_S7_lPT10_S7_li,@function
_ZL37rocblas_syrkx_herkx_restricted_kernelIi19rocblas_complex_numIdELi16ELi32ELi8ELin1ELi0ELb1ELc67ELc85EKPKS1_KPS1_EviT_PT9_S7_lS9_S7_lPT10_S7_li: ; @_ZL37rocblas_syrkx_herkx_restricted_kernelIi19rocblas_complex_numIdELi16ELi32ELi8ELin1ELi0ELb1ELc67ELc85EKPKS1_KPS1_EviT_PT9_S7_lS9_S7_lPT10_S7_li
; %bb.0:
	s_load_dwordx2 s[10:11], s[4:5], 0x38
	s_load_dwordx2 s[2:3], s[4:5], 0x0
	s_mov_b32 s9, 0
	s_lshl_b64 s[0:1], s[8:9], 3
	s_waitcnt lgkmcnt(0)
	s_add_u32 s10, s10, s0
	s_addc_u32 s11, s11, s1
	s_load_dwordx2 s[10:11], s[10:11], 0x0
	s_lshl_b32 s6, s6, 5
	s_lshl_b32 s7, s7, 5
	s_cmp_lt_i32 s3, 1
	s_cbranch_scc1 .LBB871_3
; %bb.1:
	s_load_dwordx2 s[12:13], s[4:5], 0x8
	s_load_dword s8, s[4:5], 0x10
	s_load_dwordx2 s[14:15], s[4:5], 0x20
	s_load_dword s16, s[4:5], 0x28
	v_lshl_add_u32 v4, v1, 4, v0
	s_waitcnt lgkmcnt(0)
	s_add_u32 s12, s12, s0
	s_addc_u32 s13, s13, s1
	v_lshrrev_b32_e32 v8, 3, v4
	s_add_u32 s0, s14, s0
	v_add_u32_e32 v5, s7, v8
	v_and_b32_e32 v2, 7, v0
	v_mov_b32_e32 v3, 0
	s_addc_u32 s1, s15, s1
	v_mad_i64_i32 v[6:7], s[14:15], s16, v5, v[2:3]
	v_lshlrev_b32_e32 v2, 4, v2
	v_and_b32_e32 v9, 31, v4
	v_lshl_or_b32 v2, v8, 7, v2
	v_lshrrev_b32_e32 v4, 5, v4
	v_mov_b32_e32 v5, v3
	v_lshlrev_b32_e32 v3, 4, v9
	v_add_u32_e32 v23, 0x1000, v2
	v_add_u32_e32 v2, s6, v9
	v_lshl_or_b32 v22, v4, 9, v3
	v_mad_i64_i32 v[2:3], s[14:15], s8, v2, v[4:5]
	s_load_dwordx2 s[12:13], s[12:13], 0x0
	v_mov_b32_e32 v4, 0x1000
	s_load_dwordx2 s[0:1], s[0:1], 0x0
	v_lshlrev_b64 v[2:3], 4, v[2:3]
	v_lshl_add_u32 v25, v1, 7, v4
	s_waitcnt lgkmcnt(0)
	v_mov_b32_e32 v5, s13
	v_add_co_u32_e32 v4, vcc, s12, v2
	v_lshlrev_b64 v[12:13], 4, v[6:7]
	v_addc_co_u32_e32 v5, vcc, v5, v3, vcc
	v_mov_b32_e32 v26, s1
	v_mov_b32_e32 v16, 0
	;; [unrolled: 1-line block ×9, first 2 shown]
	v_add_co_u32_e32 v12, vcc, s0, v12
	v_lshlrev_b32_e32 v24, 4, v0
	v_mov_b32_e32 v17, 0
	v_mov_b32_e32 v7, 0
	;; [unrolled: 1-line block ×8, first 2 shown]
	v_addc_co_u32_e32 v13, vcc, v26, v13, vcc
.LBB871_2:                              ; =>This Inner Loop Header: Depth=1
	flat_load_dwordx4 v[26:29], v[4:5]
	v_add_co_u32_e32 v4, vcc, 0x80, v4
	v_addc_co_u32_e32 v5, vcc, 0, v5, vcc
	s_add_i32 s9, s9, 8
	s_cmp_ge_i32 s9, s3
	s_waitcnt vmcnt(0) lgkmcnt(0)
	v_xor_b32_e32 v29, 0x80000000, v29
	ds_write_b128 v22, v[26:29]
	flat_load_dwordx4 v[26:29], v[12:13]
	v_add_co_u32_e32 v12, vcc, 0x80, v12
	v_addc_co_u32_e32 v13, vcc, 0, v13, vcc
	s_waitcnt vmcnt(0) lgkmcnt(0)
	ds_write_b128 v23, v[26:29]
	s_waitcnt lgkmcnt(0)
	s_barrier
	ds_read_b128 v[26:29], v25
	ds_read_b128 v[30:33], v25 offset:16
	ds_read_b128 v[34:37], v25 offset:32
	;; [unrolled: 1-line block ×3, first 2 shown]
	ds_read_b128 v[42:45], v24
	s_waitcnt lgkmcnt(0)
	v_mul_f64 v[46:47], v[28:29], v[44:45]
	v_mul_f64 v[48:49], v[26:27], v[44:45]
	v_fma_f64 v[46:47], v[26:27], v[42:43], -v[46:47]
	v_fma_f64 v[48:49], v[28:29], v[42:43], v[48:49]
	v_add_f64 v[10:11], v[10:11], v[46:47]
	v_add_f64 v[20:21], v[48:49], v[20:21]
	ds_read_b128 v[46:49], v24 offset:256
	s_waitcnt lgkmcnt(0)
	v_mul_f64 v[50:51], v[28:29], v[48:49]
	v_fma_f64 v[50:51], v[26:27], v[46:47], -v[50:51]
	v_mul_f64 v[26:27], v[26:27], v[48:49]
	v_add_f64 v[2:3], v[2:3], v[50:51]
	v_fma_f64 v[26:27], v[28:29], v[46:47], v[26:27]
	v_add_f64 v[50:51], v[26:27], v[14:15]
	ds_read_b128 v[26:29], v25 offset:2048
	s_waitcnt lgkmcnt(0)
	v_mul_f64 v[14:15], v[28:29], v[44:45]
	v_mul_f64 v[44:45], v[26:27], v[44:45]
	v_fma_f64 v[14:15], v[26:27], v[42:43], -v[14:15]
	v_fma_f64 v[42:43], v[28:29], v[42:43], v[44:45]
	v_add_f64 v[44:45], v[8:9], v[14:15]
	v_mul_f64 v[8:9], v[28:29], v[48:49]
	v_mul_f64 v[14:15], v[26:27], v[48:49]
	v_add_f64 v[42:43], v[42:43], v[18:19]
	v_fma_f64 v[8:9], v[26:27], v[46:47], -v[8:9]
	v_fma_f64 v[14:15], v[28:29], v[46:47], v[14:15]
	v_add_f64 v[26:27], v[6:7], v[8:9]
	ds_read_b128 v[6:9], v24 offset:512
	v_add_f64 v[28:29], v[14:15], v[16:17]
	s_waitcnt lgkmcnt(0)
	v_mul_f64 v[14:15], v[32:33], v[8:9]
	v_mul_f64 v[16:17], v[30:31], v[8:9]
	v_fma_f64 v[14:15], v[30:31], v[6:7], -v[14:15]
	v_fma_f64 v[16:17], v[32:33], v[6:7], v[16:17]
	v_add_f64 v[10:11], v[10:11], v[14:15]
	v_add_f64 v[46:47], v[16:17], v[20:21]
	ds_read_b128 v[14:17], v24 offset:768
	s_waitcnt lgkmcnt(0)
	v_mul_f64 v[18:19], v[32:33], v[16:17]
	v_mul_f64 v[20:21], v[30:31], v[16:17]
	v_fma_f64 v[18:19], v[30:31], v[14:15], -v[18:19]
	v_fma_f64 v[20:21], v[32:33], v[14:15], v[20:21]
	v_add_f64 v[2:3], v[2:3], v[18:19]
	v_add_f64 v[30:31], v[20:21], v[50:51]
	ds_read_b128 v[18:21], v25 offset:2064
	s_waitcnt lgkmcnt(0)
	v_mul_f64 v[32:33], v[20:21], v[8:9]
	v_mul_f64 v[8:9], v[18:19], v[8:9]
	v_fma_f64 v[32:33], v[18:19], v[6:7], -v[32:33]
	v_fma_f64 v[6:7], v[20:21], v[6:7], v[8:9]
	v_mul_f64 v[8:9], v[18:19], v[16:17]
	v_add_f64 v[32:33], v[44:45], v[32:33]
	v_add_f64 v[42:43], v[6:7], v[42:43]
	v_mul_f64 v[6:7], v[20:21], v[16:17]
	v_fma_f64 v[8:9], v[20:21], v[14:15], v[8:9]
	v_fma_f64 v[6:7], v[18:19], v[14:15], -v[6:7]
	v_add_f64 v[28:29], v[8:9], v[28:29]
	v_add_f64 v[26:27], v[26:27], v[6:7]
	ds_read_b128 v[6:9], v24 offset:1024
	s_waitcnt lgkmcnt(0)
	v_mul_f64 v[14:15], v[36:37], v[8:9]
	v_mul_f64 v[16:17], v[34:35], v[8:9]
	v_fma_f64 v[14:15], v[34:35], v[6:7], -v[14:15]
	v_fma_f64 v[16:17], v[36:37], v[6:7], v[16:17]
	v_add_f64 v[10:11], v[10:11], v[14:15]
	v_add_f64 v[44:45], v[16:17], v[46:47]
	ds_read_b128 v[14:17], v24 offset:1280
	s_waitcnt lgkmcnt(0)
	v_mul_f64 v[18:19], v[36:37], v[16:17]
	v_mul_f64 v[20:21], v[34:35], v[16:17]
	v_fma_f64 v[18:19], v[34:35], v[14:15], -v[18:19]
	v_fma_f64 v[20:21], v[36:37], v[14:15], v[20:21]
	v_add_f64 v[2:3], v[2:3], v[18:19]
	v_add_f64 v[30:31], v[20:21], v[30:31]
	ds_read_b128 v[18:21], v25 offset:2080
	s_waitcnt lgkmcnt(0)
	v_mul_f64 v[34:35], v[20:21], v[8:9]
	v_mul_f64 v[8:9], v[18:19], v[8:9]
	v_fma_f64 v[34:35], v[18:19], v[6:7], -v[34:35]
	v_fma_f64 v[6:7], v[20:21], v[6:7], v[8:9]
	v_mul_f64 v[8:9], v[18:19], v[16:17]
	v_add_f64 v[32:33], v[32:33], v[34:35]
	v_add_f64 v[34:35], v[6:7], v[42:43]
	v_mul_f64 v[6:7], v[20:21], v[16:17]
	v_fma_f64 v[8:9], v[20:21], v[14:15], v[8:9]
	v_fma_f64 v[6:7], v[18:19], v[14:15], -v[6:7]
	v_add_f64 v[28:29], v[8:9], v[28:29]
	v_add_f64 v[26:27], v[26:27], v[6:7]
	ds_read_b128 v[6:9], v24 offset:1536
	;; [unrolled: 30-line block ×3, first 2 shown]
	ds_read_b128 v[14:17], v24 offset:2048
	s_waitcnt lgkmcnt(0)
	v_mul_f64 v[18:19], v[8:9], v[16:17]
	v_mul_f64 v[20:21], v[6:7], v[16:17]
	v_fma_f64 v[18:19], v[6:7], v[14:15], -v[18:19]
	v_fma_f64 v[20:21], v[8:9], v[14:15], v[20:21]
	v_add_f64 v[10:11], v[10:11], v[18:19]
	v_add_f64 v[36:37], v[20:21], v[36:37]
	ds_read_b128 v[18:21], v24 offset:2304
	s_waitcnt lgkmcnt(0)
	v_mul_f64 v[38:39], v[8:9], v[20:21]
	v_fma_f64 v[38:39], v[6:7], v[18:19], -v[38:39]
	v_mul_f64 v[6:7], v[6:7], v[20:21]
	v_add_f64 v[2:3], v[2:3], v[38:39]
	v_fma_f64 v[6:7], v[8:9], v[18:19], v[6:7]
	v_add_f64 v[30:31], v[6:7], v[30:31]
	ds_read_b128 v[6:9], v25 offset:2112
	s_waitcnt lgkmcnt(0)
	v_mul_f64 v[38:39], v[8:9], v[16:17]
	v_mul_f64 v[16:17], v[6:7], v[16:17]
	v_fma_f64 v[38:39], v[6:7], v[14:15], -v[38:39]
	v_fma_f64 v[14:15], v[8:9], v[14:15], v[16:17]
	v_add_f64 v[32:33], v[32:33], v[38:39]
	v_add_f64 v[34:35], v[14:15], v[34:35]
	v_mul_f64 v[14:15], v[8:9], v[20:21]
	v_fma_f64 v[14:15], v[6:7], v[18:19], -v[14:15]
	v_mul_f64 v[6:7], v[6:7], v[20:21]
	v_add_f64 v[26:27], v[26:27], v[14:15]
	v_fma_f64 v[6:7], v[8:9], v[18:19], v[6:7]
	v_add_f64 v[28:29], v[6:7], v[28:29]
	ds_read_b128 v[6:9], v25 offset:80
	ds_read_b128 v[14:17], v24 offset:2560
	s_waitcnt lgkmcnt(0)
	v_mul_f64 v[18:19], v[8:9], v[16:17]
	v_mul_f64 v[20:21], v[6:7], v[16:17]
	v_fma_f64 v[18:19], v[6:7], v[14:15], -v[18:19]
	v_fma_f64 v[20:21], v[8:9], v[14:15], v[20:21]
	v_add_f64 v[10:11], v[10:11], v[18:19]
	v_add_f64 v[36:37], v[20:21], v[36:37]
	ds_read_b128 v[18:21], v24 offset:2816
	s_waitcnt lgkmcnt(0)
	v_mul_f64 v[38:39], v[8:9], v[20:21]
	v_fma_f64 v[38:39], v[6:7], v[18:19], -v[38:39]
	v_mul_f64 v[6:7], v[6:7], v[20:21]
	v_add_f64 v[2:3], v[2:3], v[38:39]
	v_fma_f64 v[6:7], v[8:9], v[18:19], v[6:7]
	v_add_f64 v[30:31], v[6:7], v[30:31]
	ds_read_b128 v[6:9], v25 offset:2128
	s_waitcnt lgkmcnt(0)
	v_mul_f64 v[38:39], v[8:9], v[16:17]
	v_mul_f64 v[16:17], v[6:7], v[16:17]
	v_fma_f64 v[38:39], v[6:7], v[14:15], -v[38:39]
	v_fma_f64 v[14:15], v[8:9], v[14:15], v[16:17]
	v_add_f64 v[32:33], v[32:33], v[38:39]
	v_add_f64 v[34:35], v[14:15], v[34:35]
	v_mul_f64 v[14:15], v[8:9], v[20:21]
	v_fma_f64 v[14:15], v[6:7], v[18:19], -v[14:15]
	v_mul_f64 v[6:7], v[6:7], v[20:21]
	v_add_f64 v[26:27], v[26:27], v[14:15]
	v_fma_f64 v[6:7], v[8:9], v[18:19], v[6:7]
	v_add_f64 v[28:29], v[6:7], v[28:29]
	ds_read_b128 v[6:9], v25 offset:96
	;; [unrolled: 31-line block ×3, first 2 shown]
	ds_read_b128 v[16:19], v24 offset:3584
	ds_read_b128 v[26:29], v24 offset:3840
	s_waitcnt lgkmcnt(1)
	v_mul_f64 v[14:15], v[8:9], v[18:19]
	v_mul_f64 v[20:21], v[6:7], v[18:19]
	v_fma_f64 v[14:15], v[6:7], v[16:17], -v[14:15]
	v_fma_f64 v[20:21], v[8:9], v[16:17], v[20:21]
	v_add_f64 v[10:11], v[10:11], v[14:15]
	s_waitcnt lgkmcnt(0)
	v_mul_f64 v[14:15], v[8:9], v[28:29]
	v_add_f64 v[20:21], v[20:21], v[36:37]
	v_fma_f64 v[14:15], v[6:7], v[26:27], -v[14:15]
	v_mul_f64 v[6:7], v[6:7], v[28:29]
	v_add_f64 v[2:3], v[2:3], v[14:15]
	v_fma_f64 v[6:7], v[8:9], v[26:27], v[6:7]
	v_add_f64 v[14:15], v[6:7], v[30:31]
	ds_read_b128 v[30:33], v25 offset:2160
	s_waitcnt lgkmcnt(0)
	s_barrier
	v_mul_f64 v[6:7], v[32:33], v[18:19]
	v_mul_f64 v[8:9], v[30:31], v[18:19]
	v_fma_f64 v[6:7], v[30:31], v[16:17], -v[6:7]
	v_fma_f64 v[16:17], v[32:33], v[16:17], v[8:9]
	v_add_f64 v[8:9], v[38:39], v[6:7]
	v_add_f64 v[18:19], v[16:17], v[34:35]
	v_mul_f64 v[6:7], v[32:33], v[28:29]
	v_mul_f64 v[16:17], v[30:31], v[28:29]
	v_fma_f64 v[6:7], v[30:31], v[26:27], -v[6:7]
	v_fma_f64 v[16:17], v[32:33], v[26:27], v[16:17]
	v_add_f64 v[6:7], v[40:41], v[6:7]
	v_add_f64 v[16:17], v[16:17], v[42:43]
	s_cbranch_scc0 .LBB871_2
	s_branch .LBB871_4
.LBB871_3:
	v_mov_b32_e32 v10, 0
	v_mov_b32_e32 v20, 0
	;; [unrolled: 1-line block ×16, first 2 shown]
.LBB871_4:
	s_load_dword s3, s[4:5], 0x40
	v_add_u32_e32 v22, s7, v1
	s_waitcnt lgkmcnt(0)
	v_mov_b32_e32 v1, s11
	v_add_u32_e32 v0, s6, v0
	v_cmp_gt_i32_e32 vcc, s2, v22
	v_mad_i64_i32 v[4:5], s[0:1], v22, s3, 0
	v_lshlrev_b64 v[4:5], 4, v[4:5]
	v_add_co_u32_e64 v4, s[0:1], s10, v4
	v_addc_co_u32_e64 v5, s[0:1], v1, v5, s[0:1]
	v_cmp_le_i32_e64 s[0:1], v0, v22
	s_and_b64 s[0:1], vcc, s[0:1]
	s_and_saveexec_b64 s[4:5], s[0:1]
	s_cbranch_execz .LBB871_6
; %bb.5:
	v_ashrrev_i32_e32 v1, 31, v0
	v_lshlrev_b64 v[12:13], 4, v[0:1]
	v_xor_b32_e32 v11, 0x80000000, v11
	v_add_co_u32_e64 v23, s[0:1], v4, v12
	v_addc_co_u32_e64 v24, s[0:1], v5, v13, s[0:1]
	v_cmp_ne_u32_e64 s[0:1], v22, v0
	v_cndmask_b32_e64 v13, 0, -v21, s[0:1]
	v_cndmask_b32_e64 v12, 0, v20, s[0:1]
	flat_store_dwordx4 v[23:24], v[10:13]
.LBB871_6:
	s_or_b64 exec, exec, s[4:5]
	v_add_u32_e32 v12, 16, v0
	v_cmp_le_i32_e64 s[0:1], v12, v22
	s_and_b64 s[4:5], vcc, s[0:1]
	s_and_saveexec_b64 s[0:1], s[4:5]
	s_cbranch_execz .LBB871_8
; %bb.7:
	v_ashrrev_i32_e32 v13, 31, v12
	v_lshlrev_b64 v[10:11], 4, v[12:13]
	v_xor_b32_e32 v3, 0x80000000, v3
	v_add_co_u32_e32 v10, vcc, v4, v10
	v_addc_co_u32_e32 v11, vcc, v5, v11, vcc
	v_cmp_ne_u32_e32 vcc, v22, v12
	v_cndmask_b32_e64 v5, 0, -v15, vcc
	v_cndmask_b32_e32 v4, 0, v14, vcc
	flat_store_dwordx4 v[10:11], v[2:5]
.LBB871_8:
	s_or_b64 exec, exec, s[0:1]
	v_add_u32_e32 v4, 16, v22
	v_mad_i64_i32 v[1:2], s[0:1], v4, s3, 0
	v_mov_b32_e32 v5, s11
	v_cmp_gt_i32_e32 vcc, s2, v4
	v_lshlrev_b64 v[2:3], 4, v[1:2]
	v_add_co_u32_e64 v2, s[0:1], s10, v2
	v_addc_co_u32_e64 v3, s[0:1], v5, v3, s[0:1]
	v_cmp_le_i32_e64 s[0:1], v0, v4
	s_and_b64 s[0:1], vcc, s[0:1]
	s_and_saveexec_b64 s[2:3], s[0:1]
	s_cbranch_execz .LBB871_10
; %bb.9:
	v_ashrrev_i32_e32 v1, 31, v0
	v_lshlrev_b64 v[10:11], 4, v[0:1]
	v_xor_b32_e32 v9, 0x80000000, v9
	v_add_co_u32_e64 v13, s[0:1], v2, v10
	v_addc_co_u32_e64 v14, s[0:1], v3, v11, s[0:1]
	v_cmp_ne_u32_e64 s[0:1], v4, v0
	v_cndmask_b32_e64 v11, 0, -v19, s[0:1]
	v_cndmask_b32_e64 v10, 0, v18, s[0:1]
	flat_store_dwordx4 v[13:14], v[8:11]
.LBB871_10:
	s_or_b64 exec, exec, s[2:3]
	v_cmp_le_i32_e64 s[0:1], v12, v4
	s_and_b64 s[0:1], vcc, s[0:1]
	s_and_saveexec_b64 s[2:3], s[0:1]
	s_cbranch_execz .LBB871_12
; %bb.11:
	v_ashrrev_i32_e32 v13, 31, v12
	v_lshlrev_b64 v[4:5], 4, v[12:13]
	v_xor_b32_e32 v7, 0x80000000, v7
	v_add_co_u32_e32 v1, vcc, v2, v4
	v_addc_co_u32_e32 v2, vcc, v3, v5, vcc
	v_cmp_ne_u32_e32 vcc, v22, v0
	v_cndmask_b32_e64 v9, 0, -v17, vcc
	v_cndmask_b32_e32 v8, 0, v16, vcc
	flat_store_dwordx4 v[1:2], v[6:9]
.LBB871_12:
	s_endpgm
	.section	.rodata,"a",@progbits
	.p2align	6, 0x0
	.amdhsa_kernel _ZL37rocblas_syrkx_herkx_restricted_kernelIi19rocblas_complex_numIdELi16ELi32ELi8ELin1ELi0ELb1ELc67ELc85EKPKS1_KPS1_EviT_PT9_S7_lS9_S7_lPT10_S7_li
		.amdhsa_group_segment_fixed_size 8192
		.amdhsa_private_segment_fixed_size 0
		.amdhsa_kernarg_size 84
		.amdhsa_user_sgpr_count 6
		.amdhsa_user_sgpr_private_segment_buffer 1
		.amdhsa_user_sgpr_dispatch_ptr 0
		.amdhsa_user_sgpr_queue_ptr 0
		.amdhsa_user_sgpr_kernarg_segment_ptr 1
		.amdhsa_user_sgpr_dispatch_id 0
		.amdhsa_user_sgpr_flat_scratch_init 0
		.amdhsa_user_sgpr_private_segment_size 0
		.amdhsa_uses_dynamic_stack 0
		.amdhsa_system_sgpr_private_segment_wavefront_offset 0
		.amdhsa_system_sgpr_workgroup_id_x 1
		.amdhsa_system_sgpr_workgroup_id_y 1
		.amdhsa_system_sgpr_workgroup_id_z 1
		.amdhsa_system_sgpr_workgroup_info 0
		.amdhsa_system_vgpr_workitem_id 1
		.amdhsa_next_free_vgpr 52
		.amdhsa_next_free_sgpr 61
		.amdhsa_reserve_vcc 1
		.amdhsa_reserve_flat_scratch 0
		.amdhsa_float_round_mode_32 0
		.amdhsa_float_round_mode_16_64 0
		.amdhsa_float_denorm_mode_32 3
		.amdhsa_float_denorm_mode_16_64 3
		.amdhsa_dx10_clamp 1
		.amdhsa_ieee_mode 1
		.amdhsa_fp16_overflow 0
		.amdhsa_exception_fp_ieee_invalid_op 0
		.amdhsa_exception_fp_denorm_src 0
		.amdhsa_exception_fp_ieee_div_zero 0
		.amdhsa_exception_fp_ieee_overflow 0
		.amdhsa_exception_fp_ieee_underflow 0
		.amdhsa_exception_fp_ieee_inexact 0
		.amdhsa_exception_int_div_zero 0
	.end_amdhsa_kernel
	.section	.text._ZL37rocblas_syrkx_herkx_restricted_kernelIi19rocblas_complex_numIdELi16ELi32ELi8ELin1ELi0ELb1ELc67ELc85EKPKS1_KPS1_EviT_PT9_S7_lS9_S7_lPT10_S7_li,"axG",@progbits,_ZL37rocblas_syrkx_herkx_restricted_kernelIi19rocblas_complex_numIdELi16ELi32ELi8ELin1ELi0ELb1ELc67ELc85EKPKS1_KPS1_EviT_PT9_S7_lS9_S7_lPT10_S7_li,comdat
.Lfunc_end871:
	.size	_ZL37rocblas_syrkx_herkx_restricted_kernelIi19rocblas_complex_numIdELi16ELi32ELi8ELin1ELi0ELb1ELc67ELc85EKPKS1_KPS1_EviT_PT9_S7_lS9_S7_lPT10_S7_li, .Lfunc_end871-_ZL37rocblas_syrkx_herkx_restricted_kernelIi19rocblas_complex_numIdELi16ELi32ELi8ELin1ELi0ELb1ELc67ELc85EKPKS1_KPS1_EviT_PT9_S7_lS9_S7_lPT10_S7_li
                                        ; -- End function
	.set _ZL37rocblas_syrkx_herkx_restricted_kernelIi19rocblas_complex_numIdELi16ELi32ELi8ELin1ELi0ELb1ELc67ELc85EKPKS1_KPS1_EviT_PT9_S7_lS9_S7_lPT10_S7_li.num_vgpr, 52
	.set _ZL37rocblas_syrkx_herkx_restricted_kernelIi19rocblas_complex_numIdELi16ELi32ELi8ELin1ELi0ELb1ELc67ELc85EKPKS1_KPS1_EviT_PT9_S7_lS9_S7_lPT10_S7_li.num_agpr, 0
	.set _ZL37rocblas_syrkx_herkx_restricted_kernelIi19rocblas_complex_numIdELi16ELi32ELi8ELin1ELi0ELb1ELc67ELc85EKPKS1_KPS1_EviT_PT9_S7_lS9_S7_lPT10_S7_li.numbered_sgpr, 17
	.set _ZL37rocblas_syrkx_herkx_restricted_kernelIi19rocblas_complex_numIdELi16ELi32ELi8ELin1ELi0ELb1ELc67ELc85EKPKS1_KPS1_EviT_PT9_S7_lS9_S7_lPT10_S7_li.num_named_barrier, 0
	.set _ZL37rocblas_syrkx_herkx_restricted_kernelIi19rocblas_complex_numIdELi16ELi32ELi8ELin1ELi0ELb1ELc67ELc85EKPKS1_KPS1_EviT_PT9_S7_lS9_S7_lPT10_S7_li.private_seg_size, 0
	.set _ZL37rocblas_syrkx_herkx_restricted_kernelIi19rocblas_complex_numIdELi16ELi32ELi8ELin1ELi0ELb1ELc67ELc85EKPKS1_KPS1_EviT_PT9_S7_lS9_S7_lPT10_S7_li.uses_vcc, 1
	.set _ZL37rocblas_syrkx_herkx_restricted_kernelIi19rocblas_complex_numIdELi16ELi32ELi8ELin1ELi0ELb1ELc67ELc85EKPKS1_KPS1_EviT_PT9_S7_lS9_S7_lPT10_S7_li.uses_flat_scratch, 0
	.set _ZL37rocblas_syrkx_herkx_restricted_kernelIi19rocblas_complex_numIdELi16ELi32ELi8ELin1ELi0ELb1ELc67ELc85EKPKS1_KPS1_EviT_PT9_S7_lS9_S7_lPT10_S7_li.has_dyn_sized_stack, 0
	.set _ZL37rocblas_syrkx_herkx_restricted_kernelIi19rocblas_complex_numIdELi16ELi32ELi8ELin1ELi0ELb1ELc67ELc85EKPKS1_KPS1_EviT_PT9_S7_lS9_S7_lPT10_S7_li.has_recursion, 0
	.set _ZL37rocblas_syrkx_herkx_restricted_kernelIi19rocblas_complex_numIdELi16ELi32ELi8ELin1ELi0ELb1ELc67ELc85EKPKS1_KPS1_EviT_PT9_S7_lS9_S7_lPT10_S7_li.has_indirect_call, 0
	.section	.AMDGPU.csdata,"",@progbits
; Kernel info:
; codeLenInByte = 2840
; TotalNumSgprs: 21
; NumVgprs: 52
; ScratchSize: 0
; MemoryBound: 0
; FloatMode: 240
; IeeeMode: 1
; LDSByteSize: 8192 bytes/workgroup (compile time only)
; SGPRBlocks: 8
; VGPRBlocks: 12
; NumSGPRsForWavesPerEU: 65
; NumVGPRsForWavesPerEU: 52
; Occupancy: 4
; WaveLimiterHint : 1
; COMPUTE_PGM_RSRC2:SCRATCH_EN: 0
; COMPUTE_PGM_RSRC2:USER_SGPR: 6
; COMPUTE_PGM_RSRC2:TRAP_HANDLER: 0
; COMPUTE_PGM_RSRC2:TGID_X_EN: 1
; COMPUTE_PGM_RSRC2:TGID_Y_EN: 1
; COMPUTE_PGM_RSRC2:TGID_Z_EN: 1
; COMPUTE_PGM_RSRC2:TIDIG_COMP_CNT: 1
	.section	.text._ZL37rocblas_syrkx_herkx_restricted_kernelIi19rocblas_complex_numIdELi16ELi32ELi8ELin1ELi0ELb1ELc78ELc85EKPKS1_KPS1_EviT_PT9_S7_lS9_S7_lPT10_S7_li,"axG",@progbits,_ZL37rocblas_syrkx_herkx_restricted_kernelIi19rocblas_complex_numIdELi16ELi32ELi8ELin1ELi0ELb1ELc78ELc85EKPKS1_KPS1_EviT_PT9_S7_lS9_S7_lPT10_S7_li,comdat
	.globl	_ZL37rocblas_syrkx_herkx_restricted_kernelIi19rocblas_complex_numIdELi16ELi32ELi8ELin1ELi0ELb1ELc78ELc85EKPKS1_KPS1_EviT_PT9_S7_lS9_S7_lPT10_S7_li ; -- Begin function _ZL37rocblas_syrkx_herkx_restricted_kernelIi19rocblas_complex_numIdELi16ELi32ELi8ELin1ELi0ELb1ELc78ELc85EKPKS1_KPS1_EviT_PT9_S7_lS9_S7_lPT10_S7_li
	.p2align	8
	.type	_ZL37rocblas_syrkx_herkx_restricted_kernelIi19rocblas_complex_numIdELi16ELi32ELi8ELin1ELi0ELb1ELc78ELc85EKPKS1_KPS1_EviT_PT9_S7_lS9_S7_lPT10_S7_li,@function
_ZL37rocblas_syrkx_herkx_restricted_kernelIi19rocblas_complex_numIdELi16ELi32ELi8ELin1ELi0ELb1ELc78ELc85EKPKS1_KPS1_EviT_PT9_S7_lS9_S7_lPT10_S7_li: ; @_ZL37rocblas_syrkx_herkx_restricted_kernelIi19rocblas_complex_numIdELi16ELi32ELi8ELin1ELi0ELb1ELc78ELc85EKPKS1_KPS1_EviT_PT9_S7_lS9_S7_lPT10_S7_li
; %bb.0:
	s_load_dwordx2 s[10:11], s[4:5], 0x38
	s_load_dwordx2 s[2:3], s[4:5], 0x0
	s_mov_b32 s9, 0
	s_lshl_b64 s[0:1], s[8:9], 3
	s_waitcnt lgkmcnt(0)
	s_add_u32 s10, s10, s0
	s_addc_u32 s11, s11, s1
	s_load_dwordx2 s[10:11], s[10:11], 0x0
	s_lshl_b32 s8, s6, 5
	s_lshl_b32 s12, s7, 5
	s_cmp_lt_i32 s3, 1
	s_cbranch_scc1 .LBB872_3
; %bb.1:
	s_load_dword s6, s[4:5], 0x10
	s_load_dword s14, s[4:5], 0x28
	s_load_dwordx2 s[16:17], s[4:5], 0x20
	s_load_dwordx2 s[18:19], s[4:5], 0x8
	v_lshl_add_u32 v5, v1, 4, v0
	s_waitcnt lgkmcnt(0)
	s_ashr_i32 s7, s6, 31
	s_ashr_i32 s15, s14, 31
	v_lshrrev_b32_e32 v6, 3, v5
	s_add_u32 s18, s18, s0
	s_addc_u32 s19, s19, s1
	s_add_u32 s0, s16, s0
	v_add_u32_e32 v2, s12, v6
	s_addc_u32 s1, s17, s1
	v_and_b32_e32 v4, 7, v0
	v_ashrrev_i32_e32 v3, 31, v2
	s_load_dwordx2 s[16:17], s[0:1], 0x0
	v_mad_i64_i32 v[2:3], s[0:1], s14, v4, v[2:3]
	v_lshlrev_b32_e32 v4, 4, v4
	v_lshrrev_b32_e32 v7, 5, v5
	v_and_b32_e32 v5, 31, v5
	v_lshl_or_b32 v4, v6, 7, v4
	v_add_u32_e32 v23, 0x1000, v4
	v_add_u32_e32 v4, s8, v5
	v_lshlrev_b32_e32 v8, 4, v5
	v_ashrrev_i32_e32 v5, 31, v4
	v_mad_i64_i32 v[4:5], s[0:1], s6, v7, v[4:5]
	s_load_dwordx2 s[18:19], s[18:19], 0x0
	v_mov_b32_e32 v6, 0x1000
	v_lshlrev_b64 v[4:5], 4, v[4:5]
	v_lshl_add_u32 v25, v1, 7, v6
	v_lshlrev_b64 v[2:3], 4, v[2:3]
	s_waitcnt lgkmcnt(0)
	v_mov_b32_e32 v6, s19
	v_add_co_u32_e32 v4, vcc, s18, v4
	v_addc_co_u32_e32 v5, vcc, v6, v5, vcc
	v_mov_b32_e32 v6, s17
	v_add_co_u32_e32 v12, vcc, s16, v2
	v_lshl_or_b32 v22, v7, 9, v8
	s_lshl_b64 s[0:1], s[6:7], 7
	v_addc_co_u32_e32 v13, vcc, v6, v3, vcc
	s_lshl_b64 s[6:7], s[14:15], 7
	v_mov_b32_e32 v16, 0
	v_mov_b32_e32 v6, 0
	;; [unrolled: 1-line block ×8, first 2 shown]
	v_lshlrev_b32_e32 v24, 4, v0
	v_mov_b32_e32 v17, 0
	v_mov_b32_e32 v26, s1
	;; [unrolled: 1-line block ×10, first 2 shown]
.LBB872_2:                              ; =>This Inner Loop Header: Depth=1
	flat_load_dwordx4 v[28:31], v[4:5]
	v_add_co_u32_e32 v4, vcc, s0, v4
	v_addc_co_u32_e32 v5, vcc, v5, v26, vcc
	s_add_i32 s9, s9, 8
	s_cmp_ge_i32 s9, s3
	s_waitcnt vmcnt(0) lgkmcnt(0)
	ds_write_b128 v22, v[28:31]
	flat_load_dwordx4 v[28:31], v[12:13]
	v_add_co_u32_e32 v12, vcc, s6, v12
	v_addc_co_u32_e32 v13, vcc, v13, v27, vcc
	s_waitcnt vmcnt(0) lgkmcnt(0)
	v_xor_b32_e32 v31, 0x80000000, v31
	ds_write_b128 v23, v[28:31]
	s_waitcnt lgkmcnt(0)
	s_barrier
	ds_read_b128 v[28:31], v25
	ds_read_b128 v[32:35], v25 offset:16
	ds_read_b128 v[36:39], v25 offset:32
	;; [unrolled: 1-line block ×3, first 2 shown]
	ds_read_b128 v[44:47], v24
	s_waitcnt lgkmcnt(0)
	v_mul_f64 v[48:49], v[30:31], v[46:47]
	v_mul_f64 v[50:51], v[28:29], v[46:47]
	v_fma_f64 v[48:49], v[28:29], v[44:45], -v[48:49]
	v_fma_f64 v[50:51], v[30:31], v[44:45], v[50:51]
	v_add_f64 v[10:11], v[10:11], v[48:49]
	v_add_f64 v[20:21], v[50:51], v[20:21]
	ds_read_b128 v[48:51], v24 offset:256
	s_waitcnt lgkmcnt(0)
	v_mul_f64 v[52:53], v[30:31], v[50:51]
	v_fma_f64 v[52:53], v[28:29], v[48:49], -v[52:53]
	v_mul_f64 v[28:29], v[28:29], v[50:51]
	v_add_f64 v[2:3], v[2:3], v[52:53]
	v_fma_f64 v[28:29], v[30:31], v[48:49], v[28:29]
	v_add_f64 v[52:53], v[28:29], v[14:15]
	ds_read_b128 v[28:31], v25 offset:2048
	s_waitcnt lgkmcnt(0)
	v_mul_f64 v[14:15], v[30:31], v[46:47]
	v_mul_f64 v[46:47], v[28:29], v[46:47]
	v_fma_f64 v[14:15], v[28:29], v[44:45], -v[14:15]
	v_fma_f64 v[44:45], v[30:31], v[44:45], v[46:47]
	v_add_f64 v[46:47], v[8:9], v[14:15]
	v_mul_f64 v[8:9], v[30:31], v[50:51]
	v_mul_f64 v[14:15], v[28:29], v[50:51]
	v_add_f64 v[44:45], v[44:45], v[18:19]
	v_fma_f64 v[8:9], v[28:29], v[48:49], -v[8:9]
	v_fma_f64 v[14:15], v[30:31], v[48:49], v[14:15]
	v_add_f64 v[28:29], v[6:7], v[8:9]
	ds_read_b128 v[6:9], v24 offset:512
	v_add_f64 v[30:31], v[14:15], v[16:17]
	s_waitcnt lgkmcnt(0)
	v_mul_f64 v[14:15], v[34:35], v[8:9]
	v_mul_f64 v[16:17], v[32:33], v[8:9]
	v_fma_f64 v[14:15], v[32:33], v[6:7], -v[14:15]
	v_fma_f64 v[16:17], v[34:35], v[6:7], v[16:17]
	v_add_f64 v[10:11], v[10:11], v[14:15]
	v_add_f64 v[48:49], v[16:17], v[20:21]
	ds_read_b128 v[14:17], v24 offset:768
	s_waitcnt lgkmcnt(0)
	v_mul_f64 v[18:19], v[34:35], v[16:17]
	v_mul_f64 v[20:21], v[32:33], v[16:17]
	v_fma_f64 v[18:19], v[32:33], v[14:15], -v[18:19]
	v_fma_f64 v[20:21], v[34:35], v[14:15], v[20:21]
	v_add_f64 v[2:3], v[2:3], v[18:19]
	v_add_f64 v[32:33], v[20:21], v[52:53]
	ds_read_b128 v[18:21], v25 offset:2064
	s_waitcnt lgkmcnt(0)
	v_mul_f64 v[34:35], v[20:21], v[8:9]
	v_mul_f64 v[8:9], v[18:19], v[8:9]
	v_fma_f64 v[34:35], v[18:19], v[6:7], -v[34:35]
	v_fma_f64 v[6:7], v[20:21], v[6:7], v[8:9]
	v_mul_f64 v[8:9], v[18:19], v[16:17]
	v_add_f64 v[34:35], v[46:47], v[34:35]
	v_add_f64 v[44:45], v[6:7], v[44:45]
	v_mul_f64 v[6:7], v[20:21], v[16:17]
	v_fma_f64 v[8:9], v[20:21], v[14:15], v[8:9]
	v_fma_f64 v[6:7], v[18:19], v[14:15], -v[6:7]
	v_add_f64 v[30:31], v[8:9], v[30:31]
	v_add_f64 v[28:29], v[28:29], v[6:7]
	ds_read_b128 v[6:9], v24 offset:1024
	s_waitcnt lgkmcnt(0)
	v_mul_f64 v[14:15], v[38:39], v[8:9]
	v_mul_f64 v[16:17], v[36:37], v[8:9]
	v_fma_f64 v[14:15], v[36:37], v[6:7], -v[14:15]
	v_fma_f64 v[16:17], v[38:39], v[6:7], v[16:17]
	v_add_f64 v[10:11], v[10:11], v[14:15]
	v_add_f64 v[46:47], v[16:17], v[48:49]
	ds_read_b128 v[14:17], v24 offset:1280
	s_waitcnt lgkmcnt(0)
	v_mul_f64 v[18:19], v[38:39], v[16:17]
	v_mul_f64 v[20:21], v[36:37], v[16:17]
	v_fma_f64 v[18:19], v[36:37], v[14:15], -v[18:19]
	v_fma_f64 v[20:21], v[38:39], v[14:15], v[20:21]
	v_add_f64 v[2:3], v[2:3], v[18:19]
	v_add_f64 v[32:33], v[20:21], v[32:33]
	ds_read_b128 v[18:21], v25 offset:2080
	s_waitcnt lgkmcnt(0)
	v_mul_f64 v[36:37], v[20:21], v[8:9]
	v_mul_f64 v[8:9], v[18:19], v[8:9]
	v_fma_f64 v[36:37], v[18:19], v[6:7], -v[36:37]
	v_fma_f64 v[6:7], v[20:21], v[6:7], v[8:9]
	v_mul_f64 v[8:9], v[18:19], v[16:17]
	v_add_f64 v[34:35], v[34:35], v[36:37]
	v_add_f64 v[36:37], v[6:7], v[44:45]
	v_mul_f64 v[6:7], v[20:21], v[16:17]
	v_fma_f64 v[8:9], v[20:21], v[14:15], v[8:9]
	v_fma_f64 v[6:7], v[18:19], v[14:15], -v[6:7]
	v_add_f64 v[30:31], v[8:9], v[30:31]
	v_add_f64 v[28:29], v[28:29], v[6:7]
	ds_read_b128 v[6:9], v24 offset:1536
	;; [unrolled: 30-line block ×3, first 2 shown]
	ds_read_b128 v[14:17], v24 offset:2048
	s_waitcnt lgkmcnt(0)
	v_mul_f64 v[18:19], v[8:9], v[16:17]
	v_mul_f64 v[20:21], v[6:7], v[16:17]
	v_fma_f64 v[18:19], v[6:7], v[14:15], -v[18:19]
	v_fma_f64 v[20:21], v[8:9], v[14:15], v[20:21]
	v_add_f64 v[10:11], v[10:11], v[18:19]
	v_add_f64 v[38:39], v[20:21], v[38:39]
	ds_read_b128 v[18:21], v24 offset:2304
	s_waitcnt lgkmcnt(0)
	v_mul_f64 v[40:41], v[8:9], v[20:21]
	v_fma_f64 v[40:41], v[6:7], v[18:19], -v[40:41]
	v_mul_f64 v[6:7], v[6:7], v[20:21]
	v_add_f64 v[2:3], v[2:3], v[40:41]
	v_fma_f64 v[6:7], v[8:9], v[18:19], v[6:7]
	v_add_f64 v[32:33], v[6:7], v[32:33]
	ds_read_b128 v[6:9], v25 offset:2112
	s_waitcnt lgkmcnt(0)
	v_mul_f64 v[40:41], v[8:9], v[16:17]
	v_mul_f64 v[16:17], v[6:7], v[16:17]
	v_fma_f64 v[40:41], v[6:7], v[14:15], -v[40:41]
	v_fma_f64 v[14:15], v[8:9], v[14:15], v[16:17]
	v_add_f64 v[34:35], v[34:35], v[40:41]
	v_add_f64 v[36:37], v[14:15], v[36:37]
	v_mul_f64 v[14:15], v[8:9], v[20:21]
	v_fma_f64 v[14:15], v[6:7], v[18:19], -v[14:15]
	v_mul_f64 v[6:7], v[6:7], v[20:21]
	v_add_f64 v[28:29], v[28:29], v[14:15]
	v_fma_f64 v[6:7], v[8:9], v[18:19], v[6:7]
	v_add_f64 v[30:31], v[6:7], v[30:31]
	ds_read_b128 v[6:9], v25 offset:80
	ds_read_b128 v[14:17], v24 offset:2560
	s_waitcnt lgkmcnt(0)
	v_mul_f64 v[18:19], v[8:9], v[16:17]
	v_mul_f64 v[20:21], v[6:7], v[16:17]
	v_fma_f64 v[18:19], v[6:7], v[14:15], -v[18:19]
	v_fma_f64 v[20:21], v[8:9], v[14:15], v[20:21]
	v_add_f64 v[10:11], v[10:11], v[18:19]
	v_add_f64 v[38:39], v[20:21], v[38:39]
	ds_read_b128 v[18:21], v24 offset:2816
	s_waitcnt lgkmcnt(0)
	v_mul_f64 v[40:41], v[8:9], v[20:21]
	v_fma_f64 v[40:41], v[6:7], v[18:19], -v[40:41]
	v_mul_f64 v[6:7], v[6:7], v[20:21]
	v_add_f64 v[2:3], v[2:3], v[40:41]
	v_fma_f64 v[6:7], v[8:9], v[18:19], v[6:7]
	v_add_f64 v[32:33], v[6:7], v[32:33]
	ds_read_b128 v[6:9], v25 offset:2128
	s_waitcnt lgkmcnt(0)
	v_mul_f64 v[40:41], v[8:9], v[16:17]
	v_mul_f64 v[16:17], v[6:7], v[16:17]
	v_fma_f64 v[40:41], v[6:7], v[14:15], -v[40:41]
	v_fma_f64 v[14:15], v[8:9], v[14:15], v[16:17]
	v_add_f64 v[34:35], v[34:35], v[40:41]
	v_add_f64 v[36:37], v[14:15], v[36:37]
	v_mul_f64 v[14:15], v[8:9], v[20:21]
	v_fma_f64 v[14:15], v[6:7], v[18:19], -v[14:15]
	v_mul_f64 v[6:7], v[6:7], v[20:21]
	v_add_f64 v[28:29], v[28:29], v[14:15]
	v_fma_f64 v[6:7], v[8:9], v[18:19], v[6:7]
	v_add_f64 v[30:31], v[6:7], v[30:31]
	ds_read_b128 v[6:9], v25 offset:96
	;; [unrolled: 31-line block ×3, first 2 shown]
	ds_read_b128 v[16:19], v24 offset:3584
	ds_read_b128 v[28:31], v24 offset:3840
	s_waitcnt lgkmcnt(1)
	v_mul_f64 v[14:15], v[8:9], v[18:19]
	v_mul_f64 v[20:21], v[6:7], v[18:19]
	v_fma_f64 v[14:15], v[6:7], v[16:17], -v[14:15]
	v_fma_f64 v[20:21], v[8:9], v[16:17], v[20:21]
	v_add_f64 v[10:11], v[10:11], v[14:15]
	s_waitcnt lgkmcnt(0)
	v_mul_f64 v[14:15], v[8:9], v[30:31]
	v_add_f64 v[20:21], v[20:21], v[38:39]
	v_fma_f64 v[14:15], v[6:7], v[28:29], -v[14:15]
	v_mul_f64 v[6:7], v[6:7], v[30:31]
	v_add_f64 v[2:3], v[2:3], v[14:15]
	v_fma_f64 v[6:7], v[8:9], v[28:29], v[6:7]
	v_add_f64 v[14:15], v[6:7], v[32:33]
	ds_read_b128 v[32:35], v25 offset:2160
	s_waitcnt lgkmcnt(0)
	s_barrier
	v_mul_f64 v[6:7], v[34:35], v[18:19]
	v_mul_f64 v[8:9], v[32:33], v[18:19]
	v_fma_f64 v[6:7], v[32:33], v[16:17], -v[6:7]
	v_fma_f64 v[16:17], v[34:35], v[16:17], v[8:9]
	v_add_f64 v[8:9], v[40:41], v[6:7]
	v_add_f64 v[18:19], v[16:17], v[36:37]
	v_mul_f64 v[6:7], v[34:35], v[30:31]
	v_mul_f64 v[16:17], v[32:33], v[30:31]
	v_fma_f64 v[6:7], v[32:33], v[28:29], -v[6:7]
	v_fma_f64 v[16:17], v[34:35], v[28:29], v[16:17]
	v_add_f64 v[6:7], v[42:43], v[6:7]
	v_add_f64 v[16:17], v[16:17], v[44:45]
	s_cbranch_scc0 .LBB872_2
	s_branch .LBB872_4
.LBB872_3:
	v_mov_b32_e32 v10, 0
	v_mov_b32_e32 v20, 0
	;; [unrolled: 1-line block ×16, first 2 shown]
.LBB872_4:
	s_load_dword s3, s[4:5], 0x40
	v_add_u32_e32 v22, s12, v1
	s_waitcnt lgkmcnt(0)
	v_mov_b32_e32 v1, s11
	v_add_u32_e32 v0, s8, v0
	v_cmp_gt_i32_e32 vcc, s2, v22
	v_mad_i64_i32 v[4:5], s[0:1], v22, s3, 0
	v_lshlrev_b64 v[4:5], 4, v[4:5]
	v_add_co_u32_e64 v4, s[0:1], s10, v4
	v_addc_co_u32_e64 v5, s[0:1], v1, v5, s[0:1]
	v_cmp_le_i32_e64 s[0:1], v0, v22
	s_and_b64 s[0:1], vcc, s[0:1]
	s_and_saveexec_b64 s[4:5], s[0:1]
	s_cbranch_execz .LBB872_6
; %bb.5:
	v_ashrrev_i32_e32 v1, 31, v0
	v_lshlrev_b64 v[12:13], 4, v[0:1]
	v_xor_b32_e32 v11, 0x80000000, v11
	v_add_co_u32_e64 v23, s[0:1], v4, v12
	v_addc_co_u32_e64 v24, s[0:1], v5, v13, s[0:1]
	v_cmp_ne_u32_e64 s[0:1], v22, v0
	v_cndmask_b32_e64 v13, 0, -v21, s[0:1]
	v_cndmask_b32_e64 v12, 0, v20, s[0:1]
	flat_store_dwordx4 v[23:24], v[10:13]
.LBB872_6:
	s_or_b64 exec, exec, s[4:5]
	v_add_u32_e32 v12, 16, v0
	v_cmp_le_i32_e64 s[0:1], v12, v22
	s_and_b64 s[4:5], vcc, s[0:1]
	s_and_saveexec_b64 s[0:1], s[4:5]
	s_cbranch_execz .LBB872_8
; %bb.7:
	v_ashrrev_i32_e32 v13, 31, v12
	v_lshlrev_b64 v[10:11], 4, v[12:13]
	v_xor_b32_e32 v3, 0x80000000, v3
	v_add_co_u32_e32 v10, vcc, v4, v10
	v_addc_co_u32_e32 v11, vcc, v5, v11, vcc
	v_cmp_ne_u32_e32 vcc, v22, v12
	v_cndmask_b32_e64 v5, 0, -v15, vcc
	v_cndmask_b32_e32 v4, 0, v14, vcc
	flat_store_dwordx4 v[10:11], v[2:5]
.LBB872_8:
	s_or_b64 exec, exec, s[0:1]
	v_add_u32_e32 v4, 16, v22
	v_mad_i64_i32 v[1:2], s[0:1], v4, s3, 0
	v_mov_b32_e32 v5, s11
	v_cmp_gt_i32_e32 vcc, s2, v4
	v_lshlrev_b64 v[2:3], 4, v[1:2]
	v_add_co_u32_e64 v2, s[0:1], s10, v2
	v_addc_co_u32_e64 v3, s[0:1], v5, v3, s[0:1]
	v_cmp_le_i32_e64 s[0:1], v0, v4
	s_and_b64 s[0:1], vcc, s[0:1]
	s_and_saveexec_b64 s[2:3], s[0:1]
	s_cbranch_execz .LBB872_10
; %bb.9:
	v_ashrrev_i32_e32 v1, 31, v0
	v_lshlrev_b64 v[10:11], 4, v[0:1]
	v_xor_b32_e32 v9, 0x80000000, v9
	v_add_co_u32_e64 v13, s[0:1], v2, v10
	v_addc_co_u32_e64 v14, s[0:1], v3, v11, s[0:1]
	v_cmp_ne_u32_e64 s[0:1], v4, v0
	v_cndmask_b32_e64 v11, 0, -v19, s[0:1]
	v_cndmask_b32_e64 v10, 0, v18, s[0:1]
	flat_store_dwordx4 v[13:14], v[8:11]
.LBB872_10:
	s_or_b64 exec, exec, s[2:3]
	v_cmp_le_i32_e64 s[0:1], v12, v4
	s_and_b64 s[0:1], vcc, s[0:1]
	s_and_saveexec_b64 s[2:3], s[0:1]
	s_cbranch_execz .LBB872_12
; %bb.11:
	v_ashrrev_i32_e32 v13, 31, v12
	v_lshlrev_b64 v[4:5], 4, v[12:13]
	v_xor_b32_e32 v7, 0x80000000, v7
	v_add_co_u32_e32 v1, vcc, v2, v4
	v_addc_co_u32_e32 v2, vcc, v3, v5, vcc
	v_cmp_ne_u32_e32 vcc, v22, v0
	v_cndmask_b32_e64 v9, 0, -v17, vcc
	v_cndmask_b32_e32 v8, 0, v16, vcc
	flat_store_dwordx4 v[1:2], v[6:9]
.LBB872_12:
	s_endpgm
	.section	.rodata,"a",@progbits
	.p2align	6, 0x0
	.amdhsa_kernel _ZL37rocblas_syrkx_herkx_restricted_kernelIi19rocblas_complex_numIdELi16ELi32ELi8ELin1ELi0ELb1ELc78ELc85EKPKS1_KPS1_EviT_PT9_S7_lS9_S7_lPT10_S7_li
		.amdhsa_group_segment_fixed_size 8192
		.amdhsa_private_segment_fixed_size 0
		.amdhsa_kernarg_size 84
		.amdhsa_user_sgpr_count 6
		.amdhsa_user_sgpr_private_segment_buffer 1
		.amdhsa_user_sgpr_dispatch_ptr 0
		.amdhsa_user_sgpr_queue_ptr 0
		.amdhsa_user_sgpr_kernarg_segment_ptr 1
		.amdhsa_user_sgpr_dispatch_id 0
		.amdhsa_user_sgpr_flat_scratch_init 0
		.amdhsa_user_sgpr_private_segment_size 0
		.amdhsa_uses_dynamic_stack 0
		.amdhsa_system_sgpr_private_segment_wavefront_offset 0
		.amdhsa_system_sgpr_workgroup_id_x 1
		.amdhsa_system_sgpr_workgroup_id_y 1
		.amdhsa_system_sgpr_workgroup_id_z 1
		.amdhsa_system_sgpr_workgroup_info 0
		.amdhsa_system_vgpr_workitem_id 1
		.amdhsa_next_free_vgpr 54
		.amdhsa_next_free_sgpr 61
		.amdhsa_reserve_vcc 1
		.amdhsa_reserve_flat_scratch 0
		.amdhsa_float_round_mode_32 0
		.amdhsa_float_round_mode_16_64 0
		.amdhsa_float_denorm_mode_32 3
		.amdhsa_float_denorm_mode_16_64 3
		.amdhsa_dx10_clamp 1
		.amdhsa_ieee_mode 1
		.amdhsa_fp16_overflow 0
		.amdhsa_exception_fp_ieee_invalid_op 0
		.amdhsa_exception_fp_denorm_src 0
		.amdhsa_exception_fp_ieee_div_zero 0
		.amdhsa_exception_fp_ieee_overflow 0
		.amdhsa_exception_fp_ieee_underflow 0
		.amdhsa_exception_fp_ieee_inexact 0
		.amdhsa_exception_int_div_zero 0
	.end_amdhsa_kernel
	.section	.text._ZL37rocblas_syrkx_herkx_restricted_kernelIi19rocblas_complex_numIdELi16ELi32ELi8ELin1ELi0ELb1ELc78ELc85EKPKS1_KPS1_EviT_PT9_S7_lS9_S7_lPT10_S7_li,"axG",@progbits,_ZL37rocblas_syrkx_herkx_restricted_kernelIi19rocblas_complex_numIdELi16ELi32ELi8ELin1ELi0ELb1ELc78ELc85EKPKS1_KPS1_EviT_PT9_S7_lS9_S7_lPT10_S7_li,comdat
.Lfunc_end872:
	.size	_ZL37rocblas_syrkx_herkx_restricted_kernelIi19rocblas_complex_numIdELi16ELi32ELi8ELin1ELi0ELb1ELc78ELc85EKPKS1_KPS1_EviT_PT9_S7_lS9_S7_lPT10_S7_li, .Lfunc_end872-_ZL37rocblas_syrkx_herkx_restricted_kernelIi19rocblas_complex_numIdELi16ELi32ELi8ELin1ELi0ELb1ELc78ELc85EKPKS1_KPS1_EviT_PT9_S7_lS9_S7_lPT10_S7_li
                                        ; -- End function
	.set _ZL37rocblas_syrkx_herkx_restricted_kernelIi19rocblas_complex_numIdELi16ELi32ELi8ELin1ELi0ELb1ELc78ELc85EKPKS1_KPS1_EviT_PT9_S7_lS9_S7_lPT10_S7_li.num_vgpr, 54
	.set _ZL37rocblas_syrkx_herkx_restricted_kernelIi19rocblas_complex_numIdELi16ELi32ELi8ELin1ELi0ELb1ELc78ELc85EKPKS1_KPS1_EviT_PT9_S7_lS9_S7_lPT10_S7_li.num_agpr, 0
	.set _ZL37rocblas_syrkx_herkx_restricted_kernelIi19rocblas_complex_numIdELi16ELi32ELi8ELin1ELi0ELb1ELc78ELc85EKPKS1_KPS1_EviT_PT9_S7_lS9_S7_lPT10_S7_li.numbered_sgpr, 20
	.set _ZL37rocblas_syrkx_herkx_restricted_kernelIi19rocblas_complex_numIdELi16ELi32ELi8ELin1ELi0ELb1ELc78ELc85EKPKS1_KPS1_EviT_PT9_S7_lS9_S7_lPT10_S7_li.num_named_barrier, 0
	.set _ZL37rocblas_syrkx_herkx_restricted_kernelIi19rocblas_complex_numIdELi16ELi32ELi8ELin1ELi0ELb1ELc78ELc85EKPKS1_KPS1_EviT_PT9_S7_lS9_S7_lPT10_S7_li.private_seg_size, 0
	.set _ZL37rocblas_syrkx_herkx_restricted_kernelIi19rocblas_complex_numIdELi16ELi32ELi8ELin1ELi0ELb1ELc78ELc85EKPKS1_KPS1_EviT_PT9_S7_lS9_S7_lPT10_S7_li.uses_vcc, 1
	.set _ZL37rocblas_syrkx_herkx_restricted_kernelIi19rocblas_complex_numIdELi16ELi32ELi8ELin1ELi0ELb1ELc78ELc85EKPKS1_KPS1_EviT_PT9_S7_lS9_S7_lPT10_S7_li.uses_flat_scratch, 0
	.set _ZL37rocblas_syrkx_herkx_restricted_kernelIi19rocblas_complex_numIdELi16ELi32ELi8ELin1ELi0ELb1ELc78ELc85EKPKS1_KPS1_EviT_PT9_S7_lS9_S7_lPT10_S7_li.has_dyn_sized_stack, 0
	.set _ZL37rocblas_syrkx_herkx_restricted_kernelIi19rocblas_complex_numIdELi16ELi32ELi8ELin1ELi0ELb1ELc78ELc85EKPKS1_KPS1_EviT_PT9_S7_lS9_S7_lPT10_S7_li.has_recursion, 0
	.set _ZL37rocblas_syrkx_herkx_restricted_kernelIi19rocblas_complex_numIdELi16ELi32ELi8ELin1ELi0ELb1ELc78ELc85EKPKS1_KPS1_EviT_PT9_S7_lS9_S7_lPT10_S7_li.has_indirect_call, 0
	.section	.AMDGPU.csdata,"",@progbits
; Kernel info:
; codeLenInByte = 2856
; TotalNumSgprs: 24
; NumVgprs: 54
; ScratchSize: 0
; MemoryBound: 0
; FloatMode: 240
; IeeeMode: 1
; LDSByteSize: 8192 bytes/workgroup (compile time only)
; SGPRBlocks: 8
; VGPRBlocks: 13
; NumSGPRsForWavesPerEU: 65
; NumVGPRsForWavesPerEU: 54
; Occupancy: 4
; WaveLimiterHint : 1
; COMPUTE_PGM_RSRC2:SCRATCH_EN: 0
; COMPUTE_PGM_RSRC2:USER_SGPR: 6
; COMPUTE_PGM_RSRC2:TRAP_HANDLER: 0
; COMPUTE_PGM_RSRC2:TGID_X_EN: 1
; COMPUTE_PGM_RSRC2:TGID_Y_EN: 1
; COMPUTE_PGM_RSRC2:TGID_Z_EN: 1
; COMPUTE_PGM_RSRC2:TIDIG_COMP_CNT: 1
	.section	.text._ZL37rocblas_syrkx_herkx_restricted_kernelIi19rocblas_complex_numIdELi16ELi32ELi8ELb1ELb1ELc84ELc76EKPKS1_KPS1_EviT_T0_PT8_S7_lSA_S7_lS8_PT9_S7_li,"axG",@progbits,_ZL37rocblas_syrkx_herkx_restricted_kernelIi19rocblas_complex_numIdELi16ELi32ELi8ELb1ELb1ELc84ELc76EKPKS1_KPS1_EviT_T0_PT8_S7_lSA_S7_lS8_PT9_S7_li,comdat
	.globl	_ZL37rocblas_syrkx_herkx_restricted_kernelIi19rocblas_complex_numIdELi16ELi32ELi8ELb1ELb1ELc84ELc76EKPKS1_KPS1_EviT_T0_PT8_S7_lSA_S7_lS8_PT9_S7_li ; -- Begin function _ZL37rocblas_syrkx_herkx_restricted_kernelIi19rocblas_complex_numIdELi16ELi32ELi8ELb1ELb1ELc84ELc76EKPKS1_KPS1_EviT_T0_PT8_S7_lSA_S7_lS8_PT9_S7_li
	.p2align	8
	.type	_ZL37rocblas_syrkx_herkx_restricted_kernelIi19rocblas_complex_numIdELi16ELi32ELi8ELb1ELb1ELc84ELc76EKPKS1_KPS1_EviT_T0_PT8_S7_lSA_S7_lS8_PT9_S7_li,@function
_ZL37rocblas_syrkx_herkx_restricted_kernelIi19rocblas_complex_numIdELi16ELi32ELi8ELb1ELb1ELc84ELc76EKPKS1_KPS1_EviT_T0_PT8_S7_lSA_S7_lS8_PT9_S7_li: ; @_ZL37rocblas_syrkx_herkx_restricted_kernelIi19rocblas_complex_numIdELi16ELi32ELi8ELb1ELb1ELc84ELc76EKPKS1_KPS1_EviT_T0_PT8_S7_lSA_S7_lS8_PT9_S7_li
; %bb.0:
	s_load_dwordx2 s[0:1], s[4:5], 0x18
	s_load_dwordx2 s[10:11], s[4:5], 0x58
	;; [unrolled: 1-line block ×3, first 2 shown]
	s_load_dwordx4 s[12:15], s[4:5], 0x8
	s_mov_b32 s9, 0
	s_lshl_b64 s[2:3], s[8:9], 3
	s_waitcnt lgkmcnt(0)
	s_add_u32 s10, s10, s2
	s_addc_u32 s11, s11, s3
	s_load_dwordx2 s[10:11], s[10:11], 0x0
	s_lshl_b32 s6, s6, 5
	s_lshl_b32 s7, s7, 5
	s_cmp_lt_i32 s17, 1
	s_cbranch_scc1 .LBB873_3
; %bb.1:
	s_load_dword s8, s[4:5], 0x20
	s_load_dwordx2 s[18:19], s[4:5], 0x30
	s_load_dword s20, s[4:5], 0x38
	s_add_u32 s0, s0, s2
	v_lshl_add_u32 v3, v1, 4, v0
	s_addc_u32 s1, s1, s3
	v_lshrrev_b32_e32 v8, 3, v3
	s_waitcnt lgkmcnt(0)
	s_add_u32 s2, s18, s2
	v_lshrrev_b32_e32 v2, 5, v3
	v_and_b32_e32 v4, 7, v0
	v_and_b32_e32 v9, 31, v3
	v_add_u32_e32 v3, s7, v8
	v_mov_b32_e32 v5, 0
	s_addc_u32 s3, s19, s3
	v_mad_i64_i32 v[6:7], s[18:19], s20, v3, v[4:5]
	v_mov_b32_e32 v3, v5
	v_lshlrev_b32_e32 v5, 4, v9
	v_lshl_or_b32 v22, v2, 9, v5
	v_add_u32_e32 v5, s6, v9
	v_mad_i64_i32 v[2:3], s[18:19], s8, v5, v[2:3]
	s_load_dwordx2 s[0:1], s[0:1], 0x0
	v_lshlrev_b32_e32 v4, 4, v4
	s_load_dwordx2 s[2:3], s[2:3], 0x0
	v_lshlrev_b64 v[2:3], 4, v[2:3]
	v_lshl_or_b32 v4, v8, 7, v4
	v_add_u32_e32 v23, 0x1000, v4
	s_waitcnt lgkmcnt(0)
	v_mov_b32_e32 v4, s1
	v_add_co_u32_e32 v2, vcc, s0, v2
	v_addc_co_u32_e32 v3, vcc, v4, v3, vcc
	v_lshlrev_b64 v[4:5], 4, v[6:7]
	v_mov_b32_e32 v6, s3
	v_add_co_u32_e32 v4, vcc, s2, v4
	v_mov_b32_e32 v25, 0x1000
	v_addc_co_u32_e32 v5, vcc, v6, v5, vcc
	v_mov_b32_e32 v12, 0
	v_mov_b32_e32 v10, 0
	;; [unrolled: 1-line block ×8, first 2 shown]
	v_lshlrev_b32_e32 v24, 4, v0
	v_mov_b32_e32 v13, 0
	v_mov_b32_e32 v11, 0
	;; [unrolled: 1-line block ×8, first 2 shown]
	v_lshl_add_u32 v25, v1, 7, v25
.LBB873_2:                              ; =>This Inner Loop Header: Depth=1
	flat_load_dwordx4 v[26:29], v[2:3]
	v_add_co_u32_e32 v2, vcc, 0x80, v2
	v_addc_co_u32_e32 v3, vcc, 0, v3, vcc
	s_add_i32 s9, s9, 8
	s_cmp_ge_i32 s9, s17
	s_waitcnt vmcnt(0) lgkmcnt(0)
	ds_write_b128 v22, v[26:29]
	flat_load_dwordx4 v[26:29], v[4:5]
	v_add_co_u32_e32 v4, vcc, 0x80, v4
	v_addc_co_u32_e32 v5, vcc, 0, v5, vcc
	s_waitcnt vmcnt(0) lgkmcnt(0)
	ds_write_b128 v23, v[26:29]
	s_waitcnt lgkmcnt(0)
	s_barrier
	ds_read_b128 v[26:29], v25
	ds_read_b128 v[30:33], v25 offset:16
	ds_read_b128 v[34:37], v25 offset:32
	;; [unrolled: 1-line block ×3, first 2 shown]
	ds_read_b128 v[42:45], v24
	s_waitcnt lgkmcnt(0)
	v_mul_f64 v[46:47], v[28:29], v[44:45]
	v_mul_f64 v[48:49], v[26:27], v[44:45]
	v_fma_f64 v[46:47], v[26:27], v[42:43], -v[46:47]
	v_fma_f64 v[48:49], v[28:29], v[42:43], v[48:49]
	v_add_f64 v[14:15], v[14:15], v[46:47]
	v_add_f64 v[18:19], v[48:49], v[18:19]
	ds_read_b128 v[46:49], v24 offset:256
	s_waitcnt lgkmcnt(0)
	v_mul_f64 v[50:51], v[28:29], v[48:49]
	v_fma_f64 v[50:51], v[26:27], v[46:47], -v[50:51]
	v_mul_f64 v[26:27], v[26:27], v[48:49]
	v_fma_f64 v[26:27], v[28:29], v[46:47], v[26:27]
	v_add_f64 v[28:29], v[6:7], v[50:51]
	v_add_f64 v[26:27], v[26:27], v[8:9]
	ds_read_b128 v[6:9], v25 offset:2048
	s_waitcnt lgkmcnt(0)
	v_mul_f64 v[50:51], v[8:9], v[44:45]
	v_mul_f64 v[44:45], v[6:7], v[44:45]
	v_fma_f64 v[50:51], v[6:7], v[42:43], -v[50:51]
	v_fma_f64 v[42:43], v[8:9], v[42:43], v[44:45]
	v_add_f64 v[44:45], v[16:17], v[50:51]
	v_mul_f64 v[16:17], v[8:9], v[48:49]
	v_add_f64 v[20:21], v[42:43], v[20:21]
	v_fma_f64 v[16:17], v[6:7], v[46:47], -v[16:17]
	v_mul_f64 v[6:7], v[6:7], v[48:49]
	v_add_f64 v[42:43], v[10:11], v[16:17]
	v_fma_f64 v[6:7], v[8:9], v[46:47], v[6:7]
	v_add_f64 v[46:47], v[6:7], v[12:13]
	ds_read_b128 v[6:9], v24 offset:512
	s_waitcnt lgkmcnt(0)
	v_mul_f64 v[10:11], v[32:33], v[8:9]
	v_mul_f64 v[12:13], v[30:31], v[8:9]
	v_fma_f64 v[10:11], v[30:31], v[6:7], -v[10:11]
	v_fma_f64 v[12:13], v[32:33], v[6:7], v[12:13]
	v_add_f64 v[48:49], v[14:15], v[10:11]
	v_add_f64 v[18:19], v[12:13], v[18:19]
	ds_read_b128 v[10:13], v24 offset:768
	s_waitcnt lgkmcnt(0)
	v_mul_f64 v[14:15], v[32:33], v[12:13]
	v_mul_f64 v[16:17], v[30:31], v[12:13]
	v_fma_f64 v[14:15], v[30:31], v[10:11], -v[14:15]
	v_fma_f64 v[16:17], v[32:33], v[10:11], v[16:17]
	v_add_f64 v[28:29], v[28:29], v[14:15]
	v_add_f64 v[26:27], v[16:17], v[26:27]
	ds_read_b128 v[14:17], v25 offset:2064
	s_waitcnt lgkmcnt(0)
	v_mul_f64 v[30:31], v[16:17], v[8:9]
	v_mul_f64 v[8:9], v[14:15], v[8:9]
	v_fma_f64 v[30:31], v[14:15], v[6:7], -v[30:31]
	v_fma_f64 v[6:7], v[16:17], v[6:7], v[8:9]
	v_mul_f64 v[8:9], v[14:15], v[12:13]
	v_add_f64 v[30:31], v[44:45], v[30:31]
	v_add_f64 v[20:21], v[6:7], v[20:21]
	v_mul_f64 v[6:7], v[16:17], v[12:13]
	v_fma_f64 v[8:9], v[16:17], v[10:11], v[8:9]
	v_fma_f64 v[6:7], v[14:15], v[10:11], -v[6:7]
	v_add_f64 v[32:33], v[42:43], v[6:7]
	v_add_f64 v[42:43], v[8:9], v[46:47]
	ds_read_b128 v[6:9], v24 offset:1024
	s_waitcnt lgkmcnt(0)
	v_mul_f64 v[10:11], v[36:37], v[8:9]
	v_mul_f64 v[12:13], v[34:35], v[8:9]
	v_fma_f64 v[10:11], v[34:35], v[6:7], -v[10:11]
	v_fma_f64 v[12:13], v[36:37], v[6:7], v[12:13]
	v_add_f64 v[44:45], v[48:49], v[10:11]
	v_add_f64 v[18:19], v[12:13], v[18:19]
	ds_read_b128 v[10:13], v24 offset:1280
	s_waitcnt lgkmcnt(0)
	v_mul_f64 v[14:15], v[36:37], v[12:13]
	v_mul_f64 v[16:17], v[34:35], v[12:13]
	v_fma_f64 v[14:15], v[34:35], v[10:11], -v[14:15]
	v_fma_f64 v[16:17], v[36:37], v[10:11], v[16:17]
	v_add_f64 v[28:29], v[28:29], v[14:15]
	v_add_f64 v[26:27], v[16:17], v[26:27]
	ds_read_b128 v[14:17], v25 offset:2080
	s_waitcnt lgkmcnt(0)
	v_mul_f64 v[34:35], v[16:17], v[8:9]
	v_mul_f64 v[8:9], v[14:15], v[8:9]
	v_fma_f64 v[34:35], v[14:15], v[6:7], -v[34:35]
	v_fma_f64 v[6:7], v[16:17], v[6:7], v[8:9]
	v_mul_f64 v[8:9], v[14:15], v[12:13]
	v_add_f64 v[30:31], v[30:31], v[34:35]
	v_add_f64 v[20:21], v[6:7], v[20:21]
	v_mul_f64 v[6:7], v[16:17], v[12:13]
	v_fma_f64 v[8:9], v[16:17], v[10:11], v[8:9]
	v_fma_f64 v[6:7], v[14:15], v[10:11], -v[6:7]
	v_add_f64 v[34:35], v[8:9], v[42:43]
	;; [unrolled: 30-line block ×3, first 2 shown]
	v_add_f64 v[32:33], v[32:33], v[6:7]
	ds_read_b128 v[6:9], v25 offset:64
	ds_read_b128 v[10:13], v24 offset:2048
	s_waitcnt lgkmcnt(0)
	v_mul_f64 v[14:15], v[8:9], v[12:13]
	v_mul_f64 v[16:17], v[6:7], v[12:13]
	v_fma_f64 v[14:15], v[6:7], v[10:11], -v[14:15]
	v_fma_f64 v[16:17], v[8:9], v[10:11], v[16:17]
	v_add_f64 v[36:37], v[36:37], v[14:15]
	v_add_f64 v[18:19], v[16:17], v[18:19]
	ds_read_b128 v[14:17], v24 offset:2304
	s_waitcnt lgkmcnt(0)
	v_mul_f64 v[38:39], v[8:9], v[16:17]
	v_fma_f64 v[38:39], v[6:7], v[14:15], -v[38:39]
	v_mul_f64 v[6:7], v[6:7], v[16:17]
	v_add_f64 v[28:29], v[28:29], v[38:39]
	v_fma_f64 v[6:7], v[8:9], v[14:15], v[6:7]
	v_add_f64 v[26:27], v[6:7], v[26:27]
	ds_read_b128 v[6:9], v25 offset:2112
	s_waitcnt lgkmcnt(0)
	v_mul_f64 v[38:39], v[8:9], v[12:13]
	v_mul_f64 v[12:13], v[6:7], v[12:13]
	v_fma_f64 v[38:39], v[6:7], v[10:11], -v[38:39]
	v_fma_f64 v[10:11], v[8:9], v[10:11], v[12:13]
	v_add_f64 v[30:31], v[30:31], v[38:39]
	v_add_f64 v[20:21], v[10:11], v[20:21]
	v_mul_f64 v[10:11], v[8:9], v[16:17]
	v_fma_f64 v[10:11], v[6:7], v[14:15], -v[10:11]
	v_mul_f64 v[6:7], v[6:7], v[16:17]
	v_add_f64 v[32:33], v[32:33], v[10:11]
	v_fma_f64 v[6:7], v[8:9], v[14:15], v[6:7]
	v_add_f64 v[34:35], v[6:7], v[34:35]
	ds_read_b128 v[6:9], v25 offset:80
	ds_read_b128 v[10:13], v24 offset:2560
	s_waitcnt lgkmcnt(0)
	v_mul_f64 v[14:15], v[8:9], v[12:13]
	v_mul_f64 v[16:17], v[6:7], v[12:13]
	v_fma_f64 v[14:15], v[6:7], v[10:11], -v[14:15]
	v_fma_f64 v[16:17], v[8:9], v[10:11], v[16:17]
	v_add_f64 v[36:37], v[36:37], v[14:15]
	v_add_f64 v[18:19], v[16:17], v[18:19]
	ds_read_b128 v[14:17], v24 offset:2816
	s_waitcnt lgkmcnt(0)
	v_mul_f64 v[38:39], v[8:9], v[16:17]
	v_fma_f64 v[38:39], v[6:7], v[14:15], -v[38:39]
	v_mul_f64 v[6:7], v[6:7], v[16:17]
	v_add_f64 v[28:29], v[28:29], v[38:39]
	v_fma_f64 v[6:7], v[8:9], v[14:15], v[6:7]
	v_add_f64 v[26:27], v[6:7], v[26:27]
	ds_read_b128 v[6:9], v25 offset:2128
	s_waitcnt lgkmcnt(0)
	v_mul_f64 v[38:39], v[8:9], v[12:13]
	v_mul_f64 v[12:13], v[6:7], v[12:13]
	v_fma_f64 v[38:39], v[6:7], v[10:11], -v[38:39]
	v_fma_f64 v[10:11], v[8:9], v[10:11], v[12:13]
	v_add_f64 v[30:31], v[30:31], v[38:39]
	v_add_f64 v[20:21], v[10:11], v[20:21]
	v_mul_f64 v[10:11], v[8:9], v[16:17]
	v_fma_f64 v[10:11], v[6:7], v[14:15], -v[10:11]
	v_mul_f64 v[6:7], v[6:7], v[16:17]
	v_add_f64 v[32:33], v[32:33], v[10:11]
	v_fma_f64 v[6:7], v[8:9], v[14:15], v[6:7]
	;; [unrolled: 31-line block ×3, first 2 shown]
	v_add_f64 v[34:35], v[6:7], v[34:35]
	ds_read_b128 v[6:9], v25 offset:112
	ds_read_b128 v[10:13], v24 offset:3584
	ds_read_b128 v[26:29], v24 offset:3840
	ds_read_b128 v[30:33], v25 offset:2160
	s_waitcnt lgkmcnt(0)
	s_barrier
	v_mul_f64 v[16:17], v[6:7], v[12:13]
	v_mul_f64 v[14:15], v[8:9], v[12:13]
	v_fma_f64 v[16:17], v[8:9], v[10:11], v[16:17]
	v_fma_f64 v[14:15], v[6:7], v[10:11], -v[14:15]
	v_add_f64 v[18:19], v[16:17], v[18:19]
	v_mul_f64 v[16:17], v[8:9], v[28:29]
	v_add_f64 v[14:15], v[36:37], v[14:15]
	v_fma_f64 v[16:17], v[6:7], v[26:27], -v[16:17]
	v_mul_f64 v[6:7], v[6:7], v[28:29]
	v_fma_f64 v[8:9], v[8:9], v[26:27], v[6:7]
	v_add_f64 v[6:7], v[38:39], v[16:17]
	v_mul_f64 v[16:17], v[32:33], v[12:13]
	v_mul_f64 v[12:13], v[30:31], v[12:13]
	v_add_f64 v[8:9], v[8:9], v[40:41]
	v_fma_f64 v[16:17], v[30:31], v[10:11], -v[16:17]
	v_fma_f64 v[10:11], v[32:33], v[10:11], v[12:13]
	v_mul_f64 v[12:13], v[30:31], v[28:29]
	v_add_f64 v[16:17], v[42:43], v[16:17]
	v_add_f64 v[20:21], v[10:11], v[20:21]
	v_mul_f64 v[10:11], v[32:33], v[28:29]
	v_fma_f64 v[12:13], v[32:33], v[26:27], v[12:13]
	v_fma_f64 v[10:11], v[30:31], v[26:27], -v[10:11]
	v_add_f64 v[12:13], v[12:13], v[34:35]
	v_add_f64 v[10:11], v[44:45], v[10:11]
	s_cbranch_scc0 .LBB873_2
	s_branch .LBB873_4
.LBB873_3:
	v_mov_b32_e32 v14, 0
	v_mov_b32_e32 v18, 0
	;; [unrolled: 1-line block ×16, first 2 shown]
.LBB873_4:
	s_load_dword s8, s[4:5], 0x60
	v_add_u32_e32 v4, s7, v1
	s_waitcnt lgkmcnt(0)
	v_mov_b32_e32 v3, s11
	v_add_u32_e32 v0, s6, v0
	v_mad_i64_i32 v[1:2], s[0:1], v4, s8, 0
	v_cmp_le_i32_e64 s[0:1], v4, v0
	v_lshlrev_b64 v[1:2], 4, v[1:2]
	v_add_co_u32_e32 v5, vcc, s10, v1
	v_addc_co_u32_e32 v22, vcc, v3, v2, vcc
	v_cmp_gt_i32_e32 vcc, s16, v0
	s_and_b64 s[0:1], s[0:1], vcc
	s_and_saveexec_b64 s[2:3], s[0:1]
	s_cbranch_execz .LBB873_6
; %bb.5:
	v_mul_f64 v[2:3], s[12:13], v[18:19]
	v_mul_f64 v[18:19], s[14:15], v[18:19]
	v_ashrrev_i32_e32 v1, 31, v0
	v_lshlrev_b64 v[25:26], 4, v[0:1]
	v_fma_f64 v[2:3], s[14:15], v[14:15], v[2:3]
	v_fma_f64 v[23:24], s[12:13], v[14:15], -v[18:19]
	v_add_co_u32_e64 v14, s[0:1], v5, v25
	v_addc_co_u32_e64 v15, s[0:1], v22, v26, s[0:1]
	v_cmp_ne_u32_e64 s[0:1], v4, v0
	v_cndmask_b32_e64 v26, 0, v3, s[0:1]
	v_cndmask_b32_e64 v25, 0, v2, s[0:1]
	flat_store_dwordx4 v[14:15], v[23:26]
.LBB873_6:
	s_or_b64 exec, exec, s[2:3]
	v_add_u32_e32 v2, 16, v0
	v_cmp_le_i32_e64 s[2:3], v4, v2
	v_cmp_gt_i32_e64 s[0:1], s16, v2
	s_and_b64 s[2:3], s[2:3], s[0:1]
	s_and_saveexec_b64 s[4:5], s[2:3]
	s_cbranch_execz .LBB873_8
; %bb.7:
	v_mul_f64 v[14:15], s[12:13], v[8:9]
	v_mul_f64 v[8:9], s[14:15], v[8:9]
	v_ashrrev_i32_e32 v3, 31, v2
	v_lshlrev_b64 v[18:19], 4, v[2:3]
	v_add_co_u32_e64 v18, s[2:3], v5, v18
	v_addc_co_u32_e64 v19, s[2:3], v22, v19, s[2:3]
	v_fma_f64 v[14:15], s[14:15], v[6:7], v[14:15]
	v_fma_f64 v[6:7], s[12:13], v[6:7], -v[8:9]
	v_cmp_ne_u32_e64 s[2:3], v4, v2
	v_cndmask_b32_e64 v9, 0, v15, s[2:3]
	v_cndmask_b32_e64 v8, 0, v14, s[2:3]
	flat_store_dwordx4 v[18:19], v[6:9]
.LBB873_8:
	s_or_b64 exec, exec, s[4:5]
	v_add_u32_e32 v3, 16, v4
	v_mad_i64_i32 v[5:6], s[2:3], v3, s8, 0
	v_mov_b32_e32 v1, s11
	v_lshlrev_b64 v[5:6], 4, v[5:6]
	v_add_co_u32_e64 v5, s[2:3], s10, v5
	v_addc_co_u32_e64 v6, s[2:3], v1, v6, s[2:3]
	v_cmp_le_i32_e64 s[2:3], v3, v0
	s_and_b64 s[4:5], s[2:3], vcc
	s_and_saveexec_b64 s[2:3], s[4:5]
	s_cbranch_execz .LBB873_10
; %bb.9:
	v_mul_f64 v[7:8], s[12:13], v[20:21]
	v_mul_f64 v[14:15], s[14:15], v[20:21]
	v_ashrrev_i32_e32 v1, 31, v0
	v_lshlrev_b64 v[18:19], 4, v[0:1]
	v_add_co_u32_e32 v18, vcc, v5, v18
	v_addc_co_u32_e32 v19, vcc, v6, v19, vcc
	v_fma_f64 v[7:8], s[14:15], v[16:17], v[7:8]
	v_fma_f64 v[14:15], s[12:13], v[16:17], -v[14:15]
	v_cmp_ne_u32_e32 vcc, v3, v0
	v_cndmask_b32_e32 v17, 0, v8, vcc
	v_cndmask_b32_e32 v16, 0, v7, vcc
	flat_store_dwordx4 v[18:19], v[14:17]
.LBB873_10:
	s_or_b64 exec, exec, s[2:3]
	v_cmp_le_i32_e32 vcc, v3, v2
	s_and_b64 s[0:1], vcc, s[0:1]
	s_and_saveexec_b64 s[2:3], s[0:1]
	s_cbranch_execz .LBB873_12
; %bb.11:
	v_mul_f64 v[7:8], s[12:13], v[12:13]
	v_mul_f64 v[12:13], s[14:15], v[12:13]
	v_ashrrev_i32_e32 v3, 31, v2
	v_lshlrev_b64 v[14:15], 4, v[2:3]
	v_add_co_u32_e32 v5, vcc, v5, v14
	v_addc_co_u32_e32 v6, vcc, v6, v15, vcc
	v_fma_f64 v[7:8], s[14:15], v[10:11], v[7:8]
	v_fma_f64 v[1:2], s[12:13], v[10:11], -v[12:13]
	v_cmp_ne_u32_e32 vcc, v4, v0
	v_cndmask_b32_e32 v4, 0, v8, vcc
	v_cndmask_b32_e32 v3, 0, v7, vcc
	flat_store_dwordx4 v[5:6], v[1:4]
.LBB873_12:
	s_endpgm
	.section	.rodata,"a",@progbits
	.p2align	6, 0x0
	.amdhsa_kernel _ZL37rocblas_syrkx_herkx_restricted_kernelIi19rocblas_complex_numIdELi16ELi32ELi8ELb1ELb1ELc84ELc76EKPKS1_KPS1_EviT_T0_PT8_S7_lSA_S7_lS8_PT9_S7_li
		.amdhsa_group_segment_fixed_size 8192
		.amdhsa_private_segment_fixed_size 0
		.amdhsa_kernarg_size 116
		.amdhsa_user_sgpr_count 6
		.amdhsa_user_sgpr_private_segment_buffer 1
		.amdhsa_user_sgpr_dispatch_ptr 0
		.amdhsa_user_sgpr_queue_ptr 0
		.amdhsa_user_sgpr_kernarg_segment_ptr 1
		.amdhsa_user_sgpr_dispatch_id 0
		.amdhsa_user_sgpr_flat_scratch_init 0
		.amdhsa_user_sgpr_private_segment_size 0
		.amdhsa_uses_dynamic_stack 0
		.amdhsa_system_sgpr_private_segment_wavefront_offset 0
		.amdhsa_system_sgpr_workgroup_id_x 1
		.amdhsa_system_sgpr_workgroup_id_y 1
		.amdhsa_system_sgpr_workgroup_id_z 1
		.amdhsa_system_sgpr_workgroup_info 0
		.amdhsa_system_vgpr_workitem_id 1
		.amdhsa_next_free_vgpr 52
		.amdhsa_next_free_sgpr 61
		.amdhsa_reserve_vcc 1
		.amdhsa_reserve_flat_scratch 0
		.amdhsa_float_round_mode_32 0
		.amdhsa_float_round_mode_16_64 0
		.amdhsa_float_denorm_mode_32 3
		.amdhsa_float_denorm_mode_16_64 3
		.amdhsa_dx10_clamp 1
		.amdhsa_ieee_mode 1
		.amdhsa_fp16_overflow 0
		.amdhsa_exception_fp_ieee_invalid_op 0
		.amdhsa_exception_fp_denorm_src 0
		.amdhsa_exception_fp_ieee_div_zero 0
		.amdhsa_exception_fp_ieee_overflow 0
		.amdhsa_exception_fp_ieee_underflow 0
		.amdhsa_exception_fp_ieee_inexact 0
		.amdhsa_exception_int_div_zero 0
	.end_amdhsa_kernel
	.section	.text._ZL37rocblas_syrkx_herkx_restricted_kernelIi19rocblas_complex_numIdELi16ELi32ELi8ELb1ELb1ELc84ELc76EKPKS1_KPS1_EviT_T0_PT8_S7_lSA_S7_lS8_PT9_S7_li,"axG",@progbits,_ZL37rocblas_syrkx_herkx_restricted_kernelIi19rocblas_complex_numIdELi16ELi32ELi8ELb1ELb1ELc84ELc76EKPKS1_KPS1_EviT_T0_PT8_S7_lSA_S7_lS8_PT9_S7_li,comdat
.Lfunc_end873:
	.size	_ZL37rocblas_syrkx_herkx_restricted_kernelIi19rocblas_complex_numIdELi16ELi32ELi8ELb1ELb1ELc84ELc76EKPKS1_KPS1_EviT_T0_PT8_S7_lSA_S7_lS8_PT9_S7_li, .Lfunc_end873-_ZL37rocblas_syrkx_herkx_restricted_kernelIi19rocblas_complex_numIdELi16ELi32ELi8ELb1ELb1ELc84ELc76EKPKS1_KPS1_EviT_T0_PT8_S7_lSA_S7_lS8_PT9_S7_li
                                        ; -- End function
	.set _ZL37rocblas_syrkx_herkx_restricted_kernelIi19rocblas_complex_numIdELi16ELi32ELi8ELb1ELb1ELc84ELc76EKPKS1_KPS1_EviT_T0_PT8_S7_lSA_S7_lS8_PT9_S7_li.num_vgpr, 52
	.set _ZL37rocblas_syrkx_herkx_restricted_kernelIi19rocblas_complex_numIdELi16ELi32ELi8ELb1ELb1ELc84ELc76EKPKS1_KPS1_EviT_T0_PT8_S7_lSA_S7_lS8_PT9_S7_li.num_agpr, 0
	.set _ZL37rocblas_syrkx_herkx_restricted_kernelIi19rocblas_complex_numIdELi16ELi32ELi8ELb1ELb1ELc84ELc76EKPKS1_KPS1_EviT_T0_PT8_S7_lSA_S7_lS8_PT9_S7_li.numbered_sgpr, 21
	.set _ZL37rocblas_syrkx_herkx_restricted_kernelIi19rocblas_complex_numIdELi16ELi32ELi8ELb1ELb1ELc84ELc76EKPKS1_KPS1_EviT_T0_PT8_S7_lSA_S7_lS8_PT9_S7_li.num_named_barrier, 0
	.set _ZL37rocblas_syrkx_herkx_restricted_kernelIi19rocblas_complex_numIdELi16ELi32ELi8ELb1ELb1ELc84ELc76EKPKS1_KPS1_EviT_T0_PT8_S7_lSA_S7_lS8_PT9_S7_li.private_seg_size, 0
	.set _ZL37rocblas_syrkx_herkx_restricted_kernelIi19rocblas_complex_numIdELi16ELi32ELi8ELb1ELb1ELc84ELc76EKPKS1_KPS1_EviT_T0_PT8_S7_lSA_S7_lS8_PT9_S7_li.uses_vcc, 1
	.set _ZL37rocblas_syrkx_herkx_restricted_kernelIi19rocblas_complex_numIdELi16ELi32ELi8ELb1ELb1ELc84ELc76EKPKS1_KPS1_EviT_T0_PT8_S7_lSA_S7_lS8_PT9_S7_li.uses_flat_scratch, 0
	.set _ZL37rocblas_syrkx_herkx_restricted_kernelIi19rocblas_complex_numIdELi16ELi32ELi8ELb1ELb1ELc84ELc76EKPKS1_KPS1_EviT_T0_PT8_S7_lSA_S7_lS8_PT9_S7_li.has_dyn_sized_stack, 0
	.set _ZL37rocblas_syrkx_herkx_restricted_kernelIi19rocblas_complex_numIdELi16ELi32ELi8ELb1ELb1ELc84ELc76EKPKS1_KPS1_EviT_T0_PT8_S7_lSA_S7_lS8_PT9_S7_li.has_recursion, 0
	.set _ZL37rocblas_syrkx_herkx_restricted_kernelIi19rocblas_complex_numIdELi16ELi32ELi8ELb1ELb1ELc84ELc76EKPKS1_KPS1_EviT_T0_PT8_S7_lSA_S7_lS8_PT9_S7_li.has_indirect_call, 0
	.section	.AMDGPU.csdata,"",@progbits
; Kernel info:
; codeLenInByte = 2912
; TotalNumSgprs: 25
; NumVgprs: 52
; ScratchSize: 0
; MemoryBound: 0
; FloatMode: 240
; IeeeMode: 1
; LDSByteSize: 8192 bytes/workgroup (compile time only)
; SGPRBlocks: 8
; VGPRBlocks: 12
; NumSGPRsForWavesPerEU: 65
; NumVGPRsForWavesPerEU: 52
; Occupancy: 4
; WaveLimiterHint : 1
; COMPUTE_PGM_RSRC2:SCRATCH_EN: 0
; COMPUTE_PGM_RSRC2:USER_SGPR: 6
; COMPUTE_PGM_RSRC2:TRAP_HANDLER: 0
; COMPUTE_PGM_RSRC2:TGID_X_EN: 1
; COMPUTE_PGM_RSRC2:TGID_Y_EN: 1
; COMPUTE_PGM_RSRC2:TGID_Z_EN: 1
; COMPUTE_PGM_RSRC2:TIDIG_COMP_CNT: 1
	.section	.text._ZL37rocblas_syrkx_herkx_restricted_kernelIi19rocblas_complex_numIdELi16ELi32ELi8ELb1ELb1ELc67ELc76EKPKS1_KPS1_EviT_T0_PT8_S7_lSA_S7_lS8_PT9_S7_li,"axG",@progbits,_ZL37rocblas_syrkx_herkx_restricted_kernelIi19rocblas_complex_numIdELi16ELi32ELi8ELb1ELb1ELc67ELc76EKPKS1_KPS1_EviT_T0_PT8_S7_lSA_S7_lS8_PT9_S7_li,comdat
	.globl	_ZL37rocblas_syrkx_herkx_restricted_kernelIi19rocblas_complex_numIdELi16ELi32ELi8ELb1ELb1ELc67ELc76EKPKS1_KPS1_EviT_T0_PT8_S7_lSA_S7_lS8_PT9_S7_li ; -- Begin function _ZL37rocblas_syrkx_herkx_restricted_kernelIi19rocblas_complex_numIdELi16ELi32ELi8ELb1ELb1ELc67ELc76EKPKS1_KPS1_EviT_T0_PT8_S7_lSA_S7_lS8_PT9_S7_li
	.p2align	8
	.type	_ZL37rocblas_syrkx_herkx_restricted_kernelIi19rocblas_complex_numIdELi16ELi32ELi8ELb1ELb1ELc67ELc76EKPKS1_KPS1_EviT_T0_PT8_S7_lSA_S7_lS8_PT9_S7_li,@function
_ZL37rocblas_syrkx_herkx_restricted_kernelIi19rocblas_complex_numIdELi16ELi32ELi8ELb1ELb1ELc67ELc76EKPKS1_KPS1_EviT_T0_PT8_S7_lSA_S7_lS8_PT9_S7_li: ; @_ZL37rocblas_syrkx_herkx_restricted_kernelIi19rocblas_complex_numIdELi16ELi32ELi8ELb1ELb1ELc67ELc76EKPKS1_KPS1_EviT_T0_PT8_S7_lSA_S7_lS8_PT9_S7_li
; %bb.0:
	s_load_dwordx2 s[0:1], s[4:5], 0x18
	s_load_dwordx2 s[10:11], s[4:5], 0x58
	;; [unrolled: 1-line block ×3, first 2 shown]
	s_load_dwordx4 s[12:15], s[4:5], 0x8
	s_mov_b32 s9, 0
	s_lshl_b64 s[2:3], s[8:9], 3
	s_waitcnt lgkmcnt(0)
	s_add_u32 s10, s10, s2
	s_addc_u32 s11, s11, s3
	s_load_dwordx2 s[10:11], s[10:11], 0x0
	s_lshl_b32 s6, s6, 5
	s_lshl_b32 s7, s7, 5
	s_cmp_lt_i32 s17, 1
	s_cbranch_scc1 .LBB874_3
; %bb.1:
	s_load_dword s8, s[4:5], 0x20
	s_load_dwordx2 s[18:19], s[4:5], 0x30
	s_load_dword s20, s[4:5], 0x38
	s_add_u32 s0, s0, s2
	v_lshl_add_u32 v3, v1, 4, v0
	s_addc_u32 s1, s1, s3
	v_lshrrev_b32_e32 v8, 3, v3
	s_waitcnt lgkmcnt(0)
	s_add_u32 s2, s18, s2
	v_lshrrev_b32_e32 v2, 5, v3
	v_and_b32_e32 v4, 7, v0
	v_and_b32_e32 v9, 31, v3
	v_add_u32_e32 v3, s7, v8
	v_mov_b32_e32 v5, 0
	s_addc_u32 s3, s19, s3
	v_mad_i64_i32 v[6:7], s[18:19], s20, v3, v[4:5]
	v_mov_b32_e32 v3, v5
	v_lshlrev_b32_e32 v5, 4, v9
	v_lshl_or_b32 v22, v2, 9, v5
	v_add_u32_e32 v5, s6, v9
	v_mad_i64_i32 v[2:3], s[18:19], s8, v5, v[2:3]
	s_load_dwordx2 s[0:1], s[0:1], 0x0
	v_lshlrev_b32_e32 v4, 4, v4
	s_load_dwordx2 s[2:3], s[2:3], 0x0
	v_lshlrev_b64 v[2:3], 4, v[2:3]
	v_lshl_or_b32 v4, v8, 7, v4
	v_add_u32_e32 v23, 0x1000, v4
	s_waitcnt lgkmcnt(0)
	v_mov_b32_e32 v4, s1
	v_add_co_u32_e32 v2, vcc, s0, v2
	v_addc_co_u32_e32 v3, vcc, v4, v3, vcc
	v_lshlrev_b64 v[4:5], 4, v[6:7]
	v_mov_b32_e32 v6, s3
	v_add_co_u32_e32 v4, vcc, s2, v4
	v_mov_b32_e32 v25, 0x1000
	v_addc_co_u32_e32 v5, vcc, v6, v5, vcc
	v_mov_b32_e32 v12, 0
	v_mov_b32_e32 v10, 0
	;; [unrolled: 1-line block ×8, first 2 shown]
	v_lshlrev_b32_e32 v24, 4, v0
	v_mov_b32_e32 v13, 0
	v_mov_b32_e32 v11, 0
	;; [unrolled: 1-line block ×8, first 2 shown]
	v_lshl_add_u32 v25, v1, 7, v25
.LBB874_2:                              ; =>This Inner Loop Header: Depth=1
	flat_load_dwordx4 v[26:29], v[2:3]
	v_add_co_u32_e32 v2, vcc, 0x80, v2
	v_addc_co_u32_e32 v3, vcc, 0, v3, vcc
	s_add_i32 s9, s9, 8
	s_cmp_ge_i32 s9, s17
	s_waitcnt vmcnt(0) lgkmcnt(0)
	v_xor_b32_e32 v29, 0x80000000, v29
	ds_write_b128 v22, v[26:29]
	flat_load_dwordx4 v[26:29], v[4:5]
	v_add_co_u32_e32 v4, vcc, 0x80, v4
	v_addc_co_u32_e32 v5, vcc, 0, v5, vcc
	s_waitcnt vmcnt(0) lgkmcnt(0)
	ds_write_b128 v23, v[26:29]
	s_waitcnt lgkmcnt(0)
	s_barrier
	ds_read_b128 v[26:29], v25
	ds_read_b128 v[30:33], v25 offset:16
	ds_read_b128 v[34:37], v25 offset:32
	;; [unrolled: 1-line block ×3, first 2 shown]
	ds_read_b128 v[42:45], v24
	s_waitcnt lgkmcnt(0)
	v_mul_f64 v[46:47], v[28:29], v[44:45]
	v_mul_f64 v[48:49], v[26:27], v[44:45]
	v_fma_f64 v[46:47], v[26:27], v[42:43], -v[46:47]
	v_fma_f64 v[48:49], v[28:29], v[42:43], v[48:49]
	v_add_f64 v[14:15], v[14:15], v[46:47]
	v_add_f64 v[18:19], v[48:49], v[18:19]
	ds_read_b128 v[46:49], v24 offset:256
	s_waitcnt lgkmcnt(0)
	v_mul_f64 v[50:51], v[28:29], v[48:49]
	v_fma_f64 v[50:51], v[26:27], v[46:47], -v[50:51]
	v_mul_f64 v[26:27], v[26:27], v[48:49]
	v_fma_f64 v[26:27], v[28:29], v[46:47], v[26:27]
	v_add_f64 v[28:29], v[6:7], v[50:51]
	v_add_f64 v[26:27], v[26:27], v[8:9]
	ds_read_b128 v[6:9], v25 offset:2048
	s_waitcnt lgkmcnt(0)
	v_mul_f64 v[50:51], v[8:9], v[44:45]
	v_mul_f64 v[44:45], v[6:7], v[44:45]
	v_fma_f64 v[50:51], v[6:7], v[42:43], -v[50:51]
	v_fma_f64 v[42:43], v[8:9], v[42:43], v[44:45]
	v_add_f64 v[44:45], v[16:17], v[50:51]
	v_mul_f64 v[16:17], v[8:9], v[48:49]
	v_add_f64 v[20:21], v[42:43], v[20:21]
	v_fma_f64 v[16:17], v[6:7], v[46:47], -v[16:17]
	v_mul_f64 v[6:7], v[6:7], v[48:49]
	v_add_f64 v[42:43], v[10:11], v[16:17]
	v_fma_f64 v[6:7], v[8:9], v[46:47], v[6:7]
	v_add_f64 v[46:47], v[6:7], v[12:13]
	ds_read_b128 v[6:9], v24 offset:512
	s_waitcnt lgkmcnt(0)
	v_mul_f64 v[10:11], v[32:33], v[8:9]
	v_mul_f64 v[12:13], v[30:31], v[8:9]
	v_fma_f64 v[10:11], v[30:31], v[6:7], -v[10:11]
	v_fma_f64 v[12:13], v[32:33], v[6:7], v[12:13]
	v_add_f64 v[48:49], v[14:15], v[10:11]
	v_add_f64 v[18:19], v[12:13], v[18:19]
	ds_read_b128 v[10:13], v24 offset:768
	s_waitcnt lgkmcnt(0)
	v_mul_f64 v[14:15], v[32:33], v[12:13]
	v_mul_f64 v[16:17], v[30:31], v[12:13]
	v_fma_f64 v[14:15], v[30:31], v[10:11], -v[14:15]
	v_fma_f64 v[16:17], v[32:33], v[10:11], v[16:17]
	v_add_f64 v[28:29], v[28:29], v[14:15]
	v_add_f64 v[26:27], v[16:17], v[26:27]
	ds_read_b128 v[14:17], v25 offset:2064
	s_waitcnt lgkmcnt(0)
	v_mul_f64 v[30:31], v[16:17], v[8:9]
	v_mul_f64 v[8:9], v[14:15], v[8:9]
	v_fma_f64 v[30:31], v[14:15], v[6:7], -v[30:31]
	v_fma_f64 v[6:7], v[16:17], v[6:7], v[8:9]
	v_mul_f64 v[8:9], v[14:15], v[12:13]
	v_add_f64 v[30:31], v[44:45], v[30:31]
	v_add_f64 v[20:21], v[6:7], v[20:21]
	v_mul_f64 v[6:7], v[16:17], v[12:13]
	v_fma_f64 v[8:9], v[16:17], v[10:11], v[8:9]
	v_fma_f64 v[6:7], v[14:15], v[10:11], -v[6:7]
	v_add_f64 v[32:33], v[42:43], v[6:7]
	v_add_f64 v[42:43], v[8:9], v[46:47]
	ds_read_b128 v[6:9], v24 offset:1024
	s_waitcnt lgkmcnt(0)
	v_mul_f64 v[10:11], v[36:37], v[8:9]
	v_mul_f64 v[12:13], v[34:35], v[8:9]
	v_fma_f64 v[10:11], v[34:35], v[6:7], -v[10:11]
	v_fma_f64 v[12:13], v[36:37], v[6:7], v[12:13]
	v_add_f64 v[44:45], v[48:49], v[10:11]
	v_add_f64 v[18:19], v[12:13], v[18:19]
	ds_read_b128 v[10:13], v24 offset:1280
	s_waitcnt lgkmcnt(0)
	v_mul_f64 v[14:15], v[36:37], v[12:13]
	v_mul_f64 v[16:17], v[34:35], v[12:13]
	v_fma_f64 v[14:15], v[34:35], v[10:11], -v[14:15]
	v_fma_f64 v[16:17], v[36:37], v[10:11], v[16:17]
	v_add_f64 v[28:29], v[28:29], v[14:15]
	v_add_f64 v[26:27], v[16:17], v[26:27]
	ds_read_b128 v[14:17], v25 offset:2080
	s_waitcnt lgkmcnt(0)
	v_mul_f64 v[34:35], v[16:17], v[8:9]
	v_mul_f64 v[8:9], v[14:15], v[8:9]
	v_fma_f64 v[34:35], v[14:15], v[6:7], -v[34:35]
	v_fma_f64 v[6:7], v[16:17], v[6:7], v[8:9]
	v_mul_f64 v[8:9], v[14:15], v[12:13]
	v_add_f64 v[30:31], v[30:31], v[34:35]
	v_add_f64 v[20:21], v[6:7], v[20:21]
	v_mul_f64 v[6:7], v[16:17], v[12:13]
	v_fma_f64 v[8:9], v[16:17], v[10:11], v[8:9]
	v_fma_f64 v[6:7], v[14:15], v[10:11], -v[6:7]
	v_add_f64 v[34:35], v[8:9], v[42:43]
	;; [unrolled: 30-line block ×3, first 2 shown]
	v_add_f64 v[32:33], v[32:33], v[6:7]
	ds_read_b128 v[6:9], v25 offset:64
	ds_read_b128 v[10:13], v24 offset:2048
	s_waitcnt lgkmcnt(0)
	v_mul_f64 v[14:15], v[8:9], v[12:13]
	v_mul_f64 v[16:17], v[6:7], v[12:13]
	v_fma_f64 v[14:15], v[6:7], v[10:11], -v[14:15]
	v_fma_f64 v[16:17], v[8:9], v[10:11], v[16:17]
	v_add_f64 v[36:37], v[36:37], v[14:15]
	v_add_f64 v[18:19], v[16:17], v[18:19]
	ds_read_b128 v[14:17], v24 offset:2304
	s_waitcnt lgkmcnt(0)
	v_mul_f64 v[38:39], v[8:9], v[16:17]
	v_fma_f64 v[38:39], v[6:7], v[14:15], -v[38:39]
	v_mul_f64 v[6:7], v[6:7], v[16:17]
	v_add_f64 v[28:29], v[28:29], v[38:39]
	v_fma_f64 v[6:7], v[8:9], v[14:15], v[6:7]
	v_add_f64 v[26:27], v[6:7], v[26:27]
	ds_read_b128 v[6:9], v25 offset:2112
	s_waitcnt lgkmcnt(0)
	v_mul_f64 v[38:39], v[8:9], v[12:13]
	v_mul_f64 v[12:13], v[6:7], v[12:13]
	v_fma_f64 v[38:39], v[6:7], v[10:11], -v[38:39]
	v_fma_f64 v[10:11], v[8:9], v[10:11], v[12:13]
	v_add_f64 v[30:31], v[30:31], v[38:39]
	v_add_f64 v[20:21], v[10:11], v[20:21]
	v_mul_f64 v[10:11], v[8:9], v[16:17]
	v_fma_f64 v[10:11], v[6:7], v[14:15], -v[10:11]
	v_mul_f64 v[6:7], v[6:7], v[16:17]
	v_add_f64 v[32:33], v[32:33], v[10:11]
	v_fma_f64 v[6:7], v[8:9], v[14:15], v[6:7]
	v_add_f64 v[34:35], v[6:7], v[34:35]
	ds_read_b128 v[6:9], v25 offset:80
	ds_read_b128 v[10:13], v24 offset:2560
	s_waitcnt lgkmcnt(0)
	v_mul_f64 v[14:15], v[8:9], v[12:13]
	v_mul_f64 v[16:17], v[6:7], v[12:13]
	v_fma_f64 v[14:15], v[6:7], v[10:11], -v[14:15]
	v_fma_f64 v[16:17], v[8:9], v[10:11], v[16:17]
	v_add_f64 v[36:37], v[36:37], v[14:15]
	v_add_f64 v[18:19], v[16:17], v[18:19]
	ds_read_b128 v[14:17], v24 offset:2816
	s_waitcnt lgkmcnt(0)
	v_mul_f64 v[38:39], v[8:9], v[16:17]
	v_fma_f64 v[38:39], v[6:7], v[14:15], -v[38:39]
	v_mul_f64 v[6:7], v[6:7], v[16:17]
	v_add_f64 v[28:29], v[28:29], v[38:39]
	v_fma_f64 v[6:7], v[8:9], v[14:15], v[6:7]
	v_add_f64 v[26:27], v[6:7], v[26:27]
	ds_read_b128 v[6:9], v25 offset:2128
	s_waitcnt lgkmcnt(0)
	v_mul_f64 v[38:39], v[8:9], v[12:13]
	v_mul_f64 v[12:13], v[6:7], v[12:13]
	v_fma_f64 v[38:39], v[6:7], v[10:11], -v[38:39]
	v_fma_f64 v[10:11], v[8:9], v[10:11], v[12:13]
	v_add_f64 v[30:31], v[30:31], v[38:39]
	v_add_f64 v[20:21], v[10:11], v[20:21]
	v_mul_f64 v[10:11], v[8:9], v[16:17]
	v_fma_f64 v[10:11], v[6:7], v[14:15], -v[10:11]
	v_mul_f64 v[6:7], v[6:7], v[16:17]
	v_add_f64 v[32:33], v[32:33], v[10:11]
	v_fma_f64 v[6:7], v[8:9], v[14:15], v[6:7]
	;; [unrolled: 31-line block ×3, first 2 shown]
	v_add_f64 v[34:35], v[6:7], v[34:35]
	ds_read_b128 v[6:9], v25 offset:112
	ds_read_b128 v[10:13], v24 offset:3584
	;; [unrolled: 1-line block ×4, first 2 shown]
	s_waitcnt lgkmcnt(0)
	s_barrier
	v_mul_f64 v[16:17], v[6:7], v[12:13]
	v_mul_f64 v[14:15], v[8:9], v[12:13]
	v_fma_f64 v[16:17], v[8:9], v[10:11], v[16:17]
	v_fma_f64 v[14:15], v[6:7], v[10:11], -v[14:15]
	v_add_f64 v[18:19], v[16:17], v[18:19]
	v_mul_f64 v[16:17], v[8:9], v[28:29]
	v_add_f64 v[14:15], v[36:37], v[14:15]
	v_fma_f64 v[16:17], v[6:7], v[26:27], -v[16:17]
	v_mul_f64 v[6:7], v[6:7], v[28:29]
	v_fma_f64 v[8:9], v[8:9], v[26:27], v[6:7]
	v_add_f64 v[6:7], v[38:39], v[16:17]
	v_mul_f64 v[16:17], v[32:33], v[12:13]
	v_mul_f64 v[12:13], v[30:31], v[12:13]
	v_add_f64 v[8:9], v[8:9], v[40:41]
	v_fma_f64 v[16:17], v[30:31], v[10:11], -v[16:17]
	v_fma_f64 v[10:11], v[32:33], v[10:11], v[12:13]
	v_mul_f64 v[12:13], v[30:31], v[28:29]
	v_add_f64 v[16:17], v[42:43], v[16:17]
	v_add_f64 v[20:21], v[10:11], v[20:21]
	v_mul_f64 v[10:11], v[32:33], v[28:29]
	v_fma_f64 v[12:13], v[32:33], v[26:27], v[12:13]
	v_fma_f64 v[10:11], v[30:31], v[26:27], -v[10:11]
	v_add_f64 v[12:13], v[12:13], v[34:35]
	v_add_f64 v[10:11], v[44:45], v[10:11]
	s_cbranch_scc0 .LBB874_2
	s_branch .LBB874_4
.LBB874_3:
	v_mov_b32_e32 v14, 0
	v_mov_b32_e32 v18, 0
	;; [unrolled: 1-line block ×16, first 2 shown]
.LBB874_4:
	s_load_dword s8, s[4:5], 0x60
	v_add_u32_e32 v4, s7, v1
	s_waitcnt lgkmcnt(0)
	v_mov_b32_e32 v3, s11
	v_add_u32_e32 v0, s6, v0
	v_mad_i64_i32 v[1:2], s[0:1], v4, s8, 0
	v_cmp_le_i32_e64 s[0:1], v4, v0
	v_lshlrev_b64 v[1:2], 4, v[1:2]
	v_add_co_u32_e32 v5, vcc, s10, v1
	v_addc_co_u32_e32 v22, vcc, v3, v2, vcc
	v_cmp_gt_i32_e32 vcc, s16, v0
	s_and_b64 s[0:1], s[0:1], vcc
	s_and_saveexec_b64 s[2:3], s[0:1]
	s_cbranch_execz .LBB874_6
; %bb.5:
	v_mul_f64 v[2:3], s[12:13], v[18:19]
	v_mul_f64 v[18:19], s[14:15], v[18:19]
	v_ashrrev_i32_e32 v1, 31, v0
	v_lshlrev_b64 v[25:26], 4, v[0:1]
	v_fma_f64 v[2:3], s[14:15], v[14:15], v[2:3]
	v_fma_f64 v[23:24], s[12:13], v[14:15], -v[18:19]
	v_add_co_u32_e64 v14, s[0:1], v5, v25
	v_addc_co_u32_e64 v15, s[0:1], v22, v26, s[0:1]
	v_cmp_ne_u32_e64 s[0:1], v4, v0
	v_cndmask_b32_e64 v26, 0, v3, s[0:1]
	v_cndmask_b32_e64 v25, 0, v2, s[0:1]
	flat_store_dwordx4 v[14:15], v[23:26]
.LBB874_6:
	s_or_b64 exec, exec, s[2:3]
	v_add_u32_e32 v2, 16, v0
	v_cmp_le_i32_e64 s[2:3], v4, v2
	v_cmp_gt_i32_e64 s[0:1], s16, v2
	s_and_b64 s[2:3], s[2:3], s[0:1]
	s_and_saveexec_b64 s[4:5], s[2:3]
	s_cbranch_execz .LBB874_8
; %bb.7:
	v_mul_f64 v[14:15], s[12:13], v[8:9]
	v_mul_f64 v[8:9], s[14:15], v[8:9]
	v_ashrrev_i32_e32 v3, 31, v2
	v_lshlrev_b64 v[18:19], 4, v[2:3]
	v_add_co_u32_e64 v18, s[2:3], v5, v18
	v_addc_co_u32_e64 v19, s[2:3], v22, v19, s[2:3]
	v_fma_f64 v[14:15], s[14:15], v[6:7], v[14:15]
	v_fma_f64 v[6:7], s[12:13], v[6:7], -v[8:9]
	v_cmp_ne_u32_e64 s[2:3], v4, v2
	v_cndmask_b32_e64 v9, 0, v15, s[2:3]
	v_cndmask_b32_e64 v8, 0, v14, s[2:3]
	flat_store_dwordx4 v[18:19], v[6:9]
.LBB874_8:
	s_or_b64 exec, exec, s[4:5]
	v_add_u32_e32 v3, 16, v4
	v_mad_i64_i32 v[5:6], s[2:3], v3, s8, 0
	v_mov_b32_e32 v1, s11
	v_lshlrev_b64 v[5:6], 4, v[5:6]
	v_add_co_u32_e64 v5, s[2:3], s10, v5
	v_addc_co_u32_e64 v6, s[2:3], v1, v6, s[2:3]
	v_cmp_le_i32_e64 s[2:3], v3, v0
	s_and_b64 s[4:5], s[2:3], vcc
	s_and_saveexec_b64 s[2:3], s[4:5]
	s_cbranch_execz .LBB874_10
; %bb.9:
	v_mul_f64 v[7:8], s[12:13], v[20:21]
	v_mul_f64 v[14:15], s[14:15], v[20:21]
	v_ashrrev_i32_e32 v1, 31, v0
	v_lshlrev_b64 v[18:19], 4, v[0:1]
	v_add_co_u32_e32 v18, vcc, v5, v18
	v_addc_co_u32_e32 v19, vcc, v6, v19, vcc
	v_fma_f64 v[7:8], s[14:15], v[16:17], v[7:8]
	v_fma_f64 v[14:15], s[12:13], v[16:17], -v[14:15]
	v_cmp_ne_u32_e32 vcc, v3, v0
	v_cndmask_b32_e32 v17, 0, v8, vcc
	v_cndmask_b32_e32 v16, 0, v7, vcc
	flat_store_dwordx4 v[18:19], v[14:17]
.LBB874_10:
	s_or_b64 exec, exec, s[2:3]
	v_cmp_le_i32_e32 vcc, v3, v2
	s_and_b64 s[0:1], vcc, s[0:1]
	s_and_saveexec_b64 s[2:3], s[0:1]
	s_cbranch_execz .LBB874_12
; %bb.11:
	v_mul_f64 v[7:8], s[12:13], v[12:13]
	v_mul_f64 v[12:13], s[14:15], v[12:13]
	v_ashrrev_i32_e32 v3, 31, v2
	v_lshlrev_b64 v[14:15], 4, v[2:3]
	v_add_co_u32_e32 v5, vcc, v5, v14
	v_addc_co_u32_e32 v6, vcc, v6, v15, vcc
	v_fma_f64 v[7:8], s[14:15], v[10:11], v[7:8]
	v_fma_f64 v[1:2], s[12:13], v[10:11], -v[12:13]
	v_cmp_ne_u32_e32 vcc, v4, v0
	v_cndmask_b32_e32 v4, 0, v8, vcc
	v_cndmask_b32_e32 v3, 0, v7, vcc
	flat_store_dwordx4 v[5:6], v[1:4]
.LBB874_12:
	s_endpgm
	.section	.rodata,"a",@progbits
	.p2align	6, 0x0
	.amdhsa_kernel _ZL37rocblas_syrkx_herkx_restricted_kernelIi19rocblas_complex_numIdELi16ELi32ELi8ELb1ELb1ELc67ELc76EKPKS1_KPS1_EviT_T0_PT8_S7_lSA_S7_lS8_PT9_S7_li
		.amdhsa_group_segment_fixed_size 8192
		.amdhsa_private_segment_fixed_size 0
		.amdhsa_kernarg_size 116
		.amdhsa_user_sgpr_count 6
		.amdhsa_user_sgpr_private_segment_buffer 1
		.amdhsa_user_sgpr_dispatch_ptr 0
		.amdhsa_user_sgpr_queue_ptr 0
		.amdhsa_user_sgpr_kernarg_segment_ptr 1
		.amdhsa_user_sgpr_dispatch_id 0
		.amdhsa_user_sgpr_flat_scratch_init 0
		.amdhsa_user_sgpr_private_segment_size 0
		.amdhsa_uses_dynamic_stack 0
		.amdhsa_system_sgpr_private_segment_wavefront_offset 0
		.amdhsa_system_sgpr_workgroup_id_x 1
		.amdhsa_system_sgpr_workgroup_id_y 1
		.amdhsa_system_sgpr_workgroup_id_z 1
		.amdhsa_system_sgpr_workgroup_info 0
		.amdhsa_system_vgpr_workitem_id 1
		.amdhsa_next_free_vgpr 52
		.amdhsa_next_free_sgpr 61
		.amdhsa_reserve_vcc 1
		.amdhsa_reserve_flat_scratch 0
		.amdhsa_float_round_mode_32 0
		.amdhsa_float_round_mode_16_64 0
		.amdhsa_float_denorm_mode_32 3
		.amdhsa_float_denorm_mode_16_64 3
		.amdhsa_dx10_clamp 1
		.amdhsa_ieee_mode 1
		.amdhsa_fp16_overflow 0
		.amdhsa_exception_fp_ieee_invalid_op 0
		.amdhsa_exception_fp_denorm_src 0
		.amdhsa_exception_fp_ieee_div_zero 0
		.amdhsa_exception_fp_ieee_overflow 0
		.amdhsa_exception_fp_ieee_underflow 0
		.amdhsa_exception_fp_ieee_inexact 0
		.amdhsa_exception_int_div_zero 0
	.end_amdhsa_kernel
	.section	.text._ZL37rocblas_syrkx_herkx_restricted_kernelIi19rocblas_complex_numIdELi16ELi32ELi8ELb1ELb1ELc67ELc76EKPKS1_KPS1_EviT_T0_PT8_S7_lSA_S7_lS8_PT9_S7_li,"axG",@progbits,_ZL37rocblas_syrkx_herkx_restricted_kernelIi19rocblas_complex_numIdELi16ELi32ELi8ELb1ELb1ELc67ELc76EKPKS1_KPS1_EviT_T0_PT8_S7_lSA_S7_lS8_PT9_S7_li,comdat
.Lfunc_end874:
	.size	_ZL37rocblas_syrkx_herkx_restricted_kernelIi19rocblas_complex_numIdELi16ELi32ELi8ELb1ELb1ELc67ELc76EKPKS1_KPS1_EviT_T0_PT8_S7_lSA_S7_lS8_PT9_S7_li, .Lfunc_end874-_ZL37rocblas_syrkx_herkx_restricted_kernelIi19rocblas_complex_numIdELi16ELi32ELi8ELb1ELb1ELc67ELc76EKPKS1_KPS1_EviT_T0_PT8_S7_lSA_S7_lS8_PT9_S7_li
                                        ; -- End function
	.set _ZL37rocblas_syrkx_herkx_restricted_kernelIi19rocblas_complex_numIdELi16ELi32ELi8ELb1ELb1ELc67ELc76EKPKS1_KPS1_EviT_T0_PT8_S7_lSA_S7_lS8_PT9_S7_li.num_vgpr, 52
	.set _ZL37rocblas_syrkx_herkx_restricted_kernelIi19rocblas_complex_numIdELi16ELi32ELi8ELb1ELb1ELc67ELc76EKPKS1_KPS1_EviT_T0_PT8_S7_lSA_S7_lS8_PT9_S7_li.num_agpr, 0
	.set _ZL37rocblas_syrkx_herkx_restricted_kernelIi19rocblas_complex_numIdELi16ELi32ELi8ELb1ELb1ELc67ELc76EKPKS1_KPS1_EviT_T0_PT8_S7_lSA_S7_lS8_PT9_S7_li.numbered_sgpr, 21
	.set _ZL37rocblas_syrkx_herkx_restricted_kernelIi19rocblas_complex_numIdELi16ELi32ELi8ELb1ELb1ELc67ELc76EKPKS1_KPS1_EviT_T0_PT8_S7_lSA_S7_lS8_PT9_S7_li.num_named_barrier, 0
	.set _ZL37rocblas_syrkx_herkx_restricted_kernelIi19rocblas_complex_numIdELi16ELi32ELi8ELb1ELb1ELc67ELc76EKPKS1_KPS1_EviT_T0_PT8_S7_lSA_S7_lS8_PT9_S7_li.private_seg_size, 0
	.set _ZL37rocblas_syrkx_herkx_restricted_kernelIi19rocblas_complex_numIdELi16ELi32ELi8ELb1ELb1ELc67ELc76EKPKS1_KPS1_EviT_T0_PT8_S7_lSA_S7_lS8_PT9_S7_li.uses_vcc, 1
	.set _ZL37rocblas_syrkx_herkx_restricted_kernelIi19rocblas_complex_numIdELi16ELi32ELi8ELb1ELb1ELc67ELc76EKPKS1_KPS1_EviT_T0_PT8_S7_lSA_S7_lS8_PT9_S7_li.uses_flat_scratch, 0
	.set _ZL37rocblas_syrkx_herkx_restricted_kernelIi19rocblas_complex_numIdELi16ELi32ELi8ELb1ELb1ELc67ELc76EKPKS1_KPS1_EviT_T0_PT8_S7_lSA_S7_lS8_PT9_S7_li.has_dyn_sized_stack, 0
	.set _ZL37rocblas_syrkx_herkx_restricted_kernelIi19rocblas_complex_numIdELi16ELi32ELi8ELb1ELb1ELc67ELc76EKPKS1_KPS1_EviT_T0_PT8_S7_lSA_S7_lS8_PT9_S7_li.has_recursion, 0
	.set _ZL37rocblas_syrkx_herkx_restricted_kernelIi19rocblas_complex_numIdELi16ELi32ELi8ELb1ELb1ELc67ELc76EKPKS1_KPS1_EviT_T0_PT8_S7_lSA_S7_lS8_PT9_S7_li.has_indirect_call, 0
	.section	.AMDGPU.csdata,"",@progbits
; Kernel info:
; codeLenInByte = 2920
; TotalNumSgprs: 25
; NumVgprs: 52
; ScratchSize: 0
; MemoryBound: 0
; FloatMode: 240
; IeeeMode: 1
; LDSByteSize: 8192 bytes/workgroup (compile time only)
; SGPRBlocks: 8
; VGPRBlocks: 12
; NumSGPRsForWavesPerEU: 65
; NumVGPRsForWavesPerEU: 52
; Occupancy: 4
; WaveLimiterHint : 1
; COMPUTE_PGM_RSRC2:SCRATCH_EN: 0
; COMPUTE_PGM_RSRC2:USER_SGPR: 6
; COMPUTE_PGM_RSRC2:TRAP_HANDLER: 0
; COMPUTE_PGM_RSRC2:TGID_X_EN: 1
; COMPUTE_PGM_RSRC2:TGID_Y_EN: 1
; COMPUTE_PGM_RSRC2:TGID_Z_EN: 1
; COMPUTE_PGM_RSRC2:TIDIG_COMP_CNT: 1
	.section	.text._ZL37rocblas_syrkx_herkx_restricted_kernelIi19rocblas_complex_numIdELi16ELi32ELi8ELb1ELb1ELc78ELc76EKPKS1_KPS1_EviT_T0_PT8_S7_lSA_S7_lS8_PT9_S7_li,"axG",@progbits,_ZL37rocblas_syrkx_herkx_restricted_kernelIi19rocblas_complex_numIdELi16ELi32ELi8ELb1ELb1ELc78ELc76EKPKS1_KPS1_EviT_T0_PT8_S7_lSA_S7_lS8_PT9_S7_li,comdat
	.globl	_ZL37rocblas_syrkx_herkx_restricted_kernelIi19rocblas_complex_numIdELi16ELi32ELi8ELb1ELb1ELc78ELc76EKPKS1_KPS1_EviT_T0_PT8_S7_lSA_S7_lS8_PT9_S7_li ; -- Begin function _ZL37rocblas_syrkx_herkx_restricted_kernelIi19rocblas_complex_numIdELi16ELi32ELi8ELb1ELb1ELc78ELc76EKPKS1_KPS1_EviT_T0_PT8_S7_lSA_S7_lS8_PT9_S7_li
	.p2align	8
	.type	_ZL37rocblas_syrkx_herkx_restricted_kernelIi19rocblas_complex_numIdELi16ELi32ELi8ELb1ELb1ELc78ELc76EKPKS1_KPS1_EviT_T0_PT8_S7_lSA_S7_lS8_PT9_S7_li,@function
_ZL37rocblas_syrkx_herkx_restricted_kernelIi19rocblas_complex_numIdELi16ELi32ELi8ELb1ELb1ELc78ELc76EKPKS1_KPS1_EviT_T0_PT8_S7_lSA_S7_lS8_PT9_S7_li: ; @_ZL37rocblas_syrkx_herkx_restricted_kernelIi19rocblas_complex_numIdELi16ELi32ELi8ELb1ELb1ELc78ELc76EKPKS1_KPS1_EviT_T0_PT8_S7_lSA_S7_lS8_PT9_S7_li
; %bb.0:
	s_load_dwordx2 s[0:1], s[4:5], 0x18
	s_load_dwordx2 s[10:11], s[4:5], 0x58
	s_load_dwordx2 s[16:17], s[4:5], 0x0
	s_load_dwordx4 s[12:15], s[4:5], 0x8
	s_mov_b32 s9, 0
	s_lshl_b64 s[2:3], s[8:9], 3
	s_waitcnt lgkmcnt(0)
	s_add_u32 s10, s10, s2
	s_addc_u32 s11, s11, s3
	s_load_dwordx2 s[10:11], s[10:11], 0x0
	s_lshl_b32 s6, s6, 5
	s_lshl_b32 s7, s7, 5
	s_cmp_lt_i32 s17, 1
	s_cbranch_scc1 .LBB875_3
; %bb.1:
	s_load_dword s18, s[4:5], 0x20
	s_load_dword s20, s[4:5], 0x38
	s_load_dwordx2 s[22:23], s[4:5], 0x30
	v_lshl_add_u32 v2, v1, 4, v0
	v_lshrrev_b32_e32 v6, 3, v2
	s_waitcnt lgkmcnt(0)
	s_ashr_i32 s19, s18, 31
	s_ashr_i32 s21, s20, 31
	s_add_u32 s0, s0, s2
	s_addc_u32 s1, s1, s3
	v_lshrrev_b32_e32 v7, 5, v2
	v_and_b32_e32 v9, 31, v2
	v_add_u32_e32 v2, s7, v6
	s_add_u32 s2, s22, s2
	v_and_b32_e32 v8, 7, v0
	v_ashrrev_i32_e32 v3, 31, v2
	s_addc_u32 s3, s23, s3
	v_mad_i64_i32 v[4:5], s[22:23], s20, v8, v[2:3]
	v_lshlrev_b32_e32 v2, 4, v9
	v_lshl_or_b32 v22, v7, 9, v2
	v_lshlrev_b32_e32 v2, 4, v8
	v_lshl_or_b32 v2, v6, 7, v2
	v_add_u32_e32 v23, 0x1000, v2
	v_add_u32_e32 v2, s6, v9
	v_ashrrev_i32_e32 v3, 31, v2
	v_mad_i64_i32 v[2:3], s[22:23], s18, v7, v[2:3]
	s_load_dwordx2 s[0:1], s[0:1], 0x0
	v_mov_b32_e32 v6, 0x1000
	s_load_dwordx2 s[2:3], s[2:3], 0x0
	v_lshlrev_b64 v[2:3], 4, v[2:3]
	v_lshl_add_u32 v25, v1, 7, v6
	s_waitcnt lgkmcnt(0)
	v_mov_b32_e32 v6, s1
	v_add_co_u32_e32 v2, vcc, s0, v2
	v_lshlrev_b64 v[4:5], 4, v[4:5]
	v_addc_co_u32_e32 v3, vcc, v6, v3, vcc
	v_mov_b32_e32 v6, s3
	v_add_co_u32_e32 v4, vcc, s2, v4
	s_lshl_b64 s[0:1], s[18:19], 7
	v_addc_co_u32_e32 v5, vcc, v6, v5, vcc
	s_lshl_b64 s[2:3], s[20:21], 7
	v_mov_b32_e32 v12, 0
	v_mov_b32_e32 v10, 0
	v_mov_b32_e32 v16, 0
	v_mov_b32_e32 v14, 0
	v_mov_b32_e32 v8, 0
	v_mov_b32_e32 v6, 0
	v_mov_b32_e32 v20, 0
	v_mov_b32_e32 v18, 0
	v_lshlrev_b32_e32 v24, 4, v0
	v_mov_b32_e32 v13, 0
	v_mov_b32_e32 v26, s1
	;; [unrolled: 1-line block ×10, first 2 shown]
.LBB875_2:                              ; =>This Inner Loop Header: Depth=1
	flat_load_dwordx4 v[28:31], v[2:3]
	v_add_co_u32_e32 v2, vcc, s0, v2
	v_addc_co_u32_e32 v3, vcc, v3, v26, vcc
	s_add_i32 s9, s9, 8
	s_cmp_ge_i32 s9, s17
	s_waitcnt vmcnt(0) lgkmcnt(0)
	ds_write_b128 v22, v[28:31]
	flat_load_dwordx4 v[28:31], v[4:5]
	v_add_co_u32_e32 v4, vcc, s2, v4
	v_addc_co_u32_e32 v5, vcc, v5, v27, vcc
	s_waitcnt vmcnt(0) lgkmcnt(0)
	v_xor_b32_e32 v31, 0x80000000, v31
	ds_write_b128 v23, v[28:31]
	s_waitcnt lgkmcnt(0)
	s_barrier
	ds_read_b128 v[28:31], v25
	ds_read_b128 v[32:35], v25 offset:16
	ds_read_b128 v[36:39], v25 offset:32
	;; [unrolled: 1-line block ×3, first 2 shown]
	ds_read_b128 v[44:47], v24
	s_waitcnt lgkmcnt(0)
	v_mul_f64 v[48:49], v[30:31], v[46:47]
	v_mul_f64 v[50:51], v[28:29], v[46:47]
	v_fma_f64 v[48:49], v[28:29], v[44:45], -v[48:49]
	v_fma_f64 v[50:51], v[30:31], v[44:45], v[50:51]
	v_add_f64 v[48:49], v[18:19], v[48:49]
	v_add_f64 v[50:51], v[50:51], v[20:21]
	ds_read_b128 v[18:21], v24 offset:256
	s_waitcnt lgkmcnt(0)
	v_mul_f64 v[52:53], v[30:31], v[20:21]
	v_fma_f64 v[52:53], v[28:29], v[18:19], -v[52:53]
	v_mul_f64 v[28:29], v[28:29], v[20:21]
	v_fma_f64 v[28:29], v[30:31], v[18:19], v[28:29]
	v_add_f64 v[30:31], v[6:7], v[52:53]
	v_add_f64 v[28:29], v[28:29], v[8:9]
	ds_read_b128 v[6:9], v25 offset:2048
	s_waitcnt lgkmcnt(0)
	v_mul_f64 v[52:53], v[8:9], v[46:47]
	v_mul_f64 v[46:47], v[6:7], v[46:47]
	v_fma_f64 v[52:53], v[6:7], v[44:45], -v[52:53]
	v_fma_f64 v[44:45], v[8:9], v[44:45], v[46:47]
	v_add_f64 v[46:47], v[14:15], v[52:53]
	v_mul_f64 v[14:15], v[8:9], v[20:21]
	v_add_f64 v[44:45], v[44:45], v[16:17]
	v_fma_f64 v[14:15], v[6:7], v[18:19], -v[14:15]
	v_mul_f64 v[6:7], v[6:7], v[20:21]
	v_fma_f64 v[6:7], v[8:9], v[18:19], v[6:7]
	v_add_f64 v[18:19], v[10:11], v[14:15]
	v_add_f64 v[20:21], v[6:7], v[12:13]
	ds_read_b128 v[6:9], v24 offset:512
	s_waitcnt lgkmcnt(0)
	v_mul_f64 v[10:11], v[34:35], v[8:9]
	v_mul_f64 v[12:13], v[32:33], v[8:9]
	v_fma_f64 v[10:11], v[32:33], v[6:7], -v[10:11]
	v_fma_f64 v[12:13], v[34:35], v[6:7], v[12:13]
	v_add_f64 v[48:49], v[48:49], v[10:11]
	v_add_f64 v[50:51], v[12:13], v[50:51]
	ds_read_b128 v[10:13], v24 offset:768
	s_waitcnt lgkmcnt(0)
	v_mul_f64 v[14:15], v[34:35], v[12:13]
	v_mul_f64 v[16:17], v[32:33], v[12:13]
	v_fma_f64 v[14:15], v[32:33], v[10:11], -v[14:15]
	;; [unrolled: 8-line block ×3, first 2 shown]
	v_fma_f64 v[6:7], v[16:17], v[6:7], v[8:9]
	v_mul_f64 v[8:9], v[14:15], v[12:13]
	v_add_f64 v[32:33], v[46:47], v[32:33]
	v_add_f64 v[34:35], v[6:7], v[44:45]
	v_mul_f64 v[6:7], v[16:17], v[12:13]
	v_fma_f64 v[8:9], v[16:17], v[10:11], v[8:9]
	v_fma_f64 v[6:7], v[14:15], v[10:11], -v[6:7]
	v_add_f64 v[20:21], v[8:9], v[20:21]
	v_add_f64 v[18:19], v[18:19], v[6:7]
	ds_read_b128 v[6:9], v24 offset:1024
	s_waitcnt lgkmcnt(0)
	v_mul_f64 v[10:11], v[38:39], v[8:9]
	v_mul_f64 v[12:13], v[36:37], v[8:9]
	v_fma_f64 v[10:11], v[36:37], v[6:7], -v[10:11]
	v_fma_f64 v[12:13], v[38:39], v[6:7], v[12:13]
	v_add_f64 v[44:45], v[48:49], v[10:11]
	v_add_f64 v[46:47], v[12:13], v[50:51]
	ds_read_b128 v[10:13], v24 offset:1280
	s_waitcnt lgkmcnt(0)
	v_mul_f64 v[14:15], v[38:39], v[12:13]
	v_mul_f64 v[16:17], v[36:37], v[12:13]
	v_fma_f64 v[14:15], v[36:37], v[10:11], -v[14:15]
	v_fma_f64 v[16:17], v[38:39], v[10:11], v[16:17]
	;; [unrolled: 8-line block ×3, first 2 shown]
	v_mul_f64 v[8:9], v[14:15], v[12:13]
	v_add_f64 v[32:33], v[32:33], v[36:37]
	v_add_f64 v[34:35], v[6:7], v[34:35]
	v_mul_f64 v[6:7], v[16:17], v[12:13]
	v_fma_f64 v[8:9], v[16:17], v[10:11], v[8:9]
	v_fma_f64 v[6:7], v[14:15], v[10:11], -v[6:7]
	v_add_f64 v[20:21], v[8:9], v[20:21]
	v_add_f64 v[18:19], v[18:19], v[6:7]
	ds_read_b128 v[6:9], v24 offset:1536
	s_waitcnt lgkmcnt(0)
	v_mul_f64 v[10:11], v[42:43], v[8:9]
	v_mul_f64 v[12:13], v[40:41], v[8:9]
	v_fma_f64 v[10:11], v[40:41], v[6:7], -v[10:11]
	v_fma_f64 v[12:13], v[42:43], v[6:7], v[12:13]
	v_add_f64 v[36:37], v[44:45], v[10:11]
	v_add_f64 v[38:39], v[12:13], v[46:47]
	ds_read_b128 v[10:13], v24 offset:1792
	s_waitcnt lgkmcnt(0)
	v_mul_f64 v[14:15], v[42:43], v[12:13]
	v_mul_f64 v[16:17], v[40:41], v[12:13]
	v_fma_f64 v[14:15], v[40:41], v[10:11], -v[14:15]
	v_fma_f64 v[16:17], v[42:43], v[10:11], v[16:17]
	;; [unrolled: 8-line block ×3, first 2 shown]
	v_mul_f64 v[8:9], v[14:15], v[12:13]
	v_add_f64 v[32:33], v[32:33], v[40:41]
	v_add_f64 v[34:35], v[6:7], v[34:35]
	v_mul_f64 v[6:7], v[16:17], v[12:13]
	v_fma_f64 v[8:9], v[16:17], v[10:11], v[8:9]
	v_fma_f64 v[6:7], v[14:15], v[10:11], -v[6:7]
	v_add_f64 v[20:21], v[8:9], v[20:21]
	v_add_f64 v[18:19], v[18:19], v[6:7]
	ds_read_b128 v[6:9], v25 offset:64
	ds_read_b128 v[10:13], v24 offset:2048
	s_waitcnt lgkmcnt(0)
	v_mul_f64 v[14:15], v[8:9], v[12:13]
	v_mul_f64 v[16:17], v[6:7], v[12:13]
	v_fma_f64 v[14:15], v[6:7], v[10:11], -v[14:15]
	v_fma_f64 v[16:17], v[8:9], v[10:11], v[16:17]
	v_add_f64 v[36:37], v[36:37], v[14:15]
	v_add_f64 v[38:39], v[16:17], v[38:39]
	ds_read_b128 v[14:17], v24 offset:2304
	s_waitcnt lgkmcnt(0)
	v_mul_f64 v[40:41], v[8:9], v[16:17]
	v_fma_f64 v[40:41], v[6:7], v[14:15], -v[40:41]
	v_mul_f64 v[6:7], v[6:7], v[16:17]
	v_add_f64 v[30:31], v[30:31], v[40:41]
	v_fma_f64 v[6:7], v[8:9], v[14:15], v[6:7]
	v_add_f64 v[28:29], v[6:7], v[28:29]
	ds_read_b128 v[6:9], v25 offset:2112
	s_waitcnt lgkmcnt(0)
	v_mul_f64 v[40:41], v[8:9], v[12:13]
	v_mul_f64 v[12:13], v[6:7], v[12:13]
	v_fma_f64 v[40:41], v[6:7], v[10:11], -v[40:41]
	v_fma_f64 v[10:11], v[8:9], v[10:11], v[12:13]
	v_add_f64 v[32:33], v[32:33], v[40:41]
	v_add_f64 v[34:35], v[10:11], v[34:35]
	v_mul_f64 v[10:11], v[8:9], v[16:17]
	v_fma_f64 v[10:11], v[6:7], v[14:15], -v[10:11]
	v_mul_f64 v[6:7], v[6:7], v[16:17]
	v_add_f64 v[18:19], v[18:19], v[10:11]
	v_fma_f64 v[6:7], v[8:9], v[14:15], v[6:7]
	v_add_f64 v[20:21], v[6:7], v[20:21]
	ds_read_b128 v[6:9], v25 offset:80
	ds_read_b128 v[10:13], v24 offset:2560
	s_waitcnt lgkmcnt(0)
	v_mul_f64 v[14:15], v[8:9], v[12:13]
	v_mul_f64 v[16:17], v[6:7], v[12:13]
	v_fma_f64 v[14:15], v[6:7], v[10:11], -v[14:15]
	v_fma_f64 v[16:17], v[8:9], v[10:11], v[16:17]
	v_add_f64 v[36:37], v[36:37], v[14:15]
	v_add_f64 v[38:39], v[16:17], v[38:39]
	ds_read_b128 v[14:17], v24 offset:2816
	s_waitcnt lgkmcnt(0)
	v_mul_f64 v[40:41], v[8:9], v[16:17]
	v_fma_f64 v[40:41], v[6:7], v[14:15], -v[40:41]
	v_mul_f64 v[6:7], v[6:7], v[16:17]
	v_add_f64 v[30:31], v[30:31], v[40:41]
	v_fma_f64 v[6:7], v[8:9], v[14:15], v[6:7]
	v_add_f64 v[28:29], v[6:7], v[28:29]
	ds_read_b128 v[6:9], v25 offset:2128
	s_waitcnt lgkmcnt(0)
	v_mul_f64 v[40:41], v[8:9], v[12:13]
	v_mul_f64 v[12:13], v[6:7], v[12:13]
	v_fma_f64 v[40:41], v[6:7], v[10:11], -v[40:41]
	v_fma_f64 v[10:11], v[8:9], v[10:11], v[12:13]
	v_add_f64 v[32:33], v[32:33], v[40:41]
	v_add_f64 v[34:35], v[10:11], v[34:35]
	v_mul_f64 v[10:11], v[8:9], v[16:17]
	v_fma_f64 v[10:11], v[6:7], v[14:15], -v[10:11]
	v_mul_f64 v[6:7], v[6:7], v[16:17]
	v_add_f64 v[18:19], v[18:19], v[10:11]
	v_fma_f64 v[6:7], v[8:9], v[14:15], v[6:7]
	;; [unrolled: 31-line block ×3, first 2 shown]
	v_add_f64 v[50:51], v[6:7], v[20:21]
	ds_read_b128 v[6:9], v25 offset:112
	ds_read_b128 v[10:13], v24 offset:3584
	;; [unrolled: 1-line block ×4, first 2 shown]
	s_waitcnt lgkmcnt(0)
	s_barrier
	v_mul_f64 v[14:15], v[8:9], v[12:13]
	v_mul_f64 v[16:17], v[6:7], v[12:13]
	v_fma_f64 v[14:15], v[6:7], v[10:11], -v[14:15]
	v_fma_f64 v[16:17], v[8:9], v[10:11], v[16:17]
	v_add_f64 v[18:19], v[36:37], v[14:15]
	v_mul_f64 v[14:15], v[8:9], v[30:31]
	v_add_f64 v[20:21], v[16:17], v[38:39]
	v_fma_f64 v[14:15], v[6:7], v[28:29], -v[14:15]
	v_mul_f64 v[6:7], v[6:7], v[30:31]
	v_fma_f64 v[8:9], v[8:9], v[28:29], v[6:7]
	v_add_f64 v[6:7], v[40:41], v[14:15]
	v_mul_f64 v[14:15], v[34:35], v[12:13]
	v_mul_f64 v[12:13], v[32:33], v[12:13]
	v_add_f64 v[8:9], v[8:9], v[42:43]
	v_fma_f64 v[14:15], v[32:33], v[10:11], -v[14:15]
	v_fma_f64 v[10:11], v[34:35], v[10:11], v[12:13]
	v_mul_f64 v[12:13], v[32:33], v[30:31]
	v_add_f64 v[14:15], v[44:45], v[14:15]
	v_add_f64 v[16:17], v[10:11], v[46:47]
	v_mul_f64 v[10:11], v[34:35], v[30:31]
	v_fma_f64 v[12:13], v[34:35], v[28:29], v[12:13]
	v_fma_f64 v[10:11], v[32:33], v[28:29], -v[10:11]
	v_add_f64 v[12:13], v[12:13], v[50:51]
	v_add_f64 v[10:11], v[48:49], v[10:11]
	s_cbranch_scc0 .LBB875_2
	s_branch .LBB875_4
.LBB875_3:
	v_mov_b32_e32 v18, 0
	v_mov_b32_e32 v20, 0
	;; [unrolled: 1-line block ×16, first 2 shown]
.LBB875_4:
	s_load_dword s8, s[4:5], 0x60
	v_add_u32_e32 v4, s7, v1
	s_waitcnt lgkmcnt(0)
	v_mov_b32_e32 v3, s11
	v_add_u32_e32 v0, s6, v0
	v_mad_i64_i32 v[1:2], s[0:1], v4, s8, 0
	v_cmp_le_i32_e64 s[0:1], v4, v0
	v_lshlrev_b64 v[1:2], 4, v[1:2]
	v_add_co_u32_e32 v5, vcc, s10, v1
	v_addc_co_u32_e32 v22, vcc, v3, v2, vcc
	v_cmp_gt_i32_e32 vcc, s16, v0
	s_and_b64 s[0:1], s[0:1], vcc
	s_and_saveexec_b64 s[2:3], s[0:1]
	s_cbranch_execz .LBB875_6
; %bb.5:
	v_mul_f64 v[2:3], s[12:13], v[20:21]
	v_mul_f64 v[20:21], s[14:15], v[20:21]
	v_ashrrev_i32_e32 v1, 31, v0
	v_lshlrev_b64 v[23:24], 4, v[0:1]
	v_add_co_u32_e64 v23, s[0:1], v5, v23
	v_addc_co_u32_e64 v24, s[0:1], v22, v24, s[0:1]
	v_fma_f64 v[2:3], s[14:15], v[18:19], v[2:3]
	v_fma_f64 v[18:19], s[12:13], v[18:19], -v[20:21]
	v_cmp_ne_u32_e64 s[0:1], v4, v0
	v_cndmask_b32_e64 v21, 0, v3, s[0:1]
	v_cndmask_b32_e64 v20, 0, v2, s[0:1]
	flat_store_dwordx4 v[23:24], v[18:21]
.LBB875_6:
	s_or_b64 exec, exec, s[2:3]
	v_add_u32_e32 v2, 16, v0
	v_cmp_le_i32_e64 s[2:3], v4, v2
	v_cmp_gt_i32_e64 s[0:1], s16, v2
	s_and_b64 s[2:3], s[2:3], s[0:1]
	s_and_saveexec_b64 s[4:5], s[2:3]
	s_cbranch_execz .LBB875_8
; %bb.7:
	v_mul_f64 v[18:19], s[12:13], v[8:9]
	v_mul_f64 v[8:9], s[14:15], v[8:9]
	v_ashrrev_i32_e32 v3, 31, v2
	v_lshlrev_b64 v[20:21], 4, v[2:3]
	v_add_co_u32_e64 v20, s[2:3], v5, v20
	v_addc_co_u32_e64 v21, s[2:3], v22, v21, s[2:3]
	v_fma_f64 v[18:19], s[14:15], v[6:7], v[18:19]
	v_fma_f64 v[6:7], s[12:13], v[6:7], -v[8:9]
	v_cmp_ne_u32_e64 s[2:3], v4, v2
	v_cndmask_b32_e64 v9, 0, v19, s[2:3]
	v_cndmask_b32_e64 v8, 0, v18, s[2:3]
	flat_store_dwordx4 v[20:21], v[6:9]
.LBB875_8:
	s_or_b64 exec, exec, s[4:5]
	v_add_u32_e32 v3, 16, v4
	v_mad_i64_i32 v[5:6], s[2:3], v3, s8, 0
	v_mov_b32_e32 v1, s11
	v_lshlrev_b64 v[5:6], 4, v[5:6]
	v_add_co_u32_e64 v5, s[2:3], s10, v5
	v_addc_co_u32_e64 v6, s[2:3], v1, v6, s[2:3]
	v_cmp_le_i32_e64 s[2:3], v3, v0
	s_and_b64 s[4:5], s[2:3], vcc
	s_and_saveexec_b64 s[2:3], s[4:5]
	s_cbranch_execz .LBB875_10
; %bb.9:
	v_mul_f64 v[7:8], s[12:13], v[16:17]
	v_mul_f64 v[16:17], s[14:15], v[16:17]
	v_ashrrev_i32_e32 v1, 31, v0
	v_lshlrev_b64 v[18:19], 4, v[0:1]
	v_add_co_u32_e32 v18, vcc, v5, v18
	v_addc_co_u32_e32 v19, vcc, v6, v19, vcc
	v_fma_f64 v[7:8], s[14:15], v[14:15], v[7:8]
	v_fma_f64 v[14:15], s[12:13], v[14:15], -v[16:17]
	v_cmp_ne_u32_e32 vcc, v3, v0
	v_cndmask_b32_e32 v17, 0, v8, vcc
	v_cndmask_b32_e32 v16, 0, v7, vcc
	flat_store_dwordx4 v[18:19], v[14:17]
.LBB875_10:
	s_or_b64 exec, exec, s[2:3]
	v_cmp_le_i32_e32 vcc, v3, v2
	s_and_b64 s[0:1], vcc, s[0:1]
	s_and_saveexec_b64 s[2:3], s[0:1]
	s_cbranch_execz .LBB875_12
; %bb.11:
	v_mul_f64 v[7:8], s[12:13], v[12:13]
	v_mul_f64 v[12:13], s[14:15], v[12:13]
	v_ashrrev_i32_e32 v3, 31, v2
	v_lshlrev_b64 v[14:15], 4, v[2:3]
	v_add_co_u32_e32 v5, vcc, v5, v14
	v_addc_co_u32_e32 v6, vcc, v6, v15, vcc
	v_fma_f64 v[7:8], s[14:15], v[10:11], v[7:8]
	v_fma_f64 v[1:2], s[12:13], v[10:11], -v[12:13]
	v_cmp_ne_u32_e32 vcc, v4, v0
	v_cndmask_b32_e32 v4, 0, v8, vcc
	v_cndmask_b32_e32 v3, 0, v7, vcc
	flat_store_dwordx4 v[5:6], v[1:4]
.LBB875_12:
	s_endpgm
	.section	.rodata,"a",@progbits
	.p2align	6, 0x0
	.amdhsa_kernel _ZL37rocblas_syrkx_herkx_restricted_kernelIi19rocblas_complex_numIdELi16ELi32ELi8ELb1ELb1ELc78ELc76EKPKS1_KPS1_EviT_T0_PT8_S7_lSA_S7_lS8_PT9_S7_li
		.amdhsa_group_segment_fixed_size 8192
		.amdhsa_private_segment_fixed_size 0
		.amdhsa_kernarg_size 116
		.amdhsa_user_sgpr_count 6
		.amdhsa_user_sgpr_private_segment_buffer 1
		.amdhsa_user_sgpr_dispatch_ptr 0
		.amdhsa_user_sgpr_queue_ptr 0
		.amdhsa_user_sgpr_kernarg_segment_ptr 1
		.amdhsa_user_sgpr_dispatch_id 0
		.amdhsa_user_sgpr_flat_scratch_init 0
		.amdhsa_user_sgpr_private_segment_size 0
		.amdhsa_uses_dynamic_stack 0
		.amdhsa_system_sgpr_private_segment_wavefront_offset 0
		.amdhsa_system_sgpr_workgroup_id_x 1
		.amdhsa_system_sgpr_workgroup_id_y 1
		.amdhsa_system_sgpr_workgroup_id_z 1
		.amdhsa_system_sgpr_workgroup_info 0
		.amdhsa_system_vgpr_workitem_id 1
		.amdhsa_next_free_vgpr 54
		.amdhsa_next_free_sgpr 61
		.amdhsa_reserve_vcc 1
		.amdhsa_reserve_flat_scratch 0
		.amdhsa_float_round_mode_32 0
		.amdhsa_float_round_mode_16_64 0
		.amdhsa_float_denorm_mode_32 3
		.amdhsa_float_denorm_mode_16_64 3
		.amdhsa_dx10_clamp 1
		.amdhsa_ieee_mode 1
		.amdhsa_fp16_overflow 0
		.amdhsa_exception_fp_ieee_invalid_op 0
		.amdhsa_exception_fp_denorm_src 0
		.amdhsa_exception_fp_ieee_div_zero 0
		.amdhsa_exception_fp_ieee_overflow 0
		.amdhsa_exception_fp_ieee_underflow 0
		.amdhsa_exception_fp_ieee_inexact 0
		.amdhsa_exception_int_div_zero 0
	.end_amdhsa_kernel
	.section	.text._ZL37rocblas_syrkx_herkx_restricted_kernelIi19rocblas_complex_numIdELi16ELi32ELi8ELb1ELb1ELc78ELc76EKPKS1_KPS1_EviT_T0_PT8_S7_lSA_S7_lS8_PT9_S7_li,"axG",@progbits,_ZL37rocblas_syrkx_herkx_restricted_kernelIi19rocblas_complex_numIdELi16ELi32ELi8ELb1ELb1ELc78ELc76EKPKS1_KPS1_EviT_T0_PT8_S7_lSA_S7_lS8_PT9_S7_li,comdat
.Lfunc_end875:
	.size	_ZL37rocblas_syrkx_herkx_restricted_kernelIi19rocblas_complex_numIdELi16ELi32ELi8ELb1ELb1ELc78ELc76EKPKS1_KPS1_EviT_T0_PT8_S7_lSA_S7_lS8_PT9_S7_li, .Lfunc_end875-_ZL37rocblas_syrkx_herkx_restricted_kernelIi19rocblas_complex_numIdELi16ELi32ELi8ELb1ELb1ELc78ELc76EKPKS1_KPS1_EviT_T0_PT8_S7_lSA_S7_lS8_PT9_S7_li
                                        ; -- End function
	.set _ZL37rocblas_syrkx_herkx_restricted_kernelIi19rocblas_complex_numIdELi16ELi32ELi8ELb1ELb1ELc78ELc76EKPKS1_KPS1_EviT_T0_PT8_S7_lSA_S7_lS8_PT9_S7_li.num_vgpr, 54
	.set _ZL37rocblas_syrkx_herkx_restricted_kernelIi19rocblas_complex_numIdELi16ELi32ELi8ELb1ELb1ELc78ELc76EKPKS1_KPS1_EviT_T0_PT8_S7_lSA_S7_lS8_PT9_S7_li.num_agpr, 0
	.set _ZL37rocblas_syrkx_herkx_restricted_kernelIi19rocblas_complex_numIdELi16ELi32ELi8ELb1ELb1ELc78ELc76EKPKS1_KPS1_EviT_T0_PT8_S7_lSA_S7_lS8_PT9_S7_li.numbered_sgpr, 24
	.set _ZL37rocblas_syrkx_herkx_restricted_kernelIi19rocblas_complex_numIdELi16ELi32ELi8ELb1ELb1ELc78ELc76EKPKS1_KPS1_EviT_T0_PT8_S7_lSA_S7_lS8_PT9_S7_li.num_named_barrier, 0
	.set _ZL37rocblas_syrkx_herkx_restricted_kernelIi19rocblas_complex_numIdELi16ELi32ELi8ELb1ELb1ELc78ELc76EKPKS1_KPS1_EviT_T0_PT8_S7_lSA_S7_lS8_PT9_S7_li.private_seg_size, 0
	.set _ZL37rocblas_syrkx_herkx_restricted_kernelIi19rocblas_complex_numIdELi16ELi32ELi8ELb1ELb1ELc78ELc76EKPKS1_KPS1_EviT_T0_PT8_S7_lSA_S7_lS8_PT9_S7_li.uses_vcc, 1
	.set _ZL37rocblas_syrkx_herkx_restricted_kernelIi19rocblas_complex_numIdELi16ELi32ELi8ELb1ELb1ELc78ELc76EKPKS1_KPS1_EviT_T0_PT8_S7_lSA_S7_lS8_PT9_S7_li.uses_flat_scratch, 0
	.set _ZL37rocblas_syrkx_herkx_restricted_kernelIi19rocblas_complex_numIdELi16ELi32ELi8ELb1ELb1ELc78ELc76EKPKS1_KPS1_EviT_T0_PT8_S7_lSA_S7_lS8_PT9_S7_li.has_dyn_sized_stack, 0
	.set _ZL37rocblas_syrkx_herkx_restricted_kernelIi19rocblas_complex_numIdELi16ELi32ELi8ELb1ELb1ELc78ELc76EKPKS1_KPS1_EviT_T0_PT8_S7_lSA_S7_lS8_PT9_S7_li.has_recursion, 0
	.set _ZL37rocblas_syrkx_herkx_restricted_kernelIi19rocblas_complex_numIdELi16ELi32ELi8ELb1ELb1ELc78ELc76EKPKS1_KPS1_EviT_T0_PT8_S7_lSA_S7_lS8_PT9_S7_li.has_indirect_call, 0
	.section	.AMDGPU.csdata,"",@progbits
; Kernel info:
; codeLenInByte = 2936
; TotalNumSgprs: 28
; NumVgprs: 54
; ScratchSize: 0
; MemoryBound: 0
; FloatMode: 240
; IeeeMode: 1
; LDSByteSize: 8192 bytes/workgroup (compile time only)
; SGPRBlocks: 8
; VGPRBlocks: 13
; NumSGPRsForWavesPerEU: 65
; NumVGPRsForWavesPerEU: 54
; Occupancy: 4
; WaveLimiterHint : 1
; COMPUTE_PGM_RSRC2:SCRATCH_EN: 0
; COMPUTE_PGM_RSRC2:USER_SGPR: 6
; COMPUTE_PGM_RSRC2:TRAP_HANDLER: 0
; COMPUTE_PGM_RSRC2:TGID_X_EN: 1
; COMPUTE_PGM_RSRC2:TGID_Y_EN: 1
; COMPUTE_PGM_RSRC2:TGID_Z_EN: 1
; COMPUTE_PGM_RSRC2:TIDIG_COMP_CNT: 1
	.section	.text._ZL37rocblas_syrkx_herkx_restricted_kernelIi19rocblas_complex_numIdELi16ELi32ELi8ELb1ELb1ELc84ELc85EKPKS1_KPS1_EviT_T0_PT8_S7_lSA_S7_lS8_PT9_S7_li,"axG",@progbits,_ZL37rocblas_syrkx_herkx_restricted_kernelIi19rocblas_complex_numIdELi16ELi32ELi8ELb1ELb1ELc84ELc85EKPKS1_KPS1_EviT_T0_PT8_S7_lSA_S7_lS8_PT9_S7_li,comdat
	.globl	_ZL37rocblas_syrkx_herkx_restricted_kernelIi19rocblas_complex_numIdELi16ELi32ELi8ELb1ELb1ELc84ELc85EKPKS1_KPS1_EviT_T0_PT8_S7_lSA_S7_lS8_PT9_S7_li ; -- Begin function _ZL37rocblas_syrkx_herkx_restricted_kernelIi19rocblas_complex_numIdELi16ELi32ELi8ELb1ELb1ELc84ELc85EKPKS1_KPS1_EviT_T0_PT8_S7_lSA_S7_lS8_PT9_S7_li
	.p2align	8
	.type	_ZL37rocblas_syrkx_herkx_restricted_kernelIi19rocblas_complex_numIdELi16ELi32ELi8ELb1ELb1ELc84ELc85EKPKS1_KPS1_EviT_T0_PT8_S7_lSA_S7_lS8_PT9_S7_li,@function
_ZL37rocblas_syrkx_herkx_restricted_kernelIi19rocblas_complex_numIdELi16ELi32ELi8ELb1ELb1ELc84ELc85EKPKS1_KPS1_EviT_T0_PT8_S7_lSA_S7_lS8_PT9_S7_li: ; @_ZL37rocblas_syrkx_herkx_restricted_kernelIi19rocblas_complex_numIdELi16ELi32ELi8ELb1ELb1ELc84ELc85EKPKS1_KPS1_EviT_T0_PT8_S7_lSA_S7_lS8_PT9_S7_li
; %bb.0:
	s_load_dwordx2 s[0:1], s[4:5], 0x18
	s_load_dwordx2 s[10:11], s[4:5], 0x58
	;; [unrolled: 1-line block ×3, first 2 shown]
	s_load_dwordx4 s[12:15], s[4:5], 0x8
	s_mov_b32 s9, 0
	s_lshl_b64 s[16:17], s[8:9], 3
	s_waitcnt lgkmcnt(0)
	s_add_u32 s10, s10, s16
	s_addc_u32 s11, s11, s17
	s_load_dwordx2 s[10:11], s[10:11], 0x0
	s_lshl_b32 s6, s6, 5
	s_lshl_b32 s7, s7, 5
	s_cmp_lt_i32 s3, 1
	s_cbranch_scc1 .LBB876_3
; %bb.1:
	s_load_dword s8, s[4:5], 0x20
	s_load_dwordx2 s[18:19], s[4:5], 0x30
	s_load_dword s20, s[4:5], 0x38
	s_add_u32 s0, s0, s16
	v_lshl_add_u32 v3, v1, 4, v0
	s_addc_u32 s1, s1, s17
	v_lshrrev_b32_e32 v8, 3, v3
	s_waitcnt lgkmcnt(0)
	s_add_u32 s16, s18, s16
	v_lshrrev_b32_e32 v2, 5, v3
	v_and_b32_e32 v4, 7, v0
	v_and_b32_e32 v9, 31, v3
	v_add_u32_e32 v3, s7, v8
	v_mov_b32_e32 v5, 0
	s_addc_u32 s17, s19, s17
	v_mad_i64_i32 v[6:7], s[18:19], s20, v3, v[4:5]
	v_mov_b32_e32 v3, v5
	v_lshlrev_b32_e32 v5, 4, v9
	v_lshl_or_b32 v22, v2, 9, v5
	v_add_u32_e32 v5, s6, v9
	v_mad_i64_i32 v[2:3], s[18:19], s8, v5, v[2:3]
	s_load_dwordx2 s[0:1], s[0:1], 0x0
	v_lshlrev_b32_e32 v4, 4, v4
	s_load_dwordx2 s[16:17], s[16:17], 0x0
	v_lshlrev_b64 v[2:3], 4, v[2:3]
	v_lshl_or_b32 v4, v8, 7, v4
	v_add_u32_e32 v23, 0x1000, v4
	s_waitcnt lgkmcnt(0)
	v_mov_b32_e32 v4, s1
	v_add_co_u32_e32 v2, vcc, s0, v2
	v_addc_co_u32_e32 v3, vcc, v4, v3, vcc
	v_lshlrev_b64 v[4:5], 4, v[6:7]
	v_mov_b32_e32 v6, s17
	v_add_co_u32_e32 v4, vcc, s16, v4
	v_mov_b32_e32 v25, 0x1000
	v_addc_co_u32_e32 v5, vcc, v6, v5, vcc
	v_mov_b32_e32 v12, 0
	v_mov_b32_e32 v10, 0
	;; [unrolled: 1-line block ×8, first 2 shown]
	v_lshlrev_b32_e32 v24, 4, v0
	v_mov_b32_e32 v13, 0
	v_mov_b32_e32 v11, 0
	;; [unrolled: 1-line block ×8, first 2 shown]
	v_lshl_add_u32 v25, v1, 7, v25
.LBB876_2:                              ; =>This Inner Loop Header: Depth=1
	flat_load_dwordx4 v[26:29], v[2:3]
	v_add_co_u32_e32 v2, vcc, 0x80, v2
	v_addc_co_u32_e32 v3, vcc, 0, v3, vcc
	s_add_i32 s9, s9, 8
	s_cmp_ge_i32 s9, s3
	s_waitcnt vmcnt(0) lgkmcnt(0)
	ds_write_b128 v22, v[26:29]
	flat_load_dwordx4 v[26:29], v[4:5]
	v_add_co_u32_e32 v4, vcc, 0x80, v4
	v_addc_co_u32_e32 v5, vcc, 0, v5, vcc
	s_waitcnt vmcnt(0) lgkmcnt(0)
	ds_write_b128 v23, v[26:29]
	s_waitcnt lgkmcnt(0)
	s_barrier
	ds_read_b128 v[26:29], v25
	ds_read_b128 v[30:33], v25 offset:16
	ds_read_b128 v[34:37], v25 offset:32
	ds_read_b128 v[38:41], v25 offset:48
	ds_read_b128 v[42:45], v24
	s_waitcnt lgkmcnt(0)
	v_mul_f64 v[46:47], v[28:29], v[44:45]
	v_mul_f64 v[48:49], v[26:27], v[44:45]
	v_fma_f64 v[46:47], v[26:27], v[42:43], -v[46:47]
	v_fma_f64 v[48:49], v[28:29], v[42:43], v[48:49]
	v_add_f64 v[14:15], v[14:15], v[46:47]
	v_add_f64 v[18:19], v[48:49], v[18:19]
	ds_read_b128 v[46:49], v24 offset:256
	s_waitcnt lgkmcnt(0)
	v_mul_f64 v[50:51], v[28:29], v[48:49]
	v_fma_f64 v[50:51], v[26:27], v[46:47], -v[50:51]
	v_mul_f64 v[26:27], v[26:27], v[48:49]
	v_fma_f64 v[26:27], v[28:29], v[46:47], v[26:27]
	v_add_f64 v[28:29], v[6:7], v[50:51]
	v_add_f64 v[26:27], v[26:27], v[8:9]
	ds_read_b128 v[6:9], v25 offset:2048
	s_waitcnt lgkmcnt(0)
	v_mul_f64 v[50:51], v[8:9], v[44:45]
	v_mul_f64 v[44:45], v[6:7], v[44:45]
	v_fma_f64 v[50:51], v[6:7], v[42:43], -v[50:51]
	v_fma_f64 v[42:43], v[8:9], v[42:43], v[44:45]
	v_add_f64 v[44:45], v[16:17], v[50:51]
	v_mul_f64 v[16:17], v[8:9], v[48:49]
	v_add_f64 v[20:21], v[42:43], v[20:21]
	v_fma_f64 v[16:17], v[6:7], v[46:47], -v[16:17]
	v_mul_f64 v[6:7], v[6:7], v[48:49]
	v_add_f64 v[42:43], v[10:11], v[16:17]
	v_fma_f64 v[6:7], v[8:9], v[46:47], v[6:7]
	v_add_f64 v[46:47], v[6:7], v[12:13]
	ds_read_b128 v[6:9], v24 offset:512
	s_waitcnt lgkmcnt(0)
	v_mul_f64 v[10:11], v[32:33], v[8:9]
	v_mul_f64 v[12:13], v[30:31], v[8:9]
	v_fma_f64 v[10:11], v[30:31], v[6:7], -v[10:11]
	v_fma_f64 v[12:13], v[32:33], v[6:7], v[12:13]
	v_add_f64 v[48:49], v[14:15], v[10:11]
	v_add_f64 v[18:19], v[12:13], v[18:19]
	ds_read_b128 v[10:13], v24 offset:768
	s_waitcnt lgkmcnt(0)
	v_mul_f64 v[14:15], v[32:33], v[12:13]
	v_mul_f64 v[16:17], v[30:31], v[12:13]
	v_fma_f64 v[14:15], v[30:31], v[10:11], -v[14:15]
	v_fma_f64 v[16:17], v[32:33], v[10:11], v[16:17]
	v_add_f64 v[28:29], v[28:29], v[14:15]
	v_add_f64 v[26:27], v[16:17], v[26:27]
	ds_read_b128 v[14:17], v25 offset:2064
	s_waitcnt lgkmcnt(0)
	v_mul_f64 v[30:31], v[16:17], v[8:9]
	v_mul_f64 v[8:9], v[14:15], v[8:9]
	v_fma_f64 v[30:31], v[14:15], v[6:7], -v[30:31]
	v_fma_f64 v[6:7], v[16:17], v[6:7], v[8:9]
	v_mul_f64 v[8:9], v[14:15], v[12:13]
	v_add_f64 v[30:31], v[44:45], v[30:31]
	v_add_f64 v[20:21], v[6:7], v[20:21]
	v_mul_f64 v[6:7], v[16:17], v[12:13]
	v_fma_f64 v[8:9], v[16:17], v[10:11], v[8:9]
	v_fma_f64 v[6:7], v[14:15], v[10:11], -v[6:7]
	v_add_f64 v[32:33], v[42:43], v[6:7]
	v_add_f64 v[42:43], v[8:9], v[46:47]
	ds_read_b128 v[6:9], v24 offset:1024
	s_waitcnt lgkmcnt(0)
	v_mul_f64 v[10:11], v[36:37], v[8:9]
	v_mul_f64 v[12:13], v[34:35], v[8:9]
	v_fma_f64 v[10:11], v[34:35], v[6:7], -v[10:11]
	v_fma_f64 v[12:13], v[36:37], v[6:7], v[12:13]
	v_add_f64 v[44:45], v[48:49], v[10:11]
	v_add_f64 v[18:19], v[12:13], v[18:19]
	ds_read_b128 v[10:13], v24 offset:1280
	s_waitcnt lgkmcnt(0)
	v_mul_f64 v[14:15], v[36:37], v[12:13]
	v_mul_f64 v[16:17], v[34:35], v[12:13]
	v_fma_f64 v[14:15], v[34:35], v[10:11], -v[14:15]
	v_fma_f64 v[16:17], v[36:37], v[10:11], v[16:17]
	v_add_f64 v[28:29], v[28:29], v[14:15]
	v_add_f64 v[26:27], v[16:17], v[26:27]
	ds_read_b128 v[14:17], v25 offset:2080
	s_waitcnt lgkmcnt(0)
	v_mul_f64 v[34:35], v[16:17], v[8:9]
	v_mul_f64 v[8:9], v[14:15], v[8:9]
	v_fma_f64 v[34:35], v[14:15], v[6:7], -v[34:35]
	v_fma_f64 v[6:7], v[16:17], v[6:7], v[8:9]
	v_mul_f64 v[8:9], v[14:15], v[12:13]
	v_add_f64 v[30:31], v[30:31], v[34:35]
	v_add_f64 v[20:21], v[6:7], v[20:21]
	v_mul_f64 v[6:7], v[16:17], v[12:13]
	v_fma_f64 v[8:9], v[16:17], v[10:11], v[8:9]
	v_fma_f64 v[6:7], v[14:15], v[10:11], -v[6:7]
	v_add_f64 v[34:35], v[8:9], v[42:43]
	;; [unrolled: 30-line block ×3, first 2 shown]
	v_add_f64 v[32:33], v[32:33], v[6:7]
	ds_read_b128 v[6:9], v25 offset:64
	ds_read_b128 v[10:13], v24 offset:2048
	s_waitcnt lgkmcnt(0)
	v_mul_f64 v[14:15], v[8:9], v[12:13]
	v_mul_f64 v[16:17], v[6:7], v[12:13]
	v_fma_f64 v[14:15], v[6:7], v[10:11], -v[14:15]
	v_fma_f64 v[16:17], v[8:9], v[10:11], v[16:17]
	v_add_f64 v[36:37], v[36:37], v[14:15]
	v_add_f64 v[18:19], v[16:17], v[18:19]
	ds_read_b128 v[14:17], v24 offset:2304
	s_waitcnt lgkmcnt(0)
	v_mul_f64 v[38:39], v[8:9], v[16:17]
	v_fma_f64 v[38:39], v[6:7], v[14:15], -v[38:39]
	v_mul_f64 v[6:7], v[6:7], v[16:17]
	v_add_f64 v[28:29], v[28:29], v[38:39]
	v_fma_f64 v[6:7], v[8:9], v[14:15], v[6:7]
	v_add_f64 v[26:27], v[6:7], v[26:27]
	ds_read_b128 v[6:9], v25 offset:2112
	s_waitcnt lgkmcnt(0)
	v_mul_f64 v[38:39], v[8:9], v[12:13]
	v_mul_f64 v[12:13], v[6:7], v[12:13]
	v_fma_f64 v[38:39], v[6:7], v[10:11], -v[38:39]
	v_fma_f64 v[10:11], v[8:9], v[10:11], v[12:13]
	v_add_f64 v[30:31], v[30:31], v[38:39]
	v_add_f64 v[20:21], v[10:11], v[20:21]
	v_mul_f64 v[10:11], v[8:9], v[16:17]
	v_fma_f64 v[10:11], v[6:7], v[14:15], -v[10:11]
	v_mul_f64 v[6:7], v[6:7], v[16:17]
	v_add_f64 v[32:33], v[32:33], v[10:11]
	v_fma_f64 v[6:7], v[8:9], v[14:15], v[6:7]
	v_add_f64 v[34:35], v[6:7], v[34:35]
	ds_read_b128 v[6:9], v25 offset:80
	ds_read_b128 v[10:13], v24 offset:2560
	s_waitcnt lgkmcnt(0)
	v_mul_f64 v[14:15], v[8:9], v[12:13]
	v_mul_f64 v[16:17], v[6:7], v[12:13]
	v_fma_f64 v[14:15], v[6:7], v[10:11], -v[14:15]
	v_fma_f64 v[16:17], v[8:9], v[10:11], v[16:17]
	v_add_f64 v[36:37], v[36:37], v[14:15]
	v_add_f64 v[18:19], v[16:17], v[18:19]
	ds_read_b128 v[14:17], v24 offset:2816
	s_waitcnt lgkmcnt(0)
	v_mul_f64 v[38:39], v[8:9], v[16:17]
	v_fma_f64 v[38:39], v[6:7], v[14:15], -v[38:39]
	v_mul_f64 v[6:7], v[6:7], v[16:17]
	v_add_f64 v[28:29], v[28:29], v[38:39]
	v_fma_f64 v[6:7], v[8:9], v[14:15], v[6:7]
	v_add_f64 v[26:27], v[6:7], v[26:27]
	ds_read_b128 v[6:9], v25 offset:2128
	s_waitcnt lgkmcnt(0)
	v_mul_f64 v[38:39], v[8:9], v[12:13]
	v_mul_f64 v[12:13], v[6:7], v[12:13]
	v_fma_f64 v[38:39], v[6:7], v[10:11], -v[38:39]
	v_fma_f64 v[10:11], v[8:9], v[10:11], v[12:13]
	v_add_f64 v[30:31], v[30:31], v[38:39]
	v_add_f64 v[20:21], v[10:11], v[20:21]
	v_mul_f64 v[10:11], v[8:9], v[16:17]
	v_fma_f64 v[10:11], v[6:7], v[14:15], -v[10:11]
	v_mul_f64 v[6:7], v[6:7], v[16:17]
	v_add_f64 v[32:33], v[32:33], v[10:11]
	v_fma_f64 v[6:7], v[8:9], v[14:15], v[6:7]
	;; [unrolled: 31-line block ×3, first 2 shown]
	v_add_f64 v[34:35], v[6:7], v[34:35]
	ds_read_b128 v[6:9], v25 offset:112
	ds_read_b128 v[10:13], v24 offset:3584
	;; [unrolled: 1-line block ×4, first 2 shown]
	s_waitcnt lgkmcnt(0)
	s_barrier
	v_mul_f64 v[16:17], v[6:7], v[12:13]
	v_mul_f64 v[14:15], v[8:9], v[12:13]
	v_fma_f64 v[16:17], v[8:9], v[10:11], v[16:17]
	v_fma_f64 v[14:15], v[6:7], v[10:11], -v[14:15]
	v_add_f64 v[18:19], v[16:17], v[18:19]
	v_mul_f64 v[16:17], v[8:9], v[28:29]
	v_add_f64 v[14:15], v[36:37], v[14:15]
	v_fma_f64 v[16:17], v[6:7], v[26:27], -v[16:17]
	v_mul_f64 v[6:7], v[6:7], v[28:29]
	v_fma_f64 v[8:9], v[8:9], v[26:27], v[6:7]
	v_add_f64 v[6:7], v[38:39], v[16:17]
	v_mul_f64 v[16:17], v[32:33], v[12:13]
	v_mul_f64 v[12:13], v[30:31], v[12:13]
	v_add_f64 v[8:9], v[8:9], v[40:41]
	v_fma_f64 v[16:17], v[30:31], v[10:11], -v[16:17]
	v_fma_f64 v[10:11], v[32:33], v[10:11], v[12:13]
	v_mul_f64 v[12:13], v[30:31], v[28:29]
	v_add_f64 v[16:17], v[42:43], v[16:17]
	v_add_f64 v[20:21], v[10:11], v[20:21]
	v_mul_f64 v[10:11], v[32:33], v[28:29]
	v_fma_f64 v[12:13], v[32:33], v[26:27], v[12:13]
	v_fma_f64 v[10:11], v[30:31], v[26:27], -v[10:11]
	v_add_f64 v[12:13], v[12:13], v[34:35]
	v_add_f64 v[10:11], v[44:45], v[10:11]
	s_cbranch_scc0 .LBB876_2
	s_branch .LBB876_4
.LBB876_3:
	v_mov_b32_e32 v14, 0
	v_mov_b32_e32 v18, 0
	;; [unrolled: 1-line block ×16, first 2 shown]
.LBB876_4:
	s_load_dword s3, s[4:5], 0x60
	v_add_u32_e32 v4, s7, v1
	s_waitcnt lgkmcnt(0)
	v_mov_b32_e32 v3, s11
	v_add_u32_e32 v0, s6, v0
	v_cmp_gt_i32_e32 vcc, s2, v4
	v_mad_i64_i32 v[1:2], s[0:1], v4, s3, 0
	v_lshlrev_b64 v[1:2], 4, v[1:2]
	v_add_co_u32_e64 v5, s[0:1], s10, v1
	v_addc_co_u32_e64 v22, s[0:1], v3, v2, s[0:1]
	v_cmp_le_i32_e64 s[0:1], v0, v4
	s_and_b64 s[0:1], vcc, s[0:1]
	s_and_saveexec_b64 s[4:5], s[0:1]
	s_cbranch_execz .LBB876_6
; %bb.5:
	v_mul_f64 v[2:3], s[12:13], v[18:19]
	v_mul_f64 v[18:19], s[14:15], v[18:19]
	v_ashrrev_i32_e32 v1, 31, v0
	v_lshlrev_b64 v[25:26], 4, v[0:1]
	v_fma_f64 v[2:3], s[14:15], v[14:15], v[2:3]
	v_fma_f64 v[23:24], s[12:13], v[14:15], -v[18:19]
	v_add_co_u32_e64 v14, s[0:1], v5, v25
	v_addc_co_u32_e64 v15, s[0:1], v22, v26, s[0:1]
	v_cmp_ne_u32_e64 s[0:1], v4, v0
	v_cndmask_b32_e64 v26, 0, v3, s[0:1]
	v_cndmask_b32_e64 v25, 0, v2, s[0:1]
	flat_store_dwordx4 v[14:15], v[23:26]
.LBB876_6:
	s_or_b64 exec, exec, s[4:5]
	v_add_u32_e32 v2, 16, v0
	v_cmp_le_i32_e64 s[0:1], v2, v4
	s_and_b64 s[4:5], vcc, s[0:1]
	s_and_saveexec_b64 s[0:1], s[4:5]
	s_cbranch_execz .LBB876_8
; %bb.7:
	v_mul_f64 v[14:15], s[12:13], v[8:9]
	v_mul_f64 v[8:9], s[14:15], v[8:9]
	v_ashrrev_i32_e32 v3, 31, v2
	v_lshlrev_b64 v[18:19], 4, v[2:3]
	v_add_co_u32_e32 v18, vcc, v5, v18
	v_addc_co_u32_e32 v19, vcc, v22, v19, vcc
	v_fma_f64 v[14:15], s[14:15], v[6:7], v[14:15]
	v_fma_f64 v[6:7], s[12:13], v[6:7], -v[8:9]
	v_cmp_ne_u32_e32 vcc, v4, v2
	v_cndmask_b32_e32 v9, 0, v15, vcc
	v_cndmask_b32_e32 v8, 0, v14, vcc
	flat_store_dwordx4 v[18:19], v[6:9]
.LBB876_8:
	s_or_b64 exec, exec, s[0:1]
	v_add_u32_e32 v3, 16, v4
	v_mad_i64_i32 v[5:6], s[0:1], v3, s3, 0
	v_mov_b32_e32 v1, s11
	v_cmp_gt_i32_e32 vcc, s2, v3
	v_lshlrev_b64 v[5:6], 4, v[5:6]
	v_add_co_u32_e64 v5, s[0:1], s10, v5
	v_addc_co_u32_e64 v6, s[0:1], v1, v6, s[0:1]
	v_cmp_le_i32_e64 s[0:1], v0, v3
	s_and_b64 s[0:1], vcc, s[0:1]
	s_and_saveexec_b64 s[2:3], s[0:1]
	s_cbranch_execz .LBB876_10
; %bb.9:
	v_mul_f64 v[7:8], s[12:13], v[20:21]
	v_mul_f64 v[14:15], s[14:15], v[20:21]
	v_ashrrev_i32_e32 v1, 31, v0
	v_lshlrev_b64 v[18:19], 4, v[0:1]
	v_add_co_u32_e64 v18, s[0:1], v5, v18
	v_addc_co_u32_e64 v19, s[0:1], v6, v19, s[0:1]
	v_fma_f64 v[7:8], s[14:15], v[16:17], v[7:8]
	v_fma_f64 v[14:15], s[12:13], v[16:17], -v[14:15]
	v_cmp_ne_u32_e64 s[0:1], v3, v0
	v_cndmask_b32_e64 v17, 0, v8, s[0:1]
	v_cndmask_b32_e64 v16, 0, v7, s[0:1]
	flat_store_dwordx4 v[18:19], v[14:17]
.LBB876_10:
	s_or_b64 exec, exec, s[2:3]
	v_cmp_le_i32_e64 s[0:1], v2, v3
	s_and_b64 s[0:1], vcc, s[0:1]
	s_and_saveexec_b64 s[2:3], s[0:1]
	s_cbranch_execz .LBB876_12
; %bb.11:
	v_mul_f64 v[7:8], s[12:13], v[12:13]
	v_mul_f64 v[12:13], s[14:15], v[12:13]
	v_ashrrev_i32_e32 v3, 31, v2
	v_lshlrev_b64 v[14:15], 4, v[2:3]
	v_add_co_u32_e32 v5, vcc, v5, v14
	v_addc_co_u32_e32 v6, vcc, v6, v15, vcc
	v_fma_f64 v[7:8], s[14:15], v[10:11], v[7:8]
	v_fma_f64 v[1:2], s[12:13], v[10:11], -v[12:13]
	v_cmp_ne_u32_e32 vcc, v4, v0
	v_cndmask_b32_e32 v4, 0, v8, vcc
	v_cndmask_b32_e32 v3, 0, v7, vcc
	flat_store_dwordx4 v[5:6], v[1:4]
.LBB876_12:
	s_endpgm
	.section	.rodata,"a",@progbits
	.p2align	6, 0x0
	.amdhsa_kernel _ZL37rocblas_syrkx_herkx_restricted_kernelIi19rocblas_complex_numIdELi16ELi32ELi8ELb1ELb1ELc84ELc85EKPKS1_KPS1_EviT_T0_PT8_S7_lSA_S7_lS8_PT9_S7_li
		.amdhsa_group_segment_fixed_size 8192
		.amdhsa_private_segment_fixed_size 0
		.amdhsa_kernarg_size 116
		.amdhsa_user_sgpr_count 6
		.amdhsa_user_sgpr_private_segment_buffer 1
		.amdhsa_user_sgpr_dispatch_ptr 0
		.amdhsa_user_sgpr_queue_ptr 0
		.amdhsa_user_sgpr_kernarg_segment_ptr 1
		.amdhsa_user_sgpr_dispatch_id 0
		.amdhsa_user_sgpr_flat_scratch_init 0
		.amdhsa_user_sgpr_private_segment_size 0
		.amdhsa_uses_dynamic_stack 0
		.amdhsa_system_sgpr_private_segment_wavefront_offset 0
		.amdhsa_system_sgpr_workgroup_id_x 1
		.amdhsa_system_sgpr_workgroup_id_y 1
		.amdhsa_system_sgpr_workgroup_id_z 1
		.amdhsa_system_sgpr_workgroup_info 0
		.amdhsa_system_vgpr_workitem_id 1
		.amdhsa_next_free_vgpr 52
		.amdhsa_next_free_sgpr 61
		.amdhsa_reserve_vcc 1
		.amdhsa_reserve_flat_scratch 0
		.amdhsa_float_round_mode_32 0
		.amdhsa_float_round_mode_16_64 0
		.amdhsa_float_denorm_mode_32 3
		.amdhsa_float_denorm_mode_16_64 3
		.amdhsa_dx10_clamp 1
		.amdhsa_ieee_mode 1
		.amdhsa_fp16_overflow 0
		.amdhsa_exception_fp_ieee_invalid_op 0
		.amdhsa_exception_fp_denorm_src 0
		.amdhsa_exception_fp_ieee_div_zero 0
		.amdhsa_exception_fp_ieee_overflow 0
		.amdhsa_exception_fp_ieee_underflow 0
		.amdhsa_exception_fp_ieee_inexact 0
		.amdhsa_exception_int_div_zero 0
	.end_amdhsa_kernel
	.section	.text._ZL37rocblas_syrkx_herkx_restricted_kernelIi19rocblas_complex_numIdELi16ELi32ELi8ELb1ELb1ELc84ELc85EKPKS1_KPS1_EviT_T0_PT8_S7_lSA_S7_lS8_PT9_S7_li,"axG",@progbits,_ZL37rocblas_syrkx_herkx_restricted_kernelIi19rocblas_complex_numIdELi16ELi32ELi8ELb1ELb1ELc84ELc85EKPKS1_KPS1_EviT_T0_PT8_S7_lSA_S7_lS8_PT9_S7_li,comdat
.Lfunc_end876:
	.size	_ZL37rocblas_syrkx_herkx_restricted_kernelIi19rocblas_complex_numIdELi16ELi32ELi8ELb1ELb1ELc84ELc85EKPKS1_KPS1_EviT_T0_PT8_S7_lSA_S7_lS8_PT9_S7_li, .Lfunc_end876-_ZL37rocblas_syrkx_herkx_restricted_kernelIi19rocblas_complex_numIdELi16ELi32ELi8ELb1ELb1ELc84ELc85EKPKS1_KPS1_EviT_T0_PT8_S7_lSA_S7_lS8_PT9_S7_li
                                        ; -- End function
	.set _ZL37rocblas_syrkx_herkx_restricted_kernelIi19rocblas_complex_numIdELi16ELi32ELi8ELb1ELb1ELc84ELc85EKPKS1_KPS1_EviT_T0_PT8_S7_lSA_S7_lS8_PT9_S7_li.num_vgpr, 52
	.set _ZL37rocblas_syrkx_herkx_restricted_kernelIi19rocblas_complex_numIdELi16ELi32ELi8ELb1ELb1ELc84ELc85EKPKS1_KPS1_EviT_T0_PT8_S7_lSA_S7_lS8_PT9_S7_li.num_agpr, 0
	.set _ZL37rocblas_syrkx_herkx_restricted_kernelIi19rocblas_complex_numIdELi16ELi32ELi8ELb1ELb1ELc84ELc85EKPKS1_KPS1_EviT_T0_PT8_S7_lSA_S7_lS8_PT9_S7_li.numbered_sgpr, 21
	.set _ZL37rocblas_syrkx_herkx_restricted_kernelIi19rocblas_complex_numIdELi16ELi32ELi8ELb1ELb1ELc84ELc85EKPKS1_KPS1_EviT_T0_PT8_S7_lSA_S7_lS8_PT9_S7_li.num_named_barrier, 0
	.set _ZL37rocblas_syrkx_herkx_restricted_kernelIi19rocblas_complex_numIdELi16ELi32ELi8ELb1ELb1ELc84ELc85EKPKS1_KPS1_EviT_T0_PT8_S7_lSA_S7_lS8_PT9_S7_li.private_seg_size, 0
	.set _ZL37rocblas_syrkx_herkx_restricted_kernelIi19rocblas_complex_numIdELi16ELi32ELi8ELb1ELb1ELc84ELc85EKPKS1_KPS1_EviT_T0_PT8_S7_lSA_S7_lS8_PT9_S7_li.uses_vcc, 1
	.set _ZL37rocblas_syrkx_herkx_restricted_kernelIi19rocblas_complex_numIdELi16ELi32ELi8ELb1ELb1ELc84ELc85EKPKS1_KPS1_EviT_T0_PT8_S7_lSA_S7_lS8_PT9_S7_li.uses_flat_scratch, 0
	.set _ZL37rocblas_syrkx_herkx_restricted_kernelIi19rocblas_complex_numIdELi16ELi32ELi8ELb1ELb1ELc84ELc85EKPKS1_KPS1_EviT_T0_PT8_S7_lSA_S7_lS8_PT9_S7_li.has_dyn_sized_stack, 0
	.set _ZL37rocblas_syrkx_herkx_restricted_kernelIi19rocblas_complex_numIdELi16ELi32ELi8ELb1ELb1ELc84ELc85EKPKS1_KPS1_EviT_T0_PT8_S7_lSA_S7_lS8_PT9_S7_li.has_recursion, 0
	.set _ZL37rocblas_syrkx_herkx_restricted_kernelIi19rocblas_complex_numIdELi16ELi32ELi8ELb1ELb1ELc84ELc85EKPKS1_KPS1_EviT_T0_PT8_S7_lSA_S7_lS8_PT9_S7_li.has_indirect_call, 0
	.section	.AMDGPU.csdata,"",@progbits
; Kernel info:
; codeLenInByte = 2920
; TotalNumSgprs: 25
; NumVgprs: 52
; ScratchSize: 0
; MemoryBound: 0
; FloatMode: 240
; IeeeMode: 1
; LDSByteSize: 8192 bytes/workgroup (compile time only)
; SGPRBlocks: 8
; VGPRBlocks: 12
; NumSGPRsForWavesPerEU: 65
; NumVGPRsForWavesPerEU: 52
; Occupancy: 4
; WaveLimiterHint : 1
; COMPUTE_PGM_RSRC2:SCRATCH_EN: 0
; COMPUTE_PGM_RSRC2:USER_SGPR: 6
; COMPUTE_PGM_RSRC2:TRAP_HANDLER: 0
; COMPUTE_PGM_RSRC2:TGID_X_EN: 1
; COMPUTE_PGM_RSRC2:TGID_Y_EN: 1
; COMPUTE_PGM_RSRC2:TGID_Z_EN: 1
; COMPUTE_PGM_RSRC2:TIDIG_COMP_CNT: 1
	.section	.text._ZL37rocblas_syrkx_herkx_restricted_kernelIi19rocblas_complex_numIdELi16ELi32ELi8ELb1ELb1ELc67ELc85EKPKS1_KPS1_EviT_T0_PT8_S7_lSA_S7_lS8_PT9_S7_li,"axG",@progbits,_ZL37rocblas_syrkx_herkx_restricted_kernelIi19rocblas_complex_numIdELi16ELi32ELi8ELb1ELb1ELc67ELc85EKPKS1_KPS1_EviT_T0_PT8_S7_lSA_S7_lS8_PT9_S7_li,comdat
	.globl	_ZL37rocblas_syrkx_herkx_restricted_kernelIi19rocblas_complex_numIdELi16ELi32ELi8ELb1ELb1ELc67ELc85EKPKS1_KPS1_EviT_T0_PT8_S7_lSA_S7_lS8_PT9_S7_li ; -- Begin function _ZL37rocblas_syrkx_herkx_restricted_kernelIi19rocblas_complex_numIdELi16ELi32ELi8ELb1ELb1ELc67ELc85EKPKS1_KPS1_EviT_T0_PT8_S7_lSA_S7_lS8_PT9_S7_li
	.p2align	8
	.type	_ZL37rocblas_syrkx_herkx_restricted_kernelIi19rocblas_complex_numIdELi16ELi32ELi8ELb1ELb1ELc67ELc85EKPKS1_KPS1_EviT_T0_PT8_S7_lSA_S7_lS8_PT9_S7_li,@function
_ZL37rocblas_syrkx_herkx_restricted_kernelIi19rocblas_complex_numIdELi16ELi32ELi8ELb1ELb1ELc67ELc85EKPKS1_KPS1_EviT_T0_PT8_S7_lSA_S7_lS8_PT9_S7_li: ; @_ZL37rocblas_syrkx_herkx_restricted_kernelIi19rocblas_complex_numIdELi16ELi32ELi8ELb1ELb1ELc67ELc85EKPKS1_KPS1_EviT_T0_PT8_S7_lSA_S7_lS8_PT9_S7_li
; %bb.0:
	s_load_dwordx2 s[0:1], s[4:5], 0x18
	s_load_dwordx2 s[10:11], s[4:5], 0x58
	;; [unrolled: 1-line block ×3, first 2 shown]
	s_load_dwordx4 s[12:15], s[4:5], 0x8
	s_mov_b32 s9, 0
	s_lshl_b64 s[16:17], s[8:9], 3
	s_waitcnt lgkmcnt(0)
	s_add_u32 s10, s10, s16
	s_addc_u32 s11, s11, s17
	s_load_dwordx2 s[10:11], s[10:11], 0x0
	s_lshl_b32 s6, s6, 5
	s_lshl_b32 s7, s7, 5
	s_cmp_lt_i32 s3, 1
	s_cbranch_scc1 .LBB877_3
; %bb.1:
	s_load_dword s8, s[4:5], 0x20
	s_load_dwordx2 s[18:19], s[4:5], 0x30
	s_load_dword s20, s[4:5], 0x38
	s_add_u32 s0, s0, s16
	v_lshl_add_u32 v3, v1, 4, v0
	s_addc_u32 s1, s1, s17
	v_lshrrev_b32_e32 v8, 3, v3
	s_waitcnt lgkmcnt(0)
	s_add_u32 s16, s18, s16
	v_lshrrev_b32_e32 v2, 5, v3
	v_and_b32_e32 v4, 7, v0
	v_and_b32_e32 v9, 31, v3
	v_add_u32_e32 v3, s7, v8
	v_mov_b32_e32 v5, 0
	s_addc_u32 s17, s19, s17
	v_mad_i64_i32 v[6:7], s[18:19], s20, v3, v[4:5]
	v_mov_b32_e32 v3, v5
	v_lshlrev_b32_e32 v5, 4, v9
	v_lshl_or_b32 v22, v2, 9, v5
	v_add_u32_e32 v5, s6, v9
	v_mad_i64_i32 v[2:3], s[18:19], s8, v5, v[2:3]
	s_load_dwordx2 s[0:1], s[0:1], 0x0
	v_lshlrev_b32_e32 v4, 4, v4
	s_load_dwordx2 s[16:17], s[16:17], 0x0
	v_lshlrev_b64 v[2:3], 4, v[2:3]
	v_lshl_or_b32 v4, v8, 7, v4
	v_add_u32_e32 v23, 0x1000, v4
	s_waitcnt lgkmcnt(0)
	v_mov_b32_e32 v4, s1
	v_add_co_u32_e32 v2, vcc, s0, v2
	v_addc_co_u32_e32 v3, vcc, v4, v3, vcc
	v_lshlrev_b64 v[4:5], 4, v[6:7]
	v_mov_b32_e32 v6, s17
	v_add_co_u32_e32 v4, vcc, s16, v4
	v_mov_b32_e32 v25, 0x1000
	v_addc_co_u32_e32 v5, vcc, v6, v5, vcc
	v_mov_b32_e32 v12, 0
	v_mov_b32_e32 v10, 0
	;; [unrolled: 1-line block ×8, first 2 shown]
	v_lshlrev_b32_e32 v24, 4, v0
	v_mov_b32_e32 v13, 0
	v_mov_b32_e32 v11, 0
	;; [unrolled: 1-line block ×8, first 2 shown]
	v_lshl_add_u32 v25, v1, 7, v25
.LBB877_2:                              ; =>This Inner Loop Header: Depth=1
	flat_load_dwordx4 v[26:29], v[2:3]
	v_add_co_u32_e32 v2, vcc, 0x80, v2
	v_addc_co_u32_e32 v3, vcc, 0, v3, vcc
	s_add_i32 s9, s9, 8
	s_cmp_ge_i32 s9, s3
	s_waitcnt vmcnt(0) lgkmcnt(0)
	v_xor_b32_e32 v29, 0x80000000, v29
	ds_write_b128 v22, v[26:29]
	flat_load_dwordx4 v[26:29], v[4:5]
	v_add_co_u32_e32 v4, vcc, 0x80, v4
	v_addc_co_u32_e32 v5, vcc, 0, v5, vcc
	s_waitcnt vmcnt(0) lgkmcnt(0)
	ds_write_b128 v23, v[26:29]
	s_waitcnt lgkmcnt(0)
	s_barrier
	ds_read_b128 v[26:29], v25
	ds_read_b128 v[30:33], v25 offset:16
	ds_read_b128 v[34:37], v25 offset:32
	;; [unrolled: 1-line block ×3, first 2 shown]
	ds_read_b128 v[42:45], v24
	s_waitcnt lgkmcnt(0)
	v_mul_f64 v[46:47], v[28:29], v[44:45]
	v_mul_f64 v[48:49], v[26:27], v[44:45]
	v_fma_f64 v[46:47], v[26:27], v[42:43], -v[46:47]
	v_fma_f64 v[48:49], v[28:29], v[42:43], v[48:49]
	v_add_f64 v[14:15], v[14:15], v[46:47]
	v_add_f64 v[18:19], v[48:49], v[18:19]
	ds_read_b128 v[46:49], v24 offset:256
	s_waitcnt lgkmcnt(0)
	v_mul_f64 v[50:51], v[28:29], v[48:49]
	v_fma_f64 v[50:51], v[26:27], v[46:47], -v[50:51]
	v_mul_f64 v[26:27], v[26:27], v[48:49]
	v_fma_f64 v[26:27], v[28:29], v[46:47], v[26:27]
	v_add_f64 v[28:29], v[6:7], v[50:51]
	v_add_f64 v[26:27], v[26:27], v[8:9]
	ds_read_b128 v[6:9], v25 offset:2048
	s_waitcnt lgkmcnt(0)
	v_mul_f64 v[50:51], v[8:9], v[44:45]
	v_mul_f64 v[44:45], v[6:7], v[44:45]
	v_fma_f64 v[50:51], v[6:7], v[42:43], -v[50:51]
	v_fma_f64 v[42:43], v[8:9], v[42:43], v[44:45]
	v_add_f64 v[44:45], v[16:17], v[50:51]
	v_mul_f64 v[16:17], v[8:9], v[48:49]
	v_add_f64 v[20:21], v[42:43], v[20:21]
	v_fma_f64 v[16:17], v[6:7], v[46:47], -v[16:17]
	v_mul_f64 v[6:7], v[6:7], v[48:49]
	v_add_f64 v[42:43], v[10:11], v[16:17]
	v_fma_f64 v[6:7], v[8:9], v[46:47], v[6:7]
	v_add_f64 v[46:47], v[6:7], v[12:13]
	ds_read_b128 v[6:9], v24 offset:512
	s_waitcnt lgkmcnt(0)
	v_mul_f64 v[10:11], v[32:33], v[8:9]
	v_mul_f64 v[12:13], v[30:31], v[8:9]
	v_fma_f64 v[10:11], v[30:31], v[6:7], -v[10:11]
	v_fma_f64 v[12:13], v[32:33], v[6:7], v[12:13]
	v_add_f64 v[48:49], v[14:15], v[10:11]
	v_add_f64 v[18:19], v[12:13], v[18:19]
	ds_read_b128 v[10:13], v24 offset:768
	s_waitcnt lgkmcnt(0)
	v_mul_f64 v[14:15], v[32:33], v[12:13]
	v_mul_f64 v[16:17], v[30:31], v[12:13]
	v_fma_f64 v[14:15], v[30:31], v[10:11], -v[14:15]
	v_fma_f64 v[16:17], v[32:33], v[10:11], v[16:17]
	v_add_f64 v[28:29], v[28:29], v[14:15]
	v_add_f64 v[26:27], v[16:17], v[26:27]
	ds_read_b128 v[14:17], v25 offset:2064
	s_waitcnt lgkmcnt(0)
	v_mul_f64 v[30:31], v[16:17], v[8:9]
	v_mul_f64 v[8:9], v[14:15], v[8:9]
	v_fma_f64 v[30:31], v[14:15], v[6:7], -v[30:31]
	v_fma_f64 v[6:7], v[16:17], v[6:7], v[8:9]
	v_mul_f64 v[8:9], v[14:15], v[12:13]
	v_add_f64 v[30:31], v[44:45], v[30:31]
	v_add_f64 v[20:21], v[6:7], v[20:21]
	v_mul_f64 v[6:7], v[16:17], v[12:13]
	v_fma_f64 v[8:9], v[16:17], v[10:11], v[8:9]
	v_fma_f64 v[6:7], v[14:15], v[10:11], -v[6:7]
	v_add_f64 v[32:33], v[42:43], v[6:7]
	v_add_f64 v[42:43], v[8:9], v[46:47]
	ds_read_b128 v[6:9], v24 offset:1024
	s_waitcnt lgkmcnt(0)
	v_mul_f64 v[10:11], v[36:37], v[8:9]
	v_mul_f64 v[12:13], v[34:35], v[8:9]
	v_fma_f64 v[10:11], v[34:35], v[6:7], -v[10:11]
	v_fma_f64 v[12:13], v[36:37], v[6:7], v[12:13]
	v_add_f64 v[44:45], v[48:49], v[10:11]
	v_add_f64 v[18:19], v[12:13], v[18:19]
	ds_read_b128 v[10:13], v24 offset:1280
	s_waitcnt lgkmcnt(0)
	v_mul_f64 v[14:15], v[36:37], v[12:13]
	v_mul_f64 v[16:17], v[34:35], v[12:13]
	v_fma_f64 v[14:15], v[34:35], v[10:11], -v[14:15]
	v_fma_f64 v[16:17], v[36:37], v[10:11], v[16:17]
	v_add_f64 v[28:29], v[28:29], v[14:15]
	v_add_f64 v[26:27], v[16:17], v[26:27]
	ds_read_b128 v[14:17], v25 offset:2080
	s_waitcnt lgkmcnt(0)
	v_mul_f64 v[34:35], v[16:17], v[8:9]
	v_mul_f64 v[8:9], v[14:15], v[8:9]
	v_fma_f64 v[34:35], v[14:15], v[6:7], -v[34:35]
	v_fma_f64 v[6:7], v[16:17], v[6:7], v[8:9]
	v_mul_f64 v[8:9], v[14:15], v[12:13]
	v_add_f64 v[30:31], v[30:31], v[34:35]
	v_add_f64 v[20:21], v[6:7], v[20:21]
	v_mul_f64 v[6:7], v[16:17], v[12:13]
	v_fma_f64 v[8:9], v[16:17], v[10:11], v[8:9]
	v_fma_f64 v[6:7], v[14:15], v[10:11], -v[6:7]
	v_add_f64 v[34:35], v[8:9], v[42:43]
	;; [unrolled: 30-line block ×3, first 2 shown]
	v_add_f64 v[32:33], v[32:33], v[6:7]
	ds_read_b128 v[6:9], v25 offset:64
	ds_read_b128 v[10:13], v24 offset:2048
	s_waitcnt lgkmcnt(0)
	v_mul_f64 v[14:15], v[8:9], v[12:13]
	v_mul_f64 v[16:17], v[6:7], v[12:13]
	v_fma_f64 v[14:15], v[6:7], v[10:11], -v[14:15]
	v_fma_f64 v[16:17], v[8:9], v[10:11], v[16:17]
	v_add_f64 v[36:37], v[36:37], v[14:15]
	v_add_f64 v[18:19], v[16:17], v[18:19]
	ds_read_b128 v[14:17], v24 offset:2304
	s_waitcnt lgkmcnt(0)
	v_mul_f64 v[38:39], v[8:9], v[16:17]
	v_fma_f64 v[38:39], v[6:7], v[14:15], -v[38:39]
	v_mul_f64 v[6:7], v[6:7], v[16:17]
	v_add_f64 v[28:29], v[28:29], v[38:39]
	v_fma_f64 v[6:7], v[8:9], v[14:15], v[6:7]
	v_add_f64 v[26:27], v[6:7], v[26:27]
	ds_read_b128 v[6:9], v25 offset:2112
	s_waitcnt lgkmcnt(0)
	v_mul_f64 v[38:39], v[8:9], v[12:13]
	v_mul_f64 v[12:13], v[6:7], v[12:13]
	v_fma_f64 v[38:39], v[6:7], v[10:11], -v[38:39]
	v_fma_f64 v[10:11], v[8:9], v[10:11], v[12:13]
	v_add_f64 v[30:31], v[30:31], v[38:39]
	v_add_f64 v[20:21], v[10:11], v[20:21]
	v_mul_f64 v[10:11], v[8:9], v[16:17]
	v_fma_f64 v[10:11], v[6:7], v[14:15], -v[10:11]
	v_mul_f64 v[6:7], v[6:7], v[16:17]
	v_add_f64 v[32:33], v[32:33], v[10:11]
	v_fma_f64 v[6:7], v[8:9], v[14:15], v[6:7]
	v_add_f64 v[34:35], v[6:7], v[34:35]
	ds_read_b128 v[6:9], v25 offset:80
	ds_read_b128 v[10:13], v24 offset:2560
	s_waitcnt lgkmcnt(0)
	v_mul_f64 v[14:15], v[8:9], v[12:13]
	v_mul_f64 v[16:17], v[6:7], v[12:13]
	v_fma_f64 v[14:15], v[6:7], v[10:11], -v[14:15]
	v_fma_f64 v[16:17], v[8:9], v[10:11], v[16:17]
	v_add_f64 v[36:37], v[36:37], v[14:15]
	v_add_f64 v[18:19], v[16:17], v[18:19]
	ds_read_b128 v[14:17], v24 offset:2816
	s_waitcnt lgkmcnt(0)
	v_mul_f64 v[38:39], v[8:9], v[16:17]
	v_fma_f64 v[38:39], v[6:7], v[14:15], -v[38:39]
	v_mul_f64 v[6:7], v[6:7], v[16:17]
	v_add_f64 v[28:29], v[28:29], v[38:39]
	v_fma_f64 v[6:7], v[8:9], v[14:15], v[6:7]
	v_add_f64 v[26:27], v[6:7], v[26:27]
	ds_read_b128 v[6:9], v25 offset:2128
	s_waitcnt lgkmcnt(0)
	v_mul_f64 v[38:39], v[8:9], v[12:13]
	v_mul_f64 v[12:13], v[6:7], v[12:13]
	v_fma_f64 v[38:39], v[6:7], v[10:11], -v[38:39]
	v_fma_f64 v[10:11], v[8:9], v[10:11], v[12:13]
	v_add_f64 v[30:31], v[30:31], v[38:39]
	v_add_f64 v[20:21], v[10:11], v[20:21]
	v_mul_f64 v[10:11], v[8:9], v[16:17]
	v_fma_f64 v[10:11], v[6:7], v[14:15], -v[10:11]
	v_mul_f64 v[6:7], v[6:7], v[16:17]
	v_add_f64 v[32:33], v[32:33], v[10:11]
	v_fma_f64 v[6:7], v[8:9], v[14:15], v[6:7]
	;; [unrolled: 31-line block ×3, first 2 shown]
	v_add_f64 v[34:35], v[6:7], v[34:35]
	ds_read_b128 v[6:9], v25 offset:112
	ds_read_b128 v[10:13], v24 offset:3584
	;; [unrolled: 1-line block ×4, first 2 shown]
	s_waitcnt lgkmcnt(0)
	s_barrier
	v_mul_f64 v[16:17], v[6:7], v[12:13]
	v_mul_f64 v[14:15], v[8:9], v[12:13]
	v_fma_f64 v[16:17], v[8:9], v[10:11], v[16:17]
	v_fma_f64 v[14:15], v[6:7], v[10:11], -v[14:15]
	v_add_f64 v[18:19], v[16:17], v[18:19]
	v_mul_f64 v[16:17], v[8:9], v[28:29]
	v_add_f64 v[14:15], v[36:37], v[14:15]
	v_fma_f64 v[16:17], v[6:7], v[26:27], -v[16:17]
	v_mul_f64 v[6:7], v[6:7], v[28:29]
	v_fma_f64 v[8:9], v[8:9], v[26:27], v[6:7]
	v_add_f64 v[6:7], v[38:39], v[16:17]
	v_mul_f64 v[16:17], v[32:33], v[12:13]
	v_mul_f64 v[12:13], v[30:31], v[12:13]
	v_add_f64 v[8:9], v[8:9], v[40:41]
	v_fma_f64 v[16:17], v[30:31], v[10:11], -v[16:17]
	v_fma_f64 v[10:11], v[32:33], v[10:11], v[12:13]
	v_mul_f64 v[12:13], v[30:31], v[28:29]
	v_add_f64 v[16:17], v[42:43], v[16:17]
	v_add_f64 v[20:21], v[10:11], v[20:21]
	v_mul_f64 v[10:11], v[32:33], v[28:29]
	v_fma_f64 v[12:13], v[32:33], v[26:27], v[12:13]
	v_fma_f64 v[10:11], v[30:31], v[26:27], -v[10:11]
	v_add_f64 v[12:13], v[12:13], v[34:35]
	v_add_f64 v[10:11], v[44:45], v[10:11]
	s_cbranch_scc0 .LBB877_2
	s_branch .LBB877_4
.LBB877_3:
	v_mov_b32_e32 v14, 0
	v_mov_b32_e32 v18, 0
	;; [unrolled: 1-line block ×16, first 2 shown]
.LBB877_4:
	s_load_dword s3, s[4:5], 0x60
	v_add_u32_e32 v4, s7, v1
	s_waitcnt lgkmcnt(0)
	v_mov_b32_e32 v3, s11
	v_add_u32_e32 v0, s6, v0
	v_cmp_gt_i32_e32 vcc, s2, v4
	v_mad_i64_i32 v[1:2], s[0:1], v4, s3, 0
	v_lshlrev_b64 v[1:2], 4, v[1:2]
	v_add_co_u32_e64 v5, s[0:1], s10, v1
	v_addc_co_u32_e64 v22, s[0:1], v3, v2, s[0:1]
	v_cmp_le_i32_e64 s[0:1], v0, v4
	s_and_b64 s[0:1], vcc, s[0:1]
	s_and_saveexec_b64 s[4:5], s[0:1]
	s_cbranch_execz .LBB877_6
; %bb.5:
	v_mul_f64 v[2:3], s[12:13], v[18:19]
	v_mul_f64 v[18:19], s[14:15], v[18:19]
	v_ashrrev_i32_e32 v1, 31, v0
	v_lshlrev_b64 v[25:26], 4, v[0:1]
	v_fma_f64 v[2:3], s[14:15], v[14:15], v[2:3]
	v_fma_f64 v[23:24], s[12:13], v[14:15], -v[18:19]
	v_add_co_u32_e64 v14, s[0:1], v5, v25
	v_addc_co_u32_e64 v15, s[0:1], v22, v26, s[0:1]
	v_cmp_ne_u32_e64 s[0:1], v4, v0
	v_cndmask_b32_e64 v26, 0, v3, s[0:1]
	v_cndmask_b32_e64 v25, 0, v2, s[0:1]
	flat_store_dwordx4 v[14:15], v[23:26]
.LBB877_6:
	s_or_b64 exec, exec, s[4:5]
	v_add_u32_e32 v2, 16, v0
	v_cmp_le_i32_e64 s[0:1], v2, v4
	s_and_b64 s[4:5], vcc, s[0:1]
	s_and_saveexec_b64 s[0:1], s[4:5]
	s_cbranch_execz .LBB877_8
; %bb.7:
	v_mul_f64 v[14:15], s[12:13], v[8:9]
	v_mul_f64 v[8:9], s[14:15], v[8:9]
	v_ashrrev_i32_e32 v3, 31, v2
	v_lshlrev_b64 v[18:19], 4, v[2:3]
	v_add_co_u32_e32 v18, vcc, v5, v18
	v_addc_co_u32_e32 v19, vcc, v22, v19, vcc
	v_fma_f64 v[14:15], s[14:15], v[6:7], v[14:15]
	v_fma_f64 v[6:7], s[12:13], v[6:7], -v[8:9]
	v_cmp_ne_u32_e32 vcc, v4, v2
	v_cndmask_b32_e32 v9, 0, v15, vcc
	v_cndmask_b32_e32 v8, 0, v14, vcc
	flat_store_dwordx4 v[18:19], v[6:9]
.LBB877_8:
	s_or_b64 exec, exec, s[0:1]
	v_add_u32_e32 v3, 16, v4
	v_mad_i64_i32 v[5:6], s[0:1], v3, s3, 0
	v_mov_b32_e32 v1, s11
	v_cmp_gt_i32_e32 vcc, s2, v3
	v_lshlrev_b64 v[5:6], 4, v[5:6]
	v_add_co_u32_e64 v5, s[0:1], s10, v5
	v_addc_co_u32_e64 v6, s[0:1], v1, v6, s[0:1]
	v_cmp_le_i32_e64 s[0:1], v0, v3
	s_and_b64 s[0:1], vcc, s[0:1]
	s_and_saveexec_b64 s[2:3], s[0:1]
	s_cbranch_execz .LBB877_10
; %bb.9:
	v_mul_f64 v[7:8], s[12:13], v[20:21]
	v_mul_f64 v[14:15], s[14:15], v[20:21]
	v_ashrrev_i32_e32 v1, 31, v0
	v_lshlrev_b64 v[18:19], 4, v[0:1]
	v_add_co_u32_e64 v18, s[0:1], v5, v18
	v_addc_co_u32_e64 v19, s[0:1], v6, v19, s[0:1]
	v_fma_f64 v[7:8], s[14:15], v[16:17], v[7:8]
	v_fma_f64 v[14:15], s[12:13], v[16:17], -v[14:15]
	v_cmp_ne_u32_e64 s[0:1], v3, v0
	v_cndmask_b32_e64 v17, 0, v8, s[0:1]
	v_cndmask_b32_e64 v16, 0, v7, s[0:1]
	flat_store_dwordx4 v[18:19], v[14:17]
.LBB877_10:
	s_or_b64 exec, exec, s[2:3]
	v_cmp_le_i32_e64 s[0:1], v2, v3
	s_and_b64 s[0:1], vcc, s[0:1]
	s_and_saveexec_b64 s[2:3], s[0:1]
	s_cbranch_execz .LBB877_12
; %bb.11:
	v_mul_f64 v[7:8], s[12:13], v[12:13]
	v_mul_f64 v[12:13], s[14:15], v[12:13]
	v_ashrrev_i32_e32 v3, 31, v2
	v_lshlrev_b64 v[14:15], 4, v[2:3]
	v_add_co_u32_e32 v5, vcc, v5, v14
	v_addc_co_u32_e32 v6, vcc, v6, v15, vcc
	v_fma_f64 v[7:8], s[14:15], v[10:11], v[7:8]
	v_fma_f64 v[1:2], s[12:13], v[10:11], -v[12:13]
	v_cmp_ne_u32_e32 vcc, v4, v0
	v_cndmask_b32_e32 v4, 0, v8, vcc
	v_cndmask_b32_e32 v3, 0, v7, vcc
	flat_store_dwordx4 v[5:6], v[1:4]
.LBB877_12:
	s_endpgm
	.section	.rodata,"a",@progbits
	.p2align	6, 0x0
	.amdhsa_kernel _ZL37rocblas_syrkx_herkx_restricted_kernelIi19rocblas_complex_numIdELi16ELi32ELi8ELb1ELb1ELc67ELc85EKPKS1_KPS1_EviT_T0_PT8_S7_lSA_S7_lS8_PT9_S7_li
		.amdhsa_group_segment_fixed_size 8192
		.amdhsa_private_segment_fixed_size 0
		.amdhsa_kernarg_size 116
		.amdhsa_user_sgpr_count 6
		.amdhsa_user_sgpr_private_segment_buffer 1
		.amdhsa_user_sgpr_dispatch_ptr 0
		.amdhsa_user_sgpr_queue_ptr 0
		.amdhsa_user_sgpr_kernarg_segment_ptr 1
		.amdhsa_user_sgpr_dispatch_id 0
		.amdhsa_user_sgpr_flat_scratch_init 0
		.amdhsa_user_sgpr_private_segment_size 0
		.amdhsa_uses_dynamic_stack 0
		.amdhsa_system_sgpr_private_segment_wavefront_offset 0
		.amdhsa_system_sgpr_workgroup_id_x 1
		.amdhsa_system_sgpr_workgroup_id_y 1
		.amdhsa_system_sgpr_workgroup_id_z 1
		.amdhsa_system_sgpr_workgroup_info 0
		.amdhsa_system_vgpr_workitem_id 1
		.amdhsa_next_free_vgpr 52
		.amdhsa_next_free_sgpr 61
		.amdhsa_reserve_vcc 1
		.amdhsa_reserve_flat_scratch 0
		.amdhsa_float_round_mode_32 0
		.amdhsa_float_round_mode_16_64 0
		.amdhsa_float_denorm_mode_32 3
		.amdhsa_float_denorm_mode_16_64 3
		.amdhsa_dx10_clamp 1
		.amdhsa_ieee_mode 1
		.amdhsa_fp16_overflow 0
		.amdhsa_exception_fp_ieee_invalid_op 0
		.amdhsa_exception_fp_denorm_src 0
		.amdhsa_exception_fp_ieee_div_zero 0
		.amdhsa_exception_fp_ieee_overflow 0
		.amdhsa_exception_fp_ieee_underflow 0
		.amdhsa_exception_fp_ieee_inexact 0
		.amdhsa_exception_int_div_zero 0
	.end_amdhsa_kernel
	.section	.text._ZL37rocblas_syrkx_herkx_restricted_kernelIi19rocblas_complex_numIdELi16ELi32ELi8ELb1ELb1ELc67ELc85EKPKS1_KPS1_EviT_T0_PT8_S7_lSA_S7_lS8_PT9_S7_li,"axG",@progbits,_ZL37rocblas_syrkx_herkx_restricted_kernelIi19rocblas_complex_numIdELi16ELi32ELi8ELb1ELb1ELc67ELc85EKPKS1_KPS1_EviT_T0_PT8_S7_lSA_S7_lS8_PT9_S7_li,comdat
.Lfunc_end877:
	.size	_ZL37rocblas_syrkx_herkx_restricted_kernelIi19rocblas_complex_numIdELi16ELi32ELi8ELb1ELb1ELc67ELc85EKPKS1_KPS1_EviT_T0_PT8_S7_lSA_S7_lS8_PT9_S7_li, .Lfunc_end877-_ZL37rocblas_syrkx_herkx_restricted_kernelIi19rocblas_complex_numIdELi16ELi32ELi8ELb1ELb1ELc67ELc85EKPKS1_KPS1_EviT_T0_PT8_S7_lSA_S7_lS8_PT9_S7_li
                                        ; -- End function
	.set _ZL37rocblas_syrkx_herkx_restricted_kernelIi19rocblas_complex_numIdELi16ELi32ELi8ELb1ELb1ELc67ELc85EKPKS1_KPS1_EviT_T0_PT8_S7_lSA_S7_lS8_PT9_S7_li.num_vgpr, 52
	.set _ZL37rocblas_syrkx_herkx_restricted_kernelIi19rocblas_complex_numIdELi16ELi32ELi8ELb1ELb1ELc67ELc85EKPKS1_KPS1_EviT_T0_PT8_S7_lSA_S7_lS8_PT9_S7_li.num_agpr, 0
	.set _ZL37rocblas_syrkx_herkx_restricted_kernelIi19rocblas_complex_numIdELi16ELi32ELi8ELb1ELb1ELc67ELc85EKPKS1_KPS1_EviT_T0_PT8_S7_lSA_S7_lS8_PT9_S7_li.numbered_sgpr, 21
	.set _ZL37rocblas_syrkx_herkx_restricted_kernelIi19rocblas_complex_numIdELi16ELi32ELi8ELb1ELb1ELc67ELc85EKPKS1_KPS1_EviT_T0_PT8_S7_lSA_S7_lS8_PT9_S7_li.num_named_barrier, 0
	.set _ZL37rocblas_syrkx_herkx_restricted_kernelIi19rocblas_complex_numIdELi16ELi32ELi8ELb1ELb1ELc67ELc85EKPKS1_KPS1_EviT_T0_PT8_S7_lSA_S7_lS8_PT9_S7_li.private_seg_size, 0
	.set _ZL37rocblas_syrkx_herkx_restricted_kernelIi19rocblas_complex_numIdELi16ELi32ELi8ELb1ELb1ELc67ELc85EKPKS1_KPS1_EviT_T0_PT8_S7_lSA_S7_lS8_PT9_S7_li.uses_vcc, 1
	.set _ZL37rocblas_syrkx_herkx_restricted_kernelIi19rocblas_complex_numIdELi16ELi32ELi8ELb1ELb1ELc67ELc85EKPKS1_KPS1_EviT_T0_PT8_S7_lSA_S7_lS8_PT9_S7_li.uses_flat_scratch, 0
	.set _ZL37rocblas_syrkx_herkx_restricted_kernelIi19rocblas_complex_numIdELi16ELi32ELi8ELb1ELb1ELc67ELc85EKPKS1_KPS1_EviT_T0_PT8_S7_lSA_S7_lS8_PT9_S7_li.has_dyn_sized_stack, 0
	.set _ZL37rocblas_syrkx_herkx_restricted_kernelIi19rocblas_complex_numIdELi16ELi32ELi8ELb1ELb1ELc67ELc85EKPKS1_KPS1_EviT_T0_PT8_S7_lSA_S7_lS8_PT9_S7_li.has_recursion, 0
	.set _ZL37rocblas_syrkx_herkx_restricted_kernelIi19rocblas_complex_numIdELi16ELi32ELi8ELb1ELb1ELc67ELc85EKPKS1_KPS1_EviT_T0_PT8_S7_lSA_S7_lS8_PT9_S7_li.has_indirect_call, 0
	.section	.AMDGPU.csdata,"",@progbits
; Kernel info:
; codeLenInByte = 2928
; TotalNumSgprs: 25
; NumVgprs: 52
; ScratchSize: 0
; MemoryBound: 0
; FloatMode: 240
; IeeeMode: 1
; LDSByteSize: 8192 bytes/workgroup (compile time only)
; SGPRBlocks: 8
; VGPRBlocks: 12
; NumSGPRsForWavesPerEU: 65
; NumVGPRsForWavesPerEU: 52
; Occupancy: 4
; WaveLimiterHint : 1
; COMPUTE_PGM_RSRC2:SCRATCH_EN: 0
; COMPUTE_PGM_RSRC2:USER_SGPR: 6
; COMPUTE_PGM_RSRC2:TRAP_HANDLER: 0
; COMPUTE_PGM_RSRC2:TGID_X_EN: 1
; COMPUTE_PGM_RSRC2:TGID_Y_EN: 1
; COMPUTE_PGM_RSRC2:TGID_Z_EN: 1
; COMPUTE_PGM_RSRC2:TIDIG_COMP_CNT: 1
	.section	.text._ZL37rocblas_syrkx_herkx_restricted_kernelIi19rocblas_complex_numIdELi16ELi32ELi8ELb1ELb1ELc78ELc85EKPKS1_KPS1_EviT_T0_PT8_S7_lSA_S7_lS8_PT9_S7_li,"axG",@progbits,_ZL37rocblas_syrkx_herkx_restricted_kernelIi19rocblas_complex_numIdELi16ELi32ELi8ELb1ELb1ELc78ELc85EKPKS1_KPS1_EviT_T0_PT8_S7_lSA_S7_lS8_PT9_S7_li,comdat
	.globl	_ZL37rocblas_syrkx_herkx_restricted_kernelIi19rocblas_complex_numIdELi16ELi32ELi8ELb1ELb1ELc78ELc85EKPKS1_KPS1_EviT_T0_PT8_S7_lSA_S7_lS8_PT9_S7_li ; -- Begin function _ZL37rocblas_syrkx_herkx_restricted_kernelIi19rocblas_complex_numIdELi16ELi32ELi8ELb1ELb1ELc78ELc85EKPKS1_KPS1_EviT_T0_PT8_S7_lSA_S7_lS8_PT9_S7_li
	.p2align	8
	.type	_ZL37rocblas_syrkx_herkx_restricted_kernelIi19rocblas_complex_numIdELi16ELi32ELi8ELb1ELb1ELc78ELc85EKPKS1_KPS1_EviT_T0_PT8_S7_lSA_S7_lS8_PT9_S7_li,@function
_ZL37rocblas_syrkx_herkx_restricted_kernelIi19rocblas_complex_numIdELi16ELi32ELi8ELb1ELb1ELc78ELc85EKPKS1_KPS1_EviT_T0_PT8_S7_lSA_S7_lS8_PT9_S7_li: ; @_ZL37rocblas_syrkx_herkx_restricted_kernelIi19rocblas_complex_numIdELi16ELi32ELi8ELb1ELb1ELc78ELc85EKPKS1_KPS1_EviT_T0_PT8_S7_lSA_S7_lS8_PT9_S7_li
; %bb.0:
	s_load_dwordx2 s[0:1], s[4:5], 0x18
	s_load_dwordx2 s[10:11], s[4:5], 0x58
	;; [unrolled: 1-line block ×3, first 2 shown]
	s_load_dwordx4 s[12:15], s[4:5], 0x8
	s_mov_b32 s9, 0
	s_lshl_b64 s[16:17], s[8:9], 3
	s_waitcnt lgkmcnt(0)
	s_add_u32 s10, s10, s16
	s_addc_u32 s11, s11, s17
	s_load_dwordx2 s[10:11], s[10:11], 0x0
	s_lshl_b32 s8, s6, 5
	s_lshl_b32 s18, s7, 5
	s_cmp_lt_i32 s3, 1
	s_cbranch_scc1 .LBB878_3
; %bb.1:
	s_load_dword s6, s[4:5], 0x20
	s_load_dword s20, s[4:5], 0x38
	s_load_dwordx2 s[22:23], s[4:5], 0x30
	v_lshl_add_u32 v2, v1, 4, v0
	v_lshrrev_b32_e32 v6, 3, v2
	s_waitcnt lgkmcnt(0)
	s_ashr_i32 s7, s6, 31
	s_ashr_i32 s21, s20, 31
	s_add_u32 s0, s0, s16
	s_addc_u32 s1, s1, s17
	v_lshrrev_b32_e32 v7, 5, v2
	v_and_b32_e32 v9, 31, v2
	v_add_u32_e32 v2, s18, v6
	s_add_u32 s16, s22, s16
	v_and_b32_e32 v8, 7, v0
	v_ashrrev_i32_e32 v3, 31, v2
	s_addc_u32 s17, s23, s17
	v_mad_i64_i32 v[4:5], s[22:23], s20, v8, v[2:3]
	v_lshlrev_b32_e32 v2, 4, v9
	v_lshl_or_b32 v22, v7, 9, v2
	v_lshlrev_b32_e32 v2, 4, v8
	v_lshl_or_b32 v2, v6, 7, v2
	v_add_u32_e32 v23, 0x1000, v2
	v_add_u32_e32 v2, s8, v9
	v_ashrrev_i32_e32 v3, 31, v2
	v_mad_i64_i32 v[2:3], s[22:23], s6, v7, v[2:3]
	s_load_dwordx2 s[0:1], s[0:1], 0x0
	v_mov_b32_e32 v6, 0x1000
	s_load_dwordx2 s[16:17], s[16:17], 0x0
	v_lshlrev_b64 v[2:3], 4, v[2:3]
	v_lshl_add_u32 v25, v1, 7, v6
	s_waitcnt lgkmcnt(0)
	v_mov_b32_e32 v6, s1
	v_add_co_u32_e32 v2, vcc, s0, v2
	v_lshlrev_b64 v[4:5], 4, v[4:5]
	v_addc_co_u32_e32 v3, vcc, v6, v3, vcc
	v_mov_b32_e32 v6, s17
	v_add_co_u32_e32 v4, vcc, s16, v4
	s_lshl_b64 s[0:1], s[6:7], 7
	v_addc_co_u32_e32 v5, vcc, v6, v5, vcc
	s_lshl_b64 s[6:7], s[20:21], 7
	v_mov_b32_e32 v12, 0
	v_mov_b32_e32 v10, 0
	;; [unrolled: 1-line block ×8, first 2 shown]
	v_lshlrev_b32_e32 v24, 4, v0
	v_mov_b32_e32 v13, 0
	v_mov_b32_e32 v26, s1
	;; [unrolled: 1-line block ×10, first 2 shown]
.LBB878_2:                              ; =>This Inner Loop Header: Depth=1
	flat_load_dwordx4 v[28:31], v[2:3]
	v_add_co_u32_e32 v2, vcc, s0, v2
	v_addc_co_u32_e32 v3, vcc, v3, v26, vcc
	s_add_i32 s9, s9, 8
	s_cmp_ge_i32 s9, s3
	s_waitcnt vmcnt(0) lgkmcnt(0)
	ds_write_b128 v22, v[28:31]
	flat_load_dwordx4 v[28:31], v[4:5]
	v_add_co_u32_e32 v4, vcc, s6, v4
	v_addc_co_u32_e32 v5, vcc, v5, v27, vcc
	s_waitcnt vmcnt(0) lgkmcnt(0)
	v_xor_b32_e32 v31, 0x80000000, v31
	ds_write_b128 v23, v[28:31]
	s_waitcnt lgkmcnt(0)
	s_barrier
	ds_read_b128 v[28:31], v25
	ds_read_b128 v[32:35], v25 offset:16
	ds_read_b128 v[36:39], v25 offset:32
	;; [unrolled: 1-line block ×3, first 2 shown]
	ds_read_b128 v[44:47], v24
	s_waitcnt lgkmcnt(0)
	v_mul_f64 v[48:49], v[30:31], v[46:47]
	v_mul_f64 v[50:51], v[28:29], v[46:47]
	v_fma_f64 v[48:49], v[28:29], v[44:45], -v[48:49]
	v_fma_f64 v[50:51], v[30:31], v[44:45], v[50:51]
	v_add_f64 v[48:49], v[18:19], v[48:49]
	v_add_f64 v[50:51], v[50:51], v[20:21]
	ds_read_b128 v[18:21], v24 offset:256
	s_waitcnt lgkmcnt(0)
	v_mul_f64 v[52:53], v[30:31], v[20:21]
	v_fma_f64 v[52:53], v[28:29], v[18:19], -v[52:53]
	v_mul_f64 v[28:29], v[28:29], v[20:21]
	v_fma_f64 v[28:29], v[30:31], v[18:19], v[28:29]
	v_add_f64 v[30:31], v[6:7], v[52:53]
	v_add_f64 v[28:29], v[28:29], v[8:9]
	ds_read_b128 v[6:9], v25 offset:2048
	s_waitcnt lgkmcnt(0)
	v_mul_f64 v[52:53], v[8:9], v[46:47]
	v_mul_f64 v[46:47], v[6:7], v[46:47]
	v_fma_f64 v[52:53], v[6:7], v[44:45], -v[52:53]
	v_fma_f64 v[44:45], v[8:9], v[44:45], v[46:47]
	v_add_f64 v[46:47], v[14:15], v[52:53]
	v_mul_f64 v[14:15], v[8:9], v[20:21]
	v_add_f64 v[44:45], v[44:45], v[16:17]
	v_fma_f64 v[14:15], v[6:7], v[18:19], -v[14:15]
	v_mul_f64 v[6:7], v[6:7], v[20:21]
	v_fma_f64 v[6:7], v[8:9], v[18:19], v[6:7]
	v_add_f64 v[18:19], v[10:11], v[14:15]
	v_add_f64 v[20:21], v[6:7], v[12:13]
	ds_read_b128 v[6:9], v24 offset:512
	s_waitcnt lgkmcnt(0)
	v_mul_f64 v[10:11], v[34:35], v[8:9]
	v_mul_f64 v[12:13], v[32:33], v[8:9]
	v_fma_f64 v[10:11], v[32:33], v[6:7], -v[10:11]
	v_fma_f64 v[12:13], v[34:35], v[6:7], v[12:13]
	v_add_f64 v[48:49], v[48:49], v[10:11]
	v_add_f64 v[50:51], v[12:13], v[50:51]
	ds_read_b128 v[10:13], v24 offset:768
	s_waitcnt lgkmcnt(0)
	v_mul_f64 v[14:15], v[34:35], v[12:13]
	v_mul_f64 v[16:17], v[32:33], v[12:13]
	v_fma_f64 v[14:15], v[32:33], v[10:11], -v[14:15]
	;; [unrolled: 8-line block ×3, first 2 shown]
	v_fma_f64 v[6:7], v[16:17], v[6:7], v[8:9]
	v_mul_f64 v[8:9], v[14:15], v[12:13]
	v_add_f64 v[32:33], v[46:47], v[32:33]
	v_add_f64 v[34:35], v[6:7], v[44:45]
	v_mul_f64 v[6:7], v[16:17], v[12:13]
	v_fma_f64 v[8:9], v[16:17], v[10:11], v[8:9]
	v_fma_f64 v[6:7], v[14:15], v[10:11], -v[6:7]
	v_add_f64 v[20:21], v[8:9], v[20:21]
	v_add_f64 v[18:19], v[18:19], v[6:7]
	ds_read_b128 v[6:9], v24 offset:1024
	s_waitcnt lgkmcnt(0)
	v_mul_f64 v[10:11], v[38:39], v[8:9]
	v_mul_f64 v[12:13], v[36:37], v[8:9]
	v_fma_f64 v[10:11], v[36:37], v[6:7], -v[10:11]
	v_fma_f64 v[12:13], v[38:39], v[6:7], v[12:13]
	v_add_f64 v[44:45], v[48:49], v[10:11]
	v_add_f64 v[46:47], v[12:13], v[50:51]
	ds_read_b128 v[10:13], v24 offset:1280
	s_waitcnt lgkmcnt(0)
	v_mul_f64 v[14:15], v[38:39], v[12:13]
	v_mul_f64 v[16:17], v[36:37], v[12:13]
	v_fma_f64 v[14:15], v[36:37], v[10:11], -v[14:15]
	v_fma_f64 v[16:17], v[38:39], v[10:11], v[16:17]
	v_add_f64 v[30:31], v[30:31], v[14:15]
	v_add_f64 v[28:29], v[16:17], v[28:29]
	ds_read_b128 v[14:17], v25 offset:2080
	s_waitcnt lgkmcnt(0)
	v_mul_f64 v[36:37], v[16:17], v[8:9]
	v_mul_f64 v[8:9], v[14:15], v[8:9]
	v_fma_f64 v[36:37], v[14:15], v[6:7], -v[36:37]
	v_fma_f64 v[6:7], v[16:17], v[6:7], v[8:9]
	v_mul_f64 v[8:9], v[14:15], v[12:13]
	v_add_f64 v[32:33], v[32:33], v[36:37]
	v_add_f64 v[34:35], v[6:7], v[34:35]
	v_mul_f64 v[6:7], v[16:17], v[12:13]
	v_fma_f64 v[8:9], v[16:17], v[10:11], v[8:9]
	v_fma_f64 v[6:7], v[14:15], v[10:11], -v[6:7]
	v_add_f64 v[20:21], v[8:9], v[20:21]
	v_add_f64 v[18:19], v[18:19], v[6:7]
	ds_read_b128 v[6:9], v24 offset:1536
	s_waitcnt lgkmcnt(0)
	v_mul_f64 v[10:11], v[42:43], v[8:9]
	v_mul_f64 v[12:13], v[40:41], v[8:9]
	v_fma_f64 v[10:11], v[40:41], v[6:7], -v[10:11]
	v_fma_f64 v[12:13], v[42:43], v[6:7], v[12:13]
	v_add_f64 v[36:37], v[44:45], v[10:11]
	v_add_f64 v[38:39], v[12:13], v[46:47]
	ds_read_b128 v[10:13], v24 offset:1792
	s_waitcnt lgkmcnt(0)
	v_mul_f64 v[14:15], v[42:43], v[12:13]
	v_mul_f64 v[16:17], v[40:41], v[12:13]
	v_fma_f64 v[14:15], v[40:41], v[10:11], -v[14:15]
	v_fma_f64 v[16:17], v[42:43], v[10:11], v[16:17]
	;; [unrolled: 8-line block ×3, first 2 shown]
	v_mul_f64 v[8:9], v[14:15], v[12:13]
	v_add_f64 v[32:33], v[32:33], v[40:41]
	v_add_f64 v[34:35], v[6:7], v[34:35]
	v_mul_f64 v[6:7], v[16:17], v[12:13]
	v_fma_f64 v[8:9], v[16:17], v[10:11], v[8:9]
	v_fma_f64 v[6:7], v[14:15], v[10:11], -v[6:7]
	v_add_f64 v[20:21], v[8:9], v[20:21]
	v_add_f64 v[18:19], v[18:19], v[6:7]
	ds_read_b128 v[6:9], v25 offset:64
	ds_read_b128 v[10:13], v24 offset:2048
	s_waitcnt lgkmcnt(0)
	v_mul_f64 v[14:15], v[8:9], v[12:13]
	v_mul_f64 v[16:17], v[6:7], v[12:13]
	v_fma_f64 v[14:15], v[6:7], v[10:11], -v[14:15]
	v_fma_f64 v[16:17], v[8:9], v[10:11], v[16:17]
	v_add_f64 v[36:37], v[36:37], v[14:15]
	v_add_f64 v[38:39], v[16:17], v[38:39]
	ds_read_b128 v[14:17], v24 offset:2304
	s_waitcnt lgkmcnt(0)
	v_mul_f64 v[40:41], v[8:9], v[16:17]
	v_fma_f64 v[40:41], v[6:7], v[14:15], -v[40:41]
	v_mul_f64 v[6:7], v[6:7], v[16:17]
	v_add_f64 v[30:31], v[30:31], v[40:41]
	v_fma_f64 v[6:7], v[8:9], v[14:15], v[6:7]
	v_add_f64 v[28:29], v[6:7], v[28:29]
	ds_read_b128 v[6:9], v25 offset:2112
	s_waitcnt lgkmcnt(0)
	v_mul_f64 v[40:41], v[8:9], v[12:13]
	v_mul_f64 v[12:13], v[6:7], v[12:13]
	v_fma_f64 v[40:41], v[6:7], v[10:11], -v[40:41]
	v_fma_f64 v[10:11], v[8:9], v[10:11], v[12:13]
	v_add_f64 v[32:33], v[32:33], v[40:41]
	v_add_f64 v[34:35], v[10:11], v[34:35]
	v_mul_f64 v[10:11], v[8:9], v[16:17]
	v_fma_f64 v[10:11], v[6:7], v[14:15], -v[10:11]
	v_mul_f64 v[6:7], v[6:7], v[16:17]
	v_add_f64 v[18:19], v[18:19], v[10:11]
	v_fma_f64 v[6:7], v[8:9], v[14:15], v[6:7]
	v_add_f64 v[20:21], v[6:7], v[20:21]
	ds_read_b128 v[6:9], v25 offset:80
	ds_read_b128 v[10:13], v24 offset:2560
	s_waitcnt lgkmcnt(0)
	v_mul_f64 v[14:15], v[8:9], v[12:13]
	v_mul_f64 v[16:17], v[6:7], v[12:13]
	v_fma_f64 v[14:15], v[6:7], v[10:11], -v[14:15]
	v_fma_f64 v[16:17], v[8:9], v[10:11], v[16:17]
	v_add_f64 v[36:37], v[36:37], v[14:15]
	v_add_f64 v[38:39], v[16:17], v[38:39]
	ds_read_b128 v[14:17], v24 offset:2816
	s_waitcnt lgkmcnt(0)
	v_mul_f64 v[40:41], v[8:9], v[16:17]
	v_fma_f64 v[40:41], v[6:7], v[14:15], -v[40:41]
	v_mul_f64 v[6:7], v[6:7], v[16:17]
	v_add_f64 v[30:31], v[30:31], v[40:41]
	v_fma_f64 v[6:7], v[8:9], v[14:15], v[6:7]
	v_add_f64 v[28:29], v[6:7], v[28:29]
	ds_read_b128 v[6:9], v25 offset:2128
	s_waitcnt lgkmcnt(0)
	v_mul_f64 v[40:41], v[8:9], v[12:13]
	v_mul_f64 v[12:13], v[6:7], v[12:13]
	v_fma_f64 v[40:41], v[6:7], v[10:11], -v[40:41]
	v_fma_f64 v[10:11], v[8:9], v[10:11], v[12:13]
	v_add_f64 v[32:33], v[32:33], v[40:41]
	v_add_f64 v[34:35], v[10:11], v[34:35]
	v_mul_f64 v[10:11], v[8:9], v[16:17]
	v_fma_f64 v[10:11], v[6:7], v[14:15], -v[10:11]
	v_mul_f64 v[6:7], v[6:7], v[16:17]
	v_add_f64 v[18:19], v[18:19], v[10:11]
	v_fma_f64 v[6:7], v[8:9], v[14:15], v[6:7]
	;; [unrolled: 31-line block ×3, first 2 shown]
	v_add_f64 v[50:51], v[6:7], v[20:21]
	ds_read_b128 v[6:9], v25 offset:112
	ds_read_b128 v[10:13], v24 offset:3584
	;; [unrolled: 1-line block ×4, first 2 shown]
	s_waitcnt lgkmcnt(0)
	s_barrier
	v_mul_f64 v[14:15], v[8:9], v[12:13]
	v_mul_f64 v[16:17], v[6:7], v[12:13]
	v_fma_f64 v[14:15], v[6:7], v[10:11], -v[14:15]
	v_fma_f64 v[16:17], v[8:9], v[10:11], v[16:17]
	v_add_f64 v[18:19], v[36:37], v[14:15]
	v_mul_f64 v[14:15], v[8:9], v[30:31]
	v_add_f64 v[20:21], v[16:17], v[38:39]
	v_fma_f64 v[14:15], v[6:7], v[28:29], -v[14:15]
	v_mul_f64 v[6:7], v[6:7], v[30:31]
	v_fma_f64 v[8:9], v[8:9], v[28:29], v[6:7]
	v_add_f64 v[6:7], v[40:41], v[14:15]
	v_mul_f64 v[14:15], v[34:35], v[12:13]
	v_mul_f64 v[12:13], v[32:33], v[12:13]
	v_add_f64 v[8:9], v[8:9], v[42:43]
	v_fma_f64 v[14:15], v[32:33], v[10:11], -v[14:15]
	v_fma_f64 v[10:11], v[34:35], v[10:11], v[12:13]
	v_mul_f64 v[12:13], v[32:33], v[30:31]
	v_add_f64 v[14:15], v[44:45], v[14:15]
	v_add_f64 v[16:17], v[10:11], v[46:47]
	v_mul_f64 v[10:11], v[34:35], v[30:31]
	v_fma_f64 v[12:13], v[34:35], v[28:29], v[12:13]
	v_fma_f64 v[10:11], v[32:33], v[28:29], -v[10:11]
	v_add_f64 v[12:13], v[12:13], v[50:51]
	v_add_f64 v[10:11], v[48:49], v[10:11]
	s_cbranch_scc0 .LBB878_2
	s_branch .LBB878_4
.LBB878_3:
	v_mov_b32_e32 v18, 0
	v_mov_b32_e32 v20, 0
	;; [unrolled: 1-line block ×16, first 2 shown]
.LBB878_4:
	s_load_dword s3, s[4:5], 0x60
	v_add_u32_e32 v4, s18, v1
	s_waitcnt lgkmcnt(0)
	v_mov_b32_e32 v3, s11
	v_add_u32_e32 v0, s8, v0
	v_cmp_gt_i32_e32 vcc, s2, v4
	v_mad_i64_i32 v[1:2], s[0:1], v4, s3, 0
	v_lshlrev_b64 v[1:2], 4, v[1:2]
	v_add_co_u32_e64 v5, s[0:1], s10, v1
	v_addc_co_u32_e64 v22, s[0:1], v3, v2, s[0:1]
	v_cmp_le_i32_e64 s[0:1], v0, v4
	s_and_b64 s[0:1], vcc, s[0:1]
	s_and_saveexec_b64 s[4:5], s[0:1]
	s_cbranch_execz .LBB878_6
; %bb.5:
	v_mul_f64 v[2:3], s[12:13], v[20:21]
	v_mul_f64 v[20:21], s[14:15], v[20:21]
	v_ashrrev_i32_e32 v1, 31, v0
	v_lshlrev_b64 v[23:24], 4, v[0:1]
	v_add_co_u32_e64 v23, s[0:1], v5, v23
	v_addc_co_u32_e64 v24, s[0:1], v22, v24, s[0:1]
	v_fma_f64 v[2:3], s[14:15], v[18:19], v[2:3]
	v_fma_f64 v[18:19], s[12:13], v[18:19], -v[20:21]
	v_cmp_ne_u32_e64 s[0:1], v4, v0
	v_cndmask_b32_e64 v21, 0, v3, s[0:1]
	v_cndmask_b32_e64 v20, 0, v2, s[0:1]
	flat_store_dwordx4 v[23:24], v[18:21]
.LBB878_6:
	s_or_b64 exec, exec, s[4:5]
	v_add_u32_e32 v2, 16, v0
	v_cmp_le_i32_e64 s[0:1], v2, v4
	s_and_b64 s[4:5], vcc, s[0:1]
	s_and_saveexec_b64 s[0:1], s[4:5]
	s_cbranch_execz .LBB878_8
; %bb.7:
	v_mul_f64 v[18:19], s[12:13], v[8:9]
	v_mul_f64 v[8:9], s[14:15], v[8:9]
	v_ashrrev_i32_e32 v3, 31, v2
	v_lshlrev_b64 v[20:21], 4, v[2:3]
	v_add_co_u32_e32 v20, vcc, v5, v20
	v_addc_co_u32_e32 v21, vcc, v22, v21, vcc
	v_fma_f64 v[18:19], s[14:15], v[6:7], v[18:19]
	v_fma_f64 v[6:7], s[12:13], v[6:7], -v[8:9]
	v_cmp_ne_u32_e32 vcc, v4, v2
	v_cndmask_b32_e32 v9, 0, v19, vcc
	v_cndmask_b32_e32 v8, 0, v18, vcc
	flat_store_dwordx4 v[20:21], v[6:9]
.LBB878_8:
	s_or_b64 exec, exec, s[0:1]
	v_add_u32_e32 v3, 16, v4
	v_mad_i64_i32 v[5:6], s[0:1], v3, s3, 0
	v_mov_b32_e32 v1, s11
	v_cmp_gt_i32_e32 vcc, s2, v3
	v_lshlrev_b64 v[5:6], 4, v[5:6]
	v_add_co_u32_e64 v5, s[0:1], s10, v5
	v_addc_co_u32_e64 v6, s[0:1], v1, v6, s[0:1]
	v_cmp_le_i32_e64 s[0:1], v0, v3
	s_and_b64 s[0:1], vcc, s[0:1]
	s_and_saveexec_b64 s[2:3], s[0:1]
	s_cbranch_execz .LBB878_10
; %bb.9:
	v_mul_f64 v[7:8], s[12:13], v[16:17]
	v_mul_f64 v[16:17], s[14:15], v[16:17]
	v_ashrrev_i32_e32 v1, 31, v0
	v_lshlrev_b64 v[18:19], 4, v[0:1]
	v_add_co_u32_e64 v18, s[0:1], v5, v18
	v_addc_co_u32_e64 v19, s[0:1], v6, v19, s[0:1]
	v_fma_f64 v[7:8], s[14:15], v[14:15], v[7:8]
	v_fma_f64 v[14:15], s[12:13], v[14:15], -v[16:17]
	v_cmp_ne_u32_e64 s[0:1], v3, v0
	v_cndmask_b32_e64 v17, 0, v8, s[0:1]
	v_cndmask_b32_e64 v16, 0, v7, s[0:1]
	flat_store_dwordx4 v[18:19], v[14:17]
.LBB878_10:
	s_or_b64 exec, exec, s[2:3]
	v_cmp_le_i32_e64 s[0:1], v2, v3
	s_and_b64 s[0:1], vcc, s[0:1]
	s_and_saveexec_b64 s[2:3], s[0:1]
	s_cbranch_execz .LBB878_12
; %bb.11:
	v_mul_f64 v[7:8], s[12:13], v[12:13]
	v_mul_f64 v[12:13], s[14:15], v[12:13]
	v_ashrrev_i32_e32 v3, 31, v2
	v_lshlrev_b64 v[14:15], 4, v[2:3]
	v_add_co_u32_e32 v5, vcc, v5, v14
	v_addc_co_u32_e32 v6, vcc, v6, v15, vcc
	v_fma_f64 v[7:8], s[14:15], v[10:11], v[7:8]
	v_fma_f64 v[1:2], s[12:13], v[10:11], -v[12:13]
	v_cmp_ne_u32_e32 vcc, v4, v0
	v_cndmask_b32_e32 v4, 0, v8, vcc
	v_cndmask_b32_e32 v3, 0, v7, vcc
	flat_store_dwordx4 v[5:6], v[1:4]
.LBB878_12:
	s_endpgm
	.section	.rodata,"a",@progbits
	.p2align	6, 0x0
	.amdhsa_kernel _ZL37rocblas_syrkx_herkx_restricted_kernelIi19rocblas_complex_numIdELi16ELi32ELi8ELb1ELb1ELc78ELc85EKPKS1_KPS1_EviT_T0_PT8_S7_lSA_S7_lS8_PT9_S7_li
		.amdhsa_group_segment_fixed_size 8192
		.amdhsa_private_segment_fixed_size 0
		.amdhsa_kernarg_size 116
		.amdhsa_user_sgpr_count 6
		.amdhsa_user_sgpr_private_segment_buffer 1
		.amdhsa_user_sgpr_dispatch_ptr 0
		.amdhsa_user_sgpr_queue_ptr 0
		.amdhsa_user_sgpr_kernarg_segment_ptr 1
		.amdhsa_user_sgpr_dispatch_id 0
		.amdhsa_user_sgpr_flat_scratch_init 0
		.amdhsa_user_sgpr_private_segment_size 0
		.amdhsa_uses_dynamic_stack 0
		.amdhsa_system_sgpr_private_segment_wavefront_offset 0
		.amdhsa_system_sgpr_workgroup_id_x 1
		.amdhsa_system_sgpr_workgroup_id_y 1
		.amdhsa_system_sgpr_workgroup_id_z 1
		.amdhsa_system_sgpr_workgroup_info 0
		.amdhsa_system_vgpr_workitem_id 1
		.amdhsa_next_free_vgpr 54
		.amdhsa_next_free_sgpr 61
		.amdhsa_reserve_vcc 1
		.amdhsa_reserve_flat_scratch 0
		.amdhsa_float_round_mode_32 0
		.amdhsa_float_round_mode_16_64 0
		.amdhsa_float_denorm_mode_32 3
		.amdhsa_float_denorm_mode_16_64 3
		.amdhsa_dx10_clamp 1
		.amdhsa_ieee_mode 1
		.amdhsa_fp16_overflow 0
		.amdhsa_exception_fp_ieee_invalid_op 0
		.amdhsa_exception_fp_denorm_src 0
		.amdhsa_exception_fp_ieee_div_zero 0
		.amdhsa_exception_fp_ieee_overflow 0
		.amdhsa_exception_fp_ieee_underflow 0
		.amdhsa_exception_fp_ieee_inexact 0
		.amdhsa_exception_int_div_zero 0
	.end_amdhsa_kernel
	.section	.text._ZL37rocblas_syrkx_herkx_restricted_kernelIi19rocblas_complex_numIdELi16ELi32ELi8ELb1ELb1ELc78ELc85EKPKS1_KPS1_EviT_T0_PT8_S7_lSA_S7_lS8_PT9_S7_li,"axG",@progbits,_ZL37rocblas_syrkx_herkx_restricted_kernelIi19rocblas_complex_numIdELi16ELi32ELi8ELb1ELb1ELc78ELc85EKPKS1_KPS1_EviT_T0_PT8_S7_lSA_S7_lS8_PT9_S7_li,comdat
.Lfunc_end878:
	.size	_ZL37rocblas_syrkx_herkx_restricted_kernelIi19rocblas_complex_numIdELi16ELi32ELi8ELb1ELb1ELc78ELc85EKPKS1_KPS1_EviT_T0_PT8_S7_lSA_S7_lS8_PT9_S7_li, .Lfunc_end878-_ZL37rocblas_syrkx_herkx_restricted_kernelIi19rocblas_complex_numIdELi16ELi32ELi8ELb1ELb1ELc78ELc85EKPKS1_KPS1_EviT_T0_PT8_S7_lSA_S7_lS8_PT9_S7_li
                                        ; -- End function
	.set _ZL37rocblas_syrkx_herkx_restricted_kernelIi19rocblas_complex_numIdELi16ELi32ELi8ELb1ELb1ELc78ELc85EKPKS1_KPS1_EviT_T0_PT8_S7_lSA_S7_lS8_PT9_S7_li.num_vgpr, 54
	.set _ZL37rocblas_syrkx_herkx_restricted_kernelIi19rocblas_complex_numIdELi16ELi32ELi8ELb1ELb1ELc78ELc85EKPKS1_KPS1_EviT_T0_PT8_S7_lSA_S7_lS8_PT9_S7_li.num_agpr, 0
	.set _ZL37rocblas_syrkx_herkx_restricted_kernelIi19rocblas_complex_numIdELi16ELi32ELi8ELb1ELb1ELc78ELc85EKPKS1_KPS1_EviT_T0_PT8_S7_lSA_S7_lS8_PT9_S7_li.numbered_sgpr, 24
	.set _ZL37rocblas_syrkx_herkx_restricted_kernelIi19rocblas_complex_numIdELi16ELi32ELi8ELb1ELb1ELc78ELc85EKPKS1_KPS1_EviT_T0_PT8_S7_lSA_S7_lS8_PT9_S7_li.num_named_barrier, 0
	.set _ZL37rocblas_syrkx_herkx_restricted_kernelIi19rocblas_complex_numIdELi16ELi32ELi8ELb1ELb1ELc78ELc85EKPKS1_KPS1_EviT_T0_PT8_S7_lSA_S7_lS8_PT9_S7_li.private_seg_size, 0
	.set _ZL37rocblas_syrkx_herkx_restricted_kernelIi19rocblas_complex_numIdELi16ELi32ELi8ELb1ELb1ELc78ELc85EKPKS1_KPS1_EviT_T0_PT8_S7_lSA_S7_lS8_PT9_S7_li.uses_vcc, 1
	.set _ZL37rocblas_syrkx_herkx_restricted_kernelIi19rocblas_complex_numIdELi16ELi32ELi8ELb1ELb1ELc78ELc85EKPKS1_KPS1_EviT_T0_PT8_S7_lSA_S7_lS8_PT9_S7_li.uses_flat_scratch, 0
	.set _ZL37rocblas_syrkx_herkx_restricted_kernelIi19rocblas_complex_numIdELi16ELi32ELi8ELb1ELb1ELc78ELc85EKPKS1_KPS1_EviT_T0_PT8_S7_lSA_S7_lS8_PT9_S7_li.has_dyn_sized_stack, 0
	.set _ZL37rocblas_syrkx_herkx_restricted_kernelIi19rocblas_complex_numIdELi16ELi32ELi8ELb1ELb1ELc78ELc85EKPKS1_KPS1_EviT_T0_PT8_S7_lSA_S7_lS8_PT9_S7_li.has_recursion, 0
	.set _ZL37rocblas_syrkx_herkx_restricted_kernelIi19rocblas_complex_numIdELi16ELi32ELi8ELb1ELb1ELc78ELc85EKPKS1_KPS1_EviT_T0_PT8_S7_lSA_S7_lS8_PT9_S7_li.has_indirect_call, 0
	.section	.AMDGPU.csdata,"",@progbits
; Kernel info:
; codeLenInByte = 2944
; TotalNumSgprs: 28
; NumVgprs: 54
; ScratchSize: 0
; MemoryBound: 0
; FloatMode: 240
; IeeeMode: 1
; LDSByteSize: 8192 bytes/workgroup (compile time only)
; SGPRBlocks: 8
; VGPRBlocks: 13
; NumSGPRsForWavesPerEU: 65
; NumVGPRsForWavesPerEU: 54
; Occupancy: 4
; WaveLimiterHint : 1
; COMPUTE_PGM_RSRC2:SCRATCH_EN: 0
; COMPUTE_PGM_RSRC2:USER_SGPR: 6
; COMPUTE_PGM_RSRC2:TRAP_HANDLER: 0
; COMPUTE_PGM_RSRC2:TGID_X_EN: 1
; COMPUTE_PGM_RSRC2:TGID_Y_EN: 1
; COMPUTE_PGM_RSRC2:TGID_Z_EN: 1
; COMPUTE_PGM_RSRC2:TIDIG_COMP_CNT: 1
	.section	.text._ZL37rocblas_syrkx_herkx_restricted_kernelIi19rocblas_complex_numIdELi16ELi32ELi8ELb0ELb1ELc84ELc76EKPKS1_KPS1_EviT_T0_PT8_S7_lSA_S7_lS8_PT9_S7_li,"axG",@progbits,_ZL37rocblas_syrkx_herkx_restricted_kernelIi19rocblas_complex_numIdELi16ELi32ELi8ELb0ELb1ELc84ELc76EKPKS1_KPS1_EviT_T0_PT8_S7_lSA_S7_lS8_PT9_S7_li,comdat
	.globl	_ZL37rocblas_syrkx_herkx_restricted_kernelIi19rocblas_complex_numIdELi16ELi32ELi8ELb0ELb1ELc84ELc76EKPKS1_KPS1_EviT_T0_PT8_S7_lSA_S7_lS8_PT9_S7_li ; -- Begin function _ZL37rocblas_syrkx_herkx_restricted_kernelIi19rocblas_complex_numIdELi16ELi32ELi8ELb0ELb1ELc84ELc76EKPKS1_KPS1_EviT_T0_PT8_S7_lSA_S7_lS8_PT9_S7_li
	.p2align	8
	.type	_ZL37rocblas_syrkx_herkx_restricted_kernelIi19rocblas_complex_numIdELi16ELi32ELi8ELb0ELb1ELc84ELc76EKPKS1_KPS1_EviT_T0_PT8_S7_lSA_S7_lS8_PT9_S7_li,@function
_ZL37rocblas_syrkx_herkx_restricted_kernelIi19rocblas_complex_numIdELi16ELi32ELi8ELb0ELb1ELc84ELc76EKPKS1_KPS1_EviT_T0_PT8_S7_lSA_S7_lS8_PT9_S7_li: ; @_ZL37rocblas_syrkx_herkx_restricted_kernelIi19rocblas_complex_numIdELi16ELi32ELi8ELb0ELb1ELc84ELc76EKPKS1_KPS1_EviT_T0_PT8_S7_lSA_S7_lS8_PT9_S7_li
; %bb.0:
	s_load_dwordx2 s[20:21], s[4:5], 0x0
	s_load_dwordx4 s[12:15], s[4:5], 0x8
	s_load_dwordx2 s[10:11], s[4:5], 0x58
	s_load_dwordx2 s[0:1], s[4:5], 0x18
	s_load_dwordx4 s[16:19], s[4:5], 0x48
	s_mov_b32 s9, 0
	s_lshl_b64 s[2:3], s[8:9], 3
	s_waitcnt lgkmcnt(0)
	s_add_u32 s10, s10, s2
	s_addc_u32 s11, s11, s3
	s_load_dwordx2 s[10:11], s[10:11], 0x0
	s_lshl_b32 s6, s6, 5
	s_lshl_b32 s7, s7, 5
	s_cmp_lt_i32 s21, 1
	s_cbranch_scc1 .LBB879_3
; %bb.1:
	s_load_dword s8, s[4:5], 0x20
	s_load_dwordx2 s[22:23], s[4:5], 0x30
	s_load_dword s24, s[4:5], 0x38
	s_add_u32 s0, s0, s2
	v_lshl_add_u32 v3, v1, 4, v0
	s_addc_u32 s1, s1, s3
	v_lshrrev_b32_e32 v8, 3, v3
	s_waitcnt lgkmcnt(0)
	s_add_u32 s2, s22, s2
	v_lshrrev_b32_e32 v2, 5, v3
	v_and_b32_e32 v4, 7, v0
	v_and_b32_e32 v9, 31, v3
	v_add_u32_e32 v3, s7, v8
	v_mov_b32_e32 v5, 0
	s_addc_u32 s3, s23, s3
	v_mad_i64_i32 v[6:7], s[22:23], s24, v3, v[4:5]
	v_mov_b32_e32 v3, v5
	v_lshlrev_b32_e32 v5, 4, v9
	v_lshl_or_b32 v22, v2, 9, v5
	v_add_u32_e32 v5, s6, v9
	v_mad_i64_i32 v[2:3], s[22:23], s8, v5, v[2:3]
	s_load_dwordx2 s[0:1], s[0:1], 0x0
	v_lshlrev_b32_e32 v4, 4, v4
	s_load_dwordx2 s[2:3], s[2:3], 0x0
	v_lshlrev_b64 v[2:3], 4, v[2:3]
	v_lshl_or_b32 v4, v8, 7, v4
	v_add_u32_e32 v23, 0x1000, v4
	s_waitcnt lgkmcnt(0)
	v_mov_b32_e32 v4, s1
	v_add_co_u32_e32 v2, vcc, s0, v2
	v_addc_co_u32_e32 v3, vcc, v4, v3, vcc
	v_lshlrev_b64 v[4:5], 4, v[6:7]
	v_mov_b32_e32 v6, s3
	v_add_co_u32_e32 v4, vcc, s2, v4
	v_mov_b32_e32 v25, 0x1000
	v_addc_co_u32_e32 v5, vcc, v6, v5, vcc
	v_mov_b32_e32 v10, 0
	v_mov_b32_e32 v8, 0
	;; [unrolled: 1-line block ×8, first 2 shown]
	v_lshlrev_b32_e32 v24, 4, v0
	v_mov_b32_e32 v11, 0
	v_mov_b32_e32 v9, 0
	;; [unrolled: 1-line block ×8, first 2 shown]
	v_lshl_add_u32 v25, v1, 7, v25
.LBB879_2:                              ; =>This Inner Loop Header: Depth=1
	flat_load_dwordx4 v[26:29], v[2:3]
	v_add_co_u32_e32 v2, vcc, 0x80, v2
	v_addc_co_u32_e32 v3, vcc, 0, v3, vcc
	s_add_i32 s9, s9, 8
	s_cmp_ge_i32 s9, s21
	s_waitcnt vmcnt(0) lgkmcnt(0)
	ds_write_b128 v22, v[26:29]
	flat_load_dwordx4 v[26:29], v[4:5]
	v_add_co_u32_e32 v4, vcc, 0x80, v4
	v_addc_co_u32_e32 v5, vcc, 0, v5, vcc
	s_waitcnt vmcnt(0) lgkmcnt(0)
	ds_write_b128 v23, v[26:29]
	s_waitcnt lgkmcnt(0)
	s_barrier
	ds_read_b128 v[26:29], v25
	ds_read_b128 v[30:33], v25 offset:16
	ds_read_b128 v[34:37], v25 offset:32
	ds_read_b128 v[38:41], v25 offset:48
	ds_read_b128 v[42:45], v24
	s_waitcnt lgkmcnt(0)
	v_mul_f64 v[46:47], v[28:29], v[44:45]
	v_mul_f64 v[48:49], v[26:27], v[44:45]
	v_fma_f64 v[46:47], v[26:27], v[42:43], -v[46:47]
	v_fma_f64 v[48:49], v[28:29], v[42:43], v[48:49]
	v_add_f64 v[46:47], v[18:19], v[46:47]
	v_add_f64 v[48:49], v[48:49], v[20:21]
	ds_read_b128 v[18:21], v24 offset:256
	s_waitcnt lgkmcnt(0)
	v_mul_f64 v[50:51], v[28:29], v[20:21]
	v_fma_f64 v[50:51], v[26:27], v[18:19], -v[50:51]
	v_mul_f64 v[26:27], v[26:27], v[20:21]
	v_add_f64 v[50:51], v[6:7], v[50:51]
	v_fma_f64 v[26:27], v[28:29], v[18:19], v[26:27]
	v_add_f64 v[52:53], v[26:27], v[12:13]
	ds_read_b128 v[26:29], v25 offset:2048
	s_waitcnt lgkmcnt(0)
	v_mul_f64 v[6:7], v[28:29], v[44:45]
	v_mul_f64 v[12:13], v[26:27], v[44:45]
	v_fma_f64 v[6:7], v[26:27], v[42:43], -v[6:7]
	v_fma_f64 v[12:13], v[28:29], v[42:43], v[12:13]
	v_add_f64 v[42:43], v[14:15], v[6:7]
	v_mul_f64 v[6:7], v[28:29], v[20:21]
	v_add_f64 v[44:45], v[12:13], v[16:17]
	v_mul_f64 v[12:13], v[26:27], v[20:21]
	v_fma_f64 v[6:7], v[26:27], v[18:19], -v[6:7]
	v_fma_f64 v[12:13], v[28:29], v[18:19], v[12:13]
	v_add_f64 v[18:19], v[8:9], v[6:7]
	ds_read_b128 v[6:9], v24 offset:512
	v_add_f64 v[20:21], v[12:13], v[10:11]
	s_waitcnt lgkmcnt(0)
	v_mul_f64 v[10:11], v[32:33], v[8:9]
	v_mul_f64 v[12:13], v[30:31], v[8:9]
	v_fma_f64 v[10:11], v[30:31], v[6:7], -v[10:11]
	v_fma_f64 v[12:13], v[32:33], v[6:7], v[12:13]
	v_add_f64 v[26:27], v[46:47], v[10:11]
	v_add_f64 v[28:29], v[12:13], v[48:49]
	ds_read_b128 v[10:13], v24 offset:768
	s_waitcnt lgkmcnt(0)
	v_mul_f64 v[14:15], v[32:33], v[12:13]
	v_mul_f64 v[16:17], v[30:31], v[12:13]
	v_fma_f64 v[14:15], v[30:31], v[10:11], -v[14:15]
	v_fma_f64 v[16:17], v[32:33], v[10:11], v[16:17]
	v_add_f64 v[30:31], v[50:51], v[14:15]
	v_add_f64 v[32:33], v[16:17], v[52:53]
	ds_read_b128 v[14:17], v25 offset:2064
	s_waitcnt lgkmcnt(0)
	v_mul_f64 v[46:47], v[16:17], v[8:9]
	v_mul_f64 v[8:9], v[14:15], v[8:9]
	v_fma_f64 v[46:47], v[14:15], v[6:7], -v[46:47]
	v_fma_f64 v[6:7], v[16:17], v[6:7], v[8:9]
	v_mul_f64 v[8:9], v[14:15], v[12:13]
	v_add_f64 v[42:43], v[42:43], v[46:47]
	v_add_f64 v[44:45], v[6:7], v[44:45]
	v_mul_f64 v[6:7], v[16:17], v[12:13]
	v_fma_f64 v[8:9], v[16:17], v[10:11], v[8:9]
	v_fma_f64 v[6:7], v[14:15], v[10:11], -v[6:7]
	v_add_f64 v[20:21], v[8:9], v[20:21]
	v_add_f64 v[18:19], v[18:19], v[6:7]
	ds_read_b128 v[6:9], v24 offset:1024
	s_waitcnt lgkmcnt(0)
	v_mul_f64 v[10:11], v[36:37], v[8:9]
	v_mul_f64 v[12:13], v[34:35], v[8:9]
	v_fma_f64 v[10:11], v[34:35], v[6:7], -v[10:11]
	v_fma_f64 v[12:13], v[36:37], v[6:7], v[12:13]
	v_add_f64 v[26:27], v[26:27], v[10:11]
	v_add_f64 v[28:29], v[12:13], v[28:29]
	ds_read_b128 v[10:13], v24 offset:1280
	s_waitcnt lgkmcnt(0)
	v_mul_f64 v[14:15], v[36:37], v[12:13]
	v_mul_f64 v[16:17], v[34:35], v[12:13]
	v_fma_f64 v[14:15], v[34:35], v[10:11], -v[14:15]
	v_fma_f64 v[16:17], v[36:37], v[10:11], v[16:17]
	v_add_f64 v[30:31], v[30:31], v[14:15]
	v_add_f64 v[32:33], v[16:17], v[32:33]
	ds_read_b128 v[14:17], v25 offset:2080
	s_waitcnt lgkmcnt(0)
	v_mul_f64 v[34:35], v[16:17], v[8:9]
	v_mul_f64 v[8:9], v[14:15], v[8:9]
	v_fma_f64 v[34:35], v[14:15], v[6:7], -v[34:35]
	v_fma_f64 v[6:7], v[16:17], v[6:7], v[8:9]
	v_mul_f64 v[8:9], v[14:15], v[12:13]
	v_add_f64 v[34:35], v[42:43], v[34:35]
	v_add_f64 v[36:37], v[6:7], v[44:45]
	v_mul_f64 v[6:7], v[16:17], v[12:13]
	v_fma_f64 v[8:9], v[16:17], v[10:11], v[8:9]
	v_fma_f64 v[6:7], v[14:15], v[10:11], -v[6:7]
	v_add_f64 v[20:21], v[8:9], v[20:21]
	v_add_f64 v[18:19], v[18:19], v[6:7]
	ds_read_b128 v[6:9], v24 offset:1536
	;; [unrolled: 30-line block ×3, first 2 shown]
	ds_read_b128 v[10:13], v24 offset:2048
	s_waitcnt lgkmcnt(0)
	v_mul_f64 v[14:15], v[8:9], v[12:13]
	v_mul_f64 v[16:17], v[6:7], v[12:13]
	v_fma_f64 v[14:15], v[6:7], v[10:11], -v[14:15]
	v_fma_f64 v[16:17], v[8:9], v[10:11], v[16:17]
	v_add_f64 v[26:27], v[26:27], v[14:15]
	v_add_f64 v[28:29], v[16:17], v[28:29]
	ds_read_b128 v[14:17], v24 offset:2304
	s_waitcnt lgkmcnt(0)
	v_mul_f64 v[38:39], v[8:9], v[16:17]
	v_fma_f64 v[38:39], v[6:7], v[14:15], -v[38:39]
	v_mul_f64 v[6:7], v[6:7], v[16:17]
	v_add_f64 v[30:31], v[30:31], v[38:39]
	v_fma_f64 v[6:7], v[8:9], v[14:15], v[6:7]
	v_add_f64 v[32:33], v[6:7], v[32:33]
	ds_read_b128 v[6:9], v25 offset:2112
	s_waitcnt lgkmcnt(0)
	v_mul_f64 v[38:39], v[8:9], v[12:13]
	v_mul_f64 v[12:13], v[6:7], v[12:13]
	v_fma_f64 v[38:39], v[6:7], v[10:11], -v[38:39]
	v_fma_f64 v[10:11], v[8:9], v[10:11], v[12:13]
	v_add_f64 v[34:35], v[34:35], v[38:39]
	v_add_f64 v[36:37], v[10:11], v[36:37]
	v_mul_f64 v[10:11], v[8:9], v[16:17]
	v_fma_f64 v[10:11], v[6:7], v[14:15], -v[10:11]
	v_mul_f64 v[6:7], v[6:7], v[16:17]
	v_add_f64 v[18:19], v[18:19], v[10:11]
	v_fma_f64 v[6:7], v[8:9], v[14:15], v[6:7]
	v_add_f64 v[20:21], v[6:7], v[20:21]
	ds_read_b128 v[6:9], v25 offset:80
	ds_read_b128 v[10:13], v24 offset:2560
	s_waitcnt lgkmcnt(0)
	v_mul_f64 v[14:15], v[8:9], v[12:13]
	v_mul_f64 v[16:17], v[6:7], v[12:13]
	v_fma_f64 v[14:15], v[6:7], v[10:11], -v[14:15]
	v_fma_f64 v[16:17], v[8:9], v[10:11], v[16:17]
	v_add_f64 v[26:27], v[26:27], v[14:15]
	v_add_f64 v[28:29], v[16:17], v[28:29]
	ds_read_b128 v[14:17], v24 offset:2816
	s_waitcnt lgkmcnt(0)
	v_mul_f64 v[38:39], v[8:9], v[16:17]
	v_fma_f64 v[38:39], v[6:7], v[14:15], -v[38:39]
	v_mul_f64 v[6:7], v[6:7], v[16:17]
	v_add_f64 v[30:31], v[30:31], v[38:39]
	v_fma_f64 v[6:7], v[8:9], v[14:15], v[6:7]
	v_add_f64 v[32:33], v[6:7], v[32:33]
	ds_read_b128 v[6:9], v25 offset:2128
	s_waitcnt lgkmcnt(0)
	v_mul_f64 v[38:39], v[8:9], v[12:13]
	v_mul_f64 v[12:13], v[6:7], v[12:13]
	v_fma_f64 v[38:39], v[6:7], v[10:11], -v[38:39]
	v_fma_f64 v[10:11], v[8:9], v[10:11], v[12:13]
	v_add_f64 v[34:35], v[34:35], v[38:39]
	v_add_f64 v[36:37], v[10:11], v[36:37]
	v_mul_f64 v[10:11], v[8:9], v[16:17]
	v_fma_f64 v[10:11], v[6:7], v[14:15], -v[10:11]
	v_mul_f64 v[6:7], v[6:7], v[16:17]
	v_add_f64 v[18:19], v[18:19], v[10:11]
	v_fma_f64 v[6:7], v[8:9], v[14:15], v[6:7]
	v_add_f64 v[20:21], v[6:7], v[20:21]
	ds_read_b128 v[6:9], v25 offset:96
	;; [unrolled: 31-line block ×3, first 2 shown]
	ds_read_b128 v[14:17], v24 offset:3584
	s_waitcnt lgkmcnt(0)
	v_mul_f64 v[10:11], v[8:9], v[16:17]
	v_mul_f64 v[12:13], v[6:7], v[16:17]
	v_fma_f64 v[10:11], v[6:7], v[14:15], -v[10:11]
	v_fma_f64 v[12:13], v[8:9], v[14:15], v[12:13]
	v_add_f64 v[18:19], v[26:27], v[10:11]
	v_add_f64 v[20:21], v[12:13], v[28:29]
	ds_read_b128 v[26:29], v24 offset:3840
	s_waitcnt lgkmcnt(0)
	v_mul_f64 v[10:11], v[8:9], v[28:29]
	v_fma_f64 v[10:11], v[6:7], v[26:27], -v[10:11]
	v_mul_f64 v[6:7], v[6:7], v[28:29]
	v_fma_f64 v[8:9], v[8:9], v[26:27], v[6:7]
	v_add_f64 v[6:7], v[30:31], v[10:11]
	v_add_f64 v[12:13], v[8:9], v[32:33]
	ds_read_b128 v[8:11], v25 offset:2160
	s_waitcnt lgkmcnt(0)
	s_barrier
	v_mul_f64 v[30:31], v[10:11], v[16:17]
	v_mul_f64 v[16:17], v[8:9], v[16:17]
	v_fma_f64 v[30:31], v[8:9], v[14:15], -v[30:31]
	v_fma_f64 v[16:17], v[10:11], v[14:15], v[16:17]
	v_add_f64 v[14:15], v[34:35], v[30:31]
	v_mul_f64 v[30:31], v[10:11], v[28:29]
	v_add_f64 v[16:17], v[16:17], v[36:37]
	v_fma_f64 v[30:31], v[8:9], v[26:27], -v[30:31]
	v_mul_f64 v[8:9], v[8:9], v[28:29]
	v_fma_f64 v[10:11], v[10:11], v[26:27], v[8:9]
	v_add_f64 v[8:9], v[38:39], v[30:31]
	v_add_f64 v[10:11], v[10:11], v[40:41]
	s_cbranch_scc0 .LBB879_2
	s_branch .LBB879_4
.LBB879_3:
	v_mov_b32_e32 v18, 0
	v_mov_b32_e32 v20, 0
	;; [unrolled: 1-line block ×16, first 2 shown]
.LBB879_4:
	s_load_dword s8, s[4:5], 0x60
	v_add_u32_e32 v4, s7, v1
	s_waitcnt lgkmcnt(0)
	v_mov_b32_e32 v3, s11
	v_add_u32_e32 v0, s6, v0
	v_mad_i64_i32 v[1:2], s[0:1], v4, s8, 0
	v_cmp_le_i32_e64 s[0:1], v4, v0
	v_lshlrev_b64 v[1:2], 4, v[1:2]
	v_add_co_u32_e32 v5, vcc, s10, v1
	v_addc_co_u32_e32 v22, vcc, v3, v2, vcc
	v_cmp_gt_i32_e32 vcc, s20, v0
	s_and_b64 s[0:1], s[0:1], vcc
	s_and_saveexec_b64 s[2:3], s[0:1]
	s_cbranch_execz .LBB879_6
; %bb.5:
	v_ashrrev_i32_e32 v1, 31, v0
	v_lshlrev_b64 v[1:2], 4, v[0:1]
	v_mul_f64 v[27:28], s[12:13], v[20:21]
	v_add_co_u32_e64 v1, s[0:1], v5, v1
	v_addc_co_u32_e64 v2, s[0:1], v22, v2, s[0:1]
	flat_load_dwordx4 v[23:26], v[1:2]
	v_mul_f64 v[20:21], s[14:15], v[20:21]
	v_cmp_ne_u32_e64 s[0:1], v4, v0
	v_fma_f64 v[27:28], s[14:15], v[18:19], v[27:28]
	v_fma_f64 v[18:19], s[12:13], v[18:19], -v[20:21]
	s_waitcnt vmcnt(0) lgkmcnt(0)
	v_mul_f64 v[29:30], s[16:17], v[25:26]
	v_mul_f64 v[25:26], s[18:19], v[25:26]
	v_fma_f64 v[29:30], s[18:19], v[23:24], v[29:30]
	v_fma_f64 v[20:21], s[16:17], v[23:24], -v[25:26]
	v_add_f64 v[23:24], v[27:28], v[29:30]
	v_add_f64 v[18:19], v[18:19], v[20:21]
	v_cndmask_b32_e64 v21, 0, v24, s[0:1]
	v_cndmask_b32_e64 v20, 0, v23, s[0:1]
	flat_store_dwordx4 v[1:2], v[18:21]
.LBB879_6:
	s_or_b64 exec, exec, s[2:3]
	v_add_u32_e32 v2, 16, v0
	v_cmp_le_i32_e64 s[2:3], v4, v2
	v_cmp_gt_i32_e64 s[0:1], s20, v2
	s_and_b64 s[2:3], s[2:3], s[0:1]
	s_and_saveexec_b64 s[4:5], s[2:3]
	s_cbranch_execz .LBB879_8
; %bb.7:
	v_ashrrev_i32_e32 v3, 31, v2
	v_lshlrev_b64 v[18:19], 4, v[2:3]
	v_mul_f64 v[25:26], s[12:13], v[12:13]
	v_add_co_u32_e64 v23, s[2:3], v5, v18
	v_addc_co_u32_e64 v24, s[2:3], v22, v19, s[2:3]
	flat_load_dwordx4 v[18:21], v[23:24]
	v_mul_f64 v[12:13], s[14:15], v[12:13]
	v_cmp_ne_u32_e64 s[2:3], v4, v2
	v_fma_f64 v[25:26], s[14:15], v[6:7], v[25:26]
	v_fma_f64 v[5:6], s[12:13], v[6:7], -v[12:13]
	s_waitcnt vmcnt(0) lgkmcnt(0)
	v_mul_f64 v[27:28], s[16:17], v[20:21]
	v_mul_f64 v[20:21], s[18:19], v[20:21]
	v_fma_f64 v[27:28], s[18:19], v[18:19], v[27:28]
	v_fma_f64 v[12:13], s[16:17], v[18:19], -v[20:21]
	v_add_f64 v[20:21], v[25:26], v[27:28]
	v_add_f64 v[18:19], v[5:6], v[12:13]
	v_cndmask_b32_e64 v21, 0, v21, s[2:3]
	v_cndmask_b32_e64 v20, 0, v20, s[2:3]
	flat_store_dwordx4 v[23:24], v[18:21]
.LBB879_8:
	s_or_b64 exec, exec, s[4:5]
	v_add_u32_e32 v3, 16, v4
	v_mad_i64_i32 v[5:6], s[2:3], v3, s8, 0
	v_mov_b32_e32 v1, s11
	v_lshlrev_b64 v[5:6], 4, v[5:6]
	v_add_co_u32_e64 v5, s[2:3], s10, v5
	v_addc_co_u32_e64 v6, s[2:3], v1, v6, s[2:3]
	v_cmp_le_i32_e64 s[2:3], v3, v0
	s_and_b64 s[4:5], s[2:3], vcc
	s_and_saveexec_b64 s[2:3], s[4:5]
	s_cbranch_execz .LBB879_10
; %bb.9:
	v_ashrrev_i32_e32 v1, 31, v0
	v_lshlrev_b64 v[12:13], 4, v[0:1]
	v_add_co_u32_e32 v22, vcc, v5, v12
	v_addc_co_u32_e32 v23, vcc, v6, v13, vcc
	flat_load_dwordx4 v[18:21], v[22:23]
	v_mul_f64 v[12:13], s[12:13], v[16:17]
	v_mul_f64 v[16:17], s[14:15], v[16:17]
	v_cmp_ne_u32_e32 vcc, v3, v0
	v_fma_f64 v[12:13], s[14:15], v[14:15], v[12:13]
	v_fma_f64 v[14:15], s[12:13], v[14:15], -v[16:17]
	s_waitcnt vmcnt(0) lgkmcnt(0)
	v_mul_f64 v[24:25], s[16:17], v[20:21]
	v_mul_f64 v[20:21], s[18:19], v[20:21]
	v_fma_f64 v[24:25], s[18:19], v[18:19], v[24:25]
	v_fma_f64 v[16:17], s[16:17], v[18:19], -v[20:21]
	v_add_f64 v[18:19], v[12:13], v[24:25]
	v_add_f64 v[12:13], v[14:15], v[16:17]
	v_cndmask_b32_e32 v15, 0, v19, vcc
	v_cndmask_b32_e32 v14, 0, v18, vcc
	flat_store_dwordx4 v[22:23], v[12:15]
.LBB879_10:
	s_or_b64 exec, exec, s[2:3]
	v_cmp_le_i32_e32 vcc, v3, v2
	s_and_b64 s[0:1], vcc, s[0:1]
	s_and_saveexec_b64 s[2:3], s[0:1]
	s_cbranch_execz .LBB879_12
; %bb.11:
	v_ashrrev_i32_e32 v3, 31, v2
	v_lshlrev_b64 v[1:2], 4, v[2:3]
	v_add_co_u32_e32 v5, vcc, v5, v1
	v_addc_co_u32_e32 v6, vcc, v6, v2, vcc
	flat_load_dwordx4 v[12:15], v[5:6]
	v_mul_f64 v[1:2], s[12:13], v[10:11]
	v_mul_f64 v[10:11], s[14:15], v[10:11]
	v_cmp_ne_u32_e32 vcc, v4, v0
	v_fma_f64 v[1:2], s[14:15], v[8:9], v[1:2]
	v_fma_f64 v[7:8], s[12:13], v[8:9], -v[10:11]
	s_waitcnt vmcnt(0) lgkmcnt(0)
	v_mul_f64 v[16:17], s[16:17], v[14:15]
	v_mul_f64 v[14:15], s[18:19], v[14:15]
	v_fma_f64 v[16:17], s[18:19], v[12:13], v[16:17]
	v_fma_f64 v[9:10], s[16:17], v[12:13], -v[14:15]
	v_add_f64 v[11:12], v[1:2], v[16:17]
	v_add_f64 v[1:2], v[7:8], v[9:10]
	v_cndmask_b32_e32 v4, 0, v12, vcc
	v_cndmask_b32_e32 v3, 0, v11, vcc
	flat_store_dwordx4 v[5:6], v[1:4]
.LBB879_12:
	s_endpgm
	.section	.rodata,"a",@progbits
	.p2align	6, 0x0
	.amdhsa_kernel _ZL37rocblas_syrkx_herkx_restricted_kernelIi19rocblas_complex_numIdELi16ELi32ELi8ELb0ELb1ELc84ELc76EKPKS1_KPS1_EviT_T0_PT8_S7_lSA_S7_lS8_PT9_S7_li
		.amdhsa_group_segment_fixed_size 8192
		.amdhsa_private_segment_fixed_size 0
		.amdhsa_kernarg_size 116
		.amdhsa_user_sgpr_count 6
		.amdhsa_user_sgpr_private_segment_buffer 1
		.amdhsa_user_sgpr_dispatch_ptr 0
		.amdhsa_user_sgpr_queue_ptr 0
		.amdhsa_user_sgpr_kernarg_segment_ptr 1
		.amdhsa_user_sgpr_dispatch_id 0
		.amdhsa_user_sgpr_flat_scratch_init 0
		.amdhsa_user_sgpr_private_segment_size 0
		.amdhsa_uses_dynamic_stack 0
		.amdhsa_system_sgpr_private_segment_wavefront_offset 0
		.amdhsa_system_sgpr_workgroup_id_x 1
		.amdhsa_system_sgpr_workgroup_id_y 1
		.amdhsa_system_sgpr_workgroup_id_z 1
		.amdhsa_system_sgpr_workgroup_info 0
		.amdhsa_system_vgpr_workitem_id 1
		.amdhsa_next_free_vgpr 54
		.amdhsa_next_free_sgpr 61
		.amdhsa_reserve_vcc 1
		.amdhsa_reserve_flat_scratch 0
		.amdhsa_float_round_mode_32 0
		.amdhsa_float_round_mode_16_64 0
		.amdhsa_float_denorm_mode_32 3
		.amdhsa_float_denorm_mode_16_64 3
		.amdhsa_dx10_clamp 1
		.amdhsa_ieee_mode 1
		.amdhsa_fp16_overflow 0
		.amdhsa_exception_fp_ieee_invalid_op 0
		.amdhsa_exception_fp_denorm_src 0
		.amdhsa_exception_fp_ieee_div_zero 0
		.amdhsa_exception_fp_ieee_overflow 0
		.amdhsa_exception_fp_ieee_underflow 0
		.amdhsa_exception_fp_ieee_inexact 0
		.amdhsa_exception_int_div_zero 0
	.end_amdhsa_kernel
	.section	.text._ZL37rocblas_syrkx_herkx_restricted_kernelIi19rocblas_complex_numIdELi16ELi32ELi8ELb0ELb1ELc84ELc76EKPKS1_KPS1_EviT_T0_PT8_S7_lSA_S7_lS8_PT9_S7_li,"axG",@progbits,_ZL37rocblas_syrkx_herkx_restricted_kernelIi19rocblas_complex_numIdELi16ELi32ELi8ELb0ELb1ELc84ELc76EKPKS1_KPS1_EviT_T0_PT8_S7_lSA_S7_lS8_PT9_S7_li,comdat
.Lfunc_end879:
	.size	_ZL37rocblas_syrkx_herkx_restricted_kernelIi19rocblas_complex_numIdELi16ELi32ELi8ELb0ELb1ELc84ELc76EKPKS1_KPS1_EviT_T0_PT8_S7_lSA_S7_lS8_PT9_S7_li, .Lfunc_end879-_ZL37rocblas_syrkx_herkx_restricted_kernelIi19rocblas_complex_numIdELi16ELi32ELi8ELb0ELb1ELc84ELc76EKPKS1_KPS1_EviT_T0_PT8_S7_lSA_S7_lS8_PT9_S7_li
                                        ; -- End function
	.set _ZL37rocblas_syrkx_herkx_restricted_kernelIi19rocblas_complex_numIdELi16ELi32ELi8ELb0ELb1ELc84ELc76EKPKS1_KPS1_EviT_T0_PT8_S7_lSA_S7_lS8_PT9_S7_li.num_vgpr, 54
	.set _ZL37rocblas_syrkx_herkx_restricted_kernelIi19rocblas_complex_numIdELi16ELi32ELi8ELb0ELb1ELc84ELc76EKPKS1_KPS1_EviT_T0_PT8_S7_lSA_S7_lS8_PT9_S7_li.num_agpr, 0
	.set _ZL37rocblas_syrkx_herkx_restricted_kernelIi19rocblas_complex_numIdELi16ELi32ELi8ELb0ELb1ELc84ELc76EKPKS1_KPS1_EviT_T0_PT8_S7_lSA_S7_lS8_PT9_S7_li.numbered_sgpr, 25
	.set _ZL37rocblas_syrkx_herkx_restricted_kernelIi19rocblas_complex_numIdELi16ELi32ELi8ELb0ELb1ELc84ELc76EKPKS1_KPS1_EviT_T0_PT8_S7_lSA_S7_lS8_PT9_S7_li.num_named_barrier, 0
	.set _ZL37rocblas_syrkx_herkx_restricted_kernelIi19rocblas_complex_numIdELi16ELi32ELi8ELb0ELb1ELc84ELc76EKPKS1_KPS1_EviT_T0_PT8_S7_lSA_S7_lS8_PT9_S7_li.private_seg_size, 0
	.set _ZL37rocblas_syrkx_herkx_restricted_kernelIi19rocblas_complex_numIdELi16ELi32ELi8ELb0ELb1ELc84ELc76EKPKS1_KPS1_EviT_T0_PT8_S7_lSA_S7_lS8_PT9_S7_li.uses_vcc, 1
	.set _ZL37rocblas_syrkx_herkx_restricted_kernelIi19rocblas_complex_numIdELi16ELi32ELi8ELb0ELb1ELc84ELc76EKPKS1_KPS1_EviT_T0_PT8_S7_lSA_S7_lS8_PT9_S7_li.uses_flat_scratch, 0
	.set _ZL37rocblas_syrkx_herkx_restricted_kernelIi19rocblas_complex_numIdELi16ELi32ELi8ELb0ELb1ELc84ELc76EKPKS1_KPS1_EviT_T0_PT8_S7_lSA_S7_lS8_PT9_S7_li.has_dyn_sized_stack, 0
	.set _ZL37rocblas_syrkx_herkx_restricted_kernelIi19rocblas_complex_numIdELi16ELi32ELi8ELb0ELb1ELc84ELc76EKPKS1_KPS1_EviT_T0_PT8_S7_lSA_S7_lS8_PT9_S7_li.has_recursion, 0
	.set _ZL37rocblas_syrkx_herkx_restricted_kernelIi19rocblas_complex_numIdELi16ELi32ELi8ELb0ELb1ELc84ELc76EKPKS1_KPS1_EviT_T0_PT8_S7_lSA_S7_lS8_PT9_S7_li.has_indirect_call, 0
	.section	.AMDGPU.csdata,"",@progbits
; Kernel info:
; codeLenInByte = 3168
; TotalNumSgprs: 29
; NumVgprs: 54
; ScratchSize: 0
; MemoryBound: 0
; FloatMode: 240
; IeeeMode: 1
; LDSByteSize: 8192 bytes/workgroup (compile time only)
; SGPRBlocks: 8
; VGPRBlocks: 13
; NumSGPRsForWavesPerEU: 65
; NumVGPRsForWavesPerEU: 54
; Occupancy: 4
; WaveLimiterHint : 1
; COMPUTE_PGM_RSRC2:SCRATCH_EN: 0
; COMPUTE_PGM_RSRC2:USER_SGPR: 6
; COMPUTE_PGM_RSRC2:TRAP_HANDLER: 0
; COMPUTE_PGM_RSRC2:TGID_X_EN: 1
; COMPUTE_PGM_RSRC2:TGID_Y_EN: 1
; COMPUTE_PGM_RSRC2:TGID_Z_EN: 1
; COMPUTE_PGM_RSRC2:TIDIG_COMP_CNT: 1
	.section	.text._ZL37rocblas_syrkx_herkx_restricted_kernelIi19rocblas_complex_numIdELi16ELi32ELi8ELb0ELb1ELc67ELc76EKPKS1_KPS1_EviT_T0_PT8_S7_lSA_S7_lS8_PT9_S7_li,"axG",@progbits,_ZL37rocblas_syrkx_herkx_restricted_kernelIi19rocblas_complex_numIdELi16ELi32ELi8ELb0ELb1ELc67ELc76EKPKS1_KPS1_EviT_T0_PT8_S7_lSA_S7_lS8_PT9_S7_li,comdat
	.globl	_ZL37rocblas_syrkx_herkx_restricted_kernelIi19rocblas_complex_numIdELi16ELi32ELi8ELb0ELb1ELc67ELc76EKPKS1_KPS1_EviT_T0_PT8_S7_lSA_S7_lS8_PT9_S7_li ; -- Begin function _ZL37rocblas_syrkx_herkx_restricted_kernelIi19rocblas_complex_numIdELi16ELi32ELi8ELb0ELb1ELc67ELc76EKPKS1_KPS1_EviT_T0_PT8_S7_lSA_S7_lS8_PT9_S7_li
	.p2align	8
	.type	_ZL37rocblas_syrkx_herkx_restricted_kernelIi19rocblas_complex_numIdELi16ELi32ELi8ELb0ELb1ELc67ELc76EKPKS1_KPS1_EviT_T0_PT8_S7_lSA_S7_lS8_PT9_S7_li,@function
_ZL37rocblas_syrkx_herkx_restricted_kernelIi19rocblas_complex_numIdELi16ELi32ELi8ELb0ELb1ELc67ELc76EKPKS1_KPS1_EviT_T0_PT8_S7_lSA_S7_lS8_PT9_S7_li: ; @_ZL37rocblas_syrkx_herkx_restricted_kernelIi19rocblas_complex_numIdELi16ELi32ELi8ELb0ELb1ELc67ELc76EKPKS1_KPS1_EviT_T0_PT8_S7_lSA_S7_lS8_PT9_S7_li
; %bb.0:
	s_load_dwordx2 s[20:21], s[4:5], 0x0
	s_load_dwordx4 s[12:15], s[4:5], 0x8
	s_load_dwordx2 s[10:11], s[4:5], 0x58
	s_load_dwordx2 s[0:1], s[4:5], 0x18
	s_load_dwordx4 s[16:19], s[4:5], 0x48
	s_mov_b32 s9, 0
	s_lshl_b64 s[2:3], s[8:9], 3
	s_waitcnt lgkmcnt(0)
	s_add_u32 s10, s10, s2
	s_addc_u32 s11, s11, s3
	s_load_dwordx2 s[10:11], s[10:11], 0x0
	s_lshl_b32 s6, s6, 5
	s_lshl_b32 s7, s7, 5
	s_cmp_lt_i32 s21, 1
	s_cbranch_scc1 .LBB880_3
; %bb.1:
	s_load_dword s8, s[4:5], 0x20
	s_load_dwordx2 s[22:23], s[4:5], 0x30
	s_load_dword s24, s[4:5], 0x38
	s_add_u32 s0, s0, s2
	v_lshl_add_u32 v3, v1, 4, v0
	s_addc_u32 s1, s1, s3
	v_lshrrev_b32_e32 v8, 3, v3
	s_waitcnt lgkmcnt(0)
	s_add_u32 s2, s22, s2
	v_lshrrev_b32_e32 v2, 5, v3
	v_and_b32_e32 v4, 7, v0
	v_and_b32_e32 v9, 31, v3
	v_add_u32_e32 v3, s7, v8
	v_mov_b32_e32 v5, 0
	s_addc_u32 s3, s23, s3
	v_mad_i64_i32 v[6:7], s[22:23], s24, v3, v[4:5]
	v_mov_b32_e32 v3, v5
	v_lshlrev_b32_e32 v5, 4, v9
	v_lshl_or_b32 v22, v2, 9, v5
	v_add_u32_e32 v5, s6, v9
	v_mad_i64_i32 v[2:3], s[22:23], s8, v5, v[2:3]
	s_load_dwordx2 s[0:1], s[0:1], 0x0
	v_lshlrev_b32_e32 v4, 4, v4
	s_load_dwordx2 s[2:3], s[2:3], 0x0
	v_lshlrev_b64 v[2:3], 4, v[2:3]
	v_lshl_or_b32 v4, v8, 7, v4
	v_add_u32_e32 v23, 0x1000, v4
	s_waitcnt lgkmcnt(0)
	v_mov_b32_e32 v4, s1
	v_add_co_u32_e32 v2, vcc, s0, v2
	v_addc_co_u32_e32 v3, vcc, v4, v3, vcc
	v_lshlrev_b64 v[4:5], 4, v[6:7]
	v_mov_b32_e32 v6, s3
	v_add_co_u32_e32 v4, vcc, s2, v4
	v_mov_b32_e32 v25, 0x1000
	v_addc_co_u32_e32 v5, vcc, v6, v5, vcc
	v_mov_b32_e32 v10, 0
	v_mov_b32_e32 v8, 0
	;; [unrolled: 1-line block ×8, first 2 shown]
	v_lshlrev_b32_e32 v24, 4, v0
	v_mov_b32_e32 v11, 0
	v_mov_b32_e32 v9, 0
	;; [unrolled: 1-line block ×8, first 2 shown]
	v_lshl_add_u32 v25, v1, 7, v25
.LBB880_2:                              ; =>This Inner Loop Header: Depth=1
	flat_load_dwordx4 v[26:29], v[2:3]
	v_add_co_u32_e32 v2, vcc, 0x80, v2
	v_addc_co_u32_e32 v3, vcc, 0, v3, vcc
	s_add_i32 s9, s9, 8
	s_cmp_ge_i32 s9, s21
	s_waitcnt vmcnt(0) lgkmcnt(0)
	v_xor_b32_e32 v29, 0x80000000, v29
	ds_write_b128 v22, v[26:29]
	flat_load_dwordx4 v[26:29], v[4:5]
	v_add_co_u32_e32 v4, vcc, 0x80, v4
	v_addc_co_u32_e32 v5, vcc, 0, v5, vcc
	s_waitcnt vmcnt(0) lgkmcnt(0)
	ds_write_b128 v23, v[26:29]
	s_waitcnt lgkmcnt(0)
	s_barrier
	ds_read_b128 v[26:29], v25
	ds_read_b128 v[30:33], v25 offset:16
	ds_read_b128 v[34:37], v25 offset:32
	;; [unrolled: 1-line block ×3, first 2 shown]
	ds_read_b128 v[42:45], v24
	s_waitcnt lgkmcnt(0)
	v_mul_f64 v[46:47], v[28:29], v[44:45]
	v_mul_f64 v[48:49], v[26:27], v[44:45]
	v_fma_f64 v[46:47], v[26:27], v[42:43], -v[46:47]
	v_fma_f64 v[48:49], v[28:29], v[42:43], v[48:49]
	v_add_f64 v[46:47], v[18:19], v[46:47]
	v_add_f64 v[48:49], v[48:49], v[20:21]
	ds_read_b128 v[18:21], v24 offset:256
	s_waitcnt lgkmcnt(0)
	v_mul_f64 v[50:51], v[28:29], v[20:21]
	v_fma_f64 v[50:51], v[26:27], v[18:19], -v[50:51]
	v_mul_f64 v[26:27], v[26:27], v[20:21]
	v_add_f64 v[50:51], v[6:7], v[50:51]
	v_fma_f64 v[26:27], v[28:29], v[18:19], v[26:27]
	v_add_f64 v[52:53], v[26:27], v[12:13]
	ds_read_b128 v[26:29], v25 offset:2048
	s_waitcnt lgkmcnt(0)
	v_mul_f64 v[6:7], v[28:29], v[44:45]
	v_mul_f64 v[12:13], v[26:27], v[44:45]
	v_fma_f64 v[6:7], v[26:27], v[42:43], -v[6:7]
	v_fma_f64 v[12:13], v[28:29], v[42:43], v[12:13]
	v_add_f64 v[42:43], v[14:15], v[6:7]
	v_mul_f64 v[6:7], v[28:29], v[20:21]
	v_add_f64 v[44:45], v[12:13], v[16:17]
	v_mul_f64 v[12:13], v[26:27], v[20:21]
	v_fma_f64 v[6:7], v[26:27], v[18:19], -v[6:7]
	v_fma_f64 v[12:13], v[28:29], v[18:19], v[12:13]
	v_add_f64 v[18:19], v[8:9], v[6:7]
	ds_read_b128 v[6:9], v24 offset:512
	v_add_f64 v[20:21], v[12:13], v[10:11]
	s_waitcnt lgkmcnt(0)
	v_mul_f64 v[10:11], v[32:33], v[8:9]
	v_mul_f64 v[12:13], v[30:31], v[8:9]
	v_fma_f64 v[10:11], v[30:31], v[6:7], -v[10:11]
	v_fma_f64 v[12:13], v[32:33], v[6:7], v[12:13]
	v_add_f64 v[26:27], v[46:47], v[10:11]
	v_add_f64 v[28:29], v[12:13], v[48:49]
	ds_read_b128 v[10:13], v24 offset:768
	s_waitcnt lgkmcnt(0)
	v_mul_f64 v[14:15], v[32:33], v[12:13]
	v_mul_f64 v[16:17], v[30:31], v[12:13]
	v_fma_f64 v[14:15], v[30:31], v[10:11], -v[14:15]
	v_fma_f64 v[16:17], v[32:33], v[10:11], v[16:17]
	v_add_f64 v[30:31], v[50:51], v[14:15]
	v_add_f64 v[32:33], v[16:17], v[52:53]
	ds_read_b128 v[14:17], v25 offset:2064
	s_waitcnt lgkmcnt(0)
	v_mul_f64 v[46:47], v[16:17], v[8:9]
	v_mul_f64 v[8:9], v[14:15], v[8:9]
	v_fma_f64 v[46:47], v[14:15], v[6:7], -v[46:47]
	v_fma_f64 v[6:7], v[16:17], v[6:7], v[8:9]
	v_mul_f64 v[8:9], v[14:15], v[12:13]
	v_add_f64 v[42:43], v[42:43], v[46:47]
	v_add_f64 v[44:45], v[6:7], v[44:45]
	v_mul_f64 v[6:7], v[16:17], v[12:13]
	v_fma_f64 v[8:9], v[16:17], v[10:11], v[8:9]
	v_fma_f64 v[6:7], v[14:15], v[10:11], -v[6:7]
	v_add_f64 v[20:21], v[8:9], v[20:21]
	v_add_f64 v[18:19], v[18:19], v[6:7]
	ds_read_b128 v[6:9], v24 offset:1024
	s_waitcnt lgkmcnt(0)
	v_mul_f64 v[10:11], v[36:37], v[8:9]
	v_mul_f64 v[12:13], v[34:35], v[8:9]
	v_fma_f64 v[10:11], v[34:35], v[6:7], -v[10:11]
	v_fma_f64 v[12:13], v[36:37], v[6:7], v[12:13]
	v_add_f64 v[26:27], v[26:27], v[10:11]
	v_add_f64 v[28:29], v[12:13], v[28:29]
	ds_read_b128 v[10:13], v24 offset:1280
	s_waitcnt lgkmcnt(0)
	v_mul_f64 v[14:15], v[36:37], v[12:13]
	v_mul_f64 v[16:17], v[34:35], v[12:13]
	v_fma_f64 v[14:15], v[34:35], v[10:11], -v[14:15]
	v_fma_f64 v[16:17], v[36:37], v[10:11], v[16:17]
	v_add_f64 v[30:31], v[30:31], v[14:15]
	v_add_f64 v[32:33], v[16:17], v[32:33]
	ds_read_b128 v[14:17], v25 offset:2080
	s_waitcnt lgkmcnt(0)
	v_mul_f64 v[34:35], v[16:17], v[8:9]
	v_mul_f64 v[8:9], v[14:15], v[8:9]
	v_fma_f64 v[34:35], v[14:15], v[6:7], -v[34:35]
	v_fma_f64 v[6:7], v[16:17], v[6:7], v[8:9]
	v_mul_f64 v[8:9], v[14:15], v[12:13]
	v_add_f64 v[34:35], v[42:43], v[34:35]
	v_add_f64 v[36:37], v[6:7], v[44:45]
	v_mul_f64 v[6:7], v[16:17], v[12:13]
	v_fma_f64 v[8:9], v[16:17], v[10:11], v[8:9]
	v_fma_f64 v[6:7], v[14:15], v[10:11], -v[6:7]
	v_add_f64 v[20:21], v[8:9], v[20:21]
	v_add_f64 v[18:19], v[18:19], v[6:7]
	ds_read_b128 v[6:9], v24 offset:1536
	;; [unrolled: 30-line block ×3, first 2 shown]
	ds_read_b128 v[10:13], v24 offset:2048
	s_waitcnt lgkmcnt(0)
	v_mul_f64 v[14:15], v[8:9], v[12:13]
	v_mul_f64 v[16:17], v[6:7], v[12:13]
	v_fma_f64 v[14:15], v[6:7], v[10:11], -v[14:15]
	v_fma_f64 v[16:17], v[8:9], v[10:11], v[16:17]
	v_add_f64 v[26:27], v[26:27], v[14:15]
	v_add_f64 v[28:29], v[16:17], v[28:29]
	ds_read_b128 v[14:17], v24 offset:2304
	s_waitcnt lgkmcnt(0)
	v_mul_f64 v[38:39], v[8:9], v[16:17]
	v_fma_f64 v[38:39], v[6:7], v[14:15], -v[38:39]
	v_mul_f64 v[6:7], v[6:7], v[16:17]
	v_add_f64 v[30:31], v[30:31], v[38:39]
	v_fma_f64 v[6:7], v[8:9], v[14:15], v[6:7]
	v_add_f64 v[32:33], v[6:7], v[32:33]
	ds_read_b128 v[6:9], v25 offset:2112
	s_waitcnt lgkmcnt(0)
	v_mul_f64 v[38:39], v[8:9], v[12:13]
	v_mul_f64 v[12:13], v[6:7], v[12:13]
	v_fma_f64 v[38:39], v[6:7], v[10:11], -v[38:39]
	v_fma_f64 v[10:11], v[8:9], v[10:11], v[12:13]
	v_add_f64 v[34:35], v[34:35], v[38:39]
	v_add_f64 v[36:37], v[10:11], v[36:37]
	v_mul_f64 v[10:11], v[8:9], v[16:17]
	v_fma_f64 v[10:11], v[6:7], v[14:15], -v[10:11]
	v_mul_f64 v[6:7], v[6:7], v[16:17]
	v_add_f64 v[18:19], v[18:19], v[10:11]
	v_fma_f64 v[6:7], v[8:9], v[14:15], v[6:7]
	v_add_f64 v[20:21], v[6:7], v[20:21]
	ds_read_b128 v[6:9], v25 offset:80
	ds_read_b128 v[10:13], v24 offset:2560
	s_waitcnt lgkmcnt(0)
	v_mul_f64 v[14:15], v[8:9], v[12:13]
	v_mul_f64 v[16:17], v[6:7], v[12:13]
	v_fma_f64 v[14:15], v[6:7], v[10:11], -v[14:15]
	v_fma_f64 v[16:17], v[8:9], v[10:11], v[16:17]
	v_add_f64 v[26:27], v[26:27], v[14:15]
	v_add_f64 v[28:29], v[16:17], v[28:29]
	ds_read_b128 v[14:17], v24 offset:2816
	s_waitcnt lgkmcnt(0)
	v_mul_f64 v[38:39], v[8:9], v[16:17]
	v_fma_f64 v[38:39], v[6:7], v[14:15], -v[38:39]
	v_mul_f64 v[6:7], v[6:7], v[16:17]
	v_add_f64 v[30:31], v[30:31], v[38:39]
	v_fma_f64 v[6:7], v[8:9], v[14:15], v[6:7]
	v_add_f64 v[32:33], v[6:7], v[32:33]
	ds_read_b128 v[6:9], v25 offset:2128
	s_waitcnt lgkmcnt(0)
	v_mul_f64 v[38:39], v[8:9], v[12:13]
	v_mul_f64 v[12:13], v[6:7], v[12:13]
	v_fma_f64 v[38:39], v[6:7], v[10:11], -v[38:39]
	v_fma_f64 v[10:11], v[8:9], v[10:11], v[12:13]
	v_add_f64 v[34:35], v[34:35], v[38:39]
	v_add_f64 v[36:37], v[10:11], v[36:37]
	v_mul_f64 v[10:11], v[8:9], v[16:17]
	v_fma_f64 v[10:11], v[6:7], v[14:15], -v[10:11]
	v_mul_f64 v[6:7], v[6:7], v[16:17]
	v_add_f64 v[18:19], v[18:19], v[10:11]
	v_fma_f64 v[6:7], v[8:9], v[14:15], v[6:7]
	v_add_f64 v[20:21], v[6:7], v[20:21]
	ds_read_b128 v[6:9], v25 offset:96
	;; [unrolled: 31-line block ×3, first 2 shown]
	ds_read_b128 v[14:17], v24 offset:3584
	s_waitcnt lgkmcnt(0)
	v_mul_f64 v[10:11], v[8:9], v[16:17]
	v_mul_f64 v[12:13], v[6:7], v[16:17]
	v_fma_f64 v[10:11], v[6:7], v[14:15], -v[10:11]
	v_fma_f64 v[12:13], v[8:9], v[14:15], v[12:13]
	v_add_f64 v[18:19], v[26:27], v[10:11]
	v_add_f64 v[20:21], v[12:13], v[28:29]
	ds_read_b128 v[26:29], v24 offset:3840
	s_waitcnt lgkmcnt(0)
	v_mul_f64 v[10:11], v[8:9], v[28:29]
	v_fma_f64 v[10:11], v[6:7], v[26:27], -v[10:11]
	v_mul_f64 v[6:7], v[6:7], v[28:29]
	v_fma_f64 v[8:9], v[8:9], v[26:27], v[6:7]
	v_add_f64 v[6:7], v[30:31], v[10:11]
	v_add_f64 v[12:13], v[8:9], v[32:33]
	ds_read_b128 v[8:11], v25 offset:2160
	s_waitcnt lgkmcnt(0)
	s_barrier
	v_mul_f64 v[30:31], v[10:11], v[16:17]
	v_mul_f64 v[16:17], v[8:9], v[16:17]
	v_fma_f64 v[30:31], v[8:9], v[14:15], -v[30:31]
	v_fma_f64 v[16:17], v[10:11], v[14:15], v[16:17]
	v_add_f64 v[14:15], v[34:35], v[30:31]
	v_mul_f64 v[30:31], v[10:11], v[28:29]
	v_add_f64 v[16:17], v[16:17], v[36:37]
	v_fma_f64 v[30:31], v[8:9], v[26:27], -v[30:31]
	v_mul_f64 v[8:9], v[8:9], v[28:29]
	v_fma_f64 v[10:11], v[10:11], v[26:27], v[8:9]
	v_add_f64 v[8:9], v[38:39], v[30:31]
	v_add_f64 v[10:11], v[10:11], v[40:41]
	s_cbranch_scc0 .LBB880_2
	s_branch .LBB880_4
.LBB880_3:
	v_mov_b32_e32 v18, 0
	v_mov_b32_e32 v20, 0
	v_mov_b32_e32 v6, 0
	v_mov_b32_e32 v12, 0
	v_mov_b32_e32 v14, 0
	v_mov_b32_e32 v16, 0
	v_mov_b32_e32 v8, 0
	v_mov_b32_e32 v10, 0
	v_mov_b32_e32 v19, 0
	v_mov_b32_e32 v21, 0
	v_mov_b32_e32 v7, 0
	v_mov_b32_e32 v13, 0
	v_mov_b32_e32 v15, 0
	v_mov_b32_e32 v17, 0
	v_mov_b32_e32 v9, 0
	v_mov_b32_e32 v11, 0
.LBB880_4:
	s_load_dword s8, s[4:5], 0x60
	v_add_u32_e32 v4, s7, v1
	s_waitcnt lgkmcnt(0)
	v_mov_b32_e32 v3, s11
	v_add_u32_e32 v0, s6, v0
	v_mad_i64_i32 v[1:2], s[0:1], v4, s8, 0
	v_cmp_le_i32_e64 s[0:1], v4, v0
	v_lshlrev_b64 v[1:2], 4, v[1:2]
	v_add_co_u32_e32 v5, vcc, s10, v1
	v_addc_co_u32_e32 v22, vcc, v3, v2, vcc
	v_cmp_gt_i32_e32 vcc, s20, v0
	s_and_b64 s[0:1], s[0:1], vcc
	s_and_saveexec_b64 s[2:3], s[0:1]
	s_cbranch_execz .LBB880_6
; %bb.5:
	v_ashrrev_i32_e32 v1, 31, v0
	v_lshlrev_b64 v[1:2], 4, v[0:1]
	v_mul_f64 v[27:28], s[12:13], v[20:21]
	v_add_co_u32_e64 v1, s[0:1], v5, v1
	v_addc_co_u32_e64 v2, s[0:1], v22, v2, s[0:1]
	flat_load_dwordx4 v[23:26], v[1:2]
	v_mul_f64 v[20:21], s[14:15], v[20:21]
	v_cmp_ne_u32_e64 s[0:1], v4, v0
	v_fma_f64 v[27:28], s[14:15], v[18:19], v[27:28]
	v_fma_f64 v[18:19], s[12:13], v[18:19], -v[20:21]
	s_waitcnt vmcnt(0) lgkmcnt(0)
	v_mul_f64 v[29:30], s[16:17], v[25:26]
	v_mul_f64 v[25:26], s[18:19], v[25:26]
	v_fma_f64 v[29:30], s[18:19], v[23:24], v[29:30]
	v_fma_f64 v[20:21], s[16:17], v[23:24], -v[25:26]
	v_add_f64 v[23:24], v[27:28], v[29:30]
	v_add_f64 v[18:19], v[18:19], v[20:21]
	v_cndmask_b32_e64 v21, 0, v24, s[0:1]
	v_cndmask_b32_e64 v20, 0, v23, s[0:1]
	flat_store_dwordx4 v[1:2], v[18:21]
.LBB880_6:
	s_or_b64 exec, exec, s[2:3]
	v_add_u32_e32 v2, 16, v0
	v_cmp_le_i32_e64 s[2:3], v4, v2
	v_cmp_gt_i32_e64 s[0:1], s20, v2
	s_and_b64 s[2:3], s[2:3], s[0:1]
	s_and_saveexec_b64 s[4:5], s[2:3]
	s_cbranch_execz .LBB880_8
; %bb.7:
	v_ashrrev_i32_e32 v3, 31, v2
	v_lshlrev_b64 v[18:19], 4, v[2:3]
	v_mul_f64 v[25:26], s[12:13], v[12:13]
	v_add_co_u32_e64 v23, s[2:3], v5, v18
	v_addc_co_u32_e64 v24, s[2:3], v22, v19, s[2:3]
	flat_load_dwordx4 v[18:21], v[23:24]
	v_mul_f64 v[12:13], s[14:15], v[12:13]
	v_cmp_ne_u32_e64 s[2:3], v4, v2
	v_fma_f64 v[25:26], s[14:15], v[6:7], v[25:26]
	v_fma_f64 v[5:6], s[12:13], v[6:7], -v[12:13]
	s_waitcnt vmcnt(0) lgkmcnt(0)
	v_mul_f64 v[27:28], s[16:17], v[20:21]
	v_mul_f64 v[20:21], s[18:19], v[20:21]
	v_fma_f64 v[27:28], s[18:19], v[18:19], v[27:28]
	v_fma_f64 v[12:13], s[16:17], v[18:19], -v[20:21]
	v_add_f64 v[20:21], v[25:26], v[27:28]
	v_add_f64 v[18:19], v[5:6], v[12:13]
	v_cndmask_b32_e64 v21, 0, v21, s[2:3]
	v_cndmask_b32_e64 v20, 0, v20, s[2:3]
	flat_store_dwordx4 v[23:24], v[18:21]
.LBB880_8:
	s_or_b64 exec, exec, s[4:5]
	v_add_u32_e32 v3, 16, v4
	v_mad_i64_i32 v[5:6], s[2:3], v3, s8, 0
	v_mov_b32_e32 v1, s11
	v_lshlrev_b64 v[5:6], 4, v[5:6]
	v_add_co_u32_e64 v5, s[2:3], s10, v5
	v_addc_co_u32_e64 v6, s[2:3], v1, v6, s[2:3]
	v_cmp_le_i32_e64 s[2:3], v3, v0
	s_and_b64 s[4:5], s[2:3], vcc
	s_and_saveexec_b64 s[2:3], s[4:5]
	s_cbranch_execz .LBB880_10
; %bb.9:
	v_ashrrev_i32_e32 v1, 31, v0
	v_lshlrev_b64 v[12:13], 4, v[0:1]
	v_add_co_u32_e32 v22, vcc, v5, v12
	v_addc_co_u32_e32 v23, vcc, v6, v13, vcc
	flat_load_dwordx4 v[18:21], v[22:23]
	v_mul_f64 v[12:13], s[12:13], v[16:17]
	v_mul_f64 v[16:17], s[14:15], v[16:17]
	v_cmp_ne_u32_e32 vcc, v3, v0
	v_fma_f64 v[12:13], s[14:15], v[14:15], v[12:13]
	v_fma_f64 v[14:15], s[12:13], v[14:15], -v[16:17]
	s_waitcnt vmcnt(0) lgkmcnt(0)
	v_mul_f64 v[24:25], s[16:17], v[20:21]
	v_mul_f64 v[20:21], s[18:19], v[20:21]
	v_fma_f64 v[24:25], s[18:19], v[18:19], v[24:25]
	v_fma_f64 v[16:17], s[16:17], v[18:19], -v[20:21]
	v_add_f64 v[18:19], v[12:13], v[24:25]
	v_add_f64 v[12:13], v[14:15], v[16:17]
	v_cndmask_b32_e32 v15, 0, v19, vcc
	v_cndmask_b32_e32 v14, 0, v18, vcc
	flat_store_dwordx4 v[22:23], v[12:15]
.LBB880_10:
	s_or_b64 exec, exec, s[2:3]
	v_cmp_le_i32_e32 vcc, v3, v2
	s_and_b64 s[0:1], vcc, s[0:1]
	s_and_saveexec_b64 s[2:3], s[0:1]
	s_cbranch_execz .LBB880_12
; %bb.11:
	v_ashrrev_i32_e32 v3, 31, v2
	v_lshlrev_b64 v[1:2], 4, v[2:3]
	v_add_co_u32_e32 v5, vcc, v5, v1
	v_addc_co_u32_e32 v6, vcc, v6, v2, vcc
	flat_load_dwordx4 v[12:15], v[5:6]
	v_mul_f64 v[1:2], s[12:13], v[10:11]
	v_mul_f64 v[10:11], s[14:15], v[10:11]
	v_cmp_ne_u32_e32 vcc, v4, v0
	v_fma_f64 v[1:2], s[14:15], v[8:9], v[1:2]
	v_fma_f64 v[7:8], s[12:13], v[8:9], -v[10:11]
	s_waitcnt vmcnt(0) lgkmcnt(0)
	v_mul_f64 v[16:17], s[16:17], v[14:15]
	v_mul_f64 v[14:15], s[18:19], v[14:15]
	v_fma_f64 v[16:17], s[18:19], v[12:13], v[16:17]
	v_fma_f64 v[9:10], s[16:17], v[12:13], -v[14:15]
	v_add_f64 v[11:12], v[1:2], v[16:17]
	v_add_f64 v[1:2], v[7:8], v[9:10]
	v_cndmask_b32_e32 v4, 0, v12, vcc
	v_cndmask_b32_e32 v3, 0, v11, vcc
	flat_store_dwordx4 v[5:6], v[1:4]
.LBB880_12:
	s_endpgm
	.section	.rodata,"a",@progbits
	.p2align	6, 0x0
	.amdhsa_kernel _ZL37rocblas_syrkx_herkx_restricted_kernelIi19rocblas_complex_numIdELi16ELi32ELi8ELb0ELb1ELc67ELc76EKPKS1_KPS1_EviT_T0_PT8_S7_lSA_S7_lS8_PT9_S7_li
		.amdhsa_group_segment_fixed_size 8192
		.amdhsa_private_segment_fixed_size 0
		.amdhsa_kernarg_size 116
		.amdhsa_user_sgpr_count 6
		.amdhsa_user_sgpr_private_segment_buffer 1
		.amdhsa_user_sgpr_dispatch_ptr 0
		.amdhsa_user_sgpr_queue_ptr 0
		.amdhsa_user_sgpr_kernarg_segment_ptr 1
		.amdhsa_user_sgpr_dispatch_id 0
		.amdhsa_user_sgpr_flat_scratch_init 0
		.amdhsa_user_sgpr_private_segment_size 0
		.amdhsa_uses_dynamic_stack 0
		.amdhsa_system_sgpr_private_segment_wavefront_offset 0
		.amdhsa_system_sgpr_workgroup_id_x 1
		.amdhsa_system_sgpr_workgroup_id_y 1
		.amdhsa_system_sgpr_workgroup_id_z 1
		.amdhsa_system_sgpr_workgroup_info 0
		.amdhsa_system_vgpr_workitem_id 1
		.amdhsa_next_free_vgpr 54
		.amdhsa_next_free_sgpr 61
		.amdhsa_reserve_vcc 1
		.amdhsa_reserve_flat_scratch 0
		.amdhsa_float_round_mode_32 0
		.amdhsa_float_round_mode_16_64 0
		.amdhsa_float_denorm_mode_32 3
		.amdhsa_float_denorm_mode_16_64 3
		.amdhsa_dx10_clamp 1
		.amdhsa_ieee_mode 1
		.amdhsa_fp16_overflow 0
		.amdhsa_exception_fp_ieee_invalid_op 0
		.amdhsa_exception_fp_denorm_src 0
		.amdhsa_exception_fp_ieee_div_zero 0
		.amdhsa_exception_fp_ieee_overflow 0
		.amdhsa_exception_fp_ieee_underflow 0
		.amdhsa_exception_fp_ieee_inexact 0
		.amdhsa_exception_int_div_zero 0
	.end_amdhsa_kernel
	.section	.text._ZL37rocblas_syrkx_herkx_restricted_kernelIi19rocblas_complex_numIdELi16ELi32ELi8ELb0ELb1ELc67ELc76EKPKS1_KPS1_EviT_T0_PT8_S7_lSA_S7_lS8_PT9_S7_li,"axG",@progbits,_ZL37rocblas_syrkx_herkx_restricted_kernelIi19rocblas_complex_numIdELi16ELi32ELi8ELb0ELb1ELc67ELc76EKPKS1_KPS1_EviT_T0_PT8_S7_lSA_S7_lS8_PT9_S7_li,comdat
.Lfunc_end880:
	.size	_ZL37rocblas_syrkx_herkx_restricted_kernelIi19rocblas_complex_numIdELi16ELi32ELi8ELb0ELb1ELc67ELc76EKPKS1_KPS1_EviT_T0_PT8_S7_lSA_S7_lS8_PT9_S7_li, .Lfunc_end880-_ZL37rocblas_syrkx_herkx_restricted_kernelIi19rocblas_complex_numIdELi16ELi32ELi8ELb0ELb1ELc67ELc76EKPKS1_KPS1_EviT_T0_PT8_S7_lSA_S7_lS8_PT9_S7_li
                                        ; -- End function
	.set _ZL37rocblas_syrkx_herkx_restricted_kernelIi19rocblas_complex_numIdELi16ELi32ELi8ELb0ELb1ELc67ELc76EKPKS1_KPS1_EviT_T0_PT8_S7_lSA_S7_lS8_PT9_S7_li.num_vgpr, 54
	.set _ZL37rocblas_syrkx_herkx_restricted_kernelIi19rocblas_complex_numIdELi16ELi32ELi8ELb0ELb1ELc67ELc76EKPKS1_KPS1_EviT_T0_PT8_S7_lSA_S7_lS8_PT9_S7_li.num_agpr, 0
	.set _ZL37rocblas_syrkx_herkx_restricted_kernelIi19rocblas_complex_numIdELi16ELi32ELi8ELb0ELb1ELc67ELc76EKPKS1_KPS1_EviT_T0_PT8_S7_lSA_S7_lS8_PT9_S7_li.numbered_sgpr, 25
	.set _ZL37rocblas_syrkx_herkx_restricted_kernelIi19rocblas_complex_numIdELi16ELi32ELi8ELb0ELb1ELc67ELc76EKPKS1_KPS1_EviT_T0_PT8_S7_lSA_S7_lS8_PT9_S7_li.num_named_barrier, 0
	.set _ZL37rocblas_syrkx_herkx_restricted_kernelIi19rocblas_complex_numIdELi16ELi32ELi8ELb0ELb1ELc67ELc76EKPKS1_KPS1_EviT_T0_PT8_S7_lSA_S7_lS8_PT9_S7_li.private_seg_size, 0
	.set _ZL37rocblas_syrkx_herkx_restricted_kernelIi19rocblas_complex_numIdELi16ELi32ELi8ELb0ELb1ELc67ELc76EKPKS1_KPS1_EviT_T0_PT8_S7_lSA_S7_lS8_PT9_S7_li.uses_vcc, 1
	.set _ZL37rocblas_syrkx_herkx_restricted_kernelIi19rocblas_complex_numIdELi16ELi32ELi8ELb0ELb1ELc67ELc76EKPKS1_KPS1_EviT_T0_PT8_S7_lSA_S7_lS8_PT9_S7_li.uses_flat_scratch, 0
	.set _ZL37rocblas_syrkx_herkx_restricted_kernelIi19rocblas_complex_numIdELi16ELi32ELi8ELb0ELb1ELc67ELc76EKPKS1_KPS1_EviT_T0_PT8_S7_lSA_S7_lS8_PT9_S7_li.has_dyn_sized_stack, 0
	.set _ZL37rocblas_syrkx_herkx_restricted_kernelIi19rocblas_complex_numIdELi16ELi32ELi8ELb0ELb1ELc67ELc76EKPKS1_KPS1_EviT_T0_PT8_S7_lSA_S7_lS8_PT9_S7_li.has_recursion, 0
	.set _ZL37rocblas_syrkx_herkx_restricted_kernelIi19rocblas_complex_numIdELi16ELi32ELi8ELb0ELb1ELc67ELc76EKPKS1_KPS1_EviT_T0_PT8_S7_lSA_S7_lS8_PT9_S7_li.has_indirect_call, 0
	.section	.AMDGPU.csdata,"",@progbits
; Kernel info:
; codeLenInByte = 3176
; TotalNumSgprs: 29
; NumVgprs: 54
; ScratchSize: 0
; MemoryBound: 0
; FloatMode: 240
; IeeeMode: 1
; LDSByteSize: 8192 bytes/workgroup (compile time only)
; SGPRBlocks: 8
; VGPRBlocks: 13
; NumSGPRsForWavesPerEU: 65
; NumVGPRsForWavesPerEU: 54
; Occupancy: 4
; WaveLimiterHint : 1
; COMPUTE_PGM_RSRC2:SCRATCH_EN: 0
; COMPUTE_PGM_RSRC2:USER_SGPR: 6
; COMPUTE_PGM_RSRC2:TRAP_HANDLER: 0
; COMPUTE_PGM_RSRC2:TGID_X_EN: 1
; COMPUTE_PGM_RSRC2:TGID_Y_EN: 1
; COMPUTE_PGM_RSRC2:TGID_Z_EN: 1
; COMPUTE_PGM_RSRC2:TIDIG_COMP_CNT: 1
	.section	.text._ZL37rocblas_syrkx_herkx_restricted_kernelIi19rocblas_complex_numIdELi16ELi32ELi8ELb0ELb1ELc78ELc76EKPKS1_KPS1_EviT_T0_PT8_S7_lSA_S7_lS8_PT9_S7_li,"axG",@progbits,_ZL37rocblas_syrkx_herkx_restricted_kernelIi19rocblas_complex_numIdELi16ELi32ELi8ELb0ELb1ELc78ELc76EKPKS1_KPS1_EviT_T0_PT8_S7_lSA_S7_lS8_PT9_S7_li,comdat
	.globl	_ZL37rocblas_syrkx_herkx_restricted_kernelIi19rocblas_complex_numIdELi16ELi32ELi8ELb0ELb1ELc78ELc76EKPKS1_KPS1_EviT_T0_PT8_S7_lSA_S7_lS8_PT9_S7_li ; -- Begin function _ZL37rocblas_syrkx_herkx_restricted_kernelIi19rocblas_complex_numIdELi16ELi32ELi8ELb0ELb1ELc78ELc76EKPKS1_KPS1_EviT_T0_PT8_S7_lSA_S7_lS8_PT9_S7_li
	.p2align	8
	.type	_ZL37rocblas_syrkx_herkx_restricted_kernelIi19rocblas_complex_numIdELi16ELi32ELi8ELb0ELb1ELc78ELc76EKPKS1_KPS1_EviT_T0_PT8_S7_lSA_S7_lS8_PT9_S7_li,@function
_ZL37rocblas_syrkx_herkx_restricted_kernelIi19rocblas_complex_numIdELi16ELi32ELi8ELb0ELb1ELc78ELc76EKPKS1_KPS1_EviT_T0_PT8_S7_lSA_S7_lS8_PT9_S7_li: ; @_ZL37rocblas_syrkx_herkx_restricted_kernelIi19rocblas_complex_numIdELi16ELi32ELi8ELb0ELb1ELc78ELc76EKPKS1_KPS1_EviT_T0_PT8_S7_lSA_S7_lS8_PT9_S7_li
; %bb.0:
	s_load_dwordx2 s[20:21], s[4:5], 0x0
	s_load_dwordx4 s[12:15], s[4:5], 0x8
	s_load_dwordx2 s[10:11], s[4:5], 0x58
	s_load_dwordx2 s[0:1], s[4:5], 0x18
	s_load_dwordx4 s[16:19], s[4:5], 0x48
	s_mov_b32 s9, 0
	s_lshl_b64 s[2:3], s[8:9], 3
	s_waitcnt lgkmcnt(0)
	s_add_u32 s10, s10, s2
	s_addc_u32 s11, s11, s3
	s_load_dwordx2 s[10:11], s[10:11], 0x0
	s_lshl_b32 s6, s6, 5
	s_lshl_b32 s7, s7, 5
	s_cmp_lt_i32 s21, 1
	s_cbranch_scc1 .LBB881_3
; %bb.1:
	s_load_dword s22, s[4:5], 0x20
	s_load_dword s24, s[4:5], 0x38
	s_load_dwordx2 s[26:27], s[4:5], 0x30
	v_lshl_add_u32 v2, v1, 4, v0
	v_lshrrev_b32_e32 v6, 3, v2
	s_waitcnt lgkmcnt(0)
	s_ashr_i32 s23, s22, 31
	s_ashr_i32 s25, s24, 31
	s_add_u32 s0, s0, s2
	s_addc_u32 s1, s1, s3
	v_lshrrev_b32_e32 v7, 5, v2
	v_and_b32_e32 v9, 31, v2
	v_add_u32_e32 v2, s7, v6
	s_add_u32 s2, s26, s2
	v_and_b32_e32 v8, 7, v0
	v_ashrrev_i32_e32 v3, 31, v2
	s_addc_u32 s3, s27, s3
	v_mad_i64_i32 v[4:5], s[26:27], s24, v8, v[2:3]
	v_lshlrev_b32_e32 v2, 4, v9
	v_lshl_or_b32 v22, v7, 9, v2
	v_lshlrev_b32_e32 v2, 4, v8
	v_lshl_or_b32 v2, v6, 7, v2
	v_add_u32_e32 v23, 0x1000, v2
	v_add_u32_e32 v2, s6, v9
	v_ashrrev_i32_e32 v3, 31, v2
	v_mad_i64_i32 v[2:3], s[26:27], s22, v7, v[2:3]
	s_load_dwordx2 s[0:1], s[0:1], 0x0
	v_mov_b32_e32 v6, 0x1000
	s_load_dwordx2 s[2:3], s[2:3], 0x0
	v_lshlrev_b64 v[2:3], 4, v[2:3]
	v_lshl_add_u32 v25, v1, 7, v6
	s_waitcnt lgkmcnt(0)
	v_mov_b32_e32 v6, s1
	v_add_co_u32_e32 v2, vcc, s0, v2
	v_lshlrev_b64 v[4:5], 4, v[4:5]
	v_addc_co_u32_e32 v3, vcc, v6, v3, vcc
	v_mov_b32_e32 v6, s3
	v_add_co_u32_e32 v4, vcc, s2, v4
	s_lshl_b64 s[0:1], s[22:23], 7
	v_addc_co_u32_e32 v5, vcc, v6, v5, vcc
	s_lshl_b64 s[2:3], s[24:25], 7
	v_mov_b32_e32 v6, 0
	v_mov_b32_e32 v8, 0
	;; [unrolled: 1-line block ×8, first 2 shown]
	v_lshlrev_b32_e32 v24, 4, v0
	v_mov_b32_e32 v7, 0
	v_mov_b32_e32 v26, s1
	;; [unrolled: 1-line block ×10, first 2 shown]
.LBB881_2:                              ; =>This Inner Loop Header: Depth=1
	flat_load_dwordx4 v[28:31], v[2:3]
	v_add_co_u32_e32 v2, vcc, s0, v2
	v_addc_co_u32_e32 v3, vcc, v3, v26, vcc
	s_add_i32 s9, s9, 8
	s_cmp_ge_i32 s9, s21
	s_waitcnt vmcnt(0) lgkmcnt(0)
	ds_write_b128 v22, v[28:31]
	flat_load_dwordx4 v[28:31], v[4:5]
	v_add_co_u32_e32 v4, vcc, s2, v4
	v_addc_co_u32_e32 v5, vcc, v5, v27, vcc
	s_waitcnt vmcnt(0) lgkmcnt(0)
	v_xor_b32_e32 v31, 0x80000000, v31
	ds_write_b128 v23, v[28:31]
	s_waitcnt lgkmcnt(0)
	s_barrier
	ds_read_b128 v[28:31], v25
	ds_read_b128 v[32:35], v25 offset:16
	ds_read_b128 v[36:39], v25 offset:32
	;; [unrolled: 1-line block ×3, first 2 shown]
	ds_read_b128 v[44:47], v24
	s_waitcnt lgkmcnt(0)
	v_mul_f64 v[48:49], v[30:31], v[46:47]
	v_mul_f64 v[50:51], v[28:29], v[46:47]
	v_fma_f64 v[48:49], v[28:29], v[44:45], -v[48:49]
	v_fma_f64 v[50:51], v[30:31], v[44:45], v[50:51]
	v_add_f64 v[48:49], v[18:19], v[48:49]
	v_add_f64 v[50:51], v[50:51], v[20:21]
	ds_read_b128 v[18:21], v24 offset:256
	s_waitcnt lgkmcnt(0)
	v_mul_f64 v[52:53], v[30:31], v[20:21]
	v_fma_f64 v[52:53], v[28:29], v[18:19], -v[52:53]
	v_mul_f64 v[28:29], v[28:29], v[20:21]
	v_fma_f64 v[28:29], v[30:31], v[18:19], v[28:29]
	v_add_f64 v[30:31], v[10:11], v[52:53]
	v_add_f64 v[28:29], v[28:29], v[12:13]
	ds_read_b128 v[10:13], v25 offset:2048
	s_waitcnt lgkmcnt(0)
	v_mul_f64 v[52:53], v[12:13], v[46:47]
	v_mul_f64 v[46:47], v[10:11], v[46:47]
	v_fma_f64 v[52:53], v[10:11], v[44:45], -v[52:53]
	v_fma_f64 v[44:45], v[12:13], v[44:45], v[46:47]
	v_add_f64 v[46:47], v[14:15], v[52:53]
	v_mul_f64 v[14:15], v[12:13], v[20:21]
	v_add_f64 v[44:45], v[44:45], v[16:17]
	v_fma_f64 v[14:15], v[10:11], v[18:19], -v[14:15]
	v_mul_f64 v[10:11], v[10:11], v[20:21]
	v_fma_f64 v[10:11], v[12:13], v[18:19], v[10:11]
	v_add_f64 v[18:19], v[8:9], v[14:15]
	v_add_f64 v[20:21], v[10:11], v[6:7]
	ds_read_b128 v[6:9], v24 offset:512
	s_waitcnt lgkmcnt(0)
	v_mul_f64 v[10:11], v[34:35], v[8:9]
	v_mul_f64 v[12:13], v[32:33], v[8:9]
	v_fma_f64 v[10:11], v[32:33], v[6:7], -v[10:11]
	v_fma_f64 v[12:13], v[34:35], v[6:7], v[12:13]
	v_add_f64 v[48:49], v[48:49], v[10:11]
	v_add_f64 v[50:51], v[12:13], v[50:51]
	ds_read_b128 v[10:13], v24 offset:768
	s_waitcnt lgkmcnt(0)
	v_mul_f64 v[14:15], v[34:35], v[12:13]
	v_mul_f64 v[16:17], v[32:33], v[12:13]
	v_fma_f64 v[14:15], v[32:33], v[10:11], -v[14:15]
	v_fma_f64 v[16:17], v[34:35], v[10:11], v[16:17]
	v_add_f64 v[30:31], v[30:31], v[14:15]
	v_add_f64 v[28:29], v[16:17], v[28:29]
	ds_read_b128 v[14:17], v25 offset:2064
	s_waitcnt lgkmcnt(0)
	v_mul_f64 v[32:33], v[16:17], v[8:9]
	v_mul_f64 v[8:9], v[14:15], v[8:9]
	v_fma_f64 v[32:33], v[14:15], v[6:7], -v[32:33]
	v_fma_f64 v[6:7], v[16:17], v[6:7], v[8:9]
	v_mul_f64 v[8:9], v[14:15], v[12:13]
	v_add_f64 v[32:33], v[46:47], v[32:33]
	v_add_f64 v[34:35], v[6:7], v[44:45]
	v_mul_f64 v[6:7], v[16:17], v[12:13]
	v_fma_f64 v[8:9], v[16:17], v[10:11], v[8:9]
	v_fma_f64 v[6:7], v[14:15], v[10:11], -v[6:7]
	v_add_f64 v[20:21], v[8:9], v[20:21]
	v_add_f64 v[18:19], v[18:19], v[6:7]
	ds_read_b128 v[6:9], v24 offset:1024
	s_waitcnt lgkmcnt(0)
	v_mul_f64 v[10:11], v[38:39], v[8:9]
	v_mul_f64 v[12:13], v[36:37], v[8:9]
	v_fma_f64 v[10:11], v[36:37], v[6:7], -v[10:11]
	v_fma_f64 v[12:13], v[38:39], v[6:7], v[12:13]
	v_add_f64 v[44:45], v[48:49], v[10:11]
	v_add_f64 v[46:47], v[12:13], v[50:51]
	ds_read_b128 v[10:13], v24 offset:1280
	s_waitcnt lgkmcnt(0)
	v_mul_f64 v[14:15], v[38:39], v[12:13]
	v_mul_f64 v[16:17], v[36:37], v[12:13]
	v_fma_f64 v[14:15], v[36:37], v[10:11], -v[14:15]
	v_fma_f64 v[16:17], v[38:39], v[10:11], v[16:17]
	;; [unrolled: 8-line block ×3, first 2 shown]
	v_mul_f64 v[8:9], v[14:15], v[12:13]
	v_add_f64 v[32:33], v[32:33], v[36:37]
	v_add_f64 v[34:35], v[6:7], v[34:35]
	v_mul_f64 v[6:7], v[16:17], v[12:13]
	v_fma_f64 v[8:9], v[16:17], v[10:11], v[8:9]
	v_fma_f64 v[6:7], v[14:15], v[10:11], -v[6:7]
	v_add_f64 v[20:21], v[8:9], v[20:21]
	v_add_f64 v[18:19], v[18:19], v[6:7]
	ds_read_b128 v[6:9], v24 offset:1536
	s_waitcnt lgkmcnt(0)
	v_mul_f64 v[10:11], v[42:43], v[8:9]
	v_mul_f64 v[12:13], v[40:41], v[8:9]
	v_fma_f64 v[10:11], v[40:41], v[6:7], -v[10:11]
	v_fma_f64 v[12:13], v[42:43], v[6:7], v[12:13]
	v_add_f64 v[36:37], v[44:45], v[10:11]
	v_add_f64 v[38:39], v[12:13], v[46:47]
	ds_read_b128 v[10:13], v24 offset:1792
	s_waitcnt lgkmcnt(0)
	v_mul_f64 v[14:15], v[42:43], v[12:13]
	v_mul_f64 v[16:17], v[40:41], v[12:13]
	v_fma_f64 v[14:15], v[40:41], v[10:11], -v[14:15]
	v_fma_f64 v[16:17], v[42:43], v[10:11], v[16:17]
	;; [unrolled: 8-line block ×3, first 2 shown]
	v_mul_f64 v[8:9], v[14:15], v[12:13]
	v_add_f64 v[32:33], v[32:33], v[40:41]
	v_add_f64 v[34:35], v[6:7], v[34:35]
	v_mul_f64 v[6:7], v[16:17], v[12:13]
	v_fma_f64 v[8:9], v[16:17], v[10:11], v[8:9]
	v_fma_f64 v[6:7], v[14:15], v[10:11], -v[6:7]
	v_add_f64 v[20:21], v[8:9], v[20:21]
	v_add_f64 v[18:19], v[18:19], v[6:7]
	ds_read_b128 v[6:9], v25 offset:64
	ds_read_b128 v[10:13], v24 offset:2048
	s_waitcnt lgkmcnt(0)
	v_mul_f64 v[14:15], v[8:9], v[12:13]
	v_mul_f64 v[16:17], v[6:7], v[12:13]
	v_fma_f64 v[14:15], v[6:7], v[10:11], -v[14:15]
	v_fma_f64 v[16:17], v[8:9], v[10:11], v[16:17]
	v_add_f64 v[36:37], v[36:37], v[14:15]
	v_add_f64 v[38:39], v[16:17], v[38:39]
	ds_read_b128 v[14:17], v24 offset:2304
	s_waitcnt lgkmcnt(0)
	v_mul_f64 v[40:41], v[8:9], v[16:17]
	v_fma_f64 v[40:41], v[6:7], v[14:15], -v[40:41]
	v_mul_f64 v[6:7], v[6:7], v[16:17]
	v_add_f64 v[30:31], v[30:31], v[40:41]
	v_fma_f64 v[6:7], v[8:9], v[14:15], v[6:7]
	v_add_f64 v[28:29], v[6:7], v[28:29]
	ds_read_b128 v[6:9], v25 offset:2112
	s_waitcnt lgkmcnt(0)
	v_mul_f64 v[40:41], v[8:9], v[12:13]
	v_mul_f64 v[12:13], v[6:7], v[12:13]
	v_fma_f64 v[40:41], v[6:7], v[10:11], -v[40:41]
	v_fma_f64 v[10:11], v[8:9], v[10:11], v[12:13]
	v_add_f64 v[32:33], v[32:33], v[40:41]
	v_add_f64 v[34:35], v[10:11], v[34:35]
	v_mul_f64 v[10:11], v[8:9], v[16:17]
	v_fma_f64 v[10:11], v[6:7], v[14:15], -v[10:11]
	v_mul_f64 v[6:7], v[6:7], v[16:17]
	v_add_f64 v[18:19], v[18:19], v[10:11]
	v_fma_f64 v[6:7], v[8:9], v[14:15], v[6:7]
	v_add_f64 v[20:21], v[6:7], v[20:21]
	ds_read_b128 v[6:9], v25 offset:80
	ds_read_b128 v[10:13], v24 offset:2560
	s_waitcnt lgkmcnt(0)
	v_mul_f64 v[14:15], v[8:9], v[12:13]
	v_mul_f64 v[16:17], v[6:7], v[12:13]
	v_fma_f64 v[14:15], v[6:7], v[10:11], -v[14:15]
	v_fma_f64 v[16:17], v[8:9], v[10:11], v[16:17]
	v_add_f64 v[36:37], v[36:37], v[14:15]
	v_add_f64 v[38:39], v[16:17], v[38:39]
	ds_read_b128 v[14:17], v24 offset:2816
	s_waitcnt lgkmcnt(0)
	v_mul_f64 v[40:41], v[8:9], v[16:17]
	v_fma_f64 v[40:41], v[6:7], v[14:15], -v[40:41]
	v_mul_f64 v[6:7], v[6:7], v[16:17]
	v_add_f64 v[30:31], v[30:31], v[40:41]
	v_fma_f64 v[6:7], v[8:9], v[14:15], v[6:7]
	v_add_f64 v[28:29], v[6:7], v[28:29]
	ds_read_b128 v[6:9], v25 offset:2128
	s_waitcnt lgkmcnt(0)
	v_mul_f64 v[40:41], v[8:9], v[12:13]
	v_mul_f64 v[12:13], v[6:7], v[12:13]
	v_fma_f64 v[40:41], v[6:7], v[10:11], -v[40:41]
	v_fma_f64 v[10:11], v[8:9], v[10:11], v[12:13]
	v_add_f64 v[32:33], v[32:33], v[40:41]
	v_add_f64 v[34:35], v[10:11], v[34:35]
	v_mul_f64 v[10:11], v[8:9], v[16:17]
	v_fma_f64 v[10:11], v[6:7], v[14:15], -v[10:11]
	v_mul_f64 v[6:7], v[6:7], v[16:17]
	v_add_f64 v[18:19], v[18:19], v[10:11]
	v_fma_f64 v[6:7], v[8:9], v[14:15], v[6:7]
	;; [unrolled: 31-line block ×3, first 2 shown]
	v_add_f64 v[46:47], v[6:7], v[20:21]
	ds_read_b128 v[6:9], v25 offset:112
	ds_read_b128 v[14:17], v24 offset:3584
	;; [unrolled: 1-line block ×3, first 2 shown]
	s_waitcnt lgkmcnt(1)
	v_mul_f64 v[10:11], v[8:9], v[16:17]
	v_mul_f64 v[12:13], v[6:7], v[16:17]
	v_fma_f64 v[10:11], v[6:7], v[14:15], -v[10:11]
	v_fma_f64 v[12:13], v[8:9], v[14:15], v[12:13]
	v_add_f64 v[18:19], v[36:37], v[10:11]
	s_waitcnt lgkmcnt(0)
	v_mul_f64 v[10:11], v[8:9], v[30:31]
	v_add_f64 v[20:21], v[12:13], v[38:39]
	v_fma_f64 v[10:11], v[6:7], v[28:29], -v[10:11]
	v_mul_f64 v[6:7], v[6:7], v[30:31]
	v_add_f64 v[10:11], v[40:41], v[10:11]
	v_fma_f64 v[6:7], v[8:9], v[28:29], v[6:7]
	v_add_f64 v[12:13], v[6:7], v[42:43]
	ds_read_b128 v[6:9], v25 offset:2160
	s_waitcnt lgkmcnt(0)
	s_barrier
	v_mul_f64 v[36:37], v[8:9], v[16:17]
	v_mul_f64 v[16:17], v[6:7], v[16:17]
	v_fma_f64 v[36:37], v[6:7], v[14:15], -v[36:37]
	v_fma_f64 v[16:17], v[8:9], v[14:15], v[16:17]
	v_add_f64 v[14:15], v[32:33], v[36:37]
	v_mul_f64 v[32:33], v[8:9], v[30:31]
	v_add_f64 v[16:17], v[16:17], v[34:35]
	v_fma_f64 v[32:33], v[6:7], v[28:29], -v[32:33]
	v_mul_f64 v[6:7], v[6:7], v[30:31]
	v_fma_f64 v[6:7], v[8:9], v[28:29], v[6:7]
	v_add_f64 v[8:9], v[44:45], v[32:33]
	v_add_f64 v[6:7], v[6:7], v[46:47]
	s_cbranch_scc0 .LBB881_2
	s_branch .LBB881_4
.LBB881_3:
	v_mov_b32_e32 v18, 0
	v_mov_b32_e32 v20, 0
	v_mov_b32_e32 v10, 0
	v_mov_b32_e32 v12, 0
	v_mov_b32_e32 v14, 0
	v_mov_b32_e32 v16, 0
	v_mov_b32_e32 v8, 0
	v_mov_b32_e32 v6, 0
	v_mov_b32_e32 v19, 0
	v_mov_b32_e32 v21, 0
	v_mov_b32_e32 v11, 0
	v_mov_b32_e32 v13, 0
	v_mov_b32_e32 v15, 0
	v_mov_b32_e32 v17, 0
	v_mov_b32_e32 v9, 0
	v_mov_b32_e32 v7, 0
.LBB881_4:
	s_load_dword s8, s[4:5], 0x60
	v_add_u32_e32 v4, s7, v1
	s_waitcnt lgkmcnt(0)
	v_mov_b32_e32 v3, s11
	v_add_u32_e32 v0, s6, v0
	v_mad_i64_i32 v[1:2], s[0:1], v4, s8, 0
	v_cmp_le_i32_e64 s[0:1], v4, v0
	v_lshlrev_b64 v[1:2], 4, v[1:2]
	v_add_co_u32_e32 v5, vcc, s10, v1
	v_addc_co_u32_e32 v22, vcc, v3, v2, vcc
	v_cmp_gt_i32_e32 vcc, s20, v0
	s_and_b64 s[0:1], s[0:1], vcc
	s_and_saveexec_b64 s[2:3], s[0:1]
	s_cbranch_execz .LBB881_6
; %bb.5:
	v_ashrrev_i32_e32 v1, 31, v0
	v_lshlrev_b64 v[1:2], 4, v[0:1]
	v_mul_f64 v[27:28], s[12:13], v[20:21]
	v_add_co_u32_e64 v1, s[0:1], v5, v1
	v_addc_co_u32_e64 v2, s[0:1], v22, v2, s[0:1]
	flat_load_dwordx4 v[23:26], v[1:2]
	v_mul_f64 v[20:21], s[14:15], v[20:21]
	v_cmp_ne_u32_e64 s[0:1], v4, v0
	v_fma_f64 v[27:28], s[14:15], v[18:19], v[27:28]
	v_fma_f64 v[18:19], s[12:13], v[18:19], -v[20:21]
	s_waitcnt vmcnt(0) lgkmcnt(0)
	v_mul_f64 v[29:30], s[16:17], v[25:26]
	v_mul_f64 v[25:26], s[18:19], v[25:26]
	v_fma_f64 v[29:30], s[18:19], v[23:24], v[29:30]
	v_fma_f64 v[20:21], s[16:17], v[23:24], -v[25:26]
	v_add_f64 v[23:24], v[27:28], v[29:30]
	v_add_f64 v[18:19], v[18:19], v[20:21]
	v_cndmask_b32_e64 v21, 0, v24, s[0:1]
	v_cndmask_b32_e64 v20, 0, v23, s[0:1]
	flat_store_dwordx4 v[1:2], v[18:21]
.LBB881_6:
	s_or_b64 exec, exec, s[2:3]
	v_add_u32_e32 v2, 16, v0
	v_cmp_le_i32_e64 s[2:3], v4, v2
	v_cmp_gt_i32_e64 s[0:1], s20, v2
	s_and_b64 s[2:3], s[2:3], s[0:1]
	s_and_saveexec_b64 s[4:5], s[2:3]
	s_cbranch_execz .LBB881_8
; %bb.7:
	v_ashrrev_i32_e32 v3, 31, v2
	v_lshlrev_b64 v[18:19], 4, v[2:3]
	v_mul_f64 v[25:26], s[12:13], v[12:13]
	v_add_co_u32_e64 v23, s[2:3], v5, v18
	v_addc_co_u32_e64 v24, s[2:3], v22, v19, s[2:3]
	flat_load_dwordx4 v[18:21], v[23:24]
	v_mul_f64 v[12:13], s[14:15], v[12:13]
	v_cmp_ne_u32_e64 s[2:3], v4, v2
	v_fma_f64 v[25:26], s[14:15], v[10:11], v[25:26]
	v_fma_f64 v[10:11], s[12:13], v[10:11], -v[12:13]
	s_waitcnt vmcnt(0) lgkmcnt(0)
	v_mul_f64 v[27:28], s[16:17], v[20:21]
	v_mul_f64 v[20:21], s[18:19], v[20:21]
	v_fma_f64 v[27:28], s[18:19], v[18:19], v[27:28]
	v_fma_f64 v[12:13], s[16:17], v[18:19], -v[20:21]
	v_add_f64 v[18:19], v[25:26], v[27:28]
	v_add_f64 v[10:11], v[10:11], v[12:13]
	v_cndmask_b32_e64 v13, 0, v19, s[2:3]
	v_cndmask_b32_e64 v12, 0, v18, s[2:3]
	flat_store_dwordx4 v[23:24], v[10:13]
.LBB881_8:
	s_or_b64 exec, exec, s[4:5]
	v_add_u32_e32 v3, 16, v4
	v_mad_i64_i32 v[10:11], s[2:3], v3, s8, 0
	v_mov_b32_e32 v1, s11
	v_lshlrev_b64 v[10:11], 4, v[10:11]
	v_add_co_u32_e64 v5, s[2:3], s10, v10
	v_addc_co_u32_e64 v10, s[2:3], v1, v11, s[2:3]
	v_cmp_le_i32_e64 s[2:3], v3, v0
	s_and_b64 s[4:5], s[2:3], vcc
	s_and_saveexec_b64 s[2:3], s[4:5]
	s_cbranch_execz .LBB881_10
; %bb.9:
	v_ashrrev_i32_e32 v1, 31, v0
	v_lshlrev_b64 v[11:12], 4, v[0:1]
	v_add_co_u32_e32 v22, vcc, v5, v11
	v_addc_co_u32_e32 v23, vcc, v10, v12, vcc
	flat_load_dwordx4 v[18:21], v[22:23]
	v_mul_f64 v[11:12], s[12:13], v[16:17]
	v_mul_f64 v[16:17], s[14:15], v[16:17]
	v_cmp_ne_u32_e32 vcc, v3, v0
	v_fma_f64 v[11:12], s[14:15], v[14:15], v[11:12]
	v_fma_f64 v[13:14], s[12:13], v[14:15], -v[16:17]
	s_waitcnt vmcnt(0) lgkmcnt(0)
	v_mul_f64 v[24:25], s[16:17], v[20:21]
	v_mul_f64 v[20:21], s[18:19], v[20:21]
	v_fma_f64 v[24:25], s[18:19], v[18:19], v[24:25]
	v_fma_f64 v[15:16], s[16:17], v[18:19], -v[20:21]
	v_add_f64 v[17:18], v[11:12], v[24:25]
	v_add_f64 v[11:12], v[13:14], v[15:16]
	v_cndmask_b32_e32 v14, 0, v18, vcc
	v_cndmask_b32_e32 v13, 0, v17, vcc
	flat_store_dwordx4 v[22:23], v[11:14]
.LBB881_10:
	s_or_b64 exec, exec, s[2:3]
	v_cmp_le_i32_e32 vcc, v3, v2
	s_and_b64 s[0:1], vcc, s[0:1]
	s_and_saveexec_b64 s[2:3], s[0:1]
	s_cbranch_execz .LBB881_12
; %bb.11:
	v_ashrrev_i32_e32 v3, 31, v2
	v_lshlrev_b64 v[1:2], 4, v[2:3]
	v_add_co_u32_e32 v14, vcc, v5, v1
	v_addc_co_u32_e32 v15, vcc, v10, v2, vcc
	flat_load_dwordx4 v[10:13], v[14:15]
	v_mul_f64 v[1:2], s[12:13], v[6:7]
	v_mul_f64 v[5:6], s[14:15], v[6:7]
	v_cmp_ne_u32_e32 vcc, v4, v0
	v_fma_f64 v[1:2], s[14:15], v[8:9], v[1:2]
	v_fma_f64 v[5:6], s[12:13], v[8:9], -v[5:6]
	s_waitcnt vmcnt(0) lgkmcnt(0)
	v_mul_f64 v[16:17], s[16:17], v[12:13]
	v_mul_f64 v[12:13], s[18:19], v[12:13]
	v_fma_f64 v[16:17], s[18:19], v[10:11], v[16:17]
	v_fma_f64 v[7:8], s[16:17], v[10:11], -v[12:13]
	v_add_f64 v[9:10], v[1:2], v[16:17]
	v_add_f64 v[1:2], v[5:6], v[7:8]
	v_cndmask_b32_e32 v4, 0, v10, vcc
	v_cndmask_b32_e32 v3, 0, v9, vcc
	flat_store_dwordx4 v[14:15], v[1:4]
.LBB881_12:
	s_endpgm
	.section	.rodata,"a",@progbits
	.p2align	6, 0x0
	.amdhsa_kernel _ZL37rocblas_syrkx_herkx_restricted_kernelIi19rocblas_complex_numIdELi16ELi32ELi8ELb0ELb1ELc78ELc76EKPKS1_KPS1_EviT_T0_PT8_S7_lSA_S7_lS8_PT9_S7_li
		.amdhsa_group_segment_fixed_size 8192
		.amdhsa_private_segment_fixed_size 0
		.amdhsa_kernarg_size 116
		.amdhsa_user_sgpr_count 6
		.amdhsa_user_sgpr_private_segment_buffer 1
		.amdhsa_user_sgpr_dispatch_ptr 0
		.amdhsa_user_sgpr_queue_ptr 0
		.amdhsa_user_sgpr_kernarg_segment_ptr 1
		.amdhsa_user_sgpr_dispatch_id 0
		.amdhsa_user_sgpr_flat_scratch_init 0
		.amdhsa_user_sgpr_private_segment_size 0
		.amdhsa_uses_dynamic_stack 0
		.amdhsa_system_sgpr_private_segment_wavefront_offset 0
		.amdhsa_system_sgpr_workgroup_id_x 1
		.amdhsa_system_sgpr_workgroup_id_y 1
		.amdhsa_system_sgpr_workgroup_id_z 1
		.amdhsa_system_sgpr_workgroup_info 0
		.amdhsa_system_vgpr_workitem_id 1
		.amdhsa_next_free_vgpr 54
		.amdhsa_next_free_sgpr 61
		.amdhsa_reserve_vcc 1
		.amdhsa_reserve_flat_scratch 0
		.amdhsa_float_round_mode_32 0
		.amdhsa_float_round_mode_16_64 0
		.amdhsa_float_denorm_mode_32 3
		.amdhsa_float_denorm_mode_16_64 3
		.amdhsa_dx10_clamp 1
		.amdhsa_ieee_mode 1
		.amdhsa_fp16_overflow 0
		.amdhsa_exception_fp_ieee_invalid_op 0
		.amdhsa_exception_fp_denorm_src 0
		.amdhsa_exception_fp_ieee_div_zero 0
		.amdhsa_exception_fp_ieee_overflow 0
		.amdhsa_exception_fp_ieee_underflow 0
		.amdhsa_exception_fp_ieee_inexact 0
		.amdhsa_exception_int_div_zero 0
	.end_amdhsa_kernel
	.section	.text._ZL37rocblas_syrkx_herkx_restricted_kernelIi19rocblas_complex_numIdELi16ELi32ELi8ELb0ELb1ELc78ELc76EKPKS1_KPS1_EviT_T0_PT8_S7_lSA_S7_lS8_PT9_S7_li,"axG",@progbits,_ZL37rocblas_syrkx_herkx_restricted_kernelIi19rocblas_complex_numIdELi16ELi32ELi8ELb0ELb1ELc78ELc76EKPKS1_KPS1_EviT_T0_PT8_S7_lSA_S7_lS8_PT9_S7_li,comdat
.Lfunc_end881:
	.size	_ZL37rocblas_syrkx_herkx_restricted_kernelIi19rocblas_complex_numIdELi16ELi32ELi8ELb0ELb1ELc78ELc76EKPKS1_KPS1_EviT_T0_PT8_S7_lSA_S7_lS8_PT9_S7_li, .Lfunc_end881-_ZL37rocblas_syrkx_herkx_restricted_kernelIi19rocblas_complex_numIdELi16ELi32ELi8ELb0ELb1ELc78ELc76EKPKS1_KPS1_EviT_T0_PT8_S7_lSA_S7_lS8_PT9_S7_li
                                        ; -- End function
	.set _ZL37rocblas_syrkx_herkx_restricted_kernelIi19rocblas_complex_numIdELi16ELi32ELi8ELb0ELb1ELc78ELc76EKPKS1_KPS1_EviT_T0_PT8_S7_lSA_S7_lS8_PT9_S7_li.num_vgpr, 54
	.set _ZL37rocblas_syrkx_herkx_restricted_kernelIi19rocblas_complex_numIdELi16ELi32ELi8ELb0ELb1ELc78ELc76EKPKS1_KPS1_EviT_T0_PT8_S7_lSA_S7_lS8_PT9_S7_li.num_agpr, 0
	.set _ZL37rocblas_syrkx_herkx_restricted_kernelIi19rocblas_complex_numIdELi16ELi32ELi8ELb0ELb1ELc78ELc76EKPKS1_KPS1_EviT_T0_PT8_S7_lSA_S7_lS8_PT9_S7_li.numbered_sgpr, 28
	.set _ZL37rocblas_syrkx_herkx_restricted_kernelIi19rocblas_complex_numIdELi16ELi32ELi8ELb0ELb1ELc78ELc76EKPKS1_KPS1_EviT_T0_PT8_S7_lSA_S7_lS8_PT9_S7_li.num_named_barrier, 0
	.set _ZL37rocblas_syrkx_herkx_restricted_kernelIi19rocblas_complex_numIdELi16ELi32ELi8ELb0ELb1ELc78ELc76EKPKS1_KPS1_EviT_T0_PT8_S7_lSA_S7_lS8_PT9_S7_li.private_seg_size, 0
	.set _ZL37rocblas_syrkx_herkx_restricted_kernelIi19rocblas_complex_numIdELi16ELi32ELi8ELb0ELb1ELc78ELc76EKPKS1_KPS1_EviT_T0_PT8_S7_lSA_S7_lS8_PT9_S7_li.uses_vcc, 1
	.set _ZL37rocblas_syrkx_herkx_restricted_kernelIi19rocblas_complex_numIdELi16ELi32ELi8ELb0ELb1ELc78ELc76EKPKS1_KPS1_EviT_T0_PT8_S7_lSA_S7_lS8_PT9_S7_li.uses_flat_scratch, 0
	.set _ZL37rocblas_syrkx_herkx_restricted_kernelIi19rocblas_complex_numIdELi16ELi32ELi8ELb0ELb1ELc78ELc76EKPKS1_KPS1_EviT_T0_PT8_S7_lSA_S7_lS8_PT9_S7_li.has_dyn_sized_stack, 0
	.set _ZL37rocblas_syrkx_herkx_restricted_kernelIi19rocblas_complex_numIdELi16ELi32ELi8ELb0ELb1ELc78ELc76EKPKS1_KPS1_EviT_T0_PT8_S7_lSA_S7_lS8_PT9_S7_li.has_recursion, 0
	.set _ZL37rocblas_syrkx_herkx_restricted_kernelIi19rocblas_complex_numIdELi16ELi32ELi8ELb0ELb1ELc78ELc76EKPKS1_KPS1_EviT_T0_PT8_S7_lSA_S7_lS8_PT9_S7_li.has_indirect_call, 0
	.section	.AMDGPU.csdata,"",@progbits
; Kernel info:
; codeLenInByte = 3192
; TotalNumSgprs: 32
; NumVgprs: 54
; ScratchSize: 0
; MemoryBound: 0
; FloatMode: 240
; IeeeMode: 1
; LDSByteSize: 8192 bytes/workgroup (compile time only)
; SGPRBlocks: 8
; VGPRBlocks: 13
; NumSGPRsForWavesPerEU: 65
; NumVGPRsForWavesPerEU: 54
; Occupancy: 4
; WaveLimiterHint : 1
; COMPUTE_PGM_RSRC2:SCRATCH_EN: 0
; COMPUTE_PGM_RSRC2:USER_SGPR: 6
; COMPUTE_PGM_RSRC2:TRAP_HANDLER: 0
; COMPUTE_PGM_RSRC2:TGID_X_EN: 1
; COMPUTE_PGM_RSRC2:TGID_Y_EN: 1
; COMPUTE_PGM_RSRC2:TGID_Z_EN: 1
; COMPUTE_PGM_RSRC2:TIDIG_COMP_CNT: 1
	.section	.text._ZL37rocblas_syrkx_herkx_restricted_kernelIi19rocblas_complex_numIdELi16ELi32ELi8ELb0ELb1ELc84ELc85EKPKS1_KPS1_EviT_T0_PT8_S7_lSA_S7_lS8_PT9_S7_li,"axG",@progbits,_ZL37rocblas_syrkx_herkx_restricted_kernelIi19rocblas_complex_numIdELi16ELi32ELi8ELb0ELb1ELc84ELc85EKPKS1_KPS1_EviT_T0_PT8_S7_lSA_S7_lS8_PT9_S7_li,comdat
	.globl	_ZL37rocblas_syrkx_herkx_restricted_kernelIi19rocblas_complex_numIdELi16ELi32ELi8ELb0ELb1ELc84ELc85EKPKS1_KPS1_EviT_T0_PT8_S7_lSA_S7_lS8_PT9_S7_li ; -- Begin function _ZL37rocblas_syrkx_herkx_restricted_kernelIi19rocblas_complex_numIdELi16ELi32ELi8ELb0ELb1ELc84ELc85EKPKS1_KPS1_EviT_T0_PT8_S7_lSA_S7_lS8_PT9_S7_li
	.p2align	8
	.type	_ZL37rocblas_syrkx_herkx_restricted_kernelIi19rocblas_complex_numIdELi16ELi32ELi8ELb0ELb1ELc84ELc85EKPKS1_KPS1_EviT_T0_PT8_S7_lSA_S7_lS8_PT9_S7_li,@function
_ZL37rocblas_syrkx_herkx_restricted_kernelIi19rocblas_complex_numIdELi16ELi32ELi8ELb0ELb1ELc84ELc85EKPKS1_KPS1_EviT_T0_PT8_S7_lSA_S7_lS8_PT9_S7_li: ; @_ZL37rocblas_syrkx_herkx_restricted_kernelIi19rocblas_complex_numIdELi16ELi32ELi8ELb0ELb1ELc84ELc85EKPKS1_KPS1_EviT_T0_PT8_S7_lSA_S7_lS8_PT9_S7_li
; %bb.0:
	s_load_dwordx2 s[2:3], s[4:5], 0x0
	s_load_dwordx4 s[12:15], s[4:5], 0x8
	s_load_dwordx2 s[10:11], s[4:5], 0x58
	s_load_dwordx2 s[0:1], s[4:5], 0x18
	s_load_dwordx4 s[16:19], s[4:5], 0x48
	s_mov_b32 s9, 0
	s_lshl_b64 s[20:21], s[8:9], 3
	s_waitcnt lgkmcnt(0)
	s_add_u32 s10, s10, s20
	s_addc_u32 s11, s11, s21
	s_load_dwordx2 s[10:11], s[10:11], 0x0
	s_lshl_b32 s6, s6, 5
	s_lshl_b32 s7, s7, 5
	s_cmp_lt_i32 s3, 1
	s_cbranch_scc1 .LBB882_3
; %bb.1:
	s_load_dword s8, s[4:5], 0x20
	s_load_dwordx2 s[22:23], s[4:5], 0x30
	s_load_dword s24, s[4:5], 0x38
	s_add_u32 s0, s0, s20
	v_lshl_add_u32 v3, v1, 4, v0
	s_addc_u32 s1, s1, s21
	v_lshrrev_b32_e32 v8, 3, v3
	s_waitcnt lgkmcnt(0)
	s_add_u32 s20, s22, s20
	v_lshrrev_b32_e32 v2, 5, v3
	v_and_b32_e32 v4, 7, v0
	v_and_b32_e32 v9, 31, v3
	v_add_u32_e32 v3, s7, v8
	v_mov_b32_e32 v5, 0
	s_addc_u32 s21, s23, s21
	v_mad_i64_i32 v[6:7], s[22:23], s24, v3, v[4:5]
	v_mov_b32_e32 v3, v5
	v_lshlrev_b32_e32 v5, 4, v9
	v_lshl_or_b32 v22, v2, 9, v5
	v_add_u32_e32 v5, s6, v9
	v_mad_i64_i32 v[2:3], s[22:23], s8, v5, v[2:3]
	s_load_dwordx2 s[0:1], s[0:1], 0x0
	v_lshlrev_b32_e32 v4, 4, v4
	s_load_dwordx2 s[20:21], s[20:21], 0x0
	v_lshlrev_b64 v[2:3], 4, v[2:3]
	v_lshl_or_b32 v4, v8, 7, v4
	v_add_u32_e32 v23, 0x1000, v4
	s_waitcnt lgkmcnt(0)
	v_mov_b32_e32 v4, s1
	v_add_co_u32_e32 v2, vcc, s0, v2
	v_addc_co_u32_e32 v3, vcc, v4, v3, vcc
	v_lshlrev_b64 v[4:5], 4, v[6:7]
	v_mov_b32_e32 v6, s21
	v_add_co_u32_e32 v4, vcc, s20, v4
	v_mov_b32_e32 v25, 0x1000
	v_addc_co_u32_e32 v5, vcc, v6, v5, vcc
	v_mov_b32_e32 v10, 0
	v_mov_b32_e32 v8, 0
	;; [unrolled: 1-line block ×8, first 2 shown]
	v_lshlrev_b32_e32 v24, 4, v0
	v_mov_b32_e32 v11, 0
	v_mov_b32_e32 v9, 0
	;; [unrolled: 1-line block ×8, first 2 shown]
	v_lshl_add_u32 v25, v1, 7, v25
.LBB882_2:                              ; =>This Inner Loop Header: Depth=1
	flat_load_dwordx4 v[26:29], v[2:3]
	v_add_co_u32_e32 v2, vcc, 0x80, v2
	v_addc_co_u32_e32 v3, vcc, 0, v3, vcc
	s_add_i32 s9, s9, 8
	s_cmp_ge_i32 s9, s3
	s_waitcnt vmcnt(0) lgkmcnt(0)
	ds_write_b128 v22, v[26:29]
	flat_load_dwordx4 v[26:29], v[4:5]
	v_add_co_u32_e32 v4, vcc, 0x80, v4
	v_addc_co_u32_e32 v5, vcc, 0, v5, vcc
	s_waitcnt vmcnt(0) lgkmcnt(0)
	ds_write_b128 v23, v[26:29]
	s_waitcnt lgkmcnt(0)
	s_barrier
	ds_read_b128 v[26:29], v25
	ds_read_b128 v[30:33], v25 offset:16
	ds_read_b128 v[34:37], v25 offset:32
	;; [unrolled: 1-line block ×3, first 2 shown]
	ds_read_b128 v[42:45], v24
	s_waitcnt lgkmcnt(0)
	v_mul_f64 v[46:47], v[28:29], v[44:45]
	v_mul_f64 v[48:49], v[26:27], v[44:45]
	v_fma_f64 v[46:47], v[26:27], v[42:43], -v[46:47]
	v_fma_f64 v[48:49], v[28:29], v[42:43], v[48:49]
	v_add_f64 v[46:47], v[18:19], v[46:47]
	v_add_f64 v[48:49], v[48:49], v[20:21]
	ds_read_b128 v[18:21], v24 offset:256
	s_waitcnt lgkmcnt(0)
	v_mul_f64 v[50:51], v[28:29], v[20:21]
	v_fma_f64 v[50:51], v[26:27], v[18:19], -v[50:51]
	v_mul_f64 v[26:27], v[26:27], v[20:21]
	v_add_f64 v[50:51], v[6:7], v[50:51]
	v_fma_f64 v[26:27], v[28:29], v[18:19], v[26:27]
	v_add_f64 v[52:53], v[26:27], v[12:13]
	ds_read_b128 v[26:29], v25 offset:2048
	s_waitcnt lgkmcnt(0)
	v_mul_f64 v[6:7], v[28:29], v[44:45]
	v_mul_f64 v[12:13], v[26:27], v[44:45]
	v_fma_f64 v[6:7], v[26:27], v[42:43], -v[6:7]
	v_fma_f64 v[12:13], v[28:29], v[42:43], v[12:13]
	v_add_f64 v[42:43], v[14:15], v[6:7]
	v_mul_f64 v[6:7], v[28:29], v[20:21]
	v_add_f64 v[44:45], v[12:13], v[16:17]
	v_mul_f64 v[12:13], v[26:27], v[20:21]
	v_fma_f64 v[6:7], v[26:27], v[18:19], -v[6:7]
	v_fma_f64 v[12:13], v[28:29], v[18:19], v[12:13]
	v_add_f64 v[18:19], v[8:9], v[6:7]
	ds_read_b128 v[6:9], v24 offset:512
	v_add_f64 v[20:21], v[12:13], v[10:11]
	s_waitcnt lgkmcnt(0)
	v_mul_f64 v[10:11], v[32:33], v[8:9]
	v_mul_f64 v[12:13], v[30:31], v[8:9]
	v_fma_f64 v[10:11], v[30:31], v[6:7], -v[10:11]
	v_fma_f64 v[12:13], v[32:33], v[6:7], v[12:13]
	v_add_f64 v[26:27], v[46:47], v[10:11]
	v_add_f64 v[28:29], v[12:13], v[48:49]
	ds_read_b128 v[10:13], v24 offset:768
	s_waitcnt lgkmcnt(0)
	v_mul_f64 v[14:15], v[32:33], v[12:13]
	v_mul_f64 v[16:17], v[30:31], v[12:13]
	v_fma_f64 v[14:15], v[30:31], v[10:11], -v[14:15]
	v_fma_f64 v[16:17], v[32:33], v[10:11], v[16:17]
	v_add_f64 v[30:31], v[50:51], v[14:15]
	v_add_f64 v[32:33], v[16:17], v[52:53]
	ds_read_b128 v[14:17], v25 offset:2064
	s_waitcnt lgkmcnt(0)
	v_mul_f64 v[46:47], v[16:17], v[8:9]
	v_mul_f64 v[8:9], v[14:15], v[8:9]
	v_fma_f64 v[46:47], v[14:15], v[6:7], -v[46:47]
	v_fma_f64 v[6:7], v[16:17], v[6:7], v[8:9]
	v_mul_f64 v[8:9], v[14:15], v[12:13]
	v_add_f64 v[42:43], v[42:43], v[46:47]
	v_add_f64 v[44:45], v[6:7], v[44:45]
	v_mul_f64 v[6:7], v[16:17], v[12:13]
	v_fma_f64 v[8:9], v[16:17], v[10:11], v[8:9]
	v_fma_f64 v[6:7], v[14:15], v[10:11], -v[6:7]
	v_add_f64 v[20:21], v[8:9], v[20:21]
	v_add_f64 v[18:19], v[18:19], v[6:7]
	ds_read_b128 v[6:9], v24 offset:1024
	s_waitcnt lgkmcnt(0)
	v_mul_f64 v[10:11], v[36:37], v[8:9]
	v_mul_f64 v[12:13], v[34:35], v[8:9]
	v_fma_f64 v[10:11], v[34:35], v[6:7], -v[10:11]
	v_fma_f64 v[12:13], v[36:37], v[6:7], v[12:13]
	v_add_f64 v[26:27], v[26:27], v[10:11]
	v_add_f64 v[28:29], v[12:13], v[28:29]
	ds_read_b128 v[10:13], v24 offset:1280
	s_waitcnt lgkmcnt(0)
	v_mul_f64 v[14:15], v[36:37], v[12:13]
	v_mul_f64 v[16:17], v[34:35], v[12:13]
	v_fma_f64 v[14:15], v[34:35], v[10:11], -v[14:15]
	v_fma_f64 v[16:17], v[36:37], v[10:11], v[16:17]
	v_add_f64 v[30:31], v[30:31], v[14:15]
	v_add_f64 v[32:33], v[16:17], v[32:33]
	ds_read_b128 v[14:17], v25 offset:2080
	s_waitcnt lgkmcnt(0)
	v_mul_f64 v[34:35], v[16:17], v[8:9]
	v_mul_f64 v[8:9], v[14:15], v[8:9]
	v_fma_f64 v[34:35], v[14:15], v[6:7], -v[34:35]
	v_fma_f64 v[6:7], v[16:17], v[6:7], v[8:9]
	v_mul_f64 v[8:9], v[14:15], v[12:13]
	v_add_f64 v[34:35], v[42:43], v[34:35]
	v_add_f64 v[36:37], v[6:7], v[44:45]
	v_mul_f64 v[6:7], v[16:17], v[12:13]
	v_fma_f64 v[8:9], v[16:17], v[10:11], v[8:9]
	v_fma_f64 v[6:7], v[14:15], v[10:11], -v[6:7]
	v_add_f64 v[20:21], v[8:9], v[20:21]
	v_add_f64 v[18:19], v[18:19], v[6:7]
	ds_read_b128 v[6:9], v24 offset:1536
	s_waitcnt lgkmcnt(0)
	v_mul_f64 v[10:11], v[40:41], v[8:9]
	v_mul_f64 v[12:13], v[38:39], v[8:9]
	v_fma_f64 v[10:11], v[38:39], v[6:7], -v[10:11]
	v_fma_f64 v[12:13], v[40:41], v[6:7], v[12:13]
	v_add_f64 v[26:27], v[26:27], v[10:11]
	v_add_f64 v[28:29], v[12:13], v[28:29]
	ds_read_b128 v[10:13], v24 offset:1792
	s_waitcnt lgkmcnt(0)
	v_mul_f64 v[14:15], v[40:41], v[12:13]
	v_mul_f64 v[16:17], v[38:39], v[12:13]
	v_fma_f64 v[14:15], v[38:39], v[10:11], -v[14:15]
	v_fma_f64 v[16:17], v[40:41], v[10:11], v[16:17]
	v_add_f64 v[30:31], v[30:31], v[14:15]
	v_add_f64 v[32:33], v[16:17], v[32:33]
	ds_read_b128 v[14:17], v25 offset:2096
	s_waitcnt lgkmcnt(0)
	v_mul_f64 v[38:39], v[16:17], v[8:9]
	v_mul_f64 v[8:9], v[14:15], v[8:9]
	v_fma_f64 v[38:39], v[14:15], v[6:7], -v[38:39]
	v_fma_f64 v[6:7], v[16:17], v[6:7], v[8:9]
	v_mul_f64 v[8:9], v[14:15], v[12:13]
	v_add_f64 v[34:35], v[34:35], v[38:39]
	v_add_f64 v[36:37], v[6:7], v[36:37]
	v_mul_f64 v[6:7], v[16:17], v[12:13]
	v_fma_f64 v[8:9], v[16:17], v[10:11], v[8:9]
	v_fma_f64 v[6:7], v[14:15], v[10:11], -v[6:7]
	v_add_f64 v[20:21], v[8:9], v[20:21]
	v_add_f64 v[18:19], v[18:19], v[6:7]
	ds_read_b128 v[6:9], v25 offset:64
	ds_read_b128 v[10:13], v24 offset:2048
	s_waitcnt lgkmcnt(0)
	v_mul_f64 v[14:15], v[8:9], v[12:13]
	v_mul_f64 v[16:17], v[6:7], v[12:13]
	v_fma_f64 v[14:15], v[6:7], v[10:11], -v[14:15]
	v_fma_f64 v[16:17], v[8:9], v[10:11], v[16:17]
	v_add_f64 v[26:27], v[26:27], v[14:15]
	v_add_f64 v[28:29], v[16:17], v[28:29]
	ds_read_b128 v[14:17], v24 offset:2304
	s_waitcnt lgkmcnt(0)
	v_mul_f64 v[38:39], v[8:9], v[16:17]
	v_fma_f64 v[38:39], v[6:7], v[14:15], -v[38:39]
	v_mul_f64 v[6:7], v[6:7], v[16:17]
	v_add_f64 v[30:31], v[30:31], v[38:39]
	v_fma_f64 v[6:7], v[8:9], v[14:15], v[6:7]
	v_add_f64 v[32:33], v[6:7], v[32:33]
	ds_read_b128 v[6:9], v25 offset:2112
	s_waitcnt lgkmcnt(0)
	v_mul_f64 v[38:39], v[8:9], v[12:13]
	v_mul_f64 v[12:13], v[6:7], v[12:13]
	v_fma_f64 v[38:39], v[6:7], v[10:11], -v[38:39]
	v_fma_f64 v[10:11], v[8:9], v[10:11], v[12:13]
	v_add_f64 v[34:35], v[34:35], v[38:39]
	v_add_f64 v[36:37], v[10:11], v[36:37]
	v_mul_f64 v[10:11], v[8:9], v[16:17]
	v_fma_f64 v[10:11], v[6:7], v[14:15], -v[10:11]
	v_mul_f64 v[6:7], v[6:7], v[16:17]
	v_add_f64 v[18:19], v[18:19], v[10:11]
	v_fma_f64 v[6:7], v[8:9], v[14:15], v[6:7]
	v_add_f64 v[20:21], v[6:7], v[20:21]
	ds_read_b128 v[6:9], v25 offset:80
	ds_read_b128 v[10:13], v24 offset:2560
	s_waitcnt lgkmcnt(0)
	v_mul_f64 v[14:15], v[8:9], v[12:13]
	v_mul_f64 v[16:17], v[6:7], v[12:13]
	v_fma_f64 v[14:15], v[6:7], v[10:11], -v[14:15]
	v_fma_f64 v[16:17], v[8:9], v[10:11], v[16:17]
	v_add_f64 v[26:27], v[26:27], v[14:15]
	v_add_f64 v[28:29], v[16:17], v[28:29]
	ds_read_b128 v[14:17], v24 offset:2816
	s_waitcnt lgkmcnt(0)
	v_mul_f64 v[38:39], v[8:9], v[16:17]
	v_fma_f64 v[38:39], v[6:7], v[14:15], -v[38:39]
	v_mul_f64 v[6:7], v[6:7], v[16:17]
	v_add_f64 v[30:31], v[30:31], v[38:39]
	v_fma_f64 v[6:7], v[8:9], v[14:15], v[6:7]
	v_add_f64 v[32:33], v[6:7], v[32:33]
	ds_read_b128 v[6:9], v25 offset:2128
	s_waitcnt lgkmcnt(0)
	v_mul_f64 v[38:39], v[8:9], v[12:13]
	v_mul_f64 v[12:13], v[6:7], v[12:13]
	v_fma_f64 v[38:39], v[6:7], v[10:11], -v[38:39]
	v_fma_f64 v[10:11], v[8:9], v[10:11], v[12:13]
	v_add_f64 v[34:35], v[34:35], v[38:39]
	v_add_f64 v[36:37], v[10:11], v[36:37]
	v_mul_f64 v[10:11], v[8:9], v[16:17]
	v_fma_f64 v[10:11], v[6:7], v[14:15], -v[10:11]
	v_mul_f64 v[6:7], v[6:7], v[16:17]
	v_add_f64 v[18:19], v[18:19], v[10:11]
	v_fma_f64 v[6:7], v[8:9], v[14:15], v[6:7]
	v_add_f64 v[20:21], v[6:7], v[20:21]
	ds_read_b128 v[6:9], v25 offset:96
	;; [unrolled: 31-line block ×3, first 2 shown]
	ds_read_b128 v[14:17], v24 offset:3584
	s_waitcnt lgkmcnt(0)
	v_mul_f64 v[10:11], v[8:9], v[16:17]
	v_mul_f64 v[12:13], v[6:7], v[16:17]
	v_fma_f64 v[10:11], v[6:7], v[14:15], -v[10:11]
	v_fma_f64 v[12:13], v[8:9], v[14:15], v[12:13]
	v_add_f64 v[18:19], v[26:27], v[10:11]
	v_add_f64 v[20:21], v[12:13], v[28:29]
	ds_read_b128 v[26:29], v24 offset:3840
	s_waitcnt lgkmcnt(0)
	v_mul_f64 v[10:11], v[8:9], v[28:29]
	v_fma_f64 v[10:11], v[6:7], v[26:27], -v[10:11]
	v_mul_f64 v[6:7], v[6:7], v[28:29]
	v_fma_f64 v[8:9], v[8:9], v[26:27], v[6:7]
	v_add_f64 v[6:7], v[30:31], v[10:11]
	v_add_f64 v[12:13], v[8:9], v[32:33]
	ds_read_b128 v[8:11], v25 offset:2160
	s_waitcnt lgkmcnt(0)
	s_barrier
	v_mul_f64 v[30:31], v[10:11], v[16:17]
	v_mul_f64 v[16:17], v[8:9], v[16:17]
	v_fma_f64 v[30:31], v[8:9], v[14:15], -v[30:31]
	v_fma_f64 v[16:17], v[10:11], v[14:15], v[16:17]
	v_add_f64 v[14:15], v[34:35], v[30:31]
	v_mul_f64 v[30:31], v[10:11], v[28:29]
	v_add_f64 v[16:17], v[16:17], v[36:37]
	v_fma_f64 v[30:31], v[8:9], v[26:27], -v[30:31]
	v_mul_f64 v[8:9], v[8:9], v[28:29]
	v_fma_f64 v[10:11], v[10:11], v[26:27], v[8:9]
	v_add_f64 v[8:9], v[38:39], v[30:31]
	v_add_f64 v[10:11], v[10:11], v[40:41]
	s_cbranch_scc0 .LBB882_2
	s_branch .LBB882_4
.LBB882_3:
	v_mov_b32_e32 v18, 0
	v_mov_b32_e32 v20, 0
	;; [unrolled: 1-line block ×16, first 2 shown]
.LBB882_4:
	s_load_dword s3, s[4:5], 0x60
	v_add_u32_e32 v4, s7, v1
	s_waitcnt lgkmcnt(0)
	v_mov_b32_e32 v3, s11
	v_add_u32_e32 v0, s6, v0
	v_cmp_gt_i32_e32 vcc, s2, v4
	v_mad_i64_i32 v[1:2], s[0:1], v4, s3, 0
	v_lshlrev_b64 v[1:2], 4, v[1:2]
	v_add_co_u32_e64 v5, s[0:1], s10, v1
	v_addc_co_u32_e64 v22, s[0:1], v3, v2, s[0:1]
	v_cmp_le_i32_e64 s[0:1], v0, v4
	s_and_b64 s[0:1], vcc, s[0:1]
	s_and_saveexec_b64 s[4:5], s[0:1]
	s_cbranch_execz .LBB882_6
; %bb.5:
	v_ashrrev_i32_e32 v1, 31, v0
	v_lshlrev_b64 v[1:2], 4, v[0:1]
	v_mul_f64 v[27:28], s[12:13], v[20:21]
	v_add_co_u32_e64 v1, s[0:1], v5, v1
	v_addc_co_u32_e64 v2, s[0:1], v22, v2, s[0:1]
	flat_load_dwordx4 v[23:26], v[1:2]
	v_mul_f64 v[20:21], s[14:15], v[20:21]
	v_cmp_ne_u32_e64 s[0:1], v4, v0
	v_fma_f64 v[27:28], s[14:15], v[18:19], v[27:28]
	v_fma_f64 v[18:19], s[12:13], v[18:19], -v[20:21]
	s_waitcnt vmcnt(0) lgkmcnt(0)
	v_mul_f64 v[29:30], s[16:17], v[25:26]
	v_mul_f64 v[25:26], s[18:19], v[25:26]
	v_fma_f64 v[29:30], s[18:19], v[23:24], v[29:30]
	v_fma_f64 v[20:21], s[16:17], v[23:24], -v[25:26]
	v_add_f64 v[23:24], v[27:28], v[29:30]
	v_add_f64 v[18:19], v[18:19], v[20:21]
	v_cndmask_b32_e64 v21, 0, v24, s[0:1]
	v_cndmask_b32_e64 v20, 0, v23, s[0:1]
	flat_store_dwordx4 v[1:2], v[18:21]
.LBB882_6:
	s_or_b64 exec, exec, s[4:5]
	v_add_u32_e32 v2, 16, v0
	v_cmp_le_i32_e64 s[0:1], v2, v4
	s_and_b64 s[4:5], vcc, s[0:1]
	s_and_saveexec_b64 s[0:1], s[4:5]
	s_cbranch_execz .LBB882_8
; %bb.7:
	v_ashrrev_i32_e32 v3, 31, v2
	v_lshlrev_b64 v[18:19], 4, v[2:3]
	v_mul_f64 v[25:26], s[12:13], v[12:13]
	v_add_co_u32_e32 v23, vcc, v5, v18
	v_addc_co_u32_e32 v24, vcc, v22, v19, vcc
	flat_load_dwordx4 v[18:21], v[23:24]
	v_mul_f64 v[12:13], s[14:15], v[12:13]
	v_cmp_ne_u32_e32 vcc, v4, v2
	v_fma_f64 v[25:26], s[14:15], v[6:7], v[25:26]
	v_fma_f64 v[5:6], s[12:13], v[6:7], -v[12:13]
	s_waitcnt vmcnt(0) lgkmcnt(0)
	v_mul_f64 v[27:28], s[16:17], v[20:21]
	v_mul_f64 v[20:21], s[18:19], v[20:21]
	v_fma_f64 v[27:28], s[18:19], v[18:19], v[27:28]
	v_fma_f64 v[12:13], s[16:17], v[18:19], -v[20:21]
	v_add_f64 v[20:21], v[25:26], v[27:28]
	v_add_f64 v[18:19], v[5:6], v[12:13]
	v_cndmask_b32_e32 v21, 0, v21, vcc
	v_cndmask_b32_e32 v20, 0, v20, vcc
	flat_store_dwordx4 v[23:24], v[18:21]
.LBB882_8:
	s_or_b64 exec, exec, s[0:1]
	v_add_u32_e32 v3, 16, v4
	v_mad_i64_i32 v[5:6], s[0:1], v3, s3, 0
	v_mov_b32_e32 v1, s11
	v_cmp_gt_i32_e32 vcc, s2, v3
	v_lshlrev_b64 v[5:6], 4, v[5:6]
	v_add_co_u32_e64 v5, s[0:1], s10, v5
	v_addc_co_u32_e64 v6, s[0:1], v1, v6, s[0:1]
	v_cmp_le_i32_e64 s[0:1], v0, v3
	s_and_b64 s[0:1], vcc, s[0:1]
	s_and_saveexec_b64 s[2:3], s[0:1]
	s_cbranch_execz .LBB882_10
; %bb.9:
	v_ashrrev_i32_e32 v1, 31, v0
	v_lshlrev_b64 v[12:13], 4, v[0:1]
	v_add_co_u32_e64 v22, s[0:1], v5, v12
	v_addc_co_u32_e64 v23, s[0:1], v6, v13, s[0:1]
	flat_load_dwordx4 v[18:21], v[22:23]
	v_mul_f64 v[12:13], s[12:13], v[16:17]
	v_mul_f64 v[16:17], s[14:15], v[16:17]
	v_cmp_ne_u32_e64 s[0:1], v3, v0
	v_fma_f64 v[12:13], s[14:15], v[14:15], v[12:13]
	v_fma_f64 v[14:15], s[12:13], v[14:15], -v[16:17]
	s_waitcnt vmcnt(0) lgkmcnt(0)
	v_mul_f64 v[24:25], s[16:17], v[20:21]
	v_mul_f64 v[20:21], s[18:19], v[20:21]
	v_fma_f64 v[24:25], s[18:19], v[18:19], v[24:25]
	v_fma_f64 v[16:17], s[16:17], v[18:19], -v[20:21]
	v_add_f64 v[18:19], v[12:13], v[24:25]
	v_add_f64 v[12:13], v[14:15], v[16:17]
	v_cndmask_b32_e64 v15, 0, v19, s[0:1]
	v_cndmask_b32_e64 v14, 0, v18, s[0:1]
	flat_store_dwordx4 v[22:23], v[12:15]
.LBB882_10:
	s_or_b64 exec, exec, s[2:3]
	v_cmp_le_i32_e64 s[0:1], v2, v3
	s_and_b64 s[0:1], vcc, s[0:1]
	s_and_saveexec_b64 s[2:3], s[0:1]
	s_cbranch_execz .LBB882_12
; %bb.11:
	v_ashrrev_i32_e32 v3, 31, v2
	v_lshlrev_b64 v[1:2], 4, v[2:3]
	v_add_co_u32_e32 v5, vcc, v5, v1
	v_addc_co_u32_e32 v6, vcc, v6, v2, vcc
	flat_load_dwordx4 v[12:15], v[5:6]
	v_mul_f64 v[1:2], s[12:13], v[10:11]
	v_mul_f64 v[10:11], s[14:15], v[10:11]
	v_cmp_ne_u32_e32 vcc, v4, v0
	v_fma_f64 v[1:2], s[14:15], v[8:9], v[1:2]
	v_fma_f64 v[7:8], s[12:13], v[8:9], -v[10:11]
	s_waitcnt vmcnt(0) lgkmcnt(0)
	v_mul_f64 v[16:17], s[16:17], v[14:15]
	v_mul_f64 v[14:15], s[18:19], v[14:15]
	v_fma_f64 v[16:17], s[18:19], v[12:13], v[16:17]
	v_fma_f64 v[9:10], s[16:17], v[12:13], -v[14:15]
	v_add_f64 v[11:12], v[1:2], v[16:17]
	v_add_f64 v[1:2], v[7:8], v[9:10]
	v_cndmask_b32_e32 v4, 0, v12, vcc
	v_cndmask_b32_e32 v3, 0, v11, vcc
	flat_store_dwordx4 v[5:6], v[1:4]
.LBB882_12:
	s_endpgm
	.section	.rodata,"a",@progbits
	.p2align	6, 0x0
	.amdhsa_kernel _ZL37rocblas_syrkx_herkx_restricted_kernelIi19rocblas_complex_numIdELi16ELi32ELi8ELb0ELb1ELc84ELc85EKPKS1_KPS1_EviT_T0_PT8_S7_lSA_S7_lS8_PT9_S7_li
		.amdhsa_group_segment_fixed_size 8192
		.amdhsa_private_segment_fixed_size 0
		.amdhsa_kernarg_size 116
		.amdhsa_user_sgpr_count 6
		.amdhsa_user_sgpr_private_segment_buffer 1
		.amdhsa_user_sgpr_dispatch_ptr 0
		.amdhsa_user_sgpr_queue_ptr 0
		.amdhsa_user_sgpr_kernarg_segment_ptr 1
		.amdhsa_user_sgpr_dispatch_id 0
		.amdhsa_user_sgpr_flat_scratch_init 0
		.amdhsa_user_sgpr_private_segment_size 0
		.amdhsa_uses_dynamic_stack 0
		.amdhsa_system_sgpr_private_segment_wavefront_offset 0
		.amdhsa_system_sgpr_workgroup_id_x 1
		.amdhsa_system_sgpr_workgroup_id_y 1
		.amdhsa_system_sgpr_workgroup_id_z 1
		.amdhsa_system_sgpr_workgroup_info 0
		.amdhsa_system_vgpr_workitem_id 1
		.amdhsa_next_free_vgpr 54
		.amdhsa_next_free_sgpr 61
		.amdhsa_reserve_vcc 1
		.amdhsa_reserve_flat_scratch 0
		.amdhsa_float_round_mode_32 0
		.amdhsa_float_round_mode_16_64 0
		.amdhsa_float_denorm_mode_32 3
		.amdhsa_float_denorm_mode_16_64 3
		.amdhsa_dx10_clamp 1
		.amdhsa_ieee_mode 1
		.amdhsa_fp16_overflow 0
		.amdhsa_exception_fp_ieee_invalid_op 0
		.amdhsa_exception_fp_denorm_src 0
		.amdhsa_exception_fp_ieee_div_zero 0
		.amdhsa_exception_fp_ieee_overflow 0
		.amdhsa_exception_fp_ieee_underflow 0
		.amdhsa_exception_fp_ieee_inexact 0
		.amdhsa_exception_int_div_zero 0
	.end_amdhsa_kernel
	.section	.text._ZL37rocblas_syrkx_herkx_restricted_kernelIi19rocblas_complex_numIdELi16ELi32ELi8ELb0ELb1ELc84ELc85EKPKS1_KPS1_EviT_T0_PT8_S7_lSA_S7_lS8_PT9_S7_li,"axG",@progbits,_ZL37rocblas_syrkx_herkx_restricted_kernelIi19rocblas_complex_numIdELi16ELi32ELi8ELb0ELb1ELc84ELc85EKPKS1_KPS1_EviT_T0_PT8_S7_lSA_S7_lS8_PT9_S7_li,comdat
.Lfunc_end882:
	.size	_ZL37rocblas_syrkx_herkx_restricted_kernelIi19rocblas_complex_numIdELi16ELi32ELi8ELb0ELb1ELc84ELc85EKPKS1_KPS1_EviT_T0_PT8_S7_lSA_S7_lS8_PT9_S7_li, .Lfunc_end882-_ZL37rocblas_syrkx_herkx_restricted_kernelIi19rocblas_complex_numIdELi16ELi32ELi8ELb0ELb1ELc84ELc85EKPKS1_KPS1_EviT_T0_PT8_S7_lSA_S7_lS8_PT9_S7_li
                                        ; -- End function
	.set _ZL37rocblas_syrkx_herkx_restricted_kernelIi19rocblas_complex_numIdELi16ELi32ELi8ELb0ELb1ELc84ELc85EKPKS1_KPS1_EviT_T0_PT8_S7_lSA_S7_lS8_PT9_S7_li.num_vgpr, 54
	.set _ZL37rocblas_syrkx_herkx_restricted_kernelIi19rocblas_complex_numIdELi16ELi32ELi8ELb0ELb1ELc84ELc85EKPKS1_KPS1_EviT_T0_PT8_S7_lSA_S7_lS8_PT9_S7_li.num_agpr, 0
	.set _ZL37rocblas_syrkx_herkx_restricted_kernelIi19rocblas_complex_numIdELi16ELi32ELi8ELb0ELb1ELc84ELc85EKPKS1_KPS1_EviT_T0_PT8_S7_lSA_S7_lS8_PT9_S7_li.numbered_sgpr, 25
	.set _ZL37rocblas_syrkx_herkx_restricted_kernelIi19rocblas_complex_numIdELi16ELi32ELi8ELb0ELb1ELc84ELc85EKPKS1_KPS1_EviT_T0_PT8_S7_lSA_S7_lS8_PT9_S7_li.num_named_barrier, 0
	.set _ZL37rocblas_syrkx_herkx_restricted_kernelIi19rocblas_complex_numIdELi16ELi32ELi8ELb0ELb1ELc84ELc85EKPKS1_KPS1_EviT_T0_PT8_S7_lSA_S7_lS8_PT9_S7_li.private_seg_size, 0
	.set _ZL37rocblas_syrkx_herkx_restricted_kernelIi19rocblas_complex_numIdELi16ELi32ELi8ELb0ELb1ELc84ELc85EKPKS1_KPS1_EviT_T0_PT8_S7_lSA_S7_lS8_PT9_S7_li.uses_vcc, 1
	.set _ZL37rocblas_syrkx_herkx_restricted_kernelIi19rocblas_complex_numIdELi16ELi32ELi8ELb0ELb1ELc84ELc85EKPKS1_KPS1_EviT_T0_PT8_S7_lSA_S7_lS8_PT9_S7_li.uses_flat_scratch, 0
	.set _ZL37rocblas_syrkx_herkx_restricted_kernelIi19rocblas_complex_numIdELi16ELi32ELi8ELb0ELb1ELc84ELc85EKPKS1_KPS1_EviT_T0_PT8_S7_lSA_S7_lS8_PT9_S7_li.has_dyn_sized_stack, 0
	.set _ZL37rocblas_syrkx_herkx_restricted_kernelIi19rocblas_complex_numIdELi16ELi32ELi8ELb0ELb1ELc84ELc85EKPKS1_KPS1_EviT_T0_PT8_S7_lSA_S7_lS8_PT9_S7_li.has_recursion, 0
	.set _ZL37rocblas_syrkx_herkx_restricted_kernelIi19rocblas_complex_numIdELi16ELi32ELi8ELb0ELb1ELc84ELc85EKPKS1_KPS1_EviT_T0_PT8_S7_lSA_S7_lS8_PT9_S7_li.has_indirect_call, 0
	.section	.AMDGPU.csdata,"",@progbits
; Kernel info:
; codeLenInByte = 3176
; TotalNumSgprs: 29
; NumVgprs: 54
; ScratchSize: 0
; MemoryBound: 0
; FloatMode: 240
; IeeeMode: 1
; LDSByteSize: 8192 bytes/workgroup (compile time only)
; SGPRBlocks: 8
; VGPRBlocks: 13
; NumSGPRsForWavesPerEU: 65
; NumVGPRsForWavesPerEU: 54
; Occupancy: 4
; WaveLimiterHint : 1
; COMPUTE_PGM_RSRC2:SCRATCH_EN: 0
; COMPUTE_PGM_RSRC2:USER_SGPR: 6
; COMPUTE_PGM_RSRC2:TRAP_HANDLER: 0
; COMPUTE_PGM_RSRC2:TGID_X_EN: 1
; COMPUTE_PGM_RSRC2:TGID_Y_EN: 1
; COMPUTE_PGM_RSRC2:TGID_Z_EN: 1
; COMPUTE_PGM_RSRC2:TIDIG_COMP_CNT: 1
	.section	.text._ZL37rocblas_syrkx_herkx_restricted_kernelIi19rocblas_complex_numIdELi16ELi32ELi8ELb0ELb1ELc67ELc85EKPKS1_KPS1_EviT_T0_PT8_S7_lSA_S7_lS8_PT9_S7_li,"axG",@progbits,_ZL37rocblas_syrkx_herkx_restricted_kernelIi19rocblas_complex_numIdELi16ELi32ELi8ELb0ELb1ELc67ELc85EKPKS1_KPS1_EviT_T0_PT8_S7_lSA_S7_lS8_PT9_S7_li,comdat
	.globl	_ZL37rocblas_syrkx_herkx_restricted_kernelIi19rocblas_complex_numIdELi16ELi32ELi8ELb0ELb1ELc67ELc85EKPKS1_KPS1_EviT_T0_PT8_S7_lSA_S7_lS8_PT9_S7_li ; -- Begin function _ZL37rocblas_syrkx_herkx_restricted_kernelIi19rocblas_complex_numIdELi16ELi32ELi8ELb0ELb1ELc67ELc85EKPKS1_KPS1_EviT_T0_PT8_S7_lSA_S7_lS8_PT9_S7_li
	.p2align	8
	.type	_ZL37rocblas_syrkx_herkx_restricted_kernelIi19rocblas_complex_numIdELi16ELi32ELi8ELb0ELb1ELc67ELc85EKPKS1_KPS1_EviT_T0_PT8_S7_lSA_S7_lS8_PT9_S7_li,@function
_ZL37rocblas_syrkx_herkx_restricted_kernelIi19rocblas_complex_numIdELi16ELi32ELi8ELb0ELb1ELc67ELc85EKPKS1_KPS1_EviT_T0_PT8_S7_lSA_S7_lS8_PT9_S7_li: ; @_ZL37rocblas_syrkx_herkx_restricted_kernelIi19rocblas_complex_numIdELi16ELi32ELi8ELb0ELb1ELc67ELc85EKPKS1_KPS1_EviT_T0_PT8_S7_lSA_S7_lS8_PT9_S7_li
; %bb.0:
	s_load_dwordx2 s[2:3], s[4:5], 0x0
	s_load_dwordx4 s[12:15], s[4:5], 0x8
	s_load_dwordx2 s[10:11], s[4:5], 0x58
	s_load_dwordx2 s[0:1], s[4:5], 0x18
	s_load_dwordx4 s[16:19], s[4:5], 0x48
	s_mov_b32 s9, 0
	s_lshl_b64 s[20:21], s[8:9], 3
	s_waitcnt lgkmcnt(0)
	s_add_u32 s10, s10, s20
	s_addc_u32 s11, s11, s21
	s_load_dwordx2 s[10:11], s[10:11], 0x0
	s_lshl_b32 s6, s6, 5
	s_lshl_b32 s7, s7, 5
	s_cmp_lt_i32 s3, 1
	s_cbranch_scc1 .LBB883_3
; %bb.1:
	s_load_dword s8, s[4:5], 0x20
	s_load_dwordx2 s[22:23], s[4:5], 0x30
	s_load_dword s24, s[4:5], 0x38
	s_add_u32 s0, s0, s20
	v_lshl_add_u32 v3, v1, 4, v0
	s_addc_u32 s1, s1, s21
	v_lshrrev_b32_e32 v8, 3, v3
	s_waitcnt lgkmcnt(0)
	s_add_u32 s20, s22, s20
	v_lshrrev_b32_e32 v2, 5, v3
	v_and_b32_e32 v4, 7, v0
	v_and_b32_e32 v9, 31, v3
	v_add_u32_e32 v3, s7, v8
	v_mov_b32_e32 v5, 0
	s_addc_u32 s21, s23, s21
	v_mad_i64_i32 v[6:7], s[22:23], s24, v3, v[4:5]
	v_mov_b32_e32 v3, v5
	v_lshlrev_b32_e32 v5, 4, v9
	v_lshl_or_b32 v22, v2, 9, v5
	v_add_u32_e32 v5, s6, v9
	v_mad_i64_i32 v[2:3], s[22:23], s8, v5, v[2:3]
	s_load_dwordx2 s[0:1], s[0:1], 0x0
	v_lshlrev_b32_e32 v4, 4, v4
	s_load_dwordx2 s[20:21], s[20:21], 0x0
	v_lshlrev_b64 v[2:3], 4, v[2:3]
	v_lshl_or_b32 v4, v8, 7, v4
	v_add_u32_e32 v23, 0x1000, v4
	s_waitcnt lgkmcnt(0)
	v_mov_b32_e32 v4, s1
	v_add_co_u32_e32 v2, vcc, s0, v2
	v_addc_co_u32_e32 v3, vcc, v4, v3, vcc
	v_lshlrev_b64 v[4:5], 4, v[6:7]
	v_mov_b32_e32 v6, s21
	v_add_co_u32_e32 v4, vcc, s20, v4
	v_mov_b32_e32 v25, 0x1000
	v_addc_co_u32_e32 v5, vcc, v6, v5, vcc
	v_mov_b32_e32 v10, 0
	v_mov_b32_e32 v8, 0
	;; [unrolled: 1-line block ×8, first 2 shown]
	v_lshlrev_b32_e32 v24, 4, v0
	v_mov_b32_e32 v11, 0
	v_mov_b32_e32 v9, 0
	;; [unrolled: 1-line block ×8, first 2 shown]
	v_lshl_add_u32 v25, v1, 7, v25
.LBB883_2:                              ; =>This Inner Loop Header: Depth=1
	flat_load_dwordx4 v[26:29], v[2:3]
	v_add_co_u32_e32 v2, vcc, 0x80, v2
	v_addc_co_u32_e32 v3, vcc, 0, v3, vcc
	s_add_i32 s9, s9, 8
	s_cmp_ge_i32 s9, s3
	s_waitcnt vmcnt(0) lgkmcnt(0)
	v_xor_b32_e32 v29, 0x80000000, v29
	ds_write_b128 v22, v[26:29]
	flat_load_dwordx4 v[26:29], v[4:5]
	v_add_co_u32_e32 v4, vcc, 0x80, v4
	v_addc_co_u32_e32 v5, vcc, 0, v5, vcc
	s_waitcnt vmcnt(0) lgkmcnt(0)
	ds_write_b128 v23, v[26:29]
	s_waitcnt lgkmcnt(0)
	s_barrier
	ds_read_b128 v[26:29], v25
	ds_read_b128 v[30:33], v25 offset:16
	ds_read_b128 v[34:37], v25 offset:32
	;; [unrolled: 1-line block ×3, first 2 shown]
	ds_read_b128 v[42:45], v24
	s_waitcnt lgkmcnt(0)
	v_mul_f64 v[46:47], v[28:29], v[44:45]
	v_mul_f64 v[48:49], v[26:27], v[44:45]
	v_fma_f64 v[46:47], v[26:27], v[42:43], -v[46:47]
	v_fma_f64 v[48:49], v[28:29], v[42:43], v[48:49]
	v_add_f64 v[46:47], v[18:19], v[46:47]
	v_add_f64 v[48:49], v[48:49], v[20:21]
	ds_read_b128 v[18:21], v24 offset:256
	s_waitcnt lgkmcnt(0)
	v_mul_f64 v[50:51], v[28:29], v[20:21]
	v_fma_f64 v[50:51], v[26:27], v[18:19], -v[50:51]
	v_mul_f64 v[26:27], v[26:27], v[20:21]
	v_add_f64 v[50:51], v[6:7], v[50:51]
	v_fma_f64 v[26:27], v[28:29], v[18:19], v[26:27]
	v_add_f64 v[52:53], v[26:27], v[12:13]
	ds_read_b128 v[26:29], v25 offset:2048
	s_waitcnt lgkmcnt(0)
	v_mul_f64 v[6:7], v[28:29], v[44:45]
	v_mul_f64 v[12:13], v[26:27], v[44:45]
	v_fma_f64 v[6:7], v[26:27], v[42:43], -v[6:7]
	v_fma_f64 v[12:13], v[28:29], v[42:43], v[12:13]
	v_add_f64 v[42:43], v[14:15], v[6:7]
	v_mul_f64 v[6:7], v[28:29], v[20:21]
	v_add_f64 v[44:45], v[12:13], v[16:17]
	v_mul_f64 v[12:13], v[26:27], v[20:21]
	v_fma_f64 v[6:7], v[26:27], v[18:19], -v[6:7]
	v_fma_f64 v[12:13], v[28:29], v[18:19], v[12:13]
	v_add_f64 v[18:19], v[8:9], v[6:7]
	ds_read_b128 v[6:9], v24 offset:512
	v_add_f64 v[20:21], v[12:13], v[10:11]
	s_waitcnt lgkmcnt(0)
	v_mul_f64 v[10:11], v[32:33], v[8:9]
	v_mul_f64 v[12:13], v[30:31], v[8:9]
	v_fma_f64 v[10:11], v[30:31], v[6:7], -v[10:11]
	v_fma_f64 v[12:13], v[32:33], v[6:7], v[12:13]
	v_add_f64 v[26:27], v[46:47], v[10:11]
	v_add_f64 v[28:29], v[12:13], v[48:49]
	ds_read_b128 v[10:13], v24 offset:768
	s_waitcnt lgkmcnt(0)
	v_mul_f64 v[14:15], v[32:33], v[12:13]
	v_mul_f64 v[16:17], v[30:31], v[12:13]
	v_fma_f64 v[14:15], v[30:31], v[10:11], -v[14:15]
	v_fma_f64 v[16:17], v[32:33], v[10:11], v[16:17]
	v_add_f64 v[30:31], v[50:51], v[14:15]
	v_add_f64 v[32:33], v[16:17], v[52:53]
	ds_read_b128 v[14:17], v25 offset:2064
	s_waitcnt lgkmcnt(0)
	v_mul_f64 v[46:47], v[16:17], v[8:9]
	v_mul_f64 v[8:9], v[14:15], v[8:9]
	v_fma_f64 v[46:47], v[14:15], v[6:7], -v[46:47]
	v_fma_f64 v[6:7], v[16:17], v[6:7], v[8:9]
	v_mul_f64 v[8:9], v[14:15], v[12:13]
	v_add_f64 v[42:43], v[42:43], v[46:47]
	v_add_f64 v[44:45], v[6:7], v[44:45]
	v_mul_f64 v[6:7], v[16:17], v[12:13]
	v_fma_f64 v[8:9], v[16:17], v[10:11], v[8:9]
	v_fma_f64 v[6:7], v[14:15], v[10:11], -v[6:7]
	v_add_f64 v[20:21], v[8:9], v[20:21]
	v_add_f64 v[18:19], v[18:19], v[6:7]
	ds_read_b128 v[6:9], v24 offset:1024
	s_waitcnt lgkmcnt(0)
	v_mul_f64 v[10:11], v[36:37], v[8:9]
	v_mul_f64 v[12:13], v[34:35], v[8:9]
	v_fma_f64 v[10:11], v[34:35], v[6:7], -v[10:11]
	v_fma_f64 v[12:13], v[36:37], v[6:7], v[12:13]
	v_add_f64 v[26:27], v[26:27], v[10:11]
	v_add_f64 v[28:29], v[12:13], v[28:29]
	ds_read_b128 v[10:13], v24 offset:1280
	s_waitcnt lgkmcnt(0)
	v_mul_f64 v[14:15], v[36:37], v[12:13]
	v_mul_f64 v[16:17], v[34:35], v[12:13]
	v_fma_f64 v[14:15], v[34:35], v[10:11], -v[14:15]
	v_fma_f64 v[16:17], v[36:37], v[10:11], v[16:17]
	v_add_f64 v[30:31], v[30:31], v[14:15]
	v_add_f64 v[32:33], v[16:17], v[32:33]
	ds_read_b128 v[14:17], v25 offset:2080
	s_waitcnt lgkmcnt(0)
	v_mul_f64 v[34:35], v[16:17], v[8:9]
	v_mul_f64 v[8:9], v[14:15], v[8:9]
	v_fma_f64 v[34:35], v[14:15], v[6:7], -v[34:35]
	v_fma_f64 v[6:7], v[16:17], v[6:7], v[8:9]
	v_mul_f64 v[8:9], v[14:15], v[12:13]
	v_add_f64 v[34:35], v[42:43], v[34:35]
	v_add_f64 v[36:37], v[6:7], v[44:45]
	v_mul_f64 v[6:7], v[16:17], v[12:13]
	v_fma_f64 v[8:9], v[16:17], v[10:11], v[8:9]
	v_fma_f64 v[6:7], v[14:15], v[10:11], -v[6:7]
	v_add_f64 v[20:21], v[8:9], v[20:21]
	v_add_f64 v[18:19], v[18:19], v[6:7]
	ds_read_b128 v[6:9], v24 offset:1536
	;; [unrolled: 30-line block ×3, first 2 shown]
	ds_read_b128 v[10:13], v24 offset:2048
	s_waitcnt lgkmcnt(0)
	v_mul_f64 v[14:15], v[8:9], v[12:13]
	v_mul_f64 v[16:17], v[6:7], v[12:13]
	v_fma_f64 v[14:15], v[6:7], v[10:11], -v[14:15]
	v_fma_f64 v[16:17], v[8:9], v[10:11], v[16:17]
	v_add_f64 v[26:27], v[26:27], v[14:15]
	v_add_f64 v[28:29], v[16:17], v[28:29]
	ds_read_b128 v[14:17], v24 offset:2304
	s_waitcnt lgkmcnt(0)
	v_mul_f64 v[38:39], v[8:9], v[16:17]
	v_fma_f64 v[38:39], v[6:7], v[14:15], -v[38:39]
	v_mul_f64 v[6:7], v[6:7], v[16:17]
	v_add_f64 v[30:31], v[30:31], v[38:39]
	v_fma_f64 v[6:7], v[8:9], v[14:15], v[6:7]
	v_add_f64 v[32:33], v[6:7], v[32:33]
	ds_read_b128 v[6:9], v25 offset:2112
	s_waitcnt lgkmcnt(0)
	v_mul_f64 v[38:39], v[8:9], v[12:13]
	v_mul_f64 v[12:13], v[6:7], v[12:13]
	v_fma_f64 v[38:39], v[6:7], v[10:11], -v[38:39]
	v_fma_f64 v[10:11], v[8:9], v[10:11], v[12:13]
	v_add_f64 v[34:35], v[34:35], v[38:39]
	v_add_f64 v[36:37], v[10:11], v[36:37]
	v_mul_f64 v[10:11], v[8:9], v[16:17]
	v_fma_f64 v[10:11], v[6:7], v[14:15], -v[10:11]
	v_mul_f64 v[6:7], v[6:7], v[16:17]
	v_add_f64 v[18:19], v[18:19], v[10:11]
	v_fma_f64 v[6:7], v[8:9], v[14:15], v[6:7]
	v_add_f64 v[20:21], v[6:7], v[20:21]
	ds_read_b128 v[6:9], v25 offset:80
	ds_read_b128 v[10:13], v24 offset:2560
	s_waitcnt lgkmcnt(0)
	v_mul_f64 v[14:15], v[8:9], v[12:13]
	v_mul_f64 v[16:17], v[6:7], v[12:13]
	v_fma_f64 v[14:15], v[6:7], v[10:11], -v[14:15]
	v_fma_f64 v[16:17], v[8:9], v[10:11], v[16:17]
	v_add_f64 v[26:27], v[26:27], v[14:15]
	v_add_f64 v[28:29], v[16:17], v[28:29]
	ds_read_b128 v[14:17], v24 offset:2816
	s_waitcnt lgkmcnt(0)
	v_mul_f64 v[38:39], v[8:9], v[16:17]
	v_fma_f64 v[38:39], v[6:7], v[14:15], -v[38:39]
	v_mul_f64 v[6:7], v[6:7], v[16:17]
	v_add_f64 v[30:31], v[30:31], v[38:39]
	v_fma_f64 v[6:7], v[8:9], v[14:15], v[6:7]
	v_add_f64 v[32:33], v[6:7], v[32:33]
	ds_read_b128 v[6:9], v25 offset:2128
	s_waitcnt lgkmcnt(0)
	v_mul_f64 v[38:39], v[8:9], v[12:13]
	v_mul_f64 v[12:13], v[6:7], v[12:13]
	v_fma_f64 v[38:39], v[6:7], v[10:11], -v[38:39]
	v_fma_f64 v[10:11], v[8:9], v[10:11], v[12:13]
	v_add_f64 v[34:35], v[34:35], v[38:39]
	v_add_f64 v[36:37], v[10:11], v[36:37]
	v_mul_f64 v[10:11], v[8:9], v[16:17]
	v_fma_f64 v[10:11], v[6:7], v[14:15], -v[10:11]
	v_mul_f64 v[6:7], v[6:7], v[16:17]
	v_add_f64 v[18:19], v[18:19], v[10:11]
	v_fma_f64 v[6:7], v[8:9], v[14:15], v[6:7]
	v_add_f64 v[20:21], v[6:7], v[20:21]
	ds_read_b128 v[6:9], v25 offset:96
	;; [unrolled: 31-line block ×3, first 2 shown]
	ds_read_b128 v[14:17], v24 offset:3584
	s_waitcnt lgkmcnt(0)
	v_mul_f64 v[10:11], v[8:9], v[16:17]
	v_mul_f64 v[12:13], v[6:7], v[16:17]
	v_fma_f64 v[10:11], v[6:7], v[14:15], -v[10:11]
	v_fma_f64 v[12:13], v[8:9], v[14:15], v[12:13]
	v_add_f64 v[18:19], v[26:27], v[10:11]
	v_add_f64 v[20:21], v[12:13], v[28:29]
	ds_read_b128 v[26:29], v24 offset:3840
	s_waitcnt lgkmcnt(0)
	v_mul_f64 v[10:11], v[8:9], v[28:29]
	v_fma_f64 v[10:11], v[6:7], v[26:27], -v[10:11]
	v_mul_f64 v[6:7], v[6:7], v[28:29]
	v_fma_f64 v[8:9], v[8:9], v[26:27], v[6:7]
	v_add_f64 v[6:7], v[30:31], v[10:11]
	v_add_f64 v[12:13], v[8:9], v[32:33]
	ds_read_b128 v[8:11], v25 offset:2160
	s_waitcnt lgkmcnt(0)
	s_barrier
	v_mul_f64 v[30:31], v[10:11], v[16:17]
	v_mul_f64 v[16:17], v[8:9], v[16:17]
	v_fma_f64 v[30:31], v[8:9], v[14:15], -v[30:31]
	v_fma_f64 v[16:17], v[10:11], v[14:15], v[16:17]
	v_add_f64 v[14:15], v[34:35], v[30:31]
	v_mul_f64 v[30:31], v[10:11], v[28:29]
	v_add_f64 v[16:17], v[16:17], v[36:37]
	v_fma_f64 v[30:31], v[8:9], v[26:27], -v[30:31]
	v_mul_f64 v[8:9], v[8:9], v[28:29]
	v_fma_f64 v[10:11], v[10:11], v[26:27], v[8:9]
	v_add_f64 v[8:9], v[38:39], v[30:31]
	v_add_f64 v[10:11], v[10:11], v[40:41]
	s_cbranch_scc0 .LBB883_2
	s_branch .LBB883_4
.LBB883_3:
	v_mov_b32_e32 v18, 0
	v_mov_b32_e32 v20, 0
	;; [unrolled: 1-line block ×16, first 2 shown]
.LBB883_4:
	s_load_dword s3, s[4:5], 0x60
	v_add_u32_e32 v4, s7, v1
	s_waitcnt lgkmcnt(0)
	v_mov_b32_e32 v3, s11
	v_add_u32_e32 v0, s6, v0
	v_cmp_gt_i32_e32 vcc, s2, v4
	v_mad_i64_i32 v[1:2], s[0:1], v4, s3, 0
	v_lshlrev_b64 v[1:2], 4, v[1:2]
	v_add_co_u32_e64 v5, s[0:1], s10, v1
	v_addc_co_u32_e64 v22, s[0:1], v3, v2, s[0:1]
	v_cmp_le_i32_e64 s[0:1], v0, v4
	s_and_b64 s[0:1], vcc, s[0:1]
	s_and_saveexec_b64 s[4:5], s[0:1]
	s_cbranch_execz .LBB883_6
; %bb.5:
	v_ashrrev_i32_e32 v1, 31, v0
	v_lshlrev_b64 v[1:2], 4, v[0:1]
	v_mul_f64 v[27:28], s[12:13], v[20:21]
	v_add_co_u32_e64 v1, s[0:1], v5, v1
	v_addc_co_u32_e64 v2, s[0:1], v22, v2, s[0:1]
	flat_load_dwordx4 v[23:26], v[1:2]
	v_mul_f64 v[20:21], s[14:15], v[20:21]
	v_cmp_ne_u32_e64 s[0:1], v4, v0
	v_fma_f64 v[27:28], s[14:15], v[18:19], v[27:28]
	v_fma_f64 v[18:19], s[12:13], v[18:19], -v[20:21]
	s_waitcnt vmcnt(0) lgkmcnt(0)
	v_mul_f64 v[29:30], s[16:17], v[25:26]
	v_mul_f64 v[25:26], s[18:19], v[25:26]
	v_fma_f64 v[29:30], s[18:19], v[23:24], v[29:30]
	v_fma_f64 v[20:21], s[16:17], v[23:24], -v[25:26]
	v_add_f64 v[23:24], v[27:28], v[29:30]
	v_add_f64 v[18:19], v[18:19], v[20:21]
	v_cndmask_b32_e64 v21, 0, v24, s[0:1]
	v_cndmask_b32_e64 v20, 0, v23, s[0:1]
	flat_store_dwordx4 v[1:2], v[18:21]
.LBB883_6:
	s_or_b64 exec, exec, s[4:5]
	v_add_u32_e32 v2, 16, v0
	v_cmp_le_i32_e64 s[0:1], v2, v4
	s_and_b64 s[4:5], vcc, s[0:1]
	s_and_saveexec_b64 s[0:1], s[4:5]
	s_cbranch_execz .LBB883_8
; %bb.7:
	v_ashrrev_i32_e32 v3, 31, v2
	v_lshlrev_b64 v[18:19], 4, v[2:3]
	v_mul_f64 v[25:26], s[12:13], v[12:13]
	v_add_co_u32_e32 v23, vcc, v5, v18
	v_addc_co_u32_e32 v24, vcc, v22, v19, vcc
	flat_load_dwordx4 v[18:21], v[23:24]
	v_mul_f64 v[12:13], s[14:15], v[12:13]
	v_cmp_ne_u32_e32 vcc, v4, v2
	v_fma_f64 v[25:26], s[14:15], v[6:7], v[25:26]
	v_fma_f64 v[5:6], s[12:13], v[6:7], -v[12:13]
	s_waitcnt vmcnt(0) lgkmcnt(0)
	v_mul_f64 v[27:28], s[16:17], v[20:21]
	v_mul_f64 v[20:21], s[18:19], v[20:21]
	v_fma_f64 v[27:28], s[18:19], v[18:19], v[27:28]
	v_fma_f64 v[12:13], s[16:17], v[18:19], -v[20:21]
	v_add_f64 v[20:21], v[25:26], v[27:28]
	v_add_f64 v[18:19], v[5:6], v[12:13]
	v_cndmask_b32_e32 v21, 0, v21, vcc
	v_cndmask_b32_e32 v20, 0, v20, vcc
	flat_store_dwordx4 v[23:24], v[18:21]
.LBB883_8:
	s_or_b64 exec, exec, s[0:1]
	v_add_u32_e32 v3, 16, v4
	v_mad_i64_i32 v[5:6], s[0:1], v3, s3, 0
	v_mov_b32_e32 v1, s11
	v_cmp_gt_i32_e32 vcc, s2, v3
	v_lshlrev_b64 v[5:6], 4, v[5:6]
	v_add_co_u32_e64 v5, s[0:1], s10, v5
	v_addc_co_u32_e64 v6, s[0:1], v1, v6, s[0:1]
	v_cmp_le_i32_e64 s[0:1], v0, v3
	s_and_b64 s[0:1], vcc, s[0:1]
	s_and_saveexec_b64 s[2:3], s[0:1]
	s_cbranch_execz .LBB883_10
; %bb.9:
	v_ashrrev_i32_e32 v1, 31, v0
	v_lshlrev_b64 v[12:13], 4, v[0:1]
	v_add_co_u32_e64 v22, s[0:1], v5, v12
	v_addc_co_u32_e64 v23, s[0:1], v6, v13, s[0:1]
	flat_load_dwordx4 v[18:21], v[22:23]
	v_mul_f64 v[12:13], s[12:13], v[16:17]
	v_mul_f64 v[16:17], s[14:15], v[16:17]
	v_cmp_ne_u32_e64 s[0:1], v3, v0
	v_fma_f64 v[12:13], s[14:15], v[14:15], v[12:13]
	v_fma_f64 v[14:15], s[12:13], v[14:15], -v[16:17]
	s_waitcnt vmcnt(0) lgkmcnt(0)
	v_mul_f64 v[24:25], s[16:17], v[20:21]
	v_mul_f64 v[20:21], s[18:19], v[20:21]
	v_fma_f64 v[24:25], s[18:19], v[18:19], v[24:25]
	v_fma_f64 v[16:17], s[16:17], v[18:19], -v[20:21]
	v_add_f64 v[18:19], v[12:13], v[24:25]
	v_add_f64 v[12:13], v[14:15], v[16:17]
	v_cndmask_b32_e64 v15, 0, v19, s[0:1]
	v_cndmask_b32_e64 v14, 0, v18, s[0:1]
	flat_store_dwordx4 v[22:23], v[12:15]
.LBB883_10:
	s_or_b64 exec, exec, s[2:3]
	v_cmp_le_i32_e64 s[0:1], v2, v3
	s_and_b64 s[0:1], vcc, s[0:1]
	s_and_saveexec_b64 s[2:3], s[0:1]
	s_cbranch_execz .LBB883_12
; %bb.11:
	v_ashrrev_i32_e32 v3, 31, v2
	v_lshlrev_b64 v[1:2], 4, v[2:3]
	v_add_co_u32_e32 v5, vcc, v5, v1
	v_addc_co_u32_e32 v6, vcc, v6, v2, vcc
	flat_load_dwordx4 v[12:15], v[5:6]
	v_mul_f64 v[1:2], s[12:13], v[10:11]
	v_mul_f64 v[10:11], s[14:15], v[10:11]
	v_cmp_ne_u32_e32 vcc, v4, v0
	v_fma_f64 v[1:2], s[14:15], v[8:9], v[1:2]
	v_fma_f64 v[7:8], s[12:13], v[8:9], -v[10:11]
	s_waitcnt vmcnt(0) lgkmcnt(0)
	v_mul_f64 v[16:17], s[16:17], v[14:15]
	v_mul_f64 v[14:15], s[18:19], v[14:15]
	v_fma_f64 v[16:17], s[18:19], v[12:13], v[16:17]
	v_fma_f64 v[9:10], s[16:17], v[12:13], -v[14:15]
	v_add_f64 v[11:12], v[1:2], v[16:17]
	v_add_f64 v[1:2], v[7:8], v[9:10]
	v_cndmask_b32_e32 v4, 0, v12, vcc
	v_cndmask_b32_e32 v3, 0, v11, vcc
	flat_store_dwordx4 v[5:6], v[1:4]
.LBB883_12:
	s_endpgm
	.section	.rodata,"a",@progbits
	.p2align	6, 0x0
	.amdhsa_kernel _ZL37rocblas_syrkx_herkx_restricted_kernelIi19rocblas_complex_numIdELi16ELi32ELi8ELb0ELb1ELc67ELc85EKPKS1_KPS1_EviT_T0_PT8_S7_lSA_S7_lS8_PT9_S7_li
		.amdhsa_group_segment_fixed_size 8192
		.amdhsa_private_segment_fixed_size 0
		.amdhsa_kernarg_size 116
		.amdhsa_user_sgpr_count 6
		.amdhsa_user_sgpr_private_segment_buffer 1
		.amdhsa_user_sgpr_dispatch_ptr 0
		.amdhsa_user_sgpr_queue_ptr 0
		.amdhsa_user_sgpr_kernarg_segment_ptr 1
		.amdhsa_user_sgpr_dispatch_id 0
		.amdhsa_user_sgpr_flat_scratch_init 0
		.amdhsa_user_sgpr_private_segment_size 0
		.amdhsa_uses_dynamic_stack 0
		.amdhsa_system_sgpr_private_segment_wavefront_offset 0
		.amdhsa_system_sgpr_workgroup_id_x 1
		.amdhsa_system_sgpr_workgroup_id_y 1
		.amdhsa_system_sgpr_workgroup_id_z 1
		.amdhsa_system_sgpr_workgroup_info 0
		.amdhsa_system_vgpr_workitem_id 1
		.amdhsa_next_free_vgpr 54
		.amdhsa_next_free_sgpr 61
		.amdhsa_reserve_vcc 1
		.amdhsa_reserve_flat_scratch 0
		.amdhsa_float_round_mode_32 0
		.amdhsa_float_round_mode_16_64 0
		.amdhsa_float_denorm_mode_32 3
		.amdhsa_float_denorm_mode_16_64 3
		.amdhsa_dx10_clamp 1
		.amdhsa_ieee_mode 1
		.amdhsa_fp16_overflow 0
		.amdhsa_exception_fp_ieee_invalid_op 0
		.amdhsa_exception_fp_denorm_src 0
		.amdhsa_exception_fp_ieee_div_zero 0
		.amdhsa_exception_fp_ieee_overflow 0
		.amdhsa_exception_fp_ieee_underflow 0
		.amdhsa_exception_fp_ieee_inexact 0
		.amdhsa_exception_int_div_zero 0
	.end_amdhsa_kernel
	.section	.text._ZL37rocblas_syrkx_herkx_restricted_kernelIi19rocblas_complex_numIdELi16ELi32ELi8ELb0ELb1ELc67ELc85EKPKS1_KPS1_EviT_T0_PT8_S7_lSA_S7_lS8_PT9_S7_li,"axG",@progbits,_ZL37rocblas_syrkx_herkx_restricted_kernelIi19rocblas_complex_numIdELi16ELi32ELi8ELb0ELb1ELc67ELc85EKPKS1_KPS1_EviT_T0_PT8_S7_lSA_S7_lS8_PT9_S7_li,comdat
.Lfunc_end883:
	.size	_ZL37rocblas_syrkx_herkx_restricted_kernelIi19rocblas_complex_numIdELi16ELi32ELi8ELb0ELb1ELc67ELc85EKPKS1_KPS1_EviT_T0_PT8_S7_lSA_S7_lS8_PT9_S7_li, .Lfunc_end883-_ZL37rocblas_syrkx_herkx_restricted_kernelIi19rocblas_complex_numIdELi16ELi32ELi8ELb0ELb1ELc67ELc85EKPKS1_KPS1_EviT_T0_PT8_S7_lSA_S7_lS8_PT9_S7_li
                                        ; -- End function
	.set _ZL37rocblas_syrkx_herkx_restricted_kernelIi19rocblas_complex_numIdELi16ELi32ELi8ELb0ELb1ELc67ELc85EKPKS1_KPS1_EviT_T0_PT8_S7_lSA_S7_lS8_PT9_S7_li.num_vgpr, 54
	.set _ZL37rocblas_syrkx_herkx_restricted_kernelIi19rocblas_complex_numIdELi16ELi32ELi8ELb0ELb1ELc67ELc85EKPKS1_KPS1_EviT_T0_PT8_S7_lSA_S7_lS8_PT9_S7_li.num_agpr, 0
	.set _ZL37rocblas_syrkx_herkx_restricted_kernelIi19rocblas_complex_numIdELi16ELi32ELi8ELb0ELb1ELc67ELc85EKPKS1_KPS1_EviT_T0_PT8_S7_lSA_S7_lS8_PT9_S7_li.numbered_sgpr, 25
	.set _ZL37rocblas_syrkx_herkx_restricted_kernelIi19rocblas_complex_numIdELi16ELi32ELi8ELb0ELb1ELc67ELc85EKPKS1_KPS1_EviT_T0_PT8_S7_lSA_S7_lS8_PT9_S7_li.num_named_barrier, 0
	.set _ZL37rocblas_syrkx_herkx_restricted_kernelIi19rocblas_complex_numIdELi16ELi32ELi8ELb0ELb1ELc67ELc85EKPKS1_KPS1_EviT_T0_PT8_S7_lSA_S7_lS8_PT9_S7_li.private_seg_size, 0
	.set _ZL37rocblas_syrkx_herkx_restricted_kernelIi19rocblas_complex_numIdELi16ELi32ELi8ELb0ELb1ELc67ELc85EKPKS1_KPS1_EviT_T0_PT8_S7_lSA_S7_lS8_PT9_S7_li.uses_vcc, 1
	.set _ZL37rocblas_syrkx_herkx_restricted_kernelIi19rocblas_complex_numIdELi16ELi32ELi8ELb0ELb1ELc67ELc85EKPKS1_KPS1_EviT_T0_PT8_S7_lSA_S7_lS8_PT9_S7_li.uses_flat_scratch, 0
	.set _ZL37rocblas_syrkx_herkx_restricted_kernelIi19rocblas_complex_numIdELi16ELi32ELi8ELb0ELb1ELc67ELc85EKPKS1_KPS1_EviT_T0_PT8_S7_lSA_S7_lS8_PT9_S7_li.has_dyn_sized_stack, 0
	.set _ZL37rocblas_syrkx_herkx_restricted_kernelIi19rocblas_complex_numIdELi16ELi32ELi8ELb0ELb1ELc67ELc85EKPKS1_KPS1_EviT_T0_PT8_S7_lSA_S7_lS8_PT9_S7_li.has_recursion, 0
	.set _ZL37rocblas_syrkx_herkx_restricted_kernelIi19rocblas_complex_numIdELi16ELi32ELi8ELb0ELb1ELc67ELc85EKPKS1_KPS1_EviT_T0_PT8_S7_lSA_S7_lS8_PT9_S7_li.has_indirect_call, 0
	.section	.AMDGPU.csdata,"",@progbits
; Kernel info:
; codeLenInByte = 3184
; TotalNumSgprs: 29
; NumVgprs: 54
; ScratchSize: 0
; MemoryBound: 0
; FloatMode: 240
; IeeeMode: 1
; LDSByteSize: 8192 bytes/workgroup (compile time only)
; SGPRBlocks: 8
; VGPRBlocks: 13
; NumSGPRsForWavesPerEU: 65
; NumVGPRsForWavesPerEU: 54
; Occupancy: 4
; WaveLimiterHint : 1
; COMPUTE_PGM_RSRC2:SCRATCH_EN: 0
; COMPUTE_PGM_RSRC2:USER_SGPR: 6
; COMPUTE_PGM_RSRC2:TRAP_HANDLER: 0
; COMPUTE_PGM_RSRC2:TGID_X_EN: 1
; COMPUTE_PGM_RSRC2:TGID_Y_EN: 1
; COMPUTE_PGM_RSRC2:TGID_Z_EN: 1
; COMPUTE_PGM_RSRC2:TIDIG_COMP_CNT: 1
	.section	.text._ZL37rocblas_syrkx_herkx_restricted_kernelIi19rocblas_complex_numIdELi16ELi32ELi8ELb0ELb1ELc78ELc85EKPKS1_KPS1_EviT_T0_PT8_S7_lSA_S7_lS8_PT9_S7_li,"axG",@progbits,_ZL37rocblas_syrkx_herkx_restricted_kernelIi19rocblas_complex_numIdELi16ELi32ELi8ELb0ELb1ELc78ELc85EKPKS1_KPS1_EviT_T0_PT8_S7_lSA_S7_lS8_PT9_S7_li,comdat
	.globl	_ZL37rocblas_syrkx_herkx_restricted_kernelIi19rocblas_complex_numIdELi16ELi32ELi8ELb0ELb1ELc78ELc85EKPKS1_KPS1_EviT_T0_PT8_S7_lSA_S7_lS8_PT9_S7_li ; -- Begin function _ZL37rocblas_syrkx_herkx_restricted_kernelIi19rocblas_complex_numIdELi16ELi32ELi8ELb0ELb1ELc78ELc85EKPKS1_KPS1_EviT_T0_PT8_S7_lSA_S7_lS8_PT9_S7_li
	.p2align	8
	.type	_ZL37rocblas_syrkx_herkx_restricted_kernelIi19rocblas_complex_numIdELi16ELi32ELi8ELb0ELb1ELc78ELc85EKPKS1_KPS1_EviT_T0_PT8_S7_lSA_S7_lS8_PT9_S7_li,@function
_ZL37rocblas_syrkx_herkx_restricted_kernelIi19rocblas_complex_numIdELi16ELi32ELi8ELb0ELb1ELc78ELc85EKPKS1_KPS1_EviT_T0_PT8_S7_lSA_S7_lS8_PT9_S7_li: ; @_ZL37rocblas_syrkx_herkx_restricted_kernelIi19rocblas_complex_numIdELi16ELi32ELi8ELb0ELb1ELc78ELc85EKPKS1_KPS1_EviT_T0_PT8_S7_lSA_S7_lS8_PT9_S7_li
; %bb.0:
	s_load_dwordx2 s[2:3], s[4:5], 0x0
	s_load_dwordx4 s[12:15], s[4:5], 0x8
	s_load_dwordx2 s[10:11], s[4:5], 0x58
	s_load_dwordx2 s[0:1], s[4:5], 0x18
	s_load_dwordx4 s[16:19], s[4:5], 0x48
	s_mov_b32 s9, 0
	s_lshl_b64 s[20:21], s[8:9], 3
	s_waitcnt lgkmcnt(0)
	s_add_u32 s10, s10, s20
	s_addc_u32 s11, s11, s21
	s_load_dwordx2 s[10:11], s[10:11], 0x0
	s_lshl_b32 s8, s6, 5
	s_lshl_b32 s22, s7, 5
	s_cmp_lt_i32 s3, 1
	s_cbranch_scc1 .LBB884_3
; %bb.1:
	s_load_dword s6, s[4:5], 0x20
	s_load_dword s24, s[4:5], 0x38
	s_load_dwordx2 s[26:27], s[4:5], 0x30
	v_lshl_add_u32 v2, v1, 4, v0
	v_lshrrev_b32_e32 v6, 3, v2
	s_waitcnt lgkmcnt(0)
	s_ashr_i32 s7, s6, 31
	s_ashr_i32 s25, s24, 31
	s_add_u32 s0, s0, s20
	s_addc_u32 s1, s1, s21
	v_lshrrev_b32_e32 v7, 5, v2
	v_and_b32_e32 v9, 31, v2
	v_add_u32_e32 v2, s22, v6
	s_add_u32 s20, s26, s20
	v_and_b32_e32 v8, 7, v0
	v_ashrrev_i32_e32 v3, 31, v2
	s_addc_u32 s21, s27, s21
	v_mad_i64_i32 v[4:5], s[26:27], s24, v8, v[2:3]
	v_lshlrev_b32_e32 v2, 4, v9
	v_lshl_or_b32 v22, v7, 9, v2
	v_lshlrev_b32_e32 v2, 4, v8
	v_lshl_or_b32 v2, v6, 7, v2
	v_add_u32_e32 v23, 0x1000, v2
	v_add_u32_e32 v2, s8, v9
	v_ashrrev_i32_e32 v3, 31, v2
	v_mad_i64_i32 v[2:3], s[26:27], s6, v7, v[2:3]
	s_load_dwordx2 s[0:1], s[0:1], 0x0
	v_mov_b32_e32 v6, 0x1000
	s_load_dwordx2 s[20:21], s[20:21], 0x0
	v_lshlrev_b64 v[2:3], 4, v[2:3]
	v_lshl_add_u32 v25, v1, 7, v6
	s_waitcnt lgkmcnt(0)
	v_mov_b32_e32 v6, s1
	v_add_co_u32_e32 v2, vcc, s0, v2
	v_lshlrev_b64 v[4:5], 4, v[4:5]
	v_addc_co_u32_e32 v3, vcc, v6, v3, vcc
	v_mov_b32_e32 v6, s21
	v_add_co_u32_e32 v4, vcc, s20, v4
	s_lshl_b64 s[0:1], s[6:7], 7
	v_addc_co_u32_e32 v5, vcc, v6, v5, vcc
	s_lshl_b64 s[6:7], s[24:25], 7
	v_mov_b32_e32 v6, 0
	v_mov_b32_e32 v8, 0
	;; [unrolled: 1-line block ×8, first 2 shown]
	v_lshlrev_b32_e32 v24, 4, v0
	v_mov_b32_e32 v7, 0
	v_mov_b32_e32 v26, s1
	;; [unrolled: 1-line block ×10, first 2 shown]
.LBB884_2:                              ; =>This Inner Loop Header: Depth=1
	flat_load_dwordx4 v[28:31], v[2:3]
	v_add_co_u32_e32 v2, vcc, s0, v2
	v_addc_co_u32_e32 v3, vcc, v3, v26, vcc
	s_add_i32 s9, s9, 8
	s_cmp_ge_i32 s9, s3
	s_waitcnt vmcnt(0) lgkmcnt(0)
	ds_write_b128 v22, v[28:31]
	flat_load_dwordx4 v[28:31], v[4:5]
	v_add_co_u32_e32 v4, vcc, s6, v4
	v_addc_co_u32_e32 v5, vcc, v5, v27, vcc
	s_waitcnt vmcnt(0) lgkmcnt(0)
	v_xor_b32_e32 v31, 0x80000000, v31
	ds_write_b128 v23, v[28:31]
	s_waitcnt lgkmcnt(0)
	s_barrier
	ds_read_b128 v[28:31], v25
	ds_read_b128 v[32:35], v25 offset:16
	ds_read_b128 v[36:39], v25 offset:32
	;; [unrolled: 1-line block ×3, first 2 shown]
	ds_read_b128 v[44:47], v24
	s_waitcnt lgkmcnt(0)
	v_mul_f64 v[48:49], v[30:31], v[46:47]
	v_mul_f64 v[50:51], v[28:29], v[46:47]
	v_fma_f64 v[48:49], v[28:29], v[44:45], -v[48:49]
	v_fma_f64 v[50:51], v[30:31], v[44:45], v[50:51]
	v_add_f64 v[48:49], v[18:19], v[48:49]
	v_add_f64 v[50:51], v[50:51], v[20:21]
	ds_read_b128 v[18:21], v24 offset:256
	s_waitcnt lgkmcnt(0)
	v_mul_f64 v[52:53], v[30:31], v[20:21]
	v_fma_f64 v[52:53], v[28:29], v[18:19], -v[52:53]
	v_mul_f64 v[28:29], v[28:29], v[20:21]
	v_fma_f64 v[28:29], v[30:31], v[18:19], v[28:29]
	v_add_f64 v[30:31], v[10:11], v[52:53]
	v_add_f64 v[28:29], v[28:29], v[12:13]
	ds_read_b128 v[10:13], v25 offset:2048
	s_waitcnt lgkmcnt(0)
	v_mul_f64 v[52:53], v[12:13], v[46:47]
	v_mul_f64 v[46:47], v[10:11], v[46:47]
	v_fma_f64 v[52:53], v[10:11], v[44:45], -v[52:53]
	v_fma_f64 v[44:45], v[12:13], v[44:45], v[46:47]
	v_add_f64 v[46:47], v[14:15], v[52:53]
	v_mul_f64 v[14:15], v[12:13], v[20:21]
	v_add_f64 v[44:45], v[44:45], v[16:17]
	v_fma_f64 v[14:15], v[10:11], v[18:19], -v[14:15]
	v_mul_f64 v[10:11], v[10:11], v[20:21]
	v_fma_f64 v[10:11], v[12:13], v[18:19], v[10:11]
	v_add_f64 v[18:19], v[8:9], v[14:15]
	v_add_f64 v[20:21], v[10:11], v[6:7]
	ds_read_b128 v[6:9], v24 offset:512
	s_waitcnt lgkmcnt(0)
	v_mul_f64 v[10:11], v[34:35], v[8:9]
	v_mul_f64 v[12:13], v[32:33], v[8:9]
	v_fma_f64 v[10:11], v[32:33], v[6:7], -v[10:11]
	v_fma_f64 v[12:13], v[34:35], v[6:7], v[12:13]
	v_add_f64 v[48:49], v[48:49], v[10:11]
	v_add_f64 v[50:51], v[12:13], v[50:51]
	ds_read_b128 v[10:13], v24 offset:768
	s_waitcnt lgkmcnt(0)
	v_mul_f64 v[14:15], v[34:35], v[12:13]
	v_mul_f64 v[16:17], v[32:33], v[12:13]
	v_fma_f64 v[14:15], v[32:33], v[10:11], -v[14:15]
	;; [unrolled: 8-line block ×3, first 2 shown]
	v_fma_f64 v[6:7], v[16:17], v[6:7], v[8:9]
	v_mul_f64 v[8:9], v[14:15], v[12:13]
	v_add_f64 v[32:33], v[46:47], v[32:33]
	v_add_f64 v[34:35], v[6:7], v[44:45]
	v_mul_f64 v[6:7], v[16:17], v[12:13]
	v_fma_f64 v[8:9], v[16:17], v[10:11], v[8:9]
	v_fma_f64 v[6:7], v[14:15], v[10:11], -v[6:7]
	v_add_f64 v[20:21], v[8:9], v[20:21]
	v_add_f64 v[18:19], v[18:19], v[6:7]
	ds_read_b128 v[6:9], v24 offset:1024
	s_waitcnt lgkmcnt(0)
	v_mul_f64 v[10:11], v[38:39], v[8:9]
	v_mul_f64 v[12:13], v[36:37], v[8:9]
	v_fma_f64 v[10:11], v[36:37], v[6:7], -v[10:11]
	v_fma_f64 v[12:13], v[38:39], v[6:7], v[12:13]
	v_add_f64 v[44:45], v[48:49], v[10:11]
	v_add_f64 v[46:47], v[12:13], v[50:51]
	ds_read_b128 v[10:13], v24 offset:1280
	s_waitcnt lgkmcnt(0)
	v_mul_f64 v[14:15], v[38:39], v[12:13]
	v_mul_f64 v[16:17], v[36:37], v[12:13]
	v_fma_f64 v[14:15], v[36:37], v[10:11], -v[14:15]
	v_fma_f64 v[16:17], v[38:39], v[10:11], v[16:17]
	;; [unrolled: 8-line block ×3, first 2 shown]
	v_mul_f64 v[8:9], v[14:15], v[12:13]
	v_add_f64 v[32:33], v[32:33], v[36:37]
	v_add_f64 v[34:35], v[6:7], v[34:35]
	v_mul_f64 v[6:7], v[16:17], v[12:13]
	v_fma_f64 v[8:9], v[16:17], v[10:11], v[8:9]
	v_fma_f64 v[6:7], v[14:15], v[10:11], -v[6:7]
	v_add_f64 v[20:21], v[8:9], v[20:21]
	v_add_f64 v[18:19], v[18:19], v[6:7]
	ds_read_b128 v[6:9], v24 offset:1536
	s_waitcnt lgkmcnt(0)
	v_mul_f64 v[10:11], v[42:43], v[8:9]
	v_mul_f64 v[12:13], v[40:41], v[8:9]
	v_fma_f64 v[10:11], v[40:41], v[6:7], -v[10:11]
	v_fma_f64 v[12:13], v[42:43], v[6:7], v[12:13]
	v_add_f64 v[36:37], v[44:45], v[10:11]
	v_add_f64 v[38:39], v[12:13], v[46:47]
	ds_read_b128 v[10:13], v24 offset:1792
	s_waitcnt lgkmcnt(0)
	v_mul_f64 v[14:15], v[42:43], v[12:13]
	v_mul_f64 v[16:17], v[40:41], v[12:13]
	v_fma_f64 v[14:15], v[40:41], v[10:11], -v[14:15]
	v_fma_f64 v[16:17], v[42:43], v[10:11], v[16:17]
	v_add_f64 v[30:31], v[30:31], v[14:15]
	v_add_f64 v[28:29], v[16:17], v[28:29]
	ds_read_b128 v[14:17], v25 offset:2096
	s_waitcnt lgkmcnt(0)
	v_mul_f64 v[40:41], v[16:17], v[8:9]
	v_mul_f64 v[8:9], v[14:15], v[8:9]
	v_fma_f64 v[40:41], v[14:15], v[6:7], -v[40:41]
	v_fma_f64 v[6:7], v[16:17], v[6:7], v[8:9]
	v_mul_f64 v[8:9], v[14:15], v[12:13]
	v_add_f64 v[32:33], v[32:33], v[40:41]
	v_add_f64 v[34:35], v[6:7], v[34:35]
	v_mul_f64 v[6:7], v[16:17], v[12:13]
	v_fma_f64 v[8:9], v[16:17], v[10:11], v[8:9]
	v_fma_f64 v[6:7], v[14:15], v[10:11], -v[6:7]
	v_add_f64 v[20:21], v[8:9], v[20:21]
	v_add_f64 v[18:19], v[18:19], v[6:7]
	ds_read_b128 v[6:9], v25 offset:64
	ds_read_b128 v[10:13], v24 offset:2048
	s_waitcnt lgkmcnt(0)
	v_mul_f64 v[14:15], v[8:9], v[12:13]
	v_mul_f64 v[16:17], v[6:7], v[12:13]
	v_fma_f64 v[14:15], v[6:7], v[10:11], -v[14:15]
	v_fma_f64 v[16:17], v[8:9], v[10:11], v[16:17]
	v_add_f64 v[36:37], v[36:37], v[14:15]
	v_add_f64 v[38:39], v[16:17], v[38:39]
	ds_read_b128 v[14:17], v24 offset:2304
	s_waitcnt lgkmcnt(0)
	v_mul_f64 v[40:41], v[8:9], v[16:17]
	v_fma_f64 v[40:41], v[6:7], v[14:15], -v[40:41]
	v_mul_f64 v[6:7], v[6:7], v[16:17]
	v_add_f64 v[30:31], v[30:31], v[40:41]
	v_fma_f64 v[6:7], v[8:9], v[14:15], v[6:7]
	v_add_f64 v[28:29], v[6:7], v[28:29]
	ds_read_b128 v[6:9], v25 offset:2112
	s_waitcnt lgkmcnt(0)
	v_mul_f64 v[40:41], v[8:9], v[12:13]
	v_mul_f64 v[12:13], v[6:7], v[12:13]
	v_fma_f64 v[40:41], v[6:7], v[10:11], -v[40:41]
	v_fma_f64 v[10:11], v[8:9], v[10:11], v[12:13]
	v_add_f64 v[32:33], v[32:33], v[40:41]
	v_add_f64 v[34:35], v[10:11], v[34:35]
	v_mul_f64 v[10:11], v[8:9], v[16:17]
	v_fma_f64 v[10:11], v[6:7], v[14:15], -v[10:11]
	v_mul_f64 v[6:7], v[6:7], v[16:17]
	v_add_f64 v[18:19], v[18:19], v[10:11]
	v_fma_f64 v[6:7], v[8:9], v[14:15], v[6:7]
	v_add_f64 v[20:21], v[6:7], v[20:21]
	ds_read_b128 v[6:9], v25 offset:80
	ds_read_b128 v[10:13], v24 offset:2560
	s_waitcnt lgkmcnt(0)
	v_mul_f64 v[14:15], v[8:9], v[12:13]
	v_mul_f64 v[16:17], v[6:7], v[12:13]
	v_fma_f64 v[14:15], v[6:7], v[10:11], -v[14:15]
	v_fma_f64 v[16:17], v[8:9], v[10:11], v[16:17]
	v_add_f64 v[36:37], v[36:37], v[14:15]
	v_add_f64 v[38:39], v[16:17], v[38:39]
	ds_read_b128 v[14:17], v24 offset:2816
	s_waitcnt lgkmcnt(0)
	v_mul_f64 v[40:41], v[8:9], v[16:17]
	v_fma_f64 v[40:41], v[6:7], v[14:15], -v[40:41]
	v_mul_f64 v[6:7], v[6:7], v[16:17]
	v_add_f64 v[30:31], v[30:31], v[40:41]
	v_fma_f64 v[6:7], v[8:9], v[14:15], v[6:7]
	v_add_f64 v[28:29], v[6:7], v[28:29]
	ds_read_b128 v[6:9], v25 offset:2128
	s_waitcnt lgkmcnt(0)
	v_mul_f64 v[40:41], v[8:9], v[12:13]
	v_mul_f64 v[12:13], v[6:7], v[12:13]
	v_fma_f64 v[40:41], v[6:7], v[10:11], -v[40:41]
	v_fma_f64 v[10:11], v[8:9], v[10:11], v[12:13]
	v_add_f64 v[32:33], v[32:33], v[40:41]
	v_add_f64 v[34:35], v[10:11], v[34:35]
	v_mul_f64 v[10:11], v[8:9], v[16:17]
	v_fma_f64 v[10:11], v[6:7], v[14:15], -v[10:11]
	v_mul_f64 v[6:7], v[6:7], v[16:17]
	v_add_f64 v[18:19], v[18:19], v[10:11]
	v_fma_f64 v[6:7], v[8:9], v[14:15], v[6:7]
	v_add_f64 v[20:21], v[6:7], v[20:21]
	ds_read_b128 v[6:9], v25 offset:96
	ds_read_b128 v[10:13], v24 offset:3072
	s_waitcnt lgkmcnt(0)
	v_mul_f64 v[14:15], v[8:9], v[12:13]
	v_mul_f64 v[16:17], v[6:7], v[12:13]
	v_fma_f64 v[14:15], v[6:7], v[10:11], -v[14:15]
	v_fma_f64 v[16:17], v[8:9], v[10:11], v[16:17]
	v_add_f64 v[36:37], v[36:37], v[14:15]
	v_add_f64 v[38:39], v[16:17], v[38:39]
	ds_read_b128 v[14:17], v24 offset:3328
	s_waitcnt lgkmcnt(0)
	v_mul_f64 v[40:41], v[8:9], v[16:17]
	v_fma_f64 v[40:41], v[6:7], v[14:15], -v[40:41]
	v_mul_f64 v[6:7], v[6:7], v[16:17]
	v_add_f64 v[40:41], v[30:31], v[40:41]
	v_fma_f64 v[6:7], v[8:9], v[14:15], v[6:7]
	v_add_f64 v[42:43], v[6:7], v[28:29]
	ds_read_b128 v[6:9], v25 offset:2144
	s_waitcnt lgkmcnt(0)
	v_mul_f64 v[28:29], v[8:9], v[12:13]
	v_mul_f64 v[12:13], v[6:7], v[12:13]
	v_fma_f64 v[28:29], v[6:7], v[10:11], -v[28:29]
	v_fma_f64 v[10:11], v[8:9], v[10:11], v[12:13]
	v_add_f64 v[32:33], v[32:33], v[28:29]
	v_add_f64 v[34:35], v[10:11], v[34:35]
	v_mul_f64 v[10:11], v[8:9], v[16:17]
	v_fma_f64 v[10:11], v[6:7], v[14:15], -v[10:11]
	v_mul_f64 v[6:7], v[6:7], v[16:17]
	v_add_f64 v[44:45], v[18:19], v[10:11]
	v_fma_f64 v[6:7], v[8:9], v[14:15], v[6:7]
	v_add_f64 v[46:47], v[6:7], v[20:21]
	ds_read_b128 v[6:9], v25 offset:112
	ds_read_b128 v[14:17], v24 offset:3584
	;; [unrolled: 1-line block ×3, first 2 shown]
	s_waitcnt lgkmcnt(1)
	v_mul_f64 v[10:11], v[8:9], v[16:17]
	v_mul_f64 v[12:13], v[6:7], v[16:17]
	v_fma_f64 v[10:11], v[6:7], v[14:15], -v[10:11]
	v_fma_f64 v[12:13], v[8:9], v[14:15], v[12:13]
	v_add_f64 v[18:19], v[36:37], v[10:11]
	s_waitcnt lgkmcnt(0)
	v_mul_f64 v[10:11], v[8:9], v[30:31]
	v_add_f64 v[20:21], v[12:13], v[38:39]
	v_fma_f64 v[10:11], v[6:7], v[28:29], -v[10:11]
	v_mul_f64 v[6:7], v[6:7], v[30:31]
	v_add_f64 v[10:11], v[40:41], v[10:11]
	v_fma_f64 v[6:7], v[8:9], v[28:29], v[6:7]
	v_add_f64 v[12:13], v[6:7], v[42:43]
	ds_read_b128 v[6:9], v25 offset:2160
	s_waitcnt lgkmcnt(0)
	s_barrier
	v_mul_f64 v[36:37], v[8:9], v[16:17]
	v_mul_f64 v[16:17], v[6:7], v[16:17]
	v_fma_f64 v[36:37], v[6:7], v[14:15], -v[36:37]
	v_fma_f64 v[16:17], v[8:9], v[14:15], v[16:17]
	v_add_f64 v[14:15], v[32:33], v[36:37]
	v_mul_f64 v[32:33], v[8:9], v[30:31]
	v_add_f64 v[16:17], v[16:17], v[34:35]
	v_fma_f64 v[32:33], v[6:7], v[28:29], -v[32:33]
	v_mul_f64 v[6:7], v[6:7], v[30:31]
	v_fma_f64 v[6:7], v[8:9], v[28:29], v[6:7]
	v_add_f64 v[8:9], v[44:45], v[32:33]
	v_add_f64 v[6:7], v[6:7], v[46:47]
	s_cbranch_scc0 .LBB884_2
	s_branch .LBB884_4
.LBB884_3:
	v_mov_b32_e32 v18, 0
	v_mov_b32_e32 v20, 0
	;; [unrolled: 1-line block ×16, first 2 shown]
.LBB884_4:
	s_load_dword s3, s[4:5], 0x60
	v_add_u32_e32 v4, s22, v1
	s_waitcnt lgkmcnt(0)
	v_mov_b32_e32 v3, s11
	v_add_u32_e32 v0, s8, v0
	v_cmp_gt_i32_e32 vcc, s2, v4
	v_mad_i64_i32 v[1:2], s[0:1], v4, s3, 0
	v_lshlrev_b64 v[1:2], 4, v[1:2]
	v_add_co_u32_e64 v5, s[0:1], s10, v1
	v_addc_co_u32_e64 v22, s[0:1], v3, v2, s[0:1]
	v_cmp_le_i32_e64 s[0:1], v0, v4
	s_and_b64 s[0:1], vcc, s[0:1]
	s_and_saveexec_b64 s[4:5], s[0:1]
	s_cbranch_execz .LBB884_6
; %bb.5:
	v_ashrrev_i32_e32 v1, 31, v0
	v_lshlrev_b64 v[1:2], 4, v[0:1]
	v_mul_f64 v[27:28], s[12:13], v[20:21]
	v_add_co_u32_e64 v1, s[0:1], v5, v1
	v_addc_co_u32_e64 v2, s[0:1], v22, v2, s[0:1]
	flat_load_dwordx4 v[23:26], v[1:2]
	v_mul_f64 v[20:21], s[14:15], v[20:21]
	v_cmp_ne_u32_e64 s[0:1], v4, v0
	v_fma_f64 v[27:28], s[14:15], v[18:19], v[27:28]
	v_fma_f64 v[18:19], s[12:13], v[18:19], -v[20:21]
	s_waitcnt vmcnt(0) lgkmcnt(0)
	v_mul_f64 v[29:30], s[16:17], v[25:26]
	v_mul_f64 v[25:26], s[18:19], v[25:26]
	v_fma_f64 v[29:30], s[18:19], v[23:24], v[29:30]
	v_fma_f64 v[20:21], s[16:17], v[23:24], -v[25:26]
	v_add_f64 v[23:24], v[27:28], v[29:30]
	v_add_f64 v[18:19], v[18:19], v[20:21]
	v_cndmask_b32_e64 v21, 0, v24, s[0:1]
	v_cndmask_b32_e64 v20, 0, v23, s[0:1]
	flat_store_dwordx4 v[1:2], v[18:21]
.LBB884_6:
	s_or_b64 exec, exec, s[4:5]
	v_add_u32_e32 v2, 16, v0
	v_cmp_le_i32_e64 s[0:1], v2, v4
	s_and_b64 s[4:5], vcc, s[0:1]
	s_and_saveexec_b64 s[0:1], s[4:5]
	s_cbranch_execz .LBB884_8
; %bb.7:
	v_ashrrev_i32_e32 v3, 31, v2
	v_lshlrev_b64 v[18:19], 4, v[2:3]
	v_mul_f64 v[25:26], s[12:13], v[12:13]
	v_add_co_u32_e32 v23, vcc, v5, v18
	v_addc_co_u32_e32 v24, vcc, v22, v19, vcc
	flat_load_dwordx4 v[18:21], v[23:24]
	v_mul_f64 v[12:13], s[14:15], v[12:13]
	v_cmp_ne_u32_e32 vcc, v4, v2
	v_fma_f64 v[25:26], s[14:15], v[10:11], v[25:26]
	v_fma_f64 v[10:11], s[12:13], v[10:11], -v[12:13]
	s_waitcnt vmcnt(0) lgkmcnt(0)
	v_mul_f64 v[27:28], s[16:17], v[20:21]
	v_mul_f64 v[20:21], s[18:19], v[20:21]
	v_fma_f64 v[27:28], s[18:19], v[18:19], v[27:28]
	v_fma_f64 v[12:13], s[16:17], v[18:19], -v[20:21]
	v_add_f64 v[18:19], v[25:26], v[27:28]
	v_add_f64 v[10:11], v[10:11], v[12:13]
	v_cndmask_b32_e32 v13, 0, v19, vcc
	v_cndmask_b32_e32 v12, 0, v18, vcc
	flat_store_dwordx4 v[23:24], v[10:13]
.LBB884_8:
	s_or_b64 exec, exec, s[0:1]
	v_add_u32_e32 v3, 16, v4
	v_mad_i64_i32 v[10:11], s[0:1], v3, s3, 0
	v_mov_b32_e32 v1, s11
	v_cmp_gt_i32_e32 vcc, s2, v3
	v_lshlrev_b64 v[10:11], 4, v[10:11]
	v_add_co_u32_e64 v5, s[0:1], s10, v10
	v_addc_co_u32_e64 v10, s[0:1], v1, v11, s[0:1]
	v_cmp_le_i32_e64 s[0:1], v0, v3
	s_and_b64 s[0:1], vcc, s[0:1]
	s_and_saveexec_b64 s[2:3], s[0:1]
	s_cbranch_execz .LBB884_10
; %bb.9:
	v_ashrrev_i32_e32 v1, 31, v0
	v_lshlrev_b64 v[11:12], 4, v[0:1]
	v_add_co_u32_e64 v22, s[0:1], v5, v11
	v_addc_co_u32_e64 v23, s[0:1], v10, v12, s[0:1]
	flat_load_dwordx4 v[18:21], v[22:23]
	v_mul_f64 v[11:12], s[12:13], v[16:17]
	v_mul_f64 v[16:17], s[14:15], v[16:17]
	v_cmp_ne_u32_e64 s[0:1], v3, v0
	v_fma_f64 v[11:12], s[14:15], v[14:15], v[11:12]
	v_fma_f64 v[13:14], s[12:13], v[14:15], -v[16:17]
	s_waitcnt vmcnt(0) lgkmcnt(0)
	v_mul_f64 v[24:25], s[16:17], v[20:21]
	v_mul_f64 v[20:21], s[18:19], v[20:21]
	v_fma_f64 v[24:25], s[18:19], v[18:19], v[24:25]
	v_fma_f64 v[15:16], s[16:17], v[18:19], -v[20:21]
	v_add_f64 v[17:18], v[11:12], v[24:25]
	v_add_f64 v[11:12], v[13:14], v[15:16]
	v_cndmask_b32_e64 v14, 0, v18, s[0:1]
	v_cndmask_b32_e64 v13, 0, v17, s[0:1]
	flat_store_dwordx4 v[22:23], v[11:14]
.LBB884_10:
	s_or_b64 exec, exec, s[2:3]
	v_cmp_le_i32_e64 s[0:1], v2, v3
	s_and_b64 s[0:1], vcc, s[0:1]
	s_and_saveexec_b64 s[2:3], s[0:1]
	s_cbranch_execz .LBB884_12
; %bb.11:
	v_ashrrev_i32_e32 v3, 31, v2
	v_lshlrev_b64 v[1:2], 4, v[2:3]
	v_add_co_u32_e32 v14, vcc, v5, v1
	v_addc_co_u32_e32 v15, vcc, v10, v2, vcc
	flat_load_dwordx4 v[10:13], v[14:15]
	v_mul_f64 v[1:2], s[12:13], v[6:7]
	v_mul_f64 v[5:6], s[14:15], v[6:7]
	v_cmp_ne_u32_e32 vcc, v4, v0
	v_fma_f64 v[1:2], s[14:15], v[8:9], v[1:2]
	v_fma_f64 v[5:6], s[12:13], v[8:9], -v[5:6]
	s_waitcnt vmcnt(0) lgkmcnt(0)
	v_mul_f64 v[16:17], s[16:17], v[12:13]
	v_mul_f64 v[12:13], s[18:19], v[12:13]
	v_fma_f64 v[16:17], s[18:19], v[10:11], v[16:17]
	v_fma_f64 v[7:8], s[16:17], v[10:11], -v[12:13]
	v_add_f64 v[9:10], v[1:2], v[16:17]
	v_add_f64 v[1:2], v[5:6], v[7:8]
	v_cndmask_b32_e32 v4, 0, v10, vcc
	v_cndmask_b32_e32 v3, 0, v9, vcc
	flat_store_dwordx4 v[14:15], v[1:4]
.LBB884_12:
	s_endpgm
	.section	.rodata,"a",@progbits
	.p2align	6, 0x0
	.amdhsa_kernel _ZL37rocblas_syrkx_herkx_restricted_kernelIi19rocblas_complex_numIdELi16ELi32ELi8ELb0ELb1ELc78ELc85EKPKS1_KPS1_EviT_T0_PT8_S7_lSA_S7_lS8_PT9_S7_li
		.amdhsa_group_segment_fixed_size 8192
		.amdhsa_private_segment_fixed_size 0
		.amdhsa_kernarg_size 116
		.amdhsa_user_sgpr_count 6
		.amdhsa_user_sgpr_private_segment_buffer 1
		.amdhsa_user_sgpr_dispatch_ptr 0
		.amdhsa_user_sgpr_queue_ptr 0
		.amdhsa_user_sgpr_kernarg_segment_ptr 1
		.amdhsa_user_sgpr_dispatch_id 0
		.amdhsa_user_sgpr_flat_scratch_init 0
		.amdhsa_user_sgpr_private_segment_size 0
		.amdhsa_uses_dynamic_stack 0
		.amdhsa_system_sgpr_private_segment_wavefront_offset 0
		.amdhsa_system_sgpr_workgroup_id_x 1
		.amdhsa_system_sgpr_workgroup_id_y 1
		.amdhsa_system_sgpr_workgroup_id_z 1
		.amdhsa_system_sgpr_workgroup_info 0
		.amdhsa_system_vgpr_workitem_id 1
		.amdhsa_next_free_vgpr 54
		.amdhsa_next_free_sgpr 61
		.amdhsa_reserve_vcc 1
		.amdhsa_reserve_flat_scratch 0
		.amdhsa_float_round_mode_32 0
		.amdhsa_float_round_mode_16_64 0
		.amdhsa_float_denorm_mode_32 3
		.amdhsa_float_denorm_mode_16_64 3
		.amdhsa_dx10_clamp 1
		.amdhsa_ieee_mode 1
		.amdhsa_fp16_overflow 0
		.amdhsa_exception_fp_ieee_invalid_op 0
		.amdhsa_exception_fp_denorm_src 0
		.amdhsa_exception_fp_ieee_div_zero 0
		.amdhsa_exception_fp_ieee_overflow 0
		.amdhsa_exception_fp_ieee_underflow 0
		.amdhsa_exception_fp_ieee_inexact 0
		.amdhsa_exception_int_div_zero 0
	.end_amdhsa_kernel
	.section	.text._ZL37rocblas_syrkx_herkx_restricted_kernelIi19rocblas_complex_numIdELi16ELi32ELi8ELb0ELb1ELc78ELc85EKPKS1_KPS1_EviT_T0_PT8_S7_lSA_S7_lS8_PT9_S7_li,"axG",@progbits,_ZL37rocblas_syrkx_herkx_restricted_kernelIi19rocblas_complex_numIdELi16ELi32ELi8ELb0ELb1ELc78ELc85EKPKS1_KPS1_EviT_T0_PT8_S7_lSA_S7_lS8_PT9_S7_li,comdat
.Lfunc_end884:
	.size	_ZL37rocblas_syrkx_herkx_restricted_kernelIi19rocblas_complex_numIdELi16ELi32ELi8ELb0ELb1ELc78ELc85EKPKS1_KPS1_EviT_T0_PT8_S7_lSA_S7_lS8_PT9_S7_li, .Lfunc_end884-_ZL37rocblas_syrkx_herkx_restricted_kernelIi19rocblas_complex_numIdELi16ELi32ELi8ELb0ELb1ELc78ELc85EKPKS1_KPS1_EviT_T0_PT8_S7_lSA_S7_lS8_PT9_S7_li
                                        ; -- End function
	.set _ZL37rocblas_syrkx_herkx_restricted_kernelIi19rocblas_complex_numIdELi16ELi32ELi8ELb0ELb1ELc78ELc85EKPKS1_KPS1_EviT_T0_PT8_S7_lSA_S7_lS8_PT9_S7_li.num_vgpr, 54
	.set _ZL37rocblas_syrkx_herkx_restricted_kernelIi19rocblas_complex_numIdELi16ELi32ELi8ELb0ELb1ELc78ELc85EKPKS1_KPS1_EviT_T0_PT8_S7_lSA_S7_lS8_PT9_S7_li.num_agpr, 0
	.set _ZL37rocblas_syrkx_herkx_restricted_kernelIi19rocblas_complex_numIdELi16ELi32ELi8ELb0ELb1ELc78ELc85EKPKS1_KPS1_EviT_T0_PT8_S7_lSA_S7_lS8_PT9_S7_li.numbered_sgpr, 28
	.set _ZL37rocblas_syrkx_herkx_restricted_kernelIi19rocblas_complex_numIdELi16ELi32ELi8ELb0ELb1ELc78ELc85EKPKS1_KPS1_EviT_T0_PT8_S7_lSA_S7_lS8_PT9_S7_li.num_named_barrier, 0
	.set _ZL37rocblas_syrkx_herkx_restricted_kernelIi19rocblas_complex_numIdELi16ELi32ELi8ELb0ELb1ELc78ELc85EKPKS1_KPS1_EviT_T0_PT8_S7_lSA_S7_lS8_PT9_S7_li.private_seg_size, 0
	.set _ZL37rocblas_syrkx_herkx_restricted_kernelIi19rocblas_complex_numIdELi16ELi32ELi8ELb0ELb1ELc78ELc85EKPKS1_KPS1_EviT_T0_PT8_S7_lSA_S7_lS8_PT9_S7_li.uses_vcc, 1
	.set _ZL37rocblas_syrkx_herkx_restricted_kernelIi19rocblas_complex_numIdELi16ELi32ELi8ELb0ELb1ELc78ELc85EKPKS1_KPS1_EviT_T0_PT8_S7_lSA_S7_lS8_PT9_S7_li.uses_flat_scratch, 0
	.set _ZL37rocblas_syrkx_herkx_restricted_kernelIi19rocblas_complex_numIdELi16ELi32ELi8ELb0ELb1ELc78ELc85EKPKS1_KPS1_EviT_T0_PT8_S7_lSA_S7_lS8_PT9_S7_li.has_dyn_sized_stack, 0
	.set _ZL37rocblas_syrkx_herkx_restricted_kernelIi19rocblas_complex_numIdELi16ELi32ELi8ELb0ELb1ELc78ELc85EKPKS1_KPS1_EviT_T0_PT8_S7_lSA_S7_lS8_PT9_S7_li.has_recursion, 0
	.set _ZL37rocblas_syrkx_herkx_restricted_kernelIi19rocblas_complex_numIdELi16ELi32ELi8ELb0ELb1ELc78ELc85EKPKS1_KPS1_EviT_T0_PT8_S7_lSA_S7_lS8_PT9_S7_li.has_indirect_call, 0
	.section	.AMDGPU.csdata,"",@progbits
; Kernel info:
; codeLenInByte = 3200
; TotalNumSgprs: 32
; NumVgprs: 54
; ScratchSize: 0
; MemoryBound: 0
; FloatMode: 240
; IeeeMode: 1
; LDSByteSize: 8192 bytes/workgroup (compile time only)
; SGPRBlocks: 8
; VGPRBlocks: 13
; NumSGPRsForWavesPerEU: 65
; NumVGPRsForWavesPerEU: 54
; Occupancy: 4
; WaveLimiterHint : 1
; COMPUTE_PGM_RSRC2:SCRATCH_EN: 0
; COMPUTE_PGM_RSRC2:USER_SGPR: 6
; COMPUTE_PGM_RSRC2:TRAP_HANDLER: 0
; COMPUTE_PGM_RSRC2:TGID_X_EN: 1
; COMPUTE_PGM_RSRC2:TGID_Y_EN: 1
; COMPUTE_PGM_RSRC2:TGID_Z_EN: 1
; COMPUTE_PGM_RSRC2:TIDIG_COMP_CNT: 1
	.section	.text._ZL41rocblas_syrkx_herkx_small_restrict_kernelIi19rocblas_complex_numIdELi16ELb1ELb1ELc84ELc76EKPKS1_KPS1_EviT_T0_PT6_S7_lSA_S7_lS8_PT7_S7_li,"axG",@progbits,_ZL41rocblas_syrkx_herkx_small_restrict_kernelIi19rocblas_complex_numIdELi16ELb1ELb1ELc84ELc76EKPKS1_KPS1_EviT_T0_PT6_S7_lSA_S7_lS8_PT7_S7_li,comdat
	.globl	_ZL41rocblas_syrkx_herkx_small_restrict_kernelIi19rocblas_complex_numIdELi16ELb1ELb1ELc84ELc76EKPKS1_KPS1_EviT_T0_PT6_S7_lSA_S7_lS8_PT7_S7_li ; -- Begin function _ZL41rocblas_syrkx_herkx_small_restrict_kernelIi19rocblas_complex_numIdELi16ELb1ELb1ELc84ELc76EKPKS1_KPS1_EviT_T0_PT6_S7_lSA_S7_lS8_PT7_S7_li
	.p2align	8
	.type	_ZL41rocblas_syrkx_herkx_small_restrict_kernelIi19rocblas_complex_numIdELi16ELb1ELb1ELc84ELc76EKPKS1_KPS1_EviT_T0_PT6_S7_lSA_S7_lS8_PT7_S7_li,@function
_ZL41rocblas_syrkx_herkx_small_restrict_kernelIi19rocblas_complex_numIdELi16ELb1ELb1ELc84ELc76EKPKS1_KPS1_EviT_T0_PT6_S7_lSA_S7_lS8_PT7_S7_li: ; @_ZL41rocblas_syrkx_herkx_small_restrict_kernelIi19rocblas_complex_numIdELi16ELb1ELb1ELc84ELc76EKPKS1_KPS1_EviT_T0_PT6_S7_lSA_S7_lS8_PT7_S7_li
; %bb.0:
	s_load_dwordx2 s[12:13], s[4:5], 0x18
	s_load_dwordx2 s[10:11], s[4:5], 0x58
	s_load_dword s16, s[4:5], 0x4
	s_load_dwordx4 s[0:3], s[4:5], 0x8
	s_mov_b32 s9, 0
	s_lshl_b64 s[14:15], s[8:9], 3
	s_waitcnt lgkmcnt(0)
	s_add_u32 s10, s10, s14
	s_addc_u32 s11, s11, s15
	s_load_dwordx2 s[10:11], s[10:11], 0x0
	v_lshl_add_u32 v2, s6, 4, v0
	s_cmp_lt_i32 s16, 1
	v_lshl_add_u32 v9, s7, 4, v1
	s_cbranch_scc1 .LBB885_6
; %bb.1:
	s_load_dwordx2 s[6:7], s[4:5], 0x30
	s_load_dword s8, s[4:5], 0x20
	s_load_dword s17, s[4:5], 0x38
	v_lshlrev_b32_e32 v5, 8, v1
	v_lshlrev_b32_e32 v10, 4, v0
	s_waitcnt lgkmcnt(0)
	s_add_u32 s6, s6, s14
	s_addc_u32 s7, s7, s15
	s_add_u32 s12, s12, s14
	s_addc_u32 s13, s13, s15
	v_mad_i64_i32 v[3:4], s[14:15], s17, v9, 0
	s_load_dwordx2 s[6:7], s[6:7], 0x0
	v_add_u32_e32 v11, v10, v5
	v_add_u32_e32 v12, 0x1000, v5
	v_lshlrev_b64 v[3:4], 4, v[3:4]
	v_mad_i64_i32 v[5:6], s[14:15], s8, v2, 0
	v_add_co_u32_e32 v0, vcc, v3, v10
	s_load_dwordx2 s[12:13], s[12:13], 0x0
	v_addc_co_u32_e32 v4, vcc, 0, v4, vcc
	s_waitcnt lgkmcnt(0)
	v_mov_b32_e32 v7, s7
	v_add_co_u32_e32 v3, vcc, s6, v0
	v_lshlrev_b64 v[5:6], 4, v[5:6]
	v_addc_co_u32_e32 v4, vcc, v7, v4, vcc
	v_lshlrev_b32_e32 v0, 4, v1
	v_add_co_u32_e32 v0, vcc, v5, v0
	v_addc_co_u32_e32 v1, vcc, 0, v6, vcc
	v_mov_b32_e32 v14, s13
	v_mov_b32_e32 v7, 0
	;; [unrolled: 1-line block ×3, first 2 shown]
	v_add_co_u32_e32 v0, vcc, s12, v0
	v_add_u32_e32 v13, v12, v10
	v_mov_b32_e32 v8, 0
	v_mov_b32_e32 v6, 0
	v_addc_co_u32_e32 v1, vcc, v14, v1, vcc
.LBB885_2:                              ; =>This Inner Loop Header: Depth=1
	flat_load_dwordx4 v[14:17], v[0:1]
	s_add_i32 s9, s9, 16
	s_cmp_lt_i32 s9, s16
	s_waitcnt vmcnt(0) lgkmcnt(0)
	ds_write2_b64 v11, v[14:15], v[16:17] offset1:1
	flat_load_dwordx4 v[14:17], v[3:4]
	v_add_co_u32_e32 v3, vcc, 0x100, v3
	v_addc_co_u32_e32 v4, vcc, 0, v4, vcc
	v_add_co_u32_e32 v0, vcc, 0x100, v0
	v_addc_co_u32_e32 v1, vcc, 0, v1, vcc
	s_waitcnt vmcnt(0) lgkmcnt(0)
	ds_write2_b64 v13, v[14:15], v[16:17] offset1:1
	s_waitcnt lgkmcnt(0)
	s_barrier
	ds_read_b128 v[14:17], v12
	ds_read_b128 v[18:21], v12 offset:16
	ds_read_b128 v[22:25], v12 offset:32
	;; [unrolled: 1-line block ×3, first 2 shown]
	ds_read_b128 v[30:33], v10
	s_waitcnt lgkmcnt(0)
	v_mul_f64 v[34:35], v[16:17], v[32:33]
	v_fma_f64 v[34:35], v[14:15], v[30:31], -v[34:35]
	v_mul_f64 v[14:15], v[14:15], v[32:33]
	v_fma_f64 v[14:15], v[16:17], v[30:31], v[14:15]
	v_add_f64 v[16:17], v[5:6], v[34:35]
	v_add_f64 v[14:15], v[7:8], v[14:15]
	ds_read_b128 v[5:8], v10 offset:256
	s_waitcnt lgkmcnt(0)
	v_mul_f64 v[30:31], v[20:21], v[7:8]
	v_mul_f64 v[7:8], v[18:19], v[7:8]
	v_fma_f64 v[30:31], v[18:19], v[5:6], -v[30:31]
	v_fma_f64 v[5:6], v[20:21], v[5:6], v[7:8]
	v_add_f64 v[16:17], v[16:17], v[30:31]
	v_add_f64 v[14:15], v[14:15], v[5:6]
	ds_read_b128 v[5:8], v10 offset:512
	s_waitcnt lgkmcnt(0)
	v_mul_f64 v[18:19], v[24:25], v[7:8]
	v_mul_f64 v[7:8], v[22:23], v[7:8]
	v_fma_f64 v[18:19], v[22:23], v[5:6], -v[18:19]
	;; [unrolled: 8-line block ×3, first 2 shown]
	v_fma_f64 v[5:6], v[28:29], v[5:6], v[7:8]
	v_add_f64 v[18:19], v[16:17], v[18:19]
	v_add_f64 v[20:21], v[14:15], v[5:6]
	ds_read_b128 v[5:8], v12 offset:64
	ds_read_b128 v[14:17], v10 offset:1024
	s_waitcnt lgkmcnt(0)
	v_mul_f64 v[22:23], v[7:8], v[16:17]
	v_fma_f64 v[22:23], v[5:6], v[14:15], -v[22:23]
	v_mul_f64 v[5:6], v[5:6], v[16:17]
	v_add_f64 v[18:19], v[18:19], v[22:23]
	v_fma_f64 v[5:6], v[7:8], v[14:15], v[5:6]
	v_add_f64 v[20:21], v[20:21], v[5:6]
	ds_read_b128 v[5:8], v12 offset:80
	ds_read_b128 v[14:17], v10 offset:1280
	s_waitcnt lgkmcnt(0)
	v_mul_f64 v[22:23], v[7:8], v[16:17]
	v_fma_f64 v[22:23], v[5:6], v[14:15], -v[22:23]
	v_mul_f64 v[5:6], v[5:6], v[16:17]
	v_add_f64 v[18:19], v[18:19], v[22:23]
	v_fma_f64 v[5:6], v[7:8], v[14:15], v[5:6]
	;; [unrolled: 9-line block ×11, first 2 shown]
	v_add_f64 v[20:21], v[20:21], v[5:6]
	ds_read_b128 v[5:8], v12 offset:240
	ds_read_b128 v[14:17], v10 offset:3840
	s_waitcnt lgkmcnt(0)
	s_barrier
	v_mul_f64 v[22:23], v[7:8], v[16:17]
	v_fma_f64 v[22:23], v[5:6], v[14:15], -v[22:23]
	v_mul_f64 v[5:6], v[5:6], v[16:17]
	v_fma_f64 v[7:8], v[7:8], v[14:15], v[5:6]
	v_add_f64 v[5:6], v[18:19], v[22:23]
	v_add_f64 v[7:8], v[20:21], v[7:8]
	s_cbranch_scc1 .LBB885_2
; %bb.3:
	v_cmp_le_i32_e32 vcc, v9, v2
	s_and_saveexec_b64 s[6:7], vcc
	s_cbranch_execz .LBB885_5
.LBB885_4:
	s_load_dword s4, s[4:5], 0x60
	v_mul_f64 v[0:1], s[2:3], v[7:8]
	v_mul_f64 v[7:8], s[0:1], v[7:8]
	v_ashrrev_i32_e32 v3, 31, v2
	s_waitcnt lgkmcnt(0)
	v_mov_b32_e32 v12, s11
	v_mad_i64_i32 v[10:11], s[4:5], s4, v9, 0
	v_fma_f64 v[0:1], s[0:1], v[5:6], -v[0:1]
	v_fma_f64 v[4:5], s[2:3], v[5:6], v[7:8]
	v_lshlrev_b64 v[6:7], 4, v[10:11]
	v_add_co_u32_e32 v8, vcc, s10, v6
	v_addc_co_u32_e32 v10, vcc, v12, v7, vcc
	v_lshlrev_b64 v[6:7], 4, v[2:3]
	v_add_co_u32_e32 v6, vcc, v8, v6
	v_addc_co_u32_e32 v7, vcc, v10, v7, vcc
	v_cmp_ne_u32_e32 vcc, v2, v9
	v_cndmask_b32_e32 v3, 0, v5, vcc
	v_cndmask_b32_e32 v2, 0, v4, vcc
	flat_store_dwordx4 v[6:7], v[0:3]
.LBB885_5:
	s_endpgm
.LBB885_6:
	v_mov_b32_e32 v7, 0
	v_mov_b32_e32 v5, 0
	;; [unrolled: 1-line block ×4, first 2 shown]
	v_cmp_le_i32_e32 vcc, v9, v2
	s_and_saveexec_b64 s[6:7], vcc
	s_cbranch_execnz .LBB885_4
	s_branch .LBB885_5
	.section	.rodata,"a",@progbits
	.p2align	6, 0x0
	.amdhsa_kernel _ZL41rocblas_syrkx_herkx_small_restrict_kernelIi19rocblas_complex_numIdELi16ELb1ELb1ELc84ELc76EKPKS1_KPS1_EviT_T0_PT6_S7_lSA_S7_lS8_PT7_S7_li
		.amdhsa_group_segment_fixed_size 8192
		.amdhsa_private_segment_fixed_size 0
		.amdhsa_kernarg_size 116
		.amdhsa_user_sgpr_count 6
		.amdhsa_user_sgpr_private_segment_buffer 1
		.amdhsa_user_sgpr_dispatch_ptr 0
		.amdhsa_user_sgpr_queue_ptr 0
		.amdhsa_user_sgpr_kernarg_segment_ptr 1
		.amdhsa_user_sgpr_dispatch_id 0
		.amdhsa_user_sgpr_flat_scratch_init 0
		.amdhsa_user_sgpr_private_segment_size 0
		.amdhsa_uses_dynamic_stack 0
		.amdhsa_system_sgpr_private_segment_wavefront_offset 0
		.amdhsa_system_sgpr_workgroup_id_x 1
		.amdhsa_system_sgpr_workgroup_id_y 1
		.amdhsa_system_sgpr_workgroup_id_z 1
		.amdhsa_system_sgpr_workgroup_info 0
		.amdhsa_system_vgpr_workitem_id 1
		.amdhsa_next_free_vgpr 36
		.amdhsa_next_free_sgpr 61
		.amdhsa_reserve_vcc 1
		.amdhsa_reserve_flat_scratch 0
		.amdhsa_float_round_mode_32 0
		.amdhsa_float_round_mode_16_64 0
		.amdhsa_float_denorm_mode_32 3
		.amdhsa_float_denorm_mode_16_64 3
		.amdhsa_dx10_clamp 1
		.amdhsa_ieee_mode 1
		.amdhsa_fp16_overflow 0
		.amdhsa_exception_fp_ieee_invalid_op 0
		.amdhsa_exception_fp_denorm_src 0
		.amdhsa_exception_fp_ieee_div_zero 0
		.amdhsa_exception_fp_ieee_overflow 0
		.amdhsa_exception_fp_ieee_underflow 0
		.amdhsa_exception_fp_ieee_inexact 0
		.amdhsa_exception_int_div_zero 0
	.end_amdhsa_kernel
	.section	.text._ZL41rocblas_syrkx_herkx_small_restrict_kernelIi19rocblas_complex_numIdELi16ELb1ELb1ELc84ELc76EKPKS1_KPS1_EviT_T0_PT6_S7_lSA_S7_lS8_PT7_S7_li,"axG",@progbits,_ZL41rocblas_syrkx_herkx_small_restrict_kernelIi19rocblas_complex_numIdELi16ELb1ELb1ELc84ELc76EKPKS1_KPS1_EviT_T0_PT6_S7_lSA_S7_lS8_PT7_S7_li,comdat
.Lfunc_end885:
	.size	_ZL41rocblas_syrkx_herkx_small_restrict_kernelIi19rocblas_complex_numIdELi16ELb1ELb1ELc84ELc76EKPKS1_KPS1_EviT_T0_PT6_S7_lSA_S7_lS8_PT7_S7_li, .Lfunc_end885-_ZL41rocblas_syrkx_herkx_small_restrict_kernelIi19rocblas_complex_numIdELi16ELb1ELb1ELc84ELc76EKPKS1_KPS1_EviT_T0_PT6_S7_lSA_S7_lS8_PT7_S7_li
                                        ; -- End function
	.set _ZL41rocblas_syrkx_herkx_small_restrict_kernelIi19rocblas_complex_numIdELi16ELb1ELb1ELc84ELc76EKPKS1_KPS1_EviT_T0_PT6_S7_lSA_S7_lS8_PT7_S7_li.num_vgpr, 36
	.set _ZL41rocblas_syrkx_herkx_small_restrict_kernelIi19rocblas_complex_numIdELi16ELb1ELb1ELc84ELc76EKPKS1_KPS1_EviT_T0_PT6_S7_lSA_S7_lS8_PT7_S7_li.num_agpr, 0
	.set _ZL41rocblas_syrkx_herkx_small_restrict_kernelIi19rocblas_complex_numIdELi16ELb1ELb1ELc84ELc76EKPKS1_KPS1_EviT_T0_PT6_S7_lSA_S7_lS8_PT7_S7_li.numbered_sgpr, 18
	.set _ZL41rocblas_syrkx_herkx_small_restrict_kernelIi19rocblas_complex_numIdELi16ELb1ELb1ELc84ELc76EKPKS1_KPS1_EviT_T0_PT6_S7_lSA_S7_lS8_PT7_S7_li.num_named_barrier, 0
	.set _ZL41rocblas_syrkx_herkx_small_restrict_kernelIi19rocblas_complex_numIdELi16ELb1ELb1ELc84ELc76EKPKS1_KPS1_EviT_T0_PT6_S7_lSA_S7_lS8_PT7_S7_li.private_seg_size, 0
	.set _ZL41rocblas_syrkx_herkx_small_restrict_kernelIi19rocblas_complex_numIdELi16ELb1ELb1ELc84ELc76EKPKS1_KPS1_EviT_T0_PT6_S7_lSA_S7_lS8_PT7_S7_li.uses_vcc, 1
	.set _ZL41rocblas_syrkx_herkx_small_restrict_kernelIi19rocblas_complex_numIdELi16ELb1ELb1ELc84ELc76EKPKS1_KPS1_EviT_T0_PT6_S7_lSA_S7_lS8_PT7_S7_li.uses_flat_scratch, 0
	.set _ZL41rocblas_syrkx_herkx_small_restrict_kernelIi19rocblas_complex_numIdELi16ELb1ELb1ELc84ELc76EKPKS1_KPS1_EviT_T0_PT6_S7_lSA_S7_lS8_PT7_S7_li.has_dyn_sized_stack, 0
	.set _ZL41rocblas_syrkx_herkx_small_restrict_kernelIi19rocblas_complex_numIdELi16ELb1ELb1ELc84ELc76EKPKS1_KPS1_EviT_T0_PT6_S7_lSA_S7_lS8_PT7_S7_li.has_recursion, 0
	.set _ZL41rocblas_syrkx_herkx_small_restrict_kernelIi19rocblas_complex_numIdELi16ELb1ELb1ELc84ELc76EKPKS1_KPS1_EviT_T0_PT6_S7_lSA_S7_lS8_PT7_S7_li.has_indirect_call, 0
	.section	.AMDGPU.csdata,"",@progbits
; Kernel info:
; codeLenInByte = 1600
; TotalNumSgprs: 22
; NumVgprs: 36
; ScratchSize: 0
; MemoryBound: 0
; FloatMode: 240
; IeeeMode: 1
; LDSByteSize: 8192 bytes/workgroup (compile time only)
; SGPRBlocks: 8
; VGPRBlocks: 8
; NumSGPRsForWavesPerEU: 65
; NumVGPRsForWavesPerEU: 36
; Occupancy: 7
; WaveLimiterHint : 1
; COMPUTE_PGM_RSRC2:SCRATCH_EN: 0
; COMPUTE_PGM_RSRC2:USER_SGPR: 6
; COMPUTE_PGM_RSRC2:TRAP_HANDLER: 0
; COMPUTE_PGM_RSRC2:TGID_X_EN: 1
; COMPUTE_PGM_RSRC2:TGID_Y_EN: 1
; COMPUTE_PGM_RSRC2:TGID_Z_EN: 1
; COMPUTE_PGM_RSRC2:TIDIG_COMP_CNT: 1
	.section	.text._ZL41rocblas_syrkx_herkx_small_restrict_kernelIi19rocblas_complex_numIdELi16ELb1ELb1ELc67ELc76EKPKS1_KPS1_EviT_T0_PT6_S7_lSA_S7_lS8_PT7_S7_li,"axG",@progbits,_ZL41rocblas_syrkx_herkx_small_restrict_kernelIi19rocblas_complex_numIdELi16ELb1ELb1ELc67ELc76EKPKS1_KPS1_EviT_T0_PT6_S7_lSA_S7_lS8_PT7_S7_li,comdat
	.globl	_ZL41rocblas_syrkx_herkx_small_restrict_kernelIi19rocblas_complex_numIdELi16ELb1ELb1ELc67ELc76EKPKS1_KPS1_EviT_T0_PT6_S7_lSA_S7_lS8_PT7_S7_li ; -- Begin function _ZL41rocblas_syrkx_herkx_small_restrict_kernelIi19rocblas_complex_numIdELi16ELb1ELb1ELc67ELc76EKPKS1_KPS1_EviT_T0_PT6_S7_lSA_S7_lS8_PT7_S7_li
	.p2align	8
	.type	_ZL41rocblas_syrkx_herkx_small_restrict_kernelIi19rocblas_complex_numIdELi16ELb1ELb1ELc67ELc76EKPKS1_KPS1_EviT_T0_PT6_S7_lSA_S7_lS8_PT7_S7_li,@function
_ZL41rocblas_syrkx_herkx_small_restrict_kernelIi19rocblas_complex_numIdELi16ELb1ELb1ELc67ELc76EKPKS1_KPS1_EviT_T0_PT6_S7_lSA_S7_lS8_PT7_S7_li: ; @_ZL41rocblas_syrkx_herkx_small_restrict_kernelIi19rocblas_complex_numIdELi16ELb1ELb1ELc67ELc76EKPKS1_KPS1_EviT_T0_PT6_S7_lSA_S7_lS8_PT7_S7_li
; %bb.0:
	s_load_dwordx2 s[12:13], s[4:5], 0x18
	s_load_dwordx2 s[10:11], s[4:5], 0x58
	s_load_dword s16, s[4:5], 0x4
	s_load_dwordx4 s[0:3], s[4:5], 0x8
	s_mov_b32 s9, 0
	s_lshl_b64 s[14:15], s[8:9], 3
	s_waitcnt lgkmcnt(0)
	s_add_u32 s10, s10, s14
	s_addc_u32 s11, s11, s15
	s_load_dwordx2 s[10:11], s[10:11], 0x0
	v_lshl_add_u32 v2, s6, 4, v0
	s_cmp_lt_i32 s16, 1
	v_lshl_add_u32 v9, s7, 4, v1
	s_cbranch_scc1 .LBB886_6
; %bb.1:
	s_load_dwordx2 s[6:7], s[4:5], 0x30
	s_load_dword s8, s[4:5], 0x20
	s_load_dword s17, s[4:5], 0x38
	v_lshlrev_b32_e32 v5, 8, v1
	v_lshlrev_b32_e32 v10, 4, v0
	s_waitcnt lgkmcnt(0)
	s_add_u32 s6, s6, s14
	s_addc_u32 s7, s7, s15
	s_add_u32 s12, s12, s14
	s_addc_u32 s13, s13, s15
	v_mad_i64_i32 v[3:4], s[14:15], s17, v9, 0
	s_load_dwordx2 s[6:7], s[6:7], 0x0
	v_add_u32_e32 v11, v10, v5
	v_add_u32_e32 v12, 0x1000, v5
	v_lshlrev_b64 v[3:4], 4, v[3:4]
	v_mad_i64_i32 v[5:6], s[14:15], s8, v2, 0
	v_add_co_u32_e32 v0, vcc, v3, v10
	s_load_dwordx2 s[12:13], s[12:13], 0x0
	v_addc_co_u32_e32 v4, vcc, 0, v4, vcc
	s_waitcnt lgkmcnt(0)
	v_mov_b32_e32 v7, s7
	v_add_co_u32_e32 v3, vcc, s6, v0
	v_lshlrev_b64 v[5:6], 4, v[5:6]
	v_addc_co_u32_e32 v4, vcc, v7, v4, vcc
	v_lshlrev_b32_e32 v0, 4, v1
	v_add_co_u32_e32 v0, vcc, v5, v0
	v_addc_co_u32_e32 v1, vcc, 0, v6, vcc
	v_mov_b32_e32 v14, s13
	v_mov_b32_e32 v7, 0
	;; [unrolled: 1-line block ×3, first 2 shown]
	v_add_co_u32_e32 v0, vcc, s12, v0
	v_add_u32_e32 v13, v12, v10
	v_mov_b32_e32 v8, 0
	v_mov_b32_e32 v6, 0
	v_addc_co_u32_e32 v1, vcc, v14, v1, vcc
.LBB886_2:                              ; =>This Inner Loop Header: Depth=1
	flat_load_dwordx4 v[14:17], v[0:1]
	s_add_i32 s9, s9, 16
	s_cmp_lt_i32 s9, s16
	s_waitcnt vmcnt(0) lgkmcnt(0)
	v_xor_b32_e32 v17, 0x80000000, v17
	ds_write_b128 v11, v[14:17]
	flat_load_dwordx4 v[14:17], v[3:4]
	v_add_co_u32_e32 v3, vcc, 0x100, v3
	v_addc_co_u32_e32 v4, vcc, 0, v4, vcc
	v_add_co_u32_e32 v0, vcc, 0x100, v0
	v_addc_co_u32_e32 v1, vcc, 0, v1, vcc
	s_waitcnt vmcnt(0) lgkmcnt(0)
	ds_write2_b64 v13, v[14:15], v[16:17] offset1:1
	s_waitcnt lgkmcnt(0)
	s_barrier
	ds_read_b128 v[14:17], v12
	ds_read_b128 v[18:21], v12 offset:16
	ds_read_b128 v[22:25], v12 offset:32
	;; [unrolled: 1-line block ×3, first 2 shown]
	ds_read_b128 v[30:33], v10
	s_waitcnt lgkmcnt(0)
	v_mul_f64 v[34:35], v[16:17], v[32:33]
	v_fma_f64 v[34:35], v[14:15], v[30:31], -v[34:35]
	v_mul_f64 v[14:15], v[14:15], v[32:33]
	v_fma_f64 v[14:15], v[16:17], v[30:31], v[14:15]
	v_add_f64 v[16:17], v[5:6], v[34:35]
	v_add_f64 v[14:15], v[7:8], v[14:15]
	ds_read_b128 v[5:8], v10 offset:256
	s_waitcnt lgkmcnt(0)
	v_mul_f64 v[30:31], v[20:21], v[7:8]
	v_mul_f64 v[7:8], v[18:19], v[7:8]
	v_fma_f64 v[30:31], v[18:19], v[5:6], -v[30:31]
	v_fma_f64 v[5:6], v[20:21], v[5:6], v[7:8]
	v_add_f64 v[16:17], v[16:17], v[30:31]
	v_add_f64 v[14:15], v[14:15], v[5:6]
	ds_read_b128 v[5:8], v10 offset:512
	s_waitcnt lgkmcnt(0)
	v_mul_f64 v[18:19], v[24:25], v[7:8]
	v_mul_f64 v[7:8], v[22:23], v[7:8]
	v_fma_f64 v[18:19], v[22:23], v[5:6], -v[18:19]
	;; [unrolled: 8-line block ×3, first 2 shown]
	v_fma_f64 v[5:6], v[28:29], v[5:6], v[7:8]
	v_add_f64 v[18:19], v[16:17], v[18:19]
	v_add_f64 v[20:21], v[14:15], v[5:6]
	ds_read_b128 v[5:8], v12 offset:64
	ds_read_b128 v[14:17], v10 offset:1024
	s_waitcnt lgkmcnt(0)
	v_mul_f64 v[22:23], v[7:8], v[16:17]
	v_fma_f64 v[22:23], v[5:6], v[14:15], -v[22:23]
	v_mul_f64 v[5:6], v[5:6], v[16:17]
	v_add_f64 v[18:19], v[18:19], v[22:23]
	v_fma_f64 v[5:6], v[7:8], v[14:15], v[5:6]
	v_add_f64 v[20:21], v[20:21], v[5:6]
	ds_read_b128 v[5:8], v12 offset:80
	ds_read_b128 v[14:17], v10 offset:1280
	s_waitcnt lgkmcnt(0)
	v_mul_f64 v[22:23], v[7:8], v[16:17]
	v_fma_f64 v[22:23], v[5:6], v[14:15], -v[22:23]
	v_mul_f64 v[5:6], v[5:6], v[16:17]
	v_add_f64 v[18:19], v[18:19], v[22:23]
	v_fma_f64 v[5:6], v[7:8], v[14:15], v[5:6]
	;; [unrolled: 9-line block ×11, first 2 shown]
	v_add_f64 v[20:21], v[20:21], v[5:6]
	ds_read_b128 v[5:8], v12 offset:240
	ds_read_b128 v[14:17], v10 offset:3840
	s_waitcnt lgkmcnt(0)
	s_barrier
	v_mul_f64 v[22:23], v[7:8], v[16:17]
	v_fma_f64 v[22:23], v[5:6], v[14:15], -v[22:23]
	v_mul_f64 v[5:6], v[5:6], v[16:17]
	v_fma_f64 v[7:8], v[7:8], v[14:15], v[5:6]
	v_add_f64 v[5:6], v[18:19], v[22:23]
	v_add_f64 v[7:8], v[20:21], v[7:8]
	s_cbranch_scc1 .LBB886_2
; %bb.3:
	v_cmp_le_i32_e32 vcc, v9, v2
	s_and_saveexec_b64 s[6:7], vcc
	s_cbranch_execz .LBB886_5
.LBB886_4:
	s_load_dword s4, s[4:5], 0x60
	v_mul_f64 v[0:1], s[2:3], v[7:8]
	v_mul_f64 v[7:8], s[0:1], v[7:8]
	v_ashrrev_i32_e32 v3, 31, v2
	s_waitcnt lgkmcnt(0)
	v_mov_b32_e32 v12, s11
	v_mad_i64_i32 v[10:11], s[4:5], s4, v9, 0
	v_fma_f64 v[0:1], s[0:1], v[5:6], -v[0:1]
	v_fma_f64 v[4:5], s[2:3], v[5:6], v[7:8]
	v_lshlrev_b64 v[6:7], 4, v[10:11]
	v_add_co_u32_e32 v8, vcc, s10, v6
	v_addc_co_u32_e32 v10, vcc, v12, v7, vcc
	v_lshlrev_b64 v[6:7], 4, v[2:3]
	v_add_co_u32_e32 v6, vcc, v8, v6
	v_addc_co_u32_e32 v7, vcc, v10, v7, vcc
	v_cmp_ne_u32_e32 vcc, v2, v9
	v_cndmask_b32_e32 v3, 0, v5, vcc
	v_cndmask_b32_e32 v2, 0, v4, vcc
	flat_store_dwordx4 v[6:7], v[0:3]
.LBB886_5:
	s_endpgm
.LBB886_6:
	v_mov_b32_e32 v7, 0
	v_mov_b32_e32 v5, 0
	;; [unrolled: 1-line block ×4, first 2 shown]
	v_cmp_le_i32_e32 vcc, v9, v2
	s_and_saveexec_b64 s[6:7], vcc
	s_cbranch_execnz .LBB886_4
	s_branch .LBB886_5
	.section	.rodata,"a",@progbits
	.p2align	6, 0x0
	.amdhsa_kernel _ZL41rocblas_syrkx_herkx_small_restrict_kernelIi19rocblas_complex_numIdELi16ELb1ELb1ELc67ELc76EKPKS1_KPS1_EviT_T0_PT6_S7_lSA_S7_lS8_PT7_S7_li
		.amdhsa_group_segment_fixed_size 8192
		.amdhsa_private_segment_fixed_size 0
		.amdhsa_kernarg_size 116
		.amdhsa_user_sgpr_count 6
		.amdhsa_user_sgpr_private_segment_buffer 1
		.amdhsa_user_sgpr_dispatch_ptr 0
		.amdhsa_user_sgpr_queue_ptr 0
		.amdhsa_user_sgpr_kernarg_segment_ptr 1
		.amdhsa_user_sgpr_dispatch_id 0
		.amdhsa_user_sgpr_flat_scratch_init 0
		.amdhsa_user_sgpr_private_segment_size 0
		.amdhsa_uses_dynamic_stack 0
		.amdhsa_system_sgpr_private_segment_wavefront_offset 0
		.amdhsa_system_sgpr_workgroup_id_x 1
		.amdhsa_system_sgpr_workgroup_id_y 1
		.amdhsa_system_sgpr_workgroup_id_z 1
		.amdhsa_system_sgpr_workgroup_info 0
		.amdhsa_system_vgpr_workitem_id 1
		.amdhsa_next_free_vgpr 36
		.amdhsa_next_free_sgpr 61
		.amdhsa_reserve_vcc 1
		.amdhsa_reserve_flat_scratch 0
		.amdhsa_float_round_mode_32 0
		.amdhsa_float_round_mode_16_64 0
		.amdhsa_float_denorm_mode_32 3
		.amdhsa_float_denorm_mode_16_64 3
		.amdhsa_dx10_clamp 1
		.amdhsa_ieee_mode 1
		.amdhsa_fp16_overflow 0
		.amdhsa_exception_fp_ieee_invalid_op 0
		.amdhsa_exception_fp_denorm_src 0
		.amdhsa_exception_fp_ieee_div_zero 0
		.amdhsa_exception_fp_ieee_overflow 0
		.amdhsa_exception_fp_ieee_underflow 0
		.amdhsa_exception_fp_ieee_inexact 0
		.amdhsa_exception_int_div_zero 0
	.end_amdhsa_kernel
	.section	.text._ZL41rocblas_syrkx_herkx_small_restrict_kernelIi19rocblas_complex_numIdELi16ELb1ELb1ELc67ELc76EKPKS1_KPS1_EviT_T0_PT6_S7_lSA_S7_lS8_PT7_S7_li,"axG",@progbits,_ZL41rocblas_syrkx_herkx_small_restrict_kernelIi19rocblas_complex_numIdELi16ELb1ELb1ELc67ELc76EKPKS1_KPS1_EviT_T0_PT6_S7_lSA_S7_lS8_PT7_S7_li,comdat
.Lfunc_end886:
	.size	_ZL41rocblas_syrkx_herkx_small_restrict_kernelIi19rocblas_complex_numIdELi16ELb1ELb1ELc67ELc76EKPKS1_KPS1_EviT_T0_PT6_S7_lSA_S7_lS8_PT7_S7_li, .Lfunc_end886-_ZL41rocblas_syrkx_herkx_small_restrict_kernelIi19rocblas_complex_numIdELi16ELb1ELb1ELc67ELc76EKPKS1_KPS1_EviT_T0_PT6_S7_lSA_S7_lS8_PT7_S7_li
                                        ; -- End function
	.set _ZL41rocblas_syrkx_herkx_small_restrict_kernelIi19rocblas_complex_numIdELi16ELb1ELb1ELc67ELc76EKPKS1_KPS1_EviT_T0_PT6_S7_lSA_S7_lS8_PT7_S7_li.num_vgpr, 36
	.set _ZL41rocblas_syrkx_herkx_small_restrict_kernelIi19rocblas_complex_numIdELi16ELb1ELb1ELc67ELc76EKPKS1_KPS1_EviT_T0_PT6_S7_lSA_S7_lS8_PT7_S7_li.num_agpr, 0
	.set _ZL41rocblas_syrkx_herkx_small_restrict_kernelIi19rocblas_complex_numIdELi16ELb1ELb1ELc67ELc76EKPKS1_KPS1_EviT_T0_PT6_S7_lSA_S7_lS8_PT7_S7_li.numbered_sgpr, 18
	.set _ZL41rocblas_syrkx_herkx_small_restrict_kernelIi19rocblas_complex_numIdELi16ELb1ELb1ELc67ELc76EKPKS1_KPS1_EviT_T0_PT6_S7_lSA_S7_lS8_PT7_S7_li.num_named_barrier, 0
	.set _ZL41rocblas_syrkx_herkx_small_restrict_kernelIi19rocblas_complex_numIdELi16ELb1ELb1ELc67ELc76EKPKS1_KPS1_EviT_T0_PT6_S7_lSA_S7_lS8_PT7_S7_li.private_seg_size, 0
	.set _ZL41rocblas_syrkx_herkx_small_restrict_kernelIi19rocblas_complex_numIdELi16ELb1ELb1ELc67ELc76EKPKS1_KPS1_EviT_T0_PT6_S7_lSA_S7_lS8_PT7_S7_li.uses_vcc, 1
	.set _ZL41rocblas_syrkx_herkx_small_restrict_kernelIi19rocblas_complex_numIdELi16ELb1ELb1ELc67ELc76EKPKS1_KPS1_EviT_T0_PT6_S7_lSA_S7_lS8_PT7_S7_li.uses_flat_scratch, 0
	.set _ZL41rocblas_syrkx_herkx_small_restrict_kernelIi19rocblas_complex_numIdELi16ELb1ELb1ELc67ELc76EKPKS1_KPS1_EviT_T0_PT6_S7_lSA_S7_lS8_PT7_S7_li.has_dyn_sized_stack, 0
	.set _ZL41rocblas_syrkx_herkx_small_restrict_kernelIi19rocblas_complex_numIdELi16ELb1ELb1ELc67ELc76EKPKS1_KPS1_EviT_T0_PT6_S7_lSA_S7_lS8_PT7_S7_li.has_recursion, 0
	.set _ZL41rocblas_syrkx_herkx_small_restrict_kernelIi19rocblas_complex_numIdELi16ELb1ELb1ELc67ELc76EKPKS1_KPS1_EviT_T0_PT6_S7_lSA_S7_lS8_PT7_S7_li.has_indirect_call, 0
	.section	.AMDGPU.csdata,"",@progbits
; Kernel info:
; codeLenInByte = 1608
; TotalNumSgprs: 22
; NumVgprs: 36
; ScratchSize: 0
; MemoryBound: 0
; FloatMode: 240
; IeeeMode: 1
; LDSByteSize: 8192 bytes/workgroup (compile time only)
; SGPRBlocks: 8
; VGPRBlocks: 8
; NumSGPRsForWavesPerEU: 65
; NumVGPRsForWavesPerEU: 36
; Occupancy: 7
; WaveLimiterHint : 1
; COMPUTE_PGM_RSRC2:SCRATCH_EN: 0
; COMPUTE_PGM_RSRC2:USER_SGPR: 6
; COMPUTE_PGM_RSRC2:TRAP_HANDLER: 0
; COMPUTE_PGM_RSRC2:TGID_X_EN: 1
; COMPUTE_PGM_RSRC2:TGID_Y_EN: 1
; COMPUTE_PGM_RSRC2:TGID_Z_EN: 1
; COMPUTE_PGM_RSRC2:TIDIG_COMP_CNT: 1
	.section	.text._ZL41rocblas_syrkx_herkx_small_restrict_kernelIi19rocblas_complex_numIdELi16ELb1ELb1ELc78ELc76EKPKS1_KPS1_EviT_T0_PT6_S7_lSA_S7_lS8_PT7_S7_li,"axG",@progbits,_ZL41rocblas_syrkx_herkx_small_restrict_kernelIi19rocblas_complex_numIdELi16ELb1ELb1ELc78ELc76EKPKS1_KPS1_EviT_T0_PT6_S7_lSA_S7_lS8_PT7_S7_li,comdat
	.globl	_ZL41rocblas_syrkx_herkx_small_restrict_kernelIi19rocblas_complex_numIdELi16ELb1ELb1ELc78ELc76EKPKS1_KPS1_EviT_T0_PT6_S7_lSA_S7_lS8_PT7_S7_li ; -- Begin function _ZL41rocblas_syrkx_herkx_small_restrict_kernelIi19rocblas_complex_numIdELi16ELb1ELb1ELc78ELc76EKPKS1_KPS1_EviT_T0_PT6_S7_lSA_S7_lS8_PT7_S7_li
	.p2align	8
	.type	_ZL41rocblas_syrkx_herkx_small_restrict_kernelIi19rocblas_complex_numIdELi16ELb1ELb1ELc78ELc76EKPKS1_KPS1_EviT_T0_PT6_S7_lSA_S7_lS8_PT7_S7_li,@function
_ZL41rocblas_syrkx_herkx_small_restrict_kernelIi19rocblas_complex_numIdELi16ELb1ELb1ELc78ELc76EKPKS1_KPS1_EviT_T0_PT6_S7_lSA_S7_lS8_PT7_S7_li: ; @_ZL41rocblas_syrkx_herkx_small_restrict_kernelIi19rocblas_complex_numIdELi16ELb1ELb1ELc78ELc76EKPKS1_KPS1_EviT_T0_PT6_S7_lSA_S7_lS8_PT7_S7_li
; %bb.0:
	s_load_dwordx2 s[12:13], s[4:5], 0x18
	s_load_dwordx2 s[10:11], s[4:5], 0x58
	s_load_dword s16, s[4:5], 0x4
	s_load_dwordx4 s[0:3], s[4:5], 0x8
	s_mov_b32 s9, 0
	s_lshl_b64 s[14:15], s[8:9], 3
	s_waitcnt lgkmcnt(0)
	s_add_u32 s10, s10, s14
	s_addc_u32 s11, s11, s15
	s_load_dwordx2 s[10:11], s[10:11], 0x0
	v_lshl_add_u32 v2, s6, 4, v0
	v_lshl_add_u32 v4, s7, 4, v1
	s_cmp_lt_i32 s16, 1
	v_ashrrev_i32_e32 v3, 31, v2
	s_cbranch_scc1 .LBB887_6
; %bb.1:
	s_load_dword s18, s[4:5], 0x20
	s_load_dword s6, s[4:5], 0x38
	s_load_dwordx2 s[20:21], s[4:5], 0x30
	v_lshlrev_b32_e32 v8, 8, v1
	v_lshlrev_b32_e32 v11, 4, v0
	s_waitcnt lgkmcnt(0)
	s_ashr_i32 s19, s18, 31
	s_ashr_i32 s7, s6, 31
	s_add_u32 s20, s20, s14
	s_addc_u32 s21, s21, s15
	s_add_u32 s12, s12, s14
	s_addc_u32 s13, s13, s15
	v_mad_i64_i32 v[6:7], s[14:15], s6, v0, 0
	v_ashrrev_i32_e32 v5, 31, v4
	s_load_dwordx2 s[20:21], s[20:21], 0x0
	v_add_u32_e32 v12, v11, v8
	v_add_u32_e32 v13, 0x1000, v8
	v_lshlrev_b64 v[6:7], 4, v[6:7]
	v_lshlrev_b64 v[8:9], 4, v[4:5]
	s_load_dwordx2 s[12:13], s[12:13], 0x0
	v_add_co_u32_e32 v0, vcc, v6, v8
	v_mad_i64_i32 v[5:6], s[14:15], s18, v1, 0
	v_addc_co_u32_e32 v7, vcc, v7, v9, vcc
	s_waitcnt lgkmcnt(0)
	v_mov_b32_e32 v8, s21
	v_add_co_u32_e32 v0, vcc, s20, v0
	v_addc_co_u32_e32 v1, vcc, v8, v7, vcc
	v_lshlrev_b64 v[5:6], 4, v[5:6]
	v_lshlrev_b64 v[7:8], 4, v[2:3]
	s_lshl_b64 s[6:7], s[6:7], 8
	v_add_co_u32_e32 v5, vcc, v5, v7
	v_addc_co_u32_e32 v6, vcc, v6, v8, vcc
	v_mov_b32_e32 v7, s13
	v_add_co_u32_e32 v5, vcc, s12, v5
	v_addc_co_u32_e32 v6, vcc, v7, v6, vcc
	s_lshl_b64 s[12:13], s[18:19], 8
	v_mov_b32_e32 v9, 0
	v_mov_b32_e32 v7, 0
	;; [unrolled: 1-line block ×6, first 2 shown]
.LBB887_2:                              ; =>This Inner Loop Header: Depth=1
	flat_load_dwordx4 v[16:19], v[5:6]
	v_add_u32_e32 v20, v13, v11
	s_add_i32 s9, s9, 16
	s_cmp_lt_i32 s9, s16
	s_waitcnt vmcnt(0) lgkmcnt(0)
	ds_write2_b64 v12, v[16:17], v[18:19] offset1:1
	flat_load_dwordx4 v[16:19], v[0:1]
	v_add_co_u32_e32 v0, vcc, s6, v0
	v_addc_co_u32_e32 v1, vcc, v1, v14, vcc
	v_add_co_u32_e32 v5, vcc, s12, v5
	v_addc_co_u32_e32 v6, vcc, v6, v15, vcc
	s_waitcnt vmcnt(0) lgkmcnt(0)
	v_xor_b32_e32 v19, 0x80000000, v19
	ds_write_b128 v20, v[16:19]
	s_waitcnt lgkmcnt(0)
	s_barrier
	ds_read_b128 v[16:19], v13
	ds_read_b128 v[20:23], v13 offset:16
	ds_read_b128 v[24:27], v13 offset:32
	;; [unrolled: 1-line block ×3, first 2 shown]
	ds_read_b128 v[32:35], v11
	s_waitcnt lgkmcnt(0)
	v_mul_f64 v[36:37], v[18:19], v[34:35]
	v_fma_f64 v[36:37], v[16:17], v[32:33], -v[36:37]
	v_mul_f64 v[16:17], v[16:17], v[34:35]
	v_fma_f64 v[16:17], v[18:19], v[32:33], v[16:17]
	v_add_f64 v[18:19], v[7:8], v[36:37]
	v_add_f64 v[16:17], v[9:10], v[16:17]
	ds_read_b128 v[7:10], v11 offset:256
	s_waitcnt lgkmcnt(0)
	v_mul_f64 v[32:33], v[22:23], v[9:10]
	v_mul_f64 v[9:10], v[20:21], v[9:10]
	v_fma_f64 v[32:33], v[20:21], v[7:8], -v[32:33]
	v_fma_f64 v[7:8], v[22:23], v[7:8], v[9:10]
	v_add_f64 v[18:19], v[18:19], v[32:33]
	v_add_f64 v[16:17], v[16:17], v[7:8]
	ds_read_b128 v[7:10], v11 offset:512
	s_waitcnt lgkmcnt(0)
	v_mul_f64 v[20:21], v[26:27], v[9:10]
	v_mul_f64 v[9:10], v[24:25], v[9:10]
	v_fma_f64 v[20:21], v[24:25], v[7:8], -v[20:21]
	;; [unrolled: 8-line block ×3, first 2 shown]
	v_fma_f64 v[7:8], v[30:31], v[7:8], v[9:10]
	v_add_f64 v[20:21], v[18:19], v[20:21]
	v_add_f64 v[22:23], v[16:17], v[7:8]
	ds_read_b128 v[7:10], v13 offset:64
	ds_read_b128 v[16:19], v11 offset:1024
	s_waitcnt lgkmcnt(0)
	v_mul_f64 v[24:25], v[9:10], v[18:19]
	v_fma_f64 v[24:25], v[7:8], v[16:17], -v[24:25]
	v_mul_f64 v[7:8], v[7:8], v[18:19]
	v_add_f64 v[20:21], v[20:21], v[24:25]
	v_fma_f64 v[7:8], v[9:10], v[16:17], v[7:8]
	v_add_f64 v[22:23], v[22:23], v[7:8]
	ds_read_b128 v[7:10], v13 offset:80
	ds_read_b128 v[16:19], v11 offset:1280
	s_waitcnt lgkmcnt(0)
	v_mul_f64 v[24:25], v[9:10], v[18:19]
	v_fma_f64 v[24:25], v[7:8], v[16:17], -v[24:25]
	v_mul_f64 v[7:8], v[7:8], v[18:19]
	v_add_f64 v[20:21], v[20:21], v[24:25]
	v_fma_f64 v[7:8], v[9:10], v[16:17], v[7:8]
	v_add_f64 v[22:23], v[22:23], v[7:8]
	ds_read_b128 v[7:10], v13 offset:96
	ds_read_b128 v[16:19], v11 offset:1536
	s_waitcnt lgkmcnt(0)
	v_mul_f64 v[24:25], v[9:10], v[18:19]
	v_fma_f64 v[24:25], v[7:8], v[16:17], -v[24:25]
	v_mul_f64 v[7:8], v[7:8], v[18:19]
	v_add_f64 v[20:21], v[20:21], v[24:25]
	v_fma_f64 v[7:8], v[9:10], v[16:17], v[7:8]
	v_add_f64 v[22:23], v[22:23], v[7:8]
	ds_read_b128 v[7:10], v13 offset:112
	ds_read_b128 v[16:19], v11 offset:1792
	s_waitcnt lgkmcnt(0)
	v_mul_f64 v[24:25], v[9:10], v[18:19]
	v_fma_f64 v[24:25], v[7:8], v[16:17], -v[24:25]
	v_mul_f64 v[7:8], v[7:8], v[18:19]
	v_add_f64 v[20:21], v[20:21], v[24:25]
	v_fma_f64 v[7:8], v[9:10], v[16:17], v[7:8]
	v_add_f64 v[22:23], v[22:23], v[7:8]
	ds_read_b128 v[7:10], v13 offset:128
	ds_read_b128 v[16:19], v11 offset:2048
	s_waitcnt lgkmcnt(0)
	v_mul_f64 v[24:25], v[9:10], v[18:19]
	v_fma_f64 v[24:25], v[7:8], v[16:17], -v[24:25]
	v_mul_f64 v[7:8], v[7:8], v[18:19]
	v_add_f64 v[20:21], v[20:21], v[24:25]
	v_fma_f64 v[7:8], v[9:10], v[16:17], v[7:8]
	v_add_f64 v[22:23], v[22:23], v[7:8]
	ds_read_b128 v[7:10], v13 offset:144
	ds_read_b128 v[16:19], v11 offset:2304
	s_waitcnt lgkmcnt(0)
	v_mul_f64 v[24:25], v[9:10], v[18:19]
	v_fma_f64 v[24:25], v[7:8], v[16:17], -v[24:25]
	v_mul_f64 v[7:8], v[7:8], v[18:19]
	v_add_f64 v[20:21], v[20:21], v[24:25]
	v_fma_f64 v[7:8], v[9:10], v[16:17], v[7:8]
	v_add_f64 v[22:23], v[22:23], v[7:8]
	ds_read_b128 v[7:10], v13 offset:160
	ds_read_b128 v[16:19], v11 offset:2560
	s_waitcnt lgkmcnt(0)
	v_mul_f64 v[24:25], v[9:10], v[18:19]
	v_fma_f64 v[24:25], v[7:8], v[16:17], -v[24:25]
	v_mul_f64 v[7:8], v[7:8], v[18:19]
	v_add_f64 v[20:21], v[20:21], v[24:25]
	v_fma_f64 v[7:8], v[9:10], v[16:17], v[7:8]
	v_add_f64 v[22:23], v[22:23], v[7:8]
	ds_read_b128 v[7:10], v13 offset:176
	ds_read_b128 v[16:19], v11 offset:2816
	s_waitcnt lgkmcnt(0)
	v_mul_f64 v[24:25], v[9:10], v[18:19]
	v_fma_f64 v[24:25], v[7:8], v[16:17], -v[24:25]
	v_mul_f64 v[7:8], v[7:8], v[18:19]
	v_add_f64 v[20:21], v[20:21], v[24:25]
	v_fma_f64 v[7:8], v[9:10], v[16:17], v[7:8]
	v_add_f64 v[22:23], v[22:23], v[7:8]
	ds_read_b128 v[7:10], v13 offset:192
	ds_read_b128 v[16:19], v11 offset:3072
	s_waitcnt lgkmcnt(0)
	v_mul_f64 v[24:25], v[9:10], v[18:19]
	v_fma_f64 v[24:25], v[7:8], v[16:17], -v[24:25]
	v_mul_f64 v[7:8], v[7:8], v[18:19]
	v_add_f64 v[20:21], v[20:21], v[24:25]
	v_fma_f64 v[7:8], v[9:10], v[16:17], v[7:8]
	v_add_f64 v[22:23], v[22:23], v[7:8]
	ds_read_b128 v[7:10], v13 offset:208
	ds_read_b128 v[16:19], v11 offset:3328
	s_waitcnt lgkmcnt(0)
	v_mul_f64 v[24:25], v[9:10], v[18:19]
	v_fma_f64 v[24:25], v[7:8], v[16:17], -v[24:25]
	v_mul_f64 v[7:8], v[7:8], v[18:19]
	v_add_f64 v[20:21], v[20:21], v[24:25]
	v_fma_f64 v[7:8], v[9:10], v[16:17], v[7:8]
	v_add_f64 v[22:23], v[22:23], v[7:8]
	ds_read_b128 v[7:10], v13 offset:224
	ds_read_b128 v[16:19], v11 offset:3584
	s_waitcnt lgkmcnt(0)
	v_mul_f64 v[24:25], v[9:10], v[18:19]
	v_fma_f64 v[24:25], v[7:8], v[16:17], -v[24:25]
	v_mul_f64 v[7:8], v[7:8], v[18:19]
	v_add_f64 v[20:21], v[20:21], v[24:25]
	v_fma_f64 v[7:8], v[9:10], v[16:17], v[7:8]
	v_add_f64 v[22:23], v[22:23], v[7:8]
	ds_read_b128 v[7:10], v13 offset:240
	ds_read_b128 v[16:19], v11 offset:3840
	s_waitcnt lgkmcnt(0)
	s_barrier
	v_mul_f64 v[24:25], v[9:10], v[18:19]
	v_fma_f64 v[24:25], v[7:8], v[16:17], -v[24:25]
	v_mul_f64 v[7:8], v[7:8], v[18:19]
	v_fma_f64 v[9:10], v[9:10], v[16:17], v[7:8]
	v_add_f64 v[7:8], v[20:21], v[24:25]
	v_add_f64 v[9:10], v[22:23], v[9:10]
	s_cbranch_scc1 .LBB887_2
; %bb.3:
	v_cmp_le_i32_e32 vcc, v4, v2
	s_and_saveexec_b64 s[6:7], vcc
	s_cbranch_execz .LBB887_5
.LBB887_4:
	s_load_dword s4, s[4:5], 0x60
	v_mul_f64 v[0:1], s[2:3], v[9:10]
	v_mul_f64 v[5:6], s[0:1], v[9:10]
	s_waitcnt lgkmcnt(0)
	v_mov_b32_e32 v11, s11
	v_mad_i64_i32 v[9:10], s[4:5], s4, v4, 0
	v_fma_f64 v[0:1], s[0:1], v[7:8], -v[0:1]
	v_fma_f64 v[5:6], s[2:3], v[7:8], v[5:6]
	v_lshlrev_b64 v[7:8], 4, v[9:10]
	v_add_co_u32_e32 v9, vcc, s10, v7
	v_addc_co_u32_e32 v10, vcc, v11, v8, vcc
	v_lshlrev_b64 v[7:8], 4, v[2:3]
	v_add_co_u32_e32 v7, vcc, v9, v7
	v_addc_co_u32_e32 v8, vcc, v10, v8, vcc
	v_cmp_ne_u32_e32 vcc, v2, v4
	v_cndmask_b32_e32 v3, 0, v6, vcc
	v_cndmask_b32_e32 v2, 0, v5, vcc
	flat_store_dwordx4 v[7:8], v[0:3]
.LBB887_5:
	s_endpgm
.LBB887_6:
	v_mov_b32_e32 v9, 0
	v_mov_b32_e32 v7, 0
	;; [unrolled: 1-line block ×4, first 2 shown]
	v_cmp_le_i32_e32 vcc, v4, v2
	s_and_saveexec_b64 s[6:7], vcc
	s_cbranch_execnz .LBB887_4
	s_branch .LBB887_5
	.section	.rodata,"a",@progbits
	.p2align	6, 0x0
	.amdhsa_kernel _ZL41rocblas_syrkx_herkx_small_restrict_kernelIi19rocblas_complex_numIdELi16ELb1ELb1ELc78ELc76EKPKS1_KPS1_EviT_T0_PT6_S7_lSA_S7_lS8_PT7_S7_li
		.amdhsa_group_segment_fixed_size 8192
		.amdhsa_private_segment_fixed_size 0
		.amdhsa_kernarg_size 116
		.amdhsa_user_sgpr_count 6
		.amdhsa_user_sgpr_private_segment_buffer 1
		.amdhsa_user_sgpr_dispatch_ptr 0
		.amdhsa_user_sgpr_queue_ptr 0
		.amdhsa_user_sgpr_kernarg_segment_ptr 1
		.amdhsa_user_sgpr_dispatch_id 0
		.amdhsa_user_sgpr_flat_scratch_init 0
		.amdhsa_user_sgpr_private_segment_size 0
		.amdhsa_uses_dynamic_stack 0
		.amdhsa_system_sgpr_private_segment_wavefront_offset 0
		.amdhsa_system_sgpr_workgroup_id_x 1
		.amdhsa_system_sgpr_workgroup_id_y 1
		.amdhsa_system_sgpr_workgroup_id_z 1
		.amdhsa_system_sgpr_workgroup_info 0
		.amdhsa_system_vgpr_workitem_id 1
		.amdhsa_next_free_vgpr 38
		.amdhsa_next_free_sgpr 61
		.amdhsa_reserve_vcc 1
		.amdhsa_reserve_flat_scratch 0
		.amdhsa_float_round_mode_32 0
		.amdhsa_float_round_mode_16_64 0
		.amdhsa_float_denorm_mode_32 3
		.amdhsa_float_denorm_mode_16_64 3
		.amdhsa_dx10_clamp 1
		.amdhsa_ieee_mode 1
		.amdhsa_fp16_overflow 0
		.amdhsa_exception_fp_ieee_invalid_op 0
		.amdhsa_exception_fp_denorm_src 0
		.amdhsa_exception_fp_ieee_div_zero 0
		.amdhsa_exception_fp_ieee_overflow 0
		.amdhsa_exception_fp_ieee_underflow 0
		.amdhsa_exception_fp_ieee_inexact 0
		.amdhsa_exception_int_div_zero 0
	.end_amdhsa_kernel
	.section	.text._ZL41rocblas_syrkx_herkx_small_restrict_kernelIi19rocblas_complex_numIdELi16ELb1ELb1ELc78ELc76EKPKS1_KPS1_EviT_T0_PT6_S7_lSA_S7_lS8_PT7_S7_li,"axG",@progbits,_ZL41rocblas_syrkx_herkx_small_restrict_kernelIi19rocblas_complex_numIdELi16ELb1ELb1ELc78ELc76EKPKS1_KPS1_EviT_T0_PT6_S7_lSA_S7_lS8_PT7_S7_li,comdat
.Lfunc_end887:
	.size	_ZL41rocblas_syrkx_herkx_small_restrict_kernelIi19rocblas_complex_numIdELi16ELb1ELb1ELc78ELc76EKPKS1_KPS1_EviT_T0_PT6_S7_lSA_S7_lS8_PT7_S7_li, .Lfunc_end887-_ZL41rocblas_syrkx_herkx_small_restrict_kernelIi19rocblas_complex_numIdELi16ELb1ELb1ELc78ELc76EKPKS1_KPS1_EviT_T0_PT6_S7_lSA_S7_lS8_PT7_S7_li
                                        ; -- End function
	.set _ZL41rocblas_syrkx_herkx_small_restrict_kernelIi19rocblas_complex_numIdELi16ELb1ELb1ELc78ELc76EKPKS1_KPS1_EviT_T0_PT6_S7_lSA_S7_lS8_PT7_S7_li.num_vgpr, 38
	.set _ZL41rocblas_syrkx_herkx_small_restrict_kernelIi19rocblas_complex_numIdELi16ELb1ELb1ELc78ELc76EKPKS1_KPS1_EviT_T0_PT6_S7_lSA_S7_lS8_PT7_S7_li.num_agpr, 0
	.set _ZL41rocblas_syrkx_herkx_small_restrict_kernelIi19rocblas_complex_numIdELi16ELb1ELb1ELc78ELc76EKPKS1_KPS1_EviT_T0_PT6_S7_lSA_S7_lS8_PT7_S7_li.numbered_sgpr, 22
	.set _ZL41rocblas_syrkx_herkx_small_restrict_kernelIi19rocblas_complex_numIdELi16ELb1ELb1ELc78ELc76EKPKS1_KPS1_EviT_T0_PT6_S7_lSA_S7_lS8_PT7_S7_li.num_named_barrier, 0
	.set _ZL41rocblas_syrkx_herkx_small_restrict_kernelIi19rocblas_complex_numIdELi16ELb1ELb1ELc78ELc76EKPKS1_KPS1_EviT_T0_PT6_S7_lSA_S7_lS8_PT7_S7_li.private_seg_size, 0
	.set _ZL41rocblas_syrkx_herkx_small_restrict_kernelIi19rocblas_complex_numIdELi16ELb1ELb1ELc78ELc76EKPKS1_KPS1_EviT_T0_PT6_S7_lSA_S7_lS8_PT7_S7_li.uses_vcc, 1
	.set _ZL41rocblas_syrkx_herkx_small_restrict_kernelIi19rocblas_complex_numIdELi16ELb1ELb1ELc78ELc76EKPKS1_KPS1_EviT_T0_PT6_S7_lSA_S7_lS8_PT7_S7_li.uses_flat_scratch, 0
	.set _ZL41rocblas_syrkx_herkx_small_restrict_kernelIi19rocblas_complex_numIdELi16ELb1ELb1ELc78ELc76EKPKS1_KPS1_EviT_T0_PT6_S7_lSA_S7_lS8_PT7_S7_li.has_dyn_sized_stack, 0
	.set _ZL41rocblas_syrkx_herkx_small_restrict_kernelIi19rocblas_complex_numIdELi16ELb1ELb1ELc78ELc76EKPKS1_KPS1_EviT_T0_PT6_S7_lSA_S7_lS8_PT7_S7_li.has_recursion, 0
	.set _ZL41rocblas_syrkx_herkx_small_restrict_kernelIi19rocblas_complex_numIdELi16ELb1ELb1ELc78ELc76EKPKS1_KPS1_EviT_T0_PT6_S7_lSA_S7_lS8_PT7_S7_li.has_indirect_call, 0
	.section	.AMDGPU.csdata,"",@progbits
; Kernel info:
; codeLenInByte = 1640
; TotalNumSgprs: 26
; NumVgprs: 38
; ScratchSize: 0
; MemoryBound: 0
; FloatMode: 240
; IeeeMode: 1
; LDSByteSize: 8192 bytes/workgroup (compile time only)
; SGPRBlocks: 8
; VGPRBlocks: 9
; NumSGPRsForWavesPerEU: 65
; NumVGPRsForWavesPerEU: 38
; Occupancy: 6
; WaveLimiterHint : 1
; COMPUTE_PGM_RSRC2:SCRATCH_EN: 0
; COMPUTE_PGM_RSRC2:USER_SGPR: 6
; COMPUTE_PGM_RSRC2:TRAP_HANDLER: 0
; COMPUTE_PGM_RSRC2:TGID_X_EN: 1
; COMPUTE_PGM_RSRC2:TGID_Y_EN: 1
; COMPUTE_PGM_RSRC2:TGID_Z_EN: 1
; COMPUTE_PGM_RSRC2:TIDIG_COMP_CNT: 1
	.section	.text._ZL41rocblas_syrkx_herkx_small_restrict_kernelIi19rocblas_complex_numIdELi16ELb1ELb1ELc84ELc85EKPKS1_KPS1_EviT_T0_PT6_S7_lSA_S7_lS8_PT7_S7_li,"axG",@progbits,_ZL41rocblas_syrkx_herkx_small_restrict_kernelIi19rocblas_complex_numIdELi16ELb1ELb1ELc84ELc85EKPKS1_KPS1_EviT_T0_PT6_S7_lSA_S7_lS8_PT7_S7_li,comdat
	.globl	_ZL41rocblas_syrkx_herkx_small_restrict_kernelIi19rocblas_complex_numIdELi16ELb1ELb1ELc84ELc85EKPKS1_KPS1_EviT_T0_PT6_S7_lSA_S7_lS8_PT7_S7_li ; -- Begin function _ZL41rocblas_syrkx_herkx_small_restrict_kernelIi19rocblas_complex_numIdELi16ELb1ELb1ELc84ELc85EKPKS1_KPS1_EviT_T0_PT6_S7_lSA_S7_lS8_PT7_S7_li
	.p2align	8
	.type	_ZL41rocblas_syrkx_herkx_small_restrict_kernelIi19rocblas_complex_numIdELi16ELb1ELb1ELc84ELc85EKPKS1_KPS1_EviT_T0_PT6_S7_lSA_S7_lS8_PT7_S7_li,@function
_ZL41rocblas_syrkx_herkx_small_restrict_kernelIi19rocblas_complex_numIdELi16ELb1ELb1ELc84ELc85EKPKS1_KPS1_EviT_T0_PT6_S7_lSA_S7_lS8_PT7_S7_li: ; @_ZL41rocblas_syrkx_herkx_small_restrict_kernelIi19rocblas_complex_numIdELi16ELb1ELb1ELc84ELc85EKPKS1_KPS1_EviT_T0_PT6_S7_lSA_S7_lS8_PT7_S7_li
; %bb.0:
	s_load_dwordx2 s[12:13], s[4:5], 0x18
	s_load_dwordx2 s[10:11], s[4:5], 0x58
	s_load_dword s16, s[4:5], 0x4
	s_load_dwordx4 s[0:3], s[4:5], 0x8
	s_mov_b32 s9, 0
	s_lshl_b64 s[14:15], s[8:9], 3
	s_waitcnt lgkmcnt(0)
	s_add_u32 s10, s10, s14
	s_addc_u32 s11, s11, s15
	s_load_dwordx2 s[10:11], s[10:11], 0x0
	v_lshl_add_u32 v2, s6, 4, v0
	s_cmp_lt_i32 s16, 1
	v_lshl_add_u32 v9, s7, 4, v1
	s_cbranch_scc1 .LBB888_6
; %bb.1:
	s_load_dwordx2 s[6:7], s[4:5], 0x30
	s_load_dword s8, s[4:5], 0x20
	s_load_dword s17, s[4:5], 0x38
	v_lshlrev_b32_e32 v5, 8, v1
	v_lshlrev_b32_e32 v10, 4, v0
	s_waitcnt lgkmcnt(0)
	s_add_u32 s6, s6, s14
	s_addc_u32 s7, s7, s15
	s_add_u32 s12, s12, s14
	s_addc_u32 s13, s13, s15
	v_mad_i64_i32 v[3:4], s[14:15], s17, v9, 0
	s_load_dwordx2 s[6:7], s[6:7], 0x0
	v_add_u32_e32 v11, v10, v5
	v_add_u32_e32 v12, 0x1000, v5
	v_lshlrev_b64 v[3:4], 4, v[3:4]
	v_mad_i64_i32 v[5:6], s[14:15], s8, v2, 0
	v_add_co_u32_e32 v0, vcc, v3, v10
	s_load_dwordx2 s[12:13], s[12:13], 0x0
	v_addc_co_u32_e32 v4, vcc, 0, v4, vcc
	s_waitcnt lgkmcnt(0)
	v_mov_b32_e32 v7, s7
	v_add_co_u32_e32 v3, vcc, s6, v0
	v_lshlrev_b64 v[5:6], 4, v[5:6]
	v_addc_co_u32_e32 v4, vcc, v7, v4, vcc
	v_lshlrev_b32_e32 v0, 4, v1
	v_add_co_u32_e32 v0, vcc, v5, v0
	v_addc_co_u32_e32 v1, vcc, 0, v6, vcc
	v_mov_b32_e32 v14, s13
	v_mov_b32_e32 v7, 0
	;; [unrolled: 1-line block ×3, first 2 shown]
	v_add_co_u32_e32 v0, vcc, s12, v0
	v_add_u32_e32 v13, v12, v10
	v_mov_b32_e32 v8, 0
	v_mov_b32_e32 v6, 0
	v_addc_co_u32_e32 v1, vcc, v14, v1, vcc
.LBB888_2:                              ; =>This Inner Loop Header: Depth=1
	flat_load_dwordx4 v[14:17], v[0:1]
	s_add_i32 s9, s9, 16
	s_cmp_lt_i32 s9, s16
	s_waitcnt vmcnt(0) lgkmcnt(0)
	ds_write2_b64 v11, v[14:15], v[16:17] offset1:1
	flat_load_dwordx4 v[14:17], v[3:4]
	v_add_co_u32_e32 v3, vcc, 0x100, v3
	v_addc_co_u32_e32 v4, vcc, 0, v4, vcc
	v_add_co_u32_e32 v0, vcc, 0x100, v0
	v_addc_co_u32_e32 v1, vcc, 0, v1, vcc
	s_waitcnt vmcnt(0) lgkmcnt(0)
	ds_write2_b64 v13, v[14:15], v[16:17] offset1:1
	s_waitcnt lgkmcnt(0)
	s_barrier
	ds_read_b128 v[14:17], v12
	ds_read_b128 v[18:21], v12 offset:16
	ds_read_b128 v[22:25], v12 offset:32
	ds_read_b128 v[26:29], v12 offset:48
	ds_read_b128 v[30:33], v10
	s_waitcnt lgkmcnt(0)
	v_mul_f64 v[34:35], v[16:17], v[32:33]
	v_fma_f64 v[34:35], v[14:15], v[30:31], -v[34:35]
	v_mul_f64 v[14:15], v[14:15], v[32:33]
	v_fma_f64 v[14:15], v[16:17], v[30:31], v[14:15]
	v_add_f64 v[16:17], v[5:6], v[34:35]
	v_add_f64 v[14:15], v[7:8], v[14:15]
	ds_read_b128 v[5:8], v10 offset:256
	s_waitcnt lgkmcnt(0)
	v_mul_f64 v[30:31], v[20:21], v[7:8]
	v_mul_f64 v[7:8], v[18:19], v[7:8]
	v_fma_f64 v[30:31], v[18:19], v[5:6], -v[30:31]
	v_fma_f64 v[5:6], v[20:21], v[5:6], v[7:8]
	v_add_f64 v[16:17], v[16:17], v[30:31]
	v_add_f64 v[14:15], v[14:15], v[5:6]
	ds_read_b128 v[5:8], v10 offset:512
	s_waitcnt lgkmcnt(0)
	v_mul_f64 v[18:19], v[24:25], v[7:8]
	v_mul_f64 v[7:8], v[22:23], v[7:8]
	v_fma_f64 v[18:19], v[22:23], v[5:6], -v[18:19]
	;; [unrolled: 8-line block ×3, first 2 shown]
	v_fma_f64 v[5:6], v[28:29], v[5:6], v[7:8]
	v_add_f64 v[18:19], v[16:17], v[18:19]
	v_add_f64 v[20:21], v[14:15], v[5:6]
	ds_read_b128 v[5:8], v12 offset:64
	ds_read_b128 v[14:17], v10 offset:1024
	s_waitcnt lgkmcnt(0)
	v_mul_f64 v[22:23], v[7:8], v[16:17]
	v_fma_f64 v[22:23], v[5:6], v[14:15], -v[22:23]
	v_mul_f64 v[5:6], v[5:6], v[16:17]
	v_add_f64 v[18:19], v[18:19], v[22:23]
	v_fma_f64 v[5:6], v[7:8], v[14:15], v[5:6]
	v_add_f64 v[20:21], v[20:21], v[5:6]
	ds_read_b128 v[5:8], v12 offset:80
	ds_read_b128 v[14:17], v10 offset:1280
	s_waitcnt lgkmcnt(0)
	v_mul_f64 v[22:23], v[7:8], v[16:17]
	v_fma_f64 v[22:23], v[5:6], v[14:15], -v[22:23]
	v_mul_f64 v[5:6], v[5:6], v[16:17]
	v_add_f64 v[18:19], v[18:19], v[22:23]
	v_fma_f64 v[5:6], v[7:8], v[14:15], v[5:6]
	;; [unrolled: 9-line block ×11, first 2 shown]
	v_add_f64 v[20:21], v[20:21], v[5:6]
	ds_read_b128 v[5:8], v12 offset:240
	ds_read_b128 v[14:17], v10 offset:3840
	s_waitcnt lgkmcnt(0)
	s_barrier
	v_mul_f64 v[22:23], v[7:8], v[16:17]
	v_fma_f64 v[22:23], v[5:6], v[14:15], -v[22:23]
	v_mul_f64 v[5:6], v[5:6], v[16:17]
	v_fma_f64 v[7:8], v[7:8], v[14:15], v[5:6]
	v_add_f64 v[5:6], v[18:19], v[22:23]
	v_add_f64 v[7:8], v[20:21], v[7:8]
	s_cbranch_scc1 .LBB888_2
; %bb.3:
	v_cmp_le_i32_e32 vcc, v2, v9
	s_and_saveexec_b64 s[6:7], vcc
	s_cbranch_execz .LBB888_5
.LBB888_4:
	s_load_dword s4, s[4:5], 0x60
	v_mul_f64 v[0:1], s[2:3], v[7:8]
	v_mul_f64 v[7:8], s[0:1], v[7:8]
	v_ashrrev_i32_e32 v3, 31, v2
	s_waitcnt lgkmcnt(0)
	v_mov_b32_e32 v12, s11
	v_mad_i64_i32 v[10:11], s[4:5], s4, v9, 0
	v_fma_f64 v[0:1], s[0:1], v[5:6], -v[0:1]
	v_fma_f64 v[4:5], s[2:3], v[5:6], v[7:8]
	v_lshlrev_b64 v[6:7], 4, v[10:11]
	v_add_co_u32_e32 v8, vcc, s10, v6
	v_addc_co_u32_e32 v10, vcc, v12, v7, vcc
	v_lshlrev_b64 v[6:7], 4, v[2:3]
	v_add_co_u32_e32 v6, vcc, v8, v6
	v_addc_co_u32_e32 v7, vcc, v10, v7, vcc
	v_cmp_ne_u32_e32 vcc, v2, v9
	v_cndmask_b32_e32 v3, 0, v5, vcc
	v_cndmask_b32_e32 v2, 0, v4, vcc
	flat_store_dwordx4 v[6:7], v[0:3]
.LBB888_5:
	s_endpgm
.LBB888_6:
	v_mov_b32_e32 v7, 0
	v_mov_b32_e32 v5, 0
	;; [unrolled: 1-line block ×4, first 2 shown]
	v_cmp_le_i32_e32 vcc, v2, v9
	s_and_saveexec_b64 s[6:7], vcc
	s_cbranch_execnz .LBB888_4
	s_branch .LBB888_5
	.section	.rodata,"a",@progbits
	.p2align	6, 0x0
	.amdhsa_kernel _ZL41rocblas_syrkx_herkx_small_restrict_kernelIi19rocblas_complex_numIdELi16ELb1ELb1ELc84ELc85EKPKS1_KPS1_EviT_T0_PT6_S7_lSA_S7_lS8_PT7_S7_li
		.amdhsa_group_segment_fixed_size 8192
		.amdhsa_private_segment_fixed_size 0
		.amdhsa_kernarg_size 116
		.amdhsa_user_sgpr_count 6
		.amdhsa_user_sgpr_private_segment_buffer 1
		.amdhsa_user_sgpr_dispatch_ptr 0
		.amdhsa_user_sgpr_queue_ptr 0
		.amdhsa_user_sgpr_kernarg_segment_ptr 1
		.amdhsa_user_sgpr_dispatch_id 0
		.amdhsa_user_sgpr_flat_scratch_init 0
		.amdhsa_user_sgpr_private_segment_size 0
		.amdhsa_uses_dynamic_stack 0
		.amdhsa_system_sgpr_private_segment_wavefront_offset 0
		.amdhsa_system_sgpr_workgroup_id_x 1
		.amdhsa_system_sgpr_workgroup_id_y 1
		.amdhsa_system_sgpr_workgroup_id_z 1
		.amdhsa_system_sgpr_workgroup_info 0
		.amdhsa_system_vgpr_workitem_id 1
		.amdhsa_next_free_vgpr 36
		.amdhsa_next_free_sgpr 61
		.amdhsa_reserve_vcc 1
		.amdhsa_reserve_flat_scratch 0
		.amdhsa_float_round_mode_32 0
		.amdhsa_float_round_mode_16_64 0
		.amdhsa_float_denorm_mode_32 3
		.amdhsa_float_denorm_mode_16_64 3
		.amdhsa_dx10_clamp 1
		.amdhsa_ieee_mode 1
		.amdhsa_fp16_overflow 0
		.amdhsa_exception_fp_ieee_invalid_op 0
		.amdhsa_exception_fp_denorm_src 0
		.amdhsa_exception_fp_ieee_div_zero 0
		.amdhsa_exception_fp_ieee_overflow 0
		.amdhsa_exception_fp_ieee_underflow 0
		.amdhsa_exception_fp_ieee_inexact 0
		.amdhsa_exception_int_div_zero 0
	.end_amdhsa_kernel
	.section	.text._ZL41rocblas_syrkx_herkx_small_restrict_kernelIi19rocblas_complex_numIdELi16ELb1ELb1ELc84ELc85EKPKS1_KPS1_EviT_T0_PT6_S7_lSA_S7_lS8_PT7_S7_li,"axG",@progbits,_ZL41rocblas_syrkx_herkx_small_restrict_kernelIi19rocblas_complex_numIdELi16ELb1ELb1ELc84ELc85EKPKS1_KPS1_EviT_T0_PT6_S7_lSA_S7_lS8_PT7_S7_li,comdat
.Lfunc_end888:
	.size	_ZL41rocblas_syrkx_herkx_small_restrict_kernelIi19rocblas_complex_numIdELi16ELb1ELb1ELc84ELc85EKPKS1_KPS1_EviT_T0_PT6_S7_lSA_S7_lS8_PT7_S7_li, .Lfunc_end888-_ZL41rocblas_syrkx_herkx_small_restrict_kernelIi19rocblas_complex_numIdELi16ELb1ELb1ELc84ELc85EKPKS1_KPS1_EviT_T0_PT6_S7_lSA_S7_lS8_PT7_S7_li
                                        ; -- End function
	.set _ZL41rocblas_syrkx_herkx_small_restrict_kernelIi19rocblas_complex_numIdELi16ELb1ELb1ELc84ELc85EKPKS1_KPS1_EviT_T0_PT6_S7_lSA_S7_lS8_PT7_S7_li.num_vgpr, 36
	.set _ZL41rocblas_syrkx_herkx_small_restrict_kernelIi19rocblas_complex_numIdELi16ELb1ELb1ELc84ELc85EKPKS1_KPS1_EviT_T0_PT6_S7_lSA_S7_lS8_PT7_S7_li.num_agpr, 0
	.set _ZL41rocblas_syrkx_herkx_small_restrict_kernelIi19rocblas_complex_numIdELi16ELb1ELb1ELc84ELc85EKPKS1_KPS1_EviT_T0_PT6_S7_lSA_S7_lS8_PT7_S7_li.numbered_sgpr, 18
	.set _ZL41rocblas_syrkx_herkx_small_restrict_kernelIi19rocblas_complex_numIdELi16ELb1ELb1ELc84ELc85EKPKS1_KPS1_EviT_T0_PT6_S7_lSA_S7_lS8_PT7_S7_li.num_named_barrier, 0
	.set _ZL41rocblas_syrkx_herkx_small_restrict_kernelIi19rocblas_complex_numIdELi16ELb1ELb1ELc84ELc85EKPKS1_KPS1_EviT_T0_PT6_S7_lSA_S7_lS8_PT7_S7_li.private_seg_size, 0
	.set _ZL41rocblas_syrkx_herkx_small_restrict_kernelIi19rocblas_complex_numIdELi16ELb1ELb1ELc84ELc85EKPKS1_KPS1_EviT_T0_PT6_S7_lSA_S7_lS8_PT7_S7_li.uses_vcc, 1
	.set _ZL41rocblas_syrkx_herkx_small_restrict_kernelIi19rocblas_complex_numIdELi16ELb1ELb1ELc84ELc85EKPKS1_KPS1_EviT_T0_PT6_S7_lSA_S7_lS8_PT7_S7_li.uses_flat_scratch, 0
	.set _ZL41rocblas_syrkx_herkx_small_restrict_kernelIi19rocblas_complex_numIdELi16ELb1ELb1ELc84ELc85EKPKS1_KPS1_EviT_T0_PT6_S7_lSA_S7_lS8_PT7_S7_li.has_dyn_sized_stack, 0
	.set _ZL41rocblas_syrkx_herkx_small_restrict_kernelIi19rocblas_complex_numIdELi16ELb1ELb1ELc84ELc85EKPKS1_KPS1_EviT_T0_PT6_S7_lSA_S7_lS8_PT7_S7_li.has_recursion, 0
	.set _ZL41rocblas_syrkx_herkx_small_restrict_kernelIi19rocblas_complex_numIdELi16ELb1ELb1ELc84ELc85EKPKS1_KPS1_EviT_T0_PT6_S7_lSA_S7_lS8_PT7_S7_li.has_indirect_call, 0
	.section	.AMDGPU.csdata,"",@progbits
; Kernel info:
; codeLenInByte = 1600
; TotalNumSgprs: 22
; NumVgprs: 36
; ScratchSize: 0
; MemoryBound: 0
; FloatMode: 240
; IeeeMode: 1
; LDSByteSize: 8192 bytes/workgroup (compile time only)
; SGPRBlocks: 8
; VGPRBlocks: 8
; NumSGPRsForWavesPerEU: 65
; NumVGPRsForWavesPerEU: 36
; Occupancy: 7
; WaveLimiterHint : 1
; COMPUTE_PGM_RSRC2:SCRATCH_EN: 0
; COMPUTE_PGM_RSRC2:USER_SGPR: 6
; COMPUTE_PGM_RSRC2:TRAP_HANDLER: 0
; COMPUTE_PGM_RSRC2:TGID_X_EN: 1
; COMPUTE_PGM_RSRC2:TGID_Y_EN: 1
; COMPUTE_PGM_RSRC2:TGID_Z_EN: 1
; COMPUTE_PGM_RSRC2:TIDIG_COMP_CNT: 1
	.section	.text._ZL41rocblas_syrkx_herkx_small_restrict_kernelIi19rocblas_complex_numIdELi16ELb1ELb1ELc67ELc85EKPKS1_KPS1_EviT_T0_PT6_S7_lSA_S7_lS8_PT7_S7_li,"axG",@progbits,_ZL41rocblas_syrkx_herkx_small_restrict_kernelIi19rocblas_complex_numIdELi16ELb1ELb1ELc67ELc85EKPKS1_KPS1_EviT_T0_PT6_S7_lSA_S7_lS8_PT7_S7_li,comdat
	.globl	_ZL41rocblas_syrkx_herkx_small_restrict_kernelIi19rocblas_complex_numIdELi16ELb1ELb1ELc67ELc85EKPKS1_KPS1_EviT_T0_PT6_S7_lSA_S7_lS8_PT7_S7_li ; -- Begin function _ZL41rocblas_syrkx_herkx_small_restrict_kernelIi19rocblas_complex_numIdELi16ELb1ELb1ELc67ELc85EKPKS1_KPS1_EviT_T0_PT6_S7_lSA_S7_lS8_PT7_S7_li
	.p2align	8
	.type	_ZL41rocblas_syrkx_herkx_small_restrict_kernelIi19rocblas_complex_numIdELi16ELb1ELb1ELc67ELc85EKPKS1_KPS1_EviT_T0_PT6_S7_lSA_S7_lS8_PT7_S7_li,@function
_ZL41rocblas_syrkx_herkx_small_restrict_kernelIi19rocblas_complex_numIdELi16ELb1ELb1ELc67ELc85EKPKS1_KPS1_EviT_T0_PT6_S7_lSA_S7_lS8_PT7_S7_li: ; @_ZL41rocblas_syrkx_herkx_small_restrict_kernelIi19rocblas_complex_numIdELi16ELb1ELb1ELc67ELc85EKPKS1_KPS1_EviT_T0_PT6_S7_lSA_S7_lS8_PT7_S7_li
; %bb.0:
	s_load_dwordx2 s[12:13], s[4:5], 0x18
	s_load_dwordx2 s[10:11], s[4:5], 0x58
	s_load_dword s16, s[4:5], 0x4
	s_load_dwordx4 s[0:3], s[4:5], 0x8
	s_mov_b32 s9, 0
	s_lshl_b64 s[14:15], s[8:9], 3
	s_waitcnt lgkmcnt(0)
	s_add_u32 s10, s10, s14
	s_addc_u32 s11, s11, s15
	s_load_dwordx2 s[10:11], s[10:11], 0x0
	v_lshl_add_u32 v2, s6, 4, v0
	s_cmp_lt_i32 s16, 1
	v_lshl_add_u32 v9, s7, 4, v1
	s_cbranch_scc1 .LBB889_6
; %bb.1:
	s_load_dwordx2 s[6:7], s[4:5], 0x30
	s_load_dword s8, s[4:5], 0x20
	s_load_dword s17, s[4:5], 0x38
	v_lshlrev_b32_e32 v5, 8, v1
	v_lshlrev_b32_e32 v10, 4, v0
	s_waitcnt lgkmcnt(0)
	s_add_u32 s6, s6, s14
	s_addc_u32 s7, s7, s15
	s_add_u32 s12, s12, s14
	s_addc_u32 s13, s13, s15
	v_mad_i64_i32 v[3:4], s[14:15], s17, v9, 0
	s_load_dwordx2 s[6:7], s[6:7], 0x0
	v_add_u32_e32 v11, v10, v5
	v_add_u32_e32 v12, 0x1000, v5
	v_lshlrev_b64 v[3:4], 4, v[3:4]
	v_mad_i64_i32 v[5:6], s[14:15], s8, v2, 0
	v_add_co_u32_e32 v0, vcc, v3, v10
	s_load_dwordx2 s[12:13], s[12:13], 0x0
	v_addc_co_u32_e32 v4, vcc, 0, v4, vcc
	s_waitcnt lgkmcnt(0)
	v_mov_b32_e32 v7, s7
	v_add_co_u32_e32 v3, vcc, s6, v0
	v_lshlrev_b64 v[5:6], 4, v[5:6]
	v_addc_co_u32_e32 v4, vcc, v7, v4, vcc
	v_lshlrev_b32_e32 v0, 4, v1
	v_add_co_u32_e32 v0, vcc, v5, v0
	v_addc_co_u32_e32 v1, vcc, 0, v6, vcc
	v_mov_b32_e32 v14, s13
	v_mov_b32_e32 v7, 0
	;; [unrolled: 1-line block ×3, first 2 shown]
	v_add_co_u32_e32 v0, vcc, s12, v0
	v_add_u32_e32 v13, v12, v10
	v_mov_b32_e32 v8, 0
	v_mov_b32_e32 v6, 0
	v_addc_co_u32_e32 v1, vcc, v14, v1, vcc
.LBB889_2:                              ; =>This Inner Loop Header: Depth=1
	flat_load_dwordx4 v[14:17], v[0:1]
	s_add_i32 s9, s9, 16
	s_cmp_lt_i32 s9, s16
	s_waitcnt vmcnt(0) lgkmcnt(0)
	v_xor_b32_e32 v17, 0x80000000, v17
	ds_write_b128 v11, v[14:17]
	flat_load_dwordx4 v[14:17], v[3:4]
	v_add_co_u32_e32 v3, vcc, 0x100, v3
	v_addc_co_u32_e32 v4, vcc, 0, v4, vcc
	v_add_co_u32_e32 v0, vcc, 0x100, v0
	v_addc_co_u32_e32 v1, vcc, 0, v1, vcc
	s_waitcnt vmcnt(0) lgkmcnt(0)
	ds_write2_b64 v13, v[14:15], v[16:17] offset1:1
	s_waitcnt lgkmcnt(0)
	s_barrier
	ds_read_b128 v[14:17], v12
	ds_read_b128 v[18:21], v12 offset:16
	ds_read_b128 v[22:25], v12 offset:32
	;; [unrolled: 1-line block ×3, first 2 shown]
	ds_read_b128 v[30:33], v10
	s_waitcnt lgkmcnt(0)
	v_mul_f64 v[34:35], v[16:17], v[32:33]
	v_fma_f64 v[34:35], v[14:15], v[30:31], -v[34:35]
	v_mul_f64 v[14:15], v[14:15], v[32:33]
	v_fma_f64 v[14:15], v[16:17], v[30:31], v[14:15]
	v_add_f64 v[16:17], v[5:6], v[34:35]
	v_add_f64 v[14:15], v[7:8], v[14:15]
	ds_read_b128 v[5:8], v10 offset:256
	s_waitcnt lgkmcnt(0)
	v_mul_f64 v[30:31], v[20:21], v[7:8]
	v_mul_f64 v[7:8], v[18:19], v[7:8]
	v_fma_f64 v[30:31], v[18:19], v[5:6], -v[30:31]
	v_fma_f64 v[5:6], v[20:21], v[5:6], v[7:8]
	v_add_f64 v[16:17], v[16:17], v[30:31]
	v_add_f64 v[14:15], v[14:15], v[5:6]
	ds_read_b128 v[5:8], v10 offset:512
	s_waitcnt lgkmcnt(0)
	v_mul_f64 v[18:19], v[24:25], v[7:8]
	v_mul_f64 v[7:8], v[22:23], v[7:8]
	v_fma_f64 v[18:19], v[22:23], v[5:6], -v[18:19]
	;; [unrolled: 8-line block ×3, first 2 shown]
	v_fma_f64 v[5:6], v[28:29], v[5:6], v[7:8]
	v_add_f64 v[18:19], v[16:17], v[18:19]
	v_add_f64 v[20:21], v[14:15], v[5:6]
	ds_read_b128 v[5:8], v12 offset:64
	ds_read_b128 v[14:17], v10 offset:1024
	s_waitcnt lgkmcnt(0)
	v_mul_f64 v[22:23], v[7:8], v[16:17]
	v_fma_f64 v[22:23], v[5:6], v[14:15], -v[22:23]
	v_mul_f64 v[5:6], v[5:6], v[16:17]
	v_add_f64 v[18:19], v[18:19], v[22:23]
	v_fma_f64 v[5:6], v[7:8], v[14:15], v[5:6]
	v_add_f64 v[20:21], v[20:21], v[5:6]
	ds_read_b128 v[5:8], v12 offset:80
	ds_read_b128 v[14:17], v10 offset:1280
	s_waitcnt lgkmcnt(0)
	v_mul_f64 v[22:23], v[7:8], v[16:17]
	v_fma_f64 v[22:23], v[5:6], v[14:15], -v[22:23]
	v_mul_f64 v[5:6], v[5:6], v[16:17]
	v_add_f64 v[18:19], v[18:19], v[22:23]
	v_fma_f64 v[5:6], v[7:8], v[14:15], v[5:6]
	;; [unrolled: 9-line block ×11, first 2 shown]
	v_add_f64 v[20:21], v[20:21], v[5:6]
	ds_read_b128 v[5:8], v12 offset:240
	ds_read_b128 v[14:17], v10 offset:3840
	s_waitcnt lgkmcnt(0)
	s_barrier
	v_mul_f64 v[22:23], v[7:8], v[16:17]
	v_fma_f64 v[22:23], v[5:6], v[14:15], -v[22:23]
	v_mul_f64 v[5:6], v[5:6], v[16:17]
	v_fma_f64 v[7:8], v[7:8], v[14:15], v[5:6]
	v_add_f64 v[5:6], v[18:19], v[22:23]
	v_add_f64 v[7:8], v[20:21], v[7:8]
	s_cbranch_scc1 .LBB889_2
; %bb.3:
	v_cmp_le_i32_e32 vcc, v2, v9
	s_and_saveexec_b64 s[6:7], vcc
	s_cbranch_execz .LBB889_5
.LBB889_4:
	s_load_dword s4, s[4:5], 0x60
	v_mul_f64 v[0:1], s[2:3], v[7:8]
	v_mul_f64 v[7:8], s[0:1], v[7:8]
	v_ashrrev_i32_e32 v3, 31, v2
	s_waitcnt lgkmcnt(0)
	v_mov_b32_e32 v12, s11
	v_mad_i64_i32 v[10:11], s[4:5], s4, v9, 0
	v_fma_f64 v[0:1], s[0:1], v[5:6], -v[0:1]
	v_fma_f64 v[4:5], s[2:3], v[5:6], v[7:8]
	v_lshlrev_b64 v[6:7], 4, v[10:11]
	v_add_co_u32_e32 v8, vcc, s10, v6
	v_addc_co_u32_e32 v10, vcc, v12, v7, vcc
	v_lshlrev_b64 v[6:7], 4, v[2:3]
	v_add_co_u32_e32 v6, vcc, v8, v6
	v_addc_co_u32_e32 v7, vcc, v10, v7, vcc
	v_cmp_ne_u32_e32 vcc, v2, v9
	v_cndmask_b32_e32 v3, 0, v5, vcc
	v_cndmask_b32_e32 v2, 0, v4, vcc
	flat_store_dwordx4 v[6:7], v[0:3]
.LBB889_5:
	s_endpgm
.LBB889_6:
	v_mov_b32_e32 v7, 0
	v_mov_b32_e32 v5, 0
	;; [unrolled: 1-line block ×4, first 2 shown]
	v_cmp_le_i32_e32 vcc, v2, v9
	s_and_saveexec_b64 s[6:7], vcc
	s_cbranch_execnz .LBB889_4
	s_branch .LBB889_5
	.section	.rodata,"a",@progbits
	.p2align	6, 0x0
	.amdhsa_kernel _ZL41rocblas_syrkx_herkx_small_restrict_kernelIi19rocblas_complex_numIdELi16ELb1ELb1ELc67ELc85EKPKS1_KPS1_EviT_T0_PT6_S7_lSA_S7_lS8_PT7_S7_li
		.amdhsa_group_segment_fixed_size 8192
		.amdhsa_private_segment_fixed_size 0
		.amdhsa_kernarg_size 116
		.amdhsa_user_sgpr_count 6
		.amdhsa_user_sgpr_private_segment_buffer 1
		.amdhsa_user_sgpr_dispatch_ptr 0
		.amdhsa_user_sgpr_queue_ptr 0
		.amdhsa_user_sgpr_kernarg_segment_ptr 1
		.amdhsa_user_sgpr_dispatch_id 0
		.amdhsa_user_sgpr_flat_scratch_init 0
		.amdhsa_user_sgpr_private_segment_size 0
		.amdhsa_uses_dynamic_stack 0
		.amdhsa_system_sgpr_private_segment_wavefront_offset 0
		.amdhsa_system_sgpr_workgroup_id_x 1
		.amdhsa_system_sgpr_workgroup_id_y 1
		.amdhsa_system_sgpr_workgroup_id_z 1
		.amdhsa_system_sgpr_workgroup_info 0
		.amdhsa_system_vgpr_workitem_id 1
		.amdhsa_next_free_vgpr 36
		.amdhsa_next_free_sgpr 61
		.amdhsa_reserve_vcc 1
		.amdhsa_reserve_flat_scratch 0
		.amdhsa_float_round_mode_32 0
		.amdhsa_float_round_mode_16_64 0
		.amdhsa_float_denorm_mode_32 3
		.amdhsa_float_denorm_mode_16_64 3
		.amdhsa_dx10_clamp 1
		.amdhsa_ieee_mode 1
		.amdhsa_fp16_overflow 0
		.amdhsa_exception_fp_ieee_invalid_op 0
		.amdhsa_exception_fp_denorm_src 0
		.amdhsa_exception_fp_ieee_div_zero 0
		.amdhsa_exception_fp_ieee_overflow 0
		.amdhsa_exception_fp_ieee_underflow 0
		.amdhsa_exception_fp_ieee_inexact 0
		.amdhsa_exception_int_div_zero 0
	.end_amdhsa_kernel
	.section	.text._ZL41rocblas_syrkx_herkx_small_restrict_kernelIi19rocblas_complex_numIdELi16ELb1ELb1ELc67ELc85EKPKS1_KPS1_EviT_T0_PT6_S7_lSA_S7_lS8_PT7_S7_li,"axG",@progbits,_ZL41rocblas_syrkx_herkx_small_restrict_kernelIi19rocblas_complex_numIdELi16ELb1ELb1ELc67ELc85EKPKS1_KPS1_EviT_T0_PT6_S7_lSA_S7_lS8_PT7_S7_li,comdat
.Lfunc_end889:
	.size	_ZL41rocblas_syrkx_herkx_small_restrict_kernelIi19rocblas_complex_numIdELi16ELb1ELb1ELc67ELc85EKPKS1_KPS1_EviT_T0_PT6_S7_lSA_S7_lS8_PT7_S7_li, .Lfunc_end889-_ZL41rocblas_syrkx_herkx_small_restrict_kernelIi19rocblas_complex_numIdELi16ELb1ELb1ELc67ELc85EKPKS1_KPS1_EviT_T0_PT6_S7_lSA_S7_lS8_PT7_S7_li
                                        ; -- End function
	.set _ZL41rocblas_syrkx_herkx_small_restrict_kernelIi19rocblas_complex_numIdELi16ELb1ELb1ELc67ELc85EKPKS1_KPS1_EviT_T0_PT6_S7_lSA_S7_lS8_PT7_S7_li.num_vgpr, 36
	.set _ZL41rocblas_syrkx_herkx_small_restrict_kernelIi19rocblas_complex_numIdELi16ELb1ELb1ELc67ELc85EKPKS1_KPS1_EviT_T0_PT6_S7_lSA_S7_lS8_PT7_S7_li.num_agpr, 0
	.set _ZL41rocblas_syrkx_herkx_small_restrict_kernelIi19rocblas_complex_numIdELi16ELb1ELb1ELc67ELc85EKPKS1_KPS1_EviT_T0_PT6_S7_lSA_S7_lS8_PT7_S7_li.numbered_sgpr, 18
	.set _ZL41rocblas_syrkx_herkx_small_restrict_kernelIi19rocblas_complex_numIdELi16ELb1ELb1ELc67ELc85EKPKS1_KPS1_EviT_T0_PT6_S7_lSA_S7_lS8_PT7_S7_li.num_named_barrier, 0
	.set _ZL41rocblas_syrkx_herkx_small_restrict_kernelIi19rocblas_complex_numIdELi16ELb1ELb1ELc67ELc85EKPKS1_KPS1_EviT_T0_PT6_S7_lSA_S7_lS8_PT7_S7_li.private_seg_size, 0
	.set _ZL41rocblas_syrkx_herkx_small_restrict_kernelIi19rocblas_complex_numIdELi16ELb1ELb1ELc67ELc85EKPKS1_KPS1_EviT_T0_PT6_S7_lSA_S7_lS8_PT7_S7_li.uses_vcc, 1
	.set _ZL41rocblas_syrkx_herkx_small_restrict_kernelIi19rocblas_complex_numIdELi16ELb1ELb1ELc67ELc85EKPKS1_KPS1_EviT_T0_PT6_S7_lSA_S7_lS8_PT7_S7_li.uses_flat_scratch, 0
	.set _ZL41rocblas_syrkx_herkx_small_restrict_kernelIi19rocblas_complex_numIdELi16ELb1ELb1ELc67ELc85EKPKS1_KPS1_EviT_T0_PT6_S7_lSA_S7_lS8_PT7_S7_li.has_dyn_sized_stack, 0
	.set _ZL41rocblas_syrkx_herkx_small_restrict_kernelIi19rocblas_complex_numIdELi16ELb1ELb1ELc67ELc85EKPKS1_KPS1_EviT_T0_PT6_S7_lSA_S7_lS8_PT7_S7_li.has_recursion, 0
	.set _ZL41rocblas_syrkx_herkx_small_restrict_kernelIi19rocblas_complex_numIdELi16ELb1ELb1ELc67ELc85EKPKS1_KPS1_EviT_T0_PT6_S7_lSA_S7_lS8_PT7_S7_li.has_indirect_call, 0
	.section	.AMDGPU.csdata,"",@progbits
; Kernel info:
; codeLenInByte = 1608
; TotalNumSgprs: 22
; NumVgprs: 36
; ScratchSize: 0
; MemoryBound: 0
; FloatMode: 240
; IeeeMode: 1
; LDSByteSize: 8192 bytes/workgroup (compile time only)
; SGPRBlocks: 8
; VGPRBlocks: 8
; NumSGPRsForWavesPerEU: 65
; NumVGPRsForWavesPerEU: 36
; Occupancy: 7
; WaveLimiterHint : 1
; COMPUTE_PGM_RSRC2:SCRATCH_EN: 0
; COMPUTE_PGM_RSRC2:USER_SGPR: 6
; COMPUTE_PGM_RSRC2:TRAP_HANDLER: 0
; COMPUTE_PGM_RSRC2:TGID_X_EN: 1
; COMPUTE_PGM_RSRC2:TGID_Y_EN: 1
; COMPUTE_PGM_RSRC2:TGID_Z_EN: 1
; COMPUTE_PGM_RSRC2:TIDIG_COMP_CNT: 1
	.section	.text._ZL41rocblas_syrkx_herkx_small_restrict_kernelIi19rocblas_complex_numIdELi16ELb1ELb1ELc78ELc85EKPKS1_KPS1_EviT_T0_PT6_S7_lSA_S7_lS8_PT7_S7_li,"axG",@progbits,_ZL41rocblas_syrkx_herkx_small_restrict_kernelIi19rocblas_complex_numIdELi16ELb1ELb1ELc78ELc85EKPKS1_KPS1_EviT_T0_PT6_S7_lSA_S7_lS8_PT7_S7_li,comdat
	.globl	_ZL41rocblas_syrkx_herkx_small_restrict_kernelIi19rocblas_complex_numIdELi16ELb1ELb1ELc78ELc85EKPKS1_KPS1_EviT_T0_PT6_S7_lSA_S7_lS8_PT7_S7_li ; -- Begin function _ZL41rocblas_syrkx_herkx_small_restrict_kernelIi19rocblas_complex_numIdELi16ELb1ELb1ELc78ELc85EKPKS1_KPS1_EviT_T0_PT6_S7_lSA_S7_lS8_PT7_S7_li
	.p2align	8
	.type	_ZL41rocblas_syrkx_herkx_small_restrict_kernelIi19rocblas_complex_numIdELi16ELb1ELb1ELc78ELc85EKPKS1_KPS1_EviT_T0_PT6_S7_lSA_S7_lS8_PT7_S7_li,@function
_ZL41rocblas_syrkx_herkx_small_restrict_kernelIi19rocblas_complex_numIdELi16ELb1ELb1ELc78ELc85EKPKS1_KPS1_EviT_T0_PT6_S7_lSA_S7_lS8_PT7_S7_li: ; @_ZL41rocblas_syrkx_herkx_small_restrict_kernelIi19rocblas_complex_numIdELi16ELb1ELb1ELc78ELc85EKPKS1_KPS1_EviT_T0_PT6_S7_lSA_S7_lS8_PT7_S7_li
; %bb.0:
	s_load_dwordx2 s[12:13], s[4:5], 0x18
	s_load_dwordx2 s[10:11], s[4:5], 0x58
	s_load_dword s16, s[4:5], 0x4
	s_load_dwordx4 s[0:3], s[4:5], 0x8
	s_mov_b32 s9, 0
	s_lshl_b64 s[14:15], s[8:9], 3
	s_waitcnt lgkmcnt(0)
	s_add_u32 s10, s10, s14
	s_addc_u32 s11, s11, s15
	s_load_dwordx2 s[10:11], s[10:11], 0x0
	v_lshl_add_u32 v2, s6, 4, v0
	v_lshl_add_u32 v4, s7, 4, v1
	s_cmp_lt_i32 s16, 1
	v_ashrrev_i32_e32 v3, 31, v2
	s_cbranch_scc1 .LBB890_6
; %bb.1:
	s_load_dword s18, s[4:5], 0x20
	s_load_dword s6, s[4:5], 0x38
	s_load_dwordx2 s[20:21], s[4:5], 0x30
	v_lshlrev_b32_e32 v8, 8, v1
	v_lshlrev_b32_e32 v11, 4, v0
	s_waitcnt lgkmcnt(0)
	s_ashr_i32 s19, s18, 31
	s_ashr_i32 s7, s6, 31
	s_add_u32 s20, s20, s14
	s_addc_u32 s21, s21, s15
	s_add_u32 s12, s12, s14
	s_addc_u32 s13, s13, s15
	v_mad_i64_i32 v[6:7], s[14:15], s6, v0, 0
	v_ashrrev_i32_e32 v5, 31, v4
	s_load_dwordx2 s[20:21], s[20:21], 0x0
	v_add_u32_e32 v12, v11, v8
	v_add_u32_e32 v13, 0x1000, v8
	v_lshlrev_b64 v[6:7], 4, v[6:7]
	v_lshlrev_b64 v[8:9], 4, v[4:5]
	s_load_dwordx2 s[12:13], s[12:13], 0x0
	v_add_co_u32_e32 v0, vcc, v6, v8
	v_mad_i64_i32 v[5:6], s[14:15], s18, v1, 0
	v_addc_co_u32_e32 v7, vcc, v7, v9, vcc
	s_waitcnt lgkmcnt(0)
	v_mov_b32_e32 v8, s21
	v_add_co_u32_e32 v0, vcc, s20, v0
	v_addc_co_u32_e32 v1, vcc, v8, v7, vcc
	v_lshlrev_b64 v[5:6], 4, v[5:6]
	v_lshlrev_b64 v[7:8], 4, v[2:3]
	s_lshl_b64 s[6:7], s[6:7], 8
	v_add_co_u32_e32 v5, vcc, v5, v7
	v_addc_co_u32_e32 v6, vcc, v6, v8, vcc
	v_mov_b32_e32 v7, s13
	v_add_co_u32_e32 v5, vcc, s12, v5
	v_addc_co_u32_e32 v6, vcc, v7, v6, vcc
	s_lshl_b64 s[12:13], s[18:19], 8
	v_mov_b32_e32 v9, 0
	v_mov_b32_e32 v7, 0
	;; [unrolled: 1-line block ×6, first 2 shown]
.LBB890_2:                              ; =>This Inner Loop Header: Depth=1
	flat_load_dwordx4 v[16:19], v[5:6]
	v_add_u32_e32 v20, v13, v11
	s_add_i32 s9, s9, 16
	s_cmp_lt_i32 s9, s16
	s_waitcnt vmcnt(0) lgkmcnt(0)
	ds_write2_b64 v12, v[16:17], v[18:19] offset1:1
	flat_load_dwordx4 v[16:19], v[0:1]
	v_add_co_u32_e32 v0, vcc, s6, v0
	v_addc_co_u32_e32 v1, vcc, v1, v14, vcc
	v_add_co_u32_e32 v5, vcc, s12, v5
	v_addc_co_u32_e32 v6, vcc, v6, v15, vcc
	s_waitcnt vmcnt(0) lgkmcnt(0)
	v_xor_b32_e32 v19, 0x80000000, v19
	ds_write_b128 v20, v[16:19]
	s_waitcnt lgkmcnt(0)
	s_barrier
	ds_read_b128 v[16:19], v13
	ds_read_b128 v[20:23], v13 offset:16
	ds_read_b128 v[24:27], v13 offset:32
	;; [unrolled: 1-line block ×3, first 2 shown]
	ds_read_b128 v[32:35], v11
	s_waitcnt lgkmcnt(0)
	v_mul_f64 v[36:37], v[18:19], v[34:35]
	v_fma_f64 v[36:37], v[16:17], v[32:33], -v[36:37]
	v_mul_f64 v[16:17], v[16:17], v[34:35]
	v_fma_f64 v[16:17], v[18:19], v[32:33], v[16:17]
	v_add_f64 v[18:19], v[7:8], v[36:37]
	v_add_f64 v[16:17], v[9:10], v[16:17]
	ds_read_b128 v[7:10], v11 offset:256
	s_waitcnt lgkmcnt(0)
	v_mul_f64 v[32:33], v[22:23], v[9:10]
	v_mul_f64 v[9:10], v[20:21], v[9:10]
	v_fma_f64 v[32:33], v[20:21], v[7:8], -v[32:33]
	v_fma_f64 v[7:8], v[22:23], v[7:8], v[9:10]
	v_add_f64 v[18:19], v[18:19], v[32:33]
	v_add_f64 v[16:17], v[16:17], v[7:8]
	ds_read_b128 v[7:10], v11 offset:512
	s_waitcnt lgkmcnt(0)
	v_mul_f64 v[20:21], v[26:27], v[9:10]
	v_mul_f64 v[9:10], v[24:25], v[9:10]
	v_fma_f64 v[20:21], v[24:25], v[7:8], -v[20:21]
	;; [unrolled: 8-line block ×3, first 2 shown]
	v_fma_f64 v[7:8], v[30:31], v[7:8], v[9:10]
	v_add_f64 v[20:21], v[18:19], v[20:21]
	v_add_f64 v[22:23], v[16:17], v[7:8]
	ds_read_b128 v[7:10], v13 offset:64
	ds_read_b128 v[16:19], v11 offset:1024
	s_waitcnt lgkmcnt(0)
	v_mul_f64 v[24:25], v[9:10], v[18:19]
	v_fma_f64 v[24:25], v[7:8], v[16:17], -v[24:25]
	v_mul_f64 v[7:8], v[7:8], v[18:19]
	v_add_f64 v[20:21], v[20:21], v[24:25]
	v_fma_f64 v[7:8], v[9:10], v[16:17], v[7:8]
	v_add_f64 v[22:23], v[22:23], v[7:8]
	ds_read_b128 v[7:10], v13 offset:80
	ds_read_b128 v[16:19], v11 offset:1280
	s_waitcnt lgkmcnt(0)
	v_mul_f64 v[24:25], v[9:10], v[18:19]
	v_fma_f64 v[24:25], v[7:8], v[16:17], -v[24:25]
	v_mul_f64 v[7:8], v[7:8], v[18:19]
	v_add_f64 v[20:21], v[20:21], v[24:25]
	v_fma_f64 v[7:8], v[9:10], v[16:17], v[7:8]
	;; [unrolled: 9-line block ×11, first 2 shown]
	v_add_f64 v[22:23], v[22:23], v[7:8]
	ds_read_b128 v[7:10], v13 offset:240
	ds_read_b128 v[16:19], v11 offset:3840
	s_waitcnt lgkmcnt(0)
	s_barrier
	v_mul_f64 v[24:25], v[9:10], v[18:19]
	v_fma_f64 v[24:25], v[7:8], v[16:17], -v[24:25]
	v_mul_f64 v[7:8], v[7:8], v[18:19]
	v_fma_f64 v[9:10], v[9:10], v[16:17], v[7:8]
	v_add_f64 v[7:8], v[20:21], v[24:25]
	v_add_f64 v[9:10], v[22:23], v[9:10]
	s_cbranch_scc1 .LBB890_2
; %bb.3:
	v_cmp_le_i32_e32 vcc, v2, v4
	s_and_saveexec_b64 s[6:7], vcc
	s_cbranch_execz .LBB890_5
.LBB890_4:
	s_load_dword s4, s[4:5], 0x60
	v_mul_f64 v[0:1], s[2:3], v[9:10]
	v_mul_f64 v[5:6], s[0:1], v[9:10]
	s_waitcnt lgkmcnt(0)
	v_mov_b32_e32 v11, s11
	v_mad_i64_i32 v[9:10], s[4:5], s4, v4, 0
	v_fma_f64 v[0:1], s[0:1], v[7:8], -v[0:1]
	v_fma_f64 v[5:6], s[2:3], v[7:8], v[5:6]
	v_lshlrev_b64 v[7:8], 4, v[9:10]
	v_add_co_u32_e32 v9, vcc, s10, v7
	v_addc_co_u32_e32 v10, vcc, v11, v8, vcc
	v_lshlrev_b64 v[7:8], 4, v[2:3]
	v_add_co_u32_e32 v7, vcc, v9, v7
	v_addc_co_u32_e32 v8, vcc, v10, v8, vcc
	v_cmp_ne_u32_e32 vcc, v2, v4
	v_cndmask_b32_e32 v3, 0, v6, vcc
	v_cndmask_b32_e32 v2, 0, v5, vcc
	flat_store_dwordx4 v[7:8], v[0:3]
.LBB890_5:
	s_endpgm
.LBB890_6:
	v_mov_b32_e32 v9, 0
	v_mov_b32_e32 v7, 0
	;; [unrolled: 1-line block ×4, first 2 shown]
	v_cmp_le_i32_e32 vcc, v2, v4
	s_and_saveexec_b64 s[6:7], vcc
	s_cbranch_execnz .LBB890_4
	s_branch .LBB890_5
	.section	.rodata,"a",@progbits
	.p2align	6, 0x0
	.amdhsa_kernel _ZL41rocblas_syrkx_herkx_small_restrict_kernelIi19rocblas_complex_numIdELi16ELb1ELb1ELc78ELc85EKPKS1_KPS1_EviT_T0_PT6_S7_lSA_S7_lS8_PT7_S7_li
		.amdhsa_group_segment_fixed_size 8192
		.amdhsa_private_segment_fixed_size 0
		.amdhsa_kernarg_size 116
		.amdhsa_user_sgpr_count 6
		.amdhsa_user_sgpr_private_segment_buffer 1
		.amdhsa_user_sgpr_dispatch_ptr 0
		.amdhsa_user_sgpr_queue_ptr 0
		.amdhsa_user_sgpr_kernarg_segment_ptr 1
		.amdhsa_user_sgpr_dispatch_id 0
		.amdhsa_user_sgpr_flat_scratch_init 0
		.amdhsa_user_sgpr_private_segment_size 0
		.amdhsa_uses_dynamic_stack 0
		.amdhsa_system_sgpr_private_segment_wavefront_offset 0
		.amdhsa_system_sgpr_workgroup_id_x 1
		.amdhsa_system_sgpr_workgroup_id_y 1
		.amdhsa_system_sgpr_workgroup_id_z 1
		.amdhsa_system_sgpr_workgroup_info 0
		.amdhsa_system_vgpr_workitem_id 1
		.amdhsa_next_free_vgpr 38
		.amdhsa_next_free_sgpr 61
		.amdhsa_reserve_vcc 1
		.amdhsa_reserve_flat_scratch 0
		.amdhsa_float_round_mode_32 0
		.amdhsa_float_round_mode_16_64 0
		.amdhsa_float_denorm_mode_32 3
		.amdhsa_float_denorm_mode_16_64 3
		.amdhsa_dx10_clamp 1
		.amdhsa_ieee_mode 1
		.amdhsa_fp16_overflow 0
		.amdhsa_exception_fp_ieee_invalid_op 0
		.amdhsa_exception_fp_denorm_src 0
		.amdhsa_exception_fp_ieee_div_zero 0
		.amdhsa_exception_fp_ieee_overflow 0
		.amdhsa_exception_fp_ieee_underflow 0
		.amdhsa_exception_fp_ieee_inexact 0
		.amdhsa_exception_int_div_zero 0
	.end_amdhsa_kernel
	.section	.text._ZL41rocblas_syrkx_herkx_small_restrict_kernelIi19rocblas_complex_numIdELi16ELb1ELb1ELc78ELc85EKPKS1_KPS1_EviT_T0_PT6_S7_lSA_S7_lS8_PT7_S7_li,"axG",@progbits,_ZL41rocblas_syrkx_herkx_small_restrict_kernelIi19rocblas_complex_numIdELi16ELb1ELb1ELc78ELc85EKPKS1_KPS1_EviT_T0_PT6_S7_lSA_S7_lS8_PT7_S7_li,comdat
.Lfunc_end890:
	.size	_ZL41rocblas_syrkx_herkx_small_restrict_kernelIi19rocblas_complex_numIdELi16ELb1ELb1ELc78ELc85EKPKS1_KPS1_EviT_T0_PT6_S7_lSA_S7_lS8_PT7_S7_li, .Lfunc_end890-_ZL41rocblas_syrkx_herkx_small_restrict_kernelIi19rocblas_complex_numIdELi16ELb1ELb1ELc78ELc85EKPKS1_KPS1_EviT_T0_PT6_S7_lSA_S7_lS8_PT7_S7_li
                                        ; -- End function
	.set _ZL41rocblas_syrkx_herkx_small_restrict_kernelIi19rocblas_complex_numIdELi16ELb1ELb1ELc78ELc85EKPKS1_KPS1_EviT_T0_PT6_S7_lSA_S7_lS8_PT7_S7_li.num_vgpr, 38
	.set _ZL41rocblas_syrkx_herkx_small_restrict_kernelIi19rocblas_complex_numIdELi16ELb1ELb1ELc78ELc85EKPKS1_KPS1_EviT_T0_PT6_S7_lSA_S7_lS8_PT7_S7_li.num_agpr, 0
	.set _ZL41rocblas_syrkx_herkx_small_restrict_kernelIi19rocblas_complex_numIdELi16ELb1ELb1ELc78ELc85EKPKS1_KPS1_EviT_T0_PT6_S7_lSA_S7_lS8_PT7_S7_li.numbered_sgpr, 22
	.set _ZL41rocblas_syrkx_herkx_small_restrict_kernelIi19rocblas_complex_numIdELi16ELb1ELb1ELc78ELc85EKPKS1_KPS1_EviT_T0_PT6_S7_lSA_S7_lS8_PT7_S7_li.num_named_barrier, 0
	.set _ZL41rocblas_syrkx_herkx_small_restrict_kernelIi19rocblas_complex_numIdELi16ELb1ELb1ELc78ELc85EKPKS1_KPS1_EviT_T0_PT6_S7_lSA_S7_lS8_PT7_S7_li.private_seg_size, 0
	.set _ZL41rocblas_syrkx_herkx_small_restrict_kernelIi19rocblas_complex_numIdELi16ELb1ELb1ELc78ELc85EKPKS1_KPS1_EviT_T0_PT6_S7_lSA_S7_lS8_PT7_S7_li.uses_vcc, 1
	.set _ZL41rocblas_syrkx_herkx_small_restrict_kernelIi19rocblas_complex_numIdELi16ELb1ELb1ELc78ELc85EKPKS1_KPS1_EviT_T0_PT6_S7_lSA_S7_lS8_PT7_S7_li.uses_flat_scratch, 0
	.set _ZL41rocblas_syrkx_herkx_small_restrict_kernelIi19rocblas_complex_numIdELi16ELb1ELb1ELc78ELc85EKPKS1_KPS1_EviT_T0_PT6_S7_lSA_S7_lS8_PT7_S7_li.has_dyn_sized_stack, 0
	.set _ZL41rocblas_syrkx_herkx_small_restrict_kernelIi19rocblas_complex_numIdELi16ELb1ELb1ELc78ELc85EKPKS1_KPS1_EviT_T0_PT6_S7_lSA_S7_lS8_PT7_S7_li.has_recursion, 0
	.set _ZL41rocblas_syrkx_herkx_small_restrict_kernelIi19rocblas_complex_numIdELi16ELb1ELb1ELc78ELc85EKPKS1_KPS1_EviT_T0_PT6_S7_lSA_S7_lS8_PT7_S7_li.has_indirect_call, 0
	.section	.AMDGPU.csdata,"",@progbits
; Kernel info:
; codeLenInByte = 1640
; TotalNumSgprs: 26
; NumVgprs: 38
; ScratchSize: 0
; MemoryBound: 0
; FloatMode: 240
; IeeeMode: 1
; LDSByteSize: 8192 bytes/workgroup (compile time only)
; SGPRBlocks: 8
; VGPRBlocks: 9
; NumSGPRsForWavesPerEU: 65
; NumVGPRsForWavesPerEU: 38
; Occupancy: 6
; WaveLimiterHint : 1
; COMPUTE_PGM_RSRC2:SCRATCH_EN: 0
; COMPUTE_PGM_RSRC2:USER_SGPR: 6
; COMPUTE_PGM_RSRC2:TRAP_HANDLER: 0
; COMPUTE_PGM_RSRC2:TGID_X_EN: 1
; COMPUTE_PGM_RSRC2:TGID_Y_EN: 1
; COMPUTE_PGM_RSRC2:TGID_Z_EN: 1
; COMPUTE_PGM_RSRC2:TIDIG_COMP_CNT: 1
	.section	.text._ZL41rocblas_syrkx_herkx_small_restrict_kernelIi19rocblas_complex_numIdELi16ELb0ELb1ELc84ELc76EKPKS1_KPS1_EviT_T0_PT6_S7_lSA_S7_lS8_PT7_S7_li,"axG",@progbits,_ZL41rocblas_syrkx_herkx_small_restrict_kernelIi19rocblas_complex_numIdELi16ELb0ELb1ELc84ELc76EKPKS1_KPS1_EviT_T0_PT6_S7_lSA_S7_lS8_PT7_S7_li,comdat
	.globl	_ZL41rocblas_syrkx_herkx_small_restrict_kernelIi19rocblas_complex_numIdELi16ELb0ELb1ELc84ELc76EKPKS1_KPS1_EviT_T0_PT6_S7_lSA_S7_lS8_PT7_S7_li ; -- Begin function _ZL41rocblas_syrkx_herkx_small_restrict_kernelIi19rocblas_complex_numIdELi16ELb0ELb1ELc84ELc76EKPKS1_KPS1_EviT_T0_PT6_S7_lSA_S7_lS8_PT7_S7_li
	.p2align	8
	.type	_ZL41rocblas_syrkx_herkx_small_restrict_kernelIi19rocblas_complex_numIdELi16ELb0ELb1ELc84ELc76EKPKS1_KPS1_EviT_T0_PT6_S7_lSA_S7_lS8_PT7_S7_li,@function
_ZL41rocblas_syrkx_herkx_small_restrict_kernelIi19rocblas_complex_numIdELi16ELb0ELb1ELc84ELc76EKPKS1_KPS1_EviT_T0_PT6_S7_lSA_S7_lS8_PT7_S7_li: ; @_ZL41rocblas_syrkx_herkx_small_restrict_kernelIi19rocblas_complex_numIdELi16ELb0ELb1ELc84ELc76EKPKS1_KPS1_EviT_T0_PT6_S7_lSA_S7_lS8_PT7_S7_li
; %bb.0:
	s_load_dword s20, s[4:5], 0x4
	s_load_dwordx4 s[0:3], s[4:5], 0x8
	s_load_dwordx2 s[10:11], s[4:5], 0x58
	s_load_dwordx2 s[16:17], s[4:5], 0x18
	s_load_dwordx4 s[12:15], s[4:5], 0x48
	s_mov_b32 s9, 0
	s_lshl_b64 s[18:19], s[8:9], 3
	s_waitcnt lgkmcnt(0)
	s_add_u32 s10, s10, s18
	s_addc_u32 s11, s11, s19
	s_load_dwordx2 s[10:11], s[10:11], 0x0
	v_lshl_add_u32 v2, s6, 4, v0
	s_cmp_lt_i32 s20, 1
	v_lshl_add_u32 v9, s7, 4, v1
	s_cbranch_scc1 .LBB891_6
; %bb.1:
	s_load_dwordx2 s[6:7], s[4:5], 0x30
	s_load_dword s8, s[4:5], 0x20
	s_load_dword s21, s[4:5], 0x38
	v_lshlrev_b32_e32 v5, 8, v1
	v_lshlrev_b32_e32 v10, 4, v0
	s_waitcnt lgkmcnt(0)
	s_add_u32 s6, s6, s18
	s_addc_u32 s7, s7, s19
	s_add_u32 s16, s16, s18
	s_addc_u32 s17, s17, s19
	v_mad_i64_i32 v[3:4], s[18:19], s21, v9, 0
	s_load_dwordx2 s[6:7], s[6:7], 0x0
	v_add_u32_e32 v11, v10, v5
	v_add_u32_e32 v12, 0x1000, v5
	v_lshlrev_b64 v[3:4], 4, v[3:4]
	v_mad_i64_i32 v[5:6], s[18:19], s8, v2, 0
	v_add_co_u32_e32 v0, vcc, v3, v10
	s_load_dwordx2 s[16:17], s[16:17], 0x0
	v_addc_co_u32_e32 v4, vcc, 0, v4, vcc
	s_waitcnt lgkmcnt(0)
	v_mov_b32_e32 v7, s7
	v_add_co_u32_e32 v3, vcc, s6, v0
	v_lshlrev_b64 v[5:6], 4, v[5:6]
	v_addc_co_u32_e32 v4, vcc, v7, v4, vcc
	v_lshlrev_b32_e32 v0, 4, v1
	v_add_co_u32_e32 v0, vcc, v5, v0
	v_addc_co_u32_e32 v1, vcc, 0, v6, vcc
	v_mov_b32_e32 v14, s17
	v_mov_b32_e32 v5, 0
	v_mov_b32_e32 v7, 0
	v_add_co_u32_e32 v0, vcc, s16, v0
	v_add_u32_e32 v13, v12, v10
	v_mov_b32_e32 v6, 0
	v_mov_b32_e32 v8, 0
	v_addc_co_u32_e32 v1, vcc, v14, v1, vcc
.LBB891_2:                              ; =>This Inner Loop Header: Depth=1
	flat_load_dwordx4 v[14:17], v[0:1]
	s_add_i32 s9, s9, 16
	s_cmp_lt_i32 s9, s20
	s_waitcnt vmcnt(0) lgkmcnt(0)
	ds_write2_b64 v11, v[14:15], v[16:17] offset1:1
	flat_load_dwordx4 v[14:17], v[3:4]
	v_add_co_u32_e32 v3, vcc, 0x100, v3
	v_addc_co_u32_e32 v4, vcc, 0, v4, vcc
	v_add_co_u32_e32 v0, vcc, 0x100, v0
	v_addc_co_u32_e32 v1, vcc, 0, v1, vcc
	s_waitcnt vmcnt(0) lgkmcnt(0)
	ds_write2_b64 v13, v[14:15], v[16:17] offset1:1
	s_waitcnt lgkmcnt(0)
	s_barrier
	ds_read_b128 v[14:17], v12
	ds_read_b128 v[18:21], v12 offset:16
	ds_read_b128 v[22:25], v12 offset:32
	;; [unrolled: 1-line block ×3, first 2 shown]
	ds_read_b128 v[30:33], v10
	s_waitcnt lgkmcnt(0)
	v_mul_f64 v[34:35], v[16:17], v[32:33]
	v_fma_f64 v[34:35], v[14:15], v[30:31], -v[34:35]
	v_mul_f64 v[14:15], v[14:15], v[32:33]
	v_fma_f64 v[14:15], v[16:17], v[30:31], v[14:15]
	v_add_f64 v[16:17], v[7:8], v[34:35]
	v_add_f64 v[14:15], v[5:6], v[14:15]
	ds_read_b128 v[5:8], v10 offset:256
	s_waitcnt lgkmcnt(0)
	v_mul_f64 v[30:31], v[20:21], v[7:8]
	v_mul_f64 v[7:8], v[18:19], v[7:8]
	v_fma_f64 v[30:31], v[18:19], v[5:6], -v[30:31]
	v_fma_f64 v[5:6], v[20:21], v[5:6], v[7:8]
	v_add_f64 v[16:17], v[16:17], v[30:31]
	v_add_f64 v[14:15], v[14:15], v[5:6]
	ds_read_b128 v[5:8], v10 offset:512
	s_waitcnt lgkmcnt(0)
	v_mul_f64 v[18:19], v[24:25], v[7:8]
	v_mul_f64 v[7:8], v[22:23], v[7:8]
	v_fma_f64 v[18:19], v[22:23], v[5:6], -v[18:19]
	;; [unrolled: 8-line block ×3, first 2 shown]
	v_fma_f64 v[5:6], v[28:29], v[5:6], v[7:8]
	v_add_f64 v[18:19], v[16:17], v[18:19]
	v_add_f64 v[20:21], v[14:15], v[5:6]
	ds_read_b128 v[5:8], v12 offset:64
	ds_read_b128 v[14:17], v10 offset:1024
	s_waitcnt lgkmcnt(0)
	v_mul_f64 v[22:23], v[7:8], v[16:17]
	v_fma_f64 v[22:23], v[5:6], v[14:15], -v[22:23]
	v_mul_f64 v[5:6], v[5:6], v[16:17]
	v_add_f64 v[18:19], v[18:19], v[22:23]
	v_fma_f64 v[5:6], v[7:8], v[14:15], v[5:6]
	v_add_f64 v[20:21], v[20:21], v[5:6]
	ds_read_b128 v[5:8], v12 offset:80
	ds_read_b128 v[14:17], v10 offset:1280
	s_waitcnt lgkmcnt(0)
	v_mul_f64 v[22:23], v[7:8], v[16:17]
	v_fma_f64 v[22:23], v[5:6], v[14:15], -v[22:23]
	v_mul_f64 v[5:6], v[5:6], v[16:17]
	v_add_f64 v[18:19], v[18:19], v[22:23]
	v_fma_f64 v[5:6], v[7:8], v[14:15], v[5:6]
	;; [unrolled: 9-line block ×11, first 2 shown]
	v_add_f64 v[20:21], v[20:21], v[5:6]
	ds_read_b128 v[5:8], v12 offset:240
	ds_read_b128 v[14:17], v10 offset:3840
	s_waitcnt lgkmcnt(0)
	s_barrier
	v_mul_f64 v[22:23], v[7:8], v[16:17]
	v_fma_f64 v[22:23], v[5:6], v[14:15], -v[22:23]
	v_mul_f64 v[5:6], v[5:6], v[16:17]
	v_fma_f64 v[5:6], v[7:8], v[14:15], v[5:6]
	v_add_f64 v[7:8], v[18:19], v[22:23]
	v_add_f64 v[5:6], v[20:21], v[5:6]
	s_cbranch_scc1 .LBB891_2
; %bb.3:
	v_cmp_le_i32_e32 vcc, v9, v2
	s_and_saveexec_b64 s[6:7], vcc
	s_cbranch_execz .LBB891_5
.LBB891_4:
	s_load_dword s4, s[4:5], 0x60
	v_ashrrev_i32_e32 v3, 31, v2
	s_waitcnt lgkmcnt(0)
	v_mov_b32_e32 v10, s11
	v_lshlrev_b64 v[3:4], 4, v[2:3]
	v_mad_i64_i32 v[0:1], s[4:5], s4, v9, 0
	v_lshlrev_b64 v[0:1], 4, v[0:1]
	v_add_co_u32_e32 v0, vcc, s10, v0
	v_addc_co_u32_e32 v1, vcc, v10, v1, vcc
	v_add_co_u32_e32 v14, vcc, v0, v3
	v_addc_co_u32_e32 v15, vcc, v1, v4, vcc
	flat_load_dwordx4 v[10:13], v[14:15]
	v_mul_f64 v[0:1], s[0:1], v[5:6]
	v_mul_f64 v[5:6], s[2:3], v[5:6]
	v_cmp_ne_u32_e32 vcc, v2, v9
	v_fma_f64 v[0:1], s[2:3], v[7:8], v[0:1]
	v_fma_f64 v[5:6], s[0:1], v[7:8], -v[5:6]
	s_waitcnt vmcnt(0) lgkmcnt(0)
	v_mul_f64 v[3:4], s[12:13], v[12:13]
	v_mul_f64 v[12:13], s[14:15], v[12:13]
	v_fma_f64 v[3:4], s[14:15], v[10:11], v[3:4]
	v_fma_f64 v[7:8], s[12:13], v[10:11], -v[12:13]
	v_add_f64 v[10:11], v[0:1], v[3:4]
	v_add_f64 v[0:1], v[5:6], v[7:8]
	v_cndmask_b32_e32 v3, 0, v11, vcc
	v_cndmask_b32_e32 v2, 0, v10, vcc
	flat_store_dwordx4 v[14:15], v[0:3]
.LBB891_5:
	s_endpgm
.LBB891_6:
	v_mov_b32_e32 v5, 0
	v_mov_b32_e32 v7, 0
	;; [unrolled: 1-line block ×4, first 2 shown]
	v_cmp_le_i32_e32 vcc, v9, v2
	s_and_saveexec_b64 s[6:7], vcc
	s_cbranch_execnz .LBB891_4
	s_branch .LBB891_5
	.section	.rodata,"a",@progbits
	.p2align	6, 0x0
	.amdhsa_kernel _ZL41rocblas_syrkx_herkx_small_restrict_kernelIi19rocblas_complex_numIdELi16ELb0ELb1ELc84ELc76EKPKS1_KPS1_EviT_T0_PT6_S7_lSA_S7_lS8_PT7_S7_li
		.amdhsa_group_segment_fixed_size 8192
		.amdhsa_private_segment_fixed_size 0
		.amdhsa_kernarg_size 116
		.amdhsa_user_sgpr_count 6
		.amdhsa_user_sgpr_private_segment_buffer 1
		.amdhsa_user_sgpr_dispatch_ptr 0
		.amdhsa_user_sgpr_queue_ptr 0
		.amdhsa_user_sgpr_kernarg_segment_ptr 1
		.amdhsa_user_sgpr_dispatch_id 0
		.amdhsa_user_sgpr_flat_scratch_init 0
		.amdhsa_user_sgpr_private_segment_size 0
		.amdhsa_uses_dynamic_stack 0
		.amdhsa_system_sgpr_private_segment_wavefront_offset 0
		.amdhsa_system_sgpr_workgroup_id_x 1
		.amdhsa_system_sgpr_workgroup_id_y 1
		.amdhsa_system_sgpr_workgroup_id_z 1
		.amdhsa_system_sgpr_workgroup_info 0
		.amdhsa_system_vgpr_workitem_id 1
		.amdhsa_next_free_vgpr 36
		.amdhsa_next_free_sgpr 61
		.amdhsa_reserve_vcc 1
		.amdhsa_reserve_flat_scratch 0
		.amdhsa_float_round_mode_32 0
		.amdhsa_float_round_mode_16_64 0
		.amdhsa_float_denorm_mode_32 3
		.amdhsa_float_denorm_mode_16_64 3
		.amdhsa_dx10_clamp 1
		.amdhsa_ieee_mode 1
		.amdhsa_fp16_overflow 0
		.amdhsa_exception_fp_ieee_invalid_op 0
		.amdhsa_exception_fp_denorm_src 0
		.amdhsa_exception_fp_ieee_div_zero 0
		.amdhsa_exception_fp_ieee_overflow 0
		.amdhsa_exception_fp_ieee_underflow 0
		.amdhsa_exception_fp_ieee_inexact 0
		.amdhsa_exception_int_div_zero 0
	.end_amdhsa_kernel
	.section	.text._ZL41rocblas_syrkx_herkx_small_restrict_kernelIi19rocblas_complex_numIdELi16ELb0ELb1ELc84ELc76EKPKS1_KPS1_EviT_T0_PT6_S7_lSA_S7_lS8_PT7_S7_li,"axG",@progbits,_ZL41rocblas_syrkx_herkx_small_restrict_kernelIi19rocblas_complex_numIdELi16ELb0ELb1ELc84ELc76EKPKS1_KPS1_EviT_T0_PT6_S7_lSA_S7_lS8_PT7_S7_li,comdat
.Lfunc_end891:
	.size	_ZL41rocblas_syrkx_herkx_small_restrict_kernelIi19rocblas_complex_numIdELi16ELb0ELb1ELc84ELc76EKPKS1_KPS1_EviT_T0_PT6_S7_lSA_S7_lS8_PT7_S7_li, .Lfunc_end891-_ZL41rocblas_syrkx_herkx_small_restrict_kernelIi19rocblas_complex_numIdELi16ELb0ELb1ELc84ELc76EKPKS1_KPS1_EviT_T0_PT6_S7_lSA_S7_lS8_PT7_S7_li
                                        ; -- End function
	.set _ZL41rocblas_syrkx_herkx_small_restrict_kernelIi19rocblas_complex_numIdELi16ELb0ELb1ELc84ELc76EKPKS1_KPS1_EviT_T0_PT6_S7_lSA_S7_lS8_PT7_S7_li.num_vgpr, 36
	.set _ZL41rocblas_syrkx_herkx_small_restrict_kernelIi19rocblas_complex_numIdELi16ELb0ELb1ELc84ELc76EKPKS1_KPS1_EviT_T0_PT6_S7_lSA_S7_lS8_PT7_S7_li.num_agpr, 0
	.set _ZL41rocblas_syrkx_herkx_small_restrict_kernelIi19rocblas_complex_numIdELi16ELb0ELb1ELc84ELc76EKPKS1_KPS1_EviT_T0_PT6_S7_lSA_S7_lS8_PT7_S7_li.numbered_sgpr, 22
	.set _ZL41rocblas_syrkx_herkx_small_restrict_kernelIi19rocblas_complex_numIdELi16ELb0ELb1ELc84ELc76EKPKS1_KPS1_EviT_T0_PT6_S7_lSA_S7_lS8_PT7_S7_li.num_named_barrier, 0
	.set _ZL41rocblas_syrkx_herkx_small_restrict_kernelIi19rocblas_complex_numIdELi16ELb0ELb1ELc84ELc76EKPKS1_KPS1_EviT_T0_PT6_S7_lSA_S7_lS8_PT7_S7_li.private_seg_size, 0
	.set _ZL41rocblas_syrkx_herkx_small_restrict_kernelIi19rocblas_complex_numIdELi16ELb0ELb1ELc84ELc76EKPKS1_KPS1_EviT_T0_PT6_S7_lSA_S7_lS8_PT7_S7_li.uses_vcc, 1
	.set _ZL41rocblas_syrkx_herkx_small_restrict_kernelIi19rocblas_complex_numIdELi16ELb0ELb1ELc84ELc76EKPKS1_KPS1_EviT_T0_PT6_S7_lSA_S7_lS8_PT7_S7_li.uses_flat_scratch, 0
	.set _ZL41rocblas_syrkx_herkx_small_restrict_kernelIi19rocblas_complex_numIdELi16ELb0ELb1ELc84ELc76EKPKS1_KPS1_EviT_T0_PT6_S7_lSA_S7_lS8_PT7_S7_li.has_dyn_sized_stack, 0
	.set _ZL41rocblas_syrkx_herkx_small_restrict_kernelIi19rocblas_complex_numIdELi16ELb0ELb1ELc84ELc76EKPKS1_KPS1_EviT_T0_PT6_S7_lSA_S7_lS8_PT7_S7_li.has_recursion, 0
	.set _ZL41rocblas_syrkx_herkx_small_restrict_kernelIi19rocblas_complex_numIdELi16ELb0ELb1ELc84ELc76EKPKS1_KPS1_EviT_T0_PT6_S7_lSA_S7_lS8_PT7_S7_li.has_indirect_call, 0
	.section	.AMDGPU.csdata,"",@progbits
; Kernel info:
; codeLenInByte = 1668
; TotalNumSgprs: 26
; NumVgprs: 36
; ScratchSize: 0
; MemoryBound: 0
; FloatMode: 240
; IeeeMode: 1
; LDSByteSize: 8192 bytes/workgroup (compile time only)
; SGPRBlocks: 8
; VGPRBlocks: 8
; NumSGPRsForWavesPerEU: 65
; NumVGPRsForWavesPerEU: 36
; Occupancy: 7
; WaveLimiterHint : 1
; COMPUTE_PGM_RSRC2:SCRATCH_EN: 0
; COMPUTE_PGM_RSRC2:USER_SGPR: 6
; COMPUTE_PGM_RSRC2:TRAP_HANDLER: 0
; COMPUTE_PGM_RSRC2:TGID_X_EN: 1
; COMPUTE_PGM_RSRC2:TGID_Y_EN: 1
; COMPUTE_PGM_RSRC2:TGID_Z_EN: 1
; COMPUTE_PGM_RSRC2:TIDIG_COMP_CNT: 1
	.section	.text._ZL41rocblas_syrkx_herkx_small_restrict_kernelIi19rocblas_complex_numIdELi16ELb0ELb1ELc67ELc76EKPKS1_KPS1_EviT_T0_PT6_S7_lSA_S7_lS8_PT7_S7_li,"axG",@progbits,_ZL41rocblas_syrkx_herkx_small_restrict_kernelIi19rocblas_complex_numIdELi16ELb0ELb1ELc67ELc76EKPKS1_KPS1_EviT_T0_PT6_S7_lSA_S7_lS8_PT7_S7_li,comdat
	.globl	_ZL41rocblas_syrkx_herkx_small_restrict_kernelIi19rocblas_complex_numIdELi16ELb0ELb1ELc67ELc76EKPKS1_KPS1_EviT_T0_PT6_S7_lSA_S7_lS8_PT7_S7_li ; -- Begin function _ZL41rocblas_syrkx_herkx_small_restrict_kernelIi19rocblas_complex_numIdELi16ELb0ELb1ELc67ELc76EKPKS1_KPS1_EviT_T0_PT6_S7_lSA_S7_lS8_PT7_S7_li
	.p2align	8
	.type	_ZL41rocblas_syrkx_herkx_small_restrict_kernelIi19rocblas_complex_numIdELi16ELb0ELb1ELc67ELc76EKPKS1_KPS1_EviT_T0_PT6_S7_lSA_S7_lS8_PT7_S7_li,@function
_ZL41rocblas_syrkx_herkx_small_restrict_kernelIi19rocblas_complex_numIdELi16ELb0ELb1ELc67ELc76EKPKS1_KPS1_EviT_T0_PT6_S7_lSA_S7_lS8_PT7_S7_li: ; @_ZL41rocblas_syrkx_herkx_small_restrict_kernelIi19rocblas_complex_numIdELi16ELb0ELb1ELc67ELc76EKPKS1_KPS1_EviT_T0_PT6_S7_lSA_S7_lS8_PT7_S7_li
; %bb.0:
	s_load_dword s20, s[4:5], 0x4
	s_load_dwordx4 s[0:3], s[4:5], 0x8
	s_load_dwordx2 s[10:11], s[4:5], 0x58
	s_load_dwordx2 s[16:17], s[4:5], 0x18
	s_load_dwordx4 s[12:15], s[4:5], 0x48
	s_mov_b32 s9, 0
	s_lshl_b64 s[18:19], s[8:9], 3
	s_waitcnt lgkmcnt(0)
	s_add_u32 s10, s10, s18
	s_addc_u32 s11, s11, s19
	s_load_dwordx2 s[10:11], s[10:11], 0x0
	v_lshl_add_u32 v2, s6, 4, v0
	s_cmp_lt_i32 s20, 1
	v_lshl_add_u32 v9, s7, 4, v1
	s_cbranch_scc1 .LBB892_6
; %bb.1:
	s_load_dwordx2 s[6:7], s[4:5], 0x30
	s_load_dword s8, s[4:5], 0x20
	s_load_dword s21, s[4:5], 0x38
	v_lshlrev_b32_e32 v5, 8, v1
	v_lshlrev_b32_e32 v10, 4, v0
	s_waitcnt lgkmcnt(0)
	s_add_u32 s6, s6, s18
	s_addc_u32 s7, s7, s19
	s_add_u32 s16, s16, s18
	s_addc_u32 s17, s17, s19
	v_mad_i64_i32 v[3:4], s[18:19], s21, v9, 0
	s_load_dwordx2 s[6:7], s[6:7], 0x0
	v_add_u32_e32 v11, v10, v5
	v_add_u32_e32 v12, 0x1000, v5
	v_lshlrev_b64 v[3:4], 4, v[3:4]
	v_mad_i64_i32 v[5:6], s[18:19], s8, v2, 0
	v_add_co_u32_e32 v0, vcc, v3, v10
	s_load_dwordx2 s[16:17], s[16:17], 0x0
	v_addc_co_u32_e32 v4, vcc, 0, v4, vcc
	s_waitcnt lgkmcnt(0)
	v_mov_b32_e32 v7, s7
	v_add_co_u32_e32 v3, vcc, s6, v0
	v_lshlrev_b64 v[5:6], 4, v[5:6]
	v_addc_co_u32_e32 v4, vcc, v7, v4, vcc
	v_lshlrev_b32_e32 v0, 4, v1
	v_add_co_u32_e32 v0, vcc, v5, v0
	v_addc_co_u32_e32 v1, vcc, 0, v6, vcc
	v_mov_b32_e32 v14, s17
	v_mov_b32_e32 v5, 0
	;; [unrolled: 1-line block ×3, first 2 shown]
	v_add_co_u32_e32 v0, vcc, s16, v0
	v_add_u32_e32 v13, v12, v10
	v_mov_b32_e32 v6, 0
	v_mov_b32_e32 v8, 0
	v_addc_co_u32_e32 v1, vcc, v14, v1, vcc
.LBB892_2:                              ; =>This Inner Loop Header: Depth=1
	flat_load_dwordx4 v[14:17], v[0:1]
	s_add_i32 s9, s9, 16
	s_cmp_lt_i32 s9, s20
	s_waitcnt vmcnt(0) lgkmcnt(0)
	v_xor_b32_e32 v17, 0x80000000, v17
	ds_write_b128 v11, v[14:17]
	flat_load_dwordx4 v[14:17], v[3:4]
	v_add_co_u32_e32 v3, vcc, 0x100, v3
	v_addc_co_u32_e32 v4, vcc, 0, v4, vcc
	v_add_co_u32_e32 v0, vcc, 0x100, v0
	v_addc_co_u32_e32 v1, vcc, 0, v1, vcc
	s_waitcnt vmcnt(0) lgkmcnt(0)
	ds_write2_b64 v13, v[14:15], v[16:17] offset1:1
	s_waitcnt lgkmcnt(0)
	s_barrier
	ds_read_b128 v[14:17], v12
	ds_read_b128 v[18:21], v12 offset:16
	ds_read_b128 v[22:25], v12 offset:32
	;; [unrolled: 1-line block ×3, first 2 shown]
	ds_read_b128 v[30:33], v10
	s_waitcnt lgkmcnt(0)
	v_mul_f64 v[34:35], v[16:17], v[32:33]
	v_fma_f64 v[34:35], v[14:15], v[30:31], -v[34:35]
	v_mul_f64 v[14:15], v[14:15], v[32:33]
	v_fma_f64 v[14:15], v[16:17], v[30:31], v[14:15]
	v_add_f64 v[16:17], v[7:8], v[34:35]
	v_add_f64 v[14:15], v[5:6], v[14:15]
	ds_read_b128 v[5:8], v10 offset:256
	s_waitcnt lgkmcnt(0)
	v_mul_f64 v[30:31], v[20:21], v[7:8]
	v_mul_f64 v[7:8], v[18:19], v[7:8]
	v_fma_f64 v[30:31], v[18:19], v[5:6], -v[30:31]
	v_fma_f64 v[5:6], v[20:21], v[5:6], v[7:8]
	v_add_f64 v[16:17], v[16:17], v[30:31]
	v_add_f64 v[14:15], v[14:15], v[5:6]
	ds_read_b128 v[5:8], v10 offset:512
	s_waitcnt lgkmcnt(0)
	v_mul_f64 v[18:19], v[24:25], v[7:8]
	v_mul_f64 v[7:8], v[22:23], v[7:8]
	v_fma_f64 v[18:19], v[22:23], v[5:6], -v[18:19]
	;; [unrolled: 8-line block ×3, first 2 shown]
	v_fma_f64 v[5:6], v[28:29], v[5:6], v[7:8]
	v_add_f64 v[18:19], v[16:17], v[18:19]
	v_add_f64 v[20:21], v[14:15], v[5:6]
	ds_read_b128 v[5:8], v12 offset:64
	ds_read_b128 v[14:17], v10 offset:1024
	s_waitcnt lgkmcnt(0)
	v_mul_f64 v[22:23], v[7:8], v[16:17]
	v_fma_f64 v[22:23], v[5:6], v[14:15], -v[22:23]
	v_mul_f64 v[5:6], v[5:6], v[16:17]
	v_add_f64 v[18:19], v[18:19], v[22:23]
	v_fma_f64 v[5:6], v[7:8], v[14:15], v[5:6]
	v_add_f64 v[20:21], v[20:21], v[5:6]
	ds_read_b128 v[5:8], v12 offset:80
	ds_read_b128 v[14:17], v10 offset:1280
	s_waitcnt lgkmcnt(0)
	v_mul_f64 v[22:23], v[7:8], v[16:17]
	v_fma_f64 v[22:23], v[5:6], v[14:15], -v[22:23]
	v_mul_f64 v[5:6], v[5:6], v[16:17]
	v_add_f64 v[18:19], v[18:19], v[22:23]
	v_fma_f64 v[5:6], v[7:8], v[14:15], v[5:6]
	;; [unrolled: 9-line block ×11, first 2 shown]
	v_add_f64 v[20:21], v[20:21], v[5:6]
	ds_read_b128 v[5:8], v12 offset:240
	ds_read_b128 v[14:17], v10 offset:3840
	s_waitcnt lgkmcnt(0)
	s_barrier
	v_mul_f64 v[22:23], v[7:8], v[16:17]
	v_fma_f64 v[22:23], v[5:6], v[14:15], -v[22:23]
	v_mul_f64 v[5:6], v[5:6], v[16:17]
	v_fma_f64 v[5:6], v[7:8], v[14:15], v[5:6]
	v_add_f64 v[7:8], v[18:19], v[22:23]
	v_add_f64 v[5:6], v[20:21], v[5:6]
	s_cbranch_scc1 .LBB892_2
; %bb.3:
	v_cmp_le_i32_e32 vcc, v9, v2
	s_and_saveexec_b64 s[6:7], vcc
	s_cbranch_execz .LBB892_5
.LBB892_4:
	s_load_dword s4, s[4:5], 0x60
	v_ashrrev_i32_e32 v3, 31, v2
	s_waitcnt lgkmcnt(0)
	v_mov_b32_e32 v10, s11
	v_lshlrev_b64 v[3:4], 4, v[2:3]
	v_mad_i64_i32 v[0:1], s[4:5], s4, v9, 0
	v_lshlrev_b64 v[0:1], 4, v[0:1]
	v_add_co_u32_e32 v0, vcc, s10, v0
	v_addc_co_u32_e32 v1, vcc, v10, v1, vcc
	v_add_co_u32_e32 v14, vcc, v0, v3
	v_addc_co_u32_e32 v15, vcc, v1, v4, vcc
	flat_load_dwordx4 v[10:13], v[14:15]
	v_mul_f64 v[0:1], s[0:1], v[5:6]
	v_mul_f64 v[5:6], s[2:3], v[5:6]
	v_cmp_ne_u32_e32 vcc, v2, v9
	v_fma_f64 v[0:1], s[2:3], v[7:8], v[0:1]
	v_fma_f64 v[5:6], s[0:1], v[7:8], -v[5:6]
	s_waitcnt vmcnt(0) lgkmcnt(0)
	v_mul_f64 v[3:4], s[12:13], v[12:13]
	v_mul_f64 v[12:13], s[14:15], v[12:13]
	v_fma_f64 v[3:4], s[14:15], v[10:11], v[3:4]
	v_fma_f64 v[7:8], s[12:13], v[10:11], -v[12:13]
	v_add_f64 v[10:11], v[0:1], v[3:4]
	v_add_f64 v[0:1], v[5:6], v[7:8]
	v_cndmask_b32_e32 v3, 0, v11, vcc
	v_cndmask_b32_e32 v2, 0, v10, vcc
	flat_store_dwordx4 v[14:15], v[0:3]
.LBB892_5:
	s_endpgm
.LBB892_6:
	v_mov_b32_e32 v5, 0
	v_mov_b32_e32 v7, 0
	;; [unrolled: 1-line block ×4, first 2 shown]
	v_cmp_le_i32_e32 vcc, v9, v2
	s_and_saveexec_b64 s[6:7], vcc
	s_cbranch_execnz .LBB892_4
	s_branch .LBB892_5
	.section	.rodata,"a",@progbits
	.p2align	6, 0x0
	.amdhsa_kernel _ZL41rocblas_syrkx_herkx_small_restrict_kernelIi19rocblas_complex_numIdELi16ELb0ELb1ELc67ELc76EKPKS1_KPS1_EviT_T0_PT6_S7_lSA_S7_lS8_PT7_S7_li
		.amdhsa_group_segment_fixed_size 8192
		.amdhsa_private_segment_fixed_size 0
		.amdhsa_kernarg_size 116
		.amdhsa_user_sgpr_count 6
		.amdhsa_user_sgpr_private_segment_buffer 1
		.amdhsa_user_sgpr_dispatch_ptr 0
		.amdhsa_user_sgpr_queue_ptr 0
		.amdhsa_user_sgpr_kernarg_segment_ptr 1
		.amdhsa_user_sgpr_dispatch_id 0
		.amdhsa_user_sgpr_flat_scratch_init 0
		.amdhsa_user_sgpr_private_segment_size 0
		.amdhsa_uses_dynamic_stack 0
		.amdhsa_system_sgpr_private_segment_wavefront_offset 0
		.amdhsa_system_sgpr_workgroup_id_x 1
		.amdhsa_system_sgpr_workgroup_id_y 1
		.amdhsa_system_sgpr_workgroup_id_z 1
		.amdhsa_system_sgpr_workgroup_info 0
		.amdhsa_system_vgpr_workitem_id 1
		.amdhsa_next_free_vgpr 36
		.amdhsa_next_free_sgpr 61
		.amdhsa_reserve_vcc 1
		.amdhsa_reserve_flat_scratch 0
		.amdhsa_float_round_mode_32 0
		.amdhsa_float_round_mode_16_64 0
		.amdhsa_float_denorm_mode_32 3
		.amdhsa_float_denorm_mode_16_64 3
		.amdhsa_dx10_clamp 1
		.amdhsa_ieee_mode 1
		.amdhsa_fp16_overflow 0
		.amdhsa_exception_fp_ieee_invalid_op 0
		.amdhsa_exception_fp_denorm_src 0
		.amdhsa_exception_fp_ieee_div_zero 0
		.amdhsa_exception_fp_ieee_overflow 0
		.amdhsa_exception_fp_ieee_underflow 0
		.amdhsa_exception_fp_ieee_inexact 0
		.amdhsa_exception_int_div_zero 0
	.end_amdhsa_kernel
	.section	.text._ZL41rocblas_syrkx_herkx_small_restrict_kernelIi19rocblas_complex_numIdELi16ELb0ELb1ELc67ELc76EKPKS1_KPS1_EviT_T0_PT6_S7_lSA_S7_lS8_PT7_S7_li,"axG",@progbits,_ZL41rocblas_syrkx_herkx_small_restrict_kernelIi19rocblas_complex_numIdELi16ELb0ELb1ELc67ELc76EKPKS1_KPS1_EviT_T0_PT6_S7_lSA_S7_lS8_PT7_S7_li,comdat
.Lfunc_end892:
	.size	_ZL41rocblas_syrkx_herkx_small_restrict_kernelIi19rocblas_complex_numIdELi16ELb0ELb1ELc67ELc76EKPKS1_KPS1_EviT_T0_PT6_S7_lSA_S7_lS8_PT7_S7_li, .Lfunc_end892-_ZL41rocblas_syrkx_herkx_small_restrict_kernelIi19rocblas_complex_numIdELi16ELb0ELb1ELc67ELc76EKPKS1_KPS1_EviT_T0_PT6_S7_lSA_S7_lS8_PT7_S7_li
                                        ; -- End function
	.set _ZL41rocblas_syrkx_herkx_small_restrict_kernelIi19rocblas_complex_numIdELi16ELb0ELb1ELc67ELc76EKPKS1_KPS1_EviT_T0_PT6_S7_lSA_S7_lS8_PT7_S7_li.num_vgpr, 36
	.set _ZL41rocblas_syrkx_herkx_small_restrict_kernelIi19rocblas_complex_numIdELi16ELb0ELb1ELc67ELc76EKPKS1_KPS1_EviT_T0_PT6_S7_lSA_S7_lS8_PT7_S7_li.num_agpr, 0
	.set _ZL41rocblas_syrkx_herkx_small_restrict_kernelIi19rocblas_complex_numIdELi16ELb0ELb1ELc67ELc76EKPKS1_KPS1_EviT_T0_PT6_S7_lSA_S7_lS8_PT7_S7_li.numbered_sgpr, 22
	.set _ZL41rocblas_syrkx_herkx_small_restrict_kernelIi19rocblas_complex_numIdELi16ELb0ELb1ELc67ELc76EKPKS1_KPS1_EviT_T0_PT6_S7_lSA_S7_lS8_PT7_S7_li.num_named_barrier, 0
	.set _ZL41rocblas_syrkx_herkx_small_restrict_kernelIi19rocblas_complex_numIdELi16ELb0ELb1ELc67ELc76EKPKS1_KPS1_EviT_T0_PT6_S7_lSA_S7_lS8_PT7_S7_li.private_seg_size, 0
	.set _ZL41rocblas_syrkx_herkx_small_restrict_kernelIi19rocblas_complex_numIdELi16ELb0ELb1ELc67ELc76EKPKS1_KPS1_EviT_T0_PT6_S7_lSA_S7_lS8_PT7_S7_li.uses_vcc, 1
	.set _ZL41rocblas_syrkx_herkx_small_restrict_kernelIi19rocblas_complex_numIdELi16ELb0ELb1ELc67ELc76EKPKS1_KPS1_EviT_T0_PT6_S7_lSA_S7_lS8_PT7_S7_li.uses_flat_scratch, 0
	.set _ZL41rocblas_syrkx_herkx_small_restrict_kernelIi19rocblas_complex_numIdELi16ELb0ELb1ELc67ELc76EKPKS1_KPS1_EviT_T0_PT6_S7_lSA_S7_lS8_PT7_S7_li.has_dyn_sized_stack, 0
	.set _ZL41rocblas_syrkx_herkx_small_restrict_kernelIi19rocblas_complex_numIdELi16ELb0ELb1ELc67ELc76EKPKS1_KPS1_EviT_T0_PT6_S7_lSA_S7_lS8_PT7_S7_li.has_recursion, 0
	.set _ZL41rocblas_syrkx_herkx_small_restrict_kernelIi19rocblas_complex_numIdELi16ELb0ELb1ELc67ELc76EKPKS1_KPS1_EviT_T0_PT6_S7_lSA_S7_lS8_PT7_S7_li.has_indirect_call, 0
	.section	.AMDGPU.csdata,"",@progbits
; Kernel info:
; codeLenInByte = 1676
; TotalNumSgprs: 26
; NumVgprs: 36
; ScratchSize: 0
; MemoryBound: 0
; FloatMode: 240
; IeeeMode: 1
; LDSByteSize: 8192 bytes/workgroup (compile time only)
; SGPRBlocks: 8
; VGPRBlocks: 8
; NumSGPRsForWavesPerEU: 65
; NumVGPRsForWavesPerEU: 36
; Occupancy: 7
; WaveLimiterHint : 1
; COMPUTE_PGM_RSRC2:SCRATCH_EN: 0
; COMPUTE_PGM_RSRC2:USER_SGPR: 6
; COMPUTE_PGM_RSRC2:TRAP_HANDLER: 0
; COMPUTE_PGM_RSRC2:TGID_X_EN: 1
; COMPUTE_PGM_RSRC2:TGID_Y_EN: 1
; COMPUTE_PGM_RSRC2:TGID_Z_EN: 1
; COMPUTE_PGM_RSRC2:TIDIG_COMP_CNT: 1
	.section	.text._ZL41rocblas_syrkx_herkx_small_restrict_kernelIi19rocblas_complex_numIdELi16ELb0ELb1ELc78ELc76EKPKS1_KPS1_EviT_T0_PT6_S7_lSA_S7_lS8_PT7_S7_li,"axG",@progbits,_ZL41rocblas_syrkx_herkx_small_restrict_kernelIi19rocblas_complex_numIdELi16ELb0ELb1ELc78ELc76EKPKS1_KPS1_EviT_T0_PT6_S7_lSA_S7_lS8_PT7_S7_li,comdat
	.globl	_ZL41rocblas_syrkx_herkx_small_restrict_kernelIi19rocblas_complex_numIdELi16ELb0ELb1ELc78ELc76EKPKS1_KPS1_EviT_T0_PT6_S7_lSA_S7_lS8_PT7_S7_li ; -- Begin function _ZL41rocblas_syrkx_herkx_small_restrict_kernelIi19rocblas_complex_numIdELi16ELb0ELb1ELc78ELc76EKPKS1_KPS1_EviT_T0_PT6_S7_lSA_S7_lS8_PT7_S7_li
	.p2align	8
	.type	_ZL41rocblas_syrkx_herkx_small_restrict_kernelIi19rocblas_complex_numIdELi16ELb0ELb1ELc78ELc76EKPKS1_KPS1_EviT_T0_PT6_S7_lSA_S7_lS8_PT7_S7_li,@function
_ZL41rocblas_syrkx_herkx_small_restrict_kernelIi19rocblas_complex_numIdELi16ELb0ELb1ELc78ELc76EKPKS1_KPS1_EviT_T0_PT6_S7_lSA_S7_lS8_PT7_S7_li: ; @_ZL41rocblas_syrkx_herkx_small_restrict_kernelIi19rocblas_complex_numIdELi16ELb0ELb1ELc78ELc76EKPKS1_KPS1_EviT_T0_PT6_S7_lSA_S7_lS8_PT7_S7_li
; %bb.0:
	s_load_dword s20, s[4:5], 0x4
	s_load_dwordx4 s[0:3], s[4:5], 0x8
	s_load_dwordx2 s[10:11], s[4:5], 0x58
	s_load_dwordx2 s[16:17], s[4:5], 0x18
	s_load_dwordx4 s[12:15], s[4:5], 0x48
	s_mov_b32 s9, 0
	s_lshl_b64 s[18:19], s[8:9], 3
	s_waitcnt lgkmcnt(0)
	s_add_u32 s10, s10, s18
	s_addc_u32 s11, s11, s19
	s_load_dwordx2 s[10:11], s[10:11], 0x0
	v_lshl_add_u32 v2, s6, 4, v0
	v_lshl_add_u32 v4, s7, 4, v1
	s_cmp_lt_i32 s20, 1
	v_ashrrev_i32_e32 v3, 31, v2
	s_cbranch_scc1 .LBB893_6
; %bb.1:
	s_load_dword s22, s[4:5], 0x20
	s_load_dword s6, s[4:5], 0x38
	s_load_dwordx2 s[24:25], s[4:5], 0x30
	v_lshlrev_b32_e32 v8, 8, v1
	v_lshlrev_b32_e32 v11, 4, v0
	s_waitcnt lgkmcnt(0)
	s_ashr_i32 s23, s22, 31
	s_ashr_i32 s7, s6, 31
	s_add_u32 s24, s24, s18
	s_addc_u32 s25, s25, s19
	s_add_u32 s16, s16, s18
	s_addc_u32 s17, s17, s19
	v_mad_i64_i32 v[6:7], s[18:19], s6, v0, 0
	v_ashrrev_i32_e32 v5, 31, v4
	s_load_dwordx2 s[24:25], s[24:25], 0x0
	v_add_u32_e32 v12, v11, v8
	v_add_u32_e32 v13, 0x1000, v8
	v_lshlrev_b64 v[6:7], 4, v[6:7]
	v_lshlrev_b64 v[8:9], 4, v[4:5]
	s_load_dwordx2 s[16:17], s[16:17], 0x0
	v_add_co_u32_e32 v0, vcc, v6, v8
	v_mad_i64_i32 v[5:6], s[18:19], s22, v1, 0
	v_addc_co_u32_e32 v7, vcc, v7, v9, vcc
	s_waitcnt lgkmcnt(0)
	v_mov_b32_e32 v8, s25
	v_add_co_u32_e32 v0, vcc, s24, v0
	v_addc_co_u32_e32 v1, vcc, v8, v7, vcc
	v_lshlrev_b64 v[5:6], 4, v[5:6]
	v_lshlrev_b64 v[7:8], 4, v[2:3]
	s_lshl_b64 s[6:7], s[6:7], 8
	v_add_co_u32_e32 v5, vcc, v5, v7
	v_addc_co_u32_e32 v6, vcc, v6, v8, vcc
	v_mov_b32_e32 v7, s17
	v_add_co_u32_e32 v5, vcc, s16, v5
	v_addc_co_u32_e32 v6, vcc, v7, v6, vcc
	s_lshl_b64 s[16:17], s[22:23], 8
	v_mov_b32_e32 v7, 0
	v_mov_b32_e32 v9, 0
	;; [unrolled: 1-line block ×6, first 2 shown]
.LBB893_2:                              ; =>This Inner Loop Header: Depth=1
	flat_load_dwordx4 v[16:19], v[5:6]
	v_add_u32_e32 v20, v13, v11
	s_add_i32 s9, s9, 16
	s_cmp_lt_i32 s9, s20
	s_waitcnt vmcnt(0) lgkmcnt(0)
	ds_write2_b64 v12, v[16:17], v[18:19] offset1:1
	flat_load_dwordx4 v[16:19], v[0:1]
	v_add_co_u32_e32 v0, vcc, s6, v0
	v_addc_co_u32_e32 v1, vcc, v1, v14, vcc
	v_add_co_u32_e32 v5, vcc, s16, v5
	v_addc_co_u32_e32 v6, vcc, v6, v15, vcc
	s_waitcnt vmcnt(0) lgkmcnt(0)
	v_xor_b32_e32 v19, 0x80000000, v19
	ds_write_b128 v20, v[16:19]
	s_waitcnt lgkmcnt(0)
	s_barrier
	ds_read_b128 v[16:19], v13
	ds_read_b128 v[20:23], v13 offset:16
	ds_read_b128 v[24:27], v13 offset:32
	;; [unrolled: 1-line block ×3, first 2 shown]
	ds_read_b128 v[32:35], v11
	s_waitcnt lgkmcnt(0)
	v_mul_f64 v[36:37], v[18:19], v[34:35]
	v_fma_f64 v[36:37], v[16:17], v[32:33], -v[36:37]
	v_mul_f64 v[16:17], v[16:17], v[34:35]
	v_fma_f64 v[16:17], v[18:19], v[32:33], v[16:17]
	v_add_f64 v[18:19], v[9:10], v[36:37]
	v_add_f64 v[16:17], v[7:8], v[16:17]
	ds_read_b128 v[7:10], v11 offset:256
	s_waitcnt lgkmcnt(0)
	v_mul_f64 v[32:33], v[22:23], v[9:10]
	v_mul_f64 v[9:10], v[20:21], v[9:10]
	v_fma_f64 v[32:33], v[20:21], v[7:8], -v[32:33]
	v_fma_f64 v[7:8], v[22:23], v[7:8], v[9:10]
	v_add_f64 v[18:19], v[18:19], v[32:33]
	v_add_f64 v[16:17], v[16:17], v[7:8]
	ds_read_b128 v[7:10], v11 offset:512
	s_waitcnt lgkmcnt(0)
	v_mul_f64 v[20:21], v[26:27], v[9:10]
	v_mul_f64 v[9:10], v[24:25], v[9:10]
	v_fma_f64 v[20:21], v[24:25], v[7:8], -v[20:21]
	v_fma_f64 v[7:8], v[26:27], v[7:8], v[9:10]
	v_add_f64 v[18:19], v[18:19], v[20:21]
	v_add_f64 v[16:17], v[16:17], v[7:8]
	ds_read_b128 v[7:10], v11 offset:768
	s_waitcnt lgkmcnt(0)
	v_mul_f64 v[20:21], v[30:31], v[9:10]
	v_mul_f64 v[9:10], v[28:29], v[9:10]
	v_fma_f64 v[20:21], v[28:29], v[7:8], -v[20:21]
	v_fma_f64 v[7:8], v[30:31], v[7:8], v[9:10]
	v_add_f64 v[20:21], v[18:19], v[20:21]
	v_add_f64 v[22:23], v[16:17], v[7:8]
	ds_read_b128 v[7:10], v13 offset:64
	ds_read_b128 v[16:19], v11 offset:1024
	s_waitcnt lgkmcnt(0)
	v_mul_f64 v[24:25], v[9:10], v[18:19]
	v_fma_f64 v[24:25], v[7:8], v[16:17], -v[24:25]
	v_mul_f64 v[7:8], v[7:8], v[18:19]
	v_add_f64 v[20:21], v[20:21], v[24:25]
	v_fma_f64 v[7:8], v[9:10], v[16:17], v[7:8]
	v_add_f64 v[22:23], v[22:23], v[7:8]
	ds_read_b128 v[7:10], v13 offset:80
	ds_read_b128 v[16:19], v11 offset:1280
	s_waitcnt lgkmcnt(0)
	v_mul_f64 v[24:25], v[9:10], v[18:19]
	v_fma_f64 v[24:25], v[7:8], v[16:17], -v[24:25]
	v_mul_f64 v[7:8], v[7:8], v[18:19]
	v_add_f64 v[20:21], v[20:21], v[24:25]
	v_fma_f64 v[7:8], v[9:10], v[16:17], v[7:8]
	;; [unrolled: 9-line block ×11, first 2 shown]
	v_add_f64 v[22:23], v[22:23], v[7:8]
	ds_read_b128 v[7:10], v13 offset:240
	ds_read_b128 v[16:19], v11 offset:3840
	s_waitcnt lgkmcnt(0)
	s_barrier
	v_mul_f64 v[24:25], v[9:10], v[18:19]
	v_fma_f64 v[24:25], v[7:8], v[16:17], -v[24:25]
	v_mul_f64 v[7:8], v[7:8], v[18:19]
	v_fma_f64 v[7:8], v[9:10], v[16:17], v[7:8]
	v_add_f64 v[9:10], v[20:21], v[24:25]
	v_add_f64 v[7:8], v[22:23], v[7:8]
	s_cbranch_scc1 .LBB893_2
; %bb.3:
	v_cmp_le_i32_e32 vcc, v4, v2
	s_and_saveexec_b64 s[6:7], vcc
	s_cbranch_execz .LBB893_5
.LBB893_4:
	s_load_dword s4, s[4:5], 0x60
	s_waitcnt lgkmcnt(0)
	v_mov_b32_e32 v11, s11
	v_lshlrev_b64 v[5:6], 4, v[2:3]
	v_mad_i64_i32 v[0:1], s[4:5], s4, v4, 0
	v_lshlrev_b64 v[0:1], 4, v[0:1]
	v_add_co_u32_e32 v0, vcc, s10, v0
	v_addc_co_u32_e32 v1, vcc, v11, v1, vcc
	v_add_co_u32_e32 v5, vcc, v0, v5
	v_addc_co_u32_e32 v6, vcc, v1, v6, vcc
	flat_load_dwordx4 v[11:14], v[5:6]
	v_mul_f64 v[0:1], s[0:1], v[7:8]
	v_mul_f64 v[7:8], s[2:3], v[7:8]
	v_cmp_ne_u32_e32 vcc, v2, v4
	v_fma_f64 v[0:1], s[2:3], v[9:10], v[0:1]
	v_fma_f64 v[7:8], s[0:1], v[9:10], -v[7:8]
	s_waitcnt vmcnt(0) lgkmcnt(0)
	v_mul_f64 v[15:16], s[12:13], v[13:14]
	v_mul_f64 v[13:14], s[14:15], v[13:14]
	v_fma_f64 v[15:16], s[14:15], v[11:12], v[15:16]
	v_fma_f64 v[9:10], s[12:13], v[11:12], -v[13:14]
	v_add_f64 v[11:12], v[0:1], v[15:16]
	v_add_f64 v[0:1], v[7:8], v[9:10]
	v_cndmask_b32_e32 v3, 0, v12, vcc
	v_cndmask_b32_e32 v2, 0, v11, vcc
	flat_store_dwordx4 v[5:6], v[0:3]
.LBB893_5:
	s_endpgm
.LBB893_6:
	v_mov_b32_e32 v7, 0
	v_mov_b32_e32 v9, 0
	v_mov_b32_e32 v8, 0
	v_mov_b32_e32 v10, 0
	v_cmp_le_i32_e32 vcc, v4, v2
	s_and_saveexec_b64 s[6:7], vcc
	s_cbranch_execnz .LBB893_4
	s_branch .LBB893_5
	.section	.rodata,"a",@progbits
	.p2align	6, 0x0
	.amdhsa_kernel _ZL41rocblas_syrkx_herkx_small_restrict_kernelIi19rocblas_complex_numIdELi16ELb0ELb1ELc78ELc76EKPKS1_KPS1_EviT_T0_PT6_S7_lSA_S7_lS8_PT7_S7_li
		.amdhsa_group_segment_fixed_size 8192
		.amdhsa_private_segment_fixed_size 0
		.amdhsa_kernarg_size 116
		.amdhsa_user_sgpr_count 6
		.amdhsa_user_sgpr_private_segment_buffer 1
		.amdhsa_user_sgpr_dispatch_ptr 0
		.amdhsa_user_sgpr_queue_ptr 0
		.amdhsa_user_sgpr_kernarg_segment_ptr 1
		.amdhsa_user_sgpr_dispatch_id 0
		.amdhsa_user_sgpr_flat_scratch_init 0
		.amdhsa_user_sgpr_private_segment_size 0
		.amdhsa_uses_dynamic_stack 0
		.amdhsa_system_sgpr_private_segment_wavefront_offset 0
		.amdhsa_system_sgpr_workgroup_id_x 1
		.amdhsa_system_sgpr_workgroup_id_y 1
		.amdhsa_system_sgpr_workgroup_id_z 1
		.amdhsa_system_sgpr_workgroup_info 0
		.amdhsa_system_vgpr_workitem_id 1
		.amdhsa_next_free_vgpr 38
		.amdhsa_next_free_sgpr 61
		.amdhsa_reserve_vcc 1
		.amdhsa_reserve_flat_scratch 0
		.amdhsa_float_round_mode_32 0
		.amdhsa_float_round_mode_16_64 0
		.amdhsa_float_denorm_mode_32 3
		.amdhsa_float_denorm_mode_16_64 3
		.amdhsa_dx10_clamp 1
		.amdhsa_ieee_mode 1
		.amdhsa_fp16_overflow 0
		.amdhsa_exception_fp_ieee_invalid_op 0
		.amdhsa_exception_fp_denorm_src 0
		.amdhsa_exception_fp_ieee_div_zero 0
		.amdhsa_exception_fp_ieee_overflow 0
		.amdhsa_exception_fp_ieee_underflow 0
		.amdhsa_exception_fp_ieee_inexact 0
		.amdhsa_exception_int_div_zero 0
	.end_amdhsa_kernel
	.section	.text._ZL41rocblas_syrkx_herkx_small_restrict_kernelIi19rocblas_complex_numIdELi16ELb0ELb1ELc78ELc76EKPKS1_KPS1_EviT_T0_PT6_S7_lSA_S7_lS8_PT7_S7_li,"axG",@progbits,_ZL41rocblas_syrkx_herkx_small_restrict_kernelIi19rocblas_complex_numIdELi16ELb0ELb1ELc78ELc76EKPKS1_KPS1_EviT_T0_PT6_S7_lSA_S7_lS8_PT7_S7_li,comdat
.Lfunc_end893:
	.size	_ZL41rocblas_syrkx_herkx_small_restrict_kernelIi19rocblas_complex_numIdELi16ELb0ELb1ELc78ELc76EKPKS1_KPS1_EviT_T0_PT6_S7_lSA_S7_lS8_PT7_S7_li, .Lfunc_end893-_ZL41rocblas_syrkx_herkx_small_restrict_kernelIi19rocblas_complex_numIdELi16ELb0ELb1ELc78ELc76EKPKS1_KPS1_EviT_T0_PT6_S7_lSA_S7_lS8_PT7_S7_li
                                        ; -- End function
	.set _ZL41rocblas_syrkx_herkx_small_restrict_kernelIi19rocblas_complex_numIdELi16ELb0ELb1ELc78ELc76EKPKS1_KPS1_EviT_T0_PT6_S7_lSA_S7_lS8_PT7_S7_li.num_vgpr, 38
	.set _ZL41rocblas_syrkx_herkx_small_restrict_kernelIi19rocblas_complex_numIdELi16ELb0ELb1ELc78ELc76EKPKS1_KPS1_EviT_T0_PT6_S7_lSA_S7_lS8_PT7_S7_li.num_agpr, 0
	.set _ZL41rocblas_syrkx_herkx_small_restrict_kernelIi19rocblas_complex_numIdELi16ELb0ELb1ELc78ELc76EKPKS1_KPS1_EviT_T0_PT6_S7_lSA_S7_lS8_PT7_S7_li.numbered_sgpr, 26
	.set _ZL41rocblas_syrkx_herkx_small_restrict_kernelIi19rocblas_complex_numIdELi16ELb0ELb1ELc78ELc76EKPKS1_KPS1_EviT_T0_PT6_S7_lSA_S7_lS8_PT7_S7_li.num_named_barrier, 0
	.set _ZL41rocblas_syrkx_herkx_small_restrict_kernelIi19rocblas_complex_numIdELi16ELb0ELb1ELc78ELc76EKPKS1_KPS1_EviT_T0_PT6_S7_lSA_S7_lS8_PT7_S7_li.private_seg_size, 0
	.set _ZL41rocblas_syrkx_herkx_small_restrict_kernelIi19rocblas_complex_numIdELi16ELb0ELb1ELc78ELc76EKPKS1_KPS1_EviT_T0_PT6_S7_lSA_S7_lS8_PT7_S7_li.uses_vcc, 1
	.set _ZL41rocblas_syrkx_herkx_small_restrict_kernelIi19rocblas_complex_numIdELi16ELb0ELb1ELc78ELc76EKPKS1_KPS1_EviT_T0_PT6_S7_lSA_S7_lS8_PT7_S7_li.uses_flat_scratch, 0
	.set _ZL41rocblas_syrkx_herkx_small_restrict_kernelIi19rocblas_complex_numIdELi16ELb0ELb1ELc78ELc76EKPKS1_KPS1_EviT_T0_PT6_S7_lSA_S7_lS8_PT7_S7_li.has_dyn_sized_stack, 0
	.set _ZL41rocblas_syrkx_herkx_small_restrict_kernelIi19rocblas_complex_numIdELi16ELb0ELb1ELc78ELc76EKPKS1_KPS1_EviT_T0_PT6_S7_lSA_S7_lS8_PT7_S7_li.has_recursion, 0
	.set _ZL41rocblas_syrkx_herkx_small_restrict_kernelIi19rocblas_complex_numIdELi16ELb0ELb1ELc78ELc76EKPKS1_KPS1_EviT_T0_PT6_S7_lSA_S7_lS8_PT7_S7_li.has_indirect_call, 0
	.section	.AMDGPU.csdata,"",@progbits
; Kernel info:
; codeLenInByte = 1708
; TotalNumSgprs: 30
; NumVgprs: 38
; ScratchSize: 0
; MemoryBound: 0
; FloatMode: 240
; IeeeMode: 1
; LDSByteSize: 8192 bytes/workgroup (compile time only)
; SGPRBlocks: 8
; VGPRBlocks: 9
; NumSGPRsForWavesPerEU: 65
; NumVGPRsForWavesPerEU: 38
; Occupancy: 6
; WaveLimiterHint : 1
; COMPUTE_PGM_RSRC2:SCRATCH_EN: 0
; COMPUTE_PGM_RSRC2:USER_SGPR: 6
; COMPUTE_PGM_RSRC2:TRAP_HANDLER: 0
; COMPUTE_PGM_RSRC2:TGID_X_EN: 1
; COMPUTE_PGM_RSRC2:TGID_Y_EN: 1
; COMPUTE_PGM_RSRC2:TGID_Z_EN: 1
; COMPUTE_PGM_RSRC2:TIDIG_COMP_CNT: 1
	.section	.text._ZL41rocblas_syrkx_herkx_small_restrict_kernelIi19rocblas_complex_numIdELi16ELb0ELb1ELc84ELc85EKPKS1_KPS1_EviT_T0_PT6_S7_lSA_S7_lS8_PT7_S7_li,"axG",@progbits,_ZL41rocblas_syrkx_herkx_small_restrict_kernelIi19rocblas_complex_numIdELi16ELb0ELb1ELc84ELc85EKPKS1_KPS1_EviT_T0_PT6_S7_lSA_S7_lS8_PT7_S7_li,comdat
	.globl	_ZL41rocblas_syrkx_herkx_small_restrict_kernelIi19rocblas_complex_numIdELi16ELb0ELb1ELc84ELc85EKPKS1_KPS1_EviT_T0_PT6_S7_lSA_S7_lS8_PT7_S7_li ; -- Begin function _ZL41rocblas_syrkx_herkx_small_restrict_kernelIi19rocblas_complex_numIdELi16ELb0ELb1ELc84ELc85EKPKS1_KPS1_EviT_T0_PT6_S7_lSA_S7_lS8_PT7_S7_li
	.p2align	8
	.type	_ZL41rocblas_syrkx_herkx_small_restrict_kernelIi19rocblas_complex_numIdELi16ELb0ELb1ELc84ELc85EKPKS1_KPS1_EviT_T0_PT6_S7_lSA_S7_lS8_PT7_S7_li,@function
_ZL41rocblas_syrkx_herkx_small_restrict_kernelIi19rocblas_complex_numIdELi16ELb0ELb1ELc84ELc85EKPKS1_KPS1_EviT_T0_PT6_S7_lSA_S7_lS8_PT7_S7_li: ; @_ZL41rocblas_syrkx_herkx_small_restrict_kernelIi19rocblas_complex_numIdELi16ELb0ELb1ELc84ELc85EKPKS1_KPS1_EviT_T0_PT6_S7_lSA_S7_lS8_PT7_S7_li
; %bb.0:
	s_load_dword s20, s[4:5], 0x4
	s_load_dwordx4 s[0:3], s[4:5], 0x8
	s_load_dwordx2 s[10:11], s[4:5], 0x58
	s_load_dwordx2 s[16:17], s[4:5], 0x18
	s_load_dwordx4 s[12:15], s[4:5], 0x48
	s_mov_b32 s9, 0
	s_lshl_b64 s[18:19], s[8:9], 3
	s_waitcnt lgkmcnt(0)
	s_add_u32 s10, s10, s18
	s_addc_u32 s11, s11, s19
	s_load_dwordx2 s[10:11], s[10:11], 0x0
	v_lshl_add_u32 v2, s6, 4, v0
	s_cmp_lt_i32 s20, 1
	v_lshl_add_u32 v9, s7, 4, v1
	s_cbranch_scc1 .LBB894_6
; %bb.1:
	s_load_dwordx2 s[6:7], s[4:5], 0x30
	s_load_dword s8, s[4:5], 0x20
	s_load_dword s21, s[4:5], 0x38
	v_lshlrev_b32_e32 v5, 8, v1
	v_lshlrev_b32_e32 v10, 4, v0
	s_waitcnt lgkmcnt(0)
	s_add_u32 s6, s6, s18
	s_addc_u32 s7, s7, s19
	s_add_u32 s16, s16, s18
	s_addc_u32 s17, s17, s19
	v_mad_i64_i32 v[3:4], s[18:19], s21, v9, 0
	s_load_dwordx2 s[6:7], s[6:7], 0x0
	v_add_u32_e32 v11, v10, v5
	v_add_u32_e32 v12, 0x1000, v5
	v_lshlrev_b64 v[3:4], 4, v[3:4]
	v_mad_i64_i32 v[5:6], s[18:19], s8, v2, 0
	v_add_co_u32_e32 v0, vcc, v3, v10
	s_load_dwordx2 s[16:17], s[16:17], 0x0
	v_addc_co_u32_e32 v4, vcc, 0, v4, vcc
	s_waitcnt lgkmcnt(0)
	v_mov_b32_e32 v7, s7
	v_add_co_u32_e32 v3, vcc, s6, v0
	v_lshlrev_b64 v[5:6], 4, v[5:6]
	v_addc_co_u32_e32 v4, vcc, v7, v4, vcc
	v_lshlrev_b32_e32 v0, 4, v1
	v_add_co_u32_e32 v0, vcc, v5, v0
	v_addc_co_u32_e32 v1, vcc, 0, v6, vcc
	v_mov_b32_e32 v14, s17
	v_mov_b32_e32 v5, 0
	v_mov_b32_e32 v7, 0
	v_add_co_u32_e32 v0, vcc, s16, v0
	v_add_u32_e32 v13, v12, v10
	v_mov_b32_e32 v6, 0
	v_mov_b32_e32 v8, 0
	v_addc_co_u32_e32 v1, vcc, v14, v1, vcc
.LBB894_2:                              ; =>This Inner Loop Header: Depth=1
	flat_load_dwordx4 v[14:17], v[0:1]
	s_add_i32 s9, s9, 16
	s_cmp_lt_i32 s9, s20
	s_waitcnt vmcnt(0) lgkmcnt(0)
	ds_write2_b64 v11, v[14:15], v[16:17] offset1:1
	flat_load_dwordx4 v[14:17], v[3:4]
	v_add_co_u32_e32 v3, vcc, 0x100, v3
	v_addc_co_u32_e32 v4, vcc, 0, v4, vcc
	v_add_co_u32_e32 v0, vcc, 0x100, v0
	v_addc_co_u32_e32 v1, vcc, 0, v1, vcc
	s_waitcnt vmcnt(0) lgkmcnt(0)
	ds_write2_b64 v13, v[14:15], v[16:17] offset1:1
	s_waitcnt lgkmcnt(0)
	s_barrier
	ds_read_b128 v[14:17], v12
	ds_read_b128 v[18:21], v12 offset:16
	ds_read_b128 v[22:25], v12 offset:32
	;; [unrolled: 1-line block ×3, first 2 shown]
	ds_read_b128 v[30:33], v10
	s_waitcnt lgkmcnt(0)
	v_mul_f64 v[34:35], v[16:17], v[32:33]
	v_fma_f64 v[34:35], v[14:15], v[30:31], -v[34:35]
	v_mul_f64 v[14:15], v[14:15], v[32:33]
	v_fma_f64 v[14:15], v[16:17], v[30:31], v[14:15]
	v_add_f64 v[16:17], v[7:8], v[34:35]
	v_add_f64 v[14:15], v[5:6], v[14:15]
	ds_read_b128 v[5:8], v10 offset:256
	s_waitcnt lgkmcnt(0)
	v_mul_f64 v[30:31], v[20:21], v[7:8]
	v_mul_f64 v[7:8], v[18:19], v[7:8]
	v_fma_f64 v[30:31], v[18:19], v[5:6], -v[30:31]
	v_fma_f64 v[5:6], v[20:21], v[5:6], v[7:8]
	v_add_f64 v[16:17], v[16:17], v[30:31]
	v_add_f64 v[14:15], v[14:15], v[5:6]
	ds_read_b128 v[5:8], v10 offset:512
	s_waitcnt lgkmcnt(0)
	v_mul_f64 v[18:19], v[24:25], v[7:8]
	v_mul_f64 v[7:8], v[22:23], v[7:8]
	v_fma_f64 v[18:19], v[22:23], v[5:6], -v[18:19]
	;; [unrolled: 8-line block ×3, first 2 shown]
	v_fma_f64 v[5:6], v[28:29], v[5:6], v[7:8]
	v_add_f64 v[18:19], v[16:17], v[18:19]
	v_add_f64 v[20:21], v[14:15], v[5:6]
	ds_read_b128 v[5:8], v12 offset:64
	ds_read_b128 v[14:17], v10 offset:1024
	s_waitcnt lgkmcnt(0)
	v_mul_f64 v[22:23], v[7:8], v[16:17]
	v_fma_f64 v[22:23], v[5:6], v[14:15], -v[22:23]
	v_mul_f64 v[5:6], v[5:6], v[16:17]
	v_add_f64 v[18:19], v[18:19], v[22:23]
	v_fma_f64 v[5:6], v[7:8], v[14:15], v[5:6]
	v_add_f64 v[20:21], v[20:21], v[5:6]
	ds_read_b128 v[5:8], v12 offset:80
	ds_read_b128 v[14:17], v10 offset:1280
	s_waitcnt lgkmcnt(0)
	v_mul_f64 v[22:23], v[7:8], v[16:17]
	v_fma_f64 v[22:23], v[5:6], v[14:15], -v[22:23]
	v_mul_f64 v[5:6], v[5:6], v[16:17]
	v_add_f64 v[18:19], v[18:19], v[22:23]
	v_fma_f64 v[5:6], v[7:8], v[14:15], v[5:6]
	;; [unrolled: 9-line block ×11, first 2 shown]
	v_add_f64 v[20:21], v[20:21], v[5:6]
	ds_read_b128 v[5:8], v12 offset:240
	ds_read_b128 v[14:17], v10 offset:3840
	s_waitcnt lgkmcnt(0)
	s_barrier
	v_mul_f64 v[22:23], v[7:8], v[16:17]
	v_fma_f64 v[22:23], v[5:6], v[14:15], -v[22:23]
	v_mul_f64 v[5:6], v[5:6], v[16:17]
	v_fma_f64 v[5:6], v[7:8], v[14:15], v[5:6]
	v_add_f64 v[7:8], v[18:19], v[22:23]
	v_add_f64 v[5:6], v[20:21], v[5:6]
	s_cbranch_scc1 .LBB894_2
; %bb.3:
	v_cmp_le_i32_e32 vcc, v2, v9
	s_and_saveexec_b64 s[6:7], vcc
	s_cbranch_execz .LBB894_5
.LBB894_4:
	s_load_dword s4, s[4:5], 0x60
	v_ashrrev_i32_e32 v3, 31, v2
	s_waitcnt lgkmcnt(0)
	v_mov_b32_e32 v10, s11
	v_lshlrev_b64 v[3:4], 4, v[2:3]
	v_mad_i64_i32 v[0:1], s[4:5], s4, v9, 0
	v_lshlrev_b64 v[0:1], 4, v[0:1]
	v_add_co_u32_e32 v0, vcc, s10, v0
	v_addc_co_u32_e32 v1, vcc, v10, v1, vcc
	v_add_co_u32_e32 v14, vcc, v0, v3
	v_addc_co_u32_e32 v15, vcc, v1, v4, vcc
	flat_load_dwordx4 v[10:13], v[14:15]
	v_mul_f64 v[0:1], s[0:1], v[5:6]
	v_mul_f64 v[5:6], s[2:3], v[5:6]
	v_cmp_ne_u32_e32 vcc, v2, v9
	v_fma_f64 v[0:1], s[2:3], v[7:8], v[0:1]
	v_fma_f64 v[5:6], s[0:1], v[7:8], -v[5:6]
	s_waitcnt vmcnt(0) lgkmcnt(0)
	v_mul_f64 v[3:4], s[12:13], v[12:13]
	v_mul_f64 v[12:13], s[14:15], v[12:13]
	v_fma_f64 v[3:4], s[14:15], v[10:11], v[3:4]
	v_fma_f64 v[7:8], s[12:13], v[10:11], -v[12:13]
	v_add_f64 v[10:11], v[0:1], v[3:4]
	v_add_f64 v[0:1], v[5:6], v[7:8]
	v_cndmask_b32_e32 v3, 0, v11, vcc
	v_cndmask_b32_e32 v2, 0, v10, vcc
	flat_store_dwordx4 v[14:15], v[0:3]
.LBB894_5:
	s_endpgm
.LBB894_6:
	v_mov_b32_e32 v5, 0
	v_mov_b32_e32 v7, 0
	;; [unrolled: 1-line block ×4, first 2 shown]
	v_cmp_le_i32_e32 vcc, v2, v9
	s_and_saveexec_b64 s[6:7], vcc
	s_cbranch_execnz .LBB894_4
	s_branch .LBB894_5
	.section	.rodata,"a",@progbits
	.p2align	6, 0x0
	.amdhsa_kernel _ZL41rocblas_syrkx_herkx_small_restrict_kernelIi19rocblas_complex_numIdELi16ELb0ELb1ELc84ELc85EKPKS1_KPS1_EviT_T0_PT6_S7_lSA_S7_lS8_PT7_S7_li
		.amdhsa_group_segment_fixed_size 8192
		.amdhsa_private_segment_fixed_size 0
		.amdhsa_kernarg_size 116
		.amdhsa_user_sgpr_count 6
		.amdhsa_user_sgpr_private_segment_buffer 1
		.amdhsa_user_sgpr_dispatch_ptr 0
		.amdhsa_user_sgpr_queue_ptr 0
		.amdhsa_user_sgpr_kernarg_segment_ptr 1
		.amdhsa_user_sgpr_dispatch_id 0
		.amdhsa_user_sgpr_flat_scratch_init 0
		.amdhsa_user_sgpr_private_segment_size 0
		.amdhsa_uses_dynamic_stack 0
		.amdhsa_system_sgpr_private_segment_wavefront_offset 0
		.amdhsa_system_sgpr_workgroup_id_x 1
		.amdhsa_system_sgpr_workgroup_id_y 1
		.amdhsa_system_sgpr_workgroup_id_z 1
		.amdhsa_system_sgpr_workgroup_info 0
		.amdhsa_system_vgpr_workitem_id 1
		.amdhsa_next_free_vgpr 36
		.amdhsa_next_free_sgpr 61
		.amdhsa_reserve_vcc 1
		.amdhsa_reserve_flat_scratch 0
		.amdhsa_float_round_mode_32 0
		.amdhsa_float_round_mode_16_64 0
		.amdhsa_float_denorm_mode_32 3
		.amdhsa_float_denorm_mode_16_64 3
		.amdhsa_dx10_clamp 1
		.amdhsa_ieee_mode 1
		.amdhsa_fp16_overflow 0
		.amdhsa_exception_fp_ieee_invalid_op 0
		.amdhsa_exception_fp_denorm_src 0
		.amdhsa_exception_fp_ieee_div_zero 0
		.amdhsa_exception_fp_ieee_overflow 0
		.amdhsa_exception_fp_ieee_underflow 0
		.amdhsa_exception_fp_ieee_inexact 0
		.amdhsa_exception_int_div_zero 0
	.end_amdhsa_kernel
	.section	.text._ZL41rocblas_syrkx_herkx_small_restrict_kernelIi19rocblas_complex_numIdELi16ELb0ELb1ELc84ELc85EKPKS1_KPS1_EviT_T0_PT6_S7_lSA_S7_lS8_PT7_S7_li,"axG",@progbits,_ZL41rocblas_syrkx_herkx_small_restrict_kernelIi19rocblas_complex_numIdELi16ELb0ELb1ELc84ELc85EKPKS1_KPS1_EviT_T0_PT6_S7_lSA_S7_lS8_PT7_S7_li,comdat
.Lfunc_end894:
	.size	_ZL41rocblas_syrkx_herkx_small_restrict_kernelIi19rocblas_complex_numIdELi16ELb0ELb1ELc84ELc85EKPKS1_KPS1_EviT_T0_PT6_S7_lSA_S7_lS8_PT7_S7_li, .Lfunc_end894-_ZL41rocblas_syrkx_herkx_small_restrict_kernelIi19rocblas_complex_numIdELi16ELb0ELb1ELc84ELc85EKPKS1_KPS1_EviT_T0_PT6_S7_lSA_S7_lS8_PT7_S7_li
                                        ; -- End function
	.set _ZL41rocblas_syrkx_herkx_small_restrict_kernelIi19rocblas_complex_numIdELi16ELb0ELb1ELc84ELc85EKPKS1_KPS1_EviT_T0_PT6_S7_lSA_S7_lS8_PT7_S7_li.num_vgpr, 36
	.set _ZL41rocblas_syrkx_herkx_small_restrict_kernelIi19rocblas_complex_numIdELi16ELb0ELb1ELc84ELc85EKPKS1_KPS1_EviT_T0_PT6_S7_lSA_S7_lS8_PT7_S7_li.num_agpr, 0
	.set _ZL41rocblas_syrkx_herkx_small_restrict_kernelIi19rocblas_complex_numIdELi16ELb0ELb1ELc84ELc85EKPKS1_KPS1_EviT_T0_PT6_S7_lSA_S7_lS8_PT7_S7_li.numbered_sgpr, 22
	.set _ZL41rocblas_syrkx_herkx_small_restrict_kernelIi19rocblas_complex_numIdELi16ELb0ELb1ELc84ELc85EKPKS1_KPS1_EviT_T0_PT6_S7_lSA_S7_lS8_PT7_S7_li.num_named_barrier, 0
	.set _ZL41rocblas_syrkx_herkx_small_restrict_kernelIi19rocblas_complex_numIdELi16ELb0ELb1ELc84ELc85EKPKS1_KPS1_EviT_T0_PT6_S7_lSA_S7_lS8_PT7_S7_li.private_seg_size, 0
	.set _ZL41rocblas_syrkx_herkx_small_restrict_kernelIi19rocblas_complex_numIdELi16ELb0ELb1ELc84ELc85EKPKS1_KPS1_EviT_T0_PT6_S7_lSA_S7_lS8_PT7_S7_li.uses_vcc, 1
	.set _ZL41rocblas_syrkx_herkx_small_restrict_kernelIi19rocblas_complex_numIdELi16ELb0ELb1ELc84ELc85EKPKS1_KPS1_EviT_T0_PT6_S7_lSA_S7_lS8_PT7_S7_li.uses_flat_scratch, 0
	.set _ZL41rocblas_syrkx_herkx_small_restrict_kernelIi19rocblas_complex_numIdELi16ELb0ELb1ELc84ELc85EKPKS1_KPS1_EviT_T0_PT6_S7_lSA_S7_lS8_PT7_S7_li.has_dyn_sized_stack, 0
	.set _ZL41rocblas_syrkx_herkx_small_restrict_kernelIi19rocblas_complex_numIdELi16ELb0ELb1ELc84ELc85EKPKS1_KPS1_EviT_T0_PT6_S7_lSA_S7_lS8_PT7_S7_li.has_recursion, 0
	.set _ZL41rocblas_syrkx_herkx_small_restrict_kernelIi19rocblas_complex_numIdELi16ELb0ELb1ELc84ELc85EKPKS1_KPS1_EviT_T0_PT6_S7_lSA_S7_lS8_PT7_S7_li.has_indirect_call, 0
	.section	.AMDGPU.csdata,"",@progbits
; Kernel info:
; codeLenInByte = 1668
; TotalNumSgprs: 26
; NumVgprs: 36
; ScratchSize: 0
; MemoryBound: 0
; FloatMode: 240
; IeeeMode: 1
; LDSByteSize: 8192 bytes/workgroup (compile time only)
; SGPRBlocks: 8
; VGPRBlocks: 8
; NumSGPRsForWavesPerEU: 65
; NumVGPRsForWavesPerEU: 36
; Occupancy: 7
; WaveLimiterHint : 1
; COMPUTE_PGM_RSRC2:SCRATCH_EN: 0
; COMPUTE_PGM_RSRC2:USER_SGPR: 6
; COMPUTE_PGM_RSRC2:TRAP_HANDLER: 0
; COMPUTE_PGM_RSRC2:TGID_X_EN: 1
; COMPUTE_PGM_RSRC2:TGID_Y_EN: 1
; COMPUTE_PGM_RSRC2:TGID_Z_EN: 1
; COMPUTE_PGM_RSRC2:TIDIG_COMP_CNT: 1
	.section	.text._ZL41rocblas_syrkx_herkx_small_restrict_kernelIi19rocblas_complex_numIdELi16ELb0ELb1ELc67ELc85EKPKS1_KPS1_EviT_T0_PT6_S7_lSA_S7_lS8_PT7_S7_li,"axG",@progbits,_ZL41rocblas_syrkx_herkx_small_restrict_kernelIi19rocblas_complex_numIdELi16ELb0ELb1ELc67ELc85EKPKS1_KPS1_EviT_T0_PT6_S7_lSA_S7_lS8_PT7_S7_li,comdat
	.globl	_ZL41rocblas_syrkx_herkx_small_restrict_kernelIi19rocblas_complex_numIdELi16ELb0ELb1ELc67ELc85EKPKS1_KPS1_EviT_T0_PT6_S7_lSA_S7_lS8_PT7_S7_li ; -- Begin function _ZL41rocblas_syrkx_herkx_small_restrict_kernelIi19rocblas_complex_numIdELi16ELb0ELb1ELc67ELc85EKPKS1_KPS1_EviT_T0_PT6_S7_lSA_S7_lS8_PT7_S7_li
	.p2align	8
	.type	_ZL41rocblas_syrkx_herkx_small_restrict_kernelIi19rocblas_complex_numIdELi16ELb0ELb1ELc67ELc85EKPKS1_KPS1_EviT_T0_PT6_S7_lSA_S7_lS8_PT7_S7_li,@function
_ZL41rocblas_syrkx_herkx_small_restrict_kernelIi19rocblas_complex_numIdELi16ELb0ELb1ELc67ELc85EKPKS1_KPS1_EviT_T0_PT6_S7_lSA_S7_lS8_PT7_S7_li: ; @_ZL41rocblas_syrkx_herkx_small_restrict_kernelIi19rocblas_complex_numIdELi16ELb0ELb1ELc67ELc85EKPKS1_KPS1_EviT_T0_PT6_S7_lSA_S7_lS8_PT7_S7_li
; %bb.0:
	s_load_dword s20, s[4:5], 0x4
	s_load_dwordx4 s[0:3], s[4:5], 0x8
	s_load_dwordx2 s[10:11], s[4:5], 0x58
	s_load_dwordx2 s[16:17], s[4:5], 0x18
	s_load_dwordx4 s[12:15], s[4:5], 0x48
	s_mov_b32 s9, 0
	s_lshl_b64 s[18:19], s[8:9], 3
	s_waitcnt lgkmcnt(0)
	s_add_u32 s10, s10, s18
	s_addc_u32 s11, s11, s19
	s_load_dwordx2 s[10:11], s[10:11], 0x0
	v_lshl_add_u32 v2, s6, 4, v0
	s_cmp_lt_i32 s20, 1
	v_lshl_add_u32 v9, s7, 4, v1
	s_cbranch_scc1 .LBB895_6
; %bb.1:
	s_load_dwordx2 s[6:7], s[4:5], 0x30
	s_load_dword s8, s[4:5], 0x20
	s_load_dword s21, s[4:5], 0x38
	v_lshlrev_b32_e32 v5, 8, v1
	v_lshlrev_b32_e32 v10, 4, v0
	s_waitcnt lgkmcnt(0)
	s_add_u32 s6, s6, s18
	s_addc_u32 s7, s7, s19
	s_add_u32 s16, s16, s18
	s_addc_u32 s17, s17, s19
	v_mad_i64_i32 v[3:4], s[18:19], s21, v9, 0
	s_load_dwordx2 s[6:7], s[6:7], 0x0
	v_add_u32_e32 v11, v10, v5
	v_add_u32_e32 v12, 0x1000, v5
	v_lshlrev_b64 v[3:4], 4, v[3:4]
	v_mad_i64_i32 v[5:6], s[18:19], s8, v2, 0
	v_add_co_u32_e32 v0, vcc, v3, v10
	s_load_dwordx2 s[16:17], s[16:17], 0x0
	v_addc_co_u32_e32 v4, vcc, 0, v4, vcc
	s_waitcnt lgkmcnt(0)
	v_mov_b32_e32 v7, s7
	v_add_co_u32_e32 v3, vcc, s6, v0
	v_lshlrev_b64 v[5:6], 4, v[5:6]
	v_addc_co_u32_e32 v4, vcc, v7, v4, vcc
	v_lshlrev_b32_e32 v0, 4, v1
	v_add_co_u32_e32 v0, vcc, v5, v0
	v_addc_co_u32_e32 v1, vcc, 0, v6, vcc
	v_mov_b32_e32 v14, s17
	v_mov_b32_e32 v5, 0
	v_mov_b32_e32 v7, 0
	v_add_co_u32_e32 v0, vcc, s16, v0
	v_add_u32_e32 v13, v12, v10
	v_mov_b32_e32 v6, 0
	v_mov_b32_e32 v8, 0
	v_addc_co_u32_e32 v1, vcc, v14, v1, vcc
.LBB895_2:                              ; =>This Inner Loop Header: Depth=1
	flat_load_dwordx4 v[14:17], v[0:1]
	s_add_i32 s9, s9, 16
	s_cmp_lt_i32 s9, s20
	s_waitcnt vmcnt(0) lgkmcnt(0)
	v_xor_b32_e32 v17, 0x80000000, v17
	ds_write_b128 v11, v[14:17]
	flat_load_dwordx4 v[14:17], v[3:4]
	v_add_co_u32_e32 v3, vcc, 0x100, v3
	v_addc_co_u32_e32 v4, vcc, 0, v4, vcc
	v_add_co_u32_e32 v0, vcc, 0x100, v0
	v_addc_co_u32_e32 v1, vcc, 0, v1, vcc
	s_waitcnt vmcnt(0) lgkmcnt(0)
	ds_write2_b64 v13, v[14:15], v[16:17] offset1:1
	s_waitcnt lgkmcnt(0)
	s_barrier
	ds_read_b128 v[14:17], v12
	ds_read_b128 v[18:21], v12 offset:16
	ds_read_b128 v[22:25], v12 offset:32
	;; [unrolled: 1-line block ×3, first 2 shown]
	ds_read_b128 v[30:33], v10
	s_waitcnt lgkmcnt(0)
	v_mul_f64 v[34:35], v[16:17], v[32:33]
	v_fma_f64 v[34:35], v[14:15], v[30:31], -v[34:35]
	v_mul_f64 v[14:15], v[14:15], v[32:33]
	v_fma_f64 v[14:15], v[16:17], v[30:31], v[14:15]
	v_add_f64 v[16:17], v[7:8], v[34:35]
	v_add_f64 v[14:15], v[5:6], v[14:15]
	ds_read_b128 v[5:8], v10 offset:256
	s_waitcnt lgkmcnt(0)
	v_mul_f64 v[30:31], v[20:21], v[7:8]
	v_mul_f64 v[7:8], v[18:19], v[7:8]
	v_fma_f64 v[30:31], v[18:19], v[5:6], -v[30:31]
	v_fma_f64 v[5:6], v[20:21], v[5:6], v[7:8]
	v_add_f64 v[16:17], v[16:17], v[30:31]
	v_add_f64 v[14:15], v[14:15], v[5:6]
	ds_read_b128 v[5:8], v10 offset:512
	s_waitcnt lgkmcnt(0)
	v_mul_f64 v[18:19], v[24:25], v[7:8]
	v_mul_f64 v[7:8], v[22:23], v[7:8]
	v_fma_f64 v[18:19], v[22:23], v[5:6], -v[18:19]
	;; [unrolled: 8-line block ×3, first 2 shown]
	v_fma_f64 v[5:6], v[28:29], v[5:6], v[7:8]
	v_add_f64 v[18:19], v[16:17], v[18:19]
	v_add_f64 v[20:21], v[14:15], v[5:6]
	ds_read_b128 v[5:8], v12 offset:64
	ds_read_b128 v[14:17], v10 offset:1024
	s_waitcnt lgkmcnt(0)
	v_mul_f64 v[22:23], v[7:8], v[16:17]
	v_fma_f64 v[22:23], v[5:6], v[14:15], -v[22:23]
	v_mul_f64 v[5:6], v[5:6], v[16:17]
	v_add_f64 v[18:19], v[18:19], v[22:23]
	v_fma_f64 v[5:6], v[7:8], v[14:15], v[5:6]
	v_add_f64 v[20:21], v[20:21], v[5:6]
	ds_read_b128 v[5:8], v12 offset:80
	ds_read_b128 v[14:17], v10 offset:1280
	s_waitcnt lgkmcnt(0)
	v_mul_f64 v[22:23], v[7:8], v[16:17]
	v_fma_f64 v[22:23], v[5:6], v[14:15], -v[22:23]
	v_mul_f64 v[5:6], v[5:6], v[16:17]
	v_add_f64 v[18:19], v[18:19], v[22:23]
	v_fma_f64 v[5:6], v[7:8], v[14:15], v[5:6]
	;; [unrolled: 9-line block ×11, first 2 shown]
	v_add_f64 v[20:21], v[20:21], v[5:6]
	ds_read_b128 v[5:8], v12 offset:240
	ds_read_b128 v[14:17], v10 offset:3840
	s_waitcnt lgkmcnt(0)
	s_barrier
	v_mul_f64 v[22:23], v[7:8], v[16:17]
	v_fma_f64 v[22:23], v[5:6], v[14:15], -v[22:23]
	v_mul_f64 v[5:6], v[5:6], v[16:17]
	v_fma_f64 v[5:6], v[7:8], v[14:15], v[5:6]
	v_add_f64 v[7:8], v[18:19], v[22:23]
	v_add_f64 v[5:6], v[20:21], v[5:6]
	s_cbranch_scc1 .LBB895_2
; %bb.3:
	v_cmp_le_i32_e32 vcc, v2, v9
	s_and_saveexec_b64 s[6:7], vcc
	s_cbranch_execz .LBB895_5
.LBB895_4:
	s_load_dword s4, s[4:5], 0x60
	v_ashrrev_i32_e32 v3, 31, v2
	s_waitcnt lgkmcnt(0)
	v_mov_b32_e32 v10, s11
	v_lshlrev_b64 v[3:4], 4, v[2:3]
	v_mad_i64_i32 v[0:1], s[4:5], s4, v9, 0
	v_lshlrev_b64 v[0:1], 4, v[0:1]
	v_add_co_u32_e32 v0, vcc, s10, v0
	v_addc_co_u32_e32 v1, vcc, v10, v1, vcc
	v_add_co_u32_e32 v14, vcc, v0, v3
	v_addc_co_u32_e32 v15, vcc, v1, v4, vcc
	flat_load_dwordx4 v[10:13], v[14:15]
	v_mul_f64 v[0:1], s[0:1], v[5:6]
	v_mul_f64 v[5:6], s[2:3], v[5:6]
	v_cmp_ne_u32_e32 vcc, v2, v9
	v_fma_f64 v[0:1], s[2:3], v[7:8], v[0:1]
	v_fma_f64 v[5:6], s[0:1], v[7:8], -v[5:6]
	s_waitcnt vmcnt(0) lgkmcnt(0)
	v_mul_f64 v[3:4], s[12:13], v[12:13]
	v_mul_f64 v[12:13], s[14:15], v[12:13]
	v_fma_f64 v[3:4], s[14:15], v[10:11], v[3:4]
	v_fma_f64 v[7:8], s[12:13], v[10:11], -v[12:13]
	v_add_f64 v[10:11], v[0:1], v[3:4]
	v_add_f64 v[0:1], v[5:6], v[7:8]
	v_cndmask_b32_e32 v3, 0, v11, vcc
	v_cndmask_b32_e32 v2, 0, v10, vcc
	flat_store_dwordx4 v[14:15], v[0:3]
.LBB895_5:
	s_endpgm
.LBB895_6:
	v_mov_b32_e32 v5, 0
	v_mov_b32_e32 v7, 0
	;; [unrolled: 1-line block ×4, first 2 shown]
	v_cmp_le_i32_e32 vcc, v2, v9
	s_and_saveexec_b64 s[6:7], vcc
	s_cbranch_execnz .LBB895_4
	s_branch .LBB895_5
	.section	.rodata,"a",@progbits
	.p2align	6, 0x0
	.amdhsa_kernel _ZL41rocblas_syrkx_herkx_small_restrict_kernelIi19rocblas_complex_numIdELi16ELb0ELb1ELc67ELc85EKPKS1_KPS1_EviT_T0_PT6_S7_lSA_S7_lS8_PT7_S7_li
		.amdhsa_group_segment_fixed_size 8192
		.amdhsa_private_segment_fixed_size 0
		.amdhsa_kernarg_size 116
		.amdhsa_user_sgpr_count 6
		.amdhsa_user_sgpr_private_segment_buffer 1
		.amdhsa_user_sgpr_dispatch_ptr 0
		.amdhsa_user_sgpr_queue_ptr 0
		.amdhsa_user_sgpr_kernarg_segment_ptr 1
		.amdhsa_user_sgpr_dispatch_id 0
		.amdhsa_user_sgpr_flat_scratch_init 0
		.amdhsa_user_sgpr_private_segment_size 0
		.amdhsa_uses_dynamic_stack 0
		.amdhsa_system_sgpr_private_segment_wavefront_offset 0
		.amdhsa_system_sgpr_workgroup_id_x 1
		.amdhsa_system_sgpr_workgroup_id_y 1
		.amdhsa_system_sgpr_workgroup_id_z 1
		.amdhsa_system_sgpr_workgroup_info 0
		.amdhsa_system_vgpr_workitem_id 1
		.amdhsa_next_free_vgpr 36
		.amdhsa_next_free_sgpr 61
		.amdhsa_reserve_vcc 1
		.amdhsa_reserve_flat_scratch 0
		.amdhsa_float_round_mode_32 0
		.amdhsa_float_round_mode_16_64 0
		.amdhsa_float_denorm_mode_32 3
		.amdhsa_float_denorm_mode_16_64 3
		.amdhsa_dx10_clamp 1
		.amdhsa_ieee_mode 1
		.amdhsa_fp16_overflow 0
		.amdhsa_exception_fp_ieee_invalid_op 0
		.amdhsa_exception_fp_denorm_src 0
		.amdhsa_exception_fp_ieee_div_zero 0
		.amdhsa_exception_fp_ieee_overflow 0
		.amdhsa_exception_fp_ieee_underflow 0
		.amdhsa_exception_fp_ieee_inexact 0
		.amdhsa_exception_int_div_zero 0
	.end_amdhsa_kernel
	.section	.text._ZL41rocblas_syrkx_herkx_small_restrict_kernelIi19rocblas_complex_numIdELi16ELb0ELb1ELc67ELc85EKPKS1_KPS1_EviT_T0_PT6_S7_lSA_S7_lS8_PT7_S7_li,"axG",@progbits,_ZL41rocblas_syrkx_herkx_small_restrict_kernelIi19rocblas_complex_numIdELi16ELb0ELb1ELc67ELc85EKPKS1_KPS1_EviT_T0_PT6_S7_lSA_S7_lS8_PT7_S7_li,comdat
.Lfunc_end895:
	.size	_ZL41rocblas_syrkx_herkx_small_restrict_kernelIi19rocblas_complex_numIdELi16ELb0ELb1ELc67ELc85EKPKS1_KPS1_EviT_T0_PT6_S7_lSA_S7_lS8_PT7_S7_li, .Lfunc_end895-_ZL41rocblas_syrkx_herkx_small_restrict_kernelIi19rocblas_complex_numIdELi16ELb0ELb1ELc67ELc85EKPKS1_KPS1_EviT_T0_PT6_S7_lSA_S7_lS8_PT7_S7_li
                                        ; -- End function
	.set _ZL41rocblas_syrkx_herkx_small_restrict_kernelIi19rocblas_complex_numIdELi16ELb0ELb1ELc67ELc85EKPKS1_KPS1_EviT_T0_PT6_S7_lSA_S7_lS8_PT7_S7_li.num_vgpr, 36
	.set _ZL41rocblas_syrkx_herkx_small_restrict_kernelIi19rocblas_complex_numIdELi16ELb0ELb1ELc67ELc85EKPKS1_KPS1_EviT_T0_PT6_S7_lSA_S7_lS8_PT7_S7_li.num_agpr, 0
	.set _ZL41rocblas_syrkx_herkx_small_restrict_kernelIi19rocblas_complex_numIdELi16ELb0ELb1ELc67ELc85EKPKS1_KPS1_EviT_T0_PT6_S7_lSA_S7_lS8_PT7_S7_li.numbered_sgpr, 22
	.set _ZL41rocblas_syrkx_herkx_small_restrict_kernelIi19rocblas_complex_numIdELi16ELb0ELb1ELc67ELc85EKPKS1_KPS1_EviT_T0_PT6_S7_lSA_S7_lS8_PT7_S7_li.num_named_barrier, 0
	.set _ZL41rocblas_syrkx_herkx_small_restrict_kernelIi19rocblas_complex_numIdELi16ELb0ELb1ELc67ELc85EKPKS1_KPS1_EviT_T0_PT6_S7_lSA_S7_lS8_PT7_S7_li.private_seg_size, 0
	.set _ZL41rocblas_syrkx_herkx_small_restrict_kernelIi19rocblas_complex_numIdELi16ELb0ELb1ELc67ELc85EKPKS1_KPS1_EviT_T0_PT6_S7_lSA_S7_lS8_PT7_S7_li.uses_vcc, 1
	.set _ZL41rocblas_syrkx_herkx_small_restrict_kernelIi19rocblas_complex_numIdELi16ELb0ELb1ELc67ELc85EKPKS1_KPS1_EviT_T0_PT6_S7_lSA_S7_lS8_PT7_S7_li.uses_flat_scratch, 0
	.set _ZL41rocblas_syrkx_herkx_small_restrict_kernelIi19rocblas_complex_numIdELi16ELb0ELb1ELc67ELc85EKPKS1_KPS1_EviT_T0_PT6_S7_lSA_S7_lS8_PT7_S7_li.has_dyn_sized_stack, 0
	.set _ZL41rocblas_syrkx_herkx_small_restrict_kernelIi19rocblas_complex_numIdELi16ELb0ELb1ELc67ELc85EKPKS1_KPS1_EviT_T0_PT6_S7_lSA_S7_lS8_PT7_S7_li.has_recursion, 0
	.set _ZL41rocblas_syrkx_herkx_small_restrict_kernelIi19rocblas_complex_numIdELi16ELb0ELb1ELc67ELc85EKPKS1_KPS1_EviT_T0_PT6_S7_lSA_S7_lS8_PT7_S7_li.has_indirect_call, 0
	.section	.AMDGPU.csdata,"",@progbits
; Kernel info:
; codeLenInByte = 1676
; TotalNumSgprs: 26
; NumVgprs: 36
; ScratchSize: 0
; MemoryBound: 0
; FloatMode: 240
; IeeeMode: 1
; LDSByteSize: 8192 bytes/workgroup (compile time only)
; SGPRBlocks: 8
; VGPRBlocks: 8
; NumSGPRsForWavesPerEU: 65
; NumVGPRsForWavesPerEU: 36
; Occupancy: 7
; WaveLimiterHint : 1
; COMPUTE_PGM_RSRC2:SCRATCH_EN: 0
; COMPUTE_PGM_RSRC2:USER_SGPR: 6
; COMPUTE_PGM_RSRC2:TRAP_HANDLER: 0
; COMPUTE_PGM_RSRC2:TGID_X_EN: 1
; COMPUTE_PGM_RSRC2:TGID_Y_EN: 1
; COMPUTE_PGM_RSRC2:TGID_Z_EN: 1
; COMPUTE_PGM_RSRC2:TIDIG_COMP_CNT: 1
	.section	.text._ZL41rocblas_syrkx_herkx_small_restrict_kernelIi19rocblas_complex_numIdELi16ELb0ELb1ELc78ELc85EKPKS1_KPS1_EviT_T0_PT6_S7_lSA_S7_lS8_PT7_S7_li,"axG",@progbits,_ZL41rocblas_syrkx_herkx_small_restrict_kernelIi19rocblas_complex_numIdELi16ELb0ELb1ELc78ELc85EKPKS1_KPS1_EviT_T0_PT6_S7_lSA_S7_lS8_PT7_S7_li,comdat
	.globl	_ZL41rocblas_syrkx_herkx_small_restrict_kernelIi19rocblas_complex_numIdELi16ELb0ELb1ELc78ELc85EKPKS1_KPS1_EviT_T0_PT6_S7_lSA_S7_lS8_PT7_S7_li ; -- Begin function _ZL41rocblas_syrkx_herkx_small_restrict_kernelIi19rocblas_complex_numIdELi16ELb0ELb1ELc78ELc85EKPKS1_KPS1_EviT_T0_PT6_S7_lSA_S7_lS8_PT7_S7_li
	.p2align	8
	.type	_ZL41rocblas_syrkx_herkx_small_restrict_kernelIi19rocblas_complex_numIdELi16ELb0ELb1ELc78ELc85EKPKS1_KPS1_EviT_T0_PT6_S7_lSA_S7_lS8_PT7_S7_li,@function
_ZL41rocblas_syrkx_herkx_small_restrict_kernelIi19rocblas_complex_numIdELi16ELb0ELb1ELc78ELc85EKPKS1_KPS1_EviT_T0_PT6_S7_lSA_S7_lS8_PT7_S7_li: ; @_ZL41rocblas_syrkx_herkx_small_restrict_kernelIi19rocblas_complex_numIdELi16ELb0ELb1ELc78ELc85EKPKS1_KPS1_EviT_T0_PT6_S7_lSA_S7_lS8_PT7_S7_li
; %bb.0:
	s_load_dword s20, s[4:5], 0x4
	s_load_dwordx4 s[0:3], s[4:5], 0x8
	s_load_dwordx2 s[10:11], s[4:5], 0x58
	s_load_dwordx2 s[16:17], s[4:5], 0x18
	s_load_dwordx4 s[12:15], s[4:5], 0x48
	s_mov_b32 s9, 0
	s_lshl_b64 s[18:19], s[8:9], 3
	s_waitcnt lgkmcnt(0)
	s_add_u32 s10, s10, s18
	s_addc_u32 s11, s11, s19
	s_load_dwordx2 s[10:11], s[10:11], 0x0
	v_lshl_add_u32 v2, s6, 4, v0
	v_lshl_add_u32 v4, s7, 4, v1
	s_cmp_lt_i32 s20, 1
	v_ashrrev_i32_e32 v3, 31, v2
	s_cbranch_scc1 .LBB896_6
; %bb.1:
	s_load_dword s22, s[4:5], 0x20
	s_load_dword s6, s[4:5], 0x38
	s_load_dwordx2 s[24:25], s[4:5], 0x30
	v_lshlrev_b32_e32 v8, 8, v1
	v_lshlrev_b32_e32 v11, 4, v0
	s_waitcnt lgkmcnt(0)
	s_ashr_i32 s23, s22, 31
	s_ashr_i32 s7, s6, 31
	s_add_u32 s24, s24, s18
	s_addc_u32 s25, s25, s19
	s_add_u32 s16, s16, s18
	s_addc_u32 s17, s17, s19
	v_mad_i64_i32 v[6:7], s[18:19], s6, v0, 0
	v_ashrrev_i32_e32 v5, 31, v4
	s_load_dwordx2 s[24:25], s[24:25], 0x0
	v_add_u32_e32 v12, v11, v8
	v_add_u32_e32 v13, 0x1000, v8
	v_lshlrev_b64 v[6:7], 4, v[6:7]
	v_lshlrev_b64 v[8:9], 4, v[4:5]
	s_load_dwordx2 s[16:17], s[16:17], 0x0
	v_add_co_u32_e32 v0, vcc, v6, v8
	v_mad_i64_i32 v[5:6], s[18:19], s22, v1, 0
	v_addc_co_u32_e32 v7, vcc, v7, v9, vcc
	s_waitcnt lgkmcnt(0)
	v_mov_b32_e32 v8, s25
	v_add_co_u32_e32 v0, vcc, s24, v0
	v_addc_co_u32_e32 v1, vcc, v8, v7, vcc
	v_lshlrev_b64 v[5:6], 4, v[5:6]
	v_lshlrev_b64 v[7:8], 4, v[2:3]
	s_lshl_b64 s[6:7], s[6:7], 8
	v_add_co_u32_e32 v5, vcc, v5, v7
	v_addc_co_u32_e32 v6, vcc, v6, v8, vcc
	v_mov_b32_e32 v7, s17
	v_add_co_u32_e32 v5, vcc, s16, v5
	v_addc_co_u32_e32 v6, vcc, v7, v6, vcc
	s_lshl_b64 s[16:17], s[22:23], 8
	v_mov_b32_e32 v7, 0
	v_mov_b32_e32 v9, 0
	;; [unrolled: 1-line block ×6, first 2 shown]
.LBB896_2:                              ; =>This Inner Loop Header: Depth=1
	flat_load_dwordx4 v[16:19], v[5:6]
	v_add_u32_e32 v20, v13, v11
	s_add_i32 s9, s9, 16
	s_cmp_lt_i32 s9, s20
	s_waitcnt vmcnt(0) lgkmcnt(0)
	ds_write2_b64 v12, v[16:17], v[18:19] offset1:1
	flat_load_dwordx4 v[16:19], v[0:1]
	v_add_co_u32_e32 v0, vcc, s6, v0
	v_addc_co_u32_e32 v1, vcc, v1, v14, vcc
	v_add_co_u32_e32 v5, vcc, s16, v5
	v_addc_co_u32_e32 v6, vcc, v6, v15, vcc
	s_waitcnt vmcnt(0) lgkmcnt(0)
	v_xor_b32_e32 v19, 0x80000000, v19
	ds_write_b128 v20, v[16:19]
	s_waitcnt lgkmcnt(0)
	s_barrier
	ds_read_b128 v[16:19], v13
	ds_read_b128 v[20:23], v13 offset:16
	ds_read_b128 v[24:27], v13 offset:32
	;; [unrolled: 1-line block ×3, first 2 shown]
	ds_read_b128 v[32:35], v11
	s_waitcnt lgkmcnt(0)
	v_mul_f64 v[36:37], v[18:19], v[34:35]
	v_fma_f64 v[36:37], v[16:17], v[32:33], -v[36:37]
	v_mul_f64 v[16:17], v[16:17], v[34:35]
	v_fma_f64 v[16:17], v[18:19], v[32:33], v[16:17]
	v_add_f64 v[18:19], v[9:10], v[36:37]
	v_add_f64 v[16:17], v[7:8], v[16:17]
	ds_read_b128 v[7:10], v11 offset:256
	s_waitcnt lgkmcnt(0)
	v_mul_f64 v[32:33], v[22:23], v[9:10]
	v_mul_f64 v[9:10], v[20:21], v[9:10]
	v_fma_f64 v[32:33], v[20:21], v[7:8], -v[32:33]
	v_fma_f64 v[7:8], v[22:23], v[7:8], v[9:10]
	v_add_f64 v[18:19], v[18:19], v[32:33]
	v_add_f64 v[16:17], v[16:17], v[7:8]
	ds_read_b128 v[7:10], v11 offset:512
	s_waitcnt lgkmcnt(0)
	v_mul_f64 v[20:21], v[26:27], v[9:10]
	v_mul_f64 v[9:10], v[24:25], v[9:10]
	v_fma_f64 v[20:21], v[24:25], v[7:8], -v[20:21]
	v_fma_f64 v[7:8], v[26:27], v[7:8], v[9:10]
	v_add_f64 v[18:19], v[18:19], v[20:21]
	v_add_f64 v[16:17], v[16:17], v[7:8]
	ds_read_b128 v[7:10], v11 offset:768
	s_waitcnt lgkmcnt(0)
	v_mul_f64 v[20:21], v[30:31], v[9:10]
	v_mul_f64 v[9:10], v[28:29], v[9:10]
	v_fma_f64 v[20:21], v[28:29], v[7:8], -v[20:21]
	v_fma_f64 v[7:8], v[30:31], v[7:8], v[9:10]
	v_add_f64 v[20:21], v[18:19], v[20:21]
	v_add_f64 v[22:23], v[16:17], v[7:8]
	ds_read_b128 v[7:10], v13 offset:64
	ds_read_b128 v[16:19], v11 offset:1024
	s_waitcnt lgkmcnt(0)
	v_mul_f64 v[24:25], v[9:10], v[18:19]
	v_fma_f64 v[24:25], v[7:8], v[16:17], -v[24:25]
	v_mul_f64 v[7:8], v[7:8], v[18:19]
	v_add_f64 v[20:21], v[20:21], v[24:25]
	v_fma_f64 v[7:8], v[9:10], v[16:17], v[7:8]
	v_add_f64 v[22:23], v[22:23], v[7:8]
	ds_read_b128 v[7:10], v13 offset:80
	ds_read_b128 v[16:19], v11 offset:1280
	s_waitcnt lgkmcnt(0)
	v_mul_f64 v[24:25], v[9:10], v[18:19]
	v_fma_f64 v[24:25], v[7:8], v[16:17], -v[24:25]
	v_mul_f64 v[7:8], v[7:8], v[18:19]
	v_add_f64 v[20:21], v[20:21], v[24:25]
	v_fma_f64 v[7:8], v[9:10], v[16:17], v[7:8]
	v_add_f64 v[22:23], v[22:23], v[7:8]
	ds_read_b128 v[7:10], v13 offset:96
	ds_read_b128 v[16:19], v11 offset:1536
	s_waitcnt lgkmcnt(0)
	v_mul_f64 v[24:25], v[9:10], v[18:19]
	v_fma_f64 v[24:25], v[7:8], v[16:17], -v[24:25]
	v_mul_f64 v[7:8], v[7:8], v[18:19]
	v_add_f64 v[20:21], v[20:21], v[24:25]
	v_fma_f64 v[7:8], v[9:10], v[16:17], v[7:8]
	v_add_f64 v[22:23], v[22:23], v[7:8]
	ds_read_b128 v[7:10], v13 offset:112
	ds_read_b128 v[16:19], v11 offset:1792
	s_waitcnt lgkmcnt(0)
	v_mul_f64 v[24:25], v[9:10], v[18:19]
	v_fma_f64 v[24:25], v[7:8], v[16:17], -v[24:25]
	v_mul_f64 v[7:8], v[7:8], v[18:19]
	v_add_f64 v[20:21], v[20:21], v[24:25]
	v_fma_f64 v[7:8], v[9:10], v[16:17], v[7:8]
	v_add_f64 v[22:23], v[22:23], v[7:8]
	ds_read_b128 v[7:10], v13 offset:128
	ds_read_b128 v[16:19], v11 offset:2048
	s_waitcnt lgkmcnt(0)
	v_mul_f64 v[24:25], v[9:10], v[18:19]
	v_fma_f64 v[24:25], v[7:8], v[16:17], -v[24:25]
	v_mul_f64 v[7:8], v[7:8], v[18:19]
	v_add_f64 v[20:21], v[20:21], v[24:25]
	v_fma_f64 v[7:8], v[9:10], v[16:17], v[7:8]
	v_add_f64 v[22:23], v[22:23], v[7:8]
	ds_read_b128 v[7:10], v13 offset:144
	ds_read_b128 v[16:19], v11 offset:2304
	s_waitcnt lgkmcnt(0)
	v_mul_f64 v[24:25], v[9:10], v[18:19]
	v_fma_f64 v[24:25], v[7:8], v[16:17], -v[24:25]
	v_mul_f64 v[7:8], v[7:8], v[18:19]
	v_add_f64 v[20:21], v[20:21], v[24:25]
	v_fma_f64 v[7:8], v[9:10], v[16:17], v[7:8]
	v_add_f64 v[22:23], v[22:23], v[7:8]
	ds_read_b128 v[7:10], v13 offset:160
	ds_read_b128 v[16:19], v11 offset:2560
	s_waitcnt lgkmcnt(0)
	v_mul_f64 v[24:25], v[9:10], v[18:19]
	v_fma_f64 v[24:25], v[7:8], v[16:17], -v[24:25]
	v_mul_f64 v[7:8], v[7:8], v[18:19]
	v_add_f64 v[20:21], v[20:21], v[24:25]
	v_fma_f64 v[7:8], v[9:10], v[16:17], v[7:8]
	v_add_f64 v[22:23], v[22:23], v[7:8]
	ds_read_b128 v[7:10], v13 offset:176
	ds_read_b128 v[16:19], v11 offset:2816
	s_waitcnt lgkmcnt(0)
	v_mul_f64 v[24:25], v[9:10], v[18:19]
	v_fma_f64 v[24:25], v[7:8], v[16:17], -v[24:25]
	v_mul_f64 v[7:8], v[7:8], v[18:19]
	v_add_f64 v[20:21], v[20:21], v[24:25]
	v_fma_f64 v[7:8], v[9:10], v[16:17], v[7:8]
	v_add_f64 v[22:23], v[22:23], v[7:8]
	ds_read_b128 v[7:10], v13 offset:192
	ds_read_b128 v[16:19], v11 offset:3072
	s_waitcnt lgkmcnt(0)
	v_mul_f64 v[24:25], v[9:10], v[18:19]
	v_fma_f64 v[24:25], v[7:8], v[16:17], -v[24:25]
	v_mul_f64 v[7:8], v[7:8], v[18:19]
	v_add_f64 v[20:21], v[20:21], v[24:25]
	v_fma_f64 v[7:8], v[9:10], v[16:17], v[7:8]
	v_add_f64 v[22:23], v[22:23], v[7:8]
	ds_read_b128 v[7:10], v13 offset:208
	ds_read_b128 v[16:19], v11 offset:3328
	s_waitcnt lgkmcnt(0)
	v_mul_f64 v[24:25], v[9:10], v[18:19]
	v_fma_f64 v[24:25], v[7:8], v[16:17], -v[24:25]
	v_mul_f64 v[7:8], v[7:8], v[18:19]
	v_add_f64 v[20:21], v[20:21], v[24:25]
	v_fma_f64 v[7:8], v[9:10], v[16:17], v[7:8]
	v_add_f64 v[22:23], v[22:23], v[7:8]
	ds_read_b128 v[7:10], v13 offset:224
	ds_read_b128 v[16:19], v11 offset:3584
	s_waitcnt lgkmcnt(0)
	v_mul_f64 v[24:25], v[9:10], v[18:19]
	v_fma_f64 v[24:25], v[7:8], v[16:17], -v[24:25]
	v_mul_f64 v[7:8], v[7:8], v[18:19]
	v_add_f64 v[20:21], v[20:21], v[24:25]
	v_fma_f64 v[7:8], v[9:10], v[16:17], v[7:8]
	v_add_f64 v[22:23], v[22:23], v[7:8]
	ds_read_b128 v[7:10], v13 offset:240
	ds_read_b128 v[16:19], v11 offset:3840
	s_waitcnt lgkmcnt(0)
	s_barrier
	v_mul_f64 v[24:25], v[9:10], v[18:19]
	v_fma_f64 v[24:25], v[7:8], v[16:17], -v[24:25]
	v_mul_f64 v[7:8], v[7:8], v[18:19]
	v_fma_f64 v[7:8], v[9:10], v[16:17], v[7:8]
	v_add_f64 v[9:10], v[20:21], v[24:25]
	v_add_f64 v[7:8], v[22:23], v[7:8]
	s_cbranch_scc1 .LBB896_2
; %bb.3:
	v_cmp_le_i32_e32 vcc, v2, v4
	s_and_saveexec_b64 s[6:7], vcc
	s_cbranch_execz .LBB896_5
.LBB896_4:
	s_load_dword s4, s[4:5], 0x60
	s_waitcnt lgkmcnt(0)
	v_mov_b32_e32 v11, s11
	v_lshlrev_b64 v[5:6], 4, v[2:3]
	v_mad_i64_i32 v[0:1], s[4:5], s4, v4, 0
	v_lshlrev_b64 v[0:1], 4, v[0:1]
	v_add_co_u32_e32 v0, vcc, s10, v0
	v_addc_co_u32_e32 v1, vcc, v11, v1, vcc
	v_add_co_u32_e32 v5, vcc, v0, v5
	v_addc_co_u32_e32 v6, vcc, v1, v6, vcc
	flat_load_dwordx4 v[11:14], v[5:6]
	v_mul_f64 v[0:1], s[0:1], v[7:8]
	v_mul_f64 v[7:8], s[2:3], v[7:8]
	v_cmp_ne_u32_e32 vcc, v2, v4
	v_fma_f64 v[0:1], s[2:3], v[9:10], v[0:1]
	v_fma_f64 v[7:8], s[0:1], v[9:10], -v[7:8]
	s_waitcnt vmcnt(0) lgkmcnt(0)
	v_mul_f64 v[15:16], s[12:13], v[13:14]
	v_mul_f64 v[13:14], s[14:15], v[13:14]
	v_fma_f64 v[15:16], s[14:15], v[11:12], v[15:16]
	v_fma_f64 v[9:10], s[12:13], v[11:12], -v[13:14]
	v_add_f64 v[11:12], v[0:1], v[15:16]
	v_add_f64 v[0:1], v[7:8], v[9:10]
	v_cndmask_b32_e32 v3, 0, v12, vcc
	v_cndmask_b32_e32 v2, 0, v11, vcc
	flat_store_dwordx4 v[5:6], v[0:3]
.LBB896_5:
	s_endpgm
.LBB896_6:
	v_mov_b32_e32 v7, 0
	v_mov_b32_e32 v9, 0
	v_mov_b32_e32 v8, 0
	v_mov_b32_e32 v10, 0
	v_cmp_le_i32_e32 vcc, v2, v4
	s_and_saveexec_b64 s[6:7], vcc
	s_cbranch_execnz .LBB896_4
	s_branch .LBB896_5
	.section	.rodata,"a",@progbits
	.p2align	6, 0x0
	.amdhsa_kernel _ZL41rocblas_syrkx_herkx_small_restrict_kernelIi19rocblas_complex_numIdELi16ELb0ELb1ELc78ELc85EKPKS1_KPS1_EviT_T0_PT6_S7_lSA_S7_lS8_PT7_S7_li
		.amdhsa_group_segment_fixed_size 8192
		.amdhsa_private_segment_fixed_size 0
		.amdhsa_kernarg_size 116
		.amdhsa_user_sgpr_count 6
		.amdhsa_user_sgpr_private_segment_buffer 1
		.amdhsa_user_sgpr_dispatch_ptr 0
		.amdhsa_user_sgpr_queue_ptr 0
		.amdhsa_user_sgpr_kernarg_segment_ptr 1
		.amdhsa_user_sgpr_dispatch_id 0
		.amdhsa_user_sgpr_flat_scratch_init 0
		.amdhsa_user_sgpr_private_segment_size 0
		.amdhsa_uses_dynamic_stack 0
		.amdhsa_system_sgpr_private_segment_wavefront_offset 0
		.amdhsa_system_sgpr_workgroup_id_x 1
		.amdhsa_system_sgpr_workgroup_id_y 1
		.amdhsa_system_sgpr_workgroup_id_z 1
		.amdhsa_system_sgpr_workgroup_info 0
		.amdhsa_system_vgpr_workitem_id 1
		.amdhsa_next_free_vgpr 38
		.amdhsa_next_free_sgpr 61
		.amdhsa_reserve_vcc 1
		.amdhsa_reserve_flat_scratch 0
		.amdhsa_float_round_mode_32 0
		.amdhsa_float_round_mode_16_64 0
		.amdhsa_float_denorm_mode_32 3
		.amdhsa_float_denorm_mode_16_64 3
		.amdhsa_dx10_clamp 1
		.amdhsa_ieee_mode 1
		.amdhsa_fp16_overflow 0
		.amdhsa_exception_fp_ieee_invalid_op 0
		.amdhsa_exception_fp_denorm_src 0
		.amdhsa_exception_fp_ieee_div_zero 0
		.amdhsa_exception_fp_ieee_overflow 0
		.amdhsa_exception_fp_ieee_underflow 0
		.amdhsa_exception_fp_ieee_inexact 0
		.amdhsa_exception_int_div_zero 0
	.end_amdhsa_kernel
	.section	.text._ZL41rocblas_syrkx_herkx_small_restrict_kernelIi19rocblas_complex_numIdELi16ELb0ELb1ELc78ELc85EKPKS1_KPS1_EviT_T0_PT6_S7_lSA_S7_lS8_PT7_S7_li,"axG",@progbits,_ZL41rocblas_syrkx_herkx_small_restrict_kernelIi19rocblas_complex_numIdELi16ELb0ELb1ELc78ELc85EKPKS1_KPS1_EviT_T0_PT6_S7_lSA_S7_lS8_PT7_S7_li,comdat
.Lfunc_end896:
	.size	_ZL41rocblas_syrkx_herkx_small_restrict_kernelIi19rocblas_complex_numIdELi16ELb0ELb1ELc78ELc85EKPKS1_KPS1_EviT_T0_PT6_S7_lSA_S7_lS8_PT7_S7_li, .Lfunc_end896-_ZL41rocblas_syrkx_herkx_small_restrict_kernelIi19rocblas_complex_numIdELi16ELb0ELb1ELc78ELc85EKPKS1_KPS1_EviT_T0_PT6_S7_lSA_S7_lS8_PT7_S7_li
                                        ; -- End function
	.set _ZL41rocblas_syrkx_herkx_small_restrict_kernelIi19rocblas_complex_numIdELi16ELb0ELb1ELc78ELc85EKPKS1_KPS1_EviT_T0_PT6_S7_lSA_S7_lS8_PT7_S7_li.num_vgpr, 38
	.set _ZL41rocblas_syrkx_herkx_small_restrict_kernelIi19rocblas_complex_numIdELi16ELb0ELb1ELc78ELc85EKPKS1_KPS1_EviT_T0_PT6_S7_lSA_S7_lS8_PT7_S7_li.num_agpr, 0
	.set _ZL41rocblas_syrkx_herkx_small_restrict_kernelIi19rocblas_complex_numIdELi16ELb0ELb1ELc78ELc85EKPKS1_KPS1_EviT_T0_PT6_S7_lSA_S7_lS8_PT7_S7_li.numbered_sgpr, 26
	.set _ZL41rocblas_syrkx_herkx_small_restrict_kernelIi19rocblas_complex_numIdELi16ELb0ELb1ELc78ELc85EKPKS1_KPS1_EviT_T0_PT6_S7_lSA_S7_lS8_PT7_S7_li.num_named_barrier, 0
	.set _ZL41rocblas_syrkx_herkx_small_restrict_kernelIi19rocblas_complex_numIdELi16ELb0ELb1ELc78ELc85EKPKS1_KPS1_EviT_T0_PT6_S7_lSA_S7_lS8_PT7_S7_li.private_seg_size, 0
	.set _ZL41rocblas_syrkx_herkx_small_restrict_kernelIi19rocblas_complex_numIdELi16ELb0ELb1ELc78ELc85EKPKS1_KPS1_EviT_T0_PT6_S7_lSA_S7_lS8_PT7_S7_li.uses_vcc, 1
	.set _ZL41rocblas_syrkx_herkx_small_restrict_kernelIi19rocblas_complex_numIdELi16ELb0ELb1ELc78ELc85EKPKS1_KPS1_EviT_T0_PT6_S7_lSA_S7_lS8_PT7_S7_li.uses_flat_scratch, 0
	.set _ZL41rocblas_syrkx_herkx_small_restrict_kernelIi19rocblas_complex_numIdELi16ELb0ELb1ELc78ELc85EKPKS1_KPS1_EviT_T0_PT6_S7_lSA_S7_lS8_PT7_S7_li.has_dyn_sized_stack, 0
	.set _ZL41rocblas_syrkx_herkx_small_restrict_kernelIi19rocblas_complex_numIdELi16ELb0ELb1ELc78ELc85EKPKS1_KPS1_EviT_T0_PT6_S7_lSA_S7_lS8_PT7_S7_li.has_recursion, 0
	.set _ZL41rocblas_syrkx_herkx_small_restrict_kernelIi19rocblas_complex_numIdELi16ELb0ELb1ELc78ELc85EKPKS1_KPS1_EviT_T0_PT6_S7_lSA_S7_lS8_PT7_S7_li.has_indirect_call, 0
	.section	.AMDGPU.csdata,"",@progbits
; Kernel info:
; codeLenInByte = 1708
; TotalNumSgprs: 30
; NumVgprs: 38
; ScratchSize: 0
; MemoryBound: 0
; FloatMode: 240
; IeeeMode: 1
; LDSByteSize: 8192 bytes/workgroup (compile time only)
; SGPRBlocks: 8
; VGPRBlocks: 9
; NumSGPRsForWavesPerEU: 65
; NumVGPRsForWavesPerEU: 38
; Occupancy: 6
; WaveLimiterHint : 1
; COMPUTE_PGM_RSRC2:SCRATCH_EN: 0
; COMPUTE_PGM_RSRC2:USER_SGPR: 6
; COMPUTE_PGM_RSRC2:TRAP_HANDLER: 0
; COMPUTE_PGM_RSRC2:TGID_X_EN: 1
; COMPUTE_PGM_RSRC2:TGID_Y_EN: 1
; COMPUTE_PGM_RSRC2:TGID_Z_EN: 1
; COMPUTE_PGM_RSRC2:TIDIG_COMP_CNT: 1
	.section	.text._ZL32rocblas_syrkx_herkx_small_kernelIi19rocblas_complex_numIdELi16ELb1ELb1ELc84ELc76EKPKS1_KPS1_EviT_T0_PT6_S7_lSA_S7_lS8_PT7_S7_li,"axG",@progbits,_ZL32rocblas_syrkx_herkx_small_kernelIi19rocblas_complex_numIdELi16ELb1ELb1ELc84ELc76EKPKS1_KPS1_EviT_T0_PT6_S7_lSA_S7_lS8_PT7_S7_li,comdat
	.globl	_ZL32rocblas_syrkx_herkx_small_kernelIi19rocblas_complex_numIdELi16ELb1ELb1ELc84ELc76EKPKS1_KPS1_EviT_T0_PT6_S7_lSA_S7_lS8_PT7_S7_li ; -- Begin function _ZL32rocblas_syrkx_herkx_small_kernelIi19rocblas_complex_numIdELi16ELb1ELb1ELc84ELc76EKPKS1_KPS1_EviT_T0_PT6_S7_lSA_S7_lS8_PT7_S7_li
	.p2align	8
	.type	_ZL32rocblas_syrkx_herkx_small_kernelIi19rocblas_complex_numIdELi16ELb1ELb1ELc84ELc76EKPKS1_KPS1_EviT_T0_PT6_S7_lSA_S7_lS8_PT7_S7_li,@function
_ZL32rocblas_syrkx_herkx_small_kernelIi19rocblas_complex_numIdELi16ELb1ELb1ELc84ELc76EKPKS1_KPS1_EviT_T0_PT6_S7_lSA_S7_lS8_PT7_S7_li: ; @_ZL32rocblas_syrkx_herkx_small_kernelIi19rocblas_complex_numIdELi16ELb1ELb1ELc84ELc76EKPKS1_KPS1_EviT_T0_PT6_S7_lSA_S7_lS8_PT7_S7_li
; %bb.0:
	s_load_dwordx2 s[0:1], s[4:5], 0x18
	s_load_dwordx2 s[10:11], s[4:5], 0x58
	;; [unrolled: 1-line block ×3, first 2 shown]
	s_load_dwordx4 s[12:15], s[4:5], 0x8
	s_mov_b32 s9, 0
	s_lshl_b64 s[2:3], s[8:9], 3
	s_waitcnt lgkmcnt(0)
	s_add_u32 s10, s10, s2
	s_addc_u32 s11, s11, s3
	s_load_dwordx2 s[10:11], s[10:11], 0x0
	v_lshl_add_u32 v6, s6, 4, v0
	v_lshl_add_u32 v15, s7, 4, v1
	s_cmp_lt_i32 s17, 1
	v_cmp_gt_i32_e32 vcc, s16, v6
	s_cbranch_scc1 .LBB897_11
; %bb.1:
	s_load_dwordx2 s[6:7], s[4:5], 0x30
	s_load_dword s8, s[4:5], 0x20
	s_load_dword s20, s[4:5], 0x38
	v_lshlrev_b32_e32 v4, 8, v1
	v_lshlrev_b32_e32 v16, 4, v0
	s_waitcnt lgkmcnt(0)
	s_add_u32 s6, s6, s2
	s_addc_u32 s7, s7, s3
	s_add_u32 s0, s0, s2
	s_addc_u32 s1, s1, s3
	s_load_dwordx2 s[18:19], s[0:1], 0x0
	v_mad_i64_i32 v[2:3], s[0:1], s20, v15, 0
	s_load_dwordx2 s[6:7], s[6:7], 0x0
	v_add_u32_e32 v17, v16, v4
	v_lshlrev_b64 v[2:3], 4, v[2:3]
	v_add_u32_e32 v18, 0x1000, v4
	v_add_co_u32_e64 v4, s[2:3], v2, v16
	v_addc_co_u32_e64 v5, s[2:3], 0, v3, s[2:3]
	v_mad_i64_i32 v[2:3], s[2:3], s8, v6, 0
	s_waitcnt lgkmcnt(0)
	v_mov_b32_e32 v8, s7
	v_add_co_u32_e64 v7, s[2:3], s6, v4
	v_lshlrev_b64 v[2:3], 4, v[2:3]
	v_addc_co_u32_e64 v8, s[2:3], v8, v5, s[2:3]
	v_lshlrev_b32_e32 v4, 4, v1
	v_add_co_u32_e64 v2, s[2:3], v2, v4
	v_addc_co_u32_e64 v3, s[2:3], 0, v3, s[2:3]
	v_mov_b32_e32 v4, s19
	v_add_co_u32_e64 v9, s[2:3], s18, v2
	v_cmp_gt_i32_e64 s[0:1], s16, v15
	v_addc_co_u32_e64 v10, s[2:3], v4, v3, s[2:3]
	v_mov_b32_e32 v13, 0
	v_mov_b32_e32 v11, 0
	v_add_u32_e32 v19, v18, v16
	v_mov_b32_e32 v14, 0
	s_xor_b64 s[2:3], vcc, -1
	s_xor_b64 s[0:1], s[0:1], -1
	v_mov_b32_e32 v12, 0
	v_mov_b32_e32 v2, 0
	s_branch .LBB897_3
.LBB897_2:                              ;   in Loop: Header=BB897_3 Depth=1
	s_or_b64 exec, exec, s[6:7]
	s_waitcnt lgkmcnt(0)
	s_barrier
	ds_read_b128 v[20:23], v16
	ds_read_b128 v[24:27], v18
	ds_read_b128 v[28:31], v18 offset:16
	ds_read_b128 v[32:35], v16 offset:256
	;; [unrolled: 1-line block ×4, first 2 shown]
	s_waitcnt lgkmcnt(4)
	v_mul_f64 v[3:4], v[26:27], v[22:23]
	v_mul_f64 v[22:23], v[24:25], v[22:23]
	s_waitcnt lgkmcnt(2)
	v_mul_f64 v[44:45], v[30:31], v[34:35]
	v_mul_f64 v[34:35], v[28:29], v[34:35]
	s_waitcnt lgkmcnt(0)
	v_mul_f64 v[48:49], v[38:39], v[42:43]
	v_add_co_u32_e32 v7, vcc, 0x100, v7
	v_addc_co_u32_e32 v8, vcc, 0, v8, vcc
	v_fma_f64 v[3:4], v[24:25], v[20:21], -v[3:4]
	v_fma_f64 v[46:47], v[26:27], v[20:21], v[22:23]
	v_fma_f64 v[28:29], v[28:29], v[32:33], -v[44:45]
	v_fma_f64 v[30:31], v[30:31], v[32:33], v[34:35]
	v_mul_f64 v[32:33], v[36:37], v[42:43]
	ds_read_b128 v[20:23], v18 offset:48
	ds_read_b128 v[24:27], v16 offset:768
	v_fma_f64 v[36:37], v[36:37], v[40:41], -v[48:49]
	s_add_i32 s9, s9, 16
	v_add_f64 v[3:4], v[11:12], v[3:4]
	v_add_f64 v[34:35], v[13:14], v[46:47]
	s_waitcnt lgkmcnt(0)
	v_mul_f64 v[42:43], v[22:23], v[26:27]
	v_mul_f64 v[44:45], v[20:21], v[26:27]
	v_fma_f64 v[38:39], v[38:39], v[40:41], v[32:33]
	ds_read_b128 v[11:14], v18 offset:64
	v_add_co_u32_e32 v9, vcc, 0x100, v9
	v_add_f64 v[3:4], v[3:4], v[28:29]
	v_add_f64 v[34:35], v[34:35], v[30:31]
	ds_read_b128 v[26:29], v16 offset:1024
	v_fma_f64 v[40:41], v[20:21], v[24:25], -v[42:43]
	v_fma_f64 v[24:25], v[22:23], v[24:25], v[44:45]
	ds_read_b128 v[20:23], v18 offset:80
	ds_read_b128 v[30:33], v16 offset:1280
	s_cmp_ge_i32 s9, s17
	s_waitcnt lgkmcnt(2)
	v_mul_f64 v[42:43], v[13:14], v[28:29]
	v_mul_f64 v[28:29], v[11:12], v[28:29]
	v_add_f64 v[3:4], v[3:4], v[36:37]
	v_add_f64 v[38:39], v[34:35], v[38:39]
	s_waitcnt lgkmcnt(0)
	v_mul_f64 v[44:45], v[22:23], v[32:33]
	v_mul_f64 v[32:33], v[20:21], v[32:33]
	ds_read_b128 v[34:37], v18 offset:96
	v_addc_co_u32_e32 v10, vcc, 0, v10, vcc
	v_fma_f64 v[42:43], v[11:12], v[26:27], -v[42:43]
	v_fma_f64 v[28:29], v[13:14], v[26:27], v[28:29]
	v_add_f64 v[3:4], v[3:4], v[40:41]
	v_add_f64 v[46:47], v[38:39], v[24:25]
	ds_read_b128 v[11:14], v16 offset:1536
	v_fma_f64 v[44:45], v[20:21], v[30:31], -v[44:45]
	v_fma_f64 v[30:31], v[22:23], v[30:31], v[32:33]
	ds_read_b128 v[24:27], v18 offset:112
	ds_read_b128 v[38:41], v16 offset:1792
	;; [unrolled: 1-line block ×3, first 2 shown]
	s_waitcnt lgkmcnt(3)
	v_mul_f64 v[48:49], v[36:37], v[13:14]
	v_mul_f64 v[13:14], v[34:35], v[13:14]
	v_add_f64 v[3:4], v[3:4], v[42:43]
	v_add_f64 v[28:29], v[46:47], v[28:29]
	s_waitcnt lgkmcnt(1)
	v_mul_f64 v[32:33], v[26:27], v[40:41]
	v_mul_f64 v[40:41], v[24:25], v[40:41]
	v_fma_f64 v[34:35], v[34:35], v[11:12], -v[48:49]
	v_fma_f64 v[36:37], v[36:37], v[11:12], v[13:14]
	v_add_f64 v[3:4], v[3:4], v[44:45]
	v_add_f64 v[42:43], v[28:29], v[30:31]
	ds_read_b128 v[11:14], v16 offset:2048
	v_fma_f64 v[44:45], v[24:25], v[38:39], -v[32:33]
	v_fma_f64 v[38:39], v[26:27], v[38:39], v[40:41]
	ds_read_b128 v[24:27], v18 offset:144
	ds_read_b128 v[28:31], v16 offset:2304
	s_waitcnt lgkmcnt(2)
	v_mul_f64 v[40:41], v[22:23], v[13:14]
	v_mul_f64 v[13:14], v[20:21], v[13:14]
	v_add_f64 v[3:4], v[3:4], v[34:35]
	v_add_f64 v[36:37], v[42:43], v[36:37]
	s_waitcnt lgkmcnt(0)
	v_mul_f64 v[42:43], v[26:27], v[30:31]
	v_mul_f64 v[30:31], v[24:25], v[30:31]
	ds_read_b128 v[32:35], v18 offset:160
	v_fma_f64 v[40:41], v[20:21], v[11:12], -v[40:41]
	v_fma_f64 v[46:47], v[22:23], v[11:12], v[13:14]
	v_add_f64 v[3:4], v[3:4], v[44:45]
	v_add_f64 v[44:45], v[36:37], v[38:39]
	ds_read_b128 v[11:14], v16 offset:2560
	v_fma_f64 v[42:43], v[24:25], v[28:29], -v[42:43]
	v_fma_f64 v[28:29], v[26:27], v[28:29], v[30:31]
	ds_read_b128 v[20:23], v18 offset:176
	ds_read_b128 v[36:39], v16 offset:2816
	ds_read_b128 v[24:27], v18 offset:192
	s_waitcnt lgkmcnt(3)
	v_mul_f64 v[48:49], v[34:35], v[13:14]
	v_mul_f64 v[13:14], v[32:33], v[13:14]
	v_add_f64 v[3:4], v[3:4], v[40:41]
	v_add_f64 v[30:31], v[44:45], v[46:47]
	s_waitcnt lgkmcnt(1)
	v_mul_f64 v[40:41], v[22:23], v[38:39]
	v_mul_f64 v[38:39], v[20:21], v[38:39]
	v_fma_f64 v[32:33], v[32:33], v[11:12], -v[48:49]
	v_fma_f64 v[34:35], v[34:35], v[11:12], v[13:14]
	v_add_f64 v[3:4], v[3:4], v[42:43]
	v_add_f64 v[42:43], v[30:31], v[28:29]
	ds_read_b128 v[11:14], v16 offset:3072
	v_fma_f64 v[40:41], v[20:21], v[36:37], -v[40:41]
	v_fma_f64 v[36:37], v[22:23], v[36:37], v[38:39]
	ds_read_b128 v[20:23], v18 offset:208
	ds_read_b128 v[28:31], v16 offset:3328
	s_waitcnt lgkmcnt(2)
	v_mul_f64 v[38:39], v[26:27], v[13:14]
	v_mul_f64 v[13:14], v[24:25], v[13:14]
	v_add_f64 v[3:4], v[3:4], v[32:33]
	v_add_f64 v[42:43], v[42:43], v[34:35]
	s_waitcnt lgkmcnt(0)
	v_mul_f64 v[44:45], v[22:23], v[30:31]
	v_mul_f64 v[30:31], v[20:21], v[30:31]
	ds_read_b128 v[32:35], v18 offset:224
	v_fma_f64 v[46:47], v[24:25], v[11:12], -v[38:39]
	v_fma_f64 v[48:49], v[26:27], v[11:12], v[13:14]
	v_add_f64 v[3:4], v[3:4], v[40:41]
	v_add_f64 v[40:41], v[42:43], v[36:37]
	ds_read_b128 v[11:14], v16 offset:3584
	v_fma_f64 v[20:21], v[20:21], v[28:29], -v[44:45]
	v_fma_f64 v[22:23], v[22:23], v[28:29], v[30:31]
	ds_read_b128 v[24:27], v18 offset:240
	ds_read_b128 v[36:39], v16 offset:3840
	s_waitcnt lgkmcnt(0)
	v_mul_f64 v[42:43], v[34:35], v[13:14]
	v_mul_f64 v[13:14], v[32:33], v[13:14]
	v_add_f64 v[3:4], v[3:4], v[46:47]
	v_add_f64 v[28:29], v[40:41], v[48:49]
	v_mul_f64 v[30:31], v[26:27], v[38:39]
	v_mul_f64 v[38:39], v[24:25], v[38:39]
	s_barrier
	v_fma_f64 v[32:33], v[32:33], v[11:12], -v[42:43]
	v_fma_f64 v[11:12], v[34:35], v[11:12], v[13:14]
	v_add_f64 v[3:4], v[3:4], v[20:21]
	v_add_f64 v[13:14], v[28:29], v[22:23]
	v_fma_f64 v[20:21], v[24:25], v[36:37], -v[30:31]
	v_fma_f64 v[22:23], v[26:27], v[36:37], v[38:39]
	v_add_f64 v[3:4], v[3:4], v[32:33]
	v_add_f64 v[13:14], v[13:14], v[11:12]
	;; [unrolled: 1-line block ×4, first 2 shown]
	s_cbranch_scc1 .LBB897_12
.LBB897_3:                              ; =>This Inner Loop Header: Depth=1
	v_add_u32_e32 v3, s9, v1
	v_cmp_le_i32_e32 vcc, s17, v3
	s_or_b64 s[6:7], s[2:3], vcc
	s_and_saveexec_b64 s[18:19], s[6:7]
	s_xor_b64 s[6:7], exec, s[18:19]
; %bb.4:                                ;   in Loop: Header=BB897_3 Depth=1
	v_mov_b32_e32 v3, v2
	v_mov_b32_e32 v4, v2
	v_mov_b32_e32 v5, v2
	ds_write_b128 v17, v[2:5]
; %bb.5:                                ;   in Loop: Header=BB897_3 Depth=1
	s_andn2_saveexec_b64 s[6:7], s[6:7]
	s_cbranch_execz .LBB897_7
; %bb.6:                                ;   in Loop: Header=BB897_3 Depth=1
	flat_load_dwordx4 v[20:23], v[9:10]
	s_waitcnt vmcnt(0) lgkmcnt(0)
	ds_write2_b64 v17, v[20:21], v[22:23] offset1:1
.LBB897_7:                              ;   in Loop: Header=BB897_3 Depth=1
	s_or_b64 exec, exec, s[6:7]
	v_add_u32_e32 v3, s9, v0
	v_cmp_le_i32_e32 vcc, s17, v3
	s_or_b64 s[6:7], s[0:1], vcc
	s_and_saveexec_b64 s[18:19], s[6:7]
	s_xor_b64 s[6:7], exec, s[18:19]
; %bb.8:                                ;   in Loop: Header=BB897_3 Depth=1
	v_mov_b32_e32 v3, v2
	v_mov_b32_e32 v4, v2
	;; [unrolled: 1-line block ×3, first 2 shown]
	ds_write_b128 v19, v[2:5]
; %bb.9:                                ;   in Loop: Header=BB897_3 Depth=1
	s_andn2_saveexec_b64 s[6:7], s[6:7]
	s_cbranch_execz .LBB897_2
; %bb.10:                               ;   in Loop: Header=BB897_3 Depth=1
	flat_load_dwordx4 v[20:23], v[7:8]
	s_waitcnt vmcnt(0) lgkmcnt(0)
	ds_write2_b64 v19, v[20:21], v[22:23] offset1:1
	s_branch .LBB897_2
.LBB897_11:
	v_mov_b32_e32 v13, 0
	v_mov_b32_e32 v11, 0
	;; [unrolled: 1-line block ×4, first 2 shown]
.LBB897_12:
	v_cmp_le_i32_e32 vcc, v15, v6
	v_cmp_gt_i32_e64 s[0:1], s16, v6
	s_and_b64 s[0:1], vcc, s[0:1]
	s_and_saveexec_b64 s[2:3], s[0:1]
	s_cbranch_execz .LBB897_14
; %bb.13:
	s_load_dword s0, s[4:5], 0x60
	v_mul_f64 v[2:3], s[12:13], v[13:14]
	v_mul_f64 v[0:1], s[14:15], v[13:14]
	v_ashrrev_i32_e32 v7, 31, v6
	s_waitcnt lgkmcnt(0)
	v_mov_b32_e32 v8, s11
	v_mad_i64_i32 v[4:5], s[0:1], s0, v15, 0
	v_fma_f64 v[2:3], s[14:15], v[11:12], v[2:3]
	v_lshlrev_b64 v[4:5], 4, v[4:5]
	v_fma_f64 v[0:1], s[12:13], v[11:12], -v[0:1]
	v_add_co_u32_e32 v9, vcc, s10, v4
	v_addc_co_u32_e32 v8, vcc, v8, v5, vcc
	v_lshlrev_b64 v[4:5], 4, v[6:7]
	v_add_co_u32_e32 v4, vcc, v9, v4
	v_addc_co_u32_e32 v5, vcc, v8, v5, vcc
	v_cmp_ne_u32_e32 vcc, v6, v15
	v_cndmask_b32_e32 v3, 0, v3, vcc
	v_cndmask_b32_e32 v2, 0, v2, vcc
	flat_store_dwordx4 v[4:5], v[0:3]
.LBB897_14:
	s_endpgm
	.section	.rodata,"a",@progbits
	.p2align	6, 0x0
	.amdhsa_kernel _ZL32rocblas_syrkx_herkx_small_kernelIi19rocblas_complex_numIdELi16ELb1ELb1ELc84ELc76EKPKS1_KPS1_EviT_T0_PT6_S7_lSA_S7_lS8_PT7_S7_li
		.amdhsa_group_segment_fixed_size 8192
		.amdhsa_private_segment_fixed_size 0
		.amdhsa_kernarg_size 116
		.amdhsa_user_sgpr_count 6
		.amdhsa_user_sgpr_private_segment_buffer 1
		.amdhsa_user_sgpr_dispatch_ptr 0
		.amdhsa_user_sgpr_queue_ptr 0
		.amdhsa_user_sgpr_kernarg_segment_ptr 1
		.amdhsa_user_sgpr_dispatch_id 0
		.amdhsa_user_sgpr_flat_scratch_init 0
		.amdhsa_user_sgpr_private_segment_size 0
		.amdhsa_uses_dynamic_stack 0
		.amdhsa_system_sgpr_private_segment_wavefront_offset 0
		.amdhsa_system_sgpr_workgroup_id_x 1
		.amdhsa_system_sgpr_workgroup_id_y 1
		.amdhsa_system_sgpr_workgroup_id_z 1
		.amdhsa_system_sgpr_workgroup_info 0
		.amdhsa_system_vgpr_workitem_id 1
		.amdhsa_next_free_vgpr 50
		.amdhsa_next_free_sgpr 61
		.amdhsa_reserve_vcc 1
		.amdhsa_reserve_flat_scratch 0
		.amdhsa_float_round_mode_32 0
		.amdhsa_float_round_mode_16_64 0
		.amdhsa_float_denorm_mode_32 3
		.amdhsa_float_denorm_mode_16_64 3
		.amdhsa_dx10_clamp 1
		.amdhsa_ieee_mode 1
		.amdhsa_fp16_overflow 0
		.amdhsa_exception_fp_ieee_invalid_op 0
		.amdhsa_exception_fp_denorm_src 0
		.amdhsa_exception_fp_ieee_div_zero 0
		.amdhsa_exception_fp_ieee_overflow 0
		.amdhsa_exception_fp_ieee_underflow 0
		.amdhsa_exception_fp_ieee_inexact 0
		.amdhsa_exception_int_div_zero 0
	.end_amdhsa_kernel
	.section	.text._ZL32rocblas_syrkx_herkx_small_kernelIi19rocblas_complex_numIdELi16ELb1ELb1ELc84ELc76EKPKS1_KPS1_EviT_T0_PT6_S7_lSA_S7_lS8_PT7_S7_li,"axG",@progbits,_ZL32rocblas_syrkx_herkx_small_kernelIi19rocblas_complex_numIdELi16ELb1ELb1ELc84ELc76EKPKS1_KPS1_EviT_T0_PT6_S7_lSA_S7_lS8_PT7_S7_li,comdat
.Lfunc_end897:
	.size	_ZL32rocblas_syrkx_herkx_small_kernelIi19rocblas_complex_numIdELi16ELb1ELb1ELc84ELc76EKPKS1_KPS1_EviT_T0_PT6_S7_lSA_S7_lS8_PT7_S7_li, .Lfunc_end897-_ZL32rocblas_syrkx_herkx_small_kernelIi19rocblas_complex_numIdELi16ELb1ELb1ELc84ELc76EKPKS1_KPS1_EviT_T0_PT6_S7_lSA_S7_lS8_PT7_S7_li
                                        ; -- End function
	.set _ZL32rocblas_syrkx_herkx_small_kernelIi19rocblas_complex_numIdELi16ELb1ELb1ELc84ELc76EKPKS1_KPS1_EviT_T0_PT6_S7_lSA_S7_lS8_PT7_S7_li.num_vgpr, 50
	.set _ZL32rocblas_syrkx_herkx_small_kernelIi19rocblas_complex_numIdELi16ELb1ELb1ELc84ELc76EKPKS1_KPS1_EviT_T0_PT6_S7_lSA_S7_lS8_PT7_S7_li.num_agpr, 0
	.set _ZL32rocblas_syrkx_herkx_small_kernelIi19rocblas_complex_numIdELi16ELb1ELb1ELc84ELc76EKPKS1_KPS1_EviT_T0_PT6_S7_lSA_S7_lS8_PT7_S7_li.numbered_sgpr, 21
	.set _ZL32rocblas_syrkx_herkx_small_kernelIi19rocblas_complex_numIdELi16ELb1ELb1ELc84ELc76EKPKS1_KPS1_EviT_T0_PT6_S7_lSA_S7_lS8_PT7_S7_li.num_named_barrier, 0
	.set _ZL32rocblas_syrkx_herkx_small_kernelIi19rocblas_complex_numIdELi16ELb1ELb1ELc84ELc76EKPKS1_KPS1_EviT_T0_PT6_S7_lSA_S7_lS8_PT7_S7_li.private_seg_size, 0
	.set _ZL32rocblas_syrkx_herkx_small_kernelIi19rocblas_complex_numIdELi16ELb1ELb1ELc84ELc76EKPKS1_KPS1_EviT_T0_PT6_S7_lSA_S7_lS8_PT7_S7_li.uses_vcc, 1
	.set _ZL32rocblas_syrkx_herkx_small_kernelIi19rocblas_complex_numIdELi16ELb1ELb1ELc84ELc76EKPKS1_KPS1_EviT_T0_PT6_S7_lSA_S7_lS8_PT7_S7_li.uses_flat_scratch, 0
	.set _ZL32rocblas_syrkx_herkx_small_kernelIi19rocblas_complex_numIdELi16ELb1ELb1ELc84ELc76EKPKS1_KPS1_EviT_T0_PT6_S7_lSA_S7_lS8_PT7_S7_li.has_dyn_sized_stack, 0
	.set _ZL32rocblas_syrkx_herkx_small_kernelIi19rocblas_complex_numIdELi16ELb1ELb1ELc84ELc76EKPKS1_KPS1_EviT_T0_PT6_S7_lSA_S7_lS8_PT7_S7_li.has_recursion, 0
	.set _ZL32rocblas_syrkx_herkx_small_kernelIi19rocblas_complex_numIdELi16ELb1ELb1ELc84ELc76EKPKS1_KPS1_EviT_T0_PT6_S7_lSA_S7_lS8_PT7_S7_li.has_indirect_call, 0
	.section	.AMDGPU.csdata,"",@progbits
; Kernel info:
; codeLenInByte = 1760
; TotalNumSgprs: 25
; NumVgprs: 50
; ScratchSize: 0
; MemoryBound: 0
; FloatMode: 240
; IeeeMode: 1
; LDSByteSize: 8192 bytes/workgroup (compile time only)
; SGPRBlocks: 8
; VGPRBlocks: 12
; NumSGPRsForWavesPerEU: 65
; NumVGPRsForWavesPerEU: 50
; Occupancy: 4
; WaveLimiterHint : 1
; COMPUTE_PGM_RSRC2:SCRATCH_EN: 0
; COMPUTE_PGM_RSRC2:USER_SGPR: 6
; COMPUTE_PGM_RSRC2:TRAP_HANDLER: 0
; COMPUTE_PGM_RSRC2:TGID_X_EN: 1
; COMPUTE_PGM_RSRC2:TGID_Y_EN: 1
; COMPUTE_PGM_RSRC2:TGID_Z_EN: 1
; COMPUTE_PGM_RSRC2:TIDIG_COMP_CNT: 1
	.section	.text._ZL32rocblas_syrkx_herkx_small_kernelIi19rocblas_complex_numIdELi16ELb1ELb1ELc67ELc76EKPKS1_KPS1_EviT_T0_PT6_S7_lSA_S7_lS8_PT7_S7_li,"axG",@progbits,_ZL32rocblas_syrkx_herkx_small_kernelIi19rocblas_complex_numIdELi16ELb1ELb1ELc67ELc76EKPKS1_KPS1_EviT_T0_PT6_S7_lSA_S7_lS8_PT7_S7_li,comdat
	.globl	_ZL32rocblas_syrkx_herkx_small_kernelIi19rocblas_complex_numIdELi16ELb1ELb1ELc67ELc76EKPKS1_KPS1_EviT_T0_PT6_S7_lSA_S7_lS8_PT7_S7_li ; -- Begin function _ZL32rocblas_syrkx_herkx_small_kernelIi19rocblas_complex_numIdELi16ELb1ELb1ELc67ELc76EKPKS1_KPS1_EviT_T0_PT6_S7_lSA_S7_lS8_PT7_S7_li
	.p2align	8
	.type	_ZL32rocblas_syrkx_herkx_small_kernelIi19rocblas_complex_numIdELi16ELb1ELb1ELc67ELc76EKPKS1_KPS1_EviT_T0_PT6_S7_lSA_S7_lS8_PT7_S7_li,@function
_ZL32rocblas_syrkx_herkx_small_kernelIi19rocblas_complex_numIdELi16ELb1ELb1ELc67ELc76EKPKS1_KPS1_EviT_T0_PT6_S7_lSA_S7_lS8_PT7_S7_li: ; @_ZL32rocblas_syrkx_herkx_small_kernelIi19rocblas_complex_numIdELi16ELb1ELb1ELc67ELc76EKPKS1_KPS1_EviT_T0_PT6_S7_lSA_S7_lS8_PT7_S7_li
; %bb.0:
	s_load_dwordx2 s[2:3], s[4:5], 0x18
	s_load_dwordx2 s[0:1], s[4:5], 0x58
	;; [unrolled: 1-line block ×3, first 2 shown]
	s_load_dwordx4 s[12:15], s[4:5], 0x8
	s_mov_b32 s9, 0
	s_lshl_b64 s[18:19], s[8:9], 3
	s_waitcnt lgkmcnt(0)
	s_add_u32 s0, s0, s18
	s_addc_u32 s1, s1, s19
	s_load_dwordx2 s[10:11], s[0:1], 0x0
	v_lshl_add_u32 v7, s6, 4, v0
	v_lshl_add_u32 v16, s7, 4, v1
	s_cmp_lt_i32 s17, 1
	v_cmp_gt_i32_e64 s[0:1], s16, v7
	s_cbranch_scc1 .LBB898_9
; %bb.1:
	s_load_dwordx2 s[6:7], s[4:5], 0x30
	s_load_dword s8, s[4:5], 0x20
	s_load_dword s20, s[4:5], 0x38
	v_lshlrev_b32_e32 v4, 8, v1
	v_lshlrev_b32_e32 v17, 4, v0
	s_waitcnt lgkmcnt(0)
	s_add_u32 s6, s6, s18
	s_addc_u32 s7, s7, s19
	s_add_u32 s2, s2, s18
	s_addc_u32 s3, s3, s19
	s_load_dwordx2 s[18:19], s[2:3], 0x0
	v_mad_i64_i32 v[2:3], s[2:3], s20, v16, 0
	s_load_dwordx2 s[6:7], s[6:7], 0x0
	v_add_u32_e32 v18, v17, v4
	v_lshlrev_b64 v[2:3], 4, v[2:3]
	v_add_u32_e32 v19, 0x1000, v4
	v_add_co_u32_e64 v4, s[2:3], v2, v17
	v_addc_co_u32_e64 v5, s[2:3], 0, v3, s[2:3]
	v_mad_i64_i32 v[2:3], s[2:3], s8, v7, 0
	s_waitcnt lgkmcnt(0)
	v_mov_b32_e32 v6, s7
	v_add_co_u32_e64 v8, s[2:3], s6, v4
	v_lshlrev_b64 v[2:3], 4, v[2:3]
	v_addc_co_u32_e64 v9, s[2:3], v6, v5, s[2:3]
	v_lshlrev_b32_e32 v4, 4, v1
	v_add_co_u32_e64 v2, s[2:3], v2, v4
	v_addc_co_u32_e64 v3, s[2:3], 0, v3, s[2:3]
	v_mov_b32_e32 v4, s19
	v_add_co_u32_e64 v10, s[2:3], s18, v2
	v_cmp_gt_i32_e32 vcc, s16, v16
	v_addc_co_u32_e64 v11, s[2:3], v4, v3, s[2:3]
	v_mov_b32_e32 v14, 0
	v_mov_b32_e32 v12, 0
	v_add_u32_e32 v20, v19, v17
	v_mov_b32_e32 v15, 0
	s_xor_b64 s[2:3], vcc, -1
	v_mov_b32_e32 v13, 0
	v_mov_b32_e32 v2, 0
	s_branch .LBB898_3
.LBB898_2:                              ;   in Loop: Header=BB898_3 Depth=1
	s_or_b64 exec, exec, s[6:7]
	s_waitcnt lgkmcnt(0)
	s_barrier
	ds_read_b128 v[3:6], v17
	ds_read_b128 v[21:24], v19
	ds_read_b128 v[25:28], v19 offset:16
	ds_read_b128 v[29:32], v17 offset:256
	;; [unrolled: 1-line block ×4, first 2 shown]
	s_waitcnt lgkmcnt(4)
	v_mul_f64 v[41:42], v[23:24], v[5:6]
	v_mul_f64 v[5:6], v[21:22], v[5:6]
	s_waitcnt lgkmcnt(2)
	v_mul_f64 v[43:44], v[27:28], v[31:32]
	v_mul_f64 v[31:32], v[25:26], v[31:32]
	s_waitcnt lgkmcnt(0)
	v_mul_f64 v[47:48], v[35:36], v[39:40]
	v_add_co_u32_e32 v8, vcc, 0x100, v8
	v_addc_co_u32_e32 v9, vcc, 0, v9, vcc
	v_fma_f64 v[41:42], v[21:22], v[3:4], -v[41:42]
	v_fma_f64 v[45:46], v[23:24], v[3:4], v[5:6]
	v_fma_f64 v[25:26], v[25:26], v[29:30], -v[43:44]
	v_fma_f64 v[27:28], v[27:28], v[29:30], v[31:32]
	v_mul_f64 v[29:30], v[33:34], v[39:40]
	ds_read_b128 v[3:6], v19 offset:48
	ds_read_b128 v[21:24], v17 offset:768
	v_fma_f64 v[33:34], v[33:34], v[37:38], -v[47:48]
	s_add_i32 s9, s9, 16
	v_add_f64 v[31:32], v[12:13], v[41:42]
	v_add_f64 v[39:40], v[14:15], v[45:46]
	s_waitcnt lgkmcnt(0)
	v_mul_f64 v[41:42], v[5:6], v[23:24]
	v_mul_f64 v[43:44], v[3:4], v[23:24]
	v_fma_f64 v[35:36], v[35:36], v[37:38], v[29:30]
	ds_read_b128 v[12:15], v19 offset:64
	v_add_co_u32_e32 v10, vcc, 0x100, v10
	v_add_f64 v[31:32], v[31:32], v[25:26]
	v_add_f64 v[37:38], v[39:40], v[27:28]
	ds_read_b128 v[23:26], v17 offset:1024
	v_fma_f64 v[39:40], v[3:4], v[21:22], -v[41:42]
	v_fma_f64 v[21:22], v[5:6], v[21:22], v[43:44]
	ds_read_b128 v[3:6], v19 offset:80
	ds_read_b128 v[27:30], v17 offset:1280
	s_cmp_ge_i32 s9, s17
	s_waitcnt lgkmcnt(2)
	v_mul_f64 v[41:42], v[14:15], v[25:26]
	v_mul_f64 v[25:26], v[12:13], v[25:26]
	v_add_f64 v[43:44], v[31:32], v[33:34]
	v_add_f64 v[35:36], v[37:38], v[35:36]
	s_waitcnt lgkmcnt(0)
	v_mul_f64 v[45:46], v[5:6], v[29:30]
	v_mul_f64 v[29:30], v[3:4], v[29:30]
	ds_read_b128 v[31:34], v19 offset:96
	v_addc_co_u32_e32 v11, vcc, 0, v11, vcc
	v_fma_f64 v[41:42], v[12:13], v[23:24], -v[41:42]
	v_fma_f64 v[25:26], v[14:15], v[23:24], v[25:26]
	v_add_f64 v[39:40], v[43:44], v[39:40]
	v_add_f64 v[43:44], v[35:36], v[21:22]
	ds_read_b128 v[12:15], v17 offset:1536
	v_fma_f64 v[45:46], v[3:4], v[27:28], -v[45:46]
	v_fma_f64 v[27:28], v[5:6], v[27:28], v[29:30]
	ds_read_b128 v[21:24], v19 offset:112
	ds_read_b128 v[35:38], v17 offset:1792
	;; [unrolled: 1-line block ×3, first 2 shown]
	s_waitcnt lgkmcnt(3)
	v_mul_f64 v[47:48], v[33:34], v[14:15]
	v_mul_f64 v[14:15], v[31:32], v[14:15]
	v_add_f64 v[29:30], v[39:40], v[41:42]
	v_add_f64 v[25:26], v[43:44], v[25:26]
	s_waitcnt lgkmcnt(1)
	v_mul_f64 v[39:40], v[23:24], v[37:38]
	v_mul_f64 v[37:38], v[21:22], v[37:38]
	v_fma_f64 v[31:32], v[31:32], v[12:13], -v[47:48]
	v_fma_f64 v[33:34], v[33:34], v[12:13], v[14:15]
	v_add_f64 v[29:30], v[29:30], v[45:46]
	v_add_f64 v[41:42], v[25:26], v[27:28]
	ds_read_b128 v[12:15], v17 offset:2048
	v_fma_f64 v[39:40], v[21:22], v[35:36], -v[39:40]
	v_fma_f64 v[35:36], v[23:24], v[35:36], v[37:38]
	ds_read_b128 v[21:24], v19 offset:144
	ds_read_b128 v[25:28], v17 offset:2304
	s_waitcnt lgkmcnt(2)
	v_mul_f64 v[37:38], v[5:6], v[14:15]
	v_mul_f64 v[14:15], v[3:4], v[14:15]
	v_add_f64 v[43:44], v[29:30], v[31:32]
	v_add_f64 v[33:34], v[41:42], v[33:34]
	s_waitcnt lgkmcnt(0)
	v_mul_f64 v[41:42], v[23:24], v[27:28]
	v_mul_f64 v[27:28], v[21:22], v[27:28]
	ds_read_b128 v[29:32], v19 offset:160
	v_fma_f64 v[37:38], v[3:4], v[12:13], -v[37:38]
	v_fma_f64 v[45:46], v[5:6], v[12:13], v[14:15]
	v_add_f64 v[39:40], v[43:44], v[39:40]
	v_add_f64 v[43:44], v[33:34], v[35:36]
	ds_read_b128 v[3:6], v17 offset:2560
	v_fma_f64 v[41:42], v[21:22], v[25:26], -v[41:42]
	v_fma_f64 v[25:26], v[23:24], v[25:26], v[27:28]
	ds_read_b128 v[12:15], v19 offset:176
	ds_read_b128 v[33:36], v17 offset:2816
	;; [unrolled: 1-line block ×3, first 2 shown]
	s_waitcnt lgkmcnt(3)
	v_mul_f64 v[47:48], v[31:32], v[5:6]
	v_mul_f64 v[5:6], v[29:30], v[5:6]
	v_add_f64 v[27:28], v[39:40], v[37:38]
	v_add_f64 v[37:38], v[43:44], v[45:46]
	s_waitcnt lgkmcnt(1)
	v_mul_f64 v[39:40], v[14:15], v[35:36]
	v_mul_f64 v[35:36], v[12:13], v[35:36]
	v_fma_f64 v[29:30], v[29:30], v[3:4], -v[47:48]
	v_fma_f64 v[31:32], v[31:32], v[3:4], v[5:6]
	v_add_f64 v[41:42], v[27:28], v[41:42]
	v_add_f64 v[37:38], v[37:38], v[25:26]
	ds_read_b128 v[3:6], v17 offset:3072
	v_fma_f64 v[39:40], v[12:13], v[33:34], -v[39:40]
	v_fma_f64 v[33:34], v[14:15], v[33:34], v[35:36]
	ds_read_b128 v[12:15], v19 offset:208
	ds_read_b128 v[25:28], v17 offset:3328
	s_waitcnt lgkmcnt(2)
	v_mul_f64 v[35:36], v[23:24], v[5:6]
	v_mul_f64 v[5:6], v[21:22], v[5:6]
	v_add_f64 v[41:42], v[41:42], v[29:30]
	v_add_f64 v[37:38], v[37:38], v[31:32]
	s_waitcnt lgkmcnt(0)
	v_mul_f64 v[43:44], v[14:15], v[27:28]
	v_mul_f64 v[27:28], v[12:13], v[27:28]
	ds_read_b128 v[29:32], v19 offset:224
	v_fma_f64 v[45:46], v[21:22], v[3:4], -v[35:36]
	v_fma_f64 v[47:48], v[23:24], v[3:4], v[5:6]
	v_add_f64 v[39:40], v[41:42], v[39:40]
	v_add_f64 v[37:38], v[37:38], v[33:34]
	ds_read_b128 v[3:6], v17 offset:3584
	v_fma_f64 v[12:13], v[12:13], v[25:26], -v[43:44]
	v_fma_f64 v[14:15], v[14:15], v[25:26], v[27:28]
	ds_read_b128 v[21:24], v19 offset:240
	ds_read_b128 v[33:36], v17 offset:3840
	s_waitcnt lgkmcnt(0)
	v_mul_f64 v[41:42], v[31:32], v[5:6]
	v_mul_f64 v[5:6], v[29:30], v[5:6]
	v_add_f64 v[25:26], v[39:40], v[45:46]
	v_add_f64 v[27:28], v[37:38], v[47:48]
	v_mul_f64 v[37:38], v[23:24], v[35:36]
	v_mul_f64 v[35:36], v[21:22], v[35:36]
	s_barrier
	v_fma_f64 v[29:30], v[29:30], v[3:4], -v[41:42]
	v_fma_f64 v[3:4], v[31:32], v[3:4], v[5:6]
	v_add_f64 v[5:6], v[25:26], v[12:13]
	v_add_f64 v[12:13], v[27:28], v[14:15]
	v_fma_f64 v[14:15], v[21:22], v[33:34], -v[37:38]
	v_fma_f64 v[21:22], v[23:24], v[33:34], v[35:36]
	v_add_f64 v[5:6], v[5:6], v[29:30]
	v_add_f64 v[3:4], v[12:13], v[3:4]
	v_add_f64 v[12:13], v[5:6], v[14:15]
	v_add_f64 v[14:15], v[3:4], v[21:22]
	s_cbranch_scc1 .LBB898_10
.LBB898_3:                              ; =>This Inner Loop Header: Depth=1
	v_add_u32_e32 v3, s9, v1
	v_cmp_gt_i32_e32 vcc, s17, v3
	v_mov_b32_e32 v3, 0
	v_mov_b32_e32 v5, 0
	;; [unrolled: 1-line block ×4, first 2 shown]
	s_and_b64 s[18:19], s[0:1], vcc
	s_and_saveexec_b64 s[6:7], s[18:19]
	s_cbranch_execz .LBB898_5
; %bb.4:                                ;   in Loop: Header=BB898_3 Depth=1
	flat_load_dwordx4 v[3:6], v[10:11]
	s_waitcnt vmcnt(0) lgkmcnt(0)
	v_xor_b32_e32 v6, 0x80000000, v6
.LBB898_5:                              ;   in Loop: Header=BB898_3 Depth=1
	s_or_b64 exec, exec, s[6:7]
	ds_write_b128 v18, v[3:6]
	v_add_u32_e32 v3, s9, v0
	v_cmp_le_i32_e32 vcc, s17, v3
	s_or_b64 s[6:7], s[2:3], vcc
	s_and_saveexec_b64 s[18:19], s[6:7]
	s_xor_b64 s[6:7], exec, s[18:19]
; %bb.6:                                ;   in Loop: Header=BB898_3 Depth=1
	v_mov_b32_e32 v3, v2
	v_mov_b32_e32 v4, v2
	;; [unrolled: 1-line block ×3, first 2 shown]
	ds_write_b128 v20, v[2:5]
; %bb.7:                                ;   in Loop: Header=BB898_3 Depth=1
	s_andn2_saveexec_b64 s[6:7], s[6:7]
	s_cbranch_execz .LBB898_2
; %bb.8:                                ;   in Loop: Header=BB898_3 Depth=1
	flat_load_dwordx4 v[3:6], v[8:9]
	s_waitcnt vmcnt(0) lgkmcnt(0)
	ds_write2_b64 v20, v[3:4], v[5:6] offset1:1
	s_branch .LBB898_2
.LBB898_9:
	v_mov_b32_e32 v14, 0
	v_mov_b32_e32 v12, 0
	;; [unrolled: 1-line block ×4, first 2 shown]
.LBB898_10:
	v_cmp_le_i32_e32 vcc, v16, v7
	v_cmp_gt_i32_e64 s[0:1], s16, v7
	s_and_b64 s[0:1], vcc, s[0:1]
	s_and_saveexec_b64 s[2:3], s[0:1]
	s_cbranch_execz .LBB898_12
; %bb.11:
	s_load_dword s0, s[4:5], 0x60
	v_mul_f64 v[2:3], s[12:13], v[14:15]
	v_mul_f64 v[0:1], s[14:15], v[14:15]
	v_ashrrev_i32_e32 v8, 31, v7
	s_waitcnt lgkmcnt(0)
	v_mov_b32_e32 v6, s11
	v_mad_i64_i32 v[4:5], s[0:1], s0, v16, 0
	v_fma_f64 v[2:3], s[14:15], v[12:13], v[2:3]
	v_lshlrev_b64 v[4:5], 4, v[4:5]
	v_fma_f64 v[0:1], s[12:13], v[12:13], -v[0:1]
	v_add_co_u32_e32 v9, vcc, s10, v4
	v_addc_co_u32_e32 v6, vcc, v6, v5, vcc
	v_lshlrev_b64 v[4:5], 4, v[7:8]
	v_add_co_u32_e32 v4, vcc, v9, v4
	v_addc_co_u32_e32 v5, vcc, v6, v5, vcc
	v_cmp_ne_u32_e32 vcc, v7, v16
	v_cndmask_b32_e32 v3, 0, v3, vcc
	v_cndmask_b32_e32 v2, 0, v2, vcc
	flat_store_dwordx4 v[4:5], v[0:3]
.LBB898_12:
	s_endpgm
	.section	.rodata,"a",@progbits
	.p2align	6, 0x0
	.amdhsa_kernel _ZL32rocblas_syrkx_herkx_small_kernelIi19rocblas_complex_numIdELi16ELb1ELb1ELc67ELc76EKPKS1_KPS1_EviT_T0_PT6_S7_lSA_S7_lS8_PT7_S7_li
		.amdhsa_group_segment_fixed_size 8192
		.amdhsa_private_segment_fixed_size 0
		.amdhsa_kernarg_size 116
		.amdhsa_user_sgpr_count 6
		.amdhsa_user_sgpr_private_segment_buffer 1
		.amdhsa_user_sgpr_dispatch_ptr 0
		.amdhsa_user_sgpr_queue_ptr 0
		.amdhsa_user_sgpr_kernarg_segment_ptr 1
		.amdhsa_user_sgpr_dispatch_id 0
		.amdhsa_user_sgpr_flat_scratch_init 0
		.amdhsa_user_sgpr_private_segment_size 0
		.amdhsa_uses_dynamic_stack 0
		.amdhsa_system_sgpr_private_segment_wavefront_offset 0
		.amdhsa_system_sgpr_workgroup_id_x 1
		.amdhsa_system_sgpr_workgroup_id_y 1
		.amdhsa_system_sgpr_workgroup_id_z 1
		.amdhsa_system_sgpr_workgroup_info 0
		.amdhsa_system_vgpr_workitem_id 1
		.amdhsa_next_free_vgpr 49
		.amdhsa_next_free_sgpr 61
		.amdhsa_reserve_vcc 1
		.amdhsa_reserve_flat_scratch 0
		.amdhsa_float_round_mode_32 0
		.amdhsa_float_round_mode_16_64 0
		.amdhsa_float_denorm_mode_32 3
		.amdhsa_float_denorm_mode_16_64 3
		.amdhsa_dx10_clamp 1
		.amdhsa_ieee_mode 1
		.amdhsa_fp16_overflow 0
		.amdhsa_exception_fp_ieee_invalid_op 0
		.amdhsa_exception_fp_denorm_src 0
		.amdhsa_exception_fp_ieee_div_zero 0
		.amdhsa_exception_fp_ieee_overflow 0
		.amdhsa_exception_fp_ieee_underflow 0
		.amdhsa_exception_fp_ieee_inexact 0
		.amdhsa_exception_int_div_zero 0
	.end_amdhsa_kernel
	.section	.text._ZL32rocblas_syrkx_herkx_small_kernelIi19rocblas_complex_numIdELi16ELb1ELb1ELc67ELc76EKPKS1_KPS1_EviT_T0_PT6_S7_lSA_S7_lS8_PT7_S7_li,"axG",@progbits,_ZL32rocblas_syrkx_herkx_small_kernelIi19rocblas_complex_numIdELi16ELb1ELb1ELc67ELc76EKPKS1_KPS1_EviT_T0_PT6_S7_lSA_S7_lS8_PT7_S7_li,comdat
.Lfunc_end898:
	.size	_ZL32rocblas_syrkx_herkx_small_kernelIi19rocblas_complex_numIdELi16ELb1ELb1ELc67ELc76EKPKS1_KPS1_EviT_T0_PT6_S7_lSA_S7_lS8_PT7_S7_li, .Lfunc_end898-_ZL32rocblas_syrkx_herkx_small_kernelIi19rocblas_complex_numIdELi16ELb1ELb1ELc67ELc76EKPKS1_KPS1_EviT_T0_PT6_S7_lSA_S7_lS8_PT7_S7_li
                                        ; -- End function
	.set _ZL32rocblas_syrkx_herkx_small_kernelIi19rocblas_complex_numIdELi16ELb1ELb1ELc67ELc76EKPKS1_KPS1_EviT_T0_PT6_S7_lSA_S7_lS8_PT7_S7_li.num_vgpr, 49
	.set _ZL32rocblas_syrkx_herkx_small_kernelIi19rocblas_complex_numIdELi16ELb1ELb1ELc67ELc76EKPKS1_KPS1_EviT_T0_PT6_S7_lSA_S7_lS8_PT7_S7_li.num_agpr, 0
	.set _ZL32rocblas_syrkx_herkx_small_kernelIi19rocblas_complex_numIdELi16ELb1ELb1ELc67ELc76EKPKS1_KPS1_EviT_T0_PT6_S7_lSA_S7_lS8_PT7_S7_li.numbered_sgpr, 21
	.set _ZL32rocblas_syrkx_herkx_small_kernelIi19rocblas_complex_numIdELi16ELb1ELb1ELc67ELc76EKPKS1_KPS1_EviT_T0_PT6_S7_lSA_S7_lS8_PT7_S7_li.num_named_barrier, 0
	.set _ZL32rocblas_syrkx_herkx_small_kernelIi19rocblas_complex_numIdELi16ELb1ELb1ELc67ELc76EKPKS1_KPS1_EviT_T0_PT6_S7_lSA_S7_lS8_PT7_S7_li.private_seg_size, 0
	.set _ZL32rocblas_syrkx_herkx_small_kernelIi19rocblas_complex_numIdELi16ELb1ELb1ELc67ELc76EKPKS1_KPS1_EviT_T0_PT6_S7_lSA_S7_lS8_PT7_S7_li.uses_vcc, 1
	.set _ZL32rocblas_syrkx_herkx_small_kernelIi19rocblas_complex_numIdELi16ELb1ELb1ELc67ELc76EKPKS1_KPS1_EviT_T0_PT6_S7_lSA_S7_lS8_PT7_S7_li.uses_flat_scratch, 0
	.set _ZL32rocblas_syrkx_herkx_small_kernelIi19rocblas_complex_numIdELi16ELb1ELb1ELc67ELc76EKPKS1_KPS1_EviT_T0_PT6_S7_lSA_S7_lS8_PT7_S7_li.has_dyn_sized_stack, 0
	.set _ZL32rocblas_syrkx_herkx_small_kernelIi19rocblas_complex_numIdELi16ELb1ELb1ELc67ELc76EKPKS1_KPS1_EviT_T0_PT6_S7_lSA_S7_lS8_PT7_S7_li.has_recursion, 0
	.set _ZL32rocblas_syrkx_herkx_small_kernelIi19rocblas_complex_numIdELi16ELb1ELb1ELc67ELc76EKPKS1_KPS1_EviT_T0_PT6_S7_lSA_S7_lS8_PT7_S7_li.has_indirect_call, 0
	.section	.AMDGPU.csdata,"",@progbits
; Kernel info:
; codeLenInByte = 1752
; TotalNumSgprs: 25
; NumVgprs: 49
; ScratchSize: 0
; MemoryBound: 1
; FloatMode: 240
; IeeeMode: 1
; LDSByteSize: 8192 bytes/workgroup (compile time only)
; SGPRBlocks: 8
; VGPRBlocks: 12
; NumSGPRsForWavesPerEU: 65
; NumVGPRsForWavesPerEU: 49
; Occupancy: 4
; WaveLimiterHint : 1
; COMPUTE_PGM_RSRC2:SCRATCH_EN: 0
; COMPUTE_PGM_RSRC2:USER_SGPR: 6
; COMPUTE_PGM_RSRC2:TRAP_HANDLER: 0
; COMPUTE_PGM_RSRC2:TGID_X_EN: 1
; COMPUTE_PGM_RSRC2:TGID_Y_EN: 1
; COMPUTE_PGM_RSRC2:TGID_Z_EN: 1
; COMPUTE_PGM_RSRC2:TIDIG_COMP_CNT: 1
	.section	.text._ZL32rocblas_syrkx_herkx_small_kernelIi19rocblas_complex_numIdELi16ELb1ELb1ELc78ELc76EKPKS1_KPS1_EviT_T0_PT6_S7_lSA_S7_lS8_PT7_S7_li,"axG",@progbits,_ZL32rocblas_syrkx_herkx_small_kernelIi19rocblas_complex_numIdELi16ELb1ELb1ELc78ELc76EKPKS1_KPS1_EviT_T0_PT6_S7_lSA_S7_lS8_PT7_S7_li,comdat
	.globl	_ZL32rocblas_syrkx_herkx_small_kernelIi19rocblas_complex_numIdELi16ELb1ELb1ELc78ELc76EKPKS1_KPS1_EviT_T0_PT6_S7_lSA_S7_lS8_PT7_S7_li ; -- Begin function _ZL32rocblas_syrkx_herkx_small_kernelIi19rocblas_complex_numIdELi16ELb1ELb1ELc78ELc76EKPKS1_KPS1_EviT_T0_PT6_S7_lSA_S7_lS8_PT7_S7_li
	.p2align	8
	.type	_ZL32rocblas_syrkx_herkx_small_kernelIi19rocblas_complex_numIdELi16ELb1ELb1ELc78ELc76EKPKS1_KPS1_EviT_T0_PT6_S7_lSA_S7_lS8_PT7_S7_li,@function
_ZL32rocblas_syrkx_herkx_small_kernelIi19rocblas_complex_numIdELi16ELb1ELb1ELc78ELc76EKPKS1_KPS1_EviT_T0_PT6_S7_lSA_S7_lS8_PT7_S7_li: ; @_ZL32rocblas_syrkx_herkx_small_kernelIi19rocblas_complex_numIdELi16ELb1ELb1ELc78ELc76EKPKS1_KPS1_EviT_T0_PT6_S7_lSA_S7_lS8_PT7_S7_li
; %bb.0:
	s_load_dwordx2 s[2:3], s[4:5], 0x18
	s_load_dwordx2 s[0:1], s[4:5], 0x58
	;; [unrolled: 1-line block ×3, first 2 shown]
	s_load_dwordx4 s[12:15], s[4:5], 0x8
	s_mov_b32 s9, 0
	s_lshl_b64 s[18:19], s[8:9], 3
	s_waitcnt lgkmcnt(0)
	s_add_u32 s0, s0, s18
	s_addc_u32 s1, s1, s19
	s_load_dwordx2 s[10:11], s[0:1], 0x0
	v_lshl_add_u32 v7, s6, 4, v0
	v_lshl_add_u32 v9, s7, 4, v1
	s_cmp_lt_i32 s17, 1
	v_cmp_gt_i32_e64 s[0:1], s16, v7
	v_ashrrev_i32_e32 v8, 31, v7
	s_cbranch_scc1 .LBB899_9
; %bb.1:
	s_load_dword s20, s[4:5], 0x20
	s_load_dword s6, s[4:5], 0x38
	s_load_dwordx2 s[22:23], s[4:5], 0x30
	v_lshlrev_b32_e32 v4, 8, v1
	v_lshlrev_b32_e32 v18, 4, v0
	s_waitcnt lgkmcnt(0)
	s_ashr_i32 s21, s20, 31
	s_ashr_i32 s7, s6, 31
	s_add_u32 s22, s22, s18
	s_addc_u32 s23, s23, s19
	s_add_u32 s2, s2, s18
	s_addc_u32 s3, s3, s19
	s_load_dwordx2 s[18:19], s[2:3], 0x0
	v_mad_i64_i32 v[2:3], s[2:3], s6, v0, 0
	v_ashrrev_i32_e32 v10, 31, v9
	v_add_u32_e32 v19, v18, v4
	v_add_u32_e32 v20, 0x1000, v4
	v_lshlrev_b64 v[2:3], 4, v[2:3]
	v_lshlrev_b64 v[4:5], 4, v[9:10]
	s_load_dwordx2 s[22:23], s[22:23], 0x0
	v_add_co_u32_e64 v4, s[2:3], v2, v4
	v_addc_co_u32_e64 v5, s[2:3], v3, v5, s[2:3]
	v_mad_i64_i32 v[2:3], s[2:3], s20, v1, 0
	s_waitcnt lgkmcnt(0)
	v_mov_b32_e32 v6, s23
	v_add_co_u32_e64 v10, s[2:3], s22, v4
	v_addc_co_u32_e64 v11, s[2:3], v6, v5, s[2:3]
	v_lshlrev_b64 v[2:3], 4, v[2:3]
	v_lshlrev_b64 v[4:5], 4, v[7:8]
	s_lshl_b64 s[6:7], s[6:7], 8
	v_add_co_u32_e64 v2, s[2:3], v2, v4
	v_addc_co_u32_e64 v3, s[2:3], v3, v5, s[2:3]
	v_mov_b32_e32 v4, s19
	v_add_co_u32_e64 v12, s[2:3], s18, v2
	v_addc_co_u32_e64 v13, s[2:3], v4, v3, s[2:3]
	s_lshl_b64 s[2:3], s[20:21], 8
	v_mov_b32_e32 v14, 0
	v_mov_b32_e32 v16, 0
	v_cmp_gt_i32_e32 vcc, s16, v9
	v_add_u32_e32 v21, v20, v18
	v_mov_b32_e32 v15, 0
	s_xor_b64 s[18:19], s[0:1], -1
	v_mov_b32_e32 v22, s7
	v_mov_b32_e32 v23, s3
	;; [unrolled: 1-line block ×4, first 2 shown]
	s_branch .LBB899_3
.LBB899_2:                              ;   in Loop: Header=BB899_3 Depth=1
	s_or_b64 exec, exec, s[0:1]
	ds_write_b128 v21, v[3:6]
	s_waitcnt lgkmcnt(0)
	s_barrier
	ds_read_b128 v[3:6], v18
	ds_read_b128 v[24:27], v20
	ds_read_b128 v[28:31], v20 offset:16
	ds_read_b128 v[32:35], v18 offset:256
	v_add_co_u32_e64 v10, s[0:1], s6, v10
	s_waitcnt lgkmcnt(2)
	v_mul_f64 v[36:37], v[26:27], v[5:6]
	v_mul_f64 v[5:6], v[24:25], v[5:6]
	s_waitcnt lgkmcnt(0)
	v_mul_f64 v[38:39], v[30:31], v[34:35]
	v_mul_f64 v[40:41], v[28:29], v[34:35]
	v_addc_co_u32_e64 v11, s[0:1], v11, v22, s[0:1]
	s_add_i32 s9, s9, 16
	v_add_co_u32_e64 v12, s[0:1], s2, v12
	v_fma_f64 v[42:43], v[24:25], v[3:4], -v[36:37]
	v_fma_f64 v[44:45], v[26:27], v[3:4], v[5:6]
	ds_read_b128 v[3:6], v18 offset:512
	ds_read_b128 v[24:27], v20 offset:32
	;; [unrolled: 1-line block ×3, first 2 shown]
	v_fma_f64 v[38:39], v[28:29], v[32:33], -v[38:39]
	v_fma_f64 v[32:33], v[30:31], v[32:33], v[40:41]
	ds_read_b128 v[28:31], v18 offset:768
	s_waitcnt lgkmcnt(2)
	v_mul_f64 v[40:41], v[26:27], v[5:6]
	v_mul_f64 v[5:6], v[24:25], v[5:6]
	v_add_f64 v[16:17], v[16:17], v[42:43]
	v_add_f64 v[14:15], v[14:15], v[44:45]
	s_waitcnt lgkmcnt(0)
	v_mul_f64 v[42:43], v[36:37], v[30:31]
	v_mul_f64 v[30:31], v[34:35], v[30:31]
	s_cmp_ge_i32 s9, s17
	v_addc_co_u32_e64 v13, s[0:1], v13, v23, s[0:1]
	v_fma_f64 v[40:41], v[24:25], v[3:4], -v[40:41]
	v_fma_f64 v[44:45], v[26:27], v[3:4], v[5:6]
	v_add_f64 v[38:39], v[16:17], v[38:39]
	v_add_f64 v[32:33], v[14:15], v[32:33]
	ds_read_b128 v[3:6], v20 offset:64
	ds_read_b128 v[14:17], v18 offset:1024
	v_fma_f64 v[34:35], v[34:35], v[28:29], -v[42:43]
	v_fma_f64 v[36:37], v[36:37], v[28:29], v[30:31]
	ds_read_b128 v[24:27], v20 offset:80
	ds_read_b128 v[28:31], v18 offset:1280
	s_waitcnt lgkmcnt(2)
	v_mul_f64 v[42:43], v[5:6], v[16:17]
	v_mul_f64 v[16:17], v[3:4], v[16:17]
	v_add_f64 v[38:39], v[38:39], v[40:41]
	v_add_f64 v[32:33], v[32:33], v[44:45]
	s_waitcnt lgkmcnt(0)
	v_mul_f64 v[40:41], v[26:27], v[30:31]
	v_mul_f64 v[30:31], v[24:25], v[30:31]
	v_fma_f64 v[42:43], v[3:4], v[14:15], -v[42:43]
	v_fma_f64 v[44:45], v[5:6], v[14:15], v[16:17]
	v_add_f64 v[34:35], v[38:39], v[34:35]
	v_add_f64 v[32:33], v[32:33], v[36:37]
	ds_read_b128 v[3:6], v20 offset:96
	ds_read_b128 v[14:17], v18 offset:1536
	v_fma_f64 v[36:37], v[24:25], v[28:29], -v[40:41]
	v_fma_f64 v[38:39], v[26:27], v[28:29], v[30:31]
	ds_read_b128 v[24:27], v20 offset:112
	ds_read_b128 v[28:31], v18 offset:1792
	s_waitcnt lgkmcnt(2)
	v_mul_f64 v[40:41], v[5:6], v[16:17]
	v_mul_f64 v[16:17], v[3:4], v[16:17]
	v_add_f64 v[34:35], v[34:35], v[42:43]
	v_add_f64 v[32:33], v[32:33], v[44:45]
	s_waitcnt lgkmcnt(0)
	v_mul_f64 v[42:43], v[26:27], v[30:31]
	v_mul_f64 v[30:31], v[24:25], v[30:31]
	;; [unrolled: 18-line block ×5, first 2 shown]
	v_fma_f64 v[42:43], v[3:4], v[14:15], -v[42:43]
	v_fma_f64 v[44:45], v[5:6], v[14:15], v[16:17]
	v_add_f64 v[34:35], v[34:35], v[36:37]
	v_add_f64 v[32:33], v[32:33], v[38:39]
	ds_read_b128 v[3:6], v20 offset:224
	ds_read_b128 v[14:17], v18 offset:3584
	v_fma_f64 v[36:37], v[24:25], v[28:29], -v[40:41]
	v_fma_f64 v[38:39], v[26:27], v[28:29], v[30:31]
	ds_read_b128 v[24:27], v20 offset:240
	ds_read_b128 v[28:31], v18 offset:3840
	s_waitcnt lgkmcnt(0)
	v_mul_f64 v[40:41], v[5:6], v[16:17]
	v_mul_f64 v[16:17], v[3:4], v[16:17]
	v_add_f64 v[34:35], v[34:35], v[42:43]
	v_add_f64 v[32:33], v[32:33], v[44:45]
	v_mul_f64 v[42:43], v[26:27], v[30:31]
	v_mul_f64 v[30:31], v[24:25], v[30:31]
	s_barrier
	v_fma_f64 v[3:4], v[3:4], v[14:15], -v[40:41]
	v_fma_f64 v[5:6], v[5:6], v[14:15], v[16:17]
	v_add_f64 v[14:15], v[34:35], v[36:37]
	v_add_f64 v[16:17], v[32:33], v[38:39]
	v_fma_f64 v[24:25], v[24:25], v[28:29], -v[42:43]
	v_fma_f64 v[26:27], v[26:27], v[28:29], v[30:31]
	v_add_f64 v[3:4], v[14:15], v[3:4]
	v_add_f64 v[5:6], v[16:17], v[5:6]
	;; [unrolled: 1-line block ×4, first 2 shown]
	s_cbranch_scc1 .LBB899_10
.LBB899_3:                              ; =>This Inner Loop Header: Depth=1
	v_add_u32_e32 v3, s9, v1
	v_cmp_le_i32_e64 s[0:1], s17, v3
	s_or_b64 s[0:1], s[18:19], s[0:1]
	s_and_saveexec_b64 s[20:21], s[0:1]
	s_xor_b64 s[0:1], exec, s[20:21]
; %bb.4:                                ;   in Loop: Header=BB899_3 Depth=1
	v_mov_b32_e32 v3, v2
	v_mov_b32_e32 v4, v2
	;; [unrolled: 1-line block ×3, first 2 shown]
	ds_write_b128 v19, v[2:5]
; %bb.5:                                ;   in Loop: Header=BB899_3 Depth=1
	s_andn2_saveexec_b64 s[0:1], s[0:1]
	s_cbranch_execz .LBB899_7
; %bb.6:                                ;   in Loop: Header=BB899_3 Depth=1
	flat_load_dwordx4 v[3:6], v[12:13]
	s_waitcnt vmcnt(0) lgkmcnt(0)
	ds_write2_b64 v19, v[3:4], v[5:6] offset1:1
.LBB899_7:                              ;   in Loop: Header=BB899_3 Depth=1
	s_or_b64 exec, exec, s[0:1]
	v_add_u32_e32 v3, s9, v0
	v_cmp_gt_i32_e64 s[0:1], s17, v3
	v_mov_b32_e32 v3, 0
	v_mov_b32_e32 v5, 0
	;; [unrolled: 1-line block ×4, first 2 shown]
	s_and_b64 s[20:21], vcc, s[0:1]
	s_and_saveexec_b64 s[0:1], s[20:21]
	s_cbranch_execz .LBB899_2
; %bb.8:                                ;   in Loop: Header=BB899_3 Depth=1
	flat_load_dwordx4 v[3:6], v[10:11]
	s_waitcnt vmcnt(0) lgkmcnt(0)
	v_xor_b32_e32 v6, 0x80000000, v6
	s_branch .LBB899_2
.LBB899_9:
	v_mov_b32_e32 v14, 0
	v_mov_b32_e32 v16, 0
	;; [unrolled: 1-line block ×4, first 2 shown]
.LBB899_10:
	v_cmp_le_i32_e32 vcc, v9, v7
	v_cmp_gt_i32_e64 s[0:1], s16, v7
	s_and_b64 s[0:1], vcc, s[0:1]
	s_and_saveexec_b64 s[2:3], s[0:1]
	s_cbranch_execz .LBB899_12
; %bb.11:
	s_load_dword s0, s[4:5], 0x60
	v_mul_f64 v[2:3], s[12:13], v[14:15]
	v_mul_f64 v[0:1], s[14:15], v[14:15]
	s_waitcnt lgkmcnt(0)
	v_mov_b32_e32 v6, s11
	v_mad_i64_i32 v[4:5], s[0:1], s0, v9, 0
	v_fma_f64 v[2:3], s[14:15], v[16:17], v[2:3]
	v_lshlrev_b64 v[4:5], 4, v[4:5]
	v_fma_f64 v[0:1], s[12:13], v[16:17], -v[0:1]
	v_add_co_u32_e32 v10, vcc, s10, v4
	v_addc_co_u32_e32 v6, vcc, v6, v5, vcc
	v_lshlrev_b64 v[4:5], 4, v[7:8]
	v_add_co_u32_e32 v4, vcc, v10, v4
	v_addc_co_u32_e32 v5, vcc, v6, v5, vcc
	v_cmp_ne_u32_e32 vcc, v7, v9
	v_cndmask_b32_e32 v3, 0, v3, vcc
	v_cndmask_b32_e32 v2, 0, v2, vcc
	flat_store_dwordx4 v[4:5], v[0:3]
.LBB899_12:
	s_endpgm
	.section	.rodata,"a",@progbits
	.p2align	6, 0x0
	.amdhsa_kernel _ZL32rocblas_syrkx_herkx_small_kernelIi19rocblas_complex_numIdELi16ELb1ELb1ELc78ELc76EKPKS1_KPS1_EviT_T0_PT6_S7_lSA_S7_lS8_PT7_S7_li
		.amdhsa_group_segment_fixed_size 8192
		.amdhsa_private_segment_fixed_size 0
		.amdhsa_kernarg_size 116
		.amdhsa_user_sgpr_count 6
		.amdhsa_user_sgpr_private_segment_buffer 1
		.amdhsa_user_sgpr_dispatch_ptr 0
		.amdhsa_user_sgpr_queue_ptr 0
		.amdhsa_user_sgpr_kernarg_segment_ptr 1
		.amdhsa_user_sgpr_dispatch_id 0
		.amdhsa_user_sgpr_flat_scratch_init 0
		.amdhsa_user_sgpr_private_segment_size 0
		.amdhsa_uses_dynamic_stack 0
		.amdhsa_system_sgpr_private_segment_wavefront_offset 0
		.amdhsa_system_sgpr_workgroup_id_x 1
		.amdhsa_system_sgpr_workgroup_id_y 1
		.amdhsa_system_sgpr_workgroup_id_z 1
		.amdhsa_system_sgpr_workgroup_info 0
		.amdhsa_system_vgpr_workitem_id 1
		.amdhsa_next_free_vgpr 46
		.amdhsa_next_free_sgpr 61
		.amdhsa_reserve_vcc 1
		.amdhsa_reserve_flat_scratch 0
		.amdhsa_float_round_mode_32 0
		.amdhsa_float_round_mode_16_64 0
		.amdhsa_float_denorm_mode_32 3
		.amdhsa_float_denorm_mode_16_64 3
		.amdhsa_dx10_clamp 1
		.amdhsa_ieee_mode 1
		.amdhsa_fp16_overflow 0
		.amdhsa_exception_fp_ieee_invalid_op 0
		.amdhsa_exception_fp_denorm_src 0
		.amdhsa_exception_fp_ieee_div_zero 0
		.amdhsa_exception_fp_ieee_overflow 0
		.amdhsa_exception_fp_ieee_underflow 0
		.amdhsa_exception_fp_ieee_inexact 0
		.amdhsa_exception_int_div_zero 0
	.end_amdhsa_kernel
	.section	.text._ZL32rocblas_syrkx_herkx_small_kernelIi19rocblas_complex_numIdELi16ELb1ELb1ELc78ELc76EKPKS1_KPS1_EviT_T0_PT6_S7_lSA_S7_lS8_PT7_S7_li,"axG",@progbits,_ZL32rocblas_syrkx_herkx_small_kernelIi19rocblas_complex_numIdELi16ELb1ELb1ELc78ELc76EKPKS1_KPS1_EviT_T0_PT6_S7_lSA_S7_lS8_PT7_S7_li,comdat
.Lfunc_end899:
	.size	_ZL32rocblas_syrkx_herkx_small_kernelIi19rocblas_complex_numIdELi16ELb1ELb1ELc78ELc76EKPKS1_KPS1_EviT_T0_PT6_S7_lSA_S7_lS8_PT7_S7_li, .Lfunc_end899-_ZL32rocblas_syrkx_herkx_small_kernelIi19rocblas_complex_numIdELi16ELb1ELb1ELc78ELc76EKPKS1_KPS1_EviT_T0_PT6_S7_lSA_S7_lS8_PT7_S7_li
                                        ; -- End function
	.set _ZL32rocblas_syrkx_herkx_small_kernelIi19rocblas_complex_numIdELi16ELb1ELb1ELc78ELc76EKPKS1_KPS1_EviT_T0_PT6_S7_lSA_S7_lS8_PT7_S7_li.num_vgpr, 46
	.set _ZL32rocblas_syrkx_herkx_small_kernelIi19rocblas_complex_numIdELi16ELb1ELb1ELc78ELc76EKPKS1_KPS1_EviT_T0_PT6_S7_lSA_S7_lS8_PT7_S7_li.num_agpr, 0
	.set _ZL32rocblas_syrkx_herkx_small_kernelIi19rocblas_complex_numIdELi16ELb1ELb1ELc78ELc76EKPKS1_KPS1_EviT_T0_PT6_S7_lSA_S7_lS8_PT7_S7_li.numbered_sgpr, 24
	.set _ZL32rocblas_syrkx_herkx_small_kernelIi19rocblas_complex_numIdELi16ELb1ELb1ELc78ELc76EKPKS1_KPS1_EviT_T0_PT6_S7_lSA_S7_lS8_PT7_S7_li.num_named_barrier, 0
	.set _ZL32rocblas_syrkx_herkx_small_kernelIi19rocblas_complex_numIdELi16ELb1ELb1ELc78ELc76EKPKS1_KPS1_EviT_T0_PT6_S7_lSA_S7_lS8_PT7_S7_li.private_seg_size, 0
	.set _ZL32rocblas_syrkx_herkx_small_kernelIi19rocblas_complex_numIdELi16ELb1ELb1ELc78ELc76EKPKS1_KPS1_EviT_T0_PT6_S7_lSA_S7_lS8_PT7_S7_li.uses_vcc, 1
	.set _ZL32rocblas_syrkx_herkx_small_kernelIi19rocblas_complex_numIdELi16ELb1ELb1ELc78ELc76EKPKS1_KPS1_EviT_T0_PT6_S7_lSA_S7_lS8_PT7_S7_li.uses_flat_scratch, 0
	.set _ZL32rocblas_syrkx_herkx_small_kernelIi19rocblas_complex_numIdELi16ELb1ELb1ELc78ELc76EKPKS1_KPS1_EviT_T0_PT6_S7_lSA_S7_lS8_PT7_S7_li.has_dyn_sized_stack, 0
	.set _ZL32rocblas_syrkx_herkx_small_kernelIi19rocblas_complex_numIdELi16ELb1ELb1ELc78ELc76EKPKS1_KPS1_EviT_T0_PT6_S7_lSA_S7_lS8_PT7_S7_li.has_recursion, 0
	.set _ZL32rocblas_syrkx_herkx_small_kernelIi19rocblas_complex_numIdELi16ELb1ELb1ELc78ELc76EKPKS1_KPS1_EviT_T0_PT6_S7_lSA_S7_lS8_PT7_S7_li.has_indirect_call, 0
	.section	.AMDGPU.csdata,"",@progbits
; Kernel info:
; codeLenInByte = 1808
; TotalNumSgprs: 28
; NumVgprs: 46
; ScratchSize: 0
; MemoryBound: 1
; FloatMode: 240
; IeeeMode: 1
; LDSByteSize: 8192 bytes/workgroup (compile time only)
; SGPRBlocks: 8
; VGPRBlocks: 11
; NumSGPRsForWavesPerEU: 65
; NumVGPRsForWavesPerEU: 46
; Occupancy: 5
; WaveLimiterHint : 1
; COMPUTE_PGM_RSRC2:SCRATCH_EN: 0
; COMPUTE_PGM_RSRC2:USER_SGPR: 6
; COMPUTE_PGM_RSRC2:TRAP_HANDLER: 0
; COMPUTE_PGM_RSRC2:TGID_X_EN: 1
; COMPUTE_PGM_RSRC2:TGID_Y_EN: 1
; COMPUTE_PGM_RSRC2:TGID_Z_EN: 1
; COMPUTE_PGM_RSRC2:TIDIG_COMP_CNT: 1
	.section	.text._ZL32rocblas_syrkx_herkx_small_kernelIi19rocblas_complex_numIdELi16ELb1ELb1ELc84ELc85EKPKS1_KPS1_EviT_T0_PT6_S7_lSA_S7_lS8_PT7_S7_li,"axG",@progbits,_ZL32rocblas_syrkx_herkx_small_kernelIi19rocblas_complex_numIdELi16ELb1ELb1ELc84ELc85EKPKS1_KPS1_EviT_T0_PT6_S7_lSA_S7_lS8_PT7_S7_li,comdat
	.globl	_ZL32rocblas_syrkx_herkx_small_kernelIi19rocblas_complex_numIdELi16ELb1ELb1ELc84ELc85EKPKS1_KPS1_EviT_T0_PT6_S7_lSA_S7_lS8_PT7_S7_li ; -- Begin function _ZL32rocblas_syrkx_herkx_small_kernelIi19rocblas_complex_numIdELi16ELb1ELb1ELc84ELc85EKPKS1_KPS1_EviT_T0_PT6_S7_lSA_S7_lS8_PT7_S7_li
	.p2align	8
	.type	_ZL32rocblas_syrkx_herkx_small_kernelIi19rocblas_complex_numIdELi16ELb1ELb1ELc84ELc85EKPKS1_KPS1_EviT_T0_PT6_S7_lSA_S7_lS8_PT7_S7_li,@function
_ZL32rocblas_syrkx_herkx_small_kernelIi19rocblas_complex_numIdELi16ELb1ELb1ELc84ELc85EKPKS1_KPS1_EviT_T0_PT6_S7_lSA_S7_lS8_PT7_S7_li: ; @_ZL32rocblas_syrkx_herkx_small_kernelIi19rocblas_complex_numIdELi16ELb1ELb1ELc84ELc85EKPKS1_KPS1_EviT_T0_PT6_S7_lSA_S7_lS8_PT7_S7_li
; %bb.0:
	s_load_dwordx2 s[2:3], s[4:5], 0x18
	s_load_dwordx2 s[0:1], s[4:5], 0x58
	;; [unrolled: 1-line block ×3, first 2 shown]
	s_load_dwordx4 s[12:15], s[4:5], 0x8
	s_mov_b32 s9, 0
	s_lshl_b64 s[18:19], s[8:9], 3
	s_waitcnt lgkmcnt(0)
	s_add_u32 s0, s0, s18
	s_addc_u32 s1, s1, s19
	s_load_dwordx2 s[10:11], s[0:1], 0x0
	v_lshl_add_u32 v15, s7, 4, v1
	v_lshl_add_u32 v6, s6, 4, v0
	s_cmp_lt_i32 s17, 1
	v_cmp_gt_i32_e32 vcc, s16, v15
	s_cbranch_scc1 .LBB900_11
; %bb.1:
	s_load_dwordx2 s[6:7], s[4:5], 0x30
	s_load_dword s8, s[4:5], 0x20
	s_load_dword s20, s[4:5], 0x38
	v_lshlrev_b32_e32 v4, 8, v1
	v_lshlrev_b32_e32 v16, 4, v0
	s_waitcnt lgkmcnt(0)
	s_add_u32 s6, s6, s18
	s_addc_u32 s7, s7, s19
	s_add_u32 s2, s2, s18
	s_addc_u32 s3, s3, s19
	s_load_dwordx2 s[18:19], s[2:3], 0x0
	v_mad_i64_i32 v[2:3], s[2:3], s20, v15, 0
	s_load_dwordx2 s[6:7], s[6:7], 0x0
	v_add_u32_e32 v17, v16, v4
	v_lshlrev_b64 v[2:3], 4, v[2:3]
	v_add_u32_e32 v18, 0x1000, v4
	v_add_co_u32_e64 v4, s[2:3], v2, v16
	v_addc_co_u32_e64 v5, s[2:3], 0, v3, s[2:3]
	v_mad_i64_i32 v[2:3], s[2:3], s8, v6, 0
	s_waitcnt lgkmcnt(0)
	v_mov_b32_e32 v8, s7
	v_add_co_u32_e64 v7, s[2:3], s6, v4
	v_lshlrev_b64 v[2:3], 4, v[2:3]
	v_addc_co_u32_e64 v8, s[2:3], v8, v5, s[2:3]
	v_lshlrev_b32_e32 v4, 4, v1
	v_add_co_u32_e64 v2, s[2:3], v2, v4
	v_addc_co_u32_e64 v3, s[2:3], 0, v3, s[2:3]
	v_mov_b32_e32 v4, s19
	v_add_co_u32_e64 v9, s[2:3], s18, v2
	v_cmp_gt_i32_e64 s[0:1], s16, v6
	v_addc_co_u32_e64 v10, s[2:3], v4, v3, s[2:3]
	v_mov_b32_e32 v13, 0
	v_mov_b32_e32 v11, 0
	v_add_u32_e32 v19, v18, v16
	v_mov_b32_e32 v14, 0
	s_xor_b64 s[0:1], s[0:1], -1
	s_xor_b64 s[2:3], vcc, -1
	v_mov_b32_e32 v12, 0
	v_mov_b32_e32 v2, 0
	s_branch .LBB900_3
.LBB900_2:                              ;   in Loop: Header=BB900_3 Depth=1
	s_or_b64 exec, exec, s[6:7]
	s_waitcnt lgkmcnt(0)
	s_barrier
	ds_read_b128 v[20:23], v16
	ds_read_b128 v[24:27], v18
	ds_read_b128 v[28:31], v18 offset:16
	ds_read_b128 v[32:35], v16 offset:256
	;; [unrolled: 1-line block ×4, first 2 shown]
	s_waitcnt lgkmcnt(4)
	v_mul_f64 v[3:4], v[26:27], v[22:23]
	v_mul_f64 v[22:23], v[24:25], v[22:23]
	s_waitcnt lgkmcnt(2)
	v_mul_f64 v[44:45], v[30:31], v[34:35]
	v_mul_f64 v[34:35], v[28:29], v[34:35]
	s_waitcnt lgkmcnt(0)
	v_mul_f64 v[48:49], v[38:39], v[42:43]
	v_add_co_u32_e32 v7, vcc, 0x100, v7
	v_addc_co_u32_e32 v8, vcc, 0, v8, vcc
	v_fma_f64 v[3:4], v[24:25], v[20:21], -v[3:4]
	v_fma_f64 v[46:47], v[26:27], v[20:21], v[22:23]
	v_fma_f64 v[28:29], v[28:29], v[32:33], -v[44:45]
	v_fma_f64 v[30:31], v[30:31], v[32:33], v[34:35]
	v_mul_f64 v[32:33], v[36:37], v[42:43]
	ds_read_b128 v[20:23], v18 offset:48
	ds_read_b128 v[24:27], v16 offset:768
	v_fma_f64 v[36:37], v[36:37], v[40:41], -v[48:49]
	s_add_i32 s9, s9, 16
	v_add_f64 v[3:4], v[11:12], v[3:4]
	v_add_f64 v[34:35], v[13:14], v[46:47]
	s_waitcnt lgkmcnt(0)
	v_mul_f64 v[42:43], v[22:23], v[26:27]
	v_mul_f64 v[44:45], v[20:21], v[26:27]
	v_fma_f64 v[38:39], v[38:39], v[40:41], v[32:33]
	ds_read_b128 v[11:14], v18 offset:64
	v_add_co_u32_e32 v9, vcc, 0x100, v9
	v_add_f64 v[3:4], v[3:4], v[28:29]
	v_add_f64 v[34:35], v[34:35], v[30:31]
	ds_read_b128 v[26:29], v16 offset:1024
	v_fma_f64 v[40:41], v[20:21], v[24:25], -v[42:43]
	v_fma_f64 v[24:25], v[22:23], v[24:25], v[44:45]
	ds_read_b128 v[20:23], v18 offset:80
	ds_read_b128 v[30:33], v16 offset:1280
	s_cmp_ge_i32 s9, s17
	s_waitcnt lgkmcnt(2)
	v_mul_f64 v[42:43], v[13:14], v[28:29]
	v_mul_f64 v[28:29], v[11:12], v[28:29]
	v_add_f64 v[3:4], v[3:4], v[36:37]
	v_add_f64 v[38:39], v[34:35], v[38:39]
	s_waitcnt lgkmcnt(0)
	v_mul_f64 v[44:45], v[22:23], v[32:33]
	v_mul_f64 v[32:33], v[20:21], v[32:33]
	ds_read_b128 v[34:37], v18 offset:96
	v_addc_co_u32_e32 v10, vcc, 0, v10, vcc
	v_fma_f64 v[42:43], v[11:12], v[26:27], -v[42:43]
	v_fma_f64 v[28:29], v[13:14], v[26:27], v[28:29]
	v_add_f64 v[3:4], v[3:4], v[40:41]
	v_add_f64 v[46:47], v[38:39], v[24:25]
	ds_read_b128 v[11:14], v16 offset:1536
	v_fma_f64 v[44:45], v[20:21], v[30:31], -v[44:45]
	v_fma_f64 v[30:31], v[22:23], v[30:31], v[32:33]
	ds_read_b128 v[24:27], v18 offset:112
	ds_read_b128 v[38:41], v16 offset:1792
	;; [unrolled: 1-line block ×3, first 2 shown]
	s_waitcnt lgkmcnt(3)
	v_mul_f64 v[48:49], v[36:37], v[13:14]
	v_mul_f64 v[13:14], v[34:35], v[13:14]
	v_add_f64 v[3:4], v[3:4], v[42:43]
	v_add_f64 v[28:29], v[46:47], v[28:29]
	s_waitcnt lgkmcnt(1)
	v_mul_f64 v[32:33], v[26:27], v[40:41]
	v_mul_f64 v[40:41], v[24:25], v[40:41]
	v_fma_f64 v[34:35], v[34:35], v[11:12], -v[48:49]
	v_fma_f64 v[36:37], v[36:37], v[11:12], v[13:14]
	v_add_f64 v[3:4], v[3:4], v[44:45]
	v_add_f64 v[42:43], v[28:29], v[30:31]
	ds_read_b128 v[11:14], v16 offset:2048
	v_fma_f64 v[44:45], v[24:25], v[38:39], -v[32:33]
	v_fma_f64 v[38:39], v[26:27], v[38:39], v[40:41]
	ds_read_b128 v[24:27], v18 offset:144
	ds_read_b128 v[28:31], v16 offset:2304
	s_waitcnt lgkmcnt(2)
	v_mul_f64 v[40:41], v[22:23], v[13:14]
	v_mul_f64 v[13:14], v[20:21], v[13:14]
	v_add_f64 v[3:4], v[3:4], v[34:35]
	v_add_f64 v[36:37], v[42:43], v[36:37]
	s_waitcnt lgkmcnt(0)
	v_mul_f64 v[42:43], v[26:27], v[30:31]
	v_mul_f64 v[30:31], v[24:25], v[30:31]
	ds_read_b128 v[32:35], v18 offset:160
	v_fma_f64 v[40:41], v[20:21], v[11:12], -v[40:41]
	v_fma_f64 v[46:47], v[22:23], v[11:12], v[13:14]
	v_add_f64 v[3:4], v[3:4], v[44:45]
	v_add_f64 v[44:45], v[36:37], v[38:39]
	ds_read_b128 v[11:14], v16 offset:2560
	v_fma_f64 v[42:43], v[24:25], v[28:29], -v[42:43]
	v_fma_f64 v[28:29], v[26:27], v[28:29], v[30:31]
	ds_read_b128 v[20:23], v18 offset:176
	ds_read_b128 v[36:39], v16 offset:2816
	;; [unrolled: 1-line block ×3, first 2 shown]
	s_waitcnt lgkmcnt(3)
	v_mul_f64 v[48:49], v[34:35], v[13:14]
	v_mul_f64 v[13:14], v[32:33], v[13:14]
	v_add_f64 v[3:4], v[3:4], v[40:41]
	v_add_f64 v[30:31], v[44:45], v[46:47]
	s_waitcnt lgkmcnt(1)
	v_mul_f64 v[40:41], v[22:23], v[38:39]
	v_mul_f64 v[38:39], v[20:21], v[38:39]
	v_fma_f64 v[32:33], v[32:33], v[11:12], -v[48:49]
	v_fma_f64 v[34:35], v[34:35], v[11:12], v[13:14]
	v_add_f64 v[3:4], v[3:4], v[42:43]
	v_add_f64 v[42:43], v[30:31], v[28:29]
	ds_read_b128 v[11:14], v16 offset:3072
	v_fma_f64 v[40:41], v[20:21], v[36:37], -v[40:41]
	v_fma_f64 v[36:37], v[22:23], v[36:37], v[38:39]
	ds_read_b128 v[20:23], v18 offset:208
	ds_read_b128 v[28:31], v16 offset:3328
	s_waitcnt lgkmcnt(2)
	v_mul_f64 v[38:39], v[26:27], v[13:14]
	v_mul_f64 v[13:14], v[24:25], v[13:14]
	v_add_f64 v[3:4], v[3:4], v[32:33]
	v_add_f64 v[42:43], v[42:43], v[34:35]
	s_waitcnt lgkmcnt(0)
	v_mul_f64 v[44:45], v[22:23], v[30:31]
	v_mul_f64 v[30:31], v[20:21], v[30:31]
	ds_read_b128 v[32:35], v18 offset:224
	v_fma_f64 v[46:47], v[24:25], v[11:12], -v[38:39]
	v_fma_f64 v[48:49], v[26:27], v[11:12], v[13:14]
	v_add_f64 v[3:4], v[3:4], v[40:41]
	v_add_f64 v[40:41], v[42:43], v[36:37]
	ds_read_b128 v[11:14], v16 offset:3584
	v_fma_f64 v[20:21], v[20:21], v[28:29], -v[44:45]
	v_fma_f64 v[22:23], v[22:23], v[28:29], v[30:31]
	ds_read_b128 v[24:27], v18 offset:240
	ds_read_b128 v[36:39], v16 offset:3840
	s_waitcnt lgkmcnt(0)
	v_mul_f64 v[42:43], v[34:35], v[13:14]
	v_mul_f64 v[13:14], v[32:33], v[13:14]
	v_add_f64 v[3:4], v[3:4], v[46:47]
	v_add_f64 v[28:29], v[40:41], v[48:49]
	v_mul_f64 v[30:31], v[26:27], v[38:39]
	v_mul_f64 v[38:39], v[24:25], v[38:39]
	s_barrier
	v_fma_f64 v[32:33], v[32:33], v[11:12], -v[42:43]
	v_fma_f64 v[11:12], v[34:35], v[11:12], v[13:14]
	v_add_f64 v[3:4], v[3:4], v[20:21]
	v_add_f64 v[13:14], v[28:29], v[22:23]
	v_fma_f64 v[20:21], v[24:25], v[36:37], -v[30:31]
	v_fma_f64 v[22:23], v[26:27], v[36:37], v[38:39]
	v_add_f64 v[3:4], v[3:4], v[32:33]
	v_add_f64 v[13:14], v[13:14], v[11:12]
	;; [unrolled: 1-line block ×4, first 2 shown]
	s_cbranch_scc1 .LBB900_12
.LBB900_3:                              ; =>This Inner Loop Header: Depth=1
	v_add_u32_e32 v3, s9, v1
	v_cmp_le_i32_e32 vcc, s17, v3
	s_or_b64 s[6:7], s[0:1], vcc
	s_and_saveexec_b64 s[18:19], s[6:7]
	s_xor_b64 s[6:7], exec, s[18:19]
; %bb.4:                                ;   in Loop: Header=BB900_3 Depth=1
	v_mov_b32_e32 v3, v2
	v_mov_b32_e32 v4, v2
	;; [unrolled: 1-line block ×3, first 2 shown]
	ds_write_b128 v17, v[2:5]
; %bb.5:                                ;   in Loop: Header=BB900_3 Depth=1
	s_andn2_saveexec_b64 s[6:7], s[6:7]
	s_cbranch_execz .LBB900_7
; %bb.6:                                ;   in Loop: Header=BB900_3 Depth=1
	flat_load_dwordx4 v[20:23], v[9:10]
	s_waitcnt vmcnt(0) lgkmcnt(0)
	ds_write2_b64 v17, v[20:21], v[22:23] offset1:1
.LBB900_7:                              ;   in Loop: Header=BB900_3 Depth=1
	s_or_b64 exec, exec, s[6:7]
	v_add_u32_e32 v3, s9, v0
	v_cmp_le_i32_e32 vcc, s17, v3
	s_or_b64 s[6:7], s[2:3], vcc
	s_and_saveexec_b64 s[18:19], s[6:7]
	s_xor_b64 s[6:7], exec, s[18:19]
; %bb.8:                                ;   in Loop: Header=BB900_3 Depth=1
	v_mov_b32_e32 v3, v2
	v_mov_b32_e32 v4, v2
	;; [unrolled: 1-line block ×3, first 2 shown]
	ds_write_b128 v19, v[2:5]
; %bb.9:                                ;   in Loop: Header=BB900_3 Depth=1
	s_andn2_saveexec_b64 s[6:7], s[6:7]
	s_cbranch_execz .LBB900_2
; %bb.10:                               ;   in Loop: Header=BB900_3 Depth=1
	flat_load_dwordx4 v[20:23], v[7:8]
	s_waitcnt vmcnt(0) lgkmcnt(0)
	ds_write2_b64 v19, v[20:21], v[22:23] offset1:1
	s_branch .LBB900_2
.LBB900_11:
	v_mov_b32_e32 v13, 0
	v_mov_b32_e32 v11, 0
	;; [unrolled: 1-line block ×4, first 2 shown]
.LBB900_12:
	v_cmp_le_i32_e32 vcc, v6, v15
	v_cmp_gt_i32_e64 s[0:1], s16, v15
	s_and_b64 s[0:1], vcc, s[0:1]
	s_and_saveexec_b64 s[2:3], s[0:1]
	s_cbranch_execz .LBB900_14
; %bb.13:
	s_load_dword s0, s[4:5], 0x60
	v_mul_f64 v[2:3], s[12:13], v[13:14]
	v_mul_f64 v[0:1], s[14:15], v[13:14]
	v_ashrrev_i32_e32 v7, 31, v6
	s_waitcnt lgkmcnt(0)
	v_mov_b32_e32 v8, s11
	v_mad_i64_i32 v[4:5], s[0:1], s0, v15, 0
	v_fma_f64 v[2:3], s[14:15], v[11:12], v[2:3]
	v_lshlrev_b64 v[4:5], 4, v[4:5]
	v_fma_f64 v[0:1], s[12:13], v[11:12], -v[0:1]
	v_add_co_u32_e32 v9, vcc, s10, v4
	v_addc_co_u32_e32 v8, vcc, v8, v5, vcc
	v_lshlrev_b64 v[4:5], 4, v[6:7]
	v_add_co_u32_e32 v4, vcc, v9, v4
	v_addc_co_u32_e32 v5, vcc, v8, v5, vcc
	v_cmp_ne_u32_e32 vcc, v6, v15
	v_cndmask_b32_e32 v3, 0, v3, vcc
	v_cndmask_b32_e32 v2, 0, v2, vcc
	flat_store_dwordx4 v[4:5], v[0:3]
.LBB900_14:
	s_endpgm
	.section	.rodata,"a",@progbits
	.p2align	6, 0x0
	.amdhsa_kernel _ZL32rocblas_syrkx_herkx_small_kernelIi19rocblas_complex_numIdELi16ELb1ELb1ELc84ELc85EKPKS1_KPS1_EviT_T0_PT6_S7_lSA_S7_lS8_PT7_S7_li
		.amdhsa_group_segment_fixed_size 8192
		.amdhsa_private_segment_fixed_size 0
		.amdhsa_kernarg_size 116
		.amdhsa_user_sgpr_count 6
		.amdhsa_user_sgpr_private_segment_buffer 1
		.amdhsa_user_sgpr_dispatch_ptr 0
		.amdhsa_user_sgpr_queue_ptr 0
		.amdhsa_user_sgpr_kernarg_segment_ptr 1
		.amdhsa_user_sgpr_dispatch_id 0
		.amdhsa_user_sgpr_flat_scratch_init 0
		.amdhsa_user_sgpr_private_segment_size 0
		.amdhsa_uses_dynamic_stack 0
		.amdhsa_system_sgpr_private_segment_wavefront_offset 0
		.amdhsa_system_sgpr_workgroup_id_x 1
		.amdhsa_system_sgpr_workgroup_id_y 1
		.amdhsa_system_sgpr_workgroup_id_z 1
		.amdhsa_system_sgpr_workgroup_info 0
		.amdhsa_system_vgpr_workitem_id 1
		.amdhsa_next_free_vgpr 50
		.amdhsa_next_free_sgpr 61
		.amdhsa_reserve_vcc 1
		.amdhsa_reserve_flat_scratch 0
		.amdhsa_float_round_mode_32 0
		.amdhsa_float_round_mode_16_64 0
		.amdhsa_float_denorm_mode_32 3
		.amdhsa_float_denorm_mode_16_64 3
		.amdhsa_dx10_clamp 1
		.amdhsa_ieee_mode 1
		.amdhsa_fp16_overflow 0
		.amdhsa_exception_fp_ieee_invalid_op 0
		.amdhsa_exception_fp_denorm_src 0
		.amdhsa_exception_fp_ieee_div_zero 0
		.amdhsa_exception_fp_ieee_overflow 0
		.amdhsa_exception_fp_ieee_underflow 0
		.amdhsa_exception_fp_ieee_inexact 0
		.amdhsa_exception_int_div_zero 0
	.end_amdhsa_kernel
	.section	.text._ZL32rocblas_syrkx_herkx_small_kernelIi19rocblas_complex_numIdELi16ELb1ELb1ELc84ELc85EKPKS1_KPS1_EviT_T0_PT6_S7_lSA_S7_lS8_PT7_S7_li,"axG",@progbits,_ZL32rocblas_syrkx_herkx_small_kernelIi19rocblas_complex_numIdELi16ELb1ELb1ELc84ELc85EKPKS1_KPS1_EviT_T0_PT6_S7_lSA_S7_lS8_PT7_S7_li,comdat
.Lfunc_end900:
	.size	_ZL32rocblas_syrkx_herkx_small_kernelIi19rocblas_complex_numIdELi16ELb1ELb1ELc84ELc85EKPKS1_KPS1_EviT_T0_PT6_S7_lSA_S7_lS8_PT7_S7_li, .Lfunc_end900-_ZL32rocblas_syrkx_herkx_small_kernelIi19rocblas_complex_numIdELi16ELb1ELb1ELc84ELc85EKPKS1_KPS1_EviT_T0_PT6_S7_lSA_S7_lS8_PT7_S7_li
                                        ; -- End function
	.set _ZL32rocblas_syrkx_herkx_small_kernelIi19rocblas_complex_numIdELi16ELb1ELb1ELc84ELc85EKPKS1_KPS1_EviT_T0_PT6_S7_lSA_S7_lS8_PT7_S7_li.num_vgpr, 50
	.set _ZL32rocblas_syrkx_herkx_small_kernelIi19rocblas_complex_numIdELi16ELb1ELb1ELc84ELc85EKPKS1_KPS1_EviT_T0_PT6_S7_lSA_S7_lS8_PT7_S7_li.num_agpr, 0
	.set _ZL32rocblas_syrkx_herkx_small_kernelIi19rocblas_complex_numIdELi16ELb1ELb1ELc84ELc85EKPKS1_KPS1_EviT_T0_PT6_S7_lSA_S7_lS8_PT7_S7_li.numbered_sgpr, 21
	.set _ZL32rocblas_syrkx_herkx_small_kernelIi19rocblas_complex_numIdELi16ELb1ELb1ELc84ELc85EKPKS1_KPS1_EviT_T0_PT6_S7_lSA_S7_lS8_PT7_S7_li.num_named_barrier, 0
	.set _ZL32rocblas_syrkx_herkx_small_kernelIi19rocblas_complex_numIdELi16ELb1ELb1ELc84ELc85EKPKS1_KPS1_EviT_T0_PT6_S7_lSA_S7_lS8_PT7_S7_li.private_seg_size, 0
	.set _ZL32rocblas_syrkx_herkx_small_kernelIi19rocblas_complex_numIdELi16ELb1ELb1ELc84ELc85EKPKS1_KPS1_EviT_T0_PT6_S7_lSA_S7_lS8_PT7_S7_li.uses_vcc, 1
	.set _ZL32rocblas_syrkx_herkx_small_kernelIi19rocblas_complex_numIdELi16ELb1ELb1ELc84ELc85EKPKS1_KPS1_EviT_T0_PT6_S7_lSA_S7_lS8_PT7_S7_li.uses_flat_scratch, 0
	.set _ZL32rocblas_syrkx_herkx_small_kernelIi19rocblas_complex_numIdELi16ELb1ELb1ELc84ELc85EKPKS1_KPS1_EviT_T0_PT6_S7_lSA_S7_lS8_PT7_S7_li.has_dyn_sized_stack, 0
	.set _ZL32rocblas_syrkx_herkx_small_kernelIi19rocblas_complex_numIdELi16ELb1ELb1ELc84ELc85EKPKS1_KPS1_EviT_T0_PT6_S7_lSA_S7_lS8_PT7_S7_li.has_recursion, 0
	.set _ZL32rocblas_syrkx_herkx_small_kernelIi19rocblas_complex_numIdELi16ELb1ELb1ELc84ELc85EKPKS1_KPS1_EviT_T0_PT6_S7_lSA_S7_lS8_PT7_S7_li.has_indirect_call, 0
	.section	.AMDGPU.csdata,"",@progbits
; Kernel info:
; codeLenInByte = 1760
; TotalNumSgprs: 25
; NumVgprs: 50
; ScratchSize: 0
; MemoryBound: 0
; FloatMode: 240
; IeeeMode: 1
; LDSByteSize: 8192 bytes/workgroup (compile time only)
; SGPRBlocks: 8
; VGPRBlocks: 12
; NumSGPRsForWavesPerEU: 65
; NumVGPRsForWavesPerEU: 50
; Occupancy: 4
; WaveLimiterHint : 1
; COMPUTE_PGM_RSRC2:SCRATCH_EN: 0
; COMPUTE_PGM_RSRC2:USER_SGPR: 6
; COMPUTE_PGM_RSRC2:TRAP_HANDLER: 0
; COMPUTE_PGM_RSRC2:TGID_X_EN: 1
; COMPUTE_PGM_RSRC2:TGID_Y_EN: 1
; COMPUTE_PGM_RSRC2:TGID_Z_EN: 1
; COMPUTE_PGM_RSRC2:TIDIG_COMP_CNT: 1
	.section	.text._ZL32rocblas_syrkx_herkx_small_kernelIi19rocblas_complex_numIdELi16ELb1ELb1ELc67ELc85EKPKS1_KPS1_EviT_T0_PT6_S7_lSA_S7_lS8_PT7_S7_li,"axG",@progbits,_ZL32rocblas_syrkx_herkx_small_kernelIi19rocblas_complex_numIdELi16ELb1ELb1ELc67ELc85EKPKS1_KPS1_EviT_T0_PT6_S7_lSA_S7_lS8_PT7_S7_li,comdat
	.globl	_ZL32rocblas_syrkx_herkx_small_kernelIi19rocblas_complex_numIdELi16ELb1ELb1ELc67ELc85EKPKS1_KPS1_EviT_T0_PT6_S7_lSA_S7_lS8_PT7_S7_li ; -- Begin function _ZL32rocblas_syrkx_herkx_small_kernelIi19rocblas_complex_numIdELi16ELb1ELb1ELc67ELc85EKPKS1_KPS1_EviT_T0_PT6_S7_lSA_S7_lS8_PT7_S7_li
	.p2align	8
	.type	_ZL32rocblas_syrkx_herkx_small_kernelIi19rocblas_complex_numIdELi16ELb1ELb1ELc67ELc85EKPKS1_KPS1_EviT_T0_PT6_S7_lSA_S7_lS8_PT7_S7_li,@function
_ZL32rocblas_syrkx_herkx_small_kernelIi19rocblas_complex_numIdELi16ELb1ELb1ELc67ELc85EKPKS1_KPS1_EviT_T0_PT6_S7_lSA_S7_lS8_PT7_S7_li: ; @_ZL32rocblas_syrkx_herkx_small_kernelIi19rocblas_complex_numIdELi16ELb1ELb1ELc67ELc85EKPKS1_KPS1_EviT_T0_PT6_S7_lSA_S7_lS8_PT7_S7_li
; %bb.0:
	s_load_dwordx2 s[2:3], s[4:5], 0x18
	s_load_dwordx2 s[0:1], s[4:5], 0x58
	;; [unrolled: 1-line block ×3, first 2 shown]
	s_load_dwordx4 s[12:15], s[4:5], 0x8
	s_mov_b32 s9, 0
	s_lshl_b64 s[18:19], s[8:9], 3
	s_waitcnt lgkmcnt(0)
	s_add_u32 s0, s0, s18
	s_addc_u32 s1, s1, s19
	s_load_dwordx2 s[10:11], s[0:1], 0x0
	v_lshl_add_u32 v16, s7, 4, v1
	v_lshl_add_u32 v7, s6, 4, v0
	s_cmp_lt_i32 s17, 1
	v_cmp_gt_i32_e32 vcc, s16, v16
	s_cbranch_scc1 .LBB901_9
; %bb.1:
	s_load_dwordx2 s[6:7], s[4:5], 0x30
	s_load_dword s8, s[4:5], 0x20
	s_load_dword s20, s[4:5], 0x38
	v_lshlrev_b32_e32 v4, 8, v1
	v_lshlrev_b32_e32 v17, 4, v0
	s_waitcnt lgkmcnt(0)
	s_add_u32 s6, s6, s18
	s_addc_u32 s7, s7, s19
	s_add_u32 s2, s2, s18
	s_addc_u32 s3, s3, s19
	s_load_dwordx2 s[18:19], s[2:3], 0x0
	v_mad_i64_i32 v[2:3], s[2:3], s20, v16, 0
	s_load_dwordx2 s[6:7], s[6:7], 0x0
	v_add_u32_e32 v18, v17, v4
	v_lshlrev_b64 v[2:3], 4, v[2:3]
	v_add_u32_e32 v19, 0x1000, v4
	v_add_co_u32_e64 v4, s[2:3], v2, v17
	v_addc_co_u32_e64 v5, s[2:3], 0, v3, s[2:3]
	v_mad_i64_i32 v[2:3], s[2:3], s8, v7, 0
	s_waitcnt lgkmcnt(0)
	v_mov_b32_e32 v6, s7
	v_add_co_u32_e64 v8, s[2:3], s6, v4
	v_lshlrev_b64 v[2:3], 4, v[2:3]
	v_addc_co_u32_e64 v9, s[2:3], v6, v5, s[2:3]
	v_lshlrev_b32_e32 v4, 4, v1
	v_add_co_u32_e64 v2, s[2:3], v2, v4
	v_addc_co_u32_e64 v3, s[2:3], 0, v3, s[2:3]
	v_mov_b32_e32 v4, s19
	v_add_co_u32_e64 v10, s[2:3], s18, v2
	v_addc_co_u32_e64 v11, s[2:3], v4, v3, s[2:3]
	v_mov_b32_e32 v14, 0
	v_mov_b32_e32 v12, 0
	v_cmp_gt_i32_e64 s[0:1], s16, v7
	v_add_u32_e32 v20, v19, v17
	v_mov_b32_e32 v15, 0
	s_xor_b64 s[2:3], vcc, -1
	v_mov_b32_e32 v13, 0
	v_mov_b32_e32 v2, 0
	s_branch .LBB901_3
.LBB901_2:                              ;   in Loop: Header=BB901_3 Depth=1
	s_or_b64 exec, exec, s[6:7]
	s_waitcnt lgkmcnt(0)
	s_barrier
	ds_read_b128 v[3:6], v17
	ds_read_b128 v[21:24], v19
	ds_read_b128 v[25:28], v19 offset:16
	ds_read_b128 v[29:32], v17 offset:256
	;; [unrolled: 1-line block ×4, first 2 shown]
	s_waitcnt lgkmcnt(4)
	v_mul_f64 v[41:42], v[23:24], v[5:6]
	v_mul_f64 v[5:6], v[21:22], v[5:6]
	s_waitcnt lgkmcnt(2)
	v_mul_f64 v[43:44], v[27:28], v[31:32]
	v_mul_f64 v[31:32], v[25:26], v[31:32]
	s_waitcnt lgkmcnt(0)
	v_mul_f64 v[47:48], v[35:36], v[39:40]
	v_add_co_u32_e32 v8, vcc, 0x100, v8
	v_addc_co_u32_e32 v9, vcc, 0, v9, vcc
	v_fma_f64 v[41:42], v[21:22], v[3:4], -v[41:42]
	v_fma_f64 v[45:46], v[23:24], v[3:4], v[5:6]
	v_fma_f64 v[25:26], v[25:26], v[29:30], -v[43:44]
	v_fma_f64 v[27:28], v[27:28], v[29:30], v[31:32]
	v_mul_f64 v[29:30], v[33:34], v[39:40]
	ds_read_b128 v[3:6], v19 offset:48
	ds_read_b128 v[21:24], v17 offset:768
	v_fma_f64 v[33:34], v[33:34], v[37:38], -v[47:48]
	s_add_i32 s9, s9, 16
	v_add_f64 v[31:32], v[12:13], v[41:42]
	v_add_f64 v[39:40], v[14:15], v[45:46]
	s_waitcnt lgkmcnt(0)
	v_mul_f64 v[41:42], v[5:6], v[23:24]
	v_mul_f64 v[43:44], v[3:4], v[23:24]
	v_fma_f64 v[35:36], v[35:36], v[37:38], v[29:30]
	ds_read_b128 v[12:15], v19 offset:64
	v_add_co_u32_e32 v10, vcc, 0x100, v10
	v_add_f64 v[31:32], v[31:32], v[25:26]
	v_add_f64 v[37:38], v[39:40], v[27:28]
	ds_read_b128 v[23:26], v17 offset:1024
	v_fma_f64 v[39:40], v[3:4], v[21:22], -v[41:42]
	v_fma_f64 v[21:22], v[5:6], v[21:22], v[43:44]
	ds_read_b128 v[3:6], v19 offset:80
	ds_read_b128 v[27:30], v17 offset:1280
	s_cmp_ge_i32 s9, s17
	s_waitcnt lgkmcnt(2)
	v_mul_f64 v[41:42], v[14:15], v[25:26]
	v_mul_f64 v[25:26], v[12:13], v[25:26]
	v_add_f64 v[43:44], v[31:32], v[33:34]
	v_add_f64 v[35:36], v[37:38], v[35:36]
	s_waitcnt lgkmcnt(0)
	v_mul_f64 v[45:46], v[5:6], v[29:30]
	v_mul_f64 v[29:30], v[3:4], v[29:30]
	ds_read_b128 v[31:34], v19 offset:96
	v_addc_co_u32_e32 v11, vcc, 0, v11, vcc
	v_fma_f64 v[41:42], v[12:13], v[23:24], -v[41:42]
	v_fma_f64 v[25:26], v[14:15], v[23:24], v[25:26]
	v_add_f64 v[39:40], v[43:44], v[39:40]
	v_add_f64 v[43:44], v[35:36], v[21:22]
	ds_read_b128 v[12:15], v17 offset:1536
	v_fma_f64 v[45:46], v[3:4], v[27:28], -v[45:46]
	v_fma_f64 v[27:28], v[5:6], v[27:28], v[29:30]
	ds_read_b128 v[21:24], v19 offset:112
	ds_read_b128 v[35:38], v17 offset:1792
	ds_read_b128 v[3:6], v19 offset:128
	s_waitcnt lgkmcnt(3)
	v_mul_f64 v[47:48], v[33:34], v[14:15]
	v_mul_f64 v[14:15], v[31:32], v[14:15]
	v_add_f64 v[29:30], v[39:40], v[41:42]
	v_add_f64 v[25:26], v[43:44], v[25:26]
	s_waitcnt lgkmcnt(1)
	v_mul_f64 v[39:40], v[23:24], v[37:38]
	v_mul_f64 v[37:38], v[21:22], v[37:38]
	v_fma_f64 v[31:32], v[31:32], v[12:13], -v[47:48]
	v_fma_f64 v[33:34], v[33:34], v[12:13], v[14:15]
	v_add_f64 v[29:30], v[29:30], v[45:46]
	v_add_f64 v[41:42], v[25:26], v[27:28]
	ds_read_b128 v[12:15], v17 offset:2048
	v_fma_f64 v[39:40], v[21:22], v[35:36], -v[39:40]
	v_fma_f64 v[35:36], v[23:24], v[35:36], v[37:38]
	ds_read_b128 v[21:24], v19 offset:144
	ds_read_b128 v[25:28], v17 offset:2304
	s_waitcnt lgkmcnt(2)
	v_mul_f64 v[37:38], v[5:6], v[14:15]
	v_mul_f64 v[14:15], v[3:4], v[14:15]
	v_add_f64 v[43:44], v[29:30], v[31:32]
	v_add_f64 v[33:34], v[41:42], v[33:34]
	s_waitcnt lgkmcnt(0)
	v_mul_f64 v[41:42], v[23:24], v[27:28]
	v_mul_f64 v[27:28], v[21:22], v[27:28]
	ds_read_b128 v[29:32], v19 offset:160
	v_fma_f64 v[37:38], v[3:4], v[12:13], -v[37:38]
	v_fma_f64 v[45:46], v[5:6], v[12:13], v[14:15]
	v_add_f64 v[39:40], v[43:44], v[39:40]
	v_add_f64 v[43:44], v[33:34], v[35:36]
	ds_read_b128 v[3:6], v17 offset:2560
	v_fma_f64 v[41:42], v[21:22], v[25:26], -v[41:42]
	v_fma_f64 v[25:26], v[23:24], v[25:26], v[27:28]
	ds_read_b128 v[12:15], v19 offset:176
	ds_read_b128 v[33:36], v17 offset:2816
	;; [unrolled: 1-line block ×3, first 2 shown]
	s_waitcnt lgkmcnt(3)
	v_mul_f64 v[47:48], v[31:32], v[5:6]
	v_mul_f64 v[5:6], v[29:30], v[5:6]
	v_add_f64 v[27:28], v[39:40], v[37:38]
	v_add_f64 v[37:38], v[43:44], v[45:46]
	s_waitcnt lgkmcnt(1)
	v_mul_f64 v[39:40], v[14:15], v[35:36]
	v_mul_f64 v[35:36], v[12:13], v[35:36]
	v_fma_f64 v[29:30], v[29:30], v[3:4], -v[47:48]
	v_fma_f64 v[31:32], v[31:32], v[3:4], v[5:6]
	v_add_f64 v[41:42], v[27:28], v[41:42]
	v_add_f64 v[37:38], v[37:38], v[25:26]
	ds_read_b128 v[3:6], v17 offset:3072
	v_fma_f64 v[39:40], v[12:13], v[33:34], -v[39:40]
	v_fma_f64 v[33:34], v[14:15], v[33:34], v[35:36]
	ds_read_b128 v[12:15], v19 offset:208
	ds_read_b128 v[25:28], v17 offset:3328
	s_waitcnt lgkmcnt(2)
	v_mul_f64 v[35:36], v[23:24], v[5:6]
	v_mul_f64 v[5:6], v[21:22], v[5:6]
	v_add_f64 v[41:42], v[41:42], v[29:30]
	v_add_f64 v[37:38], v[37:38], v[31:32]
	s_waitcnt lgkmcnt(0)
	v_mul_f64 v[43:44], v[14:15], v[27:28]
	v_mul_f64 v[27:28], v[12:13], v[27:28]
	ds_read_b128 v[29:32], v19 offset:224
	v_fma_f64 v[45:46], v[21:22], v[3:4], -v[35:36]
	v_fma_f64 v[47:48], v[23:24], v[3:4], v[5:6]
	v_add_f64 v[39:40], v[41:42], v[39:40]
	v_add_f64 v[37:38], v[37:38], v[33:34]
	ds_read_b128 v[3:6], v17 offset:3584
	v_fma_f64 v[12:13], v[12:13], v[25:26], -v[43:44]
	v_fma_f64 v[14:15], v[14:15], v[25:26], v[27:28]
	ds_read_b128 v[21:24], v19 offset:240
	ds_read_b128 v[33:36], v17 offset:3840
	s_waitcnt lgkmcnt(0)
	v_mul_f64 v[41:42], v[31:32], v[5:6]
	v_mul_f64 v[5:6], v[29:30], v[5:6]
	v_add_f64 v[25:26], v[39:40], v[45:46]
	v_add_f64 v[27:28], v[37:38], v[47:48]
	v_mul_f64 v[37:38], v[23:24], v[35:36]
	v_mul_f64 v[35:36], v[21:22], v[35:36]
	s_barrier
	v_fma_f64 v[29:30], v[29:30], v[3:4], -v[41:42]
	v_fma_f64 v[3:4], v[31:32], v[3:4], v[5:6]
	v_add_f64 v[5:6], v[25:26], v[12:13]
	v_add_f64 v[12:13], v[27:28], v[14:15]
	v_fma_f64 v[14:15], v[21:22], v[33:34], -v[37:38]
	v_fma_f64 v[21:22], v[23:24], v[33:34], v[35:36]
	v_add_f64 v[5:6], v[5:6], v[29:30]
	v_add_f64 v[3:4], v[12:13], v[3:4]
	;; [unrolled: 1-line block ×4, first 2 shown]
	s_cbranch_scc1 .LBB901_10
.LBB901_3:                              ; =>This Inner Loop Header: Depth=1
	v_add_u32_e32 v3, s9, v1
	v_cmp_gt_i32_e32 vcc, s17, v3
	v_mov_b32_e32 v3, 0
	v_mov_b32_e32 v5, 0
	;; [unrolled: 1-line block ×4, first 2 shown]
	s_and_b64 s[18:19], s[0:1], vcc
	s_and_saveexec_b64 s[6:7], s[18:19]
	s_cbranch_execz .LBB901_5
; %bb.4:                                ;   in Loop: Header=BB901_3 Depth=1
	flat_load_dwordx4 v[3:6], v[10:11]
	s_waitcnt vmcnt(0) lgkmcnt(0)
	v_xor_b32_e32 v6, 0x80000000, v6
.LBB901_5:                              ;   in Loop: Header=BB901_3 Depth=1
	s_or_b64 exec, exec, s[6:7]
	ds_write_b128 v18, v[3:6]
	v_add_u32_e32 v3, s9, v0
	v_cmp_le_i32_e32 vcc, s17, v3
	s_or_b64 s[6:7], s[2:3], vcc
	s_and_saveexec_b64 s[18:19], s[6:7]
	s_xor_b64 s[6:7], exec, s[18:19]
; %bb.6:                                ;   in Loop: Header=BB901_3 Depth=1
	v_mov_b32_e32 v3, v2
	v_mov_b32_e32 v4, v2
	;; [unrolled: 1-line block ×3, first 2 shown]
	ds_write_b128 v20, v[2:5]
; %bb.7:                                ;   in Loop: Header=BB901_3 Depth=1
	s_andn2_saveexec_b64 s[6:7], s[6:7]
	s_cbranch_execz .LBB901_2
; %bb.8:                                ;   in Loop: Header=BB901_3 Depth=1
	flat_load_dwordx4 v[3:6], v[8:9]
	s_waitcnt vmcnt(0) lgkmcnt(0)
	ds_write2_b64 v20, v[3:4], v[5:6] offset1:1
	s_branch .LBB901_2
.LBB901_9:
	v_mov_b32_e32 v14, 0
	v_mov_b32_e32 v12, 0
	;; [unrolled: 1-line block ×4, first 2 shown]
.LBB901_10:
	v_cmp_le_i32_e32 vcc, v7, v16
	v_cmp_gt_i32_e64 s[0:1], s16, v16
	s_and_b64 s[0:1], vcc, s[0:1]
	s_and_saveexec_b64 s[2:3], s[0:1]
	s_cbranch_execz .LBB901_12
; %bb.11:
	s_load_dword s0, s[4:5], 0x60
	v_mul_f64 v[2:3], s[12:13], v[14:15]
	v_mul_f64 v[0:1], s[14:15], v[14:15]
	v_ashrrev_i32_e32 v8, 31, v7
	s_waitcnt lgkmcnt(0)
	v_mov_b32_e32 v6, s11
	v_mad_i64_i32 v[4:5], s[0:1], s0, v16, 0
	v_fma_f64 v[2:3], s[14:15], v[12:13], v[2:3]
	v_lshlrev_b64 v[4:5], 4, v[4:5]
	v_fma_f64 v[0:1], s[12:13], v[12:13], -v[0:1]
	v_add_co_u32_e32 v9, vcc, s10, v4
	v_addc_co_u32_e32 v6, vcc, v6, v5, vcc
	v_lshlrev_b64 v[4:5], 4, v[7:8]
	v_add_co_u32_e32 v4, vcc, v9, v4
	v_addc_co_u32_e32 v5, vcc, v6, v5, vcc
	v_cmp_ne_u32_e32 vcc, v7, v16
	v_cndmask_b32_e32 v3, 0, v3, vcc
	v_cndmask_b32_e32 v2, 0, v2, vcc
	flat_store_dwordx4 v[4:5], v[0:3]
.LBB901_12:
	s_endpgm
	.section	.rodata,"a",@progbits
	.p2align	6, 0x0
	.amdhsa_kernel _ZL32rocblas_syrkx_herkx_small_kernelIi19rocblas_complex_numIdELi16ELb1ELb1ELc67ELc85EKPKS1_KPS1_EviT_T0_PT6_S7_lSA_S7_lS8_PT7_S7_li
		.amdhsa_group_segment_fixed_size 8192
		.amdhsa_private_segment_fixed_size 0
		.amdhsa_kernarg_size 116
		.amdhsa_user_sgpr_count 6
		.amdhsa_user_sgpr_private_segment_buffer 1
		.amdhsa_user_sgpr_dispatch_ptr 0
		.amdhsa_user_sgpr_queue_ptr 0
		.amdhsa_user_sgpr_kernarg_segment_ptr 1
		.amdhsa_user_sgpr_dispatch_id 0
		.amdhsa_user_sgpr_flat_scratch_init 0
		.amdhsa_user_sgpr_private_segment_size 0
		.amdhsa_uses_dynamic_stack 0
		.amdhsa_system_sgpr_private_segment_wavefront_offset 0
		.amdhsa_system_sgpr_workgroup_id_x 1
		.amdhsa_system_sgpr_workgroup_id_y 1
		.amdhsa_system_sgpr_workgroup_id_z 1
		.amdhsa_system_sgpr_workgroup_info 0
		.amdhsa_system_vgpr_workitem_id 1
		.amdhsa_next_free_vgpr 49
		.amdhsa_next_free_sgpr 61
		.amdhsa_reserve_vcc 1
		.amdhsa_reserve_flat_scratch 0
		.amdhsa_float_round_mode_32 0
		.amdhsa_float_round_mode_16_64 0
		.amdhsa_float_denorm_mode_32 3
		.amdhsa_float_denorm_mode_16_64 3
		.amdhsa_dx10_clamp 1
		.amdhsa_ieee_mode 1
		.amdhsa_fp16_overflow 0
		.amdhsa_exception_fp_ieee_invalid_op 0
		.amdhsa_exception_fp_denorm_src 0
		.amdhsa_exception_fp_ieee_div_zero 0
		.amdhsa_exception_fp_ieee_overflow 0
		.amdhsa_exception_fp_ieee_underflow 0
		.amdhsa_exception_fp_ieee_inexact 0
		.amdhsa_exception_int_div_zero 0
	.end_amdhsa_kernel
	.section	.text._ZL32rocblas_syrkx_herkx_small_kernelIi19rocblas_complex_numIdELi16ELb1ELb1ELc67ELc85EKPKS1_KPS1_EviT_T0_PT6_S7_lSA_S7_lS8_PT7_S7_li,"axG",@progbits,_ZL32rocblas_syrkx_herkx_small_kernelIi19rocblas_complex_numIdELi16ELb1ELb1ELc67ELc85EKPKS1_KPS1_EviT_T0_PT6_S7_lSA_S7_lS8_PT7_S7_li,comdat
.Lfunc_end901:
	.size	_ZL32rocblas_syrkx_herkx_small_kernelIi19rocblas_complex_numIdELi16ELb1ELb1ELc67ELc85EKPKS1_KPS1_EviT_T0_PT6_S7_lSA_S7_lS8_PT7_S7_li, .Lfunc_end901-_ZL32rocblas_syrkx_herkx_small_kernelIi19rocblas_complex_numIdELi16ELb1ELb1ELc67ELc85EKPKS1_KPS1_EviT_T0_PT6_S7_lSA_S7_lS8_PT7_S7_li
                                        ; -- End function
	.set _ZL32rocblas_syrkx_herkx_small_kernelIi19rocblas_complex_numIdELi16ELb1ELb1ELc67ELc85EKPKS1_KPS1_EviT_T0_PT6_S7_lSA_S7_lS8_PT7_S7_li.num_vgpr, 49
	.set _ZL32rocblas_syrkx_herkx_small_kernelIi19rocblas_complex_numIdELi16ELb1ELb1ELc67ELc85EKPKS1_KPS1_EviT_T0_PT6_S7_lSA_S7_lS8_PT7_S7_li.num_agpr, 0
	.set _ZL32rocblas_syrkx_herkx_small_kernelIi19rocblas_complex_numIdELi16ELb1ELb1ELc67ELc85EKPKS1_KPS1_EviT_T0_PT6_S7_lSA_S7_lS8_PT7_S7_li.numbered_sgpr, 21
	.set _ZL32rocblas_syrkx_herkx_small_kernelIi19rocblas_complex_numIdELi16ELb1ELb1ELc67ELc85EKPKS1_KPS1_EviT_T0_PT6_S7_lSA_S7_lS8_PT7_S7_li.num_named_barrier, 0
	.set _ZL32rocblas_syrkx_herkx_small_kernelIi19rocblas_complex_numIdELi16ELb1ELb1ELc67ELc85EKPKS1_KPS1_EviT_T0_PT6_S7_lSA_S7_lS8_PT7_S7_li.private_seg_size, 0
	.set _ZL32rocblas_syrkx_herkx_small_kernelIi19rocblas_complex_numIdELi16ELb1ELb1ELc67ELc85EKPKS1_KPS1_EviT_T0_PT6_S7_lSA_S7_lS8_PT7_S7_li.uses_vcc, 1
	.set _ZL32rocblas_syrkx_herkx_small_kernelIi19rocblas_complex_numIdELi16ELb1ELb1ELc67ELc85EKPKS1_KPS1_EviT_T0_PT6_S7_lSA_S7_lS8_PT7_S7_li.uses_flat_scratch, 0
	.set _ZL32rocblas_syrkx_herkx_small_kernelIi19rocblas_complex_numIdELi16ELb1ELb1ELc67ELc85EKPKS1_KPS1_EviT_T0_PT6_S7_lSA_S7_lS8_PT7_S7_li.has_dyn_sized_stack, 0
	.set _ZL32rocblas_syrkx_herkx_small_kernelIi19rocblas_complex_numIdELi16ELb1ELb1ELc67ELc85EKPKS1_KPS1_EviT_T0_PT6_S7_lSA_S7_lS8_PT7_S7_li.has_recursion, 0
	.set _ZL32rocblas_syrkx_herkx_small_kernelIi19rocblas_complex_numIdELi16ELb1ELb1ELc67ELc85EKPKS1_KPS1_EviT_T0_PT6_S7_lSA_S7_lS8_PT7_S7_li.has_indirect_call, 0
	.section	.AMDGPU.csdata,"",@progbits
; Kernel info:
; codeLenInByte = 1752
; TotalNumSgprs: 25
; NumVgprs: 49
; ScratchSize: 0
; MemoryBound: 1
; FloatMode: 240
; IeeeMode: 1
; LDSByteSize: 8192 bytes/workgroup (compile time only)
; SGPRBlocks: 8
; VGPRBlocks: 12
; NumSGPRsForWavesPerEU: 65
; NumVGPRsForWavesPerEU: 49
; Occupancy: 4
; WaveLimiterHint : 1
; COMPUTE_PGM_RSRC2:SCRATCH_EN: 0
; COMPUTE_PGM_RSRC2:USER_SGPR: 6
; COMPUTE_PGM_RSRC2:TRAP_HANDLER: 0
; COMPUTE_PGM_RSRC2:TGID_X_EN: 1
; COMPUTE_PGM_RSRC2:TGID_Y_EN: 1
; COMPUTE_PGM_RSRC2:TGID_Z_EN: 1
; COMPUTE_PGM_RSRC2:TIDIG_COMP_CNT: 1
	.section	.text._ZL32rocblas_syrkx_herkx_small_kernelIi19rocblas_complex_numIdELi16ELb1ELb1ELc78ELc85EKPKS1_KPS1_EviT_T0_PT6_S7_lSA_S7_lS8_PT7_S7_li,"axG",@progbits,_ZL32rocblas_syrkx_herkx_small_kernelIi19rocblas_complex_numIdELi16ELb1ELb1ELc78ELc85EKPKS1_KPS1_EviT_T0_PT6_S7_lSA_S7_lS8_PT7_S7_li,comdat
	.globl	_ZL32rocblas_syrkx_herkx_small_kernelIi19rocblas_complex_numIdELi16ELb1ELb1ELc78ELc85EKPKS1_KPS1_EviT_T0_PT6_S7_lSA_S7_lS8_PT7_S7_li ; -- Begin function _ZL32rocblas_syrkx_herkx_small_kernelIi19rocblas_complex_numIdELi16ELb1ELb1ELc78ELc85EKPKS1_KPS1_EviT_T0_PT6_S7_lSA_S7_lS8_PT7_S7_li
	.p2align	8
	.type	_ZL32rocblas_syrkx_herkx_small_kernelIi19rocblas_complex_numIdELi16ELb1ELb1ELc78ELc85EKPKS1_KPS1_EviT_T0_PT6_S7_lSA_S7_lS8_PT7_S7_li,@function
_ZL32rocblas_syrkx_herkx_small_kernelIi19rocblas_complex_numIdELi16ELb1ELb1ELc78ELc85EKPKS1_KPS1_EviT_T0_PT6_S7_lSA_S7_lS8_PT7_S7_li: ; @_ZL32rocblas_syrkx_herkx_small_kernelIi19rocblas_complex_numIdELi16ELb1ELb1ELc78ELc85EKPKS1_KPS1_EviT_T0_PT6_S7_lSA_S7_lS8_PT7_S7_li
; %bb.0:
	s_load_dwordx2 s[0:1], s[4:5], 0x18
	s_load_dwordx2 s[10:11], s[4:5], 0x58
	;; [unrolled: 1-line block ×3, first 2 shown]
	s_load_dwordx4 s[12:15], s[4:5], 0x8
	s_mov_b32 s9, 0
	s_lshl_b64 s[2:3], s[8:9], 3
	s_waitcnt lgkmcnt(0)
	s_add_u32 s10, s10, s2
	s_addc_u32 s11, s11, s3
	s_load_dwordx2 s[10:11], s[10:11], 0x0
	v_lshl_add_u32 v7, s6, 4, v0
	v_lshl_add_u32 v9, s7, 4, v1
	s_cmp_lt_i32 s17, 1
	v_ashrrev_i32_e32 v8, 31, v7
	v_cmp_gt_i32_e32 vcc, s16, v9
	s_cbranch_scc1 .LBB902_9
; %bb.1:
	s_load_dword s18, s[4:5], 0x20
	s_load_dword s6, s[4:5], 0x38
	s_load_dwordx2 s[20:21], s[4:5], 0x30
	v_lshlrev_b32_e32 v4, 8, v1
	v_lshlrev_b32_e32 v18, 4, v0
	s_waitcnt lgkmcnt(0)
	s_ashr_i32 s19, s18, 31
	s_ashr_i32 s7, s6, 31
	s_add_u32 s20, s20, s2
	s_addc_u32 s21, s21, s3
	s_add_u32 s0, s0, s2
	s_addc_u32 s1, s1, s3
	v_mad_i64_i32 v[2:3], s[2:3], s6, v0, 0
	v_ashrrev_i32_e32 v10, 31, v9
	v_add_u32_e32 v19, v18, v4
	v_add_u32_e32 v20, 0x1000, v4
	v_lshlrev_b64 v[2:3], 4, v[2:3]
	v_lshlrev_b64 v[4:5], 4, v[9:10]
	s_load_dwordx2 s[20:21], s[20:21], 0x0
	v_add_co_u32_e64 v4, s[2:3], v2, v4
	v_addc_co_u32_e64 v5, s[2:3], v3, v5, s[2:3]
	v_mad_i64_i32 v[2:3], s[2:3], s18, v1, 0
	s_load_dwordx2 s[22:23], s[0:1], 0x0
	s_waitcnt lgkmcnt(0)
	v_mov_b32_e32 v6, s21
	v_add_co_u32_e64 v10, s[2:3], s20, v4
	v_addc_co_u32_e64 v11, s[2:3], v6, v5, s[2:3]
	v_lshlrev_b64 v[2:3], 4, v[2:3]
	v_lshlrev_b64 v[4:5], 4, v[7:8]
	v_cmp_gt_i32_e64 s[0:1], s16, v7
	v_add_co_u32_e64 v2, s[2:3], v2, v4
	v_addc_co_u32_e64 v3, s[2:3], v3, v5, s[2:3]
	v_mov_b32_e32 v4, s23
	v_add_co_u32_e64 v12, s[2:3], s22, v2
	v_addc_co_u32_e64 v13, s[2:3], v4, v3, s[2:3]
	s_lshl_b64 s[6:7], s[6:7], 8
	s_lshl_b64 s[2:3], s[18:19], 8
	v_mov_b32_e32 v14, 0
	v_mov_b32_e32 v16, 0
	v_add_u32_e32 v21, v20, v18
	v_mov_b32_e32 v15, 0
	s_xor_b64 s[18:19], s[0:1], -1
	v_mov_b32_e32 v22, s7
	v_mov_b32_e32 v23, s3
	;; [unrolled: 1-line block ×4, first 2 shown]
	s_branch .LBB902_3
.LBB902_2:                              ;   in Loop: Header=BB902_3 Depth=1
	s_or_b64 exec, exec, s[0:1]
	ds_write_b128 v21, v[3:6]
	s_waitcnt lgkmcnt(0)
	s_barrier
	ds_read_b128 v[3:6], v18
	ds_read_b128 v[24:27], v20
	ds_read_b128 v[28:31], v20 offset:16
	ds_read_b128 v[32:35], v18 offset:256
	v_add_co_u32_e64 v10, s[0:1], s6, v10
	s_waitcnt lgkmcnt(2)
	v_mul_f64 v[36:37], v[26:27], v[5:6]
	v_mul_f64 v[5:6], v[24:25], v[5:6]
	s_waitcnt lgkmcnt(0)
	v_mul_f64 v[38:39], v[30:31], v[34:35]
	v_mul_f64 v[40:41], v[28:29], v[34:35]
	v_addc_co_u32_e64 v11, s[0:1], v11, v22, s[0:1]
	s_add_i32 s9, s9, 16
	v_add_co_u32_e64 v12, s[0:1], s2, v12
	v_fma_f64 v[42:43], v[24:25], v[3:4], -v[36:37]
	v_fma_f64 v[44:45], v[26:27], v[3:4], v[5:6]
	ds_read_b128 v[3:6], v18 offset:512
	ds_read_b128 v[24:27], v20 offset:32
	;; [unrolled: 1-line block ×3, first 2 shown]
	v_fma_f64 v[38:39], v[28:29], v[32:33], -v[38:39]
	v_fma_f64 v[32:33], v[30:31], v[32:33], v[40:41]
	ds_read_b128 v[28:31], v18 offset:768
	s_waitcnt lgkmcnt(2)
	v_mul_f64 v[40:41], v[26:27], v[5:6]
	v_mul_f64 v[5:6], v[24:25], v[5:6]
	v_add_f64 v[16:17], v[16:17], v[42:43]
	v_add_f64 v[14:15], v[14:15], v[44:45]
	s_waitcnt lgkmcnt(0)
	v_mul_f64 v[42:43], v[36:37], v[30:31]
	v_mul_f64 v[30:31], v[34:35], v[30:31]
	s_cmp_ge_i32 s9, s17
	v_addc_co_u32_e64 v13, s[0:1], v13, v23, s[0:1]
	v_fma_f64 v[40:41], v[24:25], v[3:4], -v[40:41]
	v_fma_f64 v[44:45], v[26:27], v[3:4], v[5:6]
	v_add_f64 v[38:39], v[16:17], v[38:39]
	v_add_f64 v[32:33], v[14:15], v[32:33]
	ds_read_b128 v[3:6], v20 offset:64
	ds_read_b128 v[14:17], v18 offset:1024
	v_fma_f64 v[34:35], v[34:35], v[28:29], -v[42:43]
	v_fma_f64 v[36:37], v[36:37], v[28:29], v[30:31]
	ds_read_b128 v[24:27], v20 offset:80
	ds_read_b128 v[28:31], v18 offset:1280
	s_waitcnt lgkmcnt(2)
	v_mul_f64 v[42:43], v[5:6], v[16:17]
	v_mul_f64 v[16:17], v[3:4], v[16:17]
	v_add_f64 v[38:39], v[38:39], v[40:41]
	v_add_f64 v[32:33], v[32:33], v[44:45]
	s_waitcnt lgkmcnt(0)
	v_mul_f64 v[40:41], v[26:27], v[30:31]
	v_mul_f64 v[30:31], v[24:25], v[30:31]
	v_fma_f64 v[42:43], v[3:4], v[14:15], -v[42:43]
	v_fma_f64 v[44:45], v[5:6], v[14:15], v[16:17]
	v_add_f64 v[34:35], v[38:39], v[34:35]
	v_add_f64 v[32:33], v[32:33], v[36:37]
	ds_read_b128 v[3:6], v20 offset:96
	ds_read_b128 v[14:17], v18 offset:1536
	v_fma_f64 v[36:37], v[24:25], v[28:29], -v[40:41]
	v_fma_f64 v[38:39], v[26:27], v[28:29], v[30:31]
	ds_read_b128 v[24:27], v20 offset:112
	ds_read_b128 v[28:31], v18 offset:1792
	s_waitcnt lgkmcnt(2)
	v_mul_f64 v[40:41], v[5:6], v[16:17]
	v_mul_f64 v[16:17], v[3:4], v[16:17]
	v_add_f64 v[34:35], v[34:35], v[42:43]
	v_add_f64 v[32:33], v[32:33], v[44:45]
	s_waitcnt lgkmcnt(0)
	v_mul_f64 v[42:43], v[26:27], v[30:31]
	v_mul_f64 v[30:31], v[24:25], v[30:31]
	;; [unrolled: 18-line block ×5, first 2 shown]
	v_fma_f64 v[42:43], v[3:4], v[14:15], -v[42:43]
	v_fma_f64 v[44:45], v[5:6], v[14:15], v[16:17]
	v_add_f64 v[34:35], v[34:35], v[36:37]
	v_add_f64 v[32:33], v[32:33], v[38:39]
	ds_read_b128 v[3:6], v20 offset:224
	ds_read_b128 v[14:17], v18 offset:3584
	v_fma_f64 v[36:37], v[24:25], v[28:29], -v[40:41]
	v_fma_f64 v[38:39], v[26:27], v[28:29], v[30:31]
	ds_read_b128 v[24:27], v20 offset:240
	ds_read_b128 v[28:31], v18 offset:3840
	s_waitcnt lgkmcnt(0)
	v_mul_f64 v[40:41], v[5:6], v[16:17]
	v_mul_f64 v[16:17], v[3:4], v[16:17]
	v_add_f64 v[34:35], v[34:35], v[42:43]
	v_add_f64 v[32:33], v[32:33], v[44:45]
	v_mul_f64 v[42:43], v[26:27], v[30:31]
	v_mul_f64 v[30:31], v[24:25], v[30:31]
	s_barrier
	v_fma_f64 v[3:4], v[3:4], v[14:15], -v[40:41]
	v_fma_f64 v[5:6], v[5:6], v[14:15], v[16:17]
	v_add_f64 v[14:15], v[34:35], v[36:37]
	v_add_f64 v[16:17], v[32:33], v[38:39]
	v_fma_f64 v[24:25], v[24:25], v[28:29], -v[42:43]
	v_fma_f64 v[26:27], v[26:27], v[28:29], v[30:31]
	v_add_f64 v[3:4], v[14:15], v[3:4]
	v_add_f64 v[5:6], v[16:17], v[5:6]
	;; [unrolled: 1-line block ×4, first 2 shown]
	s_cbranch_scc1 .LBB902_10
.LBB902_3:                              ; =>This Inner Loop Header: Depth=1
	v_add_u32_e32 v3, s9, v1
	v_cmp_le_i32_e64 s[0:1], s17, v3
	s_or_b64 s[0:1], s[18:19], s[0:1]
	s_and_saveexec_b64 s[20:21], s[0:1]
	s_xor_b64 s[0:1], exec, s[20:21]
; %bb.4:                                ;   in Loop: Header=BB902_3 Depth=1
	v_mov_b32_e32 v3, v2
	v_mov_b32_e32 v4, v2
	;; [unrolled: 1-line block ×3, first 2 shown]
	ds_write_b128 v19, v[2:5]
; %bb.5:                                ;   in Loop: Header=BB902_3 Depth=1
	s_andn2_saveexec_b64 s[0:1], s[0:1]
	s_cbranch_execz .LBB902_7
; %bb.6:                                ;   in Loop: Header=BB902_3 Depth=1
	flat_load_dwordx4 v[3:6], v[12:13]
	s_waitcnt vmcnt(0) lgkmcnt(0)
	ds_write2_b64 v19, v[3:4], v[5:6] offset1:1
.LBB902_7:                              ;   in Loop: Header=BB902_3 Depth=1
	s_or_b64 exec, exec, s[0:1]
	v_add_u32_e32 v3, s9, v0
	v_cmp_gt_i32_e64 s[0:1], s17, v3
	v_mov_b32_e32 v3, 0
	v_mov_b32_e32 v5, 0
	;; [unrolled: 1-line block ×4, first 2 shown]
	s_and_b64 s[20:21], vcc, s[0:1]
	s_and_saveexec_b64 s[0:1], s[20:21]
	s_cbranch_execz .LBB902_2
; %bb.8:                                ;   in Loop: Header=BB902_3 Depth=1
	flat_load_dwordx4 v[3:6], v[10:11]
	s_waitcnt vmcnt(0) lgkmcnt(0)
	v_xor_b32_e32 v6, 0x80000000, v6
	s_branch .LBB902_2
.LBB902_9:
	v_mov_b32_e32 v14, 0
	v_mov_b32_e32 v16, 0
	;; [unrolled: 1-line block ×4, first 2 shown]
.LBB902_10:
	v_cmp_le_i32_e32 vcc, v7, v9
	v_cmp_gt_i32_e64 s[0:1], s16, v9
	s_and_b64 s[0:1], vcc, s[0:1]
	s_and_saveexec_b64 s[2:3], s[0:1]
	s_cbranch_execz .LBB902_12
; %bb.11:
	s_load_dword s0, s[4:5], 0x60
	v_mul_f64 v[2:3], s[12:13], v[14:15]
	v_mul_f64 v[0:1], s[14:15], v[14:15]
	s_waitcnt lgkmcnt(0)
	v_mov_b32_e32 v6, s11
	v_mad_i64_i32 v[4:5], s[0:1], s0, v9, 0
	v_fma_f64 v[2:3], s[14:15], v[16:17], v[2:3]
	v_lshlrev_b64 v[4:5], 4, v[4:5]
	v_fma_f64 v[0:1], s[12:13], v[16:17], -v[0:1]
	v_add_co_u32_e32 v10, vcc, s10, v4
	v_addc_co_u32_e32 v6, vcc, v6, v5, vcc
	v_lshlrev_b64 v[4:5], 4, v[7:8]
	v_add_co_u32_e32 v4, vcc, v10, v4
	v_addc_co_u32_e32 v5, vcc, v6, v5, vcc
	v_cmp_ne_u32_e32 vcc, v7, v9
	v_cndmask_b32_e32 v3, 0, v3, vcc
	v_cndmask_b32_e32 v2, 0, v2, vcc
	flat_store_dwordx4 v[4:5], v[0:3]
.LBB902_12:
	s_endpgm
	.section	.rodata,"a",@progbits
	.p2align	6, 0x0
	.amdhsa_kernel _ZL32rocblas_syrkx_herkx_small_kernelIi19rocblas_complex_numIdELi16ELb1ELb1ELc78ELc85EKPKS1_KPS1_EviT_T0_PT6_S7_lSA_S7_lS8_PT7_S7_li
		.amdhsa_group_segment_fixed_size 8192
		.amdhsa_private_segment_fixed_size 0
		.amdhsa_kernarg_size 116
		.amdhsa_user_sgpr_count 6
		.amdhsa_user_sgpr_private_segment_buffer 1
		.amdhsa_user_sgpr_dispatch_ptr 0
		.amdhsa_user_sgpr_queue_ptr 0
		.amdhsa_user_sgpr_kernarg_segment_ptr 1
		.amdhsa_user_sgpr_dispatch_id 0
		.amdhsa_user_sgpr_flat_scratch_init 0
		.amdhsa_user_sgpr_private_segment_size 0
		.amdhsa_uses_dynamic_stack 0
		.amdhsa_system_sgpr_private_segment_wavefront_offset 0
		.amdhsa_system_sgpr_workgroup_id_x 1
		.amdhsa_system_sgpr_workgroup_id_y 1
		.amdhsa_system_sgpr_workgroup_id_z 1
		.amdhsa_system_sgpr_workgroup_info 0
		.amdhsa_system_vgpr_workitem_id 1
		.amdhsa_next_free_vgpr 46
		.amdhsa_next_free_sgpr 61
		.amdhsa_reserve_vcc 1
		.amdhsa_reserve_flat_scratch 0
		.amdhsa_float_round_mode_32 0
		.amdhsa_float_round_mode_16_64 0
		.amdhsa_float_denorm_mode_32 3
		.amdhsa_float_denorm_mode_16_64 3
		.amdhsa_dx10_clamp 1
		.amdhsa_ieee_mode 1
		.amdhsa_fp16_overflow 0
		.amdhsa_exception_fp_ieee_invalid_op 0
		.amdhsa_exception_fp_denorm_src 0
		.amdhsa_exception_fp_ieee_div_zero 0
		.amdhsa_exception_fp_ieee_overflow 0
		.amdhsa_exception_fp_ieee_underflow 0
		.amdhsa_exception_fp_ieee_inexact 0
		.amdhsa_exception_int_div_zero 0
	.end_amdhsa_kernel
	.section	.text._ZL32rocblas_syrkx_herkx_small_kernelIi19rocblas_complex_numIdELi16ELb1ELb1ELc78ELc85EKPKS1_KPS1_EviT_T0_PT6_S7_lSA_S7_lS8_PT7_S7_li,"axG",@progbits,_ZL32rocblas_syrkx_herkx_small_kernelIi19rocblas_complex_numIdELi16ELb1ELb1ELc78ELc85EKPKS1_KPS1_EviT_T0_PT6_S7_lSA_S7_lS8_PT7_S7_li,comdat
.Lfunc_end902:
	.size	_ZL32rocblas_syrkx_herkx_small_kernelIi19rocblas_complex_numIdELi16ELb1ELb1ELc78ELc85EKPKS1_KPS1_EviT_T0_PT6_S7_lSA_S7_lS8_PT7_S7_li, .Lfunc_end902-_ZL32rocblas_syrkx_herkx_small_kernelIi19rocblas_complex_numIdELi16ELb1ELb1ELc78ELc85EKPKS1_KPS1_EviT_T0_PT6_S7_lSA_S7_lS8_PT7_S7_li
                                        ; -- End function
	.set _ZL32rocblas_syrkx_herkx_small_kernelIi19rocblas_complex_numIdELi16ELb1ELb1ELc78ELc85EKPKS1_KPS1_EviT_T0_PT6_S7_lSA_S7_lS8_PT7_S7_li.num_vgpr, 46
	.set _ZL32rocblas_syrkx_herkx_small_kernelIi19rocblas_complex_numIdELi16ELb1ELb1ELc78ELc85EKPKS1_KPS1_EviT_T0_PT6_S7_lSA_S7_lS8_PT7_S7_li.num_agpr, 0
	.set _ZL32rocblas_syrkx_herkx_small_kernelIi19rocblas_complex_numIdELi16ELb1ELb1ELc78ELc85EKPKS1_KPS1_EviT_T0_PT6_S7_lSA_S7_lS8_PT7_S7_li.numbered_sgpr, 24
	.set _ZL32rocblas_syrkx_herkx_small_kernelIi19rocblas_complex_numIdELi16ELb1ELb1ELc78ELc85EKPKS1_KPS1_EviT_T0_PT6_S7_lSA_S7_lS8_PT7_S7_li.num_named_barrier, 0
	.set _ZL32rocblas_syrkx_herkx_small_kernelIi19rocblas_complex_numIdELi16ELb1ELb1ELc78ELc85EKPKS1_KPS1_EviT_T0_PT6_S7_lSA_S7_lS8_PT7_S7_li.private_seg_size, 0
	.set _ZL32rocblas_syrkx_herkx_small_kernelIi19rocblas_complex_numIdELi16ELb1ELb1ELc78ELc85EKPKS1_KPS1_EviT_T0_PT6_S7_lSA_S7_lS8_PT7_S7_li.uses_vcc, 1
	.set _ZL32rocblas_syrkx_herkx_small_kernelIi19rocblas_complex_numIdELi16ELb1ELb1ELc78ELc85EKPKS1_KPS1_EviT_T0_PT6_S7_lSA_S7_lS8_PT7_S7_li.uses_flat_scratch, 0
	.set _ZL32rocblas_syrkx_herkx_small_kernelIi19rocblas_complex_numIdELi16ELb1ELb1ELc78ELc85EKPKS1_KPS1_EviT_T0_PT6_S7_lSA_S7_lS8_PT7_S7_li.has_dyn_sized_stack, 0
	.set _ZL32rocblas_syrkx_herkx_small_kernelIi19rocblas_complex_numIdELi16ELb1ELb1ELc78ELc85EKPKS1_KPS1_EviT_T0_PT6_S7_lSA_S7_lS8_PT7_S7_li.has_recursion, 0
	.set _ZL32rocblas_syrkx_herkx_small_kernelIi19rocblas_complex_numIdELi16ELb1ELb1ELc78ELc85EKPKS1_KPS1_EviT_T0_PT6_S7_lSA_S7_lS8_PT7_S7_li.has_indirect_call, 0
	.section	.AMDGPU.csdata,"",@progbits
; Kernel info:
; codeLenInByte = 1808
; TotalNumSgprs: 28
; NumVgprs: 46
; ScratchSize: 0
; MemoryBound: 1
; FloatMode: 240
; IeeeMode: 1
; LDSByteSize: 8192 bytes/workgroup (compile time only)
; SGPRBlocks: 8
; VGPRBlocks: 11
; NumSGPRsForWavesPerEU: 65
; NumVGPRsForWavesPerEU: 46
; Occupancy: 5
; WaveLimiterHint : 1
; COMPUTE_PGM_RSRC2:SCRATCH_EN: 0
; COMPUTE_PGM_RSRC2:USER_SGPR: 6
; COMPUTE_PGM_RSRC2:TRAP_HANDLER: 0
; COMPUTE_PGM_RSRC2:TGID_X_EN: 1
; COMPUTE_PGM_RSRC2:TGID_Y_EN: 1
; COMPUTE_PGM_RSRC2:TGID_Z_EN: 1
; COMPUTE_PGM_RSRC2:TIDIG_COMP_CNT: 1
	.section	.text._ZL32rocblas_syrkx_herkx_small_kernelIi19rocblas_complex_numIdELi16ELb0ELb1ELc84ELc76EKPKS1_KPS1_EviT_T0_PT6_S7_lSA_S7_lS8_PT7_S7_li,"axG",@progbits,_ZL32rocblas_syrkx_herkx_small_kernelIi19rocblas_complex_numIdELi16ELb0ELb1ELc84ELc76EKPKS1_KPS1_EviT_T0_PT6_S7_lSA_S7_lS8_PT7_S7_li,comdat
	.globl	_ZL32rocblas_syrkx_herkx_small_kernelIi19rocblas_complex_numIdELi16ELb0ELb1ELc84ELc76EKPKS1_KPS1_EviT_T0_PT6_S7_lSA_S7_lS8_PT7_S7_li ; -- Begin function _ZL32rocblas_syrkx_herkx_small_kernelIi19rocblas_complex_numIdELi16ELb0ELb1ELc84ELc76EKPKS1_KPS1_EviT_T0_PT6_S7_lSA_S7_lS8_PT7_S7_li
	.p2align	8
	.type	_ZL32rocblas_syrkx_herkx_small_kernelIi19rocblas_complex_numIdELi16ELb0ELb1ELc84ELc76EKPKS1_KPS1_EviT_T0_PT6_S7_lSA_S7_lS8_PT7_S7_li,@function
_ZL32rocblas_syrkx_herkx_small_kernelIi19rocblas_complex_numIdELi16ELb0ELb1ELc84ELc76EKPKS1_KPS1_EviT_T0_PT6_S7_lSA_S7_lS8_PT7_S7_li: ; @_ZL32rocblas_syrkx_herkx_small_kernelIi19rocblas_complex_numIdELi16ELb0ELb1ELc84ELc76EKPKS1_KPS1_EviT_T0_PT6_S7_lSA_S7_lS8_PT7_S7_li
; %bb.0:
	s_load_dwordx2 s[20:21], s[4:5], 0x0
	s_load_dwordx4 s[12:15], s[4:5], 0x8
	s_load_dwordx2 s[10:11], s[4:5], 0x58
	s_load_dwordx2 s[0:1], s[4:5], 0x18
	s_load_dwordx4 s[16:19], s[4:5], 0x48
	s_mov_b32 s9, 0
	s_lshl_b64 s[2:3], s[8:9], 3
	s_waitcnt lgkmcnt(0)
	s_add_u32 s10, s10, s2
	s_addc_u32 s11, s11, s3
	s_load_dwordx2 s[10:11], s[10:11], 0x0
	v_lshl_add_u32 v6, s6, 4, v0
	v_lshl_add_u32 v15, s7, 4, v1
	s_cmp_lt_i32 s21, 1
	v_cmp_gt_i32_e32 vcc, s20, v6
	s_cbranch_scc1 .LBB903_11
; %bb.1:
	s_load_dwordx2 s[6:7], s[4:5], 0x30
	s_load_dword s8, s[4:5], 0x20
	s_load_dword s24, s[4:5], 0x38
	v_lshlrev_b32_e32 v4, 8, v1
	v_lshlrev_b32_e32 v16, 4, v0
	s_waitcnt lgkmcnt(0)
	s_add_u32 s6, s6, s2
	s_addc_u32 s7, s7, s3
	s_add_u32 s0, s0, s2
	s_addc_u32 s1, s1, s3
	s_load_dwordx2 s[22:23], s[0:1], 0x0
	v_mad_i64_i32 v[2:3], s[0:1], s24, v15, 0
	s_load_dwordx2 s[6:7], s[6:7], 0x0
	v_add_u32_e32 v17, v16, v4
	v_lshlrev_b64 v[2:3], 4, v[2:3]
	v_add_u32_e32 v18, 0x1000, v4
	v_add_co_u32_e64 v4, s[2:3], v2, v16
	v_addc_co_u32_e64 v5, s[2:3], 0, v3, s[2:3]
	v_mad_i64_i32 v[2:3], s[2:3], s8, v6, 0
	s_waitcnt lgkmcnt(0)
	v_mov_b32_e32 v8, s7
	v_add_co_u32_e64 v7, s[2:3], s6, v4
	v_lshlrev_b64 v[2:3], 4, v[2:3]
	v_addc_co_u32_e64 v8, s[2:3], v8, v5, s[2:3]
	v_lshlrev_b32_e32 v4, 4, v1
	v_add_co_u32_e64 v2, s[2:3], v2, v4
	v_addc_co_u32_e64 v3, s[2:3], 0, v3, s[2:3]
	v_mov_b32_e32 v4, s23
	v_add_co_u32_e64 v9, s[2:3], s22, v2
	v_cmp_gt_i32_e64 s[0:1], s20, v15
	v_addc_co_u32_e64 v10, s[2:3], v4, v3, s[2:3]
	v_mov_b32_e32 v11, 0
	v_mov_b32_e32 v13, 0
	v_add_u32_e32 v19, v18, v16
	v_mov_b32_e32 v12, 0
	s_xor_b64 s[2:3], vcc, -1
	s_xor_b64 s[0:1], s[0:1], -1
	v_mov_b32_e32 v14, 0
	v_mov_b32_e32 v2, 0
	s_branch .LBB903_3
.LBB903_2:                              ;   in Loop: Header=BB903_3 Depth=1
	s_or_b64 exec, exec, s[6:7]
	s_waitcnt lgkmcnt(0)
	s_barrier
	ds_read_b128 v[20:23], v16
	ds_read_b128 v[24:27], v18
	ds_read_b128 v[28:31], v18 offset:16
	ds_read_b128 v[32:35], v16 offset:256
	;; [unrolled: 1-line block ×4, first 2 shown]
	s_waitcnt lgkmcnt(4)
	v_mul_f64 v[3:4], v[26:27], v[22:23]
	v_mul_f64 v[22:23], v[24:25], v[22:23]
	s_waitcnt lgkmcnt(2)
	v_mul_f64 v[44:45], v[30:31], v[34:35]
	v_mul_f64 v[34:35], v[28:29], v[34:35]
	s_waitcnt lgkmcnt(0)
	v_mul_f64 v[48:49], v[38:39], v[42:43]
	v_add_co_u32_e32 v7, vcc, 0x100, v7
	v_addc_co_u32_e32 v8, vcc, 0, v8, vcc
	v_fma_f64 v[3:4], v[24:25], v[20:21], -v[3:4]
	v_fma_f64 v[46:47], v[26:27], v[20:21], v[22:23]
	v_fma_f64 v[28:29], v[28:29], v[32:33], -v[44:45]
	v_fma_f64 v[30:31], v[30:31], v[32:33], v[34:35]
	v_mul_f64 v[32:33], v[36:37], v[42:43]
	ds_read_b128 v[20:23], v18 offset:48
	ds_read_b128 v[24:27], v16 offset:768
	v_fma_f64 v[36:37], v[36:37], v[40:41], -v[48:49]
	s_add_i32 s9, s9, 16
	v_add_f64 v[3:4], v[13:14], v[3:4]
	v_add_f64 v[34:35], v[11:12], v[46:47]
	s_waitcnt lgkmcnt(0)
	v_mul_f64 v[42:43], v[22:23], v[26:27]
	v_mul_f64 v[44:45], v[20:21], v[26:27]
	v_fma_f64 v[38:39], v[38:39], v[40:41], v[32:33]
	ds_read_b128 v[11:14], v18 offset:64
	v_add_co_u32_e32 v9, vcc, 0x100, v9
	v_add_f64 v[3:4], v[3:4], v[28:29]
	v_add_f64 v[34:35], v[34:35], v[30:31]
	ds_read_b128 v[26:29], v16 offset:1024
	v_fma_f64 v[40:41], v[20:21], v[24:25], -v[42:43]
	v_fma_f64 v[24:25], v[22:23], v[24:25], v[44:45]
	ds_read_b128 v[20:23], v18 offset:80
	ds_read_b128 v[30:33], v16 offset:1280
	s_cmp_ge_i32 s9, s21
	s_waitcnt lgkmcnt(2)
	v_mul_f64 v[42:43], v[13:14], v[28:29]
	v_mul_f64 v[28:29], v[11:12], v[28:29]
	v_add_f64 v[3:4], v[3:4], v[36:37]
	v_add_f64 v[38:39], v[34:35], v[38:39]
	s_waitcnt lgkmcnt(0)
	v_mul_f64 v[44:45], v[22:23], v[32:33]
	v_mul_f64 v[32:33], v[20:21], v[32:33]
	ds_read_b128 v[34:37], v18 offset:96
	v_addc_co_u32_e32 v10, vcc, 0, v10, vcc
	v_fma_f64 v[42:43], v[11:12], v[26:27], -v[42:43]
	v_fma_f64 v[28:29], v[13:14], v[26:27], v[28:29]
	v_add_f64 v[3:4], v[3:4], v[40:41]
	v_add_f64 v[46:47], v[38:39], v[24:25]
	ds_read_b128 v[11:14], v16 offset:1536
	v_fma_f64 v[44:45], v[20:21], v[30:31], -v[44:45]
	v_fma_f64 v[30:31], v[22:23], v[30:31], v[32:33]
	ds_read_b128 v[24:27], v18 offset:112
	ds_read_b128 v[38:41], v16 offset:1792
	;; [unrolled: 1-line block ×3, first 2 shown]
	s_waitcnt lgkmcnt(3)
	v_mul_f64 v[48:49], v[36:37], v[13:14]
	v_mul_f64 v[13:14], v[34:35], v[13:14]
	v_add_f64 v[3:4], v[3:4], v[42:43]
	v_add_f64 v[28:29], v[46:47], v[28:29]
	s_waitcnt lgkmcnt(1)
	v_mul_f64 v[32:33], v[26:27], v[40:41]
	v_mul_f64 v[40:41], v[24:25], v[40:41]
	v_fma_f64 v[34:35], v[34:35], v[11:12], -v[48:49]
	v_fma_f64 v[36:37], v[36:37], v[11:12], v[13:14]
	v_add_f64 v[3:4], v[3:4], v[44:45]
	v_add_f64 v[42:43], v[28:29], v[30:31]
	ds_read_b128 v[11:14], v16 offset:2048
	v_fma_f64 v[44:45], v[24:25], v[38:39], -v[32:33]
	v_fma_f64 v[38:39], v[26:27], v[38:39], v[40:41]
	ds_read_b128 v[24:27], v18 offset:144
	ds_read_b128 v[28:31], v16 offset:2304
	s_waitcnt lgkmcnt(2)
	v_mul_f64 v[40:41], v[22:23], v[13:14]
	v_mul_f64 v[13:14], v[20:21], v[13:14]
	v_add_f64 v[3:4], v[3:4], v[34:35]
	v_add_f64 v[36:37], v[42:43], v[36:37]
	s_waitcnt lgkmcnt(0)
	v_mul_f64 v[42:43], v[26:27], v[30:31]
	v_mul_f64 v[30:31], v[24:25], v[30:31]
	ds_read_b128 v[32:35], v18 offset:160
	v_fma_f64 v[40:41], v[20:21], v[11:12], -v[40:41]
	v_fma_f64 v[46:47], v[22:23], v[11:12], v[13:14]
	v_add_f64 v[3:4], v[3:4], v[44:45]
	v_add_f64 v[44:45], v[36:37], v[38:39]
	ds_read_b128 v[11:14], v16 offset:2560
	v_fma_f64 v[42:43], v[24:25], v[28:29], -v[42:43]
	v_fma_f64 v[28:29], v[26:27], v[28:29], v[30:31]
	ds_read_b128 v[20:23], v18 offset:176
	ds_read_b128 v[36:39], v16 offset:2816
	;; [unrolled: 1-line block ×3, first 2 shown]
	s_waitcnt lgkmcnt(3)
	v_mul_f64 v[48:49], v[34:35], v[13:14]
	v_mul_f64 v[13:14], v[32:33], v[13:14]
	v_add_f64 v[3:4], v[3:4], v[40:41]
	v_add_f64 v[30:31], v[44:45], v[46:47]
	s_waitcnt lgkmcnt(1)
	v_mul_f64 v[40:41], v[22:23], v[38:39]
	v_mul_f64 v[38:39], v[20:21], v[38:39]
	v_fma_f64 v[32:33], v[32:33], v[11:12], -v[48:49]
	v_fma_f64 v[34:35], v[34:35], v[11:12], v[13:14]
	v_add_f64 v[3:4], v[3:4], v[42:43]
	v_add_f64 v[42:43], v[30:31], v[28:29]
	ds_read_b128 v[11:14], v16 offset:3072
	v_fma_f64 v[40:41], v[20:21], v[36:37], -v[40:41]
	v_fma_f64 v[36:37], v[22:23], v[36:37], v[38:39]
	ds_read_b128 v[20:23], v18 offset:208
	ds_read_b128 v[28:31], v16 offset:3328
	s_waitcnt lgkmcnt(2)
	v_mul_f64 v[38:39], v[26:27], v[13:14]
	v_mul_f64 v[13:14], v[24:25], v[13:14]
	v_add_f64 v[3:4], v[3:4], v[32:33]
	v_add_f64 v[42:43], v[42:43], v[34:35]
	s_waitcnt lgkmcnt(0)
	v_mul_f64 v[44:45], v[22:23], v[30:31]
	v_mul_f64 v[30:31], v[20:21], v[30:31]
	ds_read_b128 v[32:35], v18 offset:224
	v_fma_f64 v[46:47], v[24:25], v[11:12], -v[38:39]
	v_fma_f64 v[48:49], v[26:27], v[11:12], v[13:14]
	v_add_f64 v[3:4], v[3:4], v[40:41]
	v_add_f64 v[40:41], v[42:43], v[36:37]
	ds_read_b128 v[11:14], v16 offset:3584
	v_fma_f64 v[20:21], v[20:21], v[28:29], -v[44:45]
	v_fma_f64 v[22:23], v[22:23], v[28:29], v[30:31]
	ds_read_b128 v[24:27], v18 offset:240
	ds_read_b128 v[36:39], v16 offset:3840
	s_waitcnt lgkmcnt(0)
	v_mul_f64 v[42:43], v[34:35], v[13:14]
	v_mul_f64 v[13:14], v[32:33], v[13:14]
	v_add_f64 v[3:4], v[3:4], v[46:47]
	v_add_f64 v[28:29], v[40:41], v[48:49]
	v_mul_f64 v[30:31], v[26:27], v[38:39]
	v_mul_f64 v[38:39], v[24:25], v[38:39]
	s_barrier
	v_fma_f64 v[32:33], v[32:33], v[11:12], -v[42:43]
	v_fma_f64 v[11:12], v[34:35], v[11:12], v[13:14]
	v_add_f64 v[3:4], v[3:4], v[20:21]
	v_add_f64 v[13:14], v[28:29], v[22:23]
	v_fma_f64 v[20:21], v[24:25], v[36:37], -v[30:31]
	v_fma_f64 v[22:23], v[26:27], v[36:37], v[38:39]
	v_add_f64 v[3:4], v[3:4], v[32:33]
	v_add_f64 v[11:12], v[13:14], v[11:12]
	;; [unrolled: 1-line block ×4, first 2 shown]
	s_cbranch_scc1 .LBB903_12
.LBB903_3:                              ; =>This Inner Loop Header: Depth=1
	v_add_u32_e32 v3, s9, v1
	v_cmp_le_i32_e32 vcc, s21, v3
	s_or_b64 s[6:7], s[2:3], vcc
	s_and_saveexec_b64 s[22:23], s[6:7]
	s_xor_b64 s[6:7], exec, s[22:23]
; %bb.4:                                ;   in Loop: Header=BB903_3 Depth=1
	v_mov_b32_e32 v3, v2
	v_mov_b32_e32 v4, v2
	;; [unrolled: 1-line block ×3, first 2 shown]
	ds_write_b128 v17, v[2:5]
; %bb.5:                                ;   in Loop: Header=BB903_3 Depth=1
	s_andn2_saveexec_b64 s[6:7], s[6:7]
	s_cbranch_execz .LBB903_7
; %bb.6:                                ;   in Loop: Header=BB903_3 Depth=1
	flat_load_dwordx4 v[20:23], v[9:10]
	s_waitcnt vmcnt(0) lgkmcnt(0)
	ds_write2_b64 v17, v[20:21], v[22:23] offset1:1
.LBB903_7:                              ;   in Loop: Header=BB903_3 Depth=1
	s_or_b64 exec, exec, s[6:7]
	v_add_u32_e32 v3, s9, v0
	v_cmp_le_i32_e32 vcc, s21, v3
	s_or_b64 s[6:7], s[0:1], vcc
	s_and_saveexec_b64 s[22:23], s[6:7]
	s_xor_b64 s[6:7], exec, s[22:23]
; %bb.8:                                ;   in Loop: Header=BB903_3 Depth=1
	v_mov_b32_e32 v3, v2
	v_mov_b32_e32 v4, v2
	v_mov_b32_e32 v5, v2
	ds_write_b128 v19, v[2:5]
; %bb.9:                                ;   in Loop: Header=BB903_3 Depth=1
	s_andn2_saveexec_b64 s[6:7], s[6:7]
	s_cbranch_execz .LBB903_2
; %bb.10:                               ;   in Loop: Header=BB903_3 Depth=1
	flat_load_dwordx4 v[20:23], v[7:8]
	s_waitcnt vmcnt(0) lgkmcnt(0)
	ds_write2_b64 v19, v[20:21], v[22:23] offset1:1
	s_branch .LBB903_2
.LBB903_11:
	v_mov_b32_e32 v11, 0
	v_mov_b32_e32 v13, 0
	;; [unrolled: 1-line block ×4, first 2 shown]
.LBB903_12:
	v_cmp_le_i32_e32 vcc, v15, v6
	v_cmp_gt_i32_e64 s[0:1], s20, v6
	s_and_b64 s[0:1], vcc, s[0:1]
	s_and_saveexec_b64 s[2:3], s[0:1]
	s_cbranch_execz .LBB903_14
; %bb.13:
	s_load_dword s0, s[4:5], 0x60
	v_ashrrev_i32_e32 v7, 31, v6
	s_waitcnt lgkmcnt(0)
	v_mov_b32_e32 v4, s11
	v_lshlrev_b64 v[2:3], 4, v[6:7]
	v_mul_f64 v[7:8], s[12:13], v[11:12]
	v_mad_i64_i32 v[0:1], s[0:1], s0, v15, 0
	v_mul_f64 v[11:12], s[14:15], v[11:12]
	v_lshlrev_b64 v[0:1], 4, v[0:1]
	v_add_co_u32_e32 v0, vcc, s10, v0
	v_addc_co_u32_e32 v1, vcc, v4, v1, vcc
	v_add_co_u32_e32 v4, vcc, v0, v2
	v_addc_co_u32_e32 v5, vcc, v1, v3, vcc
	flat_load_dwordx4 v[0:3], v[4:5]
	v_fma_f64 v[7:8], s[14:15], v[13:14], v[7:8]
	v_fma_f64 v[11:12], s[12:13], v[13:14], -v[11:12]
	v_cmp_ne_u32_e32 vcc, v6, v15
	s_waitcnt vmcnt(0) lgkmcnt(0)
	v_mul_f64 v[9:10], s[16:17], v[2:3]
	v_mul_f64 v[2:3], s[18:19], v[2:3]
	v_fma_f64 v[9:10], s[18:19], v[0:1], v[9:10]
	v_fma_f64 v[0:1], s[16:17], v[0:1], -v[2:3]
	v_add_f64 v[2:3], v[7:8], v[9:10]
	v_add_f64 v[0:1], v[11:12], v[0:1]
	v_cndmask_b32_e32 v3, 0, v3, vcc
	v_cndmask_b32_e32 v2, 0, v2, vcc
	flat_store_dwordx4 v[4:5], v[0:3]
.LBB903_14:
	s_endpgm
	.section	.rodata,"a",@progbits
	.p2align	6, 0x0
	.amdhsa_kernel _ZL32rocblas_syrkx_herkx_small_kernelIi19rocblas_complex_numIdELi16ELb0ELb1ELc84ELc76EKPKS1_KPS1_EviT_T0_PT6_S7_lSA_S7_lS8_PT7_S7_li
		.amdhsa_group_segment_fixed_size 8192
		.amdhsa_private_segment_fixed_size 0
		.amdhsa_kernarg_size 116
		.amdhsa_user_sgpr_count 6
		.amdhsa_user_sgpr_private_segment_buffer 1
		.amdhsa_user_sgpr_dispatch_ptr 0
		.amdhsa_user_sgpr_queue_ptr 0
		.amdhsa_user_sgpr_kernarg_segment_ptr 1
		.amdhsa_user_sgpr_dispatch_id 0
		.amdhsa_user_sgpr_flat_scratch_init 0
		.amdhsa_user_sgpr_private_segment_size 0
		.amdhsa_uses_dynamic_stack 0
		.amdhsa_system_sgpr_private_segment_wavefront_offset 0
		.amdhsa_system_sgpr_workgroup_id_x 1
		.amdhsa_system_sgpr_workgroup_id_y 1
		.amdhsa_system_sgpr_workgroup_id_z 1
		.amdhsa_system_sgpr_workgroup_info 0
		.amdhsa_system_vgpr_workitem_id 1
		.amdhsa_next_free_vgpr 50
		.amdhsa_next_free_sgpr 61
		.amdhsa_reserve_vcc 1
		.amdhsa_reserve_flat_scratch 0
		.amdhsa_float_round_mode_32 0
		.amdhsa_float_round_mode_16_64 0
		.amdhsa_float_denorm_mode_32 3
		.amdhsa_float_denorm_mode_16_64 3
		.amdhsa_dx10_clamp 1
		.amdhsa_ieee_mode 1
		.amdhsa_fp16_overflow 0
		.amdhsa_exception_fp_ieee_invalid_op 0
		.amdhsa_exception_fp_denorm_src 0
		.amdhsa_exception_fp_ieee_div_zero 0
		.amdhsa_exception_fp_ieee_overflow 0
		.amdhsa_exception_fp_ieee_underflow 0
		.amdhsa_exception_fp_ieee_inexact 0
		.amdhsa_exception_int_div_zero 0
	.end_amdhsa_kernel
	.section	.text._ZL32rocblas_syrkx_herkx_small_kernelIi19rocblas_complex_numIdELi16ELb0ELb1ELc84ELc76EKPKS1_KPS1_EviT_T0_PT6_S7_lSA_S7_lS8_PT7_S7_li,"axG",@progbits,_ZL32rocblas_syrkx_herkx_small_kernelIi19rocblas_complex_numIdELi16ELb0ELb1ELc84ELc76EKPKS1_KPS1_EviT_T0_PT6_S7_lSA_S7_lS8_PT7_S7_li,comdat
.Lfunc_end903:
	.size	_ZL32rocblas_syrkx_herkx_small_kernelIi19rocblas_complex_numIdELi16ELb0ELb1ELc84ELc76EKPKS1_KPS1_EviT_T0_PT6_S7_lSA_S7_lS8_PT7_S7_li, .Lfunc_end903-_ZL32rocblas_syrkx_herkx_small_kernelIi19rocblas_complex_numIdELi16ELb0ELb1ELc84ELc76EKPKS1_KPS1_EviT_T0_PT6_S7_lSA_S7_lS8_PT7_S7_li
                                        ; -- End function
	.set _ZL32rocblas_syrkx_herkx_small_kernelIi19rocblas_complex_numIdELi16ELb0ELb1ELc84ELc76EKPKS1_KPS1_EviT_T0_PT6_S7_lSA_S7_lS8_PT7_S7_li.num_vgpr, 50
	.set _ZL32rocblas_syrkx_herkx_small_kernelIi19rocblas_complex_numIdELi16ELb0ELb1ELc84ELc76EKPKS1_KPS1_EviT_T0_PT6_S7_lSA_S7_lS8_PT7_S7_li.num_agpr, 0
	.set _ZL32rocblas_syrkx_herkx_small_kernelIi19rocblas_complex_numIdELi16ELb0ELb1ELc84ELc76EKPKS1_KPS1_EviT_T0_PT6_S7_lSA_S7_lS8_PT7_S7_li.numbered_sgpr, 25
	.set _ZL32rocblas_syrkx_herkx_small_kernelIi19rocblas_complex_numIdELi16ELb0ELb1ELc84ELc76EKPKS1_KPS1_EviT_T0_PT6_S7_lSA_S7_lS8_PT7_S7_li.num_named_barrier, 0
	.set _ZL32rocblas_syrkx_herkx_small_kernelIi19rocblas_complex_numIdELi16ELb0ELb1ELc84ELc76EKPKS1_KPS1_EviT_T0_PT6_S7_lSA_S7_lS8_PT7_S7_li.private_seg_size, 0
	.set _ZL32rocblas_syrkx_herkx_small_kernelIi19rocblas_complex_numIdELi16ELb0ELb1ELc84ELc76EKPKS1_KPS1_EviT_T0_PT6_S7_lSA_S7_lS8_PT7_S7_li.uses_vcc, 1
	.set _ZL32rocblas_syrkx_herkx_small_kernelIi19rocblas_complex_numIdELi16ELb0ELb1ELc84ELc76EKPKS1_KPS1_EviT_T0_PT6_S7_lSA_S7_lS8_PT7_S7_li.uses_flat_scratch, 0
	.set _ZL32rocblas_syrkx_herkx_small_kernelIi19rocblas_complex_numIdELi16ELb0ELb1ELc84ELc76EKPKS1_KPS1_EviT_T0_PT6_S7_lSA_S7_lS8_PT7_S7_li.has_dyn_sized_stack, 0
	.set _ZL32rocblas_syrkx_herkx_small_kernelIi19rocblas_complex_numIdELi16ELb0ELb1ELc84ELc76EKPKS1_KPS1_EviT_T0_PT6_S7_lSA_S7_lS8_PT7_S7_li.has_recursion, 0
	.set _ZL32rocblas_syrkx_herkx_small_kernelIi19rocblas_complex_numIdELi16ELb0ELb1ELc84ELc76EKPKS1_KPS1_EviT_T0_PT6_S7_lSA_S7_lS8_PT7_S7_li.has_indirect_call, 0
	.section	.AMDGPU.csdata,"",@progbits
; Kernel info:
; codeLenInByte = 1828
; TotalNumSgprs: 29
; NumVgprs: 50
; ScratchSize: 0
; MemoryBound: 0
; FloatMode: 240
; IeeeMode: 1
; LDSByteSize: 8192 bytes/workgroup (compile time only)
; SGPRBlocks: 8
; VGPRBlocks: 12
; NumSGPRsForWavesPerEU: 65
; NumVGPRsForWavesPerEU: 50
; Occupancy: 4
; WaveLimiterHint : 1
; COMPUTE_PGM_RSRC2:SCRATCH_EN: 0
; COMPUTE_PGM_RSRC2:USER_SGPR: 6
; COMPUTE_PGM_RSRC2:TRAP_HANDLER: 0
; COMPUTE_PGM_RSRC2:TGID_X_EN: 1
; COMPUTE_PGM_RSRC2:TGID_Y_EN: 1
; COMPUTE_PGM_RSRC2:TGID_Z_EN: 1
; COMPUTE_PGM_RSRC2:TIDIG_COMP_CNT: 1
	.section	.text._ZL32rocblas_syrkx_herkx_small_kernelIi19rocblas_complex_numIdELi16ELb0ELb1ELc67ELc76EKPKS1_KPS1_EviT_T0_PT6_S7_lSA_S7_lS8_PT7_S7_li,"axG",@progbits,_ZL32rocblas_syrkx_herkx_small_kernelIi19rocblas_complex_numIdELi16ELb0ELb1ELc67ELc76EKPKS1_KPS1_EviT_T0_PT6_S7_lSA_S7_lS8_PT7_S7_li,comdat
	.globl	_ZL32rocblas_syrkx_herkx_small_kernelIi19rocblas_complex_numIdELi16ELb0ELb1ELc67ELc76EKPKS1_KPS1_EviT_T0_PT6_S7_lSA_S7_lS8_PT7_S7_li ; -- Begin function _ZL32rocblas_syrkx_herkx_small_kernelIi19rocblas_complex_numIdELi16ELb0ELb1ELc67ELc76EKPKS1_KPS1_EviT_T0_PT6_S7_lSA_S7_lS8_PT7_S7_li
	.p2align	8
	.type	_ZL32rocblas_syrkx_herkx_small_kernelIi19rocblas_complex_numIdELi16ELb0ELb1ELc67ELc76EKPKS1_KPS1_EviT_T0_PT6_S7_lSA_S7_lS8_PT7_S7_li,@function
_ZL32rocblas_syrkx_herkx_small_kernelIi19rocblas_complex_numIdELi16ELb0ELb1ELc67ELc76EKPKS1_KPS1_EviT_T0_PT6_S7_lSA_S7_lS8_PT7_S7_li: ; @_ZL32rocblas_syrkx_herkx_small_kernelIi19rocblas_complex_numIdELi16ELb0ELb1ELc67ELc76EKPKS1_KPS1_EviT_T0_PT6_S7_lSA_S7_lS8_PT7_S7_li
; %bb.0:
	s_load_dwordx2 s[20:21], s[4:5], 0x0
	s_load_dwordx4 s[12:15], s[4:5], 0x8
	s_load_dwordx2 s[0:1], s[4:5], 0x58
	s_load_dwordx2 s[2:3], s[4:5], 0x18
	s_load_dwordx4 s[16:19], s[4:5], 0x48
	s_mov_b32 s9, 0
	s_lshl_b64 s[22:23], s[8:9], 3
	s_waitcnt lgkmcnt(0)
	s_add_u32 s0, s0, s22
	s_addc_u32 s1, s1, s23
	s_load_dwordx2 s[10:11], s[0:1], 0x0
	v_lshl_add_u32 v7, s6, 4, v0
	v_lshl_add_u32 v16, s7, 4, v1
	s_cmp_lt_i32 s21, 1
	v_cmp_gt_i32_e64 s[0:1], s20, v7
	s_cbranch_scc1 .LBB904_9
; %bb.1:
	s_load_dwordx2 s[6:7], s[4:5], 0x30
	s_load_dword s8, s[4:5], 0x20
	s_load_dword s24, s[4:5], 0x38
	v_lshlrev_b32_e32 v4, 8, v1
	v_lshlrev_b32_e32 v17, 4, v0
	s_waitcnt lgkmcnt(0)
	s_add_u32 s6, s6, s22
	s_addc_u32 s7, s7, s23
	s_add_u32 s2, s2, s22
	s_addc_u32 s3, s3, s23
	s_load_dwordx2 s[22:23], s[2:3], 0x0
	v_mad_i64_i32 v[2:3], s[2:3], s24, v16, 0
	s_load_dwordx2 s[6:7], s[6:7], 0x0
	v_add_u32_e32 v18, v17, v4
	v_lshlrev_b64 v[2:3], 4, v[2:3]
	v_add_u32_e32 v19, 0x1000, v4
	v_add_co_u32_e64 v4, s[2:3], v2, v17
	v_addc_co_u32_e64 v5, s[2:3], 0, v3, s[2:3]
	v_mad_i64_i32 v[2:3], s[2:3], s8, v7, 0
	s_waitcnt lgkmcnt(0)
	v_mov_b32_e32 v6, s7
	v_add_co_u32_e64 v8, s[2:3], s6, v4
	v_lshlrev_b64 v[2:3], 4, v[2:3]
	v_addc_co_u32_e64 v9, s[2:3], v6, v5, s[2:3]
	v_lshlrev_b32_e32 v4, 4, v1
	v_add_co_u32_e64 v2, s[2:3], v2, v4
	v_addc_co_u32_e64 v3, s[2:3], 0, v3, s[2:3]
	v_mov_b32_e32 v4, s23
	v_add_co_u32_e64 v10, s[2:3], s22, v2
	v_cmp_gt_i32_e32 vcc, s20, v16
	v_addc_co_u32_e64 v11, s[2:3], v4, v3, s[2:3]
	v_mov_b32_e32 v12, 0
	v_mov_b32_e32 v14, 0
	v_add_u32_e32 v20, v19, v17
	v_mov_b32_e32 v13, 0
	s_xor_b64 s[2:3], vcc, -1
	v_mov_b32_e32 v15, 0
	v_mov_b32_e32 v2, 0
	s_branch .LBB904_3
.LBB904_2:                              ;   in Loop: Header=BB904_3 Depth=1
	s_or_b64 exec, exec, s[6:7]
	s_waitcnt lgkmcnt(0)
	s_barrier
	ds_read_b128 v[3:6], v17
	ds_read_b128 v[21:24], v19
	ds_read_b128 v[25:28], v19 offset:16
	ds_read_b128 v[29:32], v17 offset:256
	;; [unrolled: 1-line block ×4, first 2 shown]
	s_waitcnt lgkmcnt(4)
	v_mul_f64 v[41:42], v[23:24], v[5:6]
	v_mul_f64 v[5:6], v[21:22], v[5:6]
	s_waitcnt lgkmcnt(2)
	v_mul_f64 v[43:44], v[27:28], v[31:32]
	v_mul_f64 v[31:32], v[25:26], v[31:32]
	s_waitcnt lgkmcnt(0)
	v_mul_f64 v[47:48], v[35:36], v[39:40]
	v_add_co_u32_e32 v8, vcc, 0x100, v8
	v_addc_co_u32_e32 v9, vcc, 0, v9, vcc
	v_fma_f64 v[41:42], v[21:22], v[3:4], -v[41:42]
	v_fma_f64 v[45:46], v[23:24], v[3:4], v[5:6]
	v_fma_f64 v[25:26], v[25:26], v[29:30], -v[43:44]
	v_fma_f64 v[27:28], v[27:28], v[29:30], v[31:32]
	v_mul_f64 v[29:30], v[33:34], v[39:40]
	ds_read_b128 v[3:6], v19 offset:48
	ds_read_b128 v[21:24], v17 offset:768
	v_fma_f64 v[33:34], v[33:34], v[37:38], -v[47:48]
	s_add_i32 s9, s9, 16
	v_add_f64 v[31:32], v[14:15], v[41:42]
	v_add_f64 v[39:40], v[12:13], v[45:46]
	s_waitcnt lgkmcnt(0)
	v_mul_f64 v[41:42], v[5:6], v[23:24]
	v_mul_f64 v[43:44], v[3:4], v[23:24]
	v_fma_f64 v[35:36], v[35:36], v[37:38], v[29:30]
	ds_read_b128 v[12:15], v19 offset:64
	v_add_co_u32_e32 v10, vcc, 0x100, v10
	v_add_f64 v[31:32], v[31:32], v[25:26]
	v_add_f64 v[37:38], v[39:40], v[27:28]
	ds_read_b128 v[23:26], v17 offset:1024
	v_fma_f64 v[39:40], v[3:4], v[21:22], -v[41:42]
	v_fma_f64 v[21:22], v[5:6], v[21:22], v[43:44]
	ds_read_b128 v[3:6], v19 offset:80
	ds_read_b128 v[27:30], v17 offset:1280
	s_cmp_ge_i32 s9, s21
	s_waitcnt lgkmcnt(2)
	v_mul_f64 v[41:42], v[14:15], v[25:26]
	v_mul_f64 v[25:26], v[12:13], v[25:26]
	v_add_f64 v[43:44], v[31:32], v[33:34]
	v_add_f64 v[35:36], v[37:38], v[35:36]
	s_waitcnt lgkmcnt(0)
	v_mul_f64 v[45:46], v[5:6], v[29:30]
	v_mul_f64 v[29:30], v[3:4], v[29:30]
	ds_read_b128 v[31:34], v19 offset:96
	v_addc_co_u32_e32 v11, vcc, 0, v11, vcc
	v_fma_f64 v[41:42], v[12:13], v[23:24], -v[41:42]
	v_fma_f64 v[25:26], v[14:15], v[23:24], v[25:26]
	v_add_f64 v[39:40], v[43:44], v[39:40]
	v_add_f64 v[43:44], v[35:36], v[21:22]
	ds_read_b128 v[12:15], v17 offset:1536
	v_fma_f64 v[45:46], v[3:4], v[27:28], -v[45:46]
	v_fma_f64 v[27:28], v[5:6], v[27:28], v[29:30]
	ds_read_b128 v[21:24], v19 offset:112
	ds_read_b128 v[35:38], v17 offset:1792
	;; [unrolled: 1-line block ×3, first 2 shown]
	s_waitcnt lgkmcnt(3)
	v_mul_f64 v[47:48], v[33:34], v[14:15]
	v_mul_f64 v[14:15], v[31:32], v[14:15]
	v_add_f64 v[29:30], v[39:40], v[41:42]
	v_add_f64 v[25:26], v[43:44], v[25:26]
	s_waitcnt lgkmcnt(1)
	v_mul_f64 v[39:40], v[23:24], v[37:38]
	v_mul_f64 v[37:38], v[21:22], v[37:38]
	v_fma_f64 v[31:32], v[31:32], v[12:13], -v[47:48]
	v_fma_f64 v[33:34], v[33:34], v[12:13], v[14:15]
	v_add_f64 v[29:30], v[29:30], v[45:46]
	v_add_f64 v[41:42], v[25:26], v[27:28]
	ds_read_b128 v[12:15], v17 offset:2048
	v_fma_f64 v[39:40], v[21:22], v[35:36], -v[39:40]
	v_fma_f64 v[35:36], v[23:24], v[35:36], v[37:38]
	ds_read_b128 v[21:24], v19 offset:144
	ds_read_b128 v[25:28], v17 offset:2304
	s_waitcnt lgkmcnt(2)
	v_mul_f64 v[37:38], v[5:6], v[14:15]
	v_mul_f64 v[14:15], v[3:4], v[14:15]
	v_add_f64 v[43:44], v[29:30], v[31:32]
	v_add_f64 v[33:34], v[41:42], v[33:34]
	s_waitcnt lgkmcnt(0)
	v_mul_f64 v[41:42], v[23:24], v[27:28]
	v_mul_f64 v[27:28], v[21:22], v[27:28]
	ds_read_b128 v[29:32], v19 offset:160
	v_fma_f64 v[37:38], v[3:4], v[12:13], -v[37:38]
	v_fma_f64 v[45:46], v[5:6], v[12:13], v[14:15]
	v_add_f64 v[39:40], v[43:44], v[39:40]
	v_add_f64 v[43:44], v[33:34], v[35:36]
	ds_read_b128 v[3:6], v17 offset:2560
	v_fma_f64 v[41:42], v[21:22], v[25:26], -v[41:42]
	v_fma_f64 v[25:26], v[23:24], v[25:26], v[27:28]
	ds_read_b128 v[12:15], v19 offset:176
	ds_read_b128 v[33:36], v17 offset:2816
	;; [unrolled: 1-line block ×3, first 2 shown]
	s_waitcnt lgkmcnt(3)
	v_mul_f64 v[47:48], v[31:32], v[5:6]
	v_mul_f64 v[5:6], v[29:30], v[5:6]
	v_add_f64 v[27:28], v[39:40], v[37:38]
	v_add_f64 v[37:38], v[43:44], v[45:46]
	s_waitcnt lgkmcnt(1)
	v_mul_f64 v[39:40], v[14:15], v[35:36]
	v_mul_f64 v[35:36], v[12:13], v[35:36]
	v_fma_f64 v[29:30], v[29:30], v[3:4], -v[47:48]
	v_fma_f64 v[31:32], v[31:32], v[3:4], v[5:6]
	v_add_f64 v[41:42], v[27:28], v[41:42]
	v_add_f64 v[37:38], v[37:38], v[25:26]
	ds_read_b128 v[3:6], v17 offset:3072
	v_fma_f64 v[39:40], v[12:13], v[33:34], -v[39:40]
	v_fma_f64 v[33:34], v[14:15], v[33:34], v[35:36]
	ds_read_b128 v[12:15], v19 offset:208
	ds_read_b128 v[25:28], v17 offset:3328
	s_waitcnt lgkmcnt(2)
	v_mul_f64 v[35:36], v[23:24], v[5:6]
	v_mul_f64 v[5:6], v[21:22], v[5:6]
	v_add_f64 v[41:42], v[41:42], v[29:30]
	v_add_f64 v[37:38], v[37:38], v[31:32]
	s_waitcnt lgkmcnt(0)
	v_mul_f64 v[43:44], v[14:15], v[27:28]
	v_mul_f64 v[27:28], v[12:13], v[27:28]
	ds_read_b128 v[29:32], v19 offset:224
	v_fma_f64 v[45:46], v[21:22], v[3:4], -v[35:36]
	v_fma_f64 v[47:48], v[23:24], v[3:4], v[5:6]
	v_add_f64 v[39:40], v[41:42], v[39:40]
	v_add_f64 v[37:38], v[37:38], v[33:34]
	ds_read_b128 v[3:6], v17 offset:3584
	v_fma_f64 v[12:13], v[12:13], v[25:26], -v[43:44]
	v_fma_f64 v[14:15], v[14:15], v[25:26], v[27:28]
	ds_read_b128 v[21:24], v19 offset:240
	ds_read_b128 v[33:36], v17 offset:3840
	s_waitcnt lgkmcnt(0)
	v_mul_f64 v[41:42], v[31:32], v[5:6]
	v_mul_f64 v[5:6], v[29:30], v[5:6]
	v_add_f64 v[25:26], v[39:40], v[45:46]
	v_add_f64 v[27:28], v[37:38], v[47:48]
	v_mul_f64 v[37:38], v[23:24], v[35:36]
	v_mul_f64 v[35:36], v[21:22], v[35:36]
	s_barrier
	v_fma_f64 v[29:30], v[29:30], v[3:4], -v[41:42]
	v_fma_f64 v[3:4], v[31:32], v[3:4], v[5:6]
	v_add_f64 v[5:6], v[25:26], v[12:13]
	v_add_f64 v[12:13], v[27:28], v[14:15]
	v_fma_f64 v[14:15], v[21:22], v[33:34], -v[37:38]
	v_fma_f64 v[21:22], v[23:24], v[33:34], v[35:36]
	v_add_f64 v[5:6], v[5:6], v[29:30]
	v_add_f64 v[3:4], v[12:13], v[3:4]
	;; [unrolled: 1-line block ×4, first 2 shown]
	s_cbranch_scc1 .LBB904_10
.LBB904_3:                              ; =>This Inner Loop Header: Depth=1
	v_add_u32_e32 v3, s9, v1
	v_cmp_gt_i32_e32 vcc, s21, v3
	v_mov_b32_e32 v3, 0
	v_mov_b32_e32 v5, 0
	;; [unrolled: 1-line block ×4, first 2 shown]
	s_and_b64 s[22:23], s[0:1], vcc
	s_and_saveexec_b64 s[6:7], s[22:23]
	s_cbranch_execz .LBB904_5
; %bb.4:                                ;   in Loop: Header=BB904_3 Depth=1
	flat_load_dwordx4 v[3:6], v[10:11]
	s_waitcnt vmcnt(0) lgkmcnt(0)
	v_xor_b32_e32 v6, 0x80000000, v6
.LBB904_5:                              ;   in Loop: Header=BB904_3 Depth=1
	s_or_b64 exec, exec, s[6:7]
	ds_write_b128 v18, v[3:6]
	v_add_u32_e32 v3, s9, v0
	v_cmp_le_i32_e32 vcc, s21, v3
	s_or_b64 s[6:7], s[2:3], vcc
	s_and_saveexec_b64 s[22:23], s[6:7]
	s_xor_b64 s[6:7], exec, s[22:23]
; %bb.6:                                ;   in Loop: Header=BB904_3 Depth=1
	v_mov_b32_e32 v3, v2
	v_mov_b32_e32 v4, v2
	;; [unrolled: 1-line block ×3, first 2 shown]
	ds_write_b128 v20, v[2:5]
; %bb.7:                                ;   in Loop: Header=BB904_3 Depth=1
	s_andn2_saveexec_b64 s[6:7], s[6:7]
	s_cbranch_execz .LBB904_2
; %bb.8:                                ;   in Loop: Header=BB904_3 Depth=1
	flat_load_dwordx4 v[3:6], v[8:9]
	s_waitcnt vmcnt(0) lgkmcnt(0)
	ds_write2_b64 v20, v[3:4], v[5:6] offset1:1
	s_branch .LBB904_2
.LBB904_9:
	v_mov_b32_e32 v12, 0
	v_mov_b32_e32 v14, 0
	v_mov_b32_e32 v13, 0
	v_mov_b32_e32 v15, 0
.LBB904_10:
	v_cmp_le_i32_e32 vcc, v16, v7
	v_cmp_gt_i32_e64 s[0:1], s20, v7
	s_and_b64 s[0:1], vcc, s[0:1]
	s_and_saveexec_b64 s[2:3], s[0:1]
	s_cbranch_execz .LBB904_12
; %bb.11:
	s_load_dword s0, s[4:5], 0x60
	v_ashrrev_i32_e32 v8, 31, v7
	s_waitcnt lgkmcnt(0)
	v_mov_b32_e32 v4, s11
	v_lshlrev_b64 v[2:3], 4, v[7:8]
	v_mul_f64 v[8:9], s[12:13], v[12:13]
	v_mad_i64_i32 v[0:1], s[0:1], s0, v16, 0
	v_mul_f64 v[12:13], s[14:15], v[12:13]
	v_lshlrev_b64 v[0:1], 4, v[0:1]
	v_add_co_u32_e32 v0, vcc, s10, v0
	v_addc_co_u32_e32 v1, vcc, v4, v1, vcc
	v_add_co_u32_e32 v4, vcc, v0, v2
	v_addc_co_u32_e32 v5, vcc, v1, v3, vcc
	flat_load_dwordx4 v[0:3], v[4:5]
	v_fma_f64 v[8:9], s[14:15], v[14:15], v[8:9]
	v_fma_f64 v[12:13], s[12:13], v[14:15], -v[12:13]
	v_cmp_ne_u32_e32 vcc, v7, v16
	s_waitcnt vmcnt(0) lgkmcnt(0)
	v_mul_f64 v[10:11], s[16:17], v[2:3]
	v_mul_f64 v[2:3], s[18:19], v[2:3]
	v_fma_f64 v[10:11], s[18:19], v[0:1], v[10:11]
	v_fma_f64 v[0:1], s[16:17], v[0:1], -v[2:3]
	v_add_f64 v[2:3], v[8:9], v[10:11]
	v_add_f64 v[0:1], v[12:13], v[0:1]
	v_cndmask_b32_e32 v3, 0, v3, vcc
	v_cndmask_b32_e32 v2, 0, v2, vcc
	flat_store_dwordx4 v[4:5], v[0:3]
.LBB904_12:
	s_endpgm
	.section	.rodata,"a",@progbits
	.p2align	6, 0x0
	.amdhsa_kernel _ZL32rocblas_syrkx_herkx_small_kernelIi19rocblas_complex_numIdELi16ELb0ELb1ELc67ELc76EKPKS1_KPS1_EviT_T0_PT6_S7_lSA_S7_lS8_PT7_S7_li
		.amdhsa_group_segment_fixed_size 8192
		.amdhsa_private_segment_fixed_size 0
		.amdhsa_kernarg_size 116
		.amdhsa_user_sgpr_count 6
		.amdhsa_user_sgpr_private_segment_buffer 1
		.amdhsa_user_sgpr_dispatch_ptr 0
		.amdhsa_user_sgpr_queue_ptr 0
		.amdhsa_user_sgpr_kernarg_segment_ptr 1
		.amdhsa_user_sgpr_dispatch_id 0
		.amdhsa_user_sgpr_flat_scratch_init 0
		.amdhsa_user_sgpr_private_segment_size 0
		.amdhsa_uses_dynamic_stack 0
		.amdhsa_system_sgpr_private_segment_wavefront_offset 0
		.amdhsa_system_sgpr_workgroup_id_x 1
		.amdhsa_system_sgpr_workgroup_id_y 1
		.amdhsa_system_sgpr_workgroup_id_z 1
		.amdhsa_system_sgpr_workgroup_info 0
		.amdhsa_system_vgpr_workitem_id 1
		.amdhsa_next_free_vgpr 49
		.amdhsa_next_free_sgpr 61
		.amdhsa_reserve_vcc 1
		.amdhsa_reserve_flat_scratch 0
		.amdhsa_float_round_mode_32 0
		.amdhsa_float_round_mode_16_64 0
		.amdhsa_float_denorm_mode_32 3
		.amdhsa_float_denorm_mode_16_64 3
		.amdhsa_dx10_clamp 1
		.amdhsa_ieee_mode 1
		.amdhsa_fp16_overflow 0
		.amdhsa_exception_fp_ieee_invalid_op 0
		.amdhsa_exception_fp_denorm_src 0
		.amdhsa_exception_fp_ieee_div_zero 0
		.amdhsa_exception_fp_ieee_overflow 0
		.amdhsa_exception_fp_ieee_underflow 0
		.amdhsa_exception_fp_ieee_inexact 0
		.amdhsa_exception_int_div_zero 0
	.end_amdhsa_kernel
	.section	.text._ZL32rocblas_syrkx_herkx_small_kernelIi19rocblas_complex_numIdELi16ELb0ELb1ELc67ELc76EKPKS1_KPS1_EviT_T0_PT6_S7_lSA_S7_lS8_PT7_S7_li,"axG",@progbits,_ZL32rocblas_syrkx_herkx_small_kernelIi19rocblas_complex_numIdELi16ELb0ELb1ELc67ELc76EKPKS1_KPS1_EviT_T0_PT6_S7_lSA_S7_lS8_PT7_S7_li,comdat
.Lfunc_end904:
	.size	_ZL32rocblas_syrkx_herkx_small_kernelIi19rocblas_complex_numIdELi16ELb0ELb1ELc67ELc76EKPKS1_KPS1_EviT_T0_PT6_S7_lSA_S7_lS8_PT7_S7_li, .Lfunc_end904-_ZL32rocblas_syrkx_herkx_small_kernelIi19rocblas_complex_numIdELi16ELb0ELb1ELc67ELc76EKPKS1_KPS1_EviT_T0_PT6_S7_lSA_S7_lS8_PT7_S7_li
                                        ; -- End function
	.set _ZL32rocblas_syrkx_herkx_small_kernelIi19rocblas_complex_numIdELi16ELb0ELb1ELc67ELc76EKPKS1_KPS1_EviT_T0_PT6_S7_lSA_S7_lS8_PT7_S7_li.num_vgpr, 49
	.set _ZL32rocblas_syrkx_herkx_small_kernelIi19rocblas_complex_numIdELi16ELb0ELb1ELc67ELc76EKPKS1_KPS1_EviT_T0_PT6_S7_lSA_S7_lS8_PT7_S7_li.num_agpr, 0
	.set _ZL32rocblas_syrkx_herkx_small_kernelIi19rocblas_complex_numIdELi16ELb0ELb1ELc67ELc76EKPKS1_KPS1_EviT_T0_PT6_S7_lSA_S7_lS8_PT7_S7_li.numbered_sgpr, 25
	.set _ZL32rocblas_syrkx_herkx_small_kernelIi19rocblas_complex_numIdELi16ELb0ELb1ELc67ELc76EKPKS1_KPS1_EviT_T0_PT6_S7_lSA_S7_lS8_PT7_S7_li.num_named_barrier, 0
	.set _ZL32rocblas_syrkx_herkx_small_kernelIi19rocblas_complex_numIdELi16ELb0ELb1ELc67ELc76EKPKS1_KPS1_EviT_T0_PT6_S7_lSA_S7_lS8_PT7_S7_li.private_seg_size, 0
	.set _ZL32rocblas_syrkx_herkx_small_kernelIi19rocblas_complex_numIdELi16ELb0ELb1ELc67ELc76EKPKS1_KPS1_EviT_T0_PT6_S7_lSA_S7_lS8_PT7_S7_li.uses_vcc, 1
	.set _ZL32rocblas_syrkx_herkx_small_kernelIi19rocblas_complex_numIdELi16ELb0ELb1ELc67ELc76EKPKS1_KPS1_EviT_T0_PT6_S7_lSA_S7_lS8_PT7_S7_li.uses_flat_scratch, 0
	.set _ZL32rocblas_syrkx_herkx_small_kernelIi19rocblas_complex_numIdELi16ELb0ELb1ELc67ELc76EKPKS1_KPS1_EviT_T0_PT6_S7_lSA_S7_lS8_PT7_S7_li.has_dyn_sized_stack, 0
	.set _ZL32rocblas_syrkx_herkx_small_kernelIi19rocblas_complex_numIdELi16ELb0ELb1ELc67ELc76EKPKS1_KPS1_EviT_T0_PT6_S7_lSA_S7_lS8_PT7_S7_li.has_recursion, 0
	.set _ZL32rocblas_syrkx_herkx_small_kernelIi19rocblas_complex_numIdELi16ELb0ELb1ELc67ELc76EKPKS1_KPS1_EviT_T0_PT6_S7_lSA_S7_lS8_PT7_S7_li.has_indirect_call, 0
	.section	.AMDGPU.csdata,"",@progbits
; Kernel info:
; codeLenInByte = 1820
; TotalNumSgprs: 29
; NumVgprs: 49
; ScratchSize: 0
; MemoryBound: 1
; FloatMode: 240
; IeeeMode: 1
; LDSByteSize: 8192 bytes/workgroup (compile time only)
; SGPRBlocks: 8
; VGPRBlocks: 12
; NumSGPRsForWavesPerEU: 65
; NumVGPRsForWavesPerEU: 49
; Occupancy: 4
; WaveLimiterHint : 1
; COMPUTE_PGM_RSRC2:SCRATCH_EN: 0
; COMPUTE_PGM_RSRC2:USER_SGPR: 6
; COMPUTE_PGM_RSRC2:TRAP_HANDLER: 0
; COMPUTE_PGM_RSRC2:TGID_X_EN: 1
; COMPUTE_PGM_RSRC2:TGID_Y_EN: 1
; COMPUTE_PGM_RSRC2:TGID_Z_EN: 1
; COMPUTE_PGM_RSRC2:TIDIG_COMP_CNT: 1
	.section	.text._ZL32rocblas_syrkx_herkx_small_kernelIi19rocblas_complex_numIdELi16ELb0ELb1ELc78ELc76EKPKS1_KPS1_EviT_T0_PT6_S7_lSA_S7_lS8_PT7_S7_li,"axG",@progbits,_ZL32rocblas_syrkx_herkx_small_kernelIi19rocblas_complex_numIdELi16ELb0ELb1ELc78ELc76EKPKS1_KPS1_EviT_T0_PT6_S7_lSA_S7_lS8_PT7_S7_li,comdat
	.globl	_ZL32rocblas_syrkx_herkx_small_kernelIi19rocblas_complex_numIdELi16ELb0ELb1ELc78ELc76EKPKS1_KPS1_EviT_T0_PT6_S7_lSA_S7_lS8_PT7_S7_li ; -- Begin function _ZL32rocblas_syrkx_herkx_small_kernelIi19rocblas_complex_numIdELi16ELb0ELb1ELc78ELc76EKPKS1_KPS1_EviT_T0_PT6_S7_lSA_S7_lS8_PT7_S7_li
	.p2align	8
	.type	_ZL32rocblas_syrkx_herkx_small_kernelIi19rocblas_complex_numIdELi16ELb0ELb1ELc78ELc76EKPKS1_KPS1_EviT_T0_PT6_S7_lSA_S7_lS8_PT7_S7_li,@function
_ZL32rocblas_syrkx_herkx_small_kernelIi19rocblas_complex_numIdELi16ELb0ELb1ELc78ELc76EKPKS1_KPS1_EviT_T0_PT6_S7_lSA_S7_lS8_PT7_S7_li: ; @_ZL32rocblas_syrkx_herkx_small_kernelIi19rocblas_complex_numIdELi16ELb0ELb1ELc78ELc76EKPKS1_KPS1_EviT_T0_PT6_S7_lSA_S7_lS8_PT7_S7_li
; %bb.0:
	s_load_dwordx2 s[20:21], s[4:5], 0x0
	s_load_dwordx4 s[12:15], s[4:5], 0x8
	s_load_dwordx2 s[0:1], s[4:5], 0x58
	s_load_dwordx2 s[2:3], s[4:5], 0x18
	s_load_dwordx4 s[16:19], s[4:5], 0x48
	s_mov_b32 s9, 0
	s_lshl_b64 s[22:23], s[8:9], 3
	s_waitcnt lgkmcnt(0)
	s_add_u32 s0, s0, s22
	s_addc_u32 s1, s1, s23
	s_load_dwordx2 s[10:11], s[0:1], 0x0
	v_lshl_add_u32 v7, s6, 4, v0
	v_lshl_add_u32 v9, s7, 4, v1
	s_cmp_lt_i32 s21, 1
	v_cmp_gt_i32_e64 s[0:1], s20, v7
	v_ashrrev_i32_e32 v8, 31, v7
	s_cbranch_scc1 .LBB905_9
; %bb.1:
	s_load_dword s24, s[4:5], 0x20
	s_load_dword s6, s[4:5], 0x38
	s_load_dwordx2 s[26:27], s[4:5], 0x30
	v_lshlrev_b32_e32 v4, 8, v1
	v_lshlrev_b32_e32 v18, 4, v0
	s_waitcnt lgkmcnt(0)
	s_ashr_i32 s25, s24, 31
	s_ashr_i32 s7, s6, 31
	s_add_u32 s26, s26, s22
	s_addc_u32 s27, s27, s23
	s_add_u32 s2, s2, s22
	s_addc_u32 s3, s3, s23
	s_load_dwordx2 s[22:23], s[2:3], 0x0
	v_mad_i64_i32 v[2:3], s[2:3], s6, v0, 0
	v_ashrrev_i32_e32 v10, 31, v9
	v_add_u32_e32 v19, v18, v4
	v_add_u32_e32 v20, 0x1000, v4
	v_lshlrev_b64 v[2:3], 4, v[2:3]
	v_lshlrev_b64 v[4:5], 4, v[9:10]
	s_load_dwordx2 s[26:27], s[26:27], 0x0
	v_add_co_u32_e64 v4, s[2:3], v2, v4
	v_addc_co_u32_e64 v5, s[2:3], v3, v5, s[2:3]
	v_mad_i64_i32 v[2:3], s[2:3], s24, v1, 0
	s_waitcnt lgkmcnt(0)
	v_mov_b32_e32 v6, s27
	v_add_co_u32_e64 v10, s[2:3], s26, v4
	v_addc_co_u32_e64 v11, s[2:3], v6, v5, s[2:3]
	v_lshlrev_b64 v[2:3], 4, v[2:3]
	v_lshlrev_b64 v[4:5], 4, v[7:8]
	s_lshl_b64 s[6:7], s[6:7], 8
	v_add_co_u32_e64 v2, s[2:3], v2, v4
	v_addc_co_u32_e64 v3, s[2:3], v3, v5, s[2:3]
	v_mov_b32_e32 v4, s23
	v_add_co_u32_e64 v12, s[2:3], s22, v2
	v_addc_co_u32_e64 v13, s[2:3], v4, v3, s[2:3]
	s_lshl_b64 s[2:3], s[24:25], 8
	v_mov_b32_e32 v14, 0
	v_mov_b32_e32 v16, 0
	v_cmp_gt_i32_e32 vcc, s20, v9
	v_add_u32_e32 v21, v20, v18
	v_mov_b32_e32 v15, 0
	s_xor_b64 s[22:23], s[0:1], -1
	v_mov_b32_e32 v22, s7
	v_mov_b32_e32 v23, s3
	;; [unrolled: 1-line block ×4, first 2 shown]
	s_branch .LBB905_3
.LBB905_2:                              ;   in Loop: Header=BB905_3 Depth=1
	s_or_b64 exec, exec, s[0:1]
	ds_write_b128 v21, v[3:6]
	s_waitcnt lgkmcnt(0)
	s_barrier
	ds_read_b128 v[3:6], v18
	ds_read_b128 v[24:27], v20
	ds_read_b128 v[28:31], v20 offset:16
	ds_read_b128 v[32:35], v18 offset:256
	v_add_co_u32_e64 v10, s[0:1], s6, v10
	s_waitcnt lgkmcnt(2)
	v_mul_f64 v[36:37], v[26:27], v[5:6]
	v_mul_f64 v[5:6], v[24:25], v[5:6]
	s_waitcnt lgkmcnt(0)
	v_mul_f64 v[38:39], v[30:31], v[34:35]
	v_mul_f64 v[40:41], v[28:29], v[34:35]
	v_addc_co_u32_e64 v11, s[0:1], v11, v22, s[0:1]
	s_add_i32 s9, s9, 16
	v_add_co_u32_e64 v12, s[0:1], s2, v12
	v_fma_f64 v[42:43], v[24:25], v[3:4], -v[36:37]
	v_fma_f64 v[44:45], v[26:27], v[3:4], v[5:6]
	ds_read_b128 v[3:6], v18 offset:512
	ds_read_b128 v[24:27], v20 offset:32
	;; [unrolled: 1-line block ×3, first 2 shown]
	v_fma_f64 v[38:39], v[28:29], v[32:33], -v[38:39]
	v_fma_f64 v[32:33], v[30:31], v[32:33], v[40:41]
	ds_read_b128 v[28:31], v18 offset:768
	s_waitcnt lgkmcnt(2)
	v_mul_f64 v[40:41], v[26:27], v[5:6]
	v_mul_f64 v[5:6], v[24:25], v[5:6]
	v_add_f64 v[16:17], v[16:17], v[42:43]
	v_add_f64 v[14:15], v[14:15], v[44:45]
	s_waitcnt lgkmcnt(0)
	v_mul_f64 v[42:43], v[36:37], v[30:31]
	v_mul_f64 v[30:31], v[34:35], v[30:31]
	s_cmp_ge_i32 s9, s21
	v_addc_co_u32_e64 v13, s[0:1], v13, v23, s[0:1]
	v_fma_f64 v[40:41], v[24:25], v[3:4], -v[40:41]
	v_fma_f64 v[44:45], v[26:27], v[3:4], v[5:6]
	v_add_f64 v[38:39], v[16:17], v[38:39]
	v_add_f64 v[32:33], v[14:15], v[32:33]
	ds_read_b128 v[3:6], v20 offset:64
	ds_read_b128 v[14:17], v18 offset:1024
	v_fma_f64 v[34:35], v[34:35], v[28:29], -v[42:43]
	v_fma_f64 v[36:37], v[36:37], v[28:29], v[30:31]
	ds_read_b128 v[24:27], v20 offset:80
	ds_read_b128 v[28:31], v18 offset:1280
	s_waitcnt lgkmcnt(2)
	v_mul_f64 v[42:43], v[5:6], v[16:17]
	v_mul_f64 v[16:17], v[3:4], v[16:17]
	v_add_f64 v[38:39], v[38:39], v[40:41]
	v_add_f64 v[32:33], v[32:33], v[44:45]
	s_waitcnt lgkmcnt(0)
	v_mul_f64 v[40:41], v[26:27], v[30:31]
	v_mul_f64 v[30:31], v[24:25], v[30:31]
	v_fma_f64 v[42:43], v[3:4], v[14:15], -v[42:43]
	v_fma_f64 v[44:45], v[5:6], v[14:15], v[16:17]
	v_add_f64 v[34:35], v[38:39], v[34:35]
	v_add_f64 v[32:33], v[32:33], v[36:37]
	ds_read_b128 v[3:6], v20 offset:96
	ds_read_b128 v[14:17], v18 offset:1536
	v_fma_f64 v[36:37], v[24:25], v[28:29], -v[40:41]
	v_fma_f64 v[38:39], v[26:27], v[28:29], v[30:31]
	ds_read_b128 v[24:27], v20 offset:112
	ds_read_b128 v[28:31], v18 offset:1792
	s_waitcnt lgkmcnt(2)
	v_mul_f64 v[40:41], v[5:6], v[16:17]
	v_mul_f64 v[16:17], v[3:4], v[16:17]
	v_add_f64 v[34:35], v[34:35], v[42:43]
	v_add_f64 v[32:33], v[32:33], v[44:45]
	s_waitcnt lgkmcnt(0)
	v_mul_f64 v[42:43], v[26:27], v[30:31]
	v_mul_f64 v[30:31], v[24:25], v[30:31]
	;; [unrolled: 18-line block ×5, first 2 shown]
	v_fma_f64 v[42:43], v[3:4], v[14:15], -v[42:43]
	v_fma_f64 v[44:45], v[5:6], v[14:15], v[16:17]
	v_add_f64 v[34:35], v[34:35], v[36:37]
	v_add_f64 v[32:33], v[32:33], v[38:39]
	ds_read_b128 v[3:6], v20 offset:224
	ds_read_b128 v[14:17], v18 offset:3584
	v_fma_f64 v[36:37], v[24:25], v[28:29], -v[40:41]
	v_fma_f64 v[38:39], v[26:27], v[28:29], v[30:31]
	ds_read_b128 v[24:27], v20 offset:240
	ds_read_b128 v[28:31], v18 offset:3840
	s_waitcnt lgkmcnt(0)
	v_mul_f64 v[40:41], v[5:6], v[16:17]
	v_mul_f64 v[16:17], v[3:4], v[16:17]
	v_add_f64 v[34:35], v[34:35], v[42:43]
	v_add_f64 v[32:33], v[32:33], v[44:45]
	v_mul_f64 v[42:43], v[26:27], v[30:31]
	v_mul_f64 v[30:31], v[24:25], v[30:31]
	s_barrier
	v_fma_f64 v[3:4], v[3:4], v[14:15], -v[40:41]
	v_fma_f64 v[5:6], v[5:6], v[14:15], v[16:17]
	v_add_f64 v[14:15], v[34:35], v[36:37]
	v_add_f64 v[16:17], v[32:33], v[38:39]
	v_fma_f64 v[24:25], v[24:25], v[28:29], -v[42:43]
	v_fma_f64 v[26:27], v[26:27], v[28:29], v[30:31]
	v_add_f64 v[3:4], v[14:15], v[3:4]
	v_add_f64 v[5:6], v[16:17], v[5:6]
	;; [unrolled: 1-line block ×4, first 2 shown]
	s_cbranch_scc1 .LBB905_10
.LBB905_3:                              ; =>This Inner Loop Header: Depth=1
	v_add_u32_e32 v3, s9, v1
	v_cmp_le_i32_e64 s[0:1], s21, v3
	s_or_b64 s[0:1], s[22:23], s[0:1]
	s_and_saveexec_b64 s[24:25], s[0:1]
	s_xor_b64 s[0:1], exec, s[24:25]
; %bb.4:                                ;   in Loop: Header=BB905_3 Depth=1
	v_mov_b32_e32 v3, v2
	v_mov_b32_e32 v4, v2
	;; [unrolled: 1-line block ×3, first 2 shown]
	ds_write_b128 v19, v[2:5]
; %bb.5:                                ;   in Loop: Header=BB905_3 Depth=1
	s_andn2_saveexec_b64 s[0:1], s[0:1]
	s_cbranch_execz .LBB905_7
; %bb.6:                                ;   in Loop: Header=BB905_3 Depth=1
	flat_load_dwordx4 v[3:6], v[12:13]
	s_waitcnt vmcnt(0) lgkmcnt(0)
	ds_write2_b64 v19, v[3:4], v[5:6] offset1:1
.LBB905_7:                              ;   in Loop: Header=BB905_3 Depth=1
	s_or_b64 exec, exec, s[0:1]
	v_add_u32_e32 v3, s9, v0
	v_cmp_gt_i32_e64 s[0:1], s21, v3
	v_mov_b32_e32 v3, 0
	v_mov_b32_e32 v5, 0
	;; [unrolled: 1-line block ×4, first 2 shown]
	s_and_b64 s[24:25], vcc, s[0:1]
	s_and_saveexec_b64 s[0:1], s[24:25]
	s_cbranch_execz .LBB905_2
; %bb.8:                                ;   in Loop: Header=BB905_3 Depth=1
	flat_load_dwordx4 v[3:6], v[10:11]
	s_waitcnt vmcnt(0) lgkmcnt(0)
	v_xor_b32_e32 v6, 0x80000000, v6
	s_branch .LBB905_2
.LBB905_9:
	v_mov_b32_e32 v14, 0
	v_mov_b32_e32 v16, 0
	;; [unrolled: 1-line block ×4, first 2 shown]
.LBB905_10:
	v_cmp_le_i32_e32 vcc, v9, v7
	v_cmp_gt_i32_e64 s[0:1], s20, v7
	s_and_b64 s[0:1], vcc, s[0:1]
	s_and_saveexec_b64 s[2:3], s[0:1]
	s_cbranch_execz .LBB905_12
; %bb.11:
	s_load_dword s0, s[4:5], 0x60
	s_waitcnt lgkmcnt(0)
	v_mov_b32_e32 v4, s11
	v_lshlrev_b64 v[2:3], 4, v[7:8]
	v_mul_f64 v[10:11], s[12:13], v[14:15]
	v_mul_f64 v[14:15], s[14:15], v[14:15]
	v_mad_i64_i32 v[0:1], s[0:1], s0, v9, 0
	v_lshlrev_b64 v[0:1], 4, v[0:1]
	v_fma_f64 v[10:11], s[14:15], v[16:17], v[10:11]
	v_add_co_u32_e32 v0, vcc, s10, v0
	v_addc_co_u32_e32 v1, vcc, v4, v1, vcc
	v_add_co_u32_e32 v4, vcc, v0, v2
	v_addc_co_u32_e32 v5, vcc, v1, v3, vcc
	flat_load_dwordx4 v[0:3], v[4:5]
	v_fma_f64 v[14:15], s[12:13], v[16:17], -v[14:15]
	v_cmp_ne_u32_e32 vcc, v7, v9
	s_waitcnt vmcnt(0) lgkmcnt(0)
	v_mul_f64 v[12:13], s[16:17], v[2:3]
	v_mul_f64 v[2:3], s[18:19], v[2:3]
	v_fma_f64 v[12:13], s[18:19], v[0:1], v[12:13]
	v_fma_f64 v[0:1], s[16:17], v[0:1], -v[2:3]
	v_add_f64 v[2:3], v[10:11], v[12:13]
	v_add_f64 v[0:1], v[14:15], v[0:1]
	v_cndmask_b32_e32 v3, 0, v3, vcc
	v_cndmask_b32_e32 v2, 0, v2, vcc
	flat_store_dwordx4 v[4:5], v[0:3]
.LBB905_12:
	s_endpgm
	.section	.rodata,"a",@progbits
	.p2align	6, 0x0
	.amdhsa_kernel _ZL32rocblas_syrkx_herkx_small_kernelIi19rocblas_complex_numIdELi16ELb0ELb1ELc78ELc76EKPKS1_KPS1_EviT_T0_PT6_S7_lSA_S7_lS8_PT7_S7_li
		.amdhsa_group_segment_fixed_size 8192
		.amdhsa_private_segment_fixed_size 0
		.amdhsa_kernarg_size 116
		.amdhsa_user_sgpr_count 6
		.amdhsa_user_sgpr_private_segment_buffer 1
		.amdhsa_user_sgpr_dispatch_ptr 0
		.amdhsa_user_sgpr_queue_ptr 0
		.amdhsa_user_sgpr_kernarg_segment_ptr 1
		.amdhsa_user_sgpr_dispatch_id 0
		.amdhsa_user_sgpr_flat_scratch_init 0
		.amdhsa_user_sgpr_private_segment_size 0
		.amdhsa_uses_dynamic_stack 0
		.amdhsa_system_sgpr_private_segment_wavefront_offset 0
		.amdhsa_system_sgpr_workgroup_id_x 1
		.amdhsa_system_sgpr_workgroup_id_y 1
		.amdhsa_system_sgpr_workgroup_id_z 1
		.amdhsa_system_sgpr_workgroup_info 0
		.amdhsa_system_vgpr_workitem_id 1
		.amdhsa_next_free_vgpr 46
		.amdhsa_next_free_sgpr 61
		.amdhsa_reserve_vcc 1
		.amdhsa_reserve_flat_scratch 0
		.amdhsa_float_round_mode_32 0
		.amdhsa_float_round_mode_16_64 0
		.amdhsa_float_denorm_mode_32 3
		.amdhsa_float_denorm_mode_16_64 3
		.amdhsa_dx10_clamp 1
		.amdhsa_ieee_mode 1
		.amdhsa_fp16_overflow 0
		.amdhsa_exception_fp_ieee_invalid_op 0
		.amdhsa_exception_fp_denorm_src 0
		.amdhsa_exception_fp_ieee_div_zero 0
		.amdhsa_exception_fp_ieee_overflow 0
		.amdhsa_exception_fp_ieee_underflow 0
		.amdhsa_exception_fp_ieee_inexact 0
		.amdhsa_exception_int_div_zero 0
	.end_amdhsa_kernel
	.section	.text._ZL32rocblas_syrkx_herkx_small_kernelIi19rocblas_complex_numIdELi16ELb0ELb1ELc78ELc76EKPKS1_KPS1_EviT_T0_PT6_S7_lSA_S7_lS8_PT7_S7_li,"axG",@progbits,_ZL32rocblas_syrkx_herkx_small_kernelIi19rocblas_complex_numIdELi16ELb0ELb1ELc78ELc76EKPKS1_KPS1_EviT_T0_PT6_S7_lSA_S7_lS8_PT7_S7_li,comdat
.Lfunc_end905:
	.size	_ZL32rocblas_syrkx_herkx_small_kernelIi19rocblas_complex_numIdELi16ELb0ELb1ELc78ELc76EKPKS1_KPS1_EviT_T0_PT6_S7_lSA_S7_lS8_PT7_S7_li, .Lfunc_end905-_ZL32rocblas_syrkx_herkx_small_kernelIi19rocblas_complex_numIdELi16ELb0ELb1ELc78ELc76EKPKS1_KPS1_EviT_T0_PT6_S7_lSA_S7_lS8_PT7_S7_li
                                        ; -- End function
	.set _ZL32rocblas_syrkx_herkx_small_kernelIi19rocblas_complex_numIdELi16ELb0ELb1ELc78ELc76EKPKS1_KPS1_EviT_T0_PT6_S7_lSA_S7_lS8_PT7_S7_li.num_vgpr, 46
	.set _ZL32rocblas_syrkx_herkx_small_kernelIi19rocblas_complex_numIdELi16ELb0ELb1ELc78ELc76EKPKS1_KPS1_EviT_T0_PT6_S7_lSA_S7_lS8_PT7_S7_li.num_agpr, 0
	.set _ZL32rocblas_syrkx_herkx_small_kernelIi19rocblas_complex_numIdELi16ELb0ELb1ELc78ELc76EKPKS1_KPS1_EviT_T0_PT6_S7_lSA_S7_lS8_PT7_S7_li.numbered_sgpr, 28
	.set _ZL32rocblas_syrkx_herkx_small_kernelIi19rocblas_complex_numIdELi16ELb0ELb1ELc78ELc76EKPKS1_KPS1_EviT_T0_PT6_S7_lSA_S7_lS8_PT7_S7_li.num_named_barrier, 0
	.set _ZL32rocblas_syrkx_herkx_small_kernelIi19rocblas_complex_numIdELi16ELb0ELb1ELc78ELc76EKPKS1_KPS1_EviT_T0_PT6_S7_lSA_S7_lS8_PT7_S7_li.private_seg_size, 0
	.set _ZL32rocblas_syrkx_herkx_small_kernelIi19rocblas_complex_numIdELi16ELb0ELb1ELc78ELc76EKPKS1_KPS1_EviT_T0_PT6_S7_lSA_S7_lS8_PT7_S7_li.uses_vcc, 1
	.set _ZL32rocblas_syrkx_herkx_small_kernelIi19rocblas_complex_numIdELi16ELb0ELb1ELc78ELc76EKPKS1_KPS1_EviT_T0_PT6_S7_lSA_S7_lS8_PT7_S7_li.uses_flat_scratch, 0
	.set _ZL32rocblas_syrkx_herkx_small_kernelIi19rocblas_complex_numIdELi16ELb0ELb1ELc78ELc76EKPKS1_KPS1_EviT_T0_PT6_S7_lSA_S7_lS8_PT7_S7_li.has_dyn_sized_stack, 0
	.set _ZL32rocblas_syrkx_herkx_small_kernelIi19rocblas_complex_numIdELi16ELb0ELb1ELc78ELc76EKPKS1_KPS1_EviT_T0_PT6_S7_lSA_S7_lS8_PT7_S7_li.has_recursion, 0
	.set _ZL32rocblas_syrkx_herkx_small_kernelIi19rocblas_complex_numIdELi16ELb0ELb1ELc78ELc76EKPKS1_KPS1_EviT_T0_PT6_S7_lSA_S7_lS8_PT7_S7_li.has_indirect_call, 0
	.section	.AMDGPU.csdata,"",@progbits
; Kernel info:
; codeLenInByte = 1876
; TotalNumSgprs: 32
; NumVgprs: 46
; ScratchSize: 0
; MemoryBound: 1
; FloatMode: 240
; IeeeMode: 1
; LDSByteSize: 8192 bytes/workgroup (compile time only)
; SGPRBlocks: 8
; VGPRBlocks: 11
; NumSGPRsForWavesPerEU: 65
; NumVGPRsForWavesPerEU: 46
; Occupancy: 5
; WaveLimiterHint : 1
; COMPUTE_PGM_RSRC2:SCRATCH_EN: 0
; COMPUTE_PGM_RSRC2:USER_SGPR: 6
; COMPUTE_PGM_RSRC2:TRAP_HANDLER: 0
; COMPUTE_PGM_RSRC2:TGID_X_EN: 1
; COMPUTE_PGM_RSRC2:TGID_Y_EN: 1
; COMPUTE_PGM_RSRC2:TGID_Z_EN: 1
; COMPUTE_PGM_RSRC2:TIDIG_COMP_CNT: 1
	.section	.text._ZL32rocblas_syrkx_herkx_small_kernelIi19rocblas_complex_numIdELi16ELb0ELb1ELc84ELc85EKPKS1_KPS1_EviT_T0_PT6_S7_lSA_S7_lS8_PT7_S7_li,"axG",@progbits,_ZL32rocblas_syrkx_herkx_small_kernelIi19rocblas_complex_numIdELi16ELb0ELb1ELc84ELc85EKPKS1_KPS1_EviT_T0_PT6_S7_lSA_S7_lS8_PT7_S7_li,comdat
	.globl	_ZL32rocblas_syrkx_herkx_small_kernelIi19rocblas_complex_numIdELi16ELb0ELb1ELc84ELc85EKPKS1_KPS1_EviT_T0_PT6_S7_lSA_S7_lS8_PT7_S7_li ; -- Begin function _ZL32rocblas_syrkx_herkx_small_kernelIi19rocblas_complex_numIdELi16ELb0ELb1ELc84ELc85EKPKS1_KPS1_EviT_T0_PT6_S7_lSA_S7_lS8_PT7_S7_li
	.p2align	8
	.type	_ZL32rocblas_syrkx_herkx_small_kernelIi19rocblas_complex_numIdELi16ELb0ELb1ELc84ELc85EKPKS1_KPS1_EviT_T0_PT6_S7_lSA_S7_lS8_PT7_S7_li,@function
_ZL32rocblas_syrkx_herkx_small_kernelIi19rocblas_complex_numIdELi16ELb0ELb1ELc84ELc85EKPKS1_KPS1_EviT_T0_PT6_S7_lSA_S7_lS8_PT7_S7_li: ; @_ZL32rocblas_syrkx_herkx_small_kernelIi19rocblas_complex_numIdELi16ELb0ELb1ELc84ELc85EKPKS1_KPS1_EviT_T0_PT6_S7_lSA_S7_lS8_PT7_S7_li
; %bb.0:
	s_load_dwordx2 s[20:21], s[4:5], 0x0
	s_load_dwordx4 s[12:15], s[4:5], 0x8
	s_load_dwordx2 s[0:1], s[4:5], 0x58
	s_load_dwordx2 s[2:3], s[4:5], 0x18
	s_load_dwordx4 s[16:19], s[4:5], 0x48
	s_mov_b32 s9, 0
	s_lshl_b64 s[22:23], s[8:9], 3
	s_waitcnt lgkmcnt(0)
	s_add_u32 s0, s0, s22
	s_addc_u32 s1, s1, s23
	s_load_dwordx2 s[10:11], s[0:1], 0x0
	v_lshl_add_u32 v15, s7, 4, v1
	v_lshl_add_u32 v6, s6, 4, v0
	s_cmp_lt_i32 s21, 1
	v_cmp_gt_i32_e32 vcc, s20, v15
	s_cbranch_scc1 .LBB906_11
; %bb.1:
	s_load_dwordx2 s[6:7], s[4:5], 0x30
	s_load_dword s8, s[4:5], 0x20
	s_load_dword s24, s[4:5], 0x38
	v_lshlrev_b32_e32 v4, 8, v1
	v_lshlrev_b32_e32 v16, 4, v0
	s_waitcnt lgkmcnt(0)
	s_add_u32 s6, s6, s22
	s_addc_u32 s7, s7, s23
	s_add_u32 s2, s2, s22
	s_addc_u32 s3, s3, s23
	s_load_dwordx2 s[22:23], s[2:3], 0x0
	v_mad_i64_i32 v[2:3], s[2:3], s24, v15, 0
	s_load_dwordx2 s[6:7], s[6:7], 0x0
	v_add_u32_e32 v17, v16, v4
	v_lshlrev_b64 v[2:3], 4, v[2:3]
	v_add_u32_e32 v18, 0x1000, v4
	v_add_co_u32_e64 v4, s[2:3], v2, v16
	v_addc_co_u32_e64 v5, s[2:3], 0, v3, s[2:3]
	v_mad_i64_i32 v[2:3], s[2:3], s8, v6, 0
	s_waitcnt lgkmcnt(0)
	v_mov_b32_e32 v8, s7
	v_add_co_u32_e64 v7, s[2:3], s6, v4
	v_lshlrev_b64 v[2:3], 4, v[2:3]
	v_addc_co_u32_e64 v8, s[2:3], v8, v5, s[2:3]
	v_lshlrev_b32_e32 v4, 4, v1
	v_add_co_u32_e64 v2, s[2:3], v2, v4
	v_addc_co_u32_e64 v3, s[2:3], 0, v3, s[2:3]
	v_mov_b32_e32 v4, s23
	v_add_co_u32_e64 v9, s[2:3], s22, v2
	v_cmp_gt_i32_e64 s[0:1], s20, v6
	v_addc_co_u32_e64 v10, s[2:3], v4, v3, s[2:3]
	v_mov_b32_e32 v11, 0
	v_mov_b32_e32 v13, 0
	v_add_u32_e32 v19, v18, v16
	v_mov_b32_e32 v12, 0
	s_xor_b64 s[0:1], s[0:1], -1
	s_xor_b64 s[2:3], vcc, -1
	v_mov_b32_e32 v14, 0
	v_mov_b32_e32 v2, 0
	s_branch .LBB906_3
.LBB906_2:                              ;   in Loop: Header=BB906_3 Depth=1
	s_or_b64 exec, exec, s[6:7]
	s_waitcnt lgkmcnt(0)
	s_barrier
	ds_read_b128 v[20:23], v16
	ds_read_b128 v[24:27], v18
	ds_read_b128 v[28:31], v18 offset:16
	ds_read_b128 v[32:35], v16 offset:256
	;; [unrolled: 1-line block ×4, first 2 shown]
	s_waitcnt lgkmcnt(4)
	v_mul_f64 v[3:4], v[26:27], v[22:23]
	v_mul_f64 v[22:23], v[24:25], v[22:23]
	s_waitcnt lgkmcnt(2)
	v_mul_f64 v[44:45], v[30:31], v[34:35]
	v_mul_f64 v[34:35], v[28:29], v[34:35]
	s_waitcnt lgkmcnt(0)
	v_mul_f64 v[48:49], v[38:39], v[42:43]
	v_add_co_u32_e32 v7, vcc, 0x100, v7
	v_addc_co_u32_e32 v8, vcc, 0, v8, vcc
	v_fma_f64 v[3:4], v[24:25], v[20:21], -v[3:4]
	v_fma_f64 v[46:47], v[26:27], v[20:21], v[22:23]
	v_fma_f64 v[28:29], v[28:29], v[32:33], -v[44:45]
	v_fma_f64 v[30:31], v[30:31], v[32:33], v[34:35]
	v_mul_f64 v[32:33], v[36:37], v[42:43]
	ds_read_b128 v[20:23], v18 offset:48
	ds_read_b128 v[24:27], v16 offset:768
	v_fma_f64 v[36:37], v[36:37], v[40:41], -v[48:49]
	s_add_i32 s9, s9, 16
	v_add_f64 v[3:4], v[13:14], v[3:4]
	v_add_f64 v[34:35], v[11:12], v[46:47]
	s_waitcnt lgkmcnt(0)
	v_mul_f64 v[42:43], v[22:23], v[26:27]
	v_mul_f64 v[44:45], v[20:21], v[26:27]
	v_fma_f64 v[38:39], v[38:39], v[40:41], v[32:33]
	ds_read_b128 v[11:14], v18 offset:64
	v_add_co_u32_e32 v9, vcc, 0x100, v9
	v_add_f64 v[3:4], v[3:4], v[28:29]
	v_add_f64 v[34:35], v[34:35], v[30:31]
	ds_read_b128 v[26:29], v16 offset:1024
	v_fma_f64 v[40:41], v[20:21], v[24:25], -v[42:43]
	v_fma_f64 v[24:25], v[22:23], v[24:25], v[44:45]
	ds_read_b128 v[20:23], v18 offset:80
	ds_read_b128 v[30:33], v16 offset:1280
	s_cmp_ge_i32 s9, s21
	s_waitcnt lgkmcnt(2)
	v_mul_f64 v[42:43], v[13:14], v[28:29]
	v_mul_f64 v[28:29], v[11:12], v[28:29]
	v_add_f64 v[3:4], v[3:4], v[36:37]
	v_add_f64 v[38:39], v[34:35], v[38:39]
	s_waitcnt lgkmcnt(0)
	v_mul_f64 v[44:45], v[22:23], v[32:33]
	v_mul_f64 v[32:33], v[20:21], v[32:33]
	ds_read_b128 v[34:37], v18 offset:96
	v_addc_co_u32_e32 v10, vcc, 0, v10, vcc
	v_fma_f64 v[42:43], v[11:12], v[26:27], -v[42:43]
	v_fma_f64 v[28:29], v[13:14], v[26:27], v[28:29]
	v_add_f64 v[3:4], v[3:4], v[40:41]
	v_add_f64 v[46:47], v[38:39], v[24:25]
	ds_read_b128 v[11:14], v16 offset:1536
	v_fma_f64 v[44:45], v[20:21], v[30:31], -v[44:45]
	v_fma_f64 v[30:31], v[22:23], v[30:31], v[32:33]
	ds_read_b128 v[24:27], v18 offset:112
	ds_read_b128 v[38:41], v16 offset:1792
	;; [unrolled: 1-line block ×3, first 2 shown]
	s_waitcnt lgkmcnt(3)
	v_mul_f64 v[48:49], v[36:37], v[13:14]
	v_mul_f64 v[13:14], v[34:35], v[13:14]
	v_add_f64 v[3:4], v[3:4], v[42:43]
	v_add_f64 v[28:29], v[46:47], v[28:29]
	s_waitcnt lgkmcnt(1)
	v_mul_f64 v[32:33], v[26:27], v[40:41]
	v_mul_f64 v[40:41], v[24:25], v[40:41]
	v_fma_f64 v[34:35], v[34:35], v[11:12], -v[48:49]
	v_fma_f64 v[36:37], v[36:37], v[11:12], v[13:14]
	v_add_f64 v[3:4], v[3:4], v[44:45]
	v_add_f64 v[42:43], v[28:29], v[30:31]
	ds_read_b128 v[11:14], v16 offset:2048
	v_fma_f64 v[44:45], v[24:25], v[38:39], -v[32:33]
	v_fma_f64 v[38:39], v[26:27], v[38:39], v[40:41]
	ds_read_b128 v[24:27], v18 offset:144
	ds_read_b128 v[28:31], v16 offset:2304
	s_waitcnt lgkmcnt(2)
	v_mul_f64 v[40:41], v[22:23], v[13:14]
	v_mul_f64 v[13:14], v[20:21], v[13:14]
	v_add_f64 v[3:4], v[3:4], v[34:35]
	v_add_f64 v[36:37], v[42:43], v[36:37]
	s_waitcnt lgkmcnt(0)
	v_mul_f64 v[42:43], v[26:27], v[30:31]
	v_mul_f64 v[30:31], v[24:25], v[30:31]
	ds_read_b128 v[32:35], v18 offset:160
	v_fma_f64 v[40:41], v[20:21], v[11:12], -v[40:41]
	v_fma_f64 v[46:47], v[22:23], v[11:12], v[13:14]
	v_add_f64 v[3:4], v[3:4], v[44:45]
	v_add_f64 v[44:45], v[36:37], v[38:39]
	ds_read_b128 v[11:14], v16 offset:2560
	v_fma_f64 v[42:43], v[24:25], v[28:29], -v[42:43]
	v_fma_f64 v[28:29], v[26:27], v[28:29], v[30:31]
	ds_read_b128 v[20:23], v18 offset:176
	ds_read_b128 v[36:39], v16 offset:2816
	;; [unrolled: 1-line block ×3, first 2 shown]
	s_waitcnt lgkmcnt(3)
	v_mul_f64 v[48:49], v[34:35], v[13:14]
	v_mul_f64 v[13:14], v[32:33], v[13:14]
	v_add_f64 v[3:4], v[3:4], v[40:41]
	v_add_f64 v[30:31], v[44:45], v[46:47]
	s_waitcnt lgkmcnt(1)
	v_mul_f64 v[40:41], v[22:23], v[38:39]
	v_mul_f64 v[38:39], v[20:21], v[38:39]
	v_fma_f64 v[32:33], v[32:33], v[11:12], -v[48:49]
	v_fma_f64 v[34:35], v[34:35], v[11:12], v[13:14]
	v_add_f64 v[3:4], v[3:4], v[42:43]
	v_add_f64 v[42:43], v[30:31], v[28:29]
	ds_read_b128 v[11:14], v16 offset:3072
	v_fma_f64 v[40:41], v[20:21], v[36:37], -v[40:41]
	v_fma_f64 v[36:37], v[22:23], v[36:37], v[38:39]
	ds_read_b128 v[20:23], v18 offset:208
	ds_read_b128 v[28:31], v16 offset:3328
	s_waitcnt lgkmcnt(2)
	v_mul_f64 v[38:39], v[26:27], v[13:14]
	v_mul_f64 v[13:14], v[24:25], v[13:14]
	v_add_f64 v[3:4], v[3:4], v[32:33]
	v_add_f64 v[42:43], v[42:43], v[34:35]
	s_waitcnt lgkmcnt(0)
	v_mul_f64 v[44:45], v[22:23], v[30:31]
	v_mul_f64 v[30:31], v[20:21], v[30:31]
	ds_read_b128 v[32:35], v18 offset:224
	v_fma_f64 v[46:47], v[24:25], v[11:12], -v[38:39]
	v_fma_f64 v[48:49], v[26:27], v[11:12], v[13:14]
	v_add_f64 v[3:4], v[3:4], v[40:41]
	v_add_f64 v[40:41], v[42:43], v[36:37]
	ds_read_b128 v[11:14], v16 offset:3584
	v_fma_f64 v[20:21], v[20:21], v[28:29], -v[44:45]
	v_fma_f64 v[22:23], v[22:23], v[28:29], v[30:31]
	ds_read_b128 v[24:27], v18 offset:240
	ds_read_b128 v[36:39], v16 offset:3840
	s_waitcnt lgkmcnt(0)
	v_mul_f64 v[42:43], v[34:35], v[13:14]
	v_mul_f64 v[13:14], v[32:33], v[13:14]
	v_add_f64 v[3:4], v[3:4], v[46:47]
	v_add_f64 v[28:29], v[40:41], v[48:49]
	v_mul_f64 v[30:31], v[26:27], v[38:39]
	v_mul_f64 v[38:39], v[24:25], v[38:39]
	s_barrier
	v_fma_f64 v[32:33], v[32:33], v[11:12], -v[42:43]
	v_fma_f64 v[11:12], v[34:35], v[11:12], v[13:14]
	v_add_f64 v[3:4], v[3:4], v[20:21]
	v_add_f64 v[13:14], v[28:29], v[22:23]
	v_fma_f64 v[20:21], v[24:25], v[36:37], -v[30:31]
	v_fma_f64 v[22:23], v[26:27], v[36:37], v[38:39]
	v_add_f64 v[3:4], v[3:4], v[32:33]
	v_add_f64 v[11:12], v[13:14], v[11:12]
	;; [unrolled: 1-line block ×4, first 2 shown]
	s_cbranch_scc1 .LBB906_12
.LBB906_3:                              ; =>This Inner Loop Header: Depth=1
	v_add_u32_e32 v3, s9, v1
	v_cmp_le_i32_e32 vcc, s21, v3
	s_or_b64 s[6:7], s[0:1], vcc
	s_and_saveexec_b64 s[22:23], s[6:7]
	s_xor_b64 s[6:7], exec, s[22:23]
; %bb.4:                                ;   in Loop: Header=BB906_3 Depth=1
	v_mov_b32_e32 v3, v2
	v_mov_b32_e32 v4, v2
	;; [unrolled: 1-line block ×3, first 2 shown]
	ds_write_b128 v17, v[2:5]
; %bb.5:                                ;   in Loop: Header=BB906_3 Depth=1
	s_andn2_saveexec_b64 s[6:7], s[6:7]
	s_cbranch_execz .LBB906_7
; %bb.6:                                ;   in Loop: Header=BB906_3 Depth=1
	flat_load_dwordx4 v[20:23], v[9:10]
	s_waitcnt vmcnt(0) lgkmcnt(0)
	ds_write2_b64 v17, v[20:21], v[22:23] offset1:1
.LBB906_7:                              ;   in Loop: Header=BB906_3 Depth=1
	s_or_b64 exec, exec, s[6:7]
	v_add_u32_e32 v3, s9, v0
	v_cmp_le_i32_e32 vcc, s21, v3
	s_or_b64 s[6:7], s[2:3], vcc
	s_and_saveexec_b64 s[22:23], s[6:7]
	s_xor_b64 s[6:7], exec, s[22:23]
; %bb.8:                                ;   in Loop: Header=BB906_3 Depth=1
	v_mov_b32_e32 v3, v2
	v_mov_b32_e32 v4, v2
	;; [unrolled: 1-line block ×3, first 2 shown]
	ds_write_b128 v19, v[2:5]
; %bb.9:                                ;   in Loop: Header=BB906_3 Depth=1
	s_andn2_saveexec_b64 s[6:7], s[6:7]
	s_cbranch_execz .LBB906_2
; %bb.10:                               ;   in Loop: Header=BB906_3 Depth=1
	flat_load_dwordx4 v[20:23], v[7:8]
	s_waitcnt vmcnt(0) lgkmcnt(0)
	ds_write2_b64 v19, v[20:21], v[22:23] offset1:1
	s_branch .LBB906_2
.LBB906_11:
	v_mov_b32_e32 v11, 0
	v_mov_b32_e32 v13, 0
	;; [unrolled: 1-line block ×4, first 2 shown]
.LBB906_12:
	v_cmp_le_i32_e32 vcc, v6, v15
	v_cmp_gt_i32_e64 s[0:1], s20, v15
	s_and_b64 s[0:1], vcc, s[0:1]
	s_and_saveexec_b64 s[2:3], s[0:1]
	s_cbranch_execz .LBB906_14
; %bb.13:
	s_load_dword s0, s[4:5], 0x60
	v_ashrrev_i32_e32 v7, 31, v6
	s_waitcnt lgkmcnt(0)
	v_mov_b32_e32 v4, s11
	v_lshlrev_b64 v[2:3], 4, v[6:7]
	v_mul_f64 v[7:8], s[12:13], v[11:12]
	v_mad_i64_i32 v[0:1], s[0:1], s0, v15, 0
	v_mul_f64 v[11:12], s[14:15], v[11:12]
	v_lshlrev_b64 v[0:1], 4, v[0:1]
	v_add_co_u32_e32 v0, vcc, s10, v0
	v_addc_co_u32_e32 v1, vcc, v4, v1, vcc
	v_add_co_u32_e32 v4, vcc, v0, v2
	v_addc_co_u32_e32 v5, vcc, v1, v3, vcc
	flat_load_dwordx4 v[0:3], v[4:5]
	v_fma_f64 v[7:8], s[14:15], v[13:14], v[7:8]
	v_fma_f64 v[11:12], s[12:13], v[13:14], -v[11:12]
	v_cmp_ne_u32_e32 vcc, v6, v15
	s_waitcnt vmcnt(0) lgkmcnt(0)
	v_mul_f64 v[9:10], s[16:17], v[2:3]
	v_mul_f64 v[2:3], s[18:19], v[2:3]
	v_fma_f64 v[9:10], s[18:19], v[0:1], v[9:10]
	v_fma_f64 v[0:1], s[16:17], v[0:1], -v[2:3]
	v_add_f64 v[2:3], v[7:8], v[9:10]
	v_add_f64 v[0:1], v[11:12], v[0:1]
	v_cndmask_b32_e32 v3, 0, v3, vcc
	v_cndmask_b32_e32 v2, 0, v2, vcc
	flat_store_dwordx4 v[4:5], v[0:3]
.LBB906_14:
	s_endpgm
	.section	.rodata,"a",@progbits
	.p2align	6, 0x0
	.amdhsa_kernel _ZL32rocblas_syrkx_herkx_small_kernelIi19rocblas_complex_numIdELi16ELb0ELb1ELc84ELc85EKPKS1_KPS1_EviT_T0_PT6_S7_lSA_S7_lS8_PT7_S7_li
		.amdhsa_group_segment_fixed_size 8192
		.amdhsa_private_segment_fixed_size 0
		.amdhsa_kernarg_size 116
		.amdhsa_user_sgpr_count 6
		.amdhsa_user_sgpr_private_segment_buffer 1
		.amdhsa_user_sgpr_dispatch_ptr 0
		.amdhsa_user_sgpr_queue_ptr 0
		.amdhsa_user_sgpr_kernarg_segment_ptr 1
		.amdhsa_user_sgpr_dispatch_id 0
		.amdhsa_user_sgpr_flat_scratch_init 0
		.amdhsa_user_sgpr_private_segment_size 0
		.amdhsa_uses_dynamic_stack 0
		.amdhsa_system_sgpr_private_segment_wavefront_offset 0
		.amdhsa_system_sgpr_workgroup_id_x 1
		.amdhsa_system_sgpr_workgroup_id_y 1
		.amdhsa_system_sgpr_workgroup_id_z 1
		.amdhsa_system_sgpr_workgroup_info 0
		.amdhsa_system_vgpr_workitem_id 1
		.amdhsa_next_free_vgpr 50
		.amdhsa_next_free_sgpr 61
		.amdhsa_reserve_vcc 1
		.amdhsa_reserve_flat_scratch 0
		.amdhsa_float_round_mode_32 0
		.amdhsa_float_round_mode_16_64 0
		.amdhsa_float_denorm_mode_32 3
		.amdhsa_float_denorm_mode_16_64 3
		.amdhsa_dx10_clamp 1
		.amdhsa_ieee_mode 1
		.amdhsa_fp16_overflow 0
		.amdhsa_exception_fp_ieee_invalid_op 0
		.amdhsa_exception_fp_denorm_src 0
		.amdhsa_exception_fp_ieee_div_zero 0
		.amdhsa_exception_fp_ieee_overflow 0
		.amdhsa_exception_fp_ieee_underflow 0
		.amdhsa_exception_fp_ieee_inexact 0
		.amdhsa_exception_int_div_zero 0
	.end_amdhsa_kernel
	.section	.text._ZL32rocblas_syrkx_herkx_small_kernelIi19rocblas_complex_numIdELi16ELb0ELb1ELc84ELc85EKPKS1_KPS1_EviT_T0_PT6_S7_lSA_S7_lS8_PT7_S7_li,"axG",@progbits,_ZL32rocblas_syrkx_herkx_small_kernelIi19rocblas_complex_numIdELi16ELb0ELb1ELc84ELc85EKPKS1_KPS1_EviT_T0_PT6_S7_lSA_S7_lS8_PT7_S7_li,comdat
.Lfunc_end906:
	.size	_ZL32rocblas_syrkx_herkx_small_kernelIi19rocblas_complex_numIdELi16ELb0ELb1ELc84ELc85EKPKS1_KPS1_EviT_T0_PT6_S7_lSA_S7_lS8_PT7_S7_li, .Lfunc_end906-_ZL32rocblas_syrkx_herkx_small_kernelIi19rocblas_complex_numIdELi16ELb0ELb1ELc84ELc85EKPKS1_KPS1_EviT_T0_PT6_S7_lSA_S7_lS8_PT7_S7_li
                                        ; -- End function
	.set _ZL32rocblas_syrkx_herkx_small_kernelIi19rocblas_complex_numIdELi16ELb0ELb1ELc84ELc85EKPKS1_KPS1_EviT_T0_PT6_S7_lSA_S7_lS8_PT7_S7_li.num_vgpr, 50
	.set _ZL32rocblas_syrkx_herkx_small_kernelIi19rocblas_complex_numIdELi16ELb0ELb1ELc84ELc85EKPKS1_KPS1_EviT_T0_PT6_S7_lSA_S7_lS8_PT7_S7_li.num_agpr, 0
	.set _ZL32rocblas_syrkx_herkx_small_kernelIi19rocblas_complex_numIdELi16ELb0ELb1ELc84ELc85EKPKS1_KPS1_EviT_T0_PT6_S7_lSA_S7_lS8_PT7_S7_li.numbered_sgpr, 25
	.set _ZL32rocblas_syrkx_herkx_small_kernelIi19rocblas_complex_numIdELi16ELb0ELb1ELc84ELc85EKPKS1_KPS1_EviT_T0_PT6_S7_lSA_S7_lS8_PT7_S7_li.num_named_barrier, 0
	.set _ZL32rocblas_syrkx_herkx_small_kernelIi19rocblas_complex_numIdELi16ELb0ELb1ELc84ELc85EKPKS1_KPS1_EviT_T0_PT6_S7_lSA_S7_lS8_PT7_S7_li.private_seg_size, 0
	.set _ZL32rocblas_syrkx_herkx_small_kernelIi19rocblas_complex_numIdELi16ELb0ELb1ELc84ELc85EKPKS1_KPS1_EviT_T0_PT6_S7_lSA_S7_lS8_PT7_S7_li.uses_vcc, 1
	.set _ZL32rocblas_syrkx_herkx_small_kernelIi19rocblas_complex_numIdELi16ELb0ELb1ELc84ELc85EKPKS1_KPS1_EviT_T0_PT6_S7_lSA_S7_lS8_PT7_S7_li.uses_flat_scratch, 0
	.set _ZL32rocblas_syrkx_herkx_small_kernelIi19rocblas_complex_numIdELi16ELb0ELb1ELc84ELc85EKPKS1_KPS1_EviT_T0_PT6_S7_lSA_S7_lS8_PT7_S7_li.has_dyn_sized_stack, 0
	.set _ZL32rocblas_syrkx_herkx_small_kernelIi19rocblas_complex_numIdELi16ELb0ELb1ELc84ELc85EKPKS1_KPS1_EviT_T0_PT6_S7_lSA_S7_lS8_PT7_S7_li.has_recursion, 0
	.set _ZL32rocblas_syrkx_herkx_small_kernelIi19rocblas_complex_numIdELi16ELb0ELb1ELc84ELc85EKPKS1_KPS1_EviT_T0_PT6_S7_lSA_S7_lS8_PT7_S7_li.has_indirect_call, 0
	.section	.AMDGPU.csdata,"",@progbits
; Kernel info:
; codeLenInByte = 1828
; TotalNumSgprs: 29
; NumVgprs: 50
; ScratchSize: 0
; MemoryBound: 0
; FloatMode: 240
; IeeeMode: 1
; LDSByteSize: 8192 bytes/workgroup (compile time only)
; SGPRBlocks: 8
; VGPRBlocks: 12
; NumSGPRsForWavesPerEU: 65
; NumVGPRsForWavesPerEU: 50
; Occupancy: 4
; WaveLimiterHint : 1
; COMPUTE_PGM_RSRC2:SCRATCH_EN: 0
; COMPUTE_PGM_RSRC2:USER_SGPR: 6
; COMPUTE_PGM_RSRC2:TRAP_HANDLER: 0
; COMPUTE_PGM_RSRC2:TGID_X_EN: 1
; COMPUTE_PGM_RSRC2:TGID_Y_EN: 1
; COMPUTE_PGM_RSRC2:TGID_Z_EN: 1
; COMPUTE_PGM_RSRC2:TIDIG_COMP_CNT: 1
	.section	.text._ZL32rocblas_syrkx_herkx_small_kernelIi19rocblas_complex_numIdELi16ELb0ELb1ELc67ELc85EKPKS1_KPS1_EviT_T0_PT6_S7_lSA_S7_lS8_PT7_S7_li,"axG",@progbits,_ZL32rocblas_syrkx_herkx_small_kernelIi19rocblas_complex_numIdELi16ELb0ELb1ELc67ELc85EKPKS1_KPS1_EviT_T0_PT6_S7_lSA_S7_lS8_PT7_S7_li,comdat
	.globl	_ZL32rocblas_syrkx_herkx_small_kernelIi19rocblas_complex_numIdELi16ELb0ELb1ELc67ELc85EKPKS1_KPS1_EviT_T0_PT6_S7_lSA_S7_lS8_PT7_S7_li ; -- Begin function _ZL32rocblas_syrkx_herkx_small_kernelIi19rocblas_complex_numIdELi16ELb0ELb1ELc67ELc85EKPKS1_KPS1_EviT_T0_PT6_S7_lSA_S7_lS8_PT7_S7_li
	.p2align	8
	.type	_ZL32rocblas_syrkx_herkx_small_kernelIi19rocblas_complex_numIdELi16ELb0ELb1ELc67ELc85EKPKS1_KPS1_EviT_T0_PT6_S7_lSA_S7_lS8_PT7_S7_li,@function
_ZL32rocblas_syrkx_herkx_small_kernelIi19rocblas_complex_numIdELi16ELb0ELb1ELc67ELc85EKPKS1_KPS1_EviT_T0_PT6_S7_lSA_S7_lS8_PT7_S7_li: ; @_ZL32rocblas_syrkx_herkx_small_kernelIi19rocblas_complex_numIdELi16ELb0ELb1ELc67ELc85EKPKS1_KPS1_EviT_T0_PT6_S7_lSA_S7_lS8_PT7_S7_li
; %bb.0:
	s_load_dwordx2 s[20:21], s[4:5], 0x0
	s_load_dwordx4 s[12:15], s[4:5], 0x8
	s_load_dwordx2 s[0:1], s[4:5], 0x58
	s_load_dwordx2 s[2:3], s[4:5], 0x18
	s_load_dwordx4 s[16:19], s[4:5], 0x48
	s_mov_b32 s9, 0
	s_lshl_b64 s[22:23], s[8:9], 3
	s_waitcnt lgkmcnt(0)
	s_add_u32 s0, s0, s22
	s_addc_u32 s1, s1, s23
	s_load_dwordx2 s[10:11], s[0:1], 0x0
	v_lshl_add_u32 v16, s7, 4, v1
	v_lshl_add_u32 v7, s6, 4, v0
	s_cmp_lt_i32 s21, 1
	v_cmp_gt_i32_e32 vcc, s20, v16
	s_cbranch_scc1 .LBB907_9
; %bb.1:
	s_load_dwordx2 s[6:7], s[4:5], 0x30
	s_load_dword s8, s[4:5], 0x20
	s_load_dword s24, s[4:5], 0x38
	v_lshlrev_b32_e32 v4, 8, v1
	v_lshlrev_b32_e32 v17, 4, v0
	s_waitcnt lgkmcnt(0)
	s_add_u32 s6, s6, s22
	s_addc_u32 s7, s7, s23
	s_add_u32 s2, s2, s22
	s_addc_u32 s3, s3, s23
	s_load_dwordx2 s[22:23], s[2:3], 0x0
	v_mad_i64_i32 v[2:3], s[2:3], s24, v16, 0
	s_load_dwordx2 s[6:7], s[6:7], 0x0
	v_add_u32_e32 v18, v17, v4
	v_lshlrev_b64 v[2:3], 4, v[2:3]
	v_add_u32_e32 v19, 0x1000, v4
	v_add_co_u32_e64 v4, s[2:3], v2, v17
	v_addc_co_u32_e64 v5, s[2:3], 0, v3, s[2:3]
	v_mad_i64_i32 v[2:3], s[2:3], s8, v7, 0
	s_waitcnt lgkmcnt(0)
	v_mov_b32_e32 v6, s7
	v_add_co_u32_e64 v8, s[2:3], s6, v4
	v_lshlrev_b64 v[2:3], 4, v[2:3]
	v_addc_co_u32_e64 v9, s[2:3], v6, v5, s[2:3]
	v_lshlrev_b32_e32 v4, 4, v1
	v_add_co_u32_e64 v2, s[2:3], v2, v4
	v_addc_co_u32_e64 v3, s[2:3], 0, v3, s[2:3]
	v_mov_b32_e32 v4, s23
	v_add_co_u32_e64 v10, s[2:3], s22, v2
	v_addc_co_u32_e64 v11, s[2:3], v4, v3, s[2:3]
	v_mov_b32_e32 v12, 0
	v_mov_b32_e32 v14, 0
	v_cmp_gt_i32_e64 s[0:1], s20, v7
	v_add_u32_e32 v20, v19, v17
	v_mov_b32_e32 v13, 0
	s_xor_b64 s[2:3], vcc, -1
	v_mov_b32_e32 v15, 0
	v_mov_b32_e32 v2, 0
	s_branch .LBB907_3
.LBB907_2:                              ;   in Loop: Header=BB907_3 Depth=1
	s_or_b64 exec, exec, s[6:7]
	s_waitcnt lgkmcnt(0)
	s_barrier
	ds_read_b128 v[3:6], v17
	ds_read_b128 v[21:24], v19
	ds_read_b128 v[25:28], v19 offset:16
	ds_read_b128 v[29:32], v17 offset:256
	;; [unrolled: 1-line block ×4, first 2 shown]
	s_waitcnt lgkmcnt(4)
	v_mul_f64 v[41:42], v[23:24], v[5:6]
	v_mul_f64 v[5:6], v[21:22], v[5:6]
	s_waitcnt lgkmcnt(2)
	v_mul_f64 v[43:44], v[27:28], v[31:32]
	v_mul_f64 v[31:32], v[25:26], v[31:32]
	s_waitcnt lgkmcnt(0)
	v_mul_f64 v[47:48], v[35:36], v[39:40]
	v_add_co_u32_e32 v8, vcc, 0x100, v8
	v_addc_co_u32_e32 v9, vcc, 0, v9, vcc
	v_fma_f64 v[41:42], v[21:22], v[3:4], -v[41:42]
	v_fma_f64 v[45:46], v[23:24], v[3:4], v[5:6]
	v_fma_f64 v[25:26], v[25:26], v[29:30], -v[43:44]
	v_fma_f64 v[27:28], v[27:28], v[29:30], v[31:32]
	v_mul_f64 v[29:30], v[33:34], v[39:40]
	ds_read_b128 v[3:6], v19 offset:48
	ds_read_b128 v[21:24], v17 offset:768
	v_fma_f64 v[33:34], v[33:34], v[37:38], -v[47:48]
	s_add_i32 s9, s9, 16
	v_add_f64 v[31:32], v[14:15], v[41:42]
	v_add_f64 v[39:40], v[12:13], v[45:46]
	s_waitcnt lgkmcnt(0)
	v_mul_f64 v[41:42], v[5:6], v[23:24]
	v_mul_f64 v[43:44], v[3:4], v[23:24]
	v_fma_f64 v[35:36], v[35:36], v[37:38], v[29:30]
	ds_read_b128 v[12:15], v19 offset:64
	v_add_co_u32_e32 v10, vcc, 0x100, v10
	v_add_f64 v[31:32], v[31:32], v[25:26]
	v_add_f64 v[37:38], v[39:40], v[27:28]
	ds_read_b128 v[23:26], v17 offset:1024
	v_fma_f64 v[39:40], v[3:4], v[21:22], -v[41:42]
	v_fma_f64 v[21:22], v[5:6], v[21:22], v[43:44]
	ds_read_b128 v[3:6], v19 offset:80
	ds_read_b128 v[27:30], v17 offset:1280
	s_cmp_ge_i32 s9, s21
	s_waitcnt lgkmcnt(2)
	v_mul_f64 v[41:42], v[14:15], v[25:26]
	v_mul_f64 v[25:26], v[12:13], v[25:26]
	v_add_f64 v[43:44], v[31:32], v[33:34]
	v_add_f64 v[35:36], v[37:38], v[35:36]
	s_waitcnt lgkmcnt(0)
	v_mul_f64 v[45:46], v[5:6], v[29:30]
	v_mul_f64 v[29:30], v[3:4], v[29:30]
	ds_read_b128 v[31:34], v19 offset:96
	v_addc_co_u32_e32 v11, vcc, 0, v11, vcc
	v_fma_f64 v[41:42], v[12:13], v[23:24], -v[41:42]
	v_fma_f64 v[25:26], v[14:15], v[23:24], v[25:26]
	v_add_f64 v[39:40], v[43:44], v[39:40]
	v_add_f64 v[43:44], v[35:36], v[21:22]
	ds_read_b128 v[12:15], v17 offset:1536
	v_fma_f64 v[45:46], v[3:4], v[27:28], -v[45:46]
	v_fma_f64 v[27:28], v[5:6], v[27:28], v[29:30]
	ds_read_b128 v[21:24], v19 offset:112
	ds_read_b128 v[35:38], v17 offset:1792
	;; [unrolled: 1-line block ×3, first 2 shown]
	s_waitcnt lgkmcnt(3)
	v_mul_f64 v[47:48], v[33:34], v[14:15]
	v_mul_f64 v[14:15], v[31:32], v[14:15]
	v_add_f64 v[29:30], v[39:40], v[41:42]
	v_add_f64 v[25:26], v[43:44], v[25:26]
	s_waitcnt lgkmcnt(1)
	v_mul_f64 v[39:40], v[23:24], v[37:38]
	v_mul_f64 v[37:38], v[21:22], v[37:38]
	v_fma_f64 v[31:32], v[31:32], v[12:13], -v[47:48]
	v_fma_f64 v[33:34], v[33:34], v[12:13], v[14:15]
	v_add_f64 v[29:30], v[29:30], v[45:46]
	v_add_f64 v[41:42], v[25:26], v[27:28]
	ds_read_b128 v[12:15], v17 offset:2048
	v_fma_f64 v[39:40], v[21:22], v[35:36], -v[39:40]
	v_fma_f64 v[35:36], v[23:24], v[35:36], v[37:38]
	ds_read_b128 v[21:24], v19 offset:144
	ds_read_b128 v[25:28], v17 offset:2304
	s_waitcnt lgkmcnt(2)
	v_mul_f64 v[37:38], v[5:6], v[14:15]
	v_mul_f64 v[14:15], v[3:4], v[14:15]
	v_add_f64 v[43:44], v[29:30], v[31:32]
	v_add_f64 v[33:34], v[41:42], v[33:34]
	s_waitcnt lgkmcnt(0)
	v_mul_f64 v[41:42], v[23:24], v[27:28]
	v_mul_f64 v[27:28], v[21:22], v[27:28]
	ds_read_b128 v[29:32], v19 offset:160
	v_fma_f64 v[37:38], v[3:4], v[12:13], -v[37:38]
	v_fma_f64 v[45:46], v[5:6], v[12:13], v[14:15]
	v_add_f64 v[39:40], v[43:44], v[39:40]
	v_add_f64 v[43:44], v[33:34], v[35:36]
	ds_read_b128 v[3:6], v17 offset:2560
	v_fma_f64 v[41:42], v[21:22], v[25:26], -v[41:42]
	v_fma_f64 v[25:26], v[23:24], v[25:26], v[27:28]
	ds_read_b128 v[12:15], v19 offset:176
	ds_read_b128 v[33:36], v17 offset:2816
	;; [unrolled: 1-line block ×3, first 2 shown]
	s_waitcnt lgkmcnt(3)
	v_mul_f64 v[47:48], v[31:32], v[5:6]
	v_mul_f64 v[5:6], v[29:30], v[5:6]
	v_add_f64 v[27:28], v[39:40], v[37:38]
	v_add_f64 v[37:38], v[43:44], v[45:46]
	s_waitcnt lgkmcnt(1)
	v_mul_f64 v[39:40], v[14:15], v[35:36]
	v_mul_f64 v[35:36], v[12:13], v[35:36]
	v_fma_f64 v[29:30], v[29:30], v[3:4], -v[47:48]
	v_fma_f64 v[31:32], v[31:32], v[3:4], v[5:6]
	v_add_f64 v[41:42], v[27:28], v[41:42]
	v_add_f64 v[37:38], v[37:38], v[25:26]
	ds_read_b128 v[3:6], v17 offset:3072
	v_fma_f64 v[39:40], v[12:13], v[33:34], -v[39:40]
	v_fma_f64 v[33:34], v[14:15], v[33:34], v[35:36]
	ds_read_b128 v[12:15], v19 offset:208
	ds_read_b128 v[25:28], v17 offset:3328
	s_waitcnt lgkmcnt(2)
	v_mul_f64 v[35:36], v[23:24], v[5:6]
	v_mul_f64 v[5:6], v[21:22], v[5:6]
	v_add_f64 v[41:42], v[41:42], v[29:30]
	v_add_f64 v[37:38], v[37:38], v[31:32]
	s_waitcnt lgkmcnt(0)
	v_mul_f64 v[43:44], v[14:15], v[27:28]
	v_mul_f64 v[27:28], v[12:13], v[27:28]
	ds_read_b128 v[29:32], v19 offset:224
	v_fma_f64 v[45:46], v[21:22], v[3:4], -v[35:36]
	v_fma_f64 v[47:48], v[23:24], v[3:4], v[5:6]
	v_add_f64 v[39:40], v[41:42], v[39:40]
	v_add_f64 v[37:38], v[37:38], v[33:34]
	ds_read_b128 v[3:6], v17 offset:3584
	v_fma_f64 v[12:13], v[12:13], v[25:26], -v[43:44]
	v_fma_f64 v[14:15], v[14:15], v[25:26], v[27:28]
	ds_read_b128 v[21:24], v19 offset:240
	ds_read_b128 v[33:36], v17 offset:3840
	s_waitcnt lgkmcnt(0)
	v_mul_f64 v[41:42], v[31:32], v[5:6]
	v_mul_f64 v[5:6], v[29:30], v[5:6]
	v_add_f64 v[25:26], v[39:40], v[45:46]
	v_add_f64 v[27:28], v[37:38], v[47:48]
	v_mul_f64 v[37:38], v[23:24], v[35:36]
	v_mul_f64 v[35:36], v[21:22], v[35:36]
	s_barrier
	v_fma_f64 v[29:30], v[29:30], v[3:4], -v[41:42]
	v_fma_f64 v[3:4], v[31:32], v[3:4], v[5:6]
	v_add_f64 v[5:6], v[25:26], v[12:13]
	v_add_f64 v[12:13], v[27:28], v[14:15]
	v_fma_f64 v[14:15], v[21:22], v[33:34], -v[37:38]
	v_fma_f64 v[21:22], v[23:24], v[33:34], v[35:36]
	v_add_f64 v[5:6], v[5:6], v[29:30]
	v_add_f64 v[3:4], v[12:13], v[3:4]
	;; [unrolled: 1-line block ×4, first 2 shown]
	s_cbranch_scc1 .LBB907_10
.LBB907_3:                              ; =>This Inner Loop Header: Depth=1
	v_add_u32_e32 v3, s9, v1
	v_cmp_gt_i32_e32 vcc, s21, v3
	v_mov_b32_e32 v3, 0
	v_mov_b32_e32 v5, 0
	;; [unrolled: 1-line block ×4, first 2 shown]
	s_and_b64 s[22:23], s[0:1], vcc
	s_and_saveexec_b64 s[6:7], s[22:23]
	s_cbranch_execz .LBB907_5
; %bb.4:                                ;   in Loop: Header=BB907_3 Depth=1
	flat_load_dwordx4 v[3:6], v[10:11]
	s_waitcnt vmcnt(0) lgkmcnt(0)
	v_xor_b32_e32 v6, 0x80000000, v6
.LBB907_5:                              ;   in Loop: Header=BB907_3 Depth=1
	s_or_b64 exec, exec, s[6:7]
	ds_write_b128 v18, v[3:6]
	v_add_u32_e32 v3, s9, v0
	v_cmp_le_i32_e32 vcc, s21, v3
	s_or_b64 s[6:7], s[2:3], vcc
	s_and_saveexec_b64 s[22:23], s[6:7]
	s_xor_b64 s[6:7], exec, s[22:23]
; %bb.6:                                ;   in Loop: Header=BB907_3 Depth=1
	v_mov_b32_e32 v3, v2
	v_mov_b32_e32 v4, v2
	;; [unrolled: 1-line block ×3, first 2 shown]
	ds_write_b128 v20, v[2:5]
; %bb.7:                                ;   in Loop: Header=BB907_3 Depth=1
	s_andn2_saveexec_b64 s[6:7], s[6:7]
	s_cbranch_execz .LBB907_2
; %bb.8:                                ;   in Loop: Header=BB907_3 Depth=1
	flat_load_dwordx4 v[3:6], v[8:9]
	s_waitcnt vmcnt(0) lgkmcnt(0)
	ds_write2_b64 v20, v[3:4], v[5:6] offset1:1
	s_branch .LBB907_2
.LBB907_9:
	v_mov_b32_e32 v12, 0
	v_mov_b32_e32 v14, 0
	;; [unrolled: 1-line block ×4, first 2 shown]
.LBB907_10:
	v_cmp_le_i32_e32 vcc, v7, v16
	v_cmp_gt_i32_e64 s[0:1], s20, v16
	s_and_b64 s[0:1], vcc, s[0:1]
	s_and_saveexec_b64 s[2:3], s[0:1]
	s_cbranch_execz .LBB907_12
; %bb.11:
	s_load_dword s0, s[4:5], 0x60
	v_ashrrev_i32_e32 v8, 31, v7
	s_waitcnt lgkmcnt(0)
	v_mov_b32_e32 v4, s11
	v_lshlrev_b64 v[2:3], 4, v[7:8]
	v_mul_f64 v[8:9], s[12:13], v[12:13]
	v_mad_i64_i32 v[0:1], s[0:1], s0, v16, 0
	v_mul_f64 v[12:13], s[14:15], v[12:13]
	v_lshlrev_b64 v[0:1], 4, v[0:1]
	v_add_co_u32_e32 v0, vcc, s10, v0
	v_addc_co_u32_e32 v1, vcc, v4, v1, vcc
	v_add_co_u32_e32 v4, vcc, v0, v2
	v_addc_co_u32_e32 v5, vcc, v1, v3, vcc
	flat_load_dwordx4 v[0:3], v[4:5]
	v_fma_f64 v[8:9], s[14:15], v[14:15], v[8:9]
	v_fma_f64 v[12:13], s[12:13], v[14:15], -v[12:13]
	v_cmp_ne_u32_e32 vcc, v7, v16
	s_waitcnt vmcnt(0) lgkmcnt(0)
	v_mul_f64 v[10:11], s[16:17], v[2:3]
	v_mul_f64 v[2:3], s[18:19], v[2:3]
	v_fma_f64 v[10:11], s[18:19], v[0:1], v[10:11]
	v_fma_f64 v[0:1], s[16:17], v[0:1], -v[2:3]
	v_add_f64 v[2:3], v[8:9], v[10:11]
	v_add_f64 v[0:1], v[12:13], v[0:1]
	v_cndmask_b32_e32 v3, 0, v3, vcc
	v_cndmask_b32_e32 v2, 0, v2, vcc
	flat_store_dwordx4 v[4:5], v[0:3]
.LBB907_12:
	s_endpgm
	.section	.rodata,"a",@progbits
	.p2align	6, 0x0
	.amdhsa_kernel _ZL32rocblas_syrkx_herkx_small_kernelIi19rocblas_complex_numIdELi16ELb0ELb1ELc67ELc85EKPKS1_KPS1_EviT_T0_PT6_S7_lSA_S7_lS8_PT7_S7_li
		.amdhsa_group_segment_fixed_size 8192
		.amdhsa_private_segment_fixed_size 0
		.amdhsa_kernarg_size 116
		.amdhsa_user_sgpr_count 6
		.amdhsa_user_sgpr_private_segment_buffer 1
		.amdhsa_user_sgpr_dispatch_ptr 0
		.amdhsa_user_sgpr_queue_ptr 0
		.amdhsa_user_sgpr_kernarg_segment_ptr 1
		.amdhsa_user_sgpr_dispatch_id 0
		.amdhsa_user_sgpr_flat_scratch_init 0
		.amdhsa_user_sgpr_private_segment_size 0
		.amdhsa_uses_dynamic_stack 0
		.amdhsa_system_sgpr_private_segment_wavefront_offset 0
		.amdhsa_system_sgpr_workgroup_id_x 1
		.amdhsa_system_sgpr_workgroup_id_y 1
		.amdhsa_system_sgpr_workgroup_id_z 1
		.amdhsa_system_sgpr_workgroup_info 0
		.amdhsa_system_vgpr_workitem_id 1
		.amdhsa_next_free_vgpr 49
		.amdhsa_next_free_sgpr 61
		.amdhsa_reserve_vcc 1
		.amdhsa_reserve_flat_scratch 0
		.amdhsa_float_round_mode_32 0
		.amdhsa_float_round_mode_16_64 0
		.amdhsa_float_denorm_mode_32 3
		.amdhsa_float_denorm_mode_16_64 3
		.amdhsa_dx10_clamp 1
		.amdhsa_ieee_mode 1
		.amdhsa_fp16_overflow 0
		.amdhsa_exception_fp_ieee_invalid_op 0
		.amdhsa_exception_fp_denorm_src 0
		.amdhsa_exception_fp_ieee_div_zero 0
		.amdhsa_exception_fp_ieee_overflow 0
		.amdhsa_exception_fp_ieee_underflow 0
		.amdhsa_exception_fp_ieee_inexact 0
		.amdhsa_exception_int_div_zero 0
	.end_amdhsa_kernel
	.section	.text._ZL32rocblas_syrkx_herkx_small_kernelIi19rocblas_complex_numIdELi16ELb0ELb1ELc67ELc85EKPKS1_KPS1_EviT_T0_PT6_S7_lSA_S7_lS8_PT7_S7_li,"axG",@progbits,_ZL32rocblas_syrkx_herkx_small_kernelIi19rocblas_complex_numIdELi16ELb0ELb1ELc67ELc85EKPKS1_KPS1_EviT_T0_PT6_S7_lSA_S7_lS8_PT7_S7_li,comdat
.Lfunc_end907:
	.size	_ZL32rocblas_syrkx_herkx_small_kernelIi19rocblas_complex_numIdELi16ELb0ELb1ELc67ELc85EKPKS1_KPS1_EviT_T0_PT6_S7_lSA_S7_lS8_PT7_S7_li, .Lfunc_end907-_ZL32rocblas_syrkx_herkx_small_kernelIi19rocblas_complex_numIdELi16ELb0ELb1ELc67ELc85EKPKS1_KPS1_EviT_T0_PT6_S7_lSA_S7_lS8_PT7_S7_li
                                        ; -- End function
	.set _ZL32rocblas_syrkx_herkx_small_kernelIi19rocblas_complex_numIdELi16ELb0ELb1ELc67ELc85EKPKS1_KPS1_EviT_T0_PT6_S7_lSA_S7_lS8_PT7_S7_li.num_vgpr, 49
	.set _ZL32rocblas_syrkx_herkx_small_kernelIi19rocblas_complex_numIdELi16ELb0ELb1ELc67ELc85EKPKS1_KPS1_EviT_T0_PT6_S7_lSA_S7_lS8_PT7_S7_li.num_agpr, 0
	.set _ZL32rocblas_syrkx_herkx_small_kernelIi19rocblas_complex_numIdELi16ELb0ELb1ELc67ELc85EKPKS1_KPS1_EviT_T0_PT6_S7_lSA_S7_lS8_PT7_S7_li.numbered_sgpr, 25
	.set _ZL32rocblas_syrkx_herkx_small_kernelIi19rocblas_complex_numIdELi16ELb0ELb1ELc67ELc85EKPKS1_KPS1_EviT_T0_PT6_S7_lSA_S7_lS8_PT7_S7_li.num_named_barrier, 0
	.set _ZL32rocblas_syrkx_herkx_small_kernelIi19rocblas_complex_numIdELi16ELb0ELb1ELc67ELc85EKPKS1_KPS1_EviT_T0_PT6_S7_lSA_S7_lS8_PT7_S7_li.private_seg_size, 0
	.set _ZL32rocblas_syrkx_herkx_small_kernelIi19rocblas_complex_numIdELi16ELb0ELb1ELc67ELc85EKPKS1_KPS1_EviT_T0_PT6_S7_lSA_S7_lS8_PT7_S7_li.uses_vcc, 1
	.set _ZL32rocblas_syrkx_herkx_small_kernelIi19rocblas_complex_numIdELi16ELb0ELb1ELc67ELc85EKPKS1_KPS1_EviT_T0_PT6_S7_lSA_S7_lS8_PT7_S7_li.uses_flat_scratch, 0
	.set _ZL32rocblas_syrkx_herkx_small_kernelIi19rocblas_complex_numIdELi16ELb0ELb1ELc67ELc85EKPKS1_KPS1_EviT_T0_PT6_S7_lSA_S7_lS8_PT7_S7_li.has_dyn_sized_stack, 0
	.set _ZL32rocblas_syrkx_herkx_small_kernelIi19rocblas_complex_numIdELi16ELb0ELb1ELc67ELc85EKPKS1_KPS1_EviT_T0_PT6_S7_lSA_S7_lS8_PT7_S7_li.has_recursion, 0
	.set _ZL32rocblas_syrkx_herkx_small_kernelIi19rocblas_complex_numIdELi16ELb0ELb1ELc67ELc85EKPKS1_KPS1_EviT_T0_PT6_S7_lSA_S7_lS8_PT7_S7_li.has_indirect_call, 0
	.section	.AMDGPU.csdata,"",@progbits
; Kernel info:
; codeLenInByte = 1820
; TotalNumSgprs: 29
; NumVgprs: 49
; ScratchSize: 0
; MemoryBound: 1
; FloatMode: 240
; IeeeMode: 1
; LDSByteSize: 8192 bytes/workgroup (compile time only)
; SGPRBlocks: 8
; VGPRBlocks: 12
; NumSGPRsForWavesPerEU: 65
; NumVGPRsForWavesPerEU: 49
; Occupancy: 4
; WaveLimiterHint : 1
; COMPUTE_PGM_RSRC2:SCRATCH_EN: 0
; COMPUTE_PGM_RSRC2:USER_SGPR: 6
; COMPUTE_PGM_RSRC2:TRAP_HANDLER: 0
; COMPUTE_PGM_RSRC2:TGID_X_EN: 1
; COMPUTE_PGM_RSRC2:TGID_Y_EN: 1
; COMPUTE_PGM_RSRC2:TGID_Z_EN: 1
; COMPUTE_PGM_RSRC2:TIDIG_COMP_CNT: 1
	.section	.text._ZL32rocblas_syrkx_herkx_small_kernelIi19rocblas_complex_numIdELi16ELb0ELb1ELc78ELc85EKPKS1_KPS1_EviT_T0_PT6_S7_lSA_S7_lS8_PT7_S7_li,"axG",@progbits,_ZL32rocblas_syrkx_herkx_small_kernelIi19rocblas_complex_numIdELi16ELb0ELb1ELc78ELc85EKPKS1_KPS1_EviT_T0_PT6_S7_lSA_S7_lS8_PT7_S7_li,comdat
	.globl	_ZL32rocblas_syrkx_herkx_small_kernelIi19rocblas_complex_numIdELi16ELb0ELb1ELc78ELc85EKPKS1_KPS1_EviT_T0_PT6_S7_lSA_S7_lS8_PT7_S7_li ; -- Begin function _ZL32rocblas_syrkx_herkx_small_kernelIi19rocblas_complex_numIdELi16ELb0ELb1ELc78ELc85EKPKS1_KPS1_EviT_T0_PT6_S7_lSA_S7_lS8_PT7_S7_li
	.p2align	8
	.type	_ZL32rocblas_syrkx_herkx_small_kernelIi19rocblas_complex_numIdELi16ELb0ELb1ELc78ELc85EKPKS1_KPS1_EviT_T0_PT6_S7_lSA_S7_lS8_PT7_S7_li,@function
_ZL32rocblas_syrkx_herkx_small_kernelIi19rocblas_complex_numIdELi16ELb0ELb1ELc78ELc85EKPKS1_KPS1_EviT_T0_PT6_S7_lSA_S7_lS8_PT7_S7_li: ; @_ZL32rocblas_syrkx_herkx_small_kernelIi19rocblas_complex_numIdELi16ELb0ELb1ELc78ELc85EKPKS1_KPS1_EviT_T0_PT6_S7_lSA_S7_lS8_PT7_S7_li
; %bb.0:
	s_load_dwordx2 s[20:21], s[4:5], 0x0
	s_load_dwordx4 s[12:15], s[4:5], 0x8
	s_load_dwordx2 s[10:11], s[4:5], 0x58
	s_load_dwordx2 s[0:1], s[4:5], 0x18
	s_load_dwordx4 s[16:19], s[4:5], 0x48
	s_mov_b32 s9, 0
	s_lshl_b64 s[2:3], s[8:9], 3
	s_waitcnt lgkmcnt(0)
	s_add_u32 s10, s10, s2
	s_addc_u32 s11, s11, s3
	s_load_dwordx2 s[10:11], s[10:11], 0x0
	v_lshl_add_u32 v7, s6, 4, v0
	v_lshl_add_u32 v9, s7, 4, v1
	s_cmp_lt_i32 s21, 1
	v_ashrrev_i32_e32 v8, 31, v7
	v_cmp_gt_i32_e32 vcc, s20, v9
	s_cbranch_scc1 .LBB908_9
; %bb.1:
	s_load_dword s22, s[4:5], 0x20
	s_load_dword s6, s[4:5], 0x38
	s_load_dwordx2 s[24:25], s[4:5], 0x30
	v_lshlrev_b32_e32 v4, 8, v1
	v_lshlrev_b32_e32 v18, 4, v0
	s_waitcnt lgkmcnt(0)
	s_ashr_i32 s23, s22, 31
	s_ashr_i32 s7, s6, 31
	s_add_u32 s24, s24, s2
	s_addc_u32 s25, s25, s3
	s_add_u32 s0, s0, s2
	s_addc_u32 s1, s1, s3
	v_mad_i64_i32 v[2:3], s[2:3], s6, v0, 0
	v_ashrrev_i32_e32 v10, 31, v9
	v_add_u32_e32 v19, v18, v4
	v_add_u32_e32 v20, 0x1000, v4
	v_lshlrev_b64 v[2:3], 4, v[2:3]
	v_lshlrev_b64 v[4:5], 4, v[9:10]
	s_load_dwordx2 s[24:25], s[24:25], 0x0
	v_add_co_u32_e64 v4, s[2:3], v2, v4
	v_addc_co_u32_e64 v5, s[2:3], v3, v5, s[2:3]
	v_mad_i64_i32 v[2:3], s[2:3], s22, v1, 0
	s_load_dwordx2 s[26:27], s[0:1], 0x0
	s_waitcnt lgkmcnt(0)
	v_mov_b32_e32 v6, s25
	v_add_co_u32_e64 v10, s[2:3], s24, v4
	v_addc_co_u32_e64 v11, s[2:3], v6, v5, s[2:3]
	v_lshlrev_b64 v[2:3], 4, v[2:3]
	v_lshlrev_b64 v[4:5], 4, v[7:8]
	v_cmp_gt_i32_e64 s[0:1], s20, v7
	v_add_co_u32_e64 v2, s[2:3], v2, v4
	v_addc_co_u32_e64 v3, s[2:3], v3, v5, s[2:3]
	v_mov_b32_e32 v4, s27
	v_add_co_u32_e64 v12, s[2:3], s26, v2
	v_addc_co_u32_e64 v13, s[2:3], v4, v3, s[2:3]
	s_lshl_b64 s[6:7], s[6:7], 8
	s_lshl_b64 s[2:3], s[22:23], 8
	v_mov_b32_e32 v14, 0
	v_mov_b32_e32 v16, 0
	v_add_u32_e32 v21, v20, v18
	v_mov_b32_e32 v15, 0
	s_xor_b64 s[22:23], s[0:1], -1
	v_mov_b32_e32 v22, s7
	v_mov_b32_e32 v23, s3
	;; [unrolled: 1-line block ×4, first 2 shown]
	s_branch .LBB908_3
.LBB908_2:                              ;   in Loop: Header=BB908_3 Depth=1
	s_or_b64 exec, exec, s[0:1]
	ds_write_b128 v21, v[3:6]
	s_waitcnt lgkmcnt(0)
	s_barrier
	ds_read_b128 v[3:6], v18
	ds_read_b128 v[24:27], v20
	ds_read_b128 v[28:31], v20 offset:16
	ds_read_b128 v[32:35], v18 offset:256
	v_add_co_u32_e64 v10, s[0:1], s6, v10
	s_waitcnt lgkmcnt(2)
	v_mul_f64 v[36:37], v[26:27], v[5:6]
	v_mul_f64 v[5:6], v[24:25], v[5:6]
	s_waitcnt lgkmcnt(0)
	v_mul_f64 v[38:39], v[30:31], v[34:35]
	v_mul_f64 v[40:41], v[28:29], v[34:35]
	v_addc_co_u32_e64 v11, s[0:1], v11, v22, s[0:1]
	s_add_i32 s9, s9, 16
	v_add_co_u32_e64 v12, s[0:1], s2, v12
	v_fma_f64 v[42:43], v[24:25], v[3:4], -v[36:37]
	v_fma_f64 v[44:45], v[26:27], v[3:4], v[5:6]
	ds_read_b128 v[3:6], v18 offset:512
	ds_read_b128 v[24:27], v20 offset:32
	;; [unrolled: 1-line block ×3, first 2 shown]
	v_fma_f64 v[38:39], v[28:29], v[32:33], -v[38:39]
	v_fma_f64 v[32:33], v[30:31], v[32:33], v[40:41]
	ds_read_b128 v[28:31], v18 offset:768
	s_waitcnt lgkmcnt(2)
	v_mul_f64 v[40:41], v[26:27], v[5:6]
	v_mul_f64 v[5:6], v[24:25], v[5:6]
	v_add_f64 v[16:17], v[16:17], v[42:43]
	v_add_f64 v[14:15], v[14:15], v[44:45]
	s_waitcnt lgkmcnt(0)
	v_mul_f64 v[42:43], v[36:37], v[30:31]
	v_mul_f64 v[30:31], v[34:35], v[30:31]
	s_cmp_ge_i32 s9, s21
	v_addc_co_u32_e64 v13, s[0:1], v13, v23, s[0:1]
	v_fma_f64 v[40:41], v[24:25], v[3:4], -v[40:41]
	v_fma_f64 v[44:45], v[26:27], v[3:4], v[5:6]
	v_add_f64 v[38:39], v[16:17], v[38:39]
	v_add_f64 v[32:33], v[14:15], v[32:33]
	ds_read_b128 v[3:6], v20 offset:64
	ds_read_b128 v[14:17], v18 offset:1024
	v_fma_f64 v[34:35], v[34:35], v[28:29], -v[42:43]
	v_fma_f64 v[36:37], v[36:37], v[28:29], v[30:31]
	ds_read_b128 v[24:27], v20 offset:80
	ds_read_b128 v[28:31], v18 offset:1280
	s_waitcnt lgkmcnt(2)
	v_mul_f64 v[42:43], v[5:6], v[16:17]
	v_mul_f64 v[16:17], v[3:4], v[16:17]
	v_add_f64 v[38:39], v[38:39], v[40:41]
	v_add_f64 v[32:33], v[32:33], v[44:45]
	s_waitcnt lgkmcnt(0)
	v_mul_f64 v[40:41], v[26:27], v[30:31]
	v_mul_f64 v[30:31], v[24:25], v[30:31]
	v_fma_f64 v[42:43], v[3:4], v[14:15], -v[42:43]
	v_fma_f64 v[44:45], v[5:6], v[14:15], v[16:17]
	v_add_f64 v[34:35], v[38:39], v[34:35]
	v_add_f64 v[32:33], v[32:33], v[36:37]
	ds_read_b128 v[3:6], v20 offset:96
	ds_read_b128 v[14:17], v18 offset:1536
	v_fma_f64 v[36:37], v[24:25], v[28:29], -v[40:41]
	v_fma_f64 v[38:39], v[26:27], v[28:29], v[30:31]
	ds_read_b128 v[24:27], v20 offset:112
	ds_read_b128 v[28:31], v18 offset:1792
	s_waitcnt lgkmcnt(2)
	v_mul_f64 v[40:41], v[5:6], v[16:17]
	v_mul_f64 v[16:17], v[3:4], v[16:17]
	v_add_f64 v[34:35], v[34:35], v[42:43]
	v_add_f64 v[32:33], v[32:33], v[44:45]
	s_waitcnt lgkmcnt(0)
	v_mul_f64 v[42:43], v[26:27], v[30:31]
	v_mul_f64 v[30:31], v[24:25], v[30:31]
	;; [unrolled: 18-line block ×5, first 2 shown]
	v_fma_f64 v[42:43], v[3:4], v[14:15], -v[42:43]
	v_fma_f64 v[44:45], v[5:6], v[14:15], v[16:17]
	v_add_f64 v[34:35], v[34:35], v[36:37]
	v_add_f64 v[32:33], v[32:33], v[38:39]
	ds_read_b128 v[3:6], v20 offset:224
	ds_read_b128 v[14:17], v18 offset:3584
	v_fma_f64 v[36:37], v[24:25], v[28:29], -v[40:41]
	v_fma_f64 v[38:39], v[26:27], v[28:29], v[30:31]
	ds_read_b128 v[24:27], v20 offset:240
	ds_read_b128 v[28:31], v18 offset:3840
	s_waitcnt lgkmcnt(0)
	v_mul_f64 v[40:41], v[5:6], v[16:17]
	v_mul_f64 v[16:17], v[3:4], v[16:17]
	v_add_f64 v[34:35], v[34:35], v[42:43]
	v_add_f64 v[32:33], v[32:33], v[44:45]
	v_mul_f64 v[42:43], v[26:27], v[30:31]
	v_mul_f64 v[30:31], v[24:25], v[30:31]
	s_barrier
	v_fma_f64 v[3:4], v[3:4], v[14:15], -v[40:41]
	v_fma_f64 v[5:6], v[5:6], v[14:15], v[16:17]
	v_add_f64 v[14:15], v[34:35], v[36:37]
	v_add_f64 v[16:17], v[32:33], v[38:39]
	v_fma_f64 v[24:25], v[24:25], v[28:29], -v[42:43]
	v_fma_f64 v[26:27], v[26:27], v[28:29], v[30:31]
	v_add_f64 v[3:4], v[14:15], v[3:4]
	v_add_f64 v[5:6], v[16:17], v[5:6]
	;; [unrolled: 1-line block ×4, first 2 shown]
	s_cbranch_scc1 .LBB908_10
.LBB908_3:                              ; =>This Inner Loop Header: Depth=1
	v_add_u32_e32 v3, s9, v1
	v_cmp_le_i32_e64 s[0:1], s21, v3
	s_or_b64 s[0:1], s[22:23], s[0:1]
	s_and_saveexec_b64 s[24:25], s[0:1]
	s_xor_b64 s[0:1], exec, s[24:25]
; %bb.4:                                ;   in Loop: Header=BB908_3 Depth=1
	v_mov_b32_e32 v3, v2
	v_mov_b32_e32 v4, v2
	;; [unrolled: 1-line block ×3, first 2 shown]
	ds_write_b128 v19, v[2:5]
; %bb.5:                                ;   in Loop: Header=BB908_3 Depth=1
	s_andn2_saveexec_b64 s[0:1], s[0:1]
	s_cbranch_execz .LBB908_7
; %bb.6:                                ;   in Loop: Header=BB908_3 Depth=1
	flat_load_dwordx4 v[3:6], v[12:13]
	s_waitcnt vmcnt(0) lgkmcnt(0)
	ds_write2_b64 v19, v[3:4], v[5:6] offset1:1
.LBB908_7:                              ;   in Loop: Header=BB908_3 Depth=1
	s_or_b64 exec, exec, s[0:1]
	v_add_u32_e32 v3, s9, v0
	v_cmp_gt_i32_e64 s[0:1], s21, v3
	v_mov_b32_e32 v3, 0
	v_mov_b32_e32 v5, 0
	;; [unrolled: 1-line block ×4, first 2 shown]
	s_and_b64 s[24:25], vcc, s[0:1]
	s_and_saveexec_b64 s[0:1], s[24:25]
	s_cbranch_execz .LBB908_2
; %bb.8:                                ;   in Loop: Header=BB908_3 Depth=1
	flat_load_dwordx4 v[3:6], v[10:11]
	s_waitcnt vmcnt(0) lgkmcnt(0)
	v_xor_b32_e32 v6, 0x80000000, v6
	s_branch .LBB908_2
.LBB908_9:
	v_mov_b32_e32 v14, 0
	v_mov_b32_e32 v16, 0
	;; [unrolled: 1-line block ×4, first 2 shown]
.LBB908_10:
	v_cmp_le_i32_e32 vcc, v7, v9
	v_cmp_gt_i32_e64 s[0:1], s20, v9
	s_and_b64 s[0:1], vcc, s[0:1]
	s_and_saveexec_b64 s[2:3], s[0:1]
	s_cbranch_execz .LBB908_12
; %bb.11:
	s_load_dword s0, s[4:5], 0x60
	s_waitcnt lgkmcnt(0)
	v_mov_b32_e32 v4, s11
	v_lshlrev_b64 v[2:3], 4, v[7:8]
	v_mul_f64 v[10:11], s[12:13], v[14:15]
	v_mul_f64 v[14:15], s[14:15], v[14:15]
	v_mad_i64_i32 v[0:1], s[0:1], s0, v9, 0
	v_lshlrev_b64 v[0:1], 4, v[0:1]
	v_fma_f64 v[10:11], s[14:15], v[16:17], v[10:11]
	v_add_co_u32_e32 v0, vcc, s10, v0
	v_addc_co_u32_e32 v1, vcc, v4, v1, vcc
	v_add_co_u32_e32 v4, vcc, v0, v2
	v_addc_co_u32_e32 v5, vcc, v1, v3, vcc
	flat_load_dwordx4 v[0:3], v[4:5]
	v_fma_f64 v[14:15], s[12:13], v[16:17], -v[14:15]
	v_cmp_ne_u32_e32 vcc, v7, v9
	s_waitcnt vmcnt(0) lgkmcnt(0)
	v_mul_f64 v[12:13], s[16:17], v[2:3]
	v_mul_f64 v[2:3], s[18:19], v[2:3]
	v_fma_f64 v[12:13], s[18:19], v[0:1], v[12:13]
	v_fma_f64 v[0:1], s[16:17], v[0:1], -v[2:3]
	v_add_f64 v[2:3], v[10:11], v[12:13]
	v_add_f64 v[0:1], v[14:15], v[0:1]
	v_cndmask_b32_e32 v3, 0, v3, vcc
	v_cndmask_b32_e32 v2, 0, v2, vcc
	flat_store_dwordx4 v[4:5], v[0:3]
.LBB908_12:
	s_endpgm
	.section	.rodata,"a",@progbits
	.p2align	6, 0x0
	.amdhsa_kernel _ZL32rocblas_syrkx_herkx_small_kernelIi19rocblas_complex_numIdELi16ELb0ELb1ELc78ELc85EKPKS1_KPS1_EviT_T0_PT6_S7_lSA_S7_lS8_PT7_S7_li
		.amdhsa_group_segment_fixed_size 8192
		.amdhsa_private_segment_fixed_size 0
		.amdhsa_kernarg_size 116
		.amdhsa_user_sgpr_count 6
		.amdhsa_user_sgpr_private_segment_buffer 1
		.amdhsa_user_sgpr_dispatch_ptr 0
		.amdhsa_user_sgpr_queue_ptr 0
		.amdhsa_user_sgpr_kernarg_segment_ptr 1
		.amdhsa_user_sgpr_dispatch_id 0
		.amdhsa_user_sgpr_flat_scratch_init 0
		.amdhsa_user_sgpr_private_segment_size 0
		.amdhsa_uses_dynamic_stack 0
		.amdhsa_system_sgpr_private_segment_wavefront_offset 0
		.amdhsa_system_sgpr_workgroup_id_x 1
		.amdhsa_system_sgpr_workgroup_id_y 1
		.amdhsa_system_sgpr_workgroup_id_z 1
		.amdhsa_system_sgpr_workgroup_info 0
		.amdhsa_system_vgpr_workitem_id 1
		.amdhsa_next_free_vgpr 46
		.amdhsa_next_free_sgpr 61
		.amdhsa_reserve_vcc 1
		.amdhsa_reserve_flat_scratch 0
		.amdhsa_float_round_mode_32 0
		.amdhsa_float_round_mode_16_64 0
		.amdhsa_float_denorm_mode_32 3
		.amdhsa_float_denorm_mode_16_64 3
		.amdhsa_dx10_clamp 1
		.amdhsa_ieee_mode 1
		.amdhsa_fp16_overflow 0
		.amdhsa_exception_fp_ieee_invalid_op 0
		.amdhsa_exception_fp_denorm_src 0
		.amdhsa_exception_fp_ieee_div_zero 0
		.amdhsa_exception_fp_ieee_overflow 0
		.amdhsa_exception_fp_ieee_underflow 0
		.amdhsa_exception_fp_ieee_inexact 0
		.amdhsa_exception_int_div_zero 0
	.end_amdhsa_kernel
	.section	.text._ZL32rocblas_syrkx_herkx_small_kernelIi19rocblas_complex_numIdELi16ELb0ELb1ELc78ELc85EKPKS1_KPS1_EviT_T0_PT6_S7_lSA_S7_lS8_PT7_S7_li,"axG",@progbits,_ZL32rocblas_syrkx_herkx_small_kernelIi19rocblas_complex_numIdELi16ELb0ELb1ELc78ELc85EKPKS1_KPS1_EviT_T0_PT6_S7_lSA_S7_lS8_PT7_S7_li,comdat
.Lfunc_end908:
	.size	_ZL32rocblas_syrkx_herkx_small_kernelIi19rocblas_complex_numIdELi16ELb0ELb1ELc78ELc85EKPKS1_KPS1_EviT_T0_PT6_S7_lSA_S7_lS8_PT7_S7_li, .Lfunc_end908-_ZL32rocblas_syrkx_herkx_small_kernelIi19rocblas_complex_numIdELi16ELb0ELb1ELc78ELc85EKPKS1_KPS1_EviT_T0_PT6_S7_lSA_S7_lS8_PT7_S7_li
                                        ; -- End function
	.set _ZL32rocblas_syrkx_herkx_small_kernelIi19rocblas_complex_numIdELi16ELb0ELb1ELc78ELc85EKPKS1_KPS1_EviT_T0_PT6_S7_lSA_S7_lS8_PT7_S7_li.num_vgpr, 46
	.set _ZL32rocblas_syrkx_herkx_small_kernelIi19rocblas_complex_numIdELi16ELb0ELb1ELc78ELc85EKPKS1_KPS1_EviT_T0_PT6_S7_lSA_S7_lS8_PT7_S7_li.num_agpr, 0
	.set _ZL32rocblas_syrkx_herkx_small_kernelIi19rocblas_complex_numIdELi16ELb0ELb1ELc78ELc85EKPKS1_KPS1_EviT_T0_PT6_S7_lSA_S7_lS8_PT7_S7_li.numbered_sgpr, 28
	.set _ZL32rocblas_syrkx_herkx_small_kernelIi19rocblas_complex_numIdELi16ELb0ELb1ELc78ELc85EKPKS1_KPS1_EviT_T0_PT6_S7_lSA_S7_lS8_PT7_S7_li.num_named_barrier, 0
	.set _ZL32rocblas_syrkx_herkx_small_kernelIi19rocblas_complex_numIdELi16ELb0ELb1ELc78ELc85EKPKS1_KPS1_EviT_T0_PT6_S7_lSA_S7_lS8_PT7_S7_li.private_seg_size, 0
	.set _ZL32rocblas_syrkx_herkx_small_kernelIi19rocblas_complex_numIdELi16ELb0ELb1ELc78ELc85EKPKS1_KPS1_EviT_T0_PT6_S7_lSA_S7_lS8_PT7_S7_li.uses_vcc, 1
	.set _ZL32rocblas_syrkx_herkx_small_kernelIi19rocblas_complex_numIdELi16ELb0ELb1ELc78ELc85EKPKS1_KPS1_EviT_T0_PT6_S7_lSA_S7_lS8_PT7_S7_li.uses_flat_scratch, 0
	.set _ZL32rocblas_syrkx_herkx_small_kernelIi19rocblas_complex_numIdELi16ELb0ELb1ELc78ELc85EKPKS1_KPS1_EviT_T0_PT6_S7_lSA_S7_lS8_PT7_S7_li.has_dyn_sized_stack, 0
	.set _ZL32rocblas_syrkx_herkx_small_kernelIi19rocblas_complex_numIdELi16ELb0ELb1ELc78ELc85EKPKS1_KPS1_EviT_T0_PT6_S7_lSA_S7_lS8_PT7_S7_li.has_recursion, 0
	.set _ZL32rocblas_syrkx_herkx_small_kernelIi19rocblas_complex_numIdELi16ELb0ELb1ELc78ELc85EKPKS1_KPS1_EviT_T0_PT6_S7_lSA_S7_lS8_PT7_S7_li.has_indirect_call, 0
	.section	.AMDGPU.csdata,"",@progbits
; Kernel info:
; codeLenInByte = 1876
; TotalNumSgprs: 32
; NumVgprs: 46
; ScratchSize: 0
; MemoryBound: 1
; FloatMode: 240
; IeeeMode: 1
; LDSByteSize: 8192 bytes/workgroup (compile time only)
; SGPRBlocks: 8
; VGPRBlocks: 11
; NumSGPRsForWavesPerEU: 65
; NumVGPRsForWavesPerEU: 46
; Occupancy: 5
; WaveLimiterHint : 1
; COMPUTE_PGM_RSRC2:SCRATCH_EN: 0
; COMPUTE_PGM_RSRC2:USER_SGPR: 6
; COMPUTE_PGM_RSRC2:TRAP_HANDLER: 0
; COMPUTE_PGM_RSRC2:TGID_X_EN: 1
; COMPUTE_PGM_RSRC2:TGID_Y_EN: 1
; COMPUTE_PGM_RSRC2:TGID_Z_EN: 1
; COMPUTE_PGM_RSRC2:TIDIG_COMP_CNT: 1
	.section	.text._ZL34rocblas_syrkx_herkx_general_kernelIi19rocblas_complex_numIdELi16ELi32ELi8ELb1ELb1ELc84ELc76EKPKS1_KPS1_EviT_T0_PT8_S7_lSA_S7_lS8_PT9_S7_li,"axG",@progbits,_ZL34rocblas_syrkx_herkx_general_kernelIi19rocblas_complex_numIdELi16ELi32ELi8ELb1ELb1ELc84ELc76EKPKS1_KPS1_EviT_T0_PT8_S7_lSA_S7_lS8_PT9_S7_li,comdat
	.globl	_ZL34rocblas_syrkx_herkx_general_kernelIi19rocblas_complex_numIdELi16ELi32ELi8ELb1ELb1ELc84ELc76EKPKS1_KPS1_EviT_T0_PT8_S7_lSA_S7_lS8_PT9_S7_li ; -- Begin function _ZL34rocblas_syrkx_herkx_general_kernelIi19rocblas_complex_numIdELi16ELi32ELi8ELb1ELb1ELc84ELc76EKPKS1_KPS1_EviT_T0_PT8_S7_lSA_S7_lS8_PT9_S7_li
	.p2align	8
	.type	_ZL34rocblas_syrkx_herkx_general_kernelIi19rocblas_complex_numIdELi16ELi32ELi8ELb1ELb1ELc84ELc76EKPKS1_KPS1_EviT_T0_PT8_S7_lSA_S7_lS8_PT9_S7_li,@function
_ZL34rocblas_syrkx_herkx_general_kernelIi19rocblas_complex_numIdELi16ELi32ELi8ELb1ELb1ELc84ELc76EKPKS1_KPS1_EviT_T0_PT8_S7_lSA_S7_lS8_PT9_S7_li: ; @_ZL34rocblas_syrkx_herkx_general_kernelIi19rocblas_complex_numIdELi16ELi32ELi8ELb1ELb1ELc84ELc76EKPKS1_KPS1_EviT_T0_PT8_S7_lSA_S7_lS8_PT9_S7_li
; %bb.0:
	s_load_dwordx2 s[0:1], s[4:5], 0x18
	s_load_dwordx2 s[10:11], s[4:5], 0x58
	;; [unrolled: 1-line block ×3, first 2 shown]
	s_load_dwordx4 s[12:15], s[4:5], 0x8
	s_mov_b32 s9, 0
	s_lshl_b64 s[2:3], s[8:9], 3
	s_waitcnt lgkmcnt(0)
	s_add_u32 s10, s10, s2
	s_addc_u32 s11, s11, s3
	s_load_dwordx2 s[10:11], s[10:11], 0x0
	s_lshl_b32 s8, s6, 5
	s_lshl_b32 s18, s7, 5
	s_cmp_lt_i32 s17, 1
	s_cbranch_scc1 .LBB909_11
; %bb.1:
	s_load_dword s19, s[4:5], 0x20
	s_load_dwordx2 s[6:7], s[4:5], 0x30
	s_load_dword s22, s[4:5], 0x38
	v_lshl_add_u32 v2, v1, 4, v0
	v_lshrrev_b32_e32 v27, 5, v2
	v_lshrrev_b32_e32 v3, 3, v2
	v_and_b32_e32 v2, 31, v2
	v_or_b32_e32 v5, s8, v2
	v_and_b32_e32 v26, 7, v0
	s_waitcnt lgkmcnt(0)
	s_add_u32 s6, s6, s2
	v_cmp_gt_i32_e32 vcc, s16, v5
	v_lshlrev_b32_e32 v5, 4, v2
	s_addc_u32 s7, s7, s3
	v_lshl_or_b32 v28, v27, 9, v5
	v_lshlrev_b32_e32 v5, 4, v26
	v_add_u32_e32 v4, s18, v3
	s_add_u32 s0, s0, s2
	v_lshl_or_b32 v3, v3, 7, v5
	v_add_u32_e32 v2, s8, v2
	s_addc_u32 s1, s1, s3
	v_add_u32_e32 v29, 0x1000, v3
	v_mad_i64_i32 v[2:3], s[2:3], s19, v2, 0
	v_mov_b32_e32 v6, 0x1000
	v_lshl_add_u32 v31, v1, 7, v6
	v_lshlrev_b64 v[2:3], 4, v[2:3]
	v_lshlrev_b32_e32 v6, 4, v27
	s_load_dwordx2 s[20:21], s[0:1], 0x0
	v_add_co_u32_e64 v6, s[2:3], v2, v6
	v_addc_co_u32_e64 v7, s[2:3], 0, v3, s[2:3]
	v_mad_i64_i32 v[2:3], s[2:3], s22, v4, 0
	s_load_dwordx2 s[6:7], s[6:7], 0x0
	s_waitcnt lgkmcnt(0)
	v_mov_b32_e32 v8, s21
	v_add_co_u32_e64 v6, s[2:3], s20, v6
	v_lshlrev_b64 v[2:3], 4, v[2:3]
	v_addc_co_u32_e64 v7, s[2:3], v8, v7, s[2:3]
	v_add_co_u32_e64 v2, s[2:3], v2, v5
	v_addc_co_u32_e64 v3, s[2:3], 0, v3, s[2:3]
	v_cmp_gt_i32_e64 s[0:1], s16, v4
	v_mov_b32_e32 v4, s7
	v_add_co_u32_e64 v8, s[2:3], s6, v2
	v_addc_co_u32_e64 v9, s[2:3], v4, v3, s[2:3]
	v_mov_b32_e32 v24, 0
	v_mov_b32_e32 v22, 0
	;; [unrolled: 1-line block ×8, first 2 shown]
	v_lshlrev_b32_e32 v30, 4, v0
	v_mov_b32_e32 v25, 0
	s_xor_b64 s[2:3], vcc, -1
	s_xor_b64 s[0:1], s[0:1], -1
	v_mov_b32_e32 v23, 0
	v_mov_b32_e32 v17, 0
	;; [unrolled: 1-line block ×8, first 2 shown]
	s_branch .LBB909_3
.LBB909_2:                              ;   in Loop: Header=BB909_3 Depth=1
	s_or_b64 exec, exec, s[6:7]
	s_waitcnt lgkmcnt(0)
	s_barrier
	ds_read_b128 v[32:35], v31
	ds_read_b128 v[36:39], v31 offset:16
	ds_read_b128 v[40:43], v31 offset:32
	;; [unrolled: 1-line block ×3, first 2 shown]
	ds_read_b128 v[48:51], v30
	v_add_co_u32_e32 v6, vcc, 0x80, v6
	v_addc_co_u32_e32 v7, vcc, 0, v7, vcc
	s_waitcnt lgkmcnt(0)
	v_mul_f64 v[3:4], v[34:35], v[50:51]
	v_mul_f64 v[52:53], v[32:33], v[50:51]
	s_add_i32 s9, s9, 8
	v_add_co_u32_e32 v8, vcc, 0x80, v8
	v_addc_co_u32_e32 v9, vcc, 0, v9, vcc
	s_cmp_ge_i32 s9, s17
	v_fma_f64 v[3:4], v[32:33], v[48:49], -v[3:4]
	v_fma_f64 v[52:53], v[34:35], v[48:49], v[52:53]
	v_add_f64 v[3:4], v[18:19], v[3:4]
	v_add_f64 v[52:53], v[52:53], v[20:21]
	ds_read_b128 v[18:21], v30 offset:256
	s_waitcnt lgkmcnt(0)
	v_mul_f64 v[54:55], v[34:35], v[20:21]
	v_fma_f64 v[54:55], v[32:33], v[18:19], -v[54:55]
	v_mul_f64 v[32:33], v[32:33], v[20:21]
	v_fma_f64 v[32:33], v[34:35], v[18:19], v[32:33]
	v_add_f64 v[34:35], v[10:11], v[54:55]
	v_add_f64 v[32:33], v[32:33], v[12:13]
	ds_read_b128 v[10:13], v31 offset:2048
	s_waitcnt lgkmcnt(0)
	v_mul_f64 v[54:55], v[12:13], v[50:51]
	v_mul_f64 v[50:51], v[10:11], v[50:51]
	v_fma_f64 v[54:55], v[10:11], v[48:49], -v[54:55]
	v_fma_f64 v[48:49], v[12:13], v[48:49], v[50:51]
	v_add_f64 v[50:51], v[14:15], v[54:55]
	v_mul_f64 v[14:15], v[12:13], v[20:21]
	v_add_f64 v[48:49], v[48:49], v[16:17]
	v_fma_f64 v[14:15], v[10:11], v[18:19], -v[14:15]
	v_mul_f64 v[10:11], v[10:11], v[20:21]
	v_add_f64 v[22:23], v[22:23], v[14:15]
	v_fma_f64 v[10:11], v[12:13], v[18:19], v[10:11]
	v_add_f64 v[24:25], v[10:11], v[24:25]
	ds_read_b128 v[10:13], v30 offset:512
	s_waitcnt lgkmcnt(0)
	v_mul_f64 v[14:15], v[38:39], v[12:13]
	v_mul_f64 v[16:17], v[36:37], v[12:13]
	v_fma_f64 v[14:15], v[36:37], v[10:11], -v[14:15]
	v_fma_f64 v[16:17], v[38:39], v[10:11], v[16:17]
	v_add_f64 v[3:4], v[3:4], v[14:15]
	v_add_f64 v[52:53], v[16:17], v[52:53]
	ds_read_b128 v[14:17], v30 offset:768
	s_waitcnt lgkmcnt(0)
	v_mul_f64 v[18:19], v[38:39], v[16:17]
	v_mul_f64 v[20:21], v[36:37], v[16:17]
	v_fma_f64 v[18:19], v[36:37], v[14:15], -v[18:19]
	v_fma_f64 v[20:21], v[38:39], v[14:15], v[20:21]
	v_add_f64 v[34:35], v[34:35], v[18:19]
	v_add_f64 v[32:33], v[20:21], v[32:33]
	ds_read_b128 v[18:21], v31 offset:2064
	s_waitcnt lgkmcnt(0)
	v_mul_f64 v[36:37], v[20:21], v[12:13]
	v_mul_f64 v[12:13], v[18:19], v[12:13]
	v_fma_f64 v[36:37], v[18:19], v[10:11], -v[36:37]
	v_fma_f64 v[10:11], v[20:21], v[10:11], v[12:13]
	v_mul_f64 v[12:13], v[18:19], v[16:17]
	v_add_f64 v[36:37], v[50:51], v[36:37]
	v_add_f64 v[38:39], v[10:11], v[48:49]
	v_mul_f64 v[10:11], v[20:21], v[16:17]
	v_fma_f64 v[12:13], v[20:21], v[14:15], v[12:13]
	v_fma_f64 v[10:11], v[18:19], v[14:15], -v[10:11]
	v_add_f64 v[24:25], v[12:13], v[24:25]
	v_add_f64 v[22:23], v[22:23], v[10:11]
	ds_read_b128 v[10:13], v30 offset:1024
	s_waitcnt lgkmcnt(0)
	v_mul_f64 v[14:15], v[42:43], v[12:13]
	v_mul_f64 v[16:17], v[40:41], v[12:13]
	v_fma_f64 v[14:15], v[40:41], v[10:11], -v[14:15]
	v_fma_f64 v[16:17], v[42:43], v[10:11], v[16:17]
	v_add_f64 v[3:4], v[3:4], v[14:15]
	v_add_f64 v[48:49], v[16:17], v[52:53]
	ds_read_b128 v[14:17], v30 offset:1280
	s_waitcnt lgkmcnt(0)
	v_mul_f64 v[18:19], v[42:43], v[16:17]
	v_mul_f64 v[20:21], v[40:41], v[16:17]
	v_fma_f64 v[18:19], v[40:41], v[14:15], -v[18:19]
	v_fma_f64 v[20:21], v[42:43], v[14:15], v[20:21]
	v_add_f64 v[34:35], v[34:35], v[18:19]
	v_add_f64 v[32:33], v[20:21], v[32:33]
	ds_read_b128 v[18:21], v31 offset:2080
	s_waitcnt lgkmcnt(0)
	v_mul_f64 v[40:41], v[20:21], v[12:13]
	v_mul_f64 v[12:13], v[18:19], v[12:13]
	v_fma_f64 v[40:41], v[18:19], v[10:11], -v[40:41]
	v_fma_f64 v[10:11], v[20:21], v[10:11], v[12:13]
	v_mul_f64 v[12:13], v[18:19], v[16:17]
	v_add_f64 v[36:37], v[36:37], v[40:41]
	v_add_f64 v[38:39], v[10:11], v[38:39]
	v_mul_f64 v[10:11], v[20:21], v[16:17]
	v_fma_f64 v[12:13], v[20:21], v[14:15], v[12:13]
	v_fma_f64 v[10:11], v[18:19], v[14:15], -v[10:11]
	v_add_f64 v[24:25], v[12:13], v[24:25]
	;; [unrolled: 30-line block ×3, first 2 shown]
	v_add_f64 v[22:23], v[22:23], v[10:11]
	ds_read_b128 v[10:13], v31 offset:64
	ds_read_b128 v[14:17], v30 offset:2048
	s_waitcnt lgkmcnt(0)
	v_mul_f64 v[18:19], v[12:13], v[16:17]
	v_mul_f64 v[20:21], v[10:11], v[16:17]
	v_fma_f64 v[18:19], v[10:11], v[14:15], -v[18:19]
	v_fma_f64 v[20:21], v[12:13], v[14:15], v[20:21]
	v_add_f64 v[3:4], v[3:4], v[18:19]
	v_add_f64 v[40:41], v[20:21], v[40:41]
	ds_read_b128 v[18:21], v30 offset:2304
	s_waitcnt lgkmcnt(0)
	v_mul_f64 v[42:43], v[12:13], v[20:21]
	v_fma_f64 v[42:43], v[10:11], v[18:19], -v[42:43]
	v_mul_f64 v[10:11], v[10:11], v[20:21]
	v_add_f64 v[34:35], v[34:35], v[42:43]
	v_fma_f64 v[10:11], v[12:13], v[18:19], v[10:11]
	v_add_f64 v[32:33], v[10:11], v[32:33]
	ds_read_b128 v[10:13], v31 offset:2112
	s_waitcnt lgkmcnt(0)
	v_mul_f64 v[42:43], v[12:13], v[16:17]
	v_mul_f64 v[16:17], v[10:11], v[16:17]
	v_fma_f64 v[42:43], v[10:11], v[14:15], -v[42:43]
	v_fma_f64 v[14:15], v[12:13], v[14:15], v[16:17]
	v_add_f64 v[36:37], v[36:37], v[42:43]
	v_add_f64 v[38:39], v[14:15], v[38:39]
	v_mul_f64 v[14:15], v[12:13], v[20:21]
	v_fma_f64 v[14:15], v[10:11], v[18:19], -v[14:15]
	v_mul_f64 v[10:11], v[10:11], v[20:21]
	v_add_f64 v[22:23], v[22:23], v[14:15]
	v_fma_f64 v[10:11], v[12:13], v[18:19], v[10:11]
	v_add_f64 v[24:25], v[10:11], v[24:25]
	ds_read_b128 v[10:13], v31 offset:80
	ds_read_b128 v[14:17], v30 offset:2560
	s_waitcnt lgkmcnt(0)
	v_mul_f64 v[18:19], v[12:13], v[16:17]
	v_mul_f64 v[20:21], v[10:11], v[16:17]
	v_fma_f64 v[18:19], v[10:11], v[14:15], -v[18:19]
	v_fma_f64 v[20:21], v[12:13], v[14:15], v[20:21]
	v_add_f64 v[3:4], v[3:4], v[18:19]
	v_add_f64 v[40:41], v[20:21], v[40:41]
	ds_read_b128 v[18:21], v30 offset:2816
	s_waitcnt lgkmcnt(0)
	v_mul_f64 v[42:43], v[12:13], v[20:21]
	v_fma_f64 v[42:43], v[10:11], v[18:19], -v[42:43]
	v_mul_f64 v[10:11], v[10:11], v[20:21]
	v_add_f64 v[34:35], v[34:35], v[42:43]
	v_fma_f64 v[10:11], v[12:13], v[18:19], v[10:11]
	v_add_f64 v[32:33], v[10:11], v[32:33]
	ds_read_b128 v[10:13], v31 offset:2128
	s_waitcnt lgkmcnt(0)
	v_mul_f64 v[42:43], v[12:13], v[16:17]
	v_mul_f64 v[16:17], v[10:11], v[16:17]
	v_fma_f64 v[42:43], v[10:11], v[14:15], -v[42:43]
	v_fma_f64 v[14:15], v[12:13], v[14:15], v[16:17]
	v_add_f64 v[36:37], v[36:37], v[42:43]
	v_add_f64 v[38:39], v[14:15], v[38:39]
	v_mul_f64 v[14:15], v[12:13], v[20:21]
	v_fma_f64 v[14:15], v[10:11], v[18:19], -v[14:15]
	v_mul_f64 v[10:11], v[10:11], v[20:21]
	v_add_f64 v[22:23], v[22:23], v[14:15]
	v_fma_f64 v[10:11], v[12:13], v[18:19], v[10:11]
	;; [unrolled: 31-line block ×3, first 2 shown]
	v_add_f64 v[44:45], v[10:11], v[24:25]
	ds_read_b128 v[10:13], v31 offset:112
	ds_read_b128 v[14:17], v30 offset:3584
	;; [unrolled: 1-line block ×3, first 2 shown]
	s_waitcnt lgkmcnt(1)
	v_mul_f64 v[18:19], v[12:13], v[16:17]
	v_mul_f64 v[20:21], v[10:11], v[16:17]
	v_fma_f64 v[18:19], v[10:11], v[14:15], -v[18:19]
	v_fma_f64 v[20:21], v[12:13], v[14:15], v[20:21]
	v_add_f64 v[18:19], v[3:4], v[18:19]
	s_waitcnt lgkmcnt(0)
	v_mul_f64 v[3:4], v[12:13], v[24:25]
	v_add_f64 v[20:21], v[20:21], v[40:41]
	v_fma_f64 v[3:4], v[10:11], v[22:23], -v[3:4]
	v_mul_f64 v[10:11], v[10:11], v[24:25]
	v_fma_f64 v[12:13], v[12:13], v[22:23], v[10:11]
	v_add_f64 v[10:11], v[34:35], v[3:4]
	v_add_f64 v[12:13], v[12:13], v[32:33]
	ds_read_b128 v[32:35], v31 offset:2160
	s_waitcnt lgkmcnt(0)
	s_barrier
	v_mul_f64 v[3:4], v[34:35], v[16:17]
	v_mul_f64 v[16:17], v[32:33], v[16:17]
	v_fma_f64 v[3:4], v[32:33], v[14:15], -v[3:4]
	v_fma_f64 v[16:17], v[34:35], v[14:15], v[16:17]
	v_add_f64 v[14:15], v[36:37], v[3:4]
	v_mul_f64 v[3:4], v[34:35], v[24:25]
	v_mul_f64 v[24:25], v[32:33], v[24:25]
	v_add_f64 v[16:17], v[16:17], v[38:39]
	v_fma_f64 v[3:4], v[32:33], v[22:23], -v[3:4]
	v_fma_f64 v[24:25], v[34:35], v[22:23], v[24:25]
	v_add_f64 v[22:23], v[42:43], v[3:4]
	v_add_f64 v[24:25], v[24:25], v[44:45]
	s_cbranch_scc1 .LBB909_12
.LBB909_3:                              ; =>This Inner Loop Header: Depth=1
	v_add_u32_e32 v3, s9, v27
	v_cmp_le_i32_e32 vcc, s17, v3
	s_or_b64 s[6:7], s[2:3], vcc
	s_and_saveexec_b64 s[20:21], s[6:7]
	s_xor_b64 s[6:7], exec, s[20:21]
; %bb.4:                                ;   in Loop: Header=BB909_3 Depth=1
	v_mov_b32_e32 v3, v2
	v_mov_b32_e32 v4, v2
	;; [unrolled: 1-line block ×3, first 2 shown]
	ds_write_b128 v28, v[2:5]
; %bb.5:                                ;   in Loop: Header=BB909_3 Depth=1
	s_andn2_saveexec_b64 s[6:7], s[6:7]
	s_cbranch_execz .LBB909_7
; %bb.6:                                ;   in Loop: Header=BB909_3 Depth=1
	flat_load_dwordx4 v[32:35], v[6:7]
	s_waitcnt vmcnt(0) lgkmcnt(0)
	ds_write2_b64 v28, v[32:33], v[34:35] offset1:1
.LBB909_7:                              ;   in Loop: Header=BB909_3 Depth=1
	s_or_b64 exec, exec, s[6:7]
	v_add_u32_e32 v3, s9, v26
	v_cmp_le_i32_e32 vcc, s17, v3
	s_or_b64 s[6:7], vcc, s[0:1]
	s_and_saveexec_b64 s[20:21], s[6:7]
	s_xor_b64 s[6:7], exec, s[20:21]
; %bb.8:                                ;   in Loop: Header=BB909_3 Depth=1
	v_mov_b32_e32 v3, v2
	v_mov_b32_e32 v4, v2
	;; [unrolled: 1-line block ×3, first 2 shown]
	ds_write_b128 v29, v[2:5]
; %bb.9:                                ;   in Loop: Header=BB909_3 Depth=1
	s_andn2_saveexec_b64 s[6:7], s[6:7]
	s_cbranch_execz .LBB909_2
; %bb.10:                               ;   in Loop: Header=BB909_3 Depth=1
	flat_load_dwordx4 v[32:35], v[8:9]
	s_waitcnt vmcnt(0) lgkmcnt(0)
	ds_write2_b64 v29, v[32:33], v[34:35] offset1:1
	s_branch .LBB909_2
.LBB909_11:
	v_mov_b32_e32 v18, 0
	v_mov_b32_e32 v20, 0
	;; [unrolled: 1-line block ×16, first 2 shown]
.LBB909_12:
	s_load_dword s6, s[4:5], 0x60
	v_add_u32_e32 v4, s18, v1
	s_waitcnt lgkmcnt(0)
	v_mov_b32_e32 v3, s11
	v_add_u32_e32 v0, s8, v0
	v_mad_i64_i32 v[1:2], s[0:1], v4, s6, 0
	v_cmp_le_i32_e64 s[0:1], v4, v0
	v_lshlrev_b64 v[1:2], 4, v[1:2]
	v_add_co_u32_e32 v5, vcc, s10, v1
	v_addc_co_u32_e32 v6, vcc, v3, v2, vcc
	v_cmp_gt_i32_e32 vcc, s16, v0
	s_and_b64 s[0:1], s[0:1], vcc
	s_and_saveexec_b64 s[2:3], s[0:1]
	s_cbranch_execz .LBB909_14
; %bb.13:
	v_mul_f64 v[2:3], s[12:13], v[20:21]
	v_mul_f64 v[7:8], s[14:15], v[20:21]
	v_ashrrev_i32_e32 v1, 31, v0
	v_lshlrev_b64 v[20:21], 4, v[0:1]
	v_fma_f64 v[2:3], s[14:15], v[18:19], v[2:3]
	v_fma_f64 v[18:19], s[12:13], v[18:19], -v[7:8]
	v_add_co_u32_e64 v7, s[0:1], v5, v20
	v_addc_co_u32_e64 v8, s[0:1], v6, v21, s[0:1]
	v_cmp_ne_u32_e64 s[0:1], v4, v0
	v_cndmask_b32_e64 v21, 0, v3, s[0:1]
	v_cndmask_b32_e64 v20, 0, v2, s[0:1]
	flat_store_dwordx4 v[7:8], v[18:21]
.LBB909_14:
	s_or_b64 exec, exec, s[2:3]
	v_add_u32_e32 v2, 16, v0
	v_cmp_le_i32_e64 s[2:3], v4, v2
	v_cmp_gt_i32_e64 s[0:1], s16, v2
	s_and_b64 s[2:3], s[2:3], s[0:1]
	s_and_saveexec_b64 s[4:5], s[2:3]
	s_cbranch_execz .LBB909_16
; %bb.15:
	v_mul_f64 v[7:8], s[12:13], v[12:13]
	v_mul_f64 v[12:13], s[14:15], v[12:13]
	v_ashrrev_i32_e32 v3, 31, v2
	v_lshlrev_b64 v[20:21], 4, v[2:3]
	v_add_co_u32_e64 v5, s[2:3], v5, v20
	v_addc_co_u32_e64 v6, s[2:3], v6, v21, s[2:3]
	v_fma_f64 v[18:19], s[14:15], v[10:11], v[7:8]
	v_fma_f64 v[7:8], s[12:13], v[10:11], -v[12:13]
	v_cmp_ne_u32_e64 s[2:3], v4, v2
	v_cndmask_b32_e64 v10, 0, v19, s[2:3]
	v_cndmask_b32_e64 v9, 0, v18, s[2:3]
	flat_store_dwordx4 v[5:6], v[7:10]
.LBB909_16:
	s_or_b64 exec, exec, s[4:5]
	v_add_u32_e32 v3, 16, v4
	v_mad_i64_i32 v[5:6], s[2:3], v3, s6, 0
	v_mov_b32_e32 v1, s11
	v_lshlrev_b64 v[5:6], 4, v[5:6]
	v_add_co_u32_e64 v5, s[2:3], s10, v5
	v_addc_co_u32_e64 v6, s[2:3], v1, v6, s[2:3]
	v_cmp_le_i32_e64 s[2:3], v3, v0
	s_and_b64 s[4:5], s[2:3], vcc
	s_and_saveexec_b64 s[2:3], s[4:5]
	s_cbranch_execz .LBB909_18
; %bb.17:
	v_mul_f64 v[7:8], s[12:13], v[16:17]
	v_mul_f64 v[9:10], s[14:15], v[16:17]
	v_ashrrev_i32_e32 v1, 31, v0
	v_lshlrev_b64 v[16:17], 4, v[0:1]
	v_add_co_u32_e32 v13, vcc, v5, v16
	v_fma_f64 v[11:12], s[14:15], v[14:15], v[7:8]
	v_fma_f64 v[7:8], s[12:13], v[14:15], -v[9:10]
	v_addc_co_u32_e32 v14, vcc, v6, v17, vcc
	v_cmp_ne_u32_e32 vcc, v3, v0
	v_cndmask_b32_e32 v10, 0, v12, vcc
	v_cndmask_b32_e32 v9, 0, v11, vcc
	flat_store_dwordx4 v[13:14], v[7:10]
.LBB909_18:
	s_or_b64 exec, exec, s[2:3]
	v_cmp_le_i32_e32 vcc, v3, v2
	s_and_b64 s[0:1], vcc, s[0:1]
	s_and_saveexec_b64 s[2:3], s[0:1]
	s_cbranch_execz .LBB909_20
; %bb.19:
	v_mul_f64 v[7:8], s[12:13], v[24:25]
	v_mul_f64 v[9:10], s[14:15], v[24:25]
	v_ashrrev_i32_e32 v3, 31, v2
	v_lshlrev_b64 v[11:12], 4, v[2:3]
	v_add_co_u32_e32 v5, vcc, v5, v11
	v_addc_co_u32_e32 v6, vcc, v6, v12, vcc
	v_fma_f64 v[7:8], s[14:15], v[22:23], v[7:8]
	v_fma_f64 v[1:2], s[12:13], v[22:23], -v[9:10]
	v_cmp_ne_u32_e32 vcc, v4, v0
	v_cndmask_b32_e32 v4, 0, v8, vcc
	v_cndmask_b32_e32 v3, 0, v7, vcc
	flat_store_dwordx4 v[5:6], v[1:4]
.LBB909_20:
	s_endpgm
	.section	.rodata,"a",@progbits
	.p2align	6, 0x0
	.amdhsa_kernel _ZL34rocblas_syrkx_herkx_general_kernelIi19rocblas_complex_numIdELi16ELi32ELi8ELb1ELb1ELc84ELc76EKPKS1_KPS1_EviT_T0_PT8_S7_lSA_S7_lS8_PT9_S7_li
		.amdhsa_group_segment_fixed_size 8192
		.amdhsa_private_segment_fixed_size 0
		.amdhsa_kernarg_size 116
		.amdhsa_user_sgpr_count 6
		.amdhsa_user_sgpr_private_segment_buffer 1
		.amdhsa_user_sgpr_dispatch_ptr 0
		.amdhsa_user_sgpr_queue_ptr 0
		.amdhsa_user_sgpr_kernarg_segment_ptr 1
		.amdhsa_user_sgpr_dispatch_id 0
		.amdhsa_user_sgpr_flat_scratch_init 0
		.amdhsa_user_sgpr_private_segment_size 0
		.amdhsa_uses_dynamic_stack 0
		.amdhsa_system_sgpr_private_segment_wavefront_offset 0
		.amdhsa_system_sgpr_workgroup_id_x 1
		.amdhsa_system_sgpr_workgroup_id_y 1
		.amdhsa_system_sgpr_workgroup_id_z 1
		.amdhsa_system_sgpr_workgroup_info 0
		.amdhsa_system_vgpr_workitem_id 1
		.amdhsa_next_free_vgpr 56
		.amdhsa_next_free_sgpr 61
		.amdhsa_reserve_vcc 1
		.amdhsa_reserve_flat_scratch 0
		.amdhsa_float_round_mode_32 0
		.amdhsa_float_round_mode_16_64 0
		.amdhsa_float_denorm_mode_32 3
		.amdhsa_float_denorm_mode_16_64 3
		.amdhsa_dx10_clamp 1
		.amdhsa_ieee_mode 1
		.amdhsa_fp16_overflow 0
		.amdhsa_exception_fp_ieee_invalid_op 0
		.amdhsa_exception_fp_denorm_src 0
		.amdhsa_exception_fp_ieee_div_zero 0
		.amdhsa_exception_fp_ieee_overflow 0
		.amdhsa_exception_fp_ieee_underflow 0
		.amdhsa_exception_fp_ieee_inexact 0
		.amdhsa_exception_int_div_zero 0
	.end_amdhsa_kernel
	.section	.text._ZL34rocblas_syrkx_herkx_general_kernelIi19rocblas_complex_numIdELi16ELi32ELi8ELb1ELb1ELc84ELc76EKPKS1_KPS1_EviT_T0_PT8_S7_lSA_S7_lS8_PT9_S7_li,"axG",@progbits,_ZL34rocblas_syrkx_herkx_general_kernelIi19rocblas_complex_numIdELi16ELi32ELi8ELb1ELb1ELc84ELc76EKPKS1_KPS1_EviT_T0_PT8_S7_lSA_S7_lS8_PT9_S7_li,comdat
.Lfunc_end909:
	.size	_ZL34rocblas_syrkx_herkx_general_kernelIi19rocblas_complex_numIdELi16ELi32ELi8ELb1ELb1ELc84ELc76EKPKS1_KPS1_EviT_T0_PT8_S7_lSA_S7_lS8_PT9_S7_li, .Lfunc_end909-_ZL34rocblas_syrkx_herkx_general_kernelIi19rocblas_complex_numIdELi16ELi32ELi8ELb1ELb1ELc84ELc76EKPKS1_KPS1_EviT_T0_PT8_S7_lSA_S7_lS8_PT9_S7_li
                                        ; -- End function
	.set _ZL34rocblas_syrkx_herkx_general_kernelIi19rocblas_complex_numIdELi16ELi32ELi8ELb1ELb1ELc84ELc76EKPKS1_KPS1_EviT_T0_PT8_S7_lSA_S7_lS8_PT9_S7_li.num_vgpr, 56
	.set _ZL34rocblas_syrkx_herkx_general_kernelIi19rocblas_complex_numIdELi16ELi32ELi8ELb1ELb1ELc84ELc76EKPKS1_KPS1_EviT_T0_PT8_S7_lSA_S7_lS8_PT9_S7_li.num_agpr, 0
	.set _ZL34rocblas_syrkx_herkx_general_kernelIi19rocblas_complex_numIdELi16ELi32ELi8ELb1ELb1ELc84ELc76EKPKS1_KPS1_EviT_T0_PT8_S7_lSA_S7_lS8_PT9_S7_li.numbered_sgpr, 23
	.set _ZL34rocblas_syrkx_herkx_general_kernelIi19rocblas_complex_numIdELi16ELi32ELi8ELb1ELb1ELc84ELc76EKPKS1_KPS1_EviT_T0_PT8_S7_lSA_S7_lS8_PT9_S7_li.num_named_barrier, 0
	.set _ZL34rocblas_syrkx_herkx_general_kernelIi19rocblas_complex_numIdELi16ELi32ELi8ELb1ELb1ELc84ELc76EKPKS1_KPS1_EviT_T0_PT8_S7_lSA_S7_lS8_PT9_S7_li.private_seg_size, 0
	.set _ZL34rocblas_syrkx_herkx_general_kernelIi19rocblas_complex_numIdELi16ELi32ELi8ELb1ELb1ELc84ELc76EKPKS1_KPS1_EviT_T0_PT8_S7_lSA_S7_lS8_PT9_S7_li.uses_vcc, 1
	.set _ZL34rocblas_syrkx_herkx_general_kernelIi19rocblas_complex_numIdELi16ELi32ELi8ELb1ELb1ELc84ELc76EKPKS1_KPS1_EviT_T0_PT8_S7_lSA_S7_lS8_PT9_S7_li.uses_flat_scratch, 0
	.set _ZL34rocblas_syrkx_herkx_general_kernelIi19rocblas_complex_numIdELi16ELi32ELi8ELb1ELb1ELc84ELc76EKPKS1_KPS1_EviT_T0_PT8_S7_lSA_S7_lS8_PT9_S7_li.has_dyn_sized_stack, 0
	.set _ZL34rocblas_syrkx_herkx_general_kernelIi19rocblas_complex_numIdELi16ELi32ELi8ELb1ELb1ELc84ELc76EKPKS1_KPS1_EviT_T0_PT8_S7_lSA_S7_lS8_PT9_S7_li.has_recursion, 0
	.set _ZL34rocblas_syrkx_herkx_general_kernelIi19rocblas_complex_numIdELi16ELi32ELi8ELb1ELb1ELc84ELc76EKPKS1_KPS1_EviT_T0_PT8_S7_lSA_S7_lS8_PT9_S7_li.has_indirect_call, 0
	.section	.AMDGPU.csdata,"",@progbits
; Kernel info:
; codeLenInByte = 3100
; TotalNumSgprs: 27
; NumVgprs: 56
; ScratchSize: 0
; MemoryBound: 0
; FloatMode: 240
; IeeeMode: 1
; LDSByteSize: 8192 bytes/workgroup (compile time only)
; SGPRBlocks: 8
; VGPRBlocks: 13
; NumSGPRsForWavesPerEU: 65
; NumVGPRsForWavesPerEU: 56
; Occupancy: 4
; WaveLimiterHint : 1
; COMPUTE_PGM_RSRC2:SCRATCH_EN: 0
; COMPUTE_PGM_RSRC2:USER_SGPR: 6
; COMPUTE_PGM_RSRC2:TRAP_HANDLER: 0
; COMPUTE_PGM_RSRC2:TGID_X_EN: 1
; COMPUTE_PGM_RSRC2:TGID_Y_EN: 1
; COMPUTE_PGM_RSRC2:TGID_Z_EN: 1
; COMPUTE_PGM_RSRC2:TIDIG_COMP_CNT: 1
	.section	.text._ZL34rocblas_syrkx_herkx_general_kernelIi19rocblas_complex_numIdELi16ELi32ELi8ELb1ELb1ELc67ELc76EKPKS1_KPS1_EviT_T0_PT8_S7_lSA_S7_lS8_PT9_S7_li,"axG",@progbits,_ZL34rocblas_syrkx_herkx_general_kernelIi19rocblas_complex_numIdELi16ELi32ELi8ELb1ELb1ELc67ELc76EKPKS1_KPS1_EviT_T0_PT8_S7_lSA_S7_lS8_PT9_S7_li,comdat
	.globl	_ZL34rocblas_syrkx_herkx_general_kernelIi19rocblas_complex_numIdELi16ELi32ELi8ELb1ELb1ELc67ELc76EKPKS1_KPS1_EviT_T0_PT8_S7_lSA_S7_lS8_PT9_S7_li ; -- Begin function _ZL34rocblas_syrkx_herkx_general_kernelIi19rocblas_complex_numIdELi16ELi32ELi8ELb1ELb1ELc67ELc76EKPKS1_KPS1_EviT_T0_PT8_S7_lSA_S7_lS8_PT9_S7_li
	.p2align	8
	.type	_ZL34rocblas_syrkx_herkx_general_kernelIi19rocblas_complex_numIdELi16ELi32ELi8ELb1ELb1ELc67ELc76EKPKS1_KPS1_EviT_T0_PT8_S7_lSA_S7_lS8_PT9_S7_li,@function
_ZL34rocblas_syrkx_herkx_general_kernelIi19rocblas_complex_numIdELi16ELi32ELi8ELb1ELb1ELc67ELc76EKPKS1_KPS1_EviT_T0_PT8_S7_lSA_S7_lS8_PT9_S7_li: ; @_ZL34rocblas_syrkx_herkx_general_kernelIi19rocblas_complex_numIdELi16ELi32ELi8ELb1ELb1ELc67ELc76EKPKS1_KPS1_EviT_T0_PT8_S7_lSA_S7_lS8_PT9_S7_li
; %bb.0:
	s_load_dwordx2 s[0:1], s[4:5], 0x18
	s_load_dwordx2 s[10:11], s[4:5], 0x58
	;; [unrolled: 1-line block ×3, first 2 shown]
	s_load_dwordx4 s[12:15], s[4:5], 0x8
	s_mov_b32 s9, 0
	s_lshl_b64 s[2:3], s[8:9], 3
	s_waitcnt lgkmcnt(0)
	s_add_u32 s10, s10, s2
	s_addc_u32 s11, s11, s3
	s_load_dwordx2 s[10:11], s[10:11], 0x0
	s_lshl_b32 s8, s6, 5
	s_lshl_b32 s18, s7, 5
	s_cmp_lt_i32 s17, 1
	s_cbranch_scc1 .LBB910_9
; %bb.1:
	s_load_dword s19, s[4:5], 0x20
	s_load_dwordx2 s[6:7], s[4:5], 0x30
	s_load_dword s22, s[4:5], 0x38
	v_lshl_add_u32 v2, v1, 4, v0
	v_lshrrev_b32_e32 v28, 5, v2
	v_lshrrev_b32_e32 v3, 3, v2
	s_waitcnt lgkmcnt(0)
	s_add_u32 s6, s6, s2
	s_addc_u32 s7, s7, s3
	v_and_b32_e32 v2, 31, v2
	s_add_u32 s0, s0, s2
	v_or_b32_e32 v5, s8, v2
	s_addc_u32 s1, s1, s3
	v_and_b32_e32 v27, 7, v0
	s_load_dwordx2 s[20:21], s[0:1], 0x0
	v_cmp_gt_i32_e64 s[0:1], s16, v5
	v_lshlrev_b32_e32 v5, 4, v2
	v_lshl_or_b32 v29, v28, 9, v5
	v_lshlrev_b32_e32 v5, 4, v27
	v_add_u32_e32 v4, s18, v3
	v_lshl_or_b32 v3, v3, 7, v5
	v_add_u32_e32 v2, s8, v2
	v_add_u32_e32 v30, 0x1000, v3
	v_mad_i64_i32 v[2:3], s[2:3], s19, v2, 0
	v_mov_b32_e32 v6, 0x1000
	v_lshl_add_u32 v32, v1, 7, v6
	v_lshlrev_b64 v[2:3], 4, v[2:3]
	v_lshlrev_b32_e32 v6, 4, v28
	v_add_co_u32_e64 v6, s[2:3], v2, v6
	v_addc_co_u32_e64 v8, s[2:3], 0, v3, s[2:3]
	v_mad_i64_i32 v[2:3], s[2:3], s22, v4, 0
	s_load_dwordx2 s[6:7], s[6:7], 0x0
	s_waitcnt lgkmcnt(0)
	v_mov_b32_e32 v9, s21
	v_add_co_u32_e64 v7, s[2:3], s20, v6
	v_lshlrev_b64 v[2:3], 4, v[2:3]
	v_addc_co_u32_e64 v8, s[2:3], v9, v8, s[2:3]
	v_add_co_u32_e64 v2, s[2:3], v2, v5
	v_addc_co_u32_e64 v3, s[2:3], 0, v3, s[2:3]
	v_cmp_gt_i32_e32 vcc, s16, v4
	v_mov_b32_e32 v4, s7
	v_add_co_u32_e64 v9, s[2:3], s6, v2
	v_addc_co_u32_e64 v10, s[2:3], v4, v3, s[2:3]
	v_mov_b32_e32 v25, 0
	v_mov_b32_e32 v23, 0
	;; [unrolled: 1-line block ×8, first 2 shown]
	v_lshlrev_b32_e32 v31, 4, v0
	v_mov_b32_e32 v26, 0
	s_xor_b64 s[2:3], vcc, -1
	v_mov_b32_e32 v24, 0
	v_mov_b32_e32 v18, 0
	;; [unrolled: 1-line block ×8, first 2 shown]
	s_branch .LBB910_3
.LBB910_2:                              ;   in Loop: Header=BB910_3 Depth=1
	s_or_b64 exec, exec, s[6:7]
	s_waitcnt lgkmcnt(0)
	s_barrier
	ds_read_b128 v[3:6], v32
	ds_read_b128 v[33:36], v32 offset:16
	ds_read_b128 v[37:40], v32 offset:32
	;; [unrolled: 1-line block ×3, first 2 shown]
	ds_read_b128 v[45:48], v31
	v_add_co_u32_e32 v7, vcc, 0x80, v7
	v_addc_co_u32_e32 v8, vcc, 0, v8, vcc
	s_waitcnt lgkmcnt(0)
	v_mul_f64 v[49:50], v[5:6], v[47:48]
	v_mul_f64 v[51:52], v[3:4], v[47:48]
	s_add_i32 s9, s9, 8
	v_add_co_u32_e32 v9, vcc, 0x80, v9
	v_addc_co_u32_e32 v10, vcc, 0, v10, vcc
	s_cmp_ge_i32 s9, s17
	v_fma_f64 v[49:50], v[3:4], v[45:46], -v[49:50]
	v_fma_f64 v[51:52], v[5:6], v[45:46], v[51:52]
	v_add_f64 v[49:50], v[19:20], v[49:50]
	v_add_f64 v[51:52], v[51:52], v[21:22]
	ds_read_b128 v[19:22], v31 offset:256
	s_waitcnt lgkmcnt(0)
	v_mul_f64 v[53:54], v[5:6], v[21:22]
	v_fma_f64 v[53:54], v[3:4], v[19:20], -v[53:54]
	v_mul_f64 v[3:4], v[3:4], v[21:22]
	v_add_f64 v[53:54], v[11:12], v[53:54]
	v_fma_f64 v[3:4], v[5:6], v[19:20], v[3:4]
	v_add_f64 v[55:56], v[3:4], v[13:14]
	ds_read_b128 v[3:6], v32 offset:2048
	s_waitcnt lgkmcnt(0)
	v_mul_f64 v[11:12], v[5:6], v[47:48]
	v_mul_f64 v[13:14], v[3:4], v[47:48]
	v_fma_f64 v[11:12], v[3:4], v[45:46], -v[11:12]
	v_fma_f64 v[13:14], v[5:6], v[45:46], v[13:14]
	v_add_f64 v[45:46], v[15:16], v[11:12]
	v_mul_f64 v[11:12], v[5:6], v[21:22]
	v_add_f64 v[47:48], v[13:14], v[17:18]
	v_fma_f64 v[11:12], v[3:4], v[19:20], -v[11:12]
	v_mul_f64 v[3:4], v[3:4], v[21:22]
	v_fma_f64 v[3:4], v[5:6], v[19:20], v[3:4]
	v_add_f64 v[19:20], v[23:24], v[11:12]
	v_add_f64 v[21:22], v[3:4], v[25:26]
	ds_read_b128 v[3:6], v31 offset:512
	s_waitcnt lgkmcnt(0)
	v_mul_f64 v[11:12], v[35:36], v[5:6]
	v_mul_f64 v[13:14], v[33:34], v[5:6]
	v_fma_f64 v[11:12], v[33:34], v[3:4], -v[11:12]
	v_fma_f64 v[13:14], v[35:36], v[3:4], v[13:14]
	v_add_f64 v[23:24], v[49:50], v[11:12]
	v_add_f64 v[25:26], v[13:14], v[51:52]
	ds_read_b128 v[11:14], v31 offset:768
	s_waitcnt lgkmcnt(0)
	v_mul_f64 v[15:16], v[35:36], v[13:14]
	v_mul_f64 v[17:18], v[33:34], v[13:14]
	v_fma_f64 v[15:16], v[33:34], v[11:12], -v[15:16]
	;; [unrolled: 8-line block ×3, first 2 shown]
	v_fma_f64 v[3:4], v[17:18], v[3:4], v[5:6]
	v_mul_f64 v[5:6], v[15:16], v[13:14]
	v_add_f64 v[45:46], v[45:46], v[49:50]
	v_add_f64 v[47:48], v[3:4], v[47:48]
	v_mul_f64 v[3:4], v[17:18], v[13:14]
	v_fma_f64 v[5:6], v[17:18], v[11:12], v[5:6]
	v_fma_f64 v[3:4], v[15:16], v[11:12], -v[3:4]
	v_add_f64 v[21:22], v[5:6], v[21:22]
	v_add_f64 v[19:20], v[19:20], v[3:4]
	ds_read_b128 v[3:6], v31 offset:1024
	s_waitcnt lgkmcnt(0)
	v_mul_f64 v[11:12], v[39:40], v[5:6]
	v_mul_f64 v[13:14], v[37:38], v[5:6]
	v_fma_f64 v[11:12], v[37:38], v[3:4], -v[11:12]
	v_fma_f64 v[13:14], v[39:40], v[3:4], v[13:14]
	v_add_f64 v[23:24], v[23:24], v[11:12]
	v_add_f64 v[25:26], v[13:14], v[25:26]
	ds_read_b128 v[11:14], v31 offset:1280
	s_waitcnt lgkmcnt(0)
	v_mul_f64 v[15:16], v[39:40], v[13:14]
	v_mul_f64 v[17:18], v[37:38], v[13:14]
	v_fma_f64 v[15:16], v[37:38], v[11:12], -v[15:16]
	v_fma_f64 v[17:18], v[39:40], v[11:12], v[17:18]
	;; [unrolled: 8-line block ×3, first 2 shown]
	v_mul_f64 v[5:6], v[15:16], v[13:14]
	v_add_f64 v[37:38], v[45:46], v[37:38]
	v_add_f64 v[39:40], v[3:4], v[47:48]
	v_mul_f64 v[3:4], v[17:18], v[13:14]
	v_fma_f64 v[5:6], v[17:18], v[11:12], v[5:6]
	v_fma_f64 v[3:4], v[15:16], v[11:12], -v[3:4]
	v_add_f64 v[21:22], v[5:6], v[21:22]
	v_add_f64 v[19:20], v[19:20], v[3:4]
	ds_read_b128 v[3:6], v31 offset:1536
	s_waitcnt lgkmcnt(0)
	v_mul_f64 v[11:12], v[43:44], v[5:6]
	v_mul_f64 v[13:14], v[41:42], v[5:6]
	v_fma_f64 v[11:12], v[41:42], v[3:4], -v[11:12]
	v_fma_f64 v[13:14], v[43:44], v[3:4], v[13:14]
	v_add_f64 v[23:24], v[23:24], v[11:12]
	v_add_f64 v[25:26], v[13:14], v[25:26]
	ds_read_b128 v[11:14], v31 offset:1792
	s_waitcnt lgkmcnt(0)
	v_mul_f64 v[15:16], v[43:44], v[13:14]
	v_mul_f64 v[17:18], v[41:42], v[13:14]
	v_fma_f64 v[15:16], v[41:42], v[11:12], -v[15:16]
	v_fma_f64 v[17:18], v[43:44], v[11:12], v[17:18]
	;; [unrolled: 8-line block ×3, first 2 shown]
	v_mul_f64 v[5:6], v[15:16], v[13:14]
	v_add_f64 v[37:38], v[37:38], v[41:42]
	v_add_f64 v[39:40], v[3:4], v[39:40]
	v_mul_f64 v[3:4], v[17:18], v[13:14]
	v_fma_f64 v[5:6], v[17:18], v[11:12], v[5:6]
	v_fma_f64 v[3:4], v[15:16], v[11:12], -v[3:4]
	v_add_f64 v[21:22], v[5:6], v[21:22]
	v_add_f64 v[19:20], v[19:20], v[3:4]
	ds_read_b128 v[3:6], v32 offset:64
	ds_read_b128 v[11:14], v31 offset:2048
	s_waitcnt lgkmcnt(0)
	v_mul_f64 v[15:16], v[5:6], v[13:14]
	v_mul_f64 v[17:18], v[3:4], v[13:14]
	v_fma_f64 v[15:16], v[3:4], v[11:12], -v[15:16]
	v_fma_f64 v[17:18], v[5:6], v[11:12], v[17:18]
	v_add_f64 v[23:24], v[23:24], v[15:16]
	v_add_f64 v[25:26], v[17:18], v[25:26]
	ds_read_b128 v[15:18], v31 offset:2304
	s_waitcnt lgkmcnt(0)
	v_mul_f64 v[41:42], v[5:6], v[17:18]
	v_fma_f64 v[41:42], v[3:4], v[15:16], -v[41:42]
	v_mul_f64 v[3:4], v[3:4], v[17:18]
	v_add_f64 v[33:34], v[33:34], v[41:42]
	v_fma_f64 v[3:4], v[5:6], v[15:16], v[3:4]
	v_add_f64 v[35:36], v[3:4], v[35:36]
	ds_read_b128 v[3:6], v32 offset:2112
	s_waitcnt lgkmcnt(0)
	v_mul_f64 v[41:42], v[5:6], v[13:14]
	v_mul_f64 v[13:14], v[3:4], v[13:14]
	v_fma_f64 v[41:42], v[3:4], v[11:12], -v[41:42]
	v_fma_f64 v[11:12], v[5:6], v[11:12], v[13:14]
	v_add_f64 v[37:38], v[37:38], v[41:42]
	v_add_f64 v[39:40], v[11:12], v[39:40]
	v_mul_f64 v[11:12], v[5:6], v[17:18]
	v_fma_f64 v[11:12], v[3:4], v[15:16], -v[11:12]
	v_mul_f64 v[3:4], v[3:4], v[17:18]
	v_add_f64 v[19:20], v[19:20], v[11:12]
	v_fma_f64 v[3:4], v[5:6], v[15:16], v[3:4]
	v_add_f64 v[21:22], v[3:4], v[21:22]
	ds_read_b128 v[3:6], v32 offset:80
	ds_read_b128 v[11:14], v31 offset:2560
	s_waitcnt lgkmcnt(0)
	v_mul_f64 v[15:16], v[5:6], v[13:14]
	v_mul_f64 v[17:18], v[3:4], v[13:14]
	v_fma_f64 v[15:16], v[3:4], v[11:12], -v[15:16]
	v_fma_f64 v[17:18], v[5:6], v[11:12], v[17:18]
	v_add_f64 v[23:24], v[23:24], v[15:16]
	v_add_f64 v[25:26], v[17:18], v[25:26]
	ds_read_b128 v[15:18], v31 offset:2816
	s_waitcnt lgkmcnt(0)
	v_mul_f64 v[41:42], v[5:6], v[17:18]
	v_fma_f64 v[41:42], v[3:4], v[15:16], -v[41:42]
	v_mul_f64 v[3:4], v[3:4], v[17:18]
	v_add_f64 v[33:34], v[33:34], v[41:42]
	v_fma_f64 v[3:4], v[5:6], v[15:16], v[3:4]
	v_add_f64 v[35:36], v[3:4], v[35:36]
	ds_read_b128 v[3:6], v32 offset:2128
	s_waitcnt lgkmcnt(0)
	v_mul_f64 v[41:42], v[5:6], v[13:14]
	v_mul_f64 v[13:14], v[3:4], v[13:14]
	v_fma_f64 v[41:42], v[3:4], v[11:12], -v[41:42]
	v_fma_f64 v[11:12], v[5:6], v[11:12], v[13:14]
	v_add_f64 v[37:38], v[37:38], v[41:42]
	v_add_f64 v[39:40], v[11:12], v[39:40]
	v_mul_f64 v[11:12], v[5:6], v[17:18]
	v_fma_f64 v[11:12], v[3:4], v[15:16], -v[11:12]
	v_mul_f64 v[3:4], v[3:4], v[17:18]
	v_add_f64 v[19:20], v[19:20], v[11:12]
	v_fma_f64 v[3:4], v[5:6], v[15:16], v[3:4]
	;; [unrolled: 31-line block ×3, first 2 shown]
	v_add_f64 v[43:44], v[3:4], v[21:22]
	ds_read_b128 v[3:6], v32 offset:112
	ds_read_b128 v[15:18], v31 offset:3584
	s_waitcnt lgkmcnt(0)
	v_mul_f64 v[11:12], v[5:6], v[17:18]
	v_mul_f64 v[13:14], v[3:4], v[17:18]
	v_fma_f64 v[11:12], v[3:4], v[15:16], -v[11:12]
	v_fma_f64 v[13:14], v[5:6], v[15:16], v[13:14]
	v_add_f64 v[19:20], v[23:24], v[11:12]
	v_add_f64 v[21:22], v[13:14], v[25:26]
	ds_read_b128 v[23:26], v31 offset:3840
	s_waitcnt lgkmcnt(0)
	v_mul_f64 v[11:12], v[5:6], v[25:26]
	v_fma_f64 v[11:12], v[3:4], v[23:24], -v[11:12]
	v_mul_f64 v[3:4], v[3:4], v[25:26]
	v_add_f64 v[11:12], v[33:34], v[11:12]
	v_fma_f64 v[3:4], v[5:6], v[23:24], v[3:4]
	v_add_f64 v[13:14], v[3:4], v[35:36]
	ds_read_b128 v[3:6], v32 offset:2160
	s_waitcnt lgkmcnt(0)
	s_barrier
	v_mul_f64 v[33:34], v[5:6], v[17:18]
	v_mul_f64 v[17:18], v[3:4], v[17:18]
	v_fma_f64 v[33:34], v[3:4], v[15:16], -v[33:34]
	v_fma_f64 v[17:18], v[5:6], v[15:16], v[17:18]
	v_add_f64 v[15:16], v[37:38], v[33:34]
	v_mul_f64 v[33:34], v[5:6], v[25:26]
	v_add_f64 v[17:18], v[17:18], v[39:40]
	v_fma_f64 v[33:34], v[3:4], v[23:24], -v[33:34]
	v_mul_f64 v[3:4], v[3:4], v[25:26]
	v_fma_f64 v[3:4], v[5:6], v[23:24], v[3:4]
	v_add_f64 v[23:24], v[41:42], v[33:34]
	v_add_f64 v[25:26], v[3:4], v[43:44]
	s_cbranch_scc1 .LBB910_10
.LBB910_3:                              ; =>This Inner Loop Header: Depth=1
	v_add_u32_e32 v3, s9, v28
	v_cmp_gt_i32_e32 vcc, s17, v3
	v_mov_b32_e32 v3, 0
	v_mov_b32_e32 v5, 0
	;; [unrolled: 1-line block ×4, first 2 shown]
	s_and_b64 s[20:21], s[0:1], vcc
	s_and_saveexec_b64 s[6:7], s[20:21]
	s_cbranch_execz .LBB910_5
; %bb.4:                                ;   in Loop: Header=BB910_3 Depth=1
	flat_load_dwordx4 v[3:6], v[7:8]
	s_waitcnt vmcnt(0) lgkmcnt(0)
	v_xor_b32_e32 v6, 0x80000000, v6
.LBB910_5:                              ;   in Loop: Header=BB910_3 Depth=1
	s_or_b64 exec, exec, s[6:7]
	ds_write_b128 v29, v[3:6]
	v_add_u32_e32 v3, s9, v27
	v_cmp_le_i32_e32 vcc, s17, v3
	s_or_b64 s[6:7], vcc, s[2:3]
	s_and_saveexec_b64 s[20:21], s[6:7]
	s_xor_b64 s[6:7], exec, s[20:21]
; %bb.6:                                ;   in Loop: Header=BB910_3 Depth=1
	v_mov_b32_e32 v3, v2
	v_mov_b32_e32 v4, v2
	;; [unrolled: 1-line block ×3, first 2 shown]
	ds_write_b128 v30, v[2:5]
; %bb.7:                                ;   in Loop: Header=BB910_3 Depth=1
	s_andn2_saveexec_b64 s[6:7], s[6:7]
	s_cbranch_execz .LBB910_2
; %bb.8:                                ;   in Loop: Header=BB910_3 Depth=1
	flat_load_dwordx4 v[3:6], v[9:10]
	s_waitcnt vmcnt(0) lgkmcnt(0)
	ds_write2_b64 v30, v[3:4], v[5:6] offset1:1
	s_branch .LBB910_2
.LBB910_9:
	v_mov_b32_e32 v19, 0
	v_mov_b32_e32 v21, 0
	;; [unrolled: 1-line block ×16, first 2 shown]
.LBB910_10:
	s_load_dword s6, s[4:5], 0x60
	v_add_u32_e32 v4, s18, v1
	s_waitcnt lgkmcnt(0)
	v_mov_b32_e32 v3, s11
	v_add_u32_e32 v0, s8, v0
	v_mad_i64_i32 v[1:2], s[0:1], v4, s6, 0
	v_cmp_le_i32_e64 s[0:1], v4, v0
	v_lshlrev_b64 v[1:2], 4, v[1:2]
	v_add_co_u32_e32 v5, vcc, s10, v1
	v_addc_co_u32_e32 v6, vcc, v3, v2, vcc
	v_cmp_gt_i32_e32 vcc, s16, v0
	s_and_b64 s[0:1], s[0:1], vcc
	s_and_saveexec_b64 s[2:3], s[0:1]
	s_cbranch_execz .LBB910_12
; %bb.11:
	v_mul_f64 v[2:3], s[12:13], v[21:22]
	v_mul_f64 v[7:8], s[14:15], v[21:22]
	v_ashrrev_i32_e32 v1, 31, v0
	v_lshlrev_b64 v[9:10], 4, v[0:1]
	v_fma_f64 v[2:3], s[14:15], v[19:20], v[2:3]
	v_fma_f64 v[7:8], s[12:13], v[19:20], -v[7:8]
	v_add_co_u32_e64 v19, s[0:1], v5, v9
	v_addc_co_u32_e64 v20, s[0:1], v6, v10, s[0:1]
	v_cmp_ne_u32_e64 s[0:1], v4, v0
	v_cndmask_b32_e64 v10, 0, v3, s[0:1]
	v_cndmask_b32_e64 v9, 0, v2, s[0:1]
	flat_store_dwordx4 v[19:20], v[7:10]
.LBB910_12:
	s_or_b64 exec, exec, s[2:3]
	v_add_u32_e32 v2, 16, v0
	v_cmp_le_i32_e64 s[2:3], v4, v2
	v_cmp_gt_i32_e64 s[0:1], s16, v2
	s_and_b64 s[2:3], s[2:3], s[0:1]
	s_and_saveexec_b64 s[4:5], s[2:3]
	s_cbranch_execz .LBB910_14
; %bb.13:
	v_mul_f64 v[7:8], s[12:13], v[13:14]
	v_mul_f64 v[9:10], s[14:15], v[13:14]
	v_ashrrev_i32_e32 v3, 31, v2
	v_lshlrev_b64 v[19:20], 4, v[2:3]
	v_add_co_u32_e64 v5, s[2:3], v5, v19
	v_addc_co_u32_e64 v6, s[2:3], v6, v20, s[2:3]
	v_fma_f64 v[13:14], s[14:15], v[11:12], v[7:8]
	v_fma_f64 v[7:8], s[12:13], v[11:12], -v[9:10]
	v_cmp_ne_u32_e64 s[2:3], v4, v2
	v_cndmask_b32_e64 v10, 0, v14, s[2:3]
	v_cndmask_b32_e64 v9, 0, v13, s[2:3]
	flat_store_dwordx4 v[5:6], v[7:10]
.LBB910_14:
	s_or_b64 exec, exec, s[4:5]
	v_add_u32_e32 v3, 16, v4
	v_mad_i64_i32 v[5:6], s[2:3], v3, s6, 0
	v_mov_b32_e32 v1, s11
	v_lshlrev_b64 v[5:6], 4, v[5:6]
	v_add_co_u32_e64 v5, s[2:3], s10, v5
	v_addc_co_u32_e64 v6, s[2:3], v1, v6, s[2:3]
	v_cmp_le_i32_e64 s[2:3], v3, v0
	s_and_b64 s[4:5], s[2:3], vcc
	s_and_saveexec_b64 s[2:3], s[4:5]
	s_cbranch_execz .LBB910_16
; %bb.15:
	v_mul_f64 v[7:8], s[12:13], v[17:18]
	v_mul_f64 v[9:10], s[14:15], v[17:18]
	v_ashrrev_i32_e32 v1, 31, v0
	v_lshlrev_b64 v[13:14], 4, v[0:1]
	v_add_co_u32_e32 v13, vcc, v5, v13
	v_addc_co_u32_e32 v14, vcc, v6, v14, vcc
	v_fma_f64 v[11:12], s[14:15], v[15:16], v[7:8]
	v_fma_f64 v[7:8], s[12:13], v[15:16], -v[9:10]
	v_cmp_ne_u32_e32 vcc, v3, v0
	v_cndmask_b32_e32 v10, 0, v12, vcc
	v_cndmask_b32_e32 v9, 0, v11, vcc
	flat_store_dwordx4 v[13:14], v[7:10]
.LBB910_16:
	s_or_b64 exec, exec, s[2:3]
	v_cmp_le_i32_e32 vcc, v3, v2
	s_and_b64 s[0:1], vcc, s[0:1]
	s_and_saveexec_b64 s[2:3], s[0:1]
	s_cbranch_execz .LBB910_18
; %bb.17:
	v_mul_f64 v[7:8], s[12:13], v[25:26]
	v_mul_f64 v[9:10], s[14:15], v[25:26]
	v_ashrrev_i32_e32 v3, 31, v2
	v_lshlrev_b64 v[11:12], 4, v[2:3]
	v_add_co_u32_e32 v5, vcc, v5, v11
	v_addc_co_u32_e32 v6, vcc, v6, v12, vcc
	v_fma_f64 v[7:8], s[14:15], v[23:24], v[7:8]
	v_fma_f64 v[1:2], s[12:13], v[23:24], -v[9:10]
	v_cmp_ne_u32_e32 vcc, v4, v0
	v_cndmask_b32_e32 v4, 0, v8, vcc
	v_cndmask_b32_e32 v3, 0, v7, vcc
	flat_store_dwordx4 v[5:6], v[1:4]
.LBB910_18:
	s_endpgm
	.section	.rodata,"a",@progbits
	.p2align	6, 0x0
	.amdhsa_kernel _ZL34rocblas_syrkx_herkx_general_kernelIi19rocblas_complex_numIdELi16ELi32ELi8ELb1ELb1ELc67ELc76EKPKS1_KPS1_EviT_T0_PT8_S7_lSA_S7_lS8_PT9_S7_li
		.amdhsa_group_segment_fixed_size 8192
		.amdhsa_private_segment_fixed_size 0
		.amdhsa_kernarg_size 116
		.amdhsa_user_sgpr_count 6
		.amdhsa_user_sgpr_private_segment_buffer 1
		.amdhsa_user_sgpr_dispatch_ptr 0
		.amdhsa_user_sgpr_queue_ptr 0
		.amdhsa_user_sgpr_kernarg_segment_ptr 1
		.amdhsa_user_sgpr_dispatch_id 0
		.amdhsa_user_sgpr_flat_scratch_init 0
		.amdhsa_user_sgpr_private_segment_size 0
		.amdhsa_uses_dynamic_stack 0
		.amdhsa_system_sgpr_private_segment_wavefront_offset 0
		.amdhsa_system_sgpr_workgroup_id_x 1
		.amdhsa_system_sgpr_workgroup_id_y 1
		.amdhsa_system_sgpr_workgroup_id_z 1
		.amdhsa_system_sgpr_workgroup_info 0
		.amdhsa_system_vgpr_workitem_id 1
		.amdhsa_next_free_vgpr 57
		.amdhsa_next_free_sgpr 61
		.amdhsa_reserve_vcc 1
		.amdhsa_reserve_flat_scratch 0
		.amdhsa_float_round_mode_32 0
		.amdhsa_float_round_mode_16_64 0
		.amdhsa_float_denorm_mode_32 3
		.amdhsa_float_denorm_mode_16_64 3
		.amdhsa_dx10_clamp 1
		.amdhsa_ieee_mode 1
		.amdhsa_fp16_overflow 0
		.amdhsa_exception_fp_ieee_invalid_op 0
		.amdhsa_exception_fp_denorm_src 0
		.amdhsa_exception_fp_ieee_div_zero 0
		.amdhsa_exception_fp_ieee_overflow 0
		.amdhsa_exception_fp_ieee_underflow 0
		.amdhsa_exception_fp_ieee_inexact 0
		.amdhsa_exception_int_div_zero 0
	.end_amdhsa_kernel
	.section	.text._ZL34rocblas_syrkx_herkx_general_kernelIi19rocblas_complex_numIdELi16ELi32ELi8ELb1ELb1ELc67ELc76EKPKS1_KPS1_EviT_T0_PT8_S7_lSA_S7_lS8_PT9_S7_li,"axG",@progbits,_ZL34rocblas_syrkx_herkx_general_kernelIi19rocblas_complex_numIdELi16ELi32ELi8ELb1ELb1ELc67ELc76EKPKS1_KPS1_EviT_T0_PT8_S7_lSA_S7_lS8_PT9_S7_li,comdat
.Lfunc_end910:
	.size	_ZL34rocblas_syrkx_herkx_general_kernelIi19rocblas_complex_numIdELi16ELi32ELi8ELb1ELb1ELc67ELc76EKPKS1_KPS1_EviT_T0_PT8_S7_lSA_S7_lS8_PT9_S7_li, .Lfunc_end910-_ZL34rocblas_syrkx_herkx_general_kernelIi19rocblas_complex_numIdELi16ELi32ELi8ELb1ELb1ELc67ELc76EKPKS1_KPS1_EviT_T0_PT8_S7_lSA_S7_lS8_PT9_S7_li
                                        ; -- End function
	.set _ZL34rocblas_syrkx_herkx_general_kernelIi19rocblas_complex_numIdELi16ELi32ELi8ELb1ELb1ELc67ELc76EKPKS1_KPS1_EviT_T0_PT8_S7_lSA_S7_lS8_PT9_S7_li.num_vgpr, 57
	.set _ZL34rocblas_syrkx_herkx_general_kernelIi19rocblas_complex_numIdELi16ELi32ELi8ELb1ELb1ELc67ELc76EKPKS1_KPS1_EviT_T0_PT8_S7_lSA_S7_lS8_PT9_S7_li.num_agpr, 0
	.set _ZL34rocblas_syrkx_herkx_general_kernelIi19rocblas_complex_numIdELi16ELi32ELi8ELb1ELb1ELc67ELc76EKPKS1_KPS1_EviT_T0_PT8_S7_lSA_S7_lS8_PT9_S7_li.numbered_sgpr, 23
	.set _ZL34rocblas_syrkx_herkx_general_kernelIi19rocblas_complex_numIdELi16ELi32ELi8ELb1ELb1ELc67ELc76EKPKS1_KPS1_EviT_T0_PT8_S7_lSA_S7_lS8_PT9_S7_li.num_named_barrier, 0
	.set _ZL34rocblas_syrkx_herkx_general_kernelIi19rocblas_complex_numIdELi16ELi32ELi8ELb1ELb1ELc67ELc76EKPKS1_KPS1_EviT_T0_PT8_S7_lSA_S7_lS8_PT9_S7_li.private_seg_size, 0
	.set _ZL34rocblas_syrkx_herkx_general_kernelIi19rocblas_complex_numIdELi16ELi32ELi8ELb1ELb1ELc67ELc76EKPKS1_KPS1_EviT_T0_PT8_S7_lSA_S7_lS8_PT9_S7_li.uses_vcc, 1
	.set _ZL34rocblas_syrkx_herkx_general_kernelIi19rocblas_complex_numIdELi16ELi32ELi8ELb1ELb1ELc67ELc76EKPKS1_KPS1_EviT_T0_PT8_S7_lSA_S7_lS8_PT9_S7_li.uses_flat_scratch, 0
	.set _ZL34rocblas_syrkx_herkx_general_kernelIi19rocblas_complex_numIdELi16ELi32ELi8ELb1ELb1ELc67ELc76EKPKS1_KPS1_EviT_T0_PT8_S7_lSA_S7_lS8_PT9_S7_li.has_dyn_sized_stack, 0
	.set _ZL34rocblas_syrkx_herkx_general_kernelIi19rocblas_complex_numIdELi16ELi32ELi8ELb1ELb1ELc67ELc76EKPKS1_KPS1_EviT_T0_PT8_S7_lSA_S7_lS8_PT9_S7_li.has_recursion, 0
	.set _ZL34rocblas_syrkx_herkx_general_kernelIi19rocblas_complex_numIdELi16ELi32ELi8ELb1ELb1ELc67ELc76EKPKS1_KPS1_EviT_T0_PT8_S7_lSA_S7_lS8_PT9_S7_li.has_indirect_call, 0
	.section	.AMDGPU.csdata,"",@progbits
; Kernel info:
; codeLenInByte = 3092
; TotalNumSgprs: 27
; NumVgprs: 57
; ScratchSize: 0
; MemoryBound: 1
; FloatMode: 240
; IeeeMode: 1
; LDSByteSize: 8192 bytes/workgroup (compile time only)
; SGPRBlocks: 8
; VGPRBlocks: 14
; NumSGPRsForWavesPerEU: 65
; NumVGPRsForWavesPerEU: 57
; Occupancy: 4
; WaveLimiterHint : 1
; COMPUTE_PGM_RSRC2:SCRATCH_EN: 0
; COMPUTE_PGM_RSRC2:USER_SGPR: 6
; COMPUTE_PGM_RSRC2:TRAP_HANDLER: 0
; COMPUTE_PGM_RSRC2:TGID_X_EN: 1
; COMPUTE_PGM_RSRC2:TGID_Y_EN: 1
; COMPUTE_PGM_RSRC2:TGID_Z_EN: 1
; COMPUTE_PGM_RSRC2:TIDIG_COMP_CNT: 1
	.section	.text._ZL34rocblas_syrkx_herkx_general_kernelIi19rocblas_complex_numIdELi16ELi32ELi8ELb1ELb1ELc78ELc76EKPKS1_KPS1_EviT_T0_PT8_S7_lSA_S7_lS8_PT9_S7_li,"axG",@progbits,_ZL34rocblas_syrkx_herkx_general_kernelIi19rocblas_complex_numIdELi16ELi32ELi8ELb1ELb1ELc78ELc76EKPKS1_KPS1_EviT_T0_PT8_S7_lSA_S7_lS8_PT9_S7_li,comdat
	.globl	_ZL34rocblas_syrkx_herkx_general_kernelIi19rocblas_complex_numIdELi16ELi32ELi8ELb1ELb1ELc78ELc76EKPKS1_KPS1_EviT_T0_PT8_S7_lSA_S7_lS8_PT9_S7_li ; -- Begin function _ZL34rocblas_syrkx_herkx_general_kernelIi19rocblas_complex_numIdELi16ELi32ELi8ELb1ELb1ELc78ELc76EKPKS1_KPS1_EviT_T0_PT8_S7_lSA_S7_lS8_PT9_S7_li
	.p2align	8
	.type	_ZL34rocblas_syrkx_herkx_general_kernelIi19rocblas_complex_numIdELi16ELi32ELi8ELb1ELb1ELc78ELc76EKPKS1_KPS1_EviT_T0_PT8_S7_lSA_S7_lS8_PT9_S7_li,@function
_ZL34rocblas_syrkx_herkx_general_kernelIi19rocblas_complex_numIdELi16ELi32ELi8ELb1ELb1ELc78ELc76EKPKS1_KPS1_EviT_T0_PT8_S7_lSA_S7_lS8_PT9_S7_li: ; @_ZL34rocblas_syrkx_herkx_general_kernelIi19rocblas_complex_numIdELi16ELi32ELi8ELb1ELb1ELc78ELc76EKPKS1_KPS1_EviT_T0_PT8_S7_lSA_S7_lS8_PT9_S7_li
; %bb.0:
	s_load_dwordx2 s[0:1], s[4:5], 0x18
	s_load_dwordx2 s[10:11], s[4:5], 0x58
	;; [unrolled: 1-line block ×3, first 2 shown]
	s_load_dwordx4 s[12:15], s[4:5], 0x8
	s_mov_b32 s9, 0
	s_lshl_b64 s[2:3], s[8:9], 3
	s_waitcnt lgkmcnt(0)
	s_add_u32 s10, s10, s2
	s_addc_u32 s11, s11, s3
	s_load_dwordx2 s[10:11], s[10:11], 0x0
	s_lshl_b32 s8, s6, 5
	s_lshl_b32 s20, s7, 5
	s_cmp_lt_i32 s17, 1
	s_cbranch_scc1 .LBB911_9
; %bb.1:
	s_load_dword s6, s[4:5], 0x20
	s_load_dword s18, s[4:5], 0x38
	s_load_dwordx2 s[22:23], s[4:5], 0x30
	v_lshl_add_u32 v3, v1, 4, v0
	v_and_b32_e32 v6, 31, v3
	s_waitcnt lgkmcnt(0)
	s_ashr_i32 s7, s6, 31
	s_ashr_i32 s19, s18, 31
	s_add_u32 s22, s22, s2
	s_addc_u32 s23, s23, s3
	s_add_u32 s0, s0, s2
	v_lshrrev_b32_e32 v28, 5, v3
	v_lshrrev_b32_e32 v4, 3, v3
	v_or_b32_e32 v3, s8, v6
	s_addc_u32 s1, s1, s3
	v_and_b32_e32 v27, 7, v0
	s_load_dwordx2 s[24:25], s[0:1], 0x0
	v_cmp_gt_i32_e64 s[0:1], s16, v3
	v_lshlrev_b32_e32 v3, 4, v6
	v_lshl_or_b32 v29, v28, 9, v3
	v_lshlrev_b32_e32 v3, 4, v27
	v_add_u32_e32 v2, s20, v4
	v_lshl_or_b32 v3, v4, 7, v3
	v_mad_i64_i32 v[4:5], s[2:3], v28, s6, 0
	v_mov_b32_e32 v7, 0x1000
	v_add_u32_e32 v6, s8, v6
	v_lshl_add_u32 v32, v1, 7, v7
	v_ashrrev_i32_e32 v7, 31, v6
	v_lshlrev_b64 v[4:5], 4, v[4:5]
	v_lshlrev_b64 v[6:7], 4, v[6:7]
	s_load_dwordx2 s[22:23], s[22:23], 0x0
	v_add_co_u32_e64 v6, s[2:3], v4, v6
	v_addc_co_u32_e64 v8, s[2:3], v5, v7, s[2:3]
	v_mad_i64_i32 v[4:5], s[2:3], s18, v27, 0
	v_add_u32_e32 v30, 0x1000, v3
	v_ashrrev_i32_e32 v3, 31, v2
	v_cmp_gt_i32_e32 vcc, s16, v2
	s_waitcnt lgkmcnt(0)
	v_mov_b32_e32 v9, s25
	v_add_co_u32_e64 v7, s[2:3], s24, v6
	v_lshlrev_b64 v[4:5], 4, v[4:5]
	v_lshlrev_b64 v[2:3], 4, v[2:3]
	v_addc_co_u32_e64 v8, s[2:3], v9, v8, s[2:3]
	v_add_co_u32_e64 v2, s[2:3], v4, v2
	v_addc_co_u32_e64 v3, s[2:3], v5, v3, s[2:3]
	v_mov_b32_e32 v4, s23
	v_add_co_u32_e64 v9, s[2:3], s22, v2
	v_addc_co_u32_e64 v10, s[2:3], v4, v3, s[2:3]
	s_lshl_b64 s[6:7], s[6:7], 7
	s_lshl_b64 s[2:3], s[18:19], 7
	v_mov_b32_e32 v25, 0
	v_mov_b32_e32 v23, 0
	;; [unrolled: 1-line block ×8, first 2 shown]
	v_lshlrev_b32_e32 v31, 4, v0
	v_mov_b32_e32 v26, 0
	s_xor_b64 s[18:19], s[0:1], -1
	v_mov_b32_e32 v33, s7
	v_mov_b32_e32 v34, s3
	;; [unrolled: 1-line block ×10, first 2 shown]
	s_branch .LBB911_3
.LBB911_2:                              ;   in Loop: Header=BB911_3 Depth=1
	s_or_b64 exec, exec, s[0:1]
	ds_write_b128 v30, v[3:6]
	s_waitcnt lgkmcnt(0)
	s_barrier
	ds_read_b128 v[3:6], v32
	ds_read_b128 v[35:38], v32 offset:16
	ds_read_b128 v[39:42], v32 offset:32
	;; [unrolled: 1-line block ×3, first 2 shown]
	ds_read_b128 v[47:50], v31
	v_add_co_u32_e64 v7, s[0:1], s6, v7
	v_addc_co_u32_e64 v8, s[0:1], v8, v33, s[0:1]
	s_waitcnt lgkmcnt(0)
	v_mul_f64 v[51:52], v[5:6], v[49:50]
	v_mul_f64 v[53:54], v[3:4], v[49:50]
	s_add_i32 s9, s9, 8
	v_add_co_u32_e64 v9, s[0:1], s2, v9
	v_addc_co_u32_e64 v10, s[0:1], v10, v34, s[0:1]
	s_cmp_ge_i32 s9, s17
	v_fma_f64 v[51:52], v[3:4], v[47:48], -v[51:52]
	v_fma_f64 v[53:54], v[5:6], v[47:48], v[53:54]
	v_add_f64 v[17:18], v[17:18], v[51:52]
	v_add_f64 v[21:22], v[53:54], v[21:22]
	ds_read_b128 v[51:54], v31 offset:256
	s_waitcnt lgkmcnt(0)
	v_mul_f64 v[55:56], v[5:6], v[53:54]
	v_fma_f64 v[55:56], v[3:4], v[51:52], -v[55:56]
	v_mul_f64 v[3:4], v[3:4], v[53:54]
	v_add_f64 v[55:56], v[11:12], v[55:56]
	v_fma_f64 v[3:4], v[5:6], v[51:52], v[3:4]
	v_add_f64 v[57:58], v[3:4], v[13:14]
	ds_read_b128 v[3:6], v32 offset:2048
	s_waitcnt lgkmcnt(0)
	v_mul_f64 v[11:12], v[5:6], v[49:50]
	v_mul_f64 v[13:14], v[3:4], v[49:50]
	v_fma_f64 v[11:12], v[3:4], v[47:48], -v[11:12]
	v_fma_f64 v[13:14], v[5:6], v[47:48], v[13:14]
	v_add_f64 v[47:48], v[15:16], v[11:12]
	v_mul_f64 v[11:12], v[5:6], v[53:54]
	v_add_f64 v[19:20], v[13:14], v[19:20]
	v_fma_f64 v[11:12], v[3:4], v[51:52], -v[11:12]
	v_mul_f64 v[3:4], v[3:4], v[53:54]
	v_add_f64 v[23:24], v[23:24], v[11:12]
	v_fma_f64 v[3:4], v[5:6], v[51:52], v[3:4]
	v_add_f64 v[25:26], v[3:4], v[25:26]
	ds_read_b128 v[3:6], v31 offset:512
	s_waitcnt lgkmcnt(0)
	v_mul_f64 v[11:12], v[37:38], v[5:6]
	v_mul_f64 v[13:14], v[35:36], v[5:6]
	v_fma_f64 v[11:12], v[35:36], v[3:4], -v[11:12]
	v_fma_f64 v[13:14], v[37:38], v[3:4], v[13:14]
	v_add_f64 v[49:50], v[17:18], v[11:12]
	v_add_f64 v[21:22], v[13:14], v[21:22]
	ds_read_b128 v[11:14], v31 offset:768
	s_waitcnt lgkmcnt(0)
	v_mul_f64 v[15:16], v[37:38], v[13:14]
	v_mul_f64 v[17:18], v[35:36], v[13:14]
	v_fma_f64 v[15:16], v[35:36], v[11:12], -v[15:16]
	v_fma_f64 v[17:18], v[37:38], v[11:12], v[17:18]
	v_add_f64 v[35:36], v[55:56], v[15:16]
	v_add_f64 v[37:38], v[17:18], v[57:58]
	ds_read_b128 v[15:18], v32 offset:2064
	s_waitcnt lgkmcnt(0)
	v_mul_f64 v[51:52], v[17:18], v[5:6]
	v_mul_f64 v[5:6], v[15:16], v[5:6]
	v_fma_f64 v[51:52], v[15:16], v[3:4], -v[51:52]
	v_fma_f64 v[3:4], v[17:18], v[3:4], v[5:6]
	v_mul_f64 v[5:6], v[15:16], v[13:14]
	v_add_f64 v[47:48], v[47:48], v[51:52]
	v_add_f64 v[19:20], v[3:4], v[19:20]
	v_mul_f64 v[3:4], v[17:18], v[13:14]
	v_fma_f64 v[5:6], v[17:18], v[11:12], v[5:6]
	v_fma_f64 v[3:4], v[15:16], v[11:12], -v[3:4]
	v_add_f64 v[25:26], v[5:6], v[25:26]
	v_add_f64 v[23:24], v[23:24], v[3:4]
	ds_read_b128 v[3:6], v31 offset:1024
	s_waitcnt lgkmcnt(0)
	v_mul_f64 v[11:12], v[41:42], v[5:6]
	v_mul_f64 v[13:14], v[39:40], v[5:6]
	v_fma_f64 v[11:12], v[39:40], v[3:4], -v[11:12]
	v_fma_f64 v[13:14], v[41:42], v[3:4], v[13:14]
	v_add_f64 v[49:50], v[49:50], v[11:12]
	v_add_f64 v[21:22], v[13:14], v[21:22]
	ds_read_b128 v[11:14], v31 offset:1280
	s_waitcnt lgkmcnt(0)
	v_mul_f64 v[15:16], v[41:42], v[13:14]
	v_mul_f64 v[17:18], v[39:40], v[13:14]
	v_fma_f64 v[15:16], v[39:40], v[11:12], -v[15:16]
	v_fma_f64 v[17:18], v[41:42], v[11:12], v[17:18]
	v_add_f64 v[35:36], v[35:36], v[15:16]
	v_add_f64 v[37:38], v[17:18], v[37:38]
	ds_read_b128 v[15:18], v32 offset:2080
	s_waitcnt lgkmcnt(0)
	v_mul_f64 v[39:40], v[17:18], v[5:6]
	v_mul_f64 v[5:6], v[15:16], v[5:6]
	v_fma_f64 v[39:40], v[15:16], v[3:4], -v[39:40]
	v_fma_f64 v[3:4], v[17:18], v[3:4], v[5:6]
	v_mul_f64 v[5:6], v[15:16], v[13:14]
	v_add_f64 v[39:40], v[47:48], v[39:40]
	v_add_f64 v[19:20], v[3:4], v[19:20]
	v_mul_f64 v[3:4], v[17:18], v[13:14]
	v_fma_f64 v[5:6], v[17:18], v[11:12], v[5:6]
	v_fma_f64 v[3:4], v[15:16], v[11:12], -v[3:4]
	v_add_f64 v[25:26], v[5:6], v[25:26]
	;; [unrolled: 30-line block ×3, first 2 shown]
	v_add_f64 v[23:24], v[23:24], v[3:4]
	ds_read_b128 v[3:6], v32 offset:64
	ds_read_b128 v[11:14], v31 offset:2048
	s_waitcnt lgkmcnt(0)
	v_mul_f64 v[15:16], v[5:6], v[13:14]
	v_mul_f64 v[17:18], v[3:4], v[13:14]
	v_fma_f64 v[15:16], v[3:4], v[11:12], -v[15:16]
	v_fma_f64 v[17:18], v[5:6], v[11:12], v[17:18]
	v_add_f64 v[41:42], v[41:42], v[15:16]
	v_add_f64 v[21:22], v[17:18], v[21:22]
	ds_read_b128 v[15:18], v31 offset:2304
	s_waitcnt lgkmcnt(0)
	v_mul_f64 v[43:44], v[5:6], v[17:18]
	v_fma_f64 v[43:44], v[3:4], v[15:16], -v[43:44]
	v_mul_f64 v[3:4], v[3:4], v[17:18]
	v_add_f64 v[35:36], v[35:36], v[43:44]
	v_fma_f64 v[3:4], v[5:6], v[15:16], v[3:4]
	v_add_f64 v[37:38], v[3:4], v[37:38]
	ds_read_b128 v[3:6], v32 offset:2112
	s_waitcnt lgkmcnt(0)
	v_mul_f64 v[43:44], v[5:6], v[13:14]
	v_mul_f64 v[13:14], v[3:4], v[13:14]
	v_fma_f64 v[43:44], v[3:4], v[11:12], -v[43:44]
	v_fma_f64 v[11:12], v[5:6], v[11:12], v[13:14]
	v_add_f64 v[39:40], v[39:40], v[43:44]
	v_add_f64 v[19:20], v[11:12], v[19:20]
	v_mul_f64 v[11:12], v[5:6], v[17:18]
	v_fma_f64 v[11:12], v[3:4], v[15:16], -v[11:12]
	v_mul_f64 v[3:4], v[3:4], v[17:18]
	v_add_f64 v[23:24], v[23:24], v[11:12]
	v_fma_f64 v[3:4], v[5:6], v[15:16], v[3:4]
	v_add_f64 v[25:26], v[3:4], v[25:26]
	ds_read_b128 v[3:6], v32 offset:80
	ds_read_b128 v[11:14], v31 offset:2560
	s_waitcnt lgkmcnt(0)
	v_mul_f64 v[15:16], v[5:6], v[13:14]
	v_mul_f64 v[17:18], v[3:4], v[13:14]
	v_fma_f64 v[15:16], v[3:4], v[11:12], -v[15:16]
	v_fma_f64 v[17:18], v[5:6], v[11:12], v[17:18]
	v_add_f64 v[41:42], v[41:42], v[15:16]
	v_add_f64 v[21:22], v[17:18], v[21:22]
	ds_read_b128 v[15:18], v31 offset:2816
	s_waitcnt lgkmcnt(0)
	v_mul_f64 v[43:44], v[5:6], v[17:18]
	v_fma_f64 v[43:44], v[3:4], v[15:16], -v[43:44]
	v_mul_f64 v[3:4], v[3:4], v[17:18]
	v_add_f64 v[35:36], v[35:36], v[43:44]
	v_fma_f64 v[3:4], v[5:6], v[15:16], v[3:4]
	v_add_f64 v[37:38], v[3:4], v[37:38]
	ds_read_b128 v[3:6], v32 offset:2128
	s_waitcnt lgkmcnt(0)
	v_mul_f64 v[43:44], v[5:6], v[13:14]
	v_mul_f64 v[13:14], v[3:4], v[13:14]
	v_fma_f64 v[43:44], v[3:4], v[11:12], -v[43:44]
	v_fma_f64 v[11:12], v[5:6], v[11:12], v[13:14]
	v_add_f64 v[39:40], v[39:40], v[43:44]
	v_add_f64 v[19:20], v[11:12], v[19:20]
	v_mul_f64 v[11:12], v[5:6], v[17:18]
	v_fma_f64 v[11:12], v[3:4], v[15:16], -v[11:12]
	v_mul_f64 v[3:4], v[3:4], v[17:18]
	v_add_f64 v[23:24], v[23:24], v[11:12]
	v_fma_f64 v[3:4], v[5:6], v[15:16], v[3:4]
	;; [unrolled: 31-line block ×3, first 2 shown]
	v_add_f64 v[49:50], v[3:4], v[25:26]
	ds_read_b128 v[3:6], v32 offset:112
	ds_read_b128 v[23:26], v31 offset:3584
	;; [unrolled: 1-line block ×3, first 2 shown]
	s_waitcnt lgkmcnt(1)
	v_mul_f64 v[11:12], v[5:6], v[25:26]
	v_mul_f64 v[13:14], v[3:4], v[25:26]
	v_fma_f64 v[11:12], v[3:4], v[23:24], -v[11:12]
	v_fma_f64 v[13:14], v[5:6], v[23:24], v[13:14]
	v_add_f64 v[17:18], v[41:42], v[11:12]
	s_waitcnt lgkmcnt(0)
	v_mul_f64 v[11:12], v[5:6], v[37:38]
	v_add_f64 v[21:22], v[13:14], v[21:22]
	v_fma_f64 v[11:12], v[3:4], v[35:36], -v[11:12]
	v_mul_f64 v[3:4], v[3:4], v[37:38]
	v_add_f64 v[11:12], v[43:44], v[11:12]
	v_fma_f64 v[3:4], v[5:6], v[35:36], v[3:4]
	v_add_f64 v[13:14], v[3:4], v[45:46]
	ds_read_b128 v[3:6], v32 offset:2160
	s_waitcnt lgkmcnt(0)
	s_barrier
	v_mul_f64 v[15:16], v[5:6], v[25:26]
	v_mul_f64 v[25:26], v[3:4], v[25:26]
	v_fma_f64 v[15:16], v[3:4], v[23:24], -v[15:16]
	v_fma_f64 v[23:24], v[5:6], v[23:24], v[25:26]
	v_add_f64 v[15:16], v[39:40], v[15:16]
	v_add_f64 v[19:20], v[23:24], v[19:20]
	v_mul_f64 v[23:24], v[5:6], v[37:38]
	v_fma_f64 v[23:24], v[3:4], v[35:36], -v[23:24]
	v_mul_f64 v[3:4], v[3:4], v[37:38]
	v_add_f64 v[23:24], v[47:48], v[23:24]
	v_fma_f64 v[3:4], v[5:6], v[35:36], v[3:4]
	v_add_f64 v[25:26], v[3:4], v[49:50]
	s_cbranch_scc1 .LBB911_10
.LBB911_3:                              ; =>This Inner Loop Header: Depth=1
	v_add_u32_e32 v3, s9, v28
	v_cmp_le_i32_e64 s[0:1], s17, v3
	s_or_b64 s[0:1], s[18:19], s[0:1]
	s_and_saveexec_b64 s[22:23], s[0:1]
	s_xor_b64 s[0:1], exec, s[22:23]
; %bb.4:                                ;   in Loop: Header=BB911_3 Depth=1
	v_mov_b32_e32 v3, v2
	v_mov_b32_e32 v4, v2
	v_mov_b32_e32 v5, v2
	ds_write_b128 v29, v[2:5]
; %bb.5:                                ;   in Loop: Header=BB911_3 Depth=1
	s_andn2_saveexec_b64 s[0:1], s[0:1]
	s_cbranch_execz .LBB911_7
; %bb.6:                                ;   in Loop: Header=BB911_3 Depth=1
	flat_load_dwordx4 v[3:6], v[7:8]
	s_waitcnt vmcnt(0) lgkmcnt(0)
	ds_write2_b64 v29, v[3:4], v[5:6] offset1:1
.LBB911_7:                              ;   in Loop: Header=BB911_3 Depth=1
	s_or_b64 exec, exec, s[0:1]
	v_add_u32_e32 v3, s9, v27
	v_cmp_gt_i32_e64 s[0:1], s17, v3
	v_mov_b32_e32 v3, 0
	v_mov_b32_e32 v5, 0
	;; [unrolled: 1-line block ×4, first 2 shown]
	s_and_b64 s[22:23], s[0:1], vcc
	s_and_saveexec_b64 s[0:1], s[22:23]
	s_cbranch_execz .LBB911_2
; %bb.8:                                ;   in Loop: Header=BB911_3 Depth=1
	flat_load_dwordx4 v[3:6], v[9:10]
	s_waitcnt vmcnt(0) lgkmcnt(0)
	v_xor_b32_e32 v6, 0x80000000, v6
	s_branch .LBB911_2
.LBB911_9:
	v_mov_b32_e32 v17, 0
	v_mov_b32_e32 v21, 0
	;; [unrolled: 1-line block ×16, first 2 shown]
.LBB911_10:
	s_load_dword s6, s[4:5], 0x60
	v_add_u32_e32 v4, s20, v1
	s_waitcnt lgkmcnt(0)
	v_mov_b32_e32 v3, s11
	v_add_u32_e32 v0, s8, v0
	v_mad_i64_i32 v[1:2], s[0:1], v4, s6, 0
	v_cmp_le_i32_e64 s[0:1], v4, v0
	v_lshlrev_b64 v[1:2], 4, v[1:2]
	v_add_co_u32_e32 v5, vcc, s10, v1
	v_addc_co_u32_e32 v6, vcc, v3, v2, vcc
	v_cmp_gt_i32_e32 vcc, s16, v0
	s_and_b64 s[0:1], s[0:1], vcc
	s_and_saveexec_b64 s[2:3], s[0:1]
	s_cbranch_execz .LBB911_12
; %bb.11:
	v_mul_f64 v[2:3], s[12:13], v[21:22]
	v_mul_f64 v[7:8], s[14:15], v[21:22]
	v_ashrrev_i32_e32 v1, 31, v0
	v_lshlrev_b64 v[9:10], 4, v[0:1]
	v_fma_f64 v[2:3], s[14:15], v[17:18], v[2:3]
	v_fma_f64 v[7:8], s[12:13], v[17:18], -v[7:8]
	v_add_co_u32_e64 v17, s[0:1], v5, v9
	v_addc_co_u32_e64 v18, s[0:1], v6, v10, s[0:1]
	v_cmp_ne_u32_e64 s[0:1], v4, v0
	v_cndmask_b32_e64 v10, 0, v3, s[0:1]
	v_cndmask_b32_e64 v9, 0, v2, s[0:1]
	flat_store_dwordx4 v[17:18], v[7:10]
.LBB911_12:
	s_or_b64 exec, exec, s[2:3]
	v_add_u32_e32 v2, 16, v0
	v_cmp_le_i32_e64 s[2:3], v4, v2
	v_cmp_gt_i32_e64 s[0:1], s16, v2
	s_and_b64 s[2:3], s[2:3], s[0:1]
	s_and_saveexec_b64 s[4:5], s[2:3]
	s_cbranch_execz .LBB911_14
; %bb.13:
	v_mul_f64 v[7:8], s[12:13], v[13:14]
	v_mul_f64 v[9:10], s[14:15], v[13:14]
	v_ashrrev_i32_e32 v3, 31, v2
	v_lshlrev_b64 v[17:18], 4, v[2:3]
	v_add_co_u32_e64 v5, s[2:3], v5, v17
	v_addc_co_u32_e64 v6, s[2:3], v6, v18, s[2:3]
	v_fma_f64 v[13:14], s[14:15], v[11:12], v[7:8]
	v_fma_f64 v[7:8], s[12:13], v[11:12], -v[9:10]
	v_cmp_ne_u32_e64 s[2:3], v4, v2
	v_cndmask_b32_e64 v10, 0, v14, s[2:3]
	v_cndmask_b32_e64 v9, 0, v13, s[2:3]
	flat_store_dwordx4 v[5:6], v[7:10]
.LBB911_14:
	s_or_b64 exec, exec, s[4:5]
	v_add_u32_e32 v3, 16, v4
	v_mad_i64_i32 v[5:6], s[2:3], v3, s6, 0
	v_mov_b32_e32 v1, s11
	v_lshlrev_b64 v[5:6], 4, v[5:6]
	v_add_co_u32_e64 v5, s[2:3], s10, v5
	v_addc_co_u32_e64 v6, s[2:3], v1, v6, s[2:3]
	v_cmp_le_i32_e64 s[2:3], v3, v0
	s_and_b64 s[4:5], s[2:3], vcc
	s_and_saveexec_b64 s[2:3], s[4:5]
	s_cbranch_execz .LBB911_16
; %bb.15:
	v_mul_f64 v[7:8], s[12:13], v[19:20]
	v_mul_f64 v[9:10], s[14:15], v[19:20]
	v_ashrrev_i32_e32 v1, 31, v0
	v_lshlrev_b64 v[13:14], 4, v[0:1]
	v_add_co_u32_e32 v13, vcc, v5, v13
	v_addc_co_u32_e32 v14, vcc, v6, v14, vcc
	v_fma_f64 v[11:12], s[14:15], v[15:16], v[7:8]
	v_fma_f64 v[7:8], s[12:13], v[15:16], -v[9:10]
	v_cmp_ne_u32_e32 vcc, v3, v0
	v_cndmask_b32_e32 v10, 0, v12, vcc
	v_cndmask_b32_e32 v9, 0, v11, vcc
	flat_store_dwordx4 v[13:14], v[7:10]
.LBB911_16:
	s_or_b64 exec, exec, s[2:3]
	v_cmp_le_i32_e32 vcc, v3, v2
	s_and_b64 s[0:1], vcc, s[0:1]
	s_and_saveexec_b64 s[2:3], s[0:1]
	s_cbranch_execz .LBB911_18
; %bb.17:
	v_mul_f64 v[7:8], s[12:13], v[25:26]
	v_mul_f64 v[9:10], s[14:15], v[25:26]
	v_ashrrev_i32_e32 v3, 31, v2
	v_lshlrev_b64 v[11:12], 4, v[2:3]
	v_add_co_u32_e32 v5, vcc, v5, v11
	v_addc_co_u32_e32 v6, vcc, v6, v12, vcc
	v_fma_f64 v[7:8], s[14:15], v[23:24], v[7:8]
	v_fma_f64 v[1:2], s[12:13], v[23:24], -v[9:10]
	v_cmp_ne_u32_e32 vcc, v4, v0
	v_cndmask_b32_e32 v4, 0, v8, vcc
	v_cndmask_b32_e32 v3, 0, v7, vcc
	flat_store_dwordx4 v[5:6], v[1:4]
.LBB911_18:
	s_endpgm
	.section	.rodata,"a",@progbits
	.p2align	6, 0x0
	.amdhsa_kernel _ZL34rocblas_syrkx_herkx_general_kernelIi19rocblas_complex_numIdELi16ELi32ELi8ELb1ELb1ELc78ELc76EKPKS1_KPS1_EviT_T0_PT8_S7_lSA_S7_lS8_PT9_S7_li
		.amdhsa_group_segment_fixed_size 8192
		.amdhsa_private_segment_fixed_size 0
		.amdhsa_kernarg_size 116
		.amdhsa_user_sgpr_count 6
		.amdhsa_user_sgpr_private_segment_buffer 1
		.amdhsa_user_sgpr_dispatch_ptr 0
		.amdhsa_user_sgpr_queue_ptr 0
		.amdhsa_user_sgpr_kernarg_segment_ptr 1
		.amdhsa_user_sgpr_dispatch_id 0
		.amdhsa_user_sgpr_flat_scratch_init 0
		.amdhsa_user_sgpr_private_segment_size 0
		.amdhsa_uses_dynamic_stack 0
		.amdhsa_system_sgpr_private_segment_wavefront_offset 0
		.amdhsa_system_sgpr_workgroup_id_x 1
		.amdhsa_system_sgpr_workgroup_id_y 1
		.amdhsa_system_sgpr_workgroup_id_z 1
		.amdhsa_system_sgpr_workgroup_info 0
		.amdhsa_system_vgpr_workitem_id 1
		.amdhsa_next_free_vgpr 59
		.amdhsa_next_free_sgpr 61
		.amdhsa_reserve_vcc 1
		.amdhsa_reserve_flat_scratch 0
		.amdhsa_float_round_mode_32 0
		.amdhsa_float_round_mode_16_64 0
		.amdhsa_float_denorm_mode_32 3
		.amdhsa_float_denorm_mode_16_64 3
		.amdhsa_dx10_clamp 1
		.amdhsa_ieee_mode 1
		.amdhsa_fp16_overflow 0
		.amdhsa_exception_fp_ieee_invalid_op 0
		.amdhsa_exception_fp_denorm_src 0
		.amdhsa_exception_fp_ieee_div_zero 0
		.amdhsa_exception_fp_ieee_overflow 0
		.amdhsa_exception_fp_ieee_underflow 0
		.amdhsa_exception_fp_ieee_inexact 0
		.amdhsa_exception_int_div_zero 0
	.end_amdhsa_kernel
	.section	.text._ZL34rocblas_syrkx_herkx_general_kernelIi19rocblas_complex_numIdELi16ELi32ELi8ELb1ELb1ELc78ELc76EKPKS1_KPS1_EviT_T0_PT8_S7_lSA_S7_lS8_PT9_S7_li,"axG",@progbits,_ZL34rocblas_syrkx_herkx_general_kernelIi19rocblas_complex_numIdELi16ELi32ELi8ELb1ELb1ELc78ELc76EKPKS1_KPS1_EviT_T0_PT8_S7_lSA_S7_lS8_PT9_S7_li,comdat
.Lfunc_end911:
	.size	_ZL34rocblas_syrkx_herkx_general_kernelIi19rocblas_complex_numIdELi16ELi32ELi8ELb1ELb1ELc78ELc76EKPKS1_KPS1_EviT_T0_PT8_S7_lSA_S7_lS8_PT9_S7_li, .Lfunc_end911-_ZL34rocblas_syrkx_herkx_general_kernelIi19rocblas_complex_numIdELi16ELi32ELi8ELb1ELb1ELc78ELc76EKPKS1_KPS1_EviT_T0_PT8_S7_lSA_S7_lS8_PT9_S7_li
                                        ; -- End function
	.set _ZL34rocblas_syrkx_herkx_general_kernelIi19rocblas_complex_numIdELi16ELi32ELi8ELb1ELb1ELc78ELc76EKPKS1_KPS1_EviT_T0_PT8_S7_lSA_S7_lS8_PT9_S7_li.num_vgpr, 59
	.set _ZL34rocblas_syrkx_herkx_general_kernelIi19rocblas_complex_numIdELi16ELi32ELi8ELb1ELb1ELc78ELc76EKPKS1_KPS1_EviT_T0_PT8_S7_lSA_S7_lS8_PT9_S7_li.num_agpr, 0
	.set _ZL34rocblas_syrkx_herkx_general_kernelIi19rocblas_complex_numIdELi16ELi32ELi8ELb1ELb1ELc78ELc76EKPKS1_KPS1_EviT_T0_PT8_S7_lSA_S7_lS8_PT9_S7_li.numbered_sgpr, 26
	.set _ZL34rocblas_syrkx_herkx_general_kernelIi19rocblas_complex_numIdELi16ELi32ELi8ELb1ELb1ELc78ELc76EKPKS1_KPS1_EviT_T0_PT8_S7_lSA_S7_lS8_PT9_S7_li.num_named_barrier, 0
	.set _ZL34rocblas_syrkx_herkx_general_kernelIi19rocblas_complex_numIdELi16ELi32ELi8ELb1ELb1ELc78ELc76EKPKS1_KPS1_EviT_T0_PT8_S7_lSA_S7_lS8_PT9_S7_li.private_seg_size, 0
	.set _ZL34rocblas_syrkx_herkx_general_kernelIi19rocblas_complex_numIdELi16ELi32ELi8ELb1ELb1ELc78ELc76EKPKS1_KPS1_EviT_T0_PT8_S7_lSA_S7_lS8_PT9_S7_li.uses_vcc, 1
	.set _ZL34rocblas_syrkx_herkx_general_kernelIi19rocblas_complex_numIdELi16ELi32ELi8ELb1ELb1ELc78ELc76EKPKS1_KPS1_EviT_T0_PT8_S7_lSA_S7_lS8_PT9_S7_li.uses_flat_scratch, 0
	.set _ZL34rocblas_syrkx_herkx_general_kernelIi19rocblas_complex_numIdELi16ELi32ELi8ELb1ELb1ELc78ELc76EKPKS1_KPS1_EviT_T0_PT8_S7_lSA_S7_lS8_PT9_S7_li.has_dyn_sized_stack, 0
	.set _ZL34rocblas_syrkx_herkx_general_kernelIi19rocblas_complex_numIdELi16ELi32ELi8ELb1ELb1ELc78ELc76EKPKS1_KPS1_EviT_T0_PT8_S7_lSA_S7_lS8_PT9_S7_li.has_recursion, 0
	.set _ZL34rocblas_syrkx_herkx_general_kernelIi19rocblas_complex_numIdELi16ELi32ELi8ELb1ELb1ELc78ELc76EKPKS1_KPS1_EviT_T0_PT8_S7_lSA_S7_lS8_PT9_S7_li.has_indirect_call, 0
	.section	.AMDGPU.csdata,"",@progbits
; Kernel info:
; codeLenInByte = 3152
; TotalNumSgprs: 30
; NumVgprs: 59
; ScratchSize: 0
; MemoryBound: 1
; FloatMode: 240
; IeeeMode: 1
; LDSByteSize: 8192 bytes/workgroup (compile time only)
; SGPRBlocks: 8
; VGPRBlocks: 14
; NumSGPRsForWavesPerEU: 65
; NumVGPRsForWavesPerEU: 59
; Occupancy: 4
; WaveLimiterHint : 1
; COMPUTE_PGM_RSRC2:SCRATCH_EN: 0
; COMPUTE_PGM_RSRC2:USER_SGPR: 6
; COMPUTE_PGM_RSRC2:TRAP_HANDLER: 0
; COMPUTE_PGM_RSRC2:TGID_X_EN: 1
; COMPUTE_PGM_RSRC2:TGID_Y_EN: 1
; COMPUTE_PGM_RSRC2:TGID_Z_EN: 1
; COMPUTE_PGM_RSRC2:TIDIG_COMP_CNT: 1
	.section	.text._ZL34rocblas_syrkx_herkx_general_kernelIi19rocblas_complex_numIdELi16ELi32ELi8ELb1ELb1ELc84ELc85EKPKS1_KPS1_EviT_T0_PT8_S7_lSA_S7_lS8_PT9_S7_li,"axG",@progbits,_ZL34rocblas_syrkx_herkx_general_kernelIi19rocblas_complex_numIdELi16ELi32ELi8ELb1ELb1ELc84ELc85EKPKS1_KPS1_EviT_T0_PT8_S7_lSA_S7_lS8_PT9_S7_li,comdat
	.globl	_ZL34rocblas_syrkx_herkx_general_kernelIi19rocblas_complex_numIdELi16ELi32ELi8ELb1ELb1ELc84ELc85EKPKS1_KPS1_EviT_T0_PT8_S7_lSA_S7_lS8_PT9_S7_li ; -- Begin function _ZL34rocblas_syrkx_herkx_general_kernelIi19rocblas_complex_numIdELi16ELi32ELi8ELb1ELb1ELc84ELc85EKPKS1_KPS1_EviT_T0_PT8_S7_lSA_S7_lS8_PT9_S7_li
	.p2align	8
	.type	_ZL34rocblas_syrkx_herkx_general_kernelIi19rocblas_complex_numIdELi16ELi32ELi8ELb1ELb1ELc84ELc85EKPKS1_KPS1_EviT_T0_PT8_S7_lSA_S7_lS8_PT9_S7_li,@function
_ZL34rocblas_syrkx_herkx_general_kernelIi19rocblas_complex_numIdELi16ELi32ELi8ELb1ELb1ELc84ELc85EKPKS1_KPS1_EviT_T0_PT8_S7_lSA_S7_lS8_PT9_S7_li: ; @_ZL34rocblas_syrkx_herkx_general_kernelIi19rocblas_complex_numIdELi16ELi32ELi8ELb1ELb1ELc84ELc85EKPKS1_KPS1_EviT_T0_PT8_S7_lSA_S7_lS8_PT9_S7_li
; %bb.0:
	s_load_dwordx2 s[0:1], s[4:5], 0x18
	s_load_dwordx2 s[16:17], s[4:5], 0x58
	;; [unrolled: 1-line block ×3, first 2 shown]
	s_load_dwordx4 s[12:15], s[4:5], 0x8
	s_mov_b32 s9, 0
	s_lshl_b64 s[2:3], s[8:9], 3
	s_waitcnt lgkmcnt(0)
	s_add_u32 s16, s16, s2
	s_addc_u32 s17, s17, s3
	s_load_dwordx2 s[16:17], s[16:17], 0x0
	s_lshl_b32 s8, s6, 5
	s_lshl_b32 s18, s7, 5
	s_cmp_lt_i32 s11, 1
	s_cbranch_scc1 .LBB912_11
; %bb.1:
	s_load_dword s19, s[4:5], 0x20
	s_load_dwordx2 s[6:7], s[4:5], 0x30
	s_load_dword s22, s[4:5], 0x38
	v_lshl_add_u32 v2, v1, 4, v0
	v_lshrrev_b32_e32 v27, 5, v2
	v_lshrrev_b32_e32 v3, 3, v2
	v_and_b32_e32 v2, 31, v2
	v_or_b32_e32 v5, s8, v2
	v_and_b32_e32 v26, 7, v0
	s_waitcnt lgkmcnt(0)
	s_add_u32 s6, s6, s2
	v_cmp_gt_i32_e32 vcc, s10, v5
	v_lshlrev_b32_e32 v5, 4, v2
	s_addc_u32 s7, s7, s3
	v_lshl_or_b32 v28, v27, 9, v5
	v_lshlrev_b32_e32 v5, 4, v26
	v_add_u32_e32 v4, s18, v3
	s_add_u32 s0, s0, s2
	v_lshl_or_b32 v3, v3, 7, v5
	v_add_u32_e32 v2, s8, v2
	s_addc_u32 s1, s1, s3
	v_add_u32_e32 v29, 0x1000, v3
	v_mad_i64_i32 v[2:3], s[2:3], s19, v2, 0
	v_mov_b32_e32 v6, 0x1000
	v_lshl_add_u32 v31, v1, 7, v6
	v_lshlrev_b64 v[2:3], 4, v[2:3]
	v_lshlrev_b32_e32 v6, 4, v27
	s_load_dwordx2 s[20:21], s[0:1], 0x0
	v_add_co_u32_e64 v6, s[2:3], v2, v6
	v_addc_co_u32_e64 v7, s[2:3], 0, v3, s[2:3]
	v_mad_i64_i32 v[2:3], s[2:3], s22, v4, 0
	s_load_dwordx2 s[6:7], s[6:7], 0x0
	s_waitcnt lgkmcnt(0)
	v_mov_b32_e32 v8, s21
	v_add_co_u32_e64 v6, s[2:3], s20, v6
	v_lshlrev_b64 v[2:3], 4, v[2:3]
	v_addc_co_u32_e64 v7, s[2:3], v8, v7, s[2:3]
	v_add_co_u32_e64 v2, s[2:3], v2, v5
	v_addc_co_u32_e64 v3, s[2:3], 0, v3, s[2:3]
	v_cmp_gt_i32_e64 s[0:1], s10, v4
	v_mov_b32_e32 v4, s7
	v_add_co_u32_e64 v8, s[2:3], s6, v2
	v_addc_co_u32_e64 v9, s[2:3], v4, v3, s[2:3]
	v_mov_b32_e32 v24, 0
	v_mov_b32_e32 v22, 0
	v_mov_b32_e32 v16, 0
	v_mov_b32_e32 v14, 0
	v_mov_b32_e32 v12, 0
	v_mov_b32_e32 v10, 0
	v_mov_b32_e32 v20, 0
	v_mov_b32_e32 v18, 0
	v_lshlrev_b32_e32 v30, 4, v0
	v_mov_b32_e32 v25, 0
	s_xor_b64 s[2:3], vcc, -1
	s_xor_b64 s[0:1], s[0:1], -1
	v_mov_b32_e32 v23, 0
	v_mov_b32_e32 v17, 0
	;; [unrolled: 1-line block ×8, first 2 shown]
	s_branch .LBB912_3
.LBB912_2:                              ;   in Loop: Header=BB912_3 Depth=1
	s_or_b64 exec, exec, s[6:7]
	s_waitcnt lgkmcnt(0)
	s_barrier
	ds_read_b128 v[32:35], v31
	ds_read_b128 v[36:39], v31 offset:16
	ds_read_b128 v[40:43], v31 offset:32
	;; [unrolled: 1-line block ×3, first 2 shown]
	ds_read_b128 v[48:51], v30
	v_add_co_u32_e32 v6, vcc, 0x80, v6
	v_addc_co_u32_e32 v7, vcc, 0, v7, vcc
	s_waitcnt lgkmcnt(0)
	v_mul_f64 v[3:4], v[34:35], v[50:51]
	v_mul_f64 v[52:53], v[32:33], v[50:51]
	s_add_i32 s9, s9, 8
	v_add_co_u32_e32 v8, vcc, 0x80, v8
	v_addc_co_u32_e32 v9, vcc, 0, v9, vcc
	s_cmp_ge_i32 s9, s11
	v_fma_f64 v[3:4], v[32:33], v[48:49], -v[3:4]
	v_fma_f64 v[52:53], v[34:35], v[48:49], v[52:53]
	v_add_f64 v[3:4], v[18:19], v[3:4]
	v_add_f64 v[52:53], v[52:53], v[20:21]
	ds_read_b128 v[18:21], v30 offset:256
	s_waitcnt lgkmcnt(0)
	v_mul_f64 v[54:55], v[34:35], v[20:21]
	v_fma_f64 v[54:55], v[32:33], v[18:19], -v[54:55]
	v_mul_f64 v[32:33], v[32:33], v[20:21]
	v_fma_f64 v[32:33], v[34:35], v[18:19], v[32:33]
	v_add_f64 v[34:35], v[10:11], v[54:55]
	v_add_f64 v[32:33], v[32:33], v[12:13]
	ds_read_b128 v[10:13], v31 offset:2048
	s_waitcnt lgkmcnt(0)
	v_mul_f64 v[54:55], v[12:13], v[50:51]
	v_mul_f64 v[50:51], v[10:11], v[50:51]
	v_fma_f64 v[54:55], v[10:11], v[48:49], -v[54:55]
	v_fma_f64 v[48:49], v[12:13], v[48:49], v[50:51]
	v_add_f64 v[50:51], v[14:15], v[54:55]
	v_mul_f64 v[14:15], v[12:13], v[20:21]
	v_add_f64 v[48:49], v[48:49], v[16:17]
	v_fma_f64 v[14:15], v[10:11], v[18:19], -v[14:15]
	v_mul_f64 v[10:11], v[10:11], v[20:21]
	v_add_f64 v[22:23], v[22:23], v[14:15]
	v_fma_f64 v[10:11], v[12:13], v[18:19], v[10:11]
	v_add_f64 v[24:25], v[10:11], v[24:25]
	ds_read_b128 v[10:13], v30 offset:512
	s_waitcnt lgkmcnt(0)
	v_mul_f64 v[14:15], v[38:39], v[12:13]
	v_mul_f64 v[16:17], v[36:37], v[12:13]
	v_fma_f64 v[14:15], v[36:37], v[10:11], -v[14:15]
	v_fma_f64 v[16:17], v[38:39], v[10:11], v[16:17]
	v_add_f64 v[3:4], v[3:4], v[14:15]
	v_add_f64 v[52:53], v[16:17], v[52:53]
	ds_read_b128 v[14:17], v30 offset:768
	s_waitcnt lgkmcnt(0)
	v_mul_f64 v[18:19], v[38:39], v[16:17]
	v_mul_f64 v[20:21], v[36:37], v[16:17]
	v_fma_f64 v[18:19], v[36:37], v[14:15], -v[18:19]
	v_fma_f64 v[20:21], v[38:39], v[14:15], v[20:21]
	v_add_f64 v[34:35], v[34:35], v[18:19]
	v_add_f64 v[32:33], v[20:21], v[32:33]
	ds_read_b128 v[18:21], v31 offset:2064
	s_waitcnt lgkmcnt(0)
	v_mul_f64 v[36:37], v[20:21], v[12:13]
	v_mul_f64 v[12:13], v[18:19], v[12:13]
	v_fma_f64 v[36:37], v[18:19], v[10:11], -v[36:37]
	v_fma_f64 v[10:11], v[20:21], v[10:11], v[12:13]
	v_mul_f64 v[12:13], v[18:19], v[16:17]
	v_add_f64 v[36:37], v[50:51], v[36:37]
	v_add_f64 v[38:39], v[10:11], v[48:49]
	v_mul_f64 v[10:11], v[20:21], v[16:17]
	v_fma_f64 v[12:13], v[20:21], v[14:15], v[12:13]
	v_fma_f64 v[10:11], v[18:19], v[14:15], -v[10:11]
	v_add_f64 v[24:25], v[12:13], v[24:25]
	v_add_f64 v[22:23], v[22:23], v[10:11]
	ds_read_b128 v[10:13], v30 offset:1024
	s_waitcnt lgkmcnt(0)
	v_mul_f64 v[14:15], v[42:43], v[12:13]
	v_mul_f64 v[16:17], v[40:41], v[12:13]
	v_fma_f64 v[14:15], v[40:41], v[10:11], -v[14:15]
	v_fma_f64 v[16:17], v[42:43], v[10:11], v[16:17]
	v_add_f64 v[3:4], v[3:4], v[14:15]
	v_add_f64 v[48:49], v[16:17], v[52:53]
	ds_read_b128 v[14:17], v30 offset:1280
	s_waitcnt lgkmcnt(0)
	v_mul_f64 v[18:19], v[42:43], v[16:17]
	v_mul_f64 v[20:21], v[40:41], v[16:17]
	v_fma_f64 v[18:19], v[40:41], v[14:15], -v[18:19]
	v_fma_f64 v[20:21], v[42:43], v[14:15], v[20:21]
	v_add_f64 v[34:35], v[34:35], v[18:19]
	v_add_f64 v[32:33], v[20:21], v[32:33]
	ds_read_b128 v[18:21], v31 offset:2080
	s_waitcnt lgkmcnt(0)
	v_mul_f64 v[40:41], v[20:21], v[12:13]
	v_mul_f64 v[12:13], v[18:19], v[12:13]
	v_fma_f64 v[40:41], v[18:19], v[10:11], -v[40:41]
	v_fma_f64 v[10:11], v[20:21], v[10:11], v[12:13]
	v_mul_f64 v[12:13], v[18:19], v[16:17]
	v_add_f64 v[36:37], v[36:37], v[40:41]
	v_add_f64 v[38:39], v[10:11], v[38:39]
	v_mul_f64 v[10:11], v[20:21], v[16:17]
	v_fma_f64 v[12:13], v[20:21], v[14:15], v[12:13]
	v_fma_f64 v[10:11], v[18:19], v[14:15], -v[10:11]
	v_add_f64 v[24:25], v[12:13], v[24:25]
	;; [unrolled: 30-line block ×3, first 2 shown]
	v_add_f64 v[22:23], v[22:23], v[10:11]
	ds_read_b128 v[10:13], v31 offset:64
	ds_read_b128 v[14:17], v30 offset:2048
	s_waitcnt lgkmcnt(0)
	v_mul_f64 v[18:19], v[12:13], v[16:17]
	v_mul_f64 v[20:21], v[10:11], v[16:17]
	v_fma_f64 v[18:19], v[10:11], v[14:15], -v[18:19]
	v_fma_f64 v[20:21], v[12:13], v[14:15], v[20:21]
	v_add_f64 v[3:4], v[3:4], v[18:19]
	v_add_f64 v[40:41], v[20:21], v[40:41]
	ds_read_b128 v[18:21], v30 offset:2304
	s_waitcnt lgkmcnt(0)
	v_mul_f64 v[42:43], v[12:13], v[20:21]
	v_fma_f64 v[42:43], v[10:11], v[18:19], -v[42:43]
	v_mul_f64 v[10:11], v[10:11], v[20:21]
	v_add_f64 v[34:35], v[34:35], v[42:43]
	v_fma_f64 v[10:11], v[12:13], v[18:19], v[10:11]
	v_add_f64 v[32:33], v[10:11], v[32:33]
	ds_read_b128 v[10:13], v31 offset:2112
	s_waitcnt lgkmcnt(0)
	v_mul_f64 v[42:43], v[12:13], v[16:17]
	v_mul_f64 v[16:17], v[10:11], v[16:17]
	v_fma_f64 v[42:43], v[10:11], v[14:15], -v[42:43]
	v_fma_f64 v[14:15], v[12:13], v[14:15], v[16:17]
	v_add_f64 v[36:37], v[36:37], v[42:43]
	v_add_f64 v[38:39], v[14:15], v[38:39]
	v_mul_f64 v[14:15], v[12:13], v[20:21]
	v_fma_f64 v[14:15], v[10:11], v[18:19], -v[14:15]
	v_mul_f64 v[10:11], v[10:11], v[20:21]
	v_add_f64 v[22:23], v[22:23], v[14:15]
	v_fma_f64 v[10:11], v[12:13], v[18:19], v[10:11]
	v_add_f64 v[24:25], v[10:11], v[24:25]
	ds_read_b128 v[10:13], v31 offset:80
	ds_read_b128 v[14:17], v30 offset:2560
	s_waitcnt lgkmcnt(0)
	v_mul_f64 v[18:19], v[12:13], v[16:17]
	v_mul_f64 v[20:21], v[10:11], v[16:17]
	v_fma_f64 v[18:19], v[10:11], v[14:15], -v[18:19]
	v_fma_f64 v[20:21], v[12:13], v[14:15], v[20:21]
	v_add_f64 v[3:4], v[3:4], v[18:19]
	v_add_f64 v[40:41], v[20:21], v[40:41]
	ds_read_b128 v[18:21], v30 offset:2816
	s_waitcnt lgkmcnt(0)
	v_mul_f64 v[42:43], v[12:13], v[20:21]
	v_fma_f64 v[42:43], v[10:11], v[18:19], -v[42:43]
	v_mul_f64 v[10:11], v[10:11], v[20:21]
	v_add_f64 v[34:35], v[34:35], v[42:43]
	v_fma_f64 v[10:11], v[12:13], v[18:19], v[10:11]
	v_add_f64 v[32:33], v[10:11], v[32:33]
	ds_read_b128 v[10:13], v31 offset:2128
	s_waitcnt lgkmcnt(0)
	v_mul_f64 v[42:43], v[12:13], v[16:17]
	v_mul_f64 v[16:17], v[10:11], v[16:17]
	v_fma_f64 v[42:43], v[10:11], v[14:15], -v[42:43]
	v_fma_f64 v[14:15], v[12:13], v[14:15], v[16:17]
	v_add_f64 v[36:37], v[36:37], v[42:43]
	v_add_f64 v[38:39], v[14:15], v[38:39]
	v_mul_f64 v[14:15], v[12:13], v[20:21]
	v_fma_f64 v[14:15], v[10:11], v[18:19], -v[14:15]
	v_mul_f64 v[10:11], v[10:11], v[20:21]
	v_add_f64 v[22:23], v[22:23], v[14:15]
	v_fma_f64 v[10:11], v[12:13], v[18:19], v[10:11]
	;; [unrolled: 31-line block ×3, first 2 shown]
	v_add_f64 v[44:45], v[10:11], v[24:25]
	ds_read_b128 v[10:13], v31 offset:112
	ds_read_b128 v[14:17], v30 offset:3584
	ds_read_b128 v[22:25], v30 offset:3840
	s_waitcnt lgkmcnt(1)
	v_mul_f64 v[18:19], v[12:13], v[16:17]
	v_mul_f64 v[20:21], v[10:11], v[16:17]
	v_fma_f64 v[18:19], v[10:11], v[14:15], -v[18:19]
	v_fma_f64 v[20:21], v[12:13], v[14:15], v[20:21]
	v_add_f64 v[18:19], v[3:4], v[18:19]
	s_waitcnt lgkmcnt(0)
	v_mul_f64 v[3:4], v[12:13], v[24:25]
	v_add_f64 v[20:21], v[20:21], v[40:41]
	v_fma_f64 v[3:4], v[10:11], v[22:23], -v[3:4]
	v_mul_f64 v[10:11], v[10:11], v[24:25]
	v_fma_f64 v[12:13], v[12:13], v[22:23], v[10:11]
	v_add_f64 v[10:11], v[34:35], v[3:4]
	v_add_f64 v[12:13], v[12:13], v[32:33]
	ds_read_b128 v[32:35], v31 offset:2160
	s_waitcnt lgkmcnt(0)
	s_barrier
	v_mul_f64 v[3:4], v[34:35], v[16:17]
	v_mul_f64 v[16:17], v[32:33], v[16:17]
	v_fma_f64 v[3:4], v[32:33], v[14:15], -v[3:4]
	v_fma_f64 v[16:17], v[34:35], v[14:15], v[16:17]
	v_add_f64 v[14:15], v[36:37], v[3:4]
	v_mul_f64 v[3:4], v[34:35], v[24:25]
	v_mul_f64 v[24:25], v[32:33], v[24:25]
	v_add_f64 v[16:17], v[16:17], v[38:39]
	v_fma_f64 v[3:4], v[32:33], v[22:23], -v[3:4]
	v_fma_f64 v[24:25], v[34:35], v[22:23], v[24:25]
	v_add_f64 v[22:23], v[42:43], v[3:4]
	v_add_f64 v[24:25], v[24:25], v[44:45]
	s_cbranch_scc1 .LBB912_12
.LBB912_3:                              ; =>This Inner Loop Header: Depth=1
	v_add_u32_e32 v3, s9, v27
	v_cmp_le_i32_e32 vcc, s11, v3
	s_or_b64 s[6:7], s[2:3], vcc
	s_and_saveexec_b64 s[20:21], s[6:7]
	s_xor_b64 s[6:7], exec, s[20:21]
; %bb.4:                                ;   in Loop: Header=BB912_3 Depth=1
	v_mov_b32_e32 v3, v2
	v_mov_b32_e32 v4, v2
	;; [unrolled: 1-line block ×3, first 2 shown]
	ds_write_b128 v28, v[2:5]
; %bb.5:                                ;   in Loop: Header=BB912_3 Depth=1
	s_andn2_saveexec_b64 s[6:7], s[6:7]
	s_cbranch_execz .LBB912_7
; %bb.6:                                ;   in Loop: Header=BB912_3 Depth=1
	flat_load_dwordx4 v[32:35], v[6:7]
	s_waitcnt vmcnt(0) lgkmcnt(0)
	ds_write2_b64 v28, v[32:33], v[34:35] offset1:1
.LBB912_7:                              ;   in Loop: Header=BB912_3 Depth=1
	s_or_b64 exec, exec, s[6:7]
	v_add_u32_e32 v3, s9, v26
	v_cmp_le_i32_e32 vcc, s11, v3
	s_or_b64 s[6:7], vcc, s[0:1]
	s_and_saveexec_b64 s[20:21], s[6:7]
	s_xor_b64 s[6:7], exec, s[20:21]
; %bb.8:                                ;   in Loop: Header=BB912_3 Depth=1
	v_mov_b32_e32 v3, v2
	v_mov_b32_e32 v4, v2
	;; [unrolled: 1-line block ×3, first 2 shown]
	ds_write_b128 v29, v[2:5]
; %bb.9:                                ;   in Loop: Header=BB912_3 Depth=1
	s_andn2_saveexec_b64 s[6:7], s[6:7]
	s_cbranch_execz .LBB912_2
; %bb.10:                               ;   in Loop: Header=BB912_3 Depth=1
	flat_load_dwordx4 v[32:35], v[8:9]
	s_waitcnt vmcnt(0) lgkmcnt(0)
	ds_write2_b64 v29, v[32:33], v[34:35] offset1:1
	s_branch .LBB912_2
.LBB912_11:
	v_mov_b32_e32 v18, 0
	v_mov_b32_e32 v20, 0
	;; [unrolled: 1-line block ×16, first 2 shown]
.LBB912_12:
	s_load_dword s4, s[4:5], 0x60
	v_add_u32_e32 v4, s18, v1
	s_waitcnt lgkmcnt(0)
	v_mov_b32_e32 v3, s17
	v_add_u32_e32 v0, s8, v0
	v_cmp_gt_i32_e32 vcc, s10, v4
	v_mad_i64_i32 v[1:2], s[0:1], v4, s4, 0
	v_lshlrev_b64 v[1:2], 4, v[1:2]
	v_add_co_u32_e64 v5, s[0:1], s16, v1
	v_addc_co_u32_e64 v6, s[0:1], v3, v2, s[0:1]
	v_cmp_le_i32_e64 s[0:1], v0, v4
	s_and_b64 s[0:1], vcc, s[0:1]
	s_and_saveexec_b64 s[2:3], s[0:1]
	s_cbranch_execz .LBB912_14
; %bb.13:
	v_mul_f64 v[2:3], s[12:13], v[20:21]
	v_mul_f64 v[7:8], s[14:15], v[20:21]
	v_ashrrev_i32_e32 v1, 31, v0
	v_lshlrev_b64 v[20:21], 4, v[0:1]
	v_fma_f64 v[2:3], s[14:15], v[18:19], v[2:3]
	v_fma_f64 v[18:19], s[12:13], v[18:19], -v[7:8]
	v_add_co_u32_e64 v7, s[0:1], v5, v20
	v_addc_co_u32_e64 v8, s[0:1], v6, v21, s[0:1]
	v_cmp_ne_u32_e64 s[0:1], v4, v0
	v_cndmask_b32_e64 v21, 0, v3, s[0:1]
	v_cndmask_b32_e64 v20, 0, v2, s[0:1]
	flat_store_dwordx4 v[7:8], v[18:21]
.LBB912_14:
	s_or_b64 exec, exec, s[2:3]
	v_add_u32_e32 v2, 16, v0
	v_cmp_le_i32_e64 s[0:1], v2, v4
	s_and_b64 s[2:3], vcc, s[0:1]
	s_and_saveexec_b64 s[0:1], s[2:3]
	s_cbranch_execz .LBB912_16
; %bb.15:
	v_mul_f64 v[7:8], s[12:13], v[12:13]
	v_mul_f64 v[12:13], s[14:15], v[12:13]
	v_ashrrev_i32_e32 v3, 31, v2
	v_lshlrev_b64 v[20:21], 4, v[2:3]
	v_add_co_u32_e32 v5, vcc, v5, v20
	v_addc_co_u32_e32 v6, vcc, v6, v21, vcc
	v_fma_f64 v[18:19], s[14:15], v[10:11], v[7:8]
	v_fma_f64 v[7:8], s[12:13], v[10:11], -v[12:13]
	v_cmp_ne_u32_e32 vcc, v4, v2
	v_cndmask_b32_e32 v10, 0, v19, vcc
	v_cndmask_b32_e32 v9, 0, v18, vcc
	flat_store_dwordx4 v[5:6], v[7:10]
.LBB912_16:
	s_or_b64 exec, exec, s[0:1]
	v_add_u32_e32 v3, 16, v4
	v_mad_i64_i32 v[5:6], s[0:1], v3, s4, 0
	v_mov_b32_e32 v1, s17
	v_cmp_gt_i32_e32 vcc, s10, v3
	v_lshlrev_b64 v[5:6], 4, v[5:6]
	v_add_co_u32_e64 v5, s[0:1], s16, v5
	v_addc_co_u32_e64 v6, s[0:1], v1, v6, s[0:1]
	v_cmp_le_i32_e64 s[0:1], v0, v3
	s_and_b64 s[0:1], vcc, s[0:1]
	s_and_saveexec_b64 s[2:3], s[0:1]
	s_cbranch_execz .LBB912_18
; %bb.17:
	v_mul_f64 v[7:8], s[12:13], v[16:17]
	v_mul_f64 v[9:10], s[14:15], v[16:17]
	v_ashrrev_i32_e32 v1, 31, v0
	v_lshlrev_b64 v[16:17], 4, v[0:1]
	v_add_co_u32_e64 v13, s[0:1], v5, v16
	v_fma_f64 v[11:12], s[14:15], v[14:15], v[7:8]
	v_fma_f64 v[7:8], s[12:13], v[14:15], -v[9:10]
	v_addc_co_u32_e64 v14, s[0:1], v6, v17, s[0:1]
	v_cmp_ne_u32_e64 s[0:1], v3, v0
	v_cndmask_b32_e64 v10, 0, v12, s[0:1]
	v_cndmask_b32_e64 v9, 0, v11, s[0:1]
	flat_store_dwordx4 v[13:14], v[7:10]
.LBB912_18:
	s_or_b64 exec, exec, s[2:3]
	v_cmp_le_i32_e64 s[0:1], v2, v3
	s_and_b64 s[0:1], vcc, s[0:1]
	s_and_saveexec_b64 s[2:3], s[0:1]
	s_cbranch_execz .LBB912_20
; %bb.19:
	v_mul_f64 v[7:8], s[12:13], v[24:25]
	v_mul_f64 v[9:10], s[14:15], v[24:25]
	v_ashrrev_i32_e32 v3, 31, v2
	v_lshlrev_b64 v[11:12], 4, v[2:3]
	v_add_co_u32_e32 v5, vcc, v5, v11
	v_addc_co_u32_e32 v6, vcc, v6, v12, vcc
	v_fma_f64 v[7:8], s[14:15], v[22:23], v[7:8]
	v_fma_f64 v[1:2], s[12:13], v[22:23], -v[9:10]
	v_cmp_ne_u32_e32 vcc, v4, v0
	v_cndmask_b32_e32 v4, 0, v8, vcc
	v_cndmask_b32_e32 v3, 0, v7, vcc
	flat_store_dwordx4 v[5:6], v[1:4]
.LBB912_20:
	s_endpgm
	.section	.rodata,"a",@progbits
	.p2align	6, 0x0
	.amdhsa_kernel _ZL34rocblas_syrkx_herkx_general_kernelIi19rocblas_complex_numIdELi16ELi32ELi8ELb1ELb1ELc84ELc85EKPKS1_KPS1_EviT_T0_PT8_S7_lSA_S7_lS8_PT9_S7_li
		.amdhsa_group_segment_fixed_size 8192
		.amdhsa_private_segment_fixed_size 0
		.amdhsa_kernarg_size 116
		.amdhsa_user_sgpr_count 6
		.amdhsa_user_sgpr_private_segment_buffer 1
		.amdhsa_user_sgpr_dispatch_ptr 0
		.amdhsa_user_sgpr_queue_ptr 0
		.amdhsa_user_sgpr_kernarg_segment_ptr 1
		.amdhsa_user_sgpr_dispatch_id 0
		.amdhsa_user_sgpr_flat_scratch_init 0
		.amdhsa_user_sgpr_private_segment_size 0
		.amdhsa_uses_dynamic_stack 0
		.amdhsa_system_sgpr_private_segment_wavefront_offset 0
		.amdhsa_system_sgpr_workgroup_id_x 1
		.amdhsa_system_sgpr_workgroup_id_y 1
		.amdhsa_system_sgpr_workgroup_id_z 1
		.amdhsa_system_sgpr_workgroup_info 0
		.amdhsa_system_vgpr_workitem_id 1
		.amdhsa_next_free_vgpr 56
		.amdhsa_next_free_sgpr 61
		.amdhsa_reserve_vcc 1
		.amdhsa_reserve_flat_scratch 0
		.amdhsa_float_round_mode_32 0
		.amdhsa_float_round_mode_16_64 0
		.amdhsa_float_denorm_mode_32 3
		.amdhsa_float_denorm_mode_16_64 3
		.amdhsa_dx10_clamp 1
		.amdhsa_ieee_mode 1
		.amdhsa_fp16_overflow 0
		.amdhsa_exception_fp_ieee_invalid_op 0
		.amdhsa_exception_fp_denorm_src 0
		.amdhsa_exception_fp_ieee_div_zero 0
		.amdhsa_exception_fp_ieee_overflow 0
		.amdhsa_exception_fp_ieee_underflow 0
		.amdhsa_exception_fp_ieee_inexact 0
		.amdhsa_exception_int_div_zero 0
	.end_amdhsa_kernel
	.section	.text._ZL34rocblas_syrkx_herkx_general_kernelIi19rocblas_complex_numIdELi16ELi32ELi8ELb1ELb1ELc84ELc85EKPKS1_KPS1_EviT_T0_PT8_S7_lSA_S7_lS8_PT9_S7_li,"axG",@progbits,_ZL34rocblas_syrkx_herkx_general_kernelIi19rocblas_complex_numIdELi16ELi32ELi8ELb1ELb1ELc84ELc85EKPKS1_KPS1_EviT_T0_PT8_S7_lSA_S7_lS8_PT9_S7_li,comdat
.Lfunc_end912:
	.size	_ZL34rocblas_syrkx_herkx_general_kernelIi19rocblas_complex_numIdELi16ELi32ELi8ELb1ELb1ELc84ELc85EKPKS1_KPS1_EviT_T0_PT8_S7_lSA_S7_lS8_PT9_S7_li, .Lfunc_end912-_ZL34rocblas_syrkx_herkx_general_kernelIi19rocblas_complex_numIdELi16ELi32ELi8ELb1ELb1ELc84ELc85EKPKS1_KPS1_EviT_T0_PT8_S7_lSA_S7_lS8_PT9_S7_li
                                        ; -- End function
	.set _ZL34rocblas_syrkx_herkx_general_kernelIi19rocblas_complex_numIdELi16ELi32ELi8ELb1ELb1ELc84ELc85EKPKS1_KPS1_EviT_T0_PT8_S7_lSA_S7_lS8_PT9_S7_li.num_vgpr, 56
	.set _ZL34rocblas_syrkx_herkx_general_kernelIi19rocblas_complex_numIdELi16ELi32ELi8ELb1ELb1ELc84ELc85EKPKS1_KPS1_EviT_T0_PT8_S7_lSA_S7_lS8_PT9_S7_li.num_agpr, 0
	.set _ZL34rocblas_syrkx_herkx_general_kernelIi19rocblas_complex_numIdELi16ELi32ELi8ELb1ELb1ELc84ELc85EKPKS1_KPS1_EviT_T0_PT8_S7_lSA_S7_lS8_PT9_S7_li.numbered_sgpr, 23
	.set _ZL34rocblas_syrkx_herkx_general_kernelIi19rocblas_complex_numIdELi16ELi32ELi8ELb1ELb1ELc84ELc85EKPKS1_KPS1_EviT_T0_PT8_S7_lSA_S7_lS8_PT9_S7_li.num_named_barrier, 0
	.set _ZL34rocblas_syrkx_herkx_general_kernelIi19rocblas_complex_numIdELi16ELi32ELi8ELb1ELb1ELc84ELc85EKPKS1_KPS1_EviT_T0_PT8_S7_lSA_S7_lS8_PT9_S7_li.private_seg_size, 0
	.set _ZL34rocblas_syrkx_herkx_general_kernelIi19rocblas_complex_numIdELi16ELi32ELi8ELb1ELb1ELc84ELc85EKPKS1_KPS1_EviT_T0_PT8_S7_lSA_S7_lS8_PT9_S7_li.uses_vcc, 1
	.set _ZL34rocblas_syrkx_herkx_general_kernelIi19rocblas_complex_numIdELi16ELi32ELi8ELb1ELb1ELc84ELc85EKPKS1_KPS1_EviT_T0_PT8_S7_lSA_S7_lS8_PT9_S7_li.uses_flat_scratch, 0
	.set _ZL34rocblas_syrkx_herkx_general_kernelIi19rocblas_complex_numIdELi16ELi32ELi8ELb1ELb1ELc84ELc85EKPKS1_KPS1_EviT_T0_PT8_S7_lSA_S7_lS8_PT9_S7_li.has_dyn_sized_stack, 0
	.set _ZL34rocblas_syrkx_herkx_general_kernelIi19rocblas_complex_numIdELi16ELi32ELi8ELb1ELb1ELc84ELc85EKPKS1_KPS1_EviT_T0_PT8_S7_lSA_S7_lS8_PT9_S7_li.has_recursion, 0
	.set _ZL34rocblas_syrkx_herkx_general_kernelIi19rocblas_complex_numIdELi16ELi32ELi8ELb1ELb1ELc84ELc85EKPKS1_KPS1_EviT_T0_PT8_S7_lSA_S7_lS8_PT9_S7_li.has_indirect_call, 0
	.section	.AMDGPU.csdata,"",@progbits
; Kernel info:
; codeLenInByte = 3108
; TotalNumSgprs: 27
; NumVgprs: 56
; ScratchSize: 0
; MemoryBound: 0
; FloatMode: 240
; IeeeMode: 1
; LDSByteSize: 8192 bytes/workgroup (compile time only)
; SGPRBlocks: 8
; VGPRBlocks: 13
; NumSGPRsForWavesPerEU: 65
; NumVGPRsForWavesPerEU: 56
; Occupancy: 4
; WaveLimiterHint : 1
; COMPUTE_PGM_RSRC2:SCRATCH_EN: 0
; COMPUTE_PGM_RSRC2:USER_SGPR: 6
; COMPUTE_PGM_RSRC2:TRAP_HANDLER: 0
; COMPUTE_PGM_RSRC2:TGID_X_EN: 1
; COMPUTE_PGM_RSRC2:TGID_Y_EN: 1
; COMPUTE_PGM_RSRC2:TGID_Z_EN: 1
; COMPUTE_PGM_RSRC2:TIDIG_COMP_CNT: 1
	.section	.text._ZL34rocblas_syrkx_herkx_general_kernelIi19rocblas_complex_numIdELi16ELi32ELi8ELb1ELb1ELc67ELc85EKPKS1_KPS1_EviT_T0_PT8_S7_lSA_S7_lS8_PT9_S7_li,"axG",@progbits,_ZL34rocblas_syrkx_herkx_general_kernelIi19rocblas_complex_numIdELi16ELi32ELi8ELb1ELb1ELc67ELc85EKPKS1_KPS1_EviT_T0_PT8_S7_lSA_S7_lS8_PT9_S7_li,comdat
	.globl	_ZL34rocblas_syrkx_herkx_general_kernelIi19rocblas_complex_numIdELi16ELi32ELi8ELb1ELb1ELc67ELc85EKPKS1_KPS1_EviT_T0_PT8_S7_lSA_S7_lS8_PT9_S7_li ; -- Begin function _ZL34rocblas_syrkx_herkx_general_kernelIi19rocblas_complex_numIdELi16ELi32ELi8ELb1ELb1ELc67ELc85EKPKS1_KPS1_EviT_T0_PT8_S7_lSA_S7_lS8_PT9_S7_li
	.p2align	8
	.type	_ZL34rocblas_syrkx_herkx_general_kernelIi19rocblas_complex_numIdELi16ELi32ELi8ELb1ELb1ELc67ELc85EKPKS1_KPS1_EviT_T0_PT8_S7_lSA_S7_lS8_PT9_S7_li,@function
_ZL34rocblas_syrkx_herkx_general_kernelIi19rocblas_complex_numIdELi16ELi32ELi8ELb1ELb1ELc67ELc85EKPKS1_KPS1_EviT_T0_PT8_S7_lSA_S7_lS8_PT9_S7_li: ; @_ZL34rocblas_syrkx_herkx_general_kernelIi19rocblas_complex_numIdELi16ELi32ELi8ELb1ELb1ELc67ELc85EKPKS1_KPS1_EviT_T0_PT8_S7_lSA_S7_lS8_PT9_S7_li
; %bb.0:
	s_load_dwordx2 s[0:1], s[4:5], 0x18
	s_load_dwordx2 s[16:17], s[4:5], 0x58
	;; [unrolled: 1-line block ×3, first 2 shown]
	s_load_dwordx4 s[12:15], s[4:5], 0x8
	s_mov_b32 s9, 0
	s_lshl_b64 s[2:3], s[8:9], 3
	s_waitcnt lgkmcnt(0)
	s_add_u32 s16, s16, s2
	s_addc_u32 s17, s17, s3
	s_load_dwordx2 s[16:17], s[16:17], 0x0
	s_lshl_b32 s8, s6, 5
	s_lshl_b32 s18, s7, 5
	s_cmp_lt_i32 s11, 1
	s_cbranch_scc1 .LBB913_9
; %bb.1:
	s_load_dword s19, s[4:5], 0x20
	s_load_dwordx2 s[6:7], s[4:5], 0x30
	s_load_dword s22, s[4:5], 0x38
	v_lshl_add_u32 v2, v1, 4, v0
	v_lshrrev_b32_e32 v28, 5, v2
	v_lshrrev_b32_e32 v3, 3, v2
	s_waitcnt lgkmcnt(0)
	s_add_u32 s6, s6, s2
	s_addc_u32 s7, s7, s3
	v_and_b32_e32 v2, 31, v2
	s_add_u32 s0, s0, s2
	v_or_b32_e32 v5, s8, v2
	s_addc_u32 s1, s1, s3
	v_and_b32_e32 v27, 7, v0
	s_load_dwordx2 s[20:21], s[0:1], 0x0
	v_cmp_gt_i32_e64 s[0:1], s10, v5
	v_lshlrev_b32_e32 v5, 4, v2
	v_lshl_or_b32 v29, v28, 9, v5
	v_lshlrev_b32_e32 v5, 4, v27
	v_add_u32_e32 v4, s18, v3
	v_lshl_or_b32 v3, v3, 7, v5
	v_add_u32_e32 v2, s8, v2
	v_add_u32_e32 v30, 0x1000, v3
	v_mad_i64_i32 v[2:3], s[2:3], s19, v2, 0
	v_mov_b32_e32 v6, 0x1000
	v_lshl_add_u32 v32, v1, 7, v6
	v_lshlrev_b64 v[2:3], 4, v[2:3]
	v_lshlrev_b32_e32 v6, 4, v28
	v_add_co_u32_e64 v6, s[2:3], v2, v6
	v_addc_co_u32_e64 v8, s[2:3], 0, v3, s[2:3]
	v_mad_i64_i32 v[2:3], s[2:3], s22, v4, 0
	s_load_dwordx2 s[6:7], s[6:7], 0x0
	s_waitcnt lgkmcnt(0)
	v_mov_b32_e32 v9, s21
	v_add_co_u32_e64 v7, s[2:3], s20, v6
	v_lshlrev_b64 v[2:3], 4, v[2:3]
	v_addc_co_u32_e64 v8, s[2:3], v9, v8, s[2:3]
	v_add_co_u32_e64 v2, s[2:3], v2, v5
	v_addc_co_u32_e64 v3, s[2:3], 0, v3, s[2:3]
	v_cmp_gt_i32_e32 vcc, s10, v4
	v_mov_b32_e32 v4, s7
	v_add_co_u32_e64 v9, s[2:3], s6, v2
	v_addc_co_u32_e64 v10, s[2:3], v4, v3, s[2:3]
	v_mov_b32_e32 v25, 0
	v_mov_b32_e32 v23, 0
	;; [unrolled: 1-line block ×8, first 2 shown]
	v_lshlrev_b32_e32 v31, 4, v0
	v_mov_b32_e32 v26, 0
	s_xor_b64 s[2:3], vcc, -1
	v_mov_b32_e32 v24, 0
	v_mov_b32_e32 v18, 0
	;; [unrolled: 1-line block ×8, first 2 shown]
	s_branch .LBB913_3
.LBB913_2:                              ;   in Loop: Header=BB913_3 Depth=1
	s_or_b64 exec, exec, s[6:7]
	s_waitcnt lgkmcnt(0)
	s_barrier
	ds_read_b128 v[3:6], v32
	ds_read_b128 v[33:36], v32 offset:16
	ds_read_b128 v[37:40], v32 offset:32
	;; [unrolled: 1-line block ×3, first 2 shown]
	ds_read_b128 v[45:48], v31
	v_add_co_u32_e32 v7, vcc, 0x80, v7
	v_addc_co_u32_e32 v8, vcc, 0, v8, vcc
	s_waitcnt lgkmcnt(0)
	v_mul_f64 v[49:50], v[5:6], v[47:48]
	v_mul_f64 v[51:52], v[3:4], v[47:48]
	s_add_i32 s9, s9, 8
	v_add_co_u32_e32 v9, vcc, 0x80, v9
	v_addc_co_u32_e32 v10, vcc, 0, v10, vcc
	s_cmp_ge_i32 s9, s11
	v_fma_f64 v[49:50], v[3:4], v[45:46], -v[49:50]
	v_fma_f64 v[51:52], v[5:6], v[45:46], v[51:52]
	v_add_f64 v[49:50], v[19:20], v[49:50]
	v_add_f64 v[51:52], v[51:52], v[21:22]
	ds_read_b128 v[19:22], v31 offset:256
	s_waitcnt lgkmcnt(0)
	v_mul_f64 v[53:54], v[5:6], v[21:22]
	v_fma_f64 v[53:54], v[3:4], v[19:20], -v[53:54]
	v_mul_f64 v[3:4], v[3:4], v[21:22]
	v_add_f64 v[53:54], v[11:12], v[53:54]
	v_fma_f64 v[3:4], v[5:6], v[19:20], v[3:4]
	v_add_f64 v[55:56], v[3:4], v[13:14]
	ds_read_b128 v[3:6], v32 offset:2048
	s_waitcnt lgkmcnt(0)
	v_mul_f64 v[11:12], v[5:6], v[47:48]
	v_mul_f64 v[13:14], v[3:4], v[47:48]
	v_fma_f64 v[11:12], v[3:4], v[45:46], -v[11:12]
	v_fma_f64 v[13:14], v[5:6], v[45:46], v[13:14]
	v_add_f64 v[45:46], v[15:16], v[11:12]
	v_mul_f64 v[11:12], v[5:6], v[21:22]
	v_add_f64 v[47:48], v[13:14], v[17:18]
	v_fma_f64 v[11:12], v[3:4], v[19:20], -v[11:12]
	v_mul_f64 v[3:4], v[3:4], v[21:22]
	v_fma_f64 v[3:4], v[5:6], v[19:20], v[3:4]
	v_add_f64 v[19:20], v[23:24], v[11:12]
	v_add_f64 v[21:22], v[3:4], v[25:26]
	ds_read_b128 v[3:6], v31 offset:512
	s_waitcnt lgkmcnt(0)
	v_mul_f64 v[11:12], v[35:36], v[5:6]
	v_mul_f64 v[13:14], v[33:34], v[5:6]
	v_fma_f64 v[11:12], v[33:34], v[3:4], -v[11:12]
	v_fma_f64 v[13:14], v[35:36], v[3:4], v[13:14]
	v_add_f64 v[23:24], v[49:50], v[11:12]
	v_add_f64 v[25:26], v[13:14], v[51:52]
	ds_read_b128 v[11:14], v31 offset:768
	s_waitcnt lgkmcnt(0)
	v_mul_f64 v[15:16], v[35:36], v[13:14]
	v_mul_f64 v[17:18], v[33:34], v[13:14]
	v_fma_f64 v[15:16], v[33:34], v[11:12], -v[15:16]
	;; [unrolled: 8-line block ×3, first 2 shown]
	v_fma_f64 v[3:4], v[17:18], v[3:4], v[5:6]
	v_mul_f64 v[5:6], v[15:16], v[13:14]
	v_add_f64 v[45:46], v[45:46], v[49:50]
	v_add_f64 v[47:48], v[3:4], v[47:48]
	v_mul_f64 v[3:4], v[17:18], v[13:14]
	v_fma_f64 v[5:6], v[17:18], v[11:12], v[5:6]
	v_fma_f64 v[3:4], v[15:16], v[11:12], -v[3:4]
	v_add_f64 v[21:22], v[5:6], v[21:22]
	v_add_f64 v[19:20], v[19:20], v[3:4]
	ds_read_b128 v[3:6], v31 offset:1024
	s_waitcnt lgkmcnt(0)
	v_mul_f64 v[11:12], v[39:40], v[5:6]
	v_mul_f64 v[13:14], v[37:38], v[5:6]
	v_fma_f64 v[11:12], v[37:38], v[3:4], -v[11:12]
	v_fma_f64 v[13:14], v[39:40], v[3:4], v[13:14]
	v_add_f64 v[23:24], v[23:24], v[11:12]
	v_add_f64 v[25:26], v[13:14], v[25:26]
	ds_read_b128 v[11:14], v31 offset:1280
	s_waitcnt lgkmcnt(0)
	v_mul_f64 v[15:16], v[39:40], v[13:14]
	v_mul_f64 v[17:18], v[37:38], v[13:14]
	v_fma_f64 v[15:16], v[37:38], v[11:12], -v[15:16]
	v_fma_f64 v[17:18], v[39:40], v[11:12], v[17:18]
	;; [unrolled: 8-line block ×3, first 2 shown]
	v_mul_f64 v[5:6], v[15:16], v[13:14]
	v_add_f64 v[37:38], v[45:46], v[37:38]
	v_add_f64 v[39:40], v[3:4], v[47:48]
	v_mul_f64 v[3:4], v[17:18], v[13:14]
	v_fma_f64 v[5:6], v[17:18], v[11:12], v[5:6]
	v_fma_f64 v[3:4], v[15:16], v[11:12], -v[3:4]
	v_add_f64 v[21:22], v[5:6], v[21:22]
	v_add_f64 v[19:20], v[19:20], v[3:4]
	ds_read_b128 v[3:6], v31 offset:1536
	s_waitcnt lgkmcnt(0)
	v_mul_f64 v[11:12], v[43:44], v[5:6]
	v_mul_f64 v[13:14], v[41:42], v[5:6]
	v_fma_f64 v[11:12], v[41:42], v[3:4], -v[11:12]
	v_fma_f64 v[13:14], v[43:44], v[3:4], v[13:14]
	v_add_f64 v[23:24], v[23:24], v[11:12]
	v_add_f64 v[25:26], v[13:14], v[25:26]
	ds_read_b128 v[11:14], v31 offset:1792
	s_waitcnt lgkmcnt(0)
	v_mul_f64 v[15:16], v[43:44], v[13:14]
	v_mul_f64 v[17:18], v[41:42], v[13:14]
	v_fma_f64 v[15:16], v[41:42], v[11:12], -v[15:16]
	v_fma_f64 v[17:18], v[43:44], v[11:12], v[17:18]
	;; [unrolled: 8-line block ×3, first 2 shown]
	v_mul_f64 v[5:6], v[15:16], v[13:14]
	v_add_f64 v[37:38], v[37:38], v[41:42]
	v_add_f64 v[39:40], v[3:4], v[39:40]
	v_mul_f64 v[3:4], v[17:18], v[13:14]
	v_fma_f64 v[5:6], v[17:18], v[11:12], v[5:6]
	v_fma_f64 v[3:4], v[15:16], v[11:12], -v[3:4]
	v_add_f64 v[21:22], v[5:6], v[21:22]
	v_add_f64 v[19:20], v[19:20], v[3:4]
	ds_read_b128 v[3:6], v32 offset:64
	ds_read_b128 v[11:14], v31 offset:2048
	s_waitcnt lgkmcnt(0)
	v_mul_f64 v[15:16], v[5:6], v[13:14]
	v_mul_f64 v[17:18], v[3:4], v[13:14]
	v_fma_f64 v[15:16], v[3:4], v[11:12], -v[15:16]
	v_fma_f64 v[17:18], v[5:6], v[11:12], v[17:18]
	v_add_f64 v[23:24], v[23:24], v[15:16]
	v_add_f64 v[25:26], v[17:18], v[25:26]
	ds_read_b128 v[15:18], v31 offset:2304
	s_waitcnt lgkmcnt(0)
	v_mul_f64 v[41:42], v[5:6], v[17:18]
	v_fma_f64 v[41:42], v[3:4], v[15:16], -v[41:42]
	v_mul_f64 v[3:4], v[3:4], v[17:18]
	v_add_f64 v[33:34], v[33:34], v[41:42]
	v_fma_f64 v[3:4], v[5:6], v[15:16], v[3:4]
	v_add_f64 v[35:36], v[3:4], v[35:36]
	ds_read_b128 v[3:6], v32 offset:2112
	s_waitcnt lgkmcnt(0)
	v_mul_f64 v[41:42], v[5:6], v[13:14]
	v_mul_f64 v[13:14], v[3:4], v[13:14]
	v_fma_f64 v[41:42], v[3:4], v[11:12], -v[41:42]
	v_fma_f64 v[11:12], v[5:6], v[11:12], v[13:14]
	v_add_f64 v[37:38], v[37:38], v[41:42]
	v_add_f64 v[39:40], v[11:12], v[39:40]
	v_mul_f64 v[11:12], v[5:6], v[17:18]
	v_fma_f64 v[11:12], v[3:4], v[15:16], -v[11:12]
	v_mul_f64 v[3:4], v[3:4], v[17:18]
	v_add_f64 v[19:20], v[19:20], v[11:12]
	v_fma_f64 v[3:4], v[5:6], v[15:16], v[3:4]
	v_add_f64 v[21:22], v[3:4], v[21:22]
	ds_read_b128 v[3:6], v32 offset:80
	ds_read_b128 v[11:14], v31 offset:2560
	s_waitcnt lgkmcnt(0)
	v_mul_f64 v[15:16], v[5:6], v[13:14]
	v_mul_f64 v[17:18], v[3:4], v[13:14]
	v_fma_f64 v[15:16], v[3:4], v[11:12], -v[15:16]
	v_fma_f64 v[17:18], v[5:6], v[11:12], v[17:18]
	v_add_f64 v[23:24], v[23:24], v[15:16]
	v_add_f64 v[25:26], v[17:18], v[25:26]
	ds_read_b128 v[15:18], v31 offset:2816
	s_waitcnt lgkmcnt(0)
	v_mul_f64 v[41:42], v[5:6], v[17:18]
	v_fma_f64 v[41:42], v[3:4], v[15:16], -v[41:42]
	v_mul_f64 v[3:4], v[3:4], v[17:18]
	v_add_f64 v[33:34], v[33:34], v[41:42]
	v_fma_f64 v[3:4], v[5:6], v[15:16], v[3:4]
	v_add_f64 v[35:36], v[3:4], v[35:36]
	ds_read_b128 v[3:6], v32 offset:2128
	s_waitcnt lgkmcnt(0)
	v_mul_f64 v[41:42], v[5:6], v[13:14]
	v_mul_f64 v[13:14], v[3:4], v[13:14]
	v_fma_f64 v[41:42], v[3:4], v[11:12], -v[41:42]
	v_fma_f64 v[11:12], v[5:6], v[11:12], v[13:14]
	v_add_f64 v[37:38], v[37:38], v[41:42]
	v_add_f64 v[39:40], v[11:12], v[39:40]
	v_mul_f64 v[11:12], v[5:6], v[17:18]
	v_fma_f64 v[11:12], v[3:4], v[15:16], -v[11:12]
	v_mul_f64 v[3:4], v[3:4], v[17:18]
	v_add_f64 v[19:20], v[19:20], v[11:12]
	v_fma_f64 v[3:4], v[5:6], v[15:16], v[3:4]
	;; [unrolled: 31-line block ×3, first 2 shown]
	v_add_f64 v[43:44], v[3:4], v[21:22]
	ds_read_b128 v[3:6], v32 offset:112
	ds_read_b128 v[15:18], v31 offset:3584
	s_waitcnt lgkmcnt(0)
	v_mul_f64 v[11:12], v[5:6], v[17:18]
	v_mul_f64 v[13:14], v[3:4], v[17:18]
	v_fma_f64 v[11:12], v[3:4], v[15:16], -v[11:12]
	v_fma_f64 v[13:14], v[5:6], v[15:16], v[13:14]
	v_add_f64 v[19:20], v[23:24], v[11:12]
	v_add_f64 v[21:22], v[13:14], v[25:26]
	ds_read_b128 v[23:26], v31 offset:3840
	s_waitcnt lgkmcnt(0)
	v_mul_f64 v[11:12], v[5:6], v[25:26]
	v_fma_f64 v[11:12], v[3:4], v[23:24], -v[11:12]
	v_mul_f64 v[3:4], v[3:4], v[25:26]
	v_add_f64 v[11:12], v[33:34], v[11:12]
	v_fma_f64 v[3:4], v[5:6], v[23:24], v[3:4]
	v_add_f64 v[13:14], v[3:4], v[35:36]
	ds_read_b128 v[3:6], v32 offset:2160
	s_waitcnt lgkmcnt(0)
	s_barrier
	v_mul_f64 v[33:34], v[5:6], v[17:18]
	v_mul_f64 v[17:18], v[3:4], v[17:18]
	v_fma_f64 v[33:34], v[3:4], v[15:16], -v[33:34]
	v_fma_f64 v[17:18], v[5:6], v[15:16], v[17:18]
	v_add_f64 v[15:16], v[37:38], v[33:34]
	v_mul_f64 v[33:34], v[5:6], v[25:26]
	v_add_f64 v[17:18], v[17:18], v[39:40]
	v_fma_f64 v[33:34], v[3:4], v[23:24], -v[33:34]
	v_mul_f64 v[3:4], v[3:4], v[25:26]
	v_fma_f64 v[3:4], v[5:6], v[23:24], v[3:4]
	v_add_f64 v[23:24], v[41:42], v[33:34]
	v_add_f64 v[25:26], v[3:4], v[43:44]
	s_cbranch_scc1 .LBB913_10
.LBB913_3:                              ; =>This Inner Loop Header: Depth=1
	v_add_u32_e32 v3, s9, v28
	v_cmp_gt_i32_e32 vcc, s11, v3
	v_mov_b32_e32 v3, 0
	v_mov_b32_e32 v5, 0
	;; [unrolled: 1-line block ×4, first 2 shown]
	s_and_b64 s[20:21], s[0:1], vcc
	s_and_saveexec_b64 s[6:7], s[20:21]
	s_cbranch_execz .LBB913_5
; %bb.4:                                ;   in Loop: Header=BB913_3 Depth=1
	flat_load_dwordx4 v[3:6], v[7:8]
	s_waitcnt vmcnt(0) lgkmcnt(0)
	v_xor_b32_e32 v6, 0x80000000, v6
.LBB913_5:                              ;   in Loop: Header=BB913_3 Depth=1
	s_or_b64 exec, exec, s[6:7]
	ds_write_b128 v29, v[3:6]
	v_add_u32_e32 v3, s9, v27
	v_cmp_le_i32_e32 vcc, s11, v3
	s_or_b64 s[6:7], vcc, s[2:3]
	s_and_saveexec_b64 s[20:21], s[6:7]
	s_xor_b64 s[6:7], exec, s[20:21]
; %bb.6:                                ;   in Loop: Header=BB913_3 Depth=1
	v_mov_b32_e32 v3, v2
	v_mov_b32_e32 v4, v2
	;; [unrolled: 1-line block ×3, first 2 shown]
	ds_write_b128 v30, v[2:5]
; %bb.7:                                ;   in Loop: Header=BB913_3 Depth=1
	s_andn2_saveexec_b64 s[6:7], s[6:7]
	s_cbranch_execz .LBB913_2
; %bb.8:                                ;   in Loop: Header=BB913_3 Depth=1
	flat_load_dwordx4 v[3:6], v[9:10]
	s_waitcnt vmcnt(0) lgkmcnt(0)
	ds_write2_b64 v30, v[3:4], v[5:6] offset1:1
	s_branch .LBB913_2
.LBB913_9:
	v_mov_b32_e32 v19, 0
	v_mov_b32_e32 v21, 0
	;; [unrolled: 1-line block ×16, first 2 shown]
.LBB913_10:
	s_load_dword s4, s[4:5], 0x60
	v_add_u32_e32 v4, s18, v1
	s_waitcnt lgkmcnt(0)
	v_mov_b32_e32 v3, s17
	v_add_u32_e32 v0, s8, v0
	v_cmp_gt_i32_e32 vcc, s10, v4
	v_mad_i64_i32 v[1:2], s[0:1], v4, s4, 0
	v_lshlrev_b64 v[1:2], 4, v[1:2]
	v_add_co_u32_e64 v5, s[0:1], s16, v1
	v_addc_co_u32_e64 v6, s[0:1], v3, v2, s[0:1]
	v_cmp_le_i32_e64 s[0:1], v0, v4
	s_and_b64 s[0:1], vcc, s[0:1]
	s_and_saveexec_b64 s[2:3], s[0:1]
	s_cbranch_execz .LBB913_12
; %bb.11:
	v_mul_f64 v[2:3], s[12:13], v[21:22]
	v_mul_f64 v[7:8], s[14:15], v[21:22]
	v_ashrrev_i32_e32 v1, 31, v0
	v_lshlrev_b64 v[9:10], 4, v[0:1]
	v_fma_f64 v[2:3], s[14:15], v[19:20], v[2:3]
	v_fma_f64 v[7:8], s[12:13], v[19:20], -v[7:8]
	v_add_co_u32_e64 v19, s[0:1], v5, v9
	v_addc_co_u32_e64 v20, s[0:1], v6, v10, s[0:1]
	v_cmp_ne_u32_e64 s[0:1], v4, v0
	v_cndmask_b32_e64 v10, 0, v3, s[0:1]
	v_cndmask_b32_e64 v9, 0, v2, s[0:1]
	flat_store_dwordx4 v[19:20], v[7:10]
.LBB913_12:
	s_or_b64 exec, exec, s[2:3]
	v_add_u32_e32 v2, 16, v0
	v_cmp_le_i32_e64 s[0:1], v2, v4
	s_and_b64 s[2:3], vcc, s[0:1]
	s_and_saveexec_b64 s[0:1], s[2:3]
	s_cbranch_execz .LBB913_14
; %bb.13:
	v_mul_f64 v[7:8], s[12:13], v[13:14]
	v_mul_f64 v[9:10], s[14:15], v[13:14]
	v_ashrrev_i32_e32 v3, 31, v2
	v_lshlrev_b64 v[19:20], 4, v[2:3]
	v_add_co_u32_e32 v5, vcc, v5, v19
	v_addc_co_u32_e32 v6, vcc, v6, v20, vcc
	v_fma_f64 v[13:14], s[14:15], v[11:12], v[7:8]
	v_fma_f64 v[7:8], s[12:13], v[11:12], -v[9:10]
	v_cmp_ne_u32_e32 vcc, v4, v2
	v_cndmask_b32_e32 v10, 0, v14, vcc
	v_cndmask_b32_e32 v9, 0, v13, vcc
	flat_store_dwordx4 v[5:6], v[7:10]
.LBB913_14:
	s_or_b64 exec, exec, s[0:1]
	v_add_u32_e32 v3, 16, v4
	v_mad_i64_i32 v[5:6], s[0:1], v3, s4, 0
	v_mov_b32_e32 v1, s17
	v_cmp_gt_i32_e32 vcc, s10, v3
	v_lshlrev_b64 v[5:6], 4, v[5:6]
	v_add_co_u32_e64 v5, s[0:1], s16, v5
	v_addc_co_u32_e64 v6, s[0:1], v1, v6, s[0:1]
	v_cmp_le_i32_e64 s[0:1], v0, v3
	s_and_b64 s[0:1], vcc, s[0:1]
	s_and_saveexec_b64 s[2:3], s[0:1]
	s_cbranch_execz .LBB913_16
; %bb.15:
	v_mul_f64 v[7:8], s[12:13], v[17:18]
	v_mul_f64 v[9:10], s[14:15], v[17:18]
	v_ashrrev_i32_e32 v1, 31, v0
	v_lshlrev_b64 v[13:14], 4, v[0:1]
	v_add_co_u32_e64 v13, s[0:1], v5, v13
	v_addc_co_u32_e64 v14, s[0:1], v6, v14, s[0:1]
	v_fma_f64 v[11:12], s[14:15], v[15:16], v[7:8]
	v_fma_f64 v[7:8], s[12:13], v[15:16], -v[9:10]
	v_cmp_ne_u32_e64 s[0:1], v3, v0
	v_cndmask_b32_e64 v10, 0, v12, s[0:1]
	v_cndmask_b32_e64 v9, 0, v11, s[0:1]
	flat_store_dwordx4 v[13:14], v[7:10]
.LBB913_16:
	s_or_b64 exec, exec, s[2:3]
	v_cmp_le_i32_e64 s[0:1], v2, v3
	s_and_b64 s[0:1], vcc, s[0:1]
	s_and_saveexec_b64 s[2:3], s[0:1]
	s_cbranch_execz .LBB913_18
; %bb.17:
	v_mul_f64 v[7:8], s[12:13], v[25:26]
	v_mul_f64 v[9:10], s[14:15], v[25:26]
	v_ashrrev_i32_e32 v3, 31, v2
	v_lshlrev_b64 v[11:12], 4, v[2:3]
	v_add_co_u32_e32 v5, vcc, v5, v11
	v_addc_co_u32_e32 v6, vcc, v6, v12, vcc
	v_fma_f64 v[7:8], s[14:15], v[23:24], v[7:8]
	v_fma_f64 v[1:2], s[12:13], v[23:24], -v[9:10]
	v_cmp_ne_u32_e32 vcc, v4, v0
	v_cndmask_b32_e32 v4, 0, v8, vcc
	v_cndmask_b32_e32 v3, 0, v7, vcc
	flat_store_dwordx4 v[5:6], v[1:4]
.LBB913_18:
	s_endpgm
	.section	.rodata,"a",@progbits
	.p2align	6, 0x0
	.amdhsa_kernel _ZL34rocblas_syrkx_herkx_general_kernelIi19rocblas_complex_numIdELi16ELi32ELi8ELb1ELb1ELc67ELc85EKPKS1_KPS1_EviT_T0_PT8_S7_lSA_S7_lS8_PT9_S7_li
		.amdhsa_group_segment_fixed_size 8192
		.amdhsa_private_segment_fixed_size 0
		.amdhsa_kernarg_size 116
		.amdhsa_user_sgpr_count 6
		.amdhsa_user_sgpr_private_segment_buffer 1
		.amdhsa_user_sgpr_dispatch_ptr 0
		.amdhsa_user_sgpr_queue_ptr 0
		.amdhsa_user_sgpr_kernarg_segment_ptr 1
		.amdhsa_user_sgpr_dispatch_id 0
		.amdhsa_user_sgpr_flat_scratch_init 0
		.amdhsa_user_sgpr_private_segment_size 0
		.amdhsa_uses_dynamic_stack 0
		.amdhsa_system_sgpr_private_segment_wavefront_offset 0
		.amdhsa_system_sgpr_workgroup_id_x 1
		.amdhsa_system_sgpr_workgroup_id_y 1
		.amdhsa_system_sgpr_workgroup_id_z 1
		.amdhsa_system_sgpr_workgroup_info 0
		.amdhsa_system_vgpr_workitem_id 1
		.amdhsa_next_free_vgpr 57
		.amdhsa_next_free_sgpr 61
		.amdhsa_reserve_vcc 1
		.amdhsa_reserve_flat_scratch 0
		.amdhsa_float_round_mode_32 0
		.amdhsa_float_round_mode_16_64 0
		.amdhsa_float_denorm_mode_32 3
		.amdhsa_float_denorm_mode_16_64 3
		.amdhsa_dx10_clamp 1
		.amdhsa_ieee_mode 1
		.amdhsa_fp16_overflow 0
		.amdhsa_exception_fp_ieee_invalid_op 0
		.amdhsa_exception_fp_denorm_src 0
		.amdhsa_exception_fp_ieee_div_zero 0
		.amdhsa_exception_fp_ieee_overflow 0
		.amdhsa_exception_fp_ieee_underflow 0
		.amdhsa_exception_fp_ieee_inexact 0
		.amdhsa_exception_int_div_zero 0
	.end_amdhsa_kernel
	.section	.text._ZL34rocblas_syrkx_herkx_general_kernelIi19rocblas_complex_numIdELi16ELi32ELi8ELb1ELb1ELc67ELc85EKPKS1_KPS1_EviT_T0_PT8_S7_lSA_S7_lS8_PT9_S7_li,"axG",@progbits,_ZL34rocblas_syrkx_herkx_general_kernelIi19rocblas_complex_numIdELi16ELi32ELi8ELb1ELb1ELc67ELc85EKPKS1_KPS1_EviT_T0_PT8_S7_lSA_S7_lS8_PT9_S7_li,comdat
.Lfunc_end913:
	.size	_ZL34rocblas_syrkx_herkx_general_kernelIi19rocblas_complex_numIdELi16ELi32ELi8ELb1ELb1ELc67ELc85EKPKS1_KPS1_EviT_T0_PT8_S7_lSA_S7_lS8_PT9_S7_li, .Lfunc_end913-_ZL34rocblas_syrkx_herkx_general_kernelIi19rocblas_complex_numIdELi16ELi32ELi8ELb1ELb1ELc67ELc85EKPKS1_KPS1_EviT_T0_PT8_S7_lSA_S7_lS8_PT9_S7_li
                                        ; -- End function
	.set _ZL34rocblas_syrkx_herkx_general_kernelIi19rocblas_complex_numIdELi16ELi32ELi8ELb1ELb1ELc67ELc85EKPKS1_KPS1_EviT_T0_PT8_S7_lSA_S7_lS8_PT9_S7_li.num_vgpr, 57
	.set _ZL34rocblas_syrkx_herkx_general_kernelIi19rocblas_complex_numIdELi16ELi32ELi8ELb1ELb1ELc67ELc85EKPKS1_KPS1_EviT_T0_PT8_S7_lSA_S7_lS8_PT9_S7_li.num_agpr, 0
	.set _ZL34rocblas_syrkx_herkx_general_kernelIi19rocblas_complex_numIdELi16ELi32ELi8ELb1ELb1ELc67ELc85EKPKS1_KPS1_EviT_T0_PT8_S7_lSA_S7_lS8_PT9_S7_li.numbered_sgpr, 23
	.set _ZL34rocblas_syrkx_herkx_general_kernelIi19rocblas_complex_numIdELi16ELi32ELi8ELb1ELb1ELc67ELc85EKPKS1_KPS1_EviT_T0_PT8_S7_lSA_S7_lS8_PT9_S7_li.num_named_barrier, 0
	.set _ZL34rocblas_syrkx_herkx_general_kernelIi19rocblas_complex_numIdELi16ELi32ELi8ELb1ELb1ELc67ELc85EKPKS1_KPS1_EviT_T0_PT8_S7_lSA_S7_lS8_PT9_S7_li.private_seg_size, 0
	.set _ZL34rocblas_syrkx_herkx_general_kernelIi19rocblas_complex_numIdELi16ELi32ELi8ELb1ELb1ELc67ELc85EKPKS1_KPS1_EviT_T0_PT8_S7_lSA_S7_lS8_PT9_S7_li.uses_vcc, 1
	.set _ZL34rocblas_syrkx_herkx_general_kernelIi19rocblas_complex_numIdELi16ELi32ELi8ELb1ELb1ELc67ELc85EKPKS1_KPS1_EviT_T0_PT8_S7_lSA_S7_lS8_PT9_S7_li.uses_flat_scratch, 0
	.set _ZL34rocblas_syrkx_herkx_general_kernelIi19rocblas_complex_numIdELi16ELi32ELi8ELb1ELb1ELc67ELc85EKPKS1_KPS1_EviT_T0_PT8_S7_lSA_S7_lS8_PT9_S7_li.has_dyn_sized_stack, 0
	.set _ZL34rocblas_syrkx_herkx_general_kernelIi19rocblas_complex_numIdELi16ELi32ELi8ELb1ELb1ELc67ELc85EKPKS1_KPS1_EviT_T0_PT8_S7_lSA_S7_lS8_PT9_S7_li.has_recursion, 0
	.set _ZL34rocblas_syrkx_herkx_general_kernelIi19rocblas_complex_numIdELi16ELi32ELi8ELb1ELb1ELc67ELc85EKPKS1_KPS1_EviT_T0_PT8_S7_lSA_S7_lS8_PT9_S7_li.has_indirect_call, 0
	.section	.AMDGPU.csdata,"",@progbits
; Kernel info:
; codeLenInByte = 3100
; TotalNumSgprs: 27
; NumVgprs: 57
; ScratchSize: 0
; MemoryBound: 1
; FloatMode: 240
; IeeeMode: 1
; LDSByteSize: 8192 bytes/workgroup (compile time only)
; SGPRBlocks: 8
; VGPRBlocks: 14
; NumSGPRsForWavesPerEU: 65
; NumVGPRsForWavesPerEU: 57
; Occupancy: 4
; WaveLimiterHint : 1
; COMPUTE_PGM_RSRC2:SCRATCH_EN: 0
; COMPUTE_PGM_RSRC2:USER_SGPR: 6
; COMPUTE_PGM_RSRC2:TRAP_HANDLER: 0
; COMPUTE_PGM_RSRC2:TGID_X_EN: 1
; COMPUTE_PGM_RSRC2:TGID_Y_EN: 1
; COMPUTE_PGM_RSRC2:TGID_Z_EN: 1
; COMPUTE_PGM_RSRC2:TIDIG_COMP_CNT: 1
	.section	.text._ZL34rocblas_syrkx_herkx_general_kernelIi19rocblas_complex_numIdELi16ELi32ELi8ELb1ELb1ELc78ELc85EKPKS1_KPS1_EviT_T0_PT8_S7_lSA_S7_lS8_PT9_S7_li,"axG",@progbits,_ZL34rocblas_syrkx_herkx_general_kernelIi19rocblas_complex_numIdELi16ELi32ELi8ELb1ELb1ELc78ELc85EKPKS1_KPS1_EviT_T0_PT8_S7_lSA_S7_lS8_PT9_S7_li,comdat
	.globl	_ZL34rocblas_syrkx_herkx_general_kernelIi19rocblas_complex_numIdELi16ELi32ELi8ELb1ELb1ELc78ELc85EKPKS1_KPS1_EviT_T0_PT8_S7_lSA_S7_lS8_PT9_S7_li ; -- Begin function _ZL34rocblas_syrkx_herkx_general_kernelIi19rocblas_complex_numIdELi16ELi32ELi8ELb1ELb1ELc78ELc85EKPKS1_KPS1_EviT_T0_PT8_S7_lSA_S7_lS8_PT9_S7_li
	.p2align	8
	.type	_ZL34rocblas_syrkx_herkx_general_kernelIi19rocblas_complex_numIdELi16ELi32ELi8ELb1ELb1ELc78ELc85EKPKS1_KPS1_EviT_T0_PT8_S7_lSA_S7_lS8_PT9_S7_li,@function
_ZL34rocblas_syrkx_herkx_general_kernelIi19rocblas_complex_numIdELi16ELi32ELi8ELb1ELb1ELc78ELc85EKPKS1_KPS1_EviT_T0_PT8_S7_lSA_S7_lS8_PT9_S7_li: ; @_ZL34rocblas_syrkx_herkx_general_kernelIi19rocblas_complex_numIdELi16ELi32ELi8ELb1ELb1ELc78ELc85EKPKS1_KPS1_EviT_T0_PT8_S7_lSA_S7_lS8_PT9_S7_li
; %bb.0:
	s_load_dwordx2 s[0:1], s[4:5], 0x18
	s_load_dwordx2 s[16:17], s[4:5], 0x58
	s_load_dwordx2 s[10:11], s[4:5], 0x0
	s_load_dwordx4 s[12:15], s[4:5], 0x8
	s_mov_b32 s9, 0
	s_lshl_b64 s[2:3], s[8:9], 3
	s_waitcnt lgkmcnt(0)
	s_add_u32 s16, s16, s2
	s_addc_u32 s17, s17, s3
	s_load_dwordx2 s[16:17], s[16:17], 0x0
	s_lshl_b32 s8, s6, 5
	s_lshl_b32 s20, s7, 5
	s_cmp_lt_i32 s11, 1
	s_cbranch_scc1 .LBB914_9
; %bb.1:
	s_load_dword s6, s[4:5], 0x20
	s_load_dword s18, s[4:5], 0x38
	s_load_dwordx2 s[22:23], s[4:5], 0x30
	v_lshl_add_u32 v3, v1, 4, v0
	v_and_b32_e32 v6, 31, v3
	s_waitcnt lgkmcnt(0)
	s_ashr_i32 s7, s6, 31
	s_ashr_i32 s19, s18, 31
	s_add_u32 s22, s22, s2
	s_addc_u32 s23, s23, s3
	s_add_u32 s0, s0, s2
	v_lshrrev_b32_e32 v28, 5, v3
	v_lshrrev_b32_e32 v4, 3, v3
	v_or_b32_e32 v3, s8, v6
	s_addc_u32 s1, s1, s3
	v_and_b32_e32 v27, 7, v0
	s_load_dwordx2 s[24:25], s[0:1], 0x0
	v_cmp_gt_i32_e64 s[0:1], s10, v3
	v_lshlrev_b32_e32 v3, 4, v6
	v_lshl_or_b32 v29, v28, 9, v3
	v_lshlrev_b32_e32 v3, 4, v27
	v_add_u32_e32 v2, s20, v4
	v_lshl_or_b32 v3, v4, 7, v3
	v_mad_i64_i32 v[4:5], s[2:3], v28, s6, 0
	v_mov_b32_e32 v7, 0x1000
	v_add_u32_e32 v6, s8, v6
	v_lshl_add_u32 v32, v1, 7, v7
	v_ashrrev_i32_e32 v7, 31, v6
	v_lshlrev_b64 v[4:5], 4, v[4:5]
	v_lshlrev_b64 v[6:7], 4, v[6:7]
	s_load_dwordx2 s[22:23], s[22:23], 0x0
	v_add_co_u32_e64 v6, s[2:3], v4, v6
	v_addc_co_u32_e64 v8, s[2:3], v5, v7, s[2:3]
	v_mad_i64_i32 v[4:5], s[2:3], s18, v27, 0
	v_add_u32_e32 v30, 0x1000, v3
	v_ashrrev_i32_e32 v3, 31, v2
	v_cmp_gt_i32_e32 vcc, s10, v2
	s_waitcnt lgkmcnt(0)
	v_mov_b32_e32 v9, s25
	v_add_co_u32_e64 v7, s[2:3], s24, v6
	v_lshlrev_b64 v[4:5], 4, v[4:5]
	v_lshlrev_b64 v[2:3], 4, v[2:3]
	v_addc_co_u32_e64 v8, s[2:3], v9, v8, s[2:3]
	v_add_co_u32_e64 v2, s[2:3], v4, v2
	v_addc_co_u32_e64 v3, s[2:3], v5, v3, s[2:3]
	v_mov_b32_e32 v4, s23
	v_add_co_u32_e64 v9, s[2:3], s22, v2
	v_addc_co_u32_e64 v10, s[2:3], v4, v3, s[2:3]
	s_lshl_b64 s[6:7], s[6:7], 7
	s_lshl_b64 s[2:3], s[18:19], 7
	v_mov_b32_e32 v25, 0
	v_mov_b32_e32 v23, 0
	;; [unrolled: 1-line block ×8, first 2 shown]
	v_lshlrev_b32_e32 v31, 4, v0
	v_mov_b32_e32 v26, 0
	s_xor_b64 s[18:19], s[0:1], -1
	v_mov_b32_e32 v33, s7
	v_mov_b32_e32 v34, s3
	;; [unrolled: 1-line block ×10, first 2 shown]
	s_branch .LBB914_3
.LBB914_2:                              ;   in Loop: Header=BB914_3 Depth=1
	s_or_b64 exec, exec, s[0:1]
	ds_write_b128 v30, v[3:6]
	s_waitcnt lgkmcnt(0)
	s_barrier
	ds_read_b128 v[3:6], v32
	ds_read_b128 v[35:38], v32 offset:16
	ds_read_b128 v[39:42], v32 offset:32
	;; [unrolled: 1-line block ×3, first 2 shown]
	ds_read_b128 v[47:50], v31
	v_add_co_u32_e64 v7, s[0:1], s6, v7
	v_addc_co_u32_e64 v8, s[0:1], v8, v33, s[0:1]
	s_waitcnt lgkmcnt(0)
	v_mul_f64 v[51:52], v[5:6], v[49:50]
	v_mul_f64 v[53:54], v[3:4], v[49:50]
	s_add_i32 s9, s9, 8
	v_add_co_u32_e64 v9, s[0:1], s2, v9
	v_addc_co_u32_e64 v10, s[0:1], v10, v34, s[0:1]
	s_cmp_ge_i32 s9, s11
	v_fma_f64 v[51:52], v[3:4], v[47:48], -v[51:52]
	v_fma_f64 v[53:54], v[5:6], v[47:48], v[53:54]
	v_add_f64 v[17:18], v[17:18], v[51:52]
	v_add_f64 v[21:22], v[53:54], v[21:22]
	ds_read_b128 v[51:54], v31 offset:256
	s_waitcnt lgkmcnt(0)
	v_mul_f64 v[55:56], v[5:6], v[53:54]
	v_fma_f64 v[55:56], v[3:4], v[51:52], -v[55:56]
	v_mul_f64 v[3:4], v[3:4], v[53:54]
	v_add_f64 v[55:56], v[11:12], v[55:56]
	v_fma_f64 v[3:4], v[5:6], v[51:52], v[3:4]
	v_add_f64 v[57:58], v[3:4], v[13:14]
	ds_read_b128 v[3:6], v32 offset:2048
	s_waitcnt lgkmcnt(0)
	v_mul_f64 v[11:12], v[5:6], v[49:50]
	v_mul_f64 v[13:14], v[3:4], v[49:50]
	v_fma_f64 v[11:12], v[3:4], v[47:48], -v[11:12]
	v_fma_f64 v[13:14], v[5:6], v[47:48], v[13:14]
	v_add_f64 v[47:48], v[15:16], v[11:12]
	v_mul_f64 v[11:12], v[5:6], v[53:54]
	v_add_f64 v[19:20], v[13:14], v[19:20]
	v_fma_f64 v[11:12], v[3:4], v[51:52], -v[11:12]
	v_mul_f64 v[3:4], v[3:4], v[53:54]
	v_add_f64 v[23:24], v[23:24], v[11:12]
	v_fma_f64 v[3:4], v[5:6], v[51:52], v[3:4]
	v_add_f64 v[25:26], v[3:4], v[25:26]
	ds_read_b128 v[3:6], v31 offset:512
	s_waitcnt lgkmcnt(0)
	v_mul_f64 v[11:12], v[37:38], v[5:6]
	v_mul_f64 v[13:14], v[35:36], v[5:6]
	v_fma_f64 v[11:12], v[35:36], v[3:4], -v[11:12]
	v_fma_f64 v[13:14], v[37:38], v[3:4], v[13:14]
	v_add_f64 v[49:50], v[17:18], v[11:12]
	v_add_f64 v[21:22], v[13:14], v[21:22]
	ds_read_b128 v[11:14], v31 offset:768
	s_waitcnt lgkmcnt(0)
	v_mul_f64 v[15:16], v[37:38], v[13:14]
	v_mul_f64 v[17:18], v[35:36], v[13:14]
	v_fma_f64 v[15:16], v[35:36], v[11:12], -v[15:16]
	v_fma_f64 v[17:18], v[37:38], v[11:12], v[17:18]
	v_add_f64 v[35:36], v[55:56], v[15:16]
	v_add_f64 v[37:38], v[17:18], v[57:58]
	ds_read_b128 v[15:18], v32 offset:2064
	s_waitcnt lgkmcnt(0)
	v_mul_f64 v[51:52], v[17:18], v[5:6]
	v_mul_f64 v[5:6], v[15:16], v[5:6]
	v_fma_f64 v[51:52], v[15:16], v[3:4], -v[51:52]
	v_fma_f64 v[3:4], v[17:18], v[3:4], v[5:6]
	v_mul_f64 v[5:6], v[15:16], v[13:14]
	v_add_f64 v[47:48], v[47:48], v[51:52]
	v_add_f64 v[19:20], v[3:4], v[19:20]
	v_mul_f64 v[3:4], v[17:18], v[13:14]
	v_fma_f64 v[5:6], v[17:18], v[11:12], v[5:6]
	v_fma_f64 v[3:4], v[15:16], v[11:12], -v[3:4]
	v_add_f64 v[25:26], v[5:6], v[25:26]
	v_add_f64 v[23:24], v[23:24], v[3:4]
	ds_read_b128 v[3:6], v31 offset:1024
	s_waitcnt lgkmcnt(0)
	v_mul_f64 v[11:12], v[41:42], v[5:6]
	v_mul_f64 v[13:14], v[39:40], v[5:6]
	v_fma_f64 v[11:12], v[39:40], v[3:4], -v[11:12]
	v_fma_f64 v[13:14], v[41:42], v[3:4], v[13:14]
	v_add_f64 v[49:50], v[49:50], v[11:12]
	v_add_f64 v[21:22], v[13:14], v[21:22]
	ds_read_b128 v[11:14], v31 offset:1280
	s_waitcnt lgkmcnt(0)
	v_mul_f64 v[15:16], v[41:42], v[13:14]
	v_mul_f64 v[17:18], v[39:40], v[13:14]
	v_fma_f64 v[15:16], v[39:40], v[11:12], -v[15:16]
	v_fma_f64 v[17:18], v[41:42], v[11:12], v[17:18]
	v_add_f64 v[35:36], v[35:36], v[15:16]
	v_add_f64 v[37:38], v[17:18], v[37:38]
	ds_read_b128 v[15:18], v32 offset:2080
	s_waitcnt lgkmcnt(0)
	v_mul_f64 v[39:40], v[17:18], v[5:6]
	v_mul_f64 v[5:6], v[15:16], v[5:6]
	v_fma_f64 v[39:40], v[15:16], v[3:4], -v[39:40]
	v_fma_f64 v[3:4], v[17:18], v[3:4], v[5:6]
	v_mul_f64 v[5:6], v[15:16], v[13:14]
	v_add_f64 v[39:40], v[47:48], v[39:40]
	v_add_f64 v[19:20], v[3:4], v[19:20]
	v_mul_f64 v[3:4], v[17:18], v[13:14]
	v_fma_f64 v[5:6], v[17:18], v[11:12], v[5:6]
	v_fma_f64 v[3:4], v[15:16], v[11:12], -v[3:4]
	v_add_f64 v[25:26], v[5:6], v[25:26]
	;; [unrolled: 30-line block ×3, first 2 shown]
	v_add_f64 v[23:24], v[23:24], v[3:4]
	ds_read_b128 v[3:6], v32 offset:64
	ds_read_b128 v[11:14], v31 offset:2048
	s_waitcnt lgkmcnt(0)
	v_mul_f64 v[15:16], v[5:6], v[13:14]
	v_mul_f64 v[17:18], v[3:4], v[13:14]
	v_fma_f64 v[15:16], v[3:4], v[11:12], -v[15:16]
	v_fma_f64 v[17:18], v[5:6], v[11:12], v[17:18]
	v_add_f64 v[41:42], v[41:42], v[15:16]
	v_add_f64 v[21:22], v[17:18], v[21:22]
	ds_read_b128 v[15:18], v31 offset:2304
	s_waitcnt lgkmcnt(0)
	v_mul_f64 v[43:44], v[5:6], v[17:18]
	v_fma_f64 v[43:44], v[3:4], v[15:16], -v[43:44]
	v_mul_f64 v[3:4], v[3:4], v[17:18]
	v_add_f64 v[35:36], v[35:36], v[43:44]
	v_fma_f64 v[3:4], v[5:6], v[15:16], v[3:4]
	v_add_f64 v[37:38], v[3:4], v[37:38]
	ds_read_b128 v[3:6], v32 offset:2112
	s_waitcnt lgkmcnt(0)
	v_mul_f64 v[43:44], v[5:6], v[13:14]
	v_mul_f64 v[13:14], v[3:4], v[13:14]
	v_fma_f64 v[43:44], v[3:4], v[11:12], -v[43:44]
	v_fma_f64 v[11:12], v[5:6], v[11:12], v[13:14]
	v_add_f64 v[39:40], v[39:40], v[43:44]
	v_add_f64 v[19:20], v[11:12], v[19:20]
	v_mul_f64 v[11:12], v[5:6], v[17:18]
	v_fma_f64 v[11:12], v[3:4], v[15:16], -v[11:12]
	v_mul_f64 v[3:4], v[3:4], v[17:18]
	v_add_f64 v[23:24], v[23:24], v[11:12]
	v_fma_f64 v[3:4], v[5:6], v[15:16], v[3:4]
	v_add_f64 v[25:26], v[3:4], v[25:26]
	ds_read_b128 v[3:6], v32 offset:80
	ds_read_b128 v[11:14], v31 offset:2560
	s_waitcnt lgkmcnt(0)
	v_mul_f64 v[15:16], v[5:6], v[13:14]
	v_mul_f64 v[17:18], v[3:4], v[13:14]
	v_fma_f64 v[15:16], v[3:4], v[11:12], -v[15:16]
	v_fma_f64 v[17:18], v[5:6], v[11:12], v[17:18]
	v_add_f64 v[41:42], v[41:42], v[15:16]
	v_add_f64 v[21:22], v[17:18], v[21:22]
	ds_read_b128 v[15:18], v31 offset:2816
	s_waitcnt lgkmcnt(0)
	v_mul_f64 v[43:44], v[5:6], v[17:18]
	v_fma_f64 v[43:44], v[3:4], v[15:16], -v[43:44]
	v_mul_f64 v[3:4], v[3:4], v[17:18]
	v_add_f64 v[35:36], v[35:36], v[43:44]
	v_fma_f64 v[3:4], v[5:6], v[15:16], v[3:4]
	v_add_f64 v[37:38], v[3:4], v[37:38]
	ds_read_b128 v[3:6], v32 offset:2128
	s_waitcnt lgkmcnt(0)
	v_mul_f64 v[43:44], v[5:6], v[13:14]
	v_mul_f64 v[13:14], v[3:4], v[13:14]
	v_fma_f64 v[43:44], v[3:4], v[11:12], -v[43:44]
	v_fma_f64 v[11:12], v[5:6], v[11:12], v[13:14]
	v_add_f64 v[39:40], v[39:40], v[43:44]
	v_add_f64 v[19:20], v[11:12], v[19:20]
	v_mul_f64 v[11:12], v[5:6], v[17:18]
	v_fma_f64 v[11:12], v[3:4], v[15:16], -v[11:12]
	v_mul_f64 v[3:4], v[3:4], v[17:18]
	v_add_f64 v[23:24], v[23:24], v[11:12]
	v_fma_f64 v[3:4], v[5:6], v[15:16], v[3:4]
	;; [unrolled: 31-line block ×3, first 2 shown]
	v_add_f64 v[49:50], v[3:4], v[25:26]
	ds_read_b128 v[3:6], v32 offset:112
	ds_read_b128 v[23:26], v31 offset:3584
	ds_read_b128 v[35:38], v31 offset:3840
	s_waitcnt lgkmcnt(1)
	v_mul_f64 v[11:12], v[5:6], v[25:26]
	v_mul_f64 v[13:14], v[3:4], v[25:26]
	v_fma_f64 v[11:12], v[3:4], v[23:24], -v[11:12]
	v_fma_f64 v[13:14], v[5:6], v[23:24], v[13:14]
	v_add_f64 v[17:18], v[41:42], v[11:12]
	s_waitcnt lgkmcnt(0)
	v_mul_f64 v[11:12], v[5:6], v[37:38]
	v_add_f64 v[21:22], v[13:14], v[21:22]
	v_fma_f64 v[11:12], v[3:4], v[35:36], -v[11:12]
	v_mul_f64 v[3:4], v[3:4], v[37:38]
	v_add_f64 v[11:12], v[43:44], v[11:12]
	v_fma_f64 v[3:4], v[5:6], v[35:36], v[3:4]
	v_add_f64 v[13:14], v[3:4], v[45:46]
	ds_read_b128 v[3:6], v32 offset:2160
	s_waitcnt lgkmcnt(0)
	s_barrier
	v_mul_f64 v[15:16], v[5:6], v[25:26]
	v_mul_f64 v[25:26], v[3:4], v[25:26]
	v_fma_f64 v[15:16], v[3:4], v[23:24], -v[15:16]
	v_fma_f64 v[23:24], v[5:6], v[23:24], v[25:26]
	v_add_f64 v[15:16], v[39:40], v[15:16]
	v_add_f64 v[19:20], v[23:24], v[19:20]
	v_mul_f64 v[23:24], v[5:6], v[37:38]
	v_fma_f64 v[23:24], v[3:4], v[35:36], -v[23:24]
	v_mul_f64 v[3:4], v[3:4], v[37:38]
	v_add_f64 v[23:24], v[47:48], v[23:24]
	v_fma_f64 v[3:4], v[5:6], v[35:36], v[3:4]
	v_add_f64 v[25:26], v[3:4], v[49:50]
	s_cbranch_scc1 .LBB914_10
.LBB914_3:                              ; =>This Inner Loop Header: Depth=1
	v_add_u32_e32 v3, s9, v28
	v_cmp_le_i32_e64 s[0:1], s11, v3
	s_or_b64 s[0:1], s[18:19], s[0:1]
	s_and_saveexec_b64 s[22:23], s[0:1]
	s_xor_b64 s[0:1], exec, s[22:23]
; %bb.4:                                ;   in Loop: Header=BB914_3 Depth=1
	v_mov_b32_e32 v3, v2
	v_mov_b32_e32 v4, v2
	;; [unrolled: 1-line block ×3, first 2 shown]
	ds_write_b128 v29, v[2:5]
; %bb.5:                                ;   in Loop: Header=BB914_3 Depth=1
	s_andn2_saveexec_b64 s[0:1], s[0:1]
	s_cbranch_execz .LBB914_7
; %bb.6:                                ;   in Loop: Header=BB914_3 Depth=1
	flat_load_dwordx4 v[3:6], v[7:8]
	s_waitcnt vmcnt(0) lgkmcnt(0)
	ds_write2_b64 v29, v[3:4], v[5:6] offset1:1
.LBB914_7:                              ;   in Loop: Header=BB914_3 Depth=1
	s_or_b64 exec, exec, s[0:1]
	v_add_u32_e32 v3, s9, v27
	v_cmp_gt_i32_e64 s[0:1], s11, v3
	v_mov_b32_e32 v3, 0
	v_mov_b32_e32 v5, 0
	;; [unrolled: 1-line block ×4, first 2 shown]
	s_and_b64 s[22:23], s[0:1], vcc
	s_and_saveexec_b64 s[0:1], s[22:23]
	s_cbranch_execz .LBB914_2
; %bb.8:                                ;   in Loop: Header=BB914_3 Depth=1
	flat_load_dwordx4 v[3:6], v[9:10]
	s_waitcnt vmcnt(0) lgkmcnt(0)
	v_xor_b32_e32 v6, 0x80000000, v6
	s_branch .LBB914_2
.LBB914_9:
	v_mov_b32_e32 v17, 0
	v_mov_b32_e32 v21, 0
	;; [unrolled: 1-line block ×16, first 2 shown]
.LBB914_10:
	s_load_dword s4, s[4:5], 0x60
	v_add_u32_e32 v4, s20, v1
	s_waitcnt lgkmcnt(0)
	v_mov_b32_e32 v3, s17
	v_add_u32_e32 v0, s8, v0
	v_cmp_gt_i32_e32 vcc, s10, v4
	v_mad_i64_i32 v[1:2], s[0:1], v4, s4, 0
	v_lshlrev_b64 v[1:2], 4, v[1:2]
	v_add_co_u32_e64 v5, s[0:1], s16, v1
	v_addc_co_u32_e64 v6, s[0:1], v3, v2, s[0:1]
	v_cmp_le_i32_e64 s[0:1], v0, v4
	s_and_b64 s[0:1], vcc, s[0:1]
	s_and_saveexec_b64 s[2:3], s[0:1]
	s_cbranch_execz .LBB914_12
; %bb.11:
	v_mul_f64 v[2:3], s[12:13], v[21:22]
	v_mul_f64 v[7:8], s[14:15], v[21:22]
	v_ashrrev_i32_e32 v1, 31, v0
	v_lshlrev_b64 v[9:10], 4, v[0:1]
	v_fma_f64 v[2:3], s[14:15], v[17:18], v[2:3]
	v_fma_f64 v[7:8], s[12:13], v[17:18], -v[7:8]
	v_add_co_u32_e64 v17, s[0:1], v5, v9
	v_addc_co_u32_e64 v18, s[0:1], v6, v10, s[0:1]
	v_cmp_ne_u32_e64 s[0:1], v4, v0
	v_cndmask_b32_e64 v10, 0, v3, s[0:1]
	v_cndmask_b32_e64 v9, 0, v2, s[0:1]
	flat_store_dwordx4 v[17:18], v[7:10]
.LBB914_12:
	s_or_b64 exec, exec, s[2:3]
	v_add_u32_e32 v2, 16, v0
	v_cmp_le_i32_e64 s[0:1], v2, v4
	s_and_b64 s[2:3], vcc, s[0:1]
	s_and_saveexec_b64 s[0:1], s[2:3]
	s_cbranch_execz .LBB914_14
; %bb.13:
	v_mul_f64 v[7:8], s[12:13], v[13:14]
	v_mul_f64 v[9:10], s[14:15], v[13:14]
	v_ashrrev_i32_e32 v3, 31, v2
	v_lshlrev_b64 v[17:18], 4, v[2:3]
	v_add_co_u32_e32 v5, vcc, v5, v17
	v_addc_co_u32_e32 v6, vcc, v6, v18, vcc
	v_fma_f64 v[13:14], s[14:15], v[11:12], v[7:8]
	v_fma_f64 v[7:8], s[12:13], v[11:12], -v[9:10]
	v_cmp_ne_u32_e32 vcc, v4, v2
	v_cndmask_b32_e32 v10, 0, v14, vcc
	v_cndmask_b32_e32 v9, 0, v13, vcc
	flat_store_dwordx4 v[5:6], v[7:10]
.LBB914_14:
	s_or_b64 exec, exec, s[0:1]
	v_add_u32_e32 v3, 16, v4
	v_mad_i64_i32 v[5:6], s[0:1], v3, s4, 0
	v_mov_b32_e32 v1, s17
	v_cmp_gt_i32_e32 vcc, s10, v3
	v_lshlrev_b64 v[5:6], 4, v[5:6]
	v_add_co_u32_e64 v5, s[0:1], s16, v5
	v_addc_co_u32_e64 v6, s[0:1], v1, v6, s[0:1]
	v_cmp_le_i32_e64 s[0:1], v0, v3
	s_and_b64 s[0:1], vcc, s[0:1]
	s_and_saveexec_b64 s[2:3], s[0:1]
	s_cbranch_execz .LBB914_16
; %bb.15:
	v_mul_f64 v[7:8], s[12:13], v[19:20]
	v_mul_f64 v[9:10], s[14:15], v[19:20]
	v_ashrrev_i32_e32 v1, 31, v0
	v_lshlrev_b64 v[13:14], 4, v[0:1]
	v_add_co_u32_e64 v13, s[0:1], v5, v13
	v_addc_co_u32_e64 v14, s[0:1], v6, v14, s[0:1]
	v_fma_f64 v[11:12], s[14:15], v[15:16], v[7:8]
	v_fma_f64 v[7:8], s[12:13], v[15:16], -v[9:10]
	v_cmp_ne_u32_e64 s[0:1], v3, v0
	v_cndmask_b32_e64 v10, 0, v12, s[0:1]
	v_cndmask_b32_e64 v9, 0, v11, s[0:1]
	flat_store_dwordx4 v[13:14], v[7:10]
.LBB914_16:
	s_or_b64 exec, exec, s[2:3]
	v_cmp_le_i32_e64 s[0:1], v2, v3
	s_and_b64 s[0:1], vcc, s[0:1]
	s_and_saveexec_b64 s[2:3], s[0:1]
	s_cbranch_execz .LBB914_18
; %bb.17:
	v_mul_f64 v[7:8], s[12:13], v[25:26]
	v_mul_f64 v[9:10], s[14:15], v[25:26]
	v_ashrrev_i32_e32 v3, 31, v2
	v_lshlrev_b64 v[11:12], 4, v[2:3]
	v_add_co_u32_e32 v5, vcc, v5, v11
	v_addc_co_u32_e32 v6, vcc, v6, v12, vcc
	v_fma_f64 v[7:8], s[14:15], v[23:24], v[7:8]
	v_fma_f64 v[1:2], s[12:13], v[23:24], -v[9:10]
	v_cmp_ne_u32_e32 vcc, v4, v0
	v_cndmask_b32_e32 v4, 0, v8, vcc
	v_cndmask_b32_e32 v3, 0, v7, vcc
	flat_store_dwordx4 v[5:6], v[1:4]
.LBB914_18:
	s_endpgm
	.section	.rodata,"a",@progbits
	.p2align	6, 0x0
	.amdhsa_kernel _ZL34rocblas_syrkx_herkx_general_kernelIi19rocblas_complex_numIdELi16ELi32ELi8ELb1ELb1ELc78ELc85EKPKS1_KPS1_EviT_T0_PT8_S7_lSA_S7_lS8_PT9_S7_li
		.amdhsa_group_segment_fixed_size 8192
		.amdhsa_private_segment_fixed_size 0
		.amdhsa_kernarg_size 116
		.amdhsa_user_sgpr_count 6
		.amdhsa_user_sgpr_private_segment_buffer 1
		.amdhsa_user_sgpr_dispatch_ptr 0
		.amdhsa_user_sgpr_queue_ptr 0
		.amdhsa_user_sgpr_kernarg_segment_ptr 1
		.amdhsa_user_sgpr_dispatch_id 0
		.amdhsa_user_sgpr_flat_scratch_init 0
		.amdhsa_user_sgpr_private_segment_size 0
		.amdhsa_uses_dynamic_stack 0
		.amdhsa_system_sgpr_private_segment_wavefront_offset 0
		.amdhsa_system_sgpr_workgroup_id_x 1
		.amdhsa_system_sgpr_workgroup_id_y 1
		.amdhsa_system_sgpr_workgroup_id_z 1
		.amdhsa_system_sgpr_workgroup_info 0
		.amdhsa_system_vgpr_workitem_id 1
		.amdhsa_next_free_vgpr 59
		.amdhsa_next_free_sgpr 61
		.amdhsa_reserve_vcc 1
		.amdhsa_reserve_flat_scratch 0
		.amdhsa_float_round_mode_32 0
		.amdhsa_float_round_mode_16_64 0
		.amdhsa_float_denorm_mode_32 3
		.amdhsa_float_denorm_mode_16_64 3
		.amdhsa_dx10_clamp 1
		.amdhsa_ieee_mode 1
		.amdhsa_fp16_overflow 0
		.amdhsa_exception_fp_ieee_invalid_op 0
		.amdhsa_exception_fp_denorm_src 0
		.amdhsa_exception_fp_ieee_div_zero 0
		.amdhsa_exception_fp_ieee_overflow 0
		.amdhsa_exception_fp_ieee_underflow 0
		.amdhsa_exception_fp_ieee_inexact 0
		.amdhsa_exception_int_div_zero 0
	.end_amdhsa_kernel
	.section	.text._ZL34rocblas_syrkx_herkx_general_kernelIi19rocblas_complex_numIdELi16ELi32ELi8ELb1ELb1ELc78ELc85EKPKS1_KPS1_EviT_T0_PT8_S7_lSA_S7_lS8_PT9_S7_li,"axG",@progbits,_ZL34rocblas_syrkx_herkx_general_kernelIi19rocblas_complex_numIdELi16ELi32ELi8ELb1ELb1ELc78ELc85EKPKS1_KPS1_EviT_T0_PT8_S7_lSA_S7_lS8_PT9_S7_li,comdat
.Lfunc_end914:
	.size	_ZL34rocblas_syrkx_herkx_general_kernelIi19rocblas_complex_numIdELi16ELi32ELi8ELb1ELb1ELc78ELc85EKPKS1_KPS1_EviT_T0_PT8_S7_lSA_S7_lS8_PT9_S7_li, .Lfunc_end914-_ZL34rocblas_syrkx_herkx_general_kernelIi19rocblas_complex_numIdELi16ELi32ELi8ELb1ELb1ELc78ELc85EKPKS1_KPS1_EviT_T0_PT8_S7_lSA_S7_lS8_PT9_S7_li
                                        ; -- End function
	.set _ZL34rocblas_syrkx_herkx_general_kernelIi19rocblas_complex_numIdELi16ELi32ELi8ELb1ELb1ELc78ELc85EKPKS1_KPS1_EviT_T0_PT8_S7_lSA_S7_lS8_PT9_S7_li.num_vgpr, 59
	.set _ZL34rocblas_syrkx_herkx_general_kernelIi19rocblas_complex_numIdELi16ELi32ELi8ELb1ELb1ELc78ELc85EKPKS1_KPS1_EviT_T0_PT8_S7_lSA_S7_lS8_PT9_S7_li.num_agpr, 0
	.set _ZL34rocblas_syrkx_herkx_general_kernelIi19rocblas_complex_numIdELi16ELi32ELi8ELb1ELb1ELc78ELc85EKPKS1_KPS1_EviT_T0_PT8_S7_lSA_S7_lS8_PT9_S7_li.numbered_sgpr, 26
	.set _ZL34rocblas_syrkx_herkx_general_kernelIi19rocblas_complex_numIdELi16ELi32ELi8ELb1ELb1ELc78ELc85EKPKS1_KPS1_EviT_T0_PT8_S7_lSA_S7_lS8_PT9_S7_li.num_named_barrier, 0
	.set _ZL34rocblas_syrkx_herkx_general_kernelIi19rocblas_complex_numIdELi16ELi32ELi8ELb1ELb1ELc78ELc85EKPKS1_KPS1_EviT_T0_PT8_S7_lSA_S7_lS8_PT9_S7_li.private_seg_size, 0
	.set _ZL34rocblas_syrkx_herkx_general_kernelIi19rocblas_complex_numIdELi16ELi32ELi8ELb1ELb1ELc78ELc85EKPKS1_KPS1_EviT_T0_PT8_S7_lSA_S7_lS8_PT9_S7_li.uses_vcc, 1
	.set _ZL34rocblas_syrkx_herkx_general_kernelIi19rocblas_complex_numIdELi16ELi32ELi8ELb1ELb1ELc78ELc85EKPKS1_KPS1_EviT_T0_PT8_S7_lSA_S7_lS8_PT9_S7_li.uses_flat_scratch, 0
	.set _ZL34rocblas_syrkx_herkx_general_kernelIi19rocblas_complex_numIdELi16ELi32ELi8ELb1ELb1ELc78ELc85EKPKS1_KPS1_EviT_T0_PT8_S7_lSA_S7_lS8_PT9_S7_li.has_dyn_sized_stack, 0
	.set _ZL34rocblas_syrkx_herkx_general_kernelIi19rocblas_complex_numIdELi16ELi32ELi8ELb1ELb1ELc78ELc85EKPKS1_KPS1_EviT_T0_PT8_S7_lSA_S7_lS8_PT9_S7_li.has_recursion, 0
	.set _ZL34rocblas_syrkx_herkx_general_kernelIi19rocblas_complex_numIdELi16ELi32ELi8ELb1ELb1ELc78ELc85EKPKS1_KPS1_EviT_T0_PT8_S7_lSA_S7_lS8_PT9_S7_li.has_indirect_call, 0
	.section	.AMDGPU.csdata,"",@progbits
; Kernel info:
; codeLenInByte = 3160
; TotalNumSgprs: 30
; NumVgprs: 59
; ScratchSize: 0
; MemoryBound: 1
; FloatMode: 240
; IeeeMode: 1
; LDSByteSize: 8192 bytes/workgroup (compile time only)
; SGPRBlocks: 8
; VGPRBlocks: 14
; NumSGPRsForWavesPerEU: 65
; NumVGPRsForWavesPerEU: 59
; Occupancy: 4
; WaveLimiterHint : 1
; COMPUTE_PGM_RSRC2:SCRATCH_EN: 0
; COMPUTE_PGM_RSRC2:USER_SGPR: 6
; COMPUTE_PGM_RSRC2:TRAP_HANDLER: 0
; COMPUTE_PGM_RSRC2:TGID_X_EN: 1
; COMPUTE_PGM_RSRC2:TGID_Y_EN: 1
; COMPUTE_PGM_RSRC2:TGID_Z_EN: 1
; COMPUTE_PGM_RSRC2:TIDIG_COMP_CNT: 1
	.section	.text._ZL34rocblas_syrkx_herkx_general_kernelIi19rocblas_complex_numIdELi16ELi32ELi8ELb0ELb1ELc84ELc76EKPKS1_KPS1_EviT_T0_PT8_S7_lSA_S7_lS8_PT9_S7_li,"axG",@progbits,_ZL34rocblas_syrkx_herkx_general_kernelIi19rocblas_complex_numIdELi16ELi32ELi8ELb0ELb1ELc84ELc76EKPKS1_KPS1_EviT_T0_PT8_S7_lSA_S7_lS8_PT9_S7_li,comdat
	.globl	_ZL34rocblas_syrkx_herkx_general_kernelIi19rocblas_complex_numIdELi16ELi32ELi8ELb0ELb1ELc84ELc76EKPKS1_KPS1_EviT_T0_PT8_S7_lSA_S7_lS8_PT9_S7_li ; -- Begin function _ZL34rocblas_syrkx_herkx_general_kernelIi19rocblas_complex_numIdELi16ELi32ELi8ELb0ELb1ELc84ELc76EKPKS1_KPS1_EviT_T0_PT8_S7_lSA_S7_lS8_PT9_S7_li
	.p2align	8
	.type	_ZL34rocblas_syrkx_herkx_general_kernelIi19rocblas_complex_numIdELi16ELi32ELi8ELb0ELb1ELc84ELc76EKPKS1_KPS1_EviT_T0_PT8_S7_lSA_S7_lS8_PT9_S7_li,@function
_ZL34rocblas_syrkx_herkx_general_kernelIi19rocblas_complex_numIdELi16ELi32ELi8ELb0ELb1ELc84ELc76EKPKS1_KPS1_EviT_T0_PT8_S7_lSA_S7_lS8_PT9_S7_li: ; @_ZL34rocblas_syrkx_herkx_general_kernelIi19rocblas_complex_numIdELi16ELi32ELi8ELb0ELb1ELc84ELc76EKPKS1_KPS1_EviT_T0_PT8_S7_lSA_S7_lS8_PT9_S7_li
; %bb.0:
	s_load_dwordx2 s[20:21], s[4:5], 0x0
	s_load_dwordx4 s[12:15], s[4:5], 0x8
	s_load_dwordx2 s[10:11], s[4:5], 0x58
	s_load_dwordx2 s[0:1], s[4:5], 0x18
	s_load_dwordx4 s[16:19], s[4:5], 0x48
	s_mov_b32 s9, 0
	s_lshl_b64 s[2:3], s[8:9], 3
	s_waitcnt lgkmcnt(0)
	s_add_u32 s10, s10, s2
	s_addc_u32 s11, s11, s3
	s_load_dwordx2 s[10:11], s[10:11], 0x0
	s_lshl_b32 s8, s6, 5
	s_lshl_b32 s22, s7, 5
	s_cmp_lt_i32 s21, 1
	s_cbranch_scc1 .LBB915_11
; %bb.1:
	s_load_dword s23, s[4:5], 0x20
	s_load_dwordx2 s[6:7], s[4:5], 0x30
	s_load_dword s26, s[4:5], 0x38
	v_lshl_add_u32 v2, v1, 4, v0
	v_lshrrev_b32_e32 v27, 5, v2
	v_lshrrev_b32_e32 v3, 3, v2
	v_and_b32_e32 v2, 31, v2
	v_or_b32_e32 v5, s8, v2
	v_and_b32_e32 v26, 7, v0
	s_waitcnt lgkmcnt(0)
	s_add_u32 s6, s6, s2
	v_cmp_gt_i32_e32 vcc, s20, v5
	v_lshlrev_b32_e32 v5, 4, v2
	s_addc_u32 s7, s7, s3
	v_lshl_or_b32 v28, v27, 9, v5
	v_lshlrev_b32_e32 v5, 4, v26
	v_add_u32_e32 v4, s22, v3
	s_add_u32 s0, s0, s2
	v_lshl_or_b32 v3, v3, 7, v5
	v_add_u32_e32 v2, s8, v2
	s_addc_u32 s1, s1, s3
	v_add_u32_e32 v29, 0x1000, v3
	v_mad_i64_i32 v[2:3], s[2:3], s23, v2, 0
	v_mov_b32_e32 v6, 0x1000
	v_lshl_add_u32 v31, v1, 7, v6
	v_lshlrev_b64 v[2:3], 4, v[2:3]
	v_lshlrev_b32_e32 v6, 4, v27
	s_load_dwordx2 s[24:25], s[0:1], 0x0
	v_add_co_u32_e64 v6, s[2:3], v2, v6
	v_addc_co_u32_e64 v7, s[2:3], 0, v3, s[2:3]
	v_mad_i64_i32 v[2:3], s[2:3], s26, v4, 0
	s_load_dwordx2 s[6:7], s[6:7], 0x0
	s_waitcnt lgkmcnt(0)
	v_mov_b32_e32 v8, s25
	v_add_co_u32_e64 v6, s[2:3], s24, v6
	v_lshlrev_b64 v[2:3], 4, v[2:3]
	v_addc_co_u32_e64 v7, s[2:3], v8, v7, s[2:3]
	v_add_co_u32_e64 v2, s[2:3], v2, v5
	v_addc_co_u32_e64 v3, s[2:3], 0, v3, s[2:3]
	v_cmp_gt_i32_e64 s[0:1], s20, v4
	v_mov_b32_e32 v4, s7
	v_add_co_u32_e64 v8, s[2:3], s6, v2
	v_addc_co_u32_e64 v9, s[2:3], v4, v3, s[2:3]
	v_mov_b32_e32 v22, 0
	v_mov_b32_e32 v24, 0
	;; [unrolled: 1-line block ×8, first 2 shown]
	v_lshlrev_b32_e32 v30, 4, v0
	v_mov_b32_e32 v23, 0
	s_xor_b64 s[2:3], vcc, -1
	s_xor_b64 s[0:1], s[0:1], -1
	v_mov_b32_e32 v25, 0
	v_mov_b32_e32 v17, 0
	;; [unrolled: 1-line block ×8, first 2 shown]
	s_branch .LBB915_3
.LBB915_2:                              ;   in Loop: Header=BB915_3 Depth=1
	s_or_b64 exec, exec, s[6:7]
	s_waitcnt lgkmcnt(0)
	s_barrier
	ds_read_b128 v[32:35], v31
	ds_read_b128 v[36:39], v31 offset:16
	ds_read_b128 v[40:43], v31 offset:32
	ds_read_b128 v[44:47], v31 offset:48
	ds_read_b128 v[48:51], v30
	v_add_co_u32_e32 v6, vcc, 0x80, v6
	v_addc_co_u32_e32 v7, vcc, 0, v7, vcc
	s_waitcnt lgkmcnt(0)
	v_mul_f64 v[3:4], v[34:35], v[50:51]
	v_mul_f64 v[52:53], v[32:33], v[50:51]
	s_add_i32 s9, s9, 8
	v_add_co_u32_e32 v8, vcc, 0x80, v8
	v_addc_co_u32_e32 v9, vcc, 0, v9, vcc
	s_cmp_ge_i32 s9, s21
	v_fma_f64 v[3:4], v[32:33], v[48:49], -v[3:4]
	v_fma_f64 v[52:53], v[34:35], v[48:49], v[52:53]
	v_add_f64 v[3:4], v[18:19], v[3:4]
	v_add_f64 v[52:53], v[52:53], v[20:21]
	ds_read_b128 v[18:21], v30 offset:256
	s_waitcnt lgkmcnt(0)
	v_mul_f64 v[54:55], v[34:35], v[20:21]
	v_fma_f64 v[54:55], v[32:33], v[18:19], -v[54:55]
	v_mul_f64 v[32:33], v[32:33], v[20:21]
	v_fma_f64 v[32:33], v[34:35], v[18:19], v[32:33]
	v_add_f64 v[34:35], v[10:11], v[54:55]
	v_add_f64 v[32:33], v[32:33], v[12:13]
	ds_read_b128 v[10:13], v31 offset:2048
	s_waitcnt lgkmcnt(0)
	v_mul_f64 v[54:55], v[12:13], v[50:51]
	v_mul_f64 v[50:51], v[10:11], v[50:51]
	v_fma_f64 v[54:55], v[10:11], v[48:49], -v[54:55]
	v_fma_f64 v[48:49], v[12:13], v[48:49], v[50:51]
	v_add_f64 v[50:51], v[14:15], v[54:55]
	v_mul_f64 v[14:15], v[12:13], v[20:21]
	v_add_f64 v[48:49], v[48:49], v[16:17]
	v_fma_f64 v[14:15], v[10:11], v[18:19], -v[14:15]
	v_mul_f64 v[10:11], v[10:11], v[20:21]
	v_add_f64 v[24:25], v[24:25], v[14:15]
	v_fma_f64 v[10:11], v[12:13], v[18:19], v[10:11]
	v_add_f64 v[22:23], v[10:11], v[22:23]
	ds_read_b128 v[10:13], v30 offset:512
	s_waitcnt lgkmcnt(0)
	v_mul_f64 v[14:15], v[38:39], v[12:13]
	v_mul_f64 v[16:17], v[36:37], v[12:13]
	v_fma_f64 v[14:15], v[36:37], v[10:11], -v[14:15]
	v_fma_f64 v[16:17], v[38:39], v[10:11], v[16:17]
	v_add_f64 v[3:4], v[3:4], v[14:15]
	v_add_f64 v[52:53], v[16:17], v[52:53]
	ds_read_b128 v[14:17], v30 offset:768
	s_waitcnt lgkmcnt(0)
	v_mul_f64 v[18:19], v[38:39], v[16:17]
	v_mul_f64 v[20:21], v[36:37], v[16:17]
	v_fma_f64 v[18:19], v[36:37], v[14:15], -v[18:19]
	v_fma_f64 v[20:21], v[38:39], v[14:15], v[20:21]
	v_add_f64 v[34:35], v[34:35], v[18:19]
	v_add_f64 v[32:33], v[20:21], v[32:33]
	ds_read_b128 v[18:21], v31 offset:2064
	s_waitcnt lgkmcnt(0)
	v_mul_f64 v[36:37], v[20:21], v[12:13]
	v_mul_f64 v[12:13], v[18:19], v[12:13]
	v_fma_f64 v[36:37], v[18:19], v[10:11], -v[36:37]
	v_fma_f64 v[10:11], v[20:21], v[10:11], v[12:13]
	v_mul_f64 v[12:13], v[18:19], v[16:17]
	v_add_f64 v[36:37], v[50:51], v[36:37]
	v_add_f64 v[38:39], v[10:11], v[48:49]
	v_mul_f64 v[10:11], v[20:21], v[16:17]
	v_fma_f64 v[12:13], v[20:21], v[14:15], v[12:13]
	v_fma_f64 v[10:11], v[18:19], v[14:15], -v[10:11]
	v_add_f64 v[22:23], v[12:13], v[22:23]
	v_add_f64 v[24:25], v[24:25], v[10:11]
	ds_read_b128 v[10:13], v30 offset:1024
	s_waitcnt lgkmcnt(0)
	v_mul_f64 v[14:15], v[42:43], v[12:13]
	v_mul_f64 v[16:17], v[40:41], v[12:13]
	v_fma_f64 v[14:15], v[40:41], v[10:11], -v[14:15]
	v_fma_f64 v[16:17], v[42:43], v[10:11], v[16:17]
	v_add_f64 v[3:4], v[3:4], v[14:15]
	v_add_f64 v[48:49], v[16:17], v[52:53]
	ds_read_b128 v[14:17], v30 offset:1280
	s_waitcnt lgkmcnt(0)
	v_mul_f64 v[18:19], v[42:43], v[16:17]
	v_mul_f64 v[20:21], v[40:41], v[16:17]
	v_fma_f64 v[18:19], v[40:41], v[14:15], -v[18:19]
	v_fma_f64 v[20:21], v[42:43], v[14:15], v[20:21]
	v_add_f64 v[34:35], v[34:35], v[18:19]
	v_add_f64 v[32:33], v[20:21], v[32:33]
	ds_read_b128 v[18:21], v31 offset:2080
	s_waitcnt lgkmcnt(0)
	v_mul_f64 v[40:41], v[20:21], v[12:13]
	v_mul_f64 v[12:13], v[18:19], v[12:13]
	v_fma_f64 v[40:41], v[18:19], v[10:11], -v[40:41]
	v_fma_f64 v[10:11], v[20:21], v[10:11], v[12:13]
	v_mul_f64 v[12:13], v[18:19], v[16:17]
	v_add_f64 v[36:37], v[36:37], v[40:41]
	v_add_f64 v[38:39], v[10:11], v[38:39]
	v_mul_f64 v[10:11], v[20:21], v[16:17]
	v_fma_f64 v[12:13], v[20:21], v[14:15], v[12:13]
	v_fma_f64 v[10:11], v[18:19], v[14:15], -v[10:11]
	v_add_f64 v[22:23], v[12:13], v[22:23]
	;; [unrolled: 30-line block ×3, first 2 shown]
	v_add_f64 v[24:25], v[24:25], v[10:11]
	ds_read_b128 v[10:13], v31 offset:64
	ds_read_b128 v[14:17], v30 offset:2048
	s_waitcnt lgkmcnt(0)
	v_mul_f64 v[18:19], v[12:13], v[16:17]
	v_mul_f64 v[20:21], v[10:11], v[16:17]
	v_fma_f64 v[18:19], v[10:11], v[14:15], -v[18:19]
	v_fma_f64 v[20:21], v[12:13], v[14:15], v[20:21]
	v_add_f64 v[3:4], v[3:4], v[18:19]
	v_add_f64 v[40:41], v[20:21], v[40:41]
	ds_read_b128 v[18:21], v30 offset:2304
	s_waitcnt lgkmcnt(0)
	v_mul_f64 v[42:43], v[12:13], v[20:21]
	v_fma_f64 v[42:43], v[10:11], v[18:19], -v[42:43]
	v_mul_f64 v[10:11], v[10:11], v[20:21]
	v_add_f64 v[34:35], v[34:35], v[42:43]
	v_fma_f64 v[10:11], v[12:13], v[18:19], v[10:11]
	v_add_f64 v[32:33], v[10:11], v[32:33]
	ds_read_b128 v[10:13], v31 offset:2112
	s_waitcnt lgkmcnt(0)
	v_mul_f64 v[42:43], v[12:13], v[16:17]
	v_mul_f64 v[16:17], v[10:11], v[16:17]
	v_fma_f64 v[42:43], v[10:11], v[14:15], -v[42:43]
	v_fma_f64 v[14:15], v[12:13], v[14:15], v[16:17]
	v_add_f64 v[36:37], v[36:37], v[42:43]
	v_add_f64 v[38:39], v[14:15], v[38:39]
	v_mul_f64 v[14:15], v[12:13], v[20:21]
	v_fma_f64 v[14:15], v[10:11], v[18:19], -v[14:15]
	v_mul_f64 v[10:11], v[10:11], v[20:21]
	v_add_f64 v[24:25], v[24:25], v[14:15]
	v_fma_f64 v[10:11], v[12:13], v[18:19], v[10:11]
	v_add_f64 v[22:23], v[10:11], v[22:23]
	ds_read_b128 v[10:13], v31 offset:80
	ds_read_b128 v[14:17], v30 offset:2560
	s_waitcnt lgkmcnt(0)
	v_mul_f64 v[18:19], v[12:13], v[16:17]
	v_mul_f64 v[20:21], v[10:11], v[16:17]
	v_fma_f64 v[18:19], v[10:11], v[14:15], -v[18:19]
	v_fma_f64 v[20:21], v[12:13], v[14:15], v[20:21]
	v_add_f64 v[3:4], v[3:4], v[18:19]
	v_add_f64 v[40:41], v[20:21], v[40:41]
	ds_read_b128 v[18:21], v30 offset:2816
	s_waitcnt lgkmcnt(0)
	v_mul_f64 v[42:43], v[12:13], v[20:21]
	v_fma_f64 v[42:43], v[10:11], v[18:19], -v[42:43]
	v_mul_f64 v[10:11], v[10:11], v[20:21]
	v_add_f64 v[34:35], v[34:35], v[42:43]
	v_fma_f64 v[10:11], v[12:13], v[18:19], v[10:11]
	v_add_f64 v[32:33], v[10:11], v[32:33]
	ds_read_b128 v[10:13], v31 offset:2128
	s_waitcnt lgkmcnt(0)
	v_mul_f64 v[42:43], v[12:13], v[16:17]
	v_mul_f64 v[16:17], v[10:11], v[16:17]
	v_fma_f64 v[42:43], v[10:11], v[14:15], -v[42:43]
	v_fma_f64 v[14:15], v[12:13], v[14:15], v[16:17]
	v_add_f64 v[36:37], v[36:37], v[42:43]
	v_add_f64 v[38:39], v[14:15], v[38:39]
	v_mul_f64 v[14:15], v[12:13], v[20:21]
	v_fma_f64 v[14:15], v[10:11], v[18:19], -v[14:15]
	v_mul_f64 v[10:11], v[10:11], v[20:21]
	v_add_f64 v[24:25], v[24:25], v[14:15]
	v_fma_f64 v[10:11], v[12:13], v[18:19], v[10:11]
	;; [unrolled: 31-line block ×3, first 2 shown]
	v_add_f64 v[44:45], v[10:11], v[22:23]
	ds_read_b128 v[10:13], v31 offset:112
	ds_read_b128 v[14:17], v30 offset:3584
	;; [unrolled: 1-line block ×3, first 2 shown]
	s_waitcnt lgkmcnt(1)
	v_mul_f64 v[18:19], v[12:13], v[16:17]
	v_mul_f64 v[20:21], v[10:11], v[16:17]
	v_fma_f64 v[18:19], v[10:11], v[14:15], -v[18:19]
	v_fma_f64 v[20:21], v[12:13], v[14:15], v[20:21]
	v_add_f64 v[18:19], v[3:4], v[18:19]
	s_waitcnt lgkmcnt(0)
	v_mul_f64 v[3:4], v[12:13], v[24:25]
	v_add_f64 v[20:21], v[20:21], v[40:41]
	v_fma_f64 v[3:4], v[10:11], v[22:23], -v[3:4]
	v_mul_f64 v[10:11], v[10:11], v[24:25]
	v_fma_f64 v[12:13], v[12:13], v[22:23], v[10:11]
	v_add_f64 v[10:11], v[34:35], v[3:4]
	v_add_f64 v[12:13], v[12:13], v[32:33]
	ds_read_b128 v[32:35], v31 offset:2160
	s_waitcnt lgkmcnt(0)
	s_barrier
	v_mul_f64 v[3:4], v[34:35], v[16:17]
	v_mul_f64 v[16:17], v[32:33], v[16:17]
	v_fma_f64 v[3:4], v[32:33], v[14:15], -v[3:4]
	v_fma_f64 v[16:17], v[34:35], v[14:15], v[16:17]
	v_add_f64 v[14:15], v[36:37], v[3:4]
	v_mul_f64 v[3:4], v[34:35], v[24:25]
	v_mul_f64 v[24:25], v[32:33], v[24:25]
	v_add_f64 v[16:17], v[16:17], v[38:39]
	v_fma_f64 v[3:4], v[32:33], v[22:23], -v[3:4]
	v_fma_f64 v[22:23], v[34:35], v[22:23], v[24:25]
	v_add_f64 v[24:25], v[42:43], v[3:4]
	v_add_f64 v[22:23], v[22:23], v[44:45]
	s_cbranch_scc1 .LBB915_12
.LBB915_3:                              ; =>This Inner Loop Header: Depth=1
	v_add_u32_e32 v3, s9, v27
	v_cmp_le_i32_e32 vcc, s21, v3
	s_or_b64 s[6:7], s[2:3], vcc
	s_and_saveexec_b64 s[24:25], s[6:7]
	s_xor_b64 s[6:7], exec, s[24:25]
; %bb.4:                                ;   in Loop: Header=BB915_3 Depth=1
	v_mov_b32_e32 v3, v2
	v_mov_b32_e32 v4, v2
	v_mov_b32_e32 v5, v2
	ds_write_b128 v28, v[2:5]
; %bb.5:                                ;   in Loop: Header=BB915_3 Depth=1
	s_andn2_saveexec_b64 s[6:7], s[6:7]
	s_cbranch_execz .LBB915_7
; %bb.6:                                ;   in Loop: Header=BB915_3 Depth=1
	flat_load_dwordx4 v[32:35], v[6:7]
	s_waitcnt vmcnt(0) lgkmcnt(0)
	ds_write2_b64 v28, v[32:33], v[34:35] offset1:1
.LBB915_7:                              ;   in Loop: Header=BB915_3 Depth=1
	s_or_b64 exec, exec, s[6:7]
	v_add_u32_e32 v3, s9, v26
	v_cmp_le_i32_e32 vcc, s21, v3
	s_or_b64 s[6:7], vcc, s[0:1]
	s_and_saveexec_b64 s[24:25], s[6:7]
	s_xor_b64 s[6:7], exec, s[24:25]
; %bb.8:                                ;   in Loop: Header=BB915_3 Depth=1
	v_mov_b32_e32 v3, v2
	v_mov_b32_e32 v4, v2
	;; [unrolled: 1-line block ×3, first 2 shown]
	ds_write_b128 v29, v[2:5]
; %bb.9:                                ;   in Loop: Header=BB915_3 Depth=1
	s_andn2_saveexec_b64 s[6:7], s[6:7]
	s_cbranch_execz .LBB915_2
; %bb.10:                               ;   in Loop: Header=BB915_3 Depth=1
	flat_load_dwordx4 v[32:35], v[8:9]
	s_waitcnt vmcnt(0) lgkmcnt(0)
	ds_write2_b64 v29, v[32:33], v[34:35] offset1:1
	s_branch .LBB915_2
.LBB915_11:
	v_mov_b32_e32 v18, 0
	v_mov_b32_e32 v20, 0
	;; [unrolled: 1-line block ×16, first 2 shown]
.LBB915_12:
	s_load_dword s6, s[4:5], 0x60
	v_add_u32_e32 v4, s22, v1
	s_waitcnt lgkmcnt(0)
	v_mov_b32_e32 v3, s11
	v_add_u32_e32 v0, s8, v0
	v_mad_i64_i32 v[1:2], s[0:1], v4, s6, 0
	v_cmp_le_i32_e64 s[0:1], v4, v0
	v_lshlrev_b64 v[1:2], 4, v[1:2]
	v_add_co_u32_e32 v5, vcc, s10, v1
	v_addc_co_u32_e32 v6, vcc, v3, v2, vcc
	v_cmp_gt_i32_e32 vcc, s20, v0
	s_and_b64 s[0:1], s[0:1], vcc
	s_and_saveexec_b64 s[2:3], s[0:1]
	s_cbranch_execz .LBB915_14
; %bb.13:
	v_ashrrev_i32_e32 v1, 31, v0
	v_lshlrev_b64 v[1:2], 4, v[0:1]
	v_mul_f64 v[7:8], s[12:13], v[20:21]
	v_add_co_u32_e64 v1, s[0:1], v5, v1
	v_addc_co_u32_e64 v2, s[0:1], v6, v2, s[0:1]
	flat_load_dwordx4 v[26:29], v[1:2]
	v_mul_f64 v[20:21], s[14:15], v[20:21]
	v_cmp_ne_u32_e64 s[0:1], v4, v0
	v_fma_f64 v[7:8], s[14:15], v[18:19], v[7:8]
	v_fma_f64 v[18:19], s[12:13], v[18:19], -v[20:21]
	s_waitcnt vmcnt(0) lgkmcnt(0)
	v_mul_f64 v[30:31], s[16:17], v[28:29]
	v_mul_f64 v[28:29], s[18:19], v[28:29]
	v_fma_f64 v[30:31], s[18:19], v[26:27], v[30:31]
	v_fma_f64 v[20:21], s[16:17], v[26:27], -v[28:29]
	v_add_f64 v[7:8], v[7:8], v[30:31]
	v_add_f64 v[18:19], v[18:19], v[20:21]
	v_cndmask_b32_e64 v21, 0, v8, s[0:1]
	v_cndmask_b32_e64 v20, 0, v7, s[0:1]
	flat_store_dwordx4 v[1:2], v[18:21]
.LBB915_14:
	s_or_b64 exec, exec, s[2:3]
	v_add_u32_e32 v2, 16, v0
	v_cmp_le_i32_e64 s[2:3], v4, v2
	v_cmp_gt_i32_e64 s[0:1], s20, v2
	s_and_b64 s[2:3], s[2:3], s[0:1]
	s_and_saveexec_b64 s[4:5], s[2:3]
	s_cbranch_execz .LBB915_16
; %bb.15:
	v_ashrrev_i32_e32 v3, 31, v2
	v_lshlrev_b64 v[7:8], 4, v[2:3]
	v_mul_f64 v[20:21], s[12:13], v[12:13]
	v_add_co_u32_e64 v18, s[2:3], v5, v7
	v_addc_co_u32_e64 v19, s[2:3], v6, v8, s[2:3]
	flat_load_dwordx4 v[5:8], v[18:19]
	v_mul_f64 v[12:13], s[14:15], v[12:13]
	v_cmp_ne_u32_e64 s[2:3], v4, v2
	v_fma_f64 v[20:21], s[14:15], v[10:11], v[20:21]
	v_fma_f64 v[9:10], s[12:13], v[10:11], -v[12:13]
	s_waitcnt vmcnt(0) lgkmcnt(0)
	v_mul_f64 v[26:27], s[16:17], v[7:8]
	v_mul_f64 v[7:8], s[18:19], v[7:8]
	v_fma_f64 v[26:27], s[18:19], v[5:6], v[26:27]
	v_fma_f64 v[5:6], s[16:17], v[5:6], -v[7:8]
	v_add_f64 v[7:8], v[20:21], v[26:27]
	v_add_f64 v[5:6], v[9:10], v[5:6]
	v_cndmask_b32_e64 v8, 0, v8, s[2:3]
	v_cndmask_b32_e64 v7, 0, v7, s[2:3]
	flat_store_dwordx4 v[18:19], v[5:8]
.LBB915_16:
	s_or_b64 exec, exec, s[4:5]
	v_add_u32_e32 v3, 16, v4
	v_mad_i64_i32 v[5:6], s[2:3], v3, s6, 0
	v_mov_b32_e32 v1, s11
	v_lshlrev_b64 v[5:6], 4, v[5:6]
	v_add_co_u32_e64 v5, s[2:3], s10, v5
	v_addc_co_u32_e64 v6, s[2:3], v1, v6, s[2:3]
	v_cmp_le_i32_e64 s[2:3], v3, v0
	s_and_b64 s[4:5], s[2:3], vcc
	s_and_saveexec_b64 s[2:3], s[4:5]
	s_cbranch_execz .LBB915_18
; %bb.17:
	v_ashrrev_i32_e32 v1, 31, v0
	v_lshlrev_b64 v[7:8], 4, v[0:1]
	v_mul_f64 v[18:19], s[12:13], v[16:17]
	v_add_co_u32_e32 v11, vcc, v5, v7
	v_addc_co_u32_e32 v12, vcc, v6, v8, vcc
	flat_load_dwordx4 v[7:10], v[11:12]
	v_mul_f64 v[16:17], s[14:15], v[16:17]
	v_cmp_ne_u32_e32 vcc, v3, v0
	v_fma_f64 v[18:19], s[14:15], v[14:15], v[18:19]
	v_fma_f64 v[13:14], s[12:13], v[14:15], -v[16:17]
	s_waitcnt vmcnt(0) lgkmcnt(0)
	v_mul_f64 v[20:21], s[16:17], v[9:10]
	v_mul_f64 v[9:10], s[18:19], v[9:10]
	v_fma_f64 v[20:21], s[18:19], v[7:8], v[20:21]
	v_fma_f64 v[7:8], s[16:17], v[7:8], -v[9:10]
	v_add_f64 v[9:10], v[18:19], v[20:21]
	v_add_f64 v[7:8], v[13:14], v[7:8]
	v_cndmask_b32_e32 v10, 0, v10, vcc
	v_cndmask_b32_e32 v9, 0, v9, vcc
	flat_store_dwordx4 v[11:12], v[7:10]
.LBB915_18:
	s_or_b64 exec, exec, s[2:3]
	v_cmp_le_i32_e32 vcc, v3, v2
	s_and_b64 s[0:1], vcc, s[0:1]
	s_and_saveexec_b64 s[2:3], s[0:1]
	s_cbranch_execz .LBB915_20
; %bb.19:
	v_ashrrev_i32_e32 v3, 31, v2
	v_lshlrev_b64 v[1:2], 4, v[2:3]
	v_mul_f64 v[13:14], s[14:15], v[22:23]
	v_add_co_u32_e32 v9, vcc, v5, v1
	v_addc_co_u32_e32 v10, vcc, v6, v2, vcc
	flat_load_dwordx4 v[5:8], v[9:10]
	v_mul_f64 v[1:2], s[12:13], v[22:23]
	v_cmp_ne_u32_e32 vcc, v4, v0
	v_fma_f64 v[13:14], s[12:13], v[24:25], -v[13:14]
	v_fma_f64 v[1:2], s[14:15], v[24:25], v[1:2]
	s_waitcnt vmcnt(0) lgkmcnt(0)
	v_mul_f64 v[11:12], s[16:17], v[7:8]
	v_mul_f64 v[7:8], s[18:19], v[7:8]
	v_fma_f64 v[11:12], s[18:19], v[5:6], v[11:12]
	v_fma_f64 v[5:6], s[16:17], v[5:6], -v[7:8]
	v_add_f64 v[7:8], v[1:2], v[11:12]
	v_add_f64 v[1:2], v[13:14], v[5:6]
	v_cndmask_b32_e32 v4, 0, v8, vcc
	v_cndmask_b32_e32 v3, 0, v7, vcc
	flat_store_dwordx4 v[9:10], v[1:4]
.LBB915_20:
	s_endpgm
	.section	.rodata,"a",@progbits
	.p2align	6, 0x0
	.amdhsa_kernel _ZL34rocblas_syrkx_herkx_general_kernelIi19rocblas_complex_numIdELi16ELi32ELi8ELb0ELb1ELc84ELc76EKPKS1_KPS1_EviT_T0_PT8_S7_lSA_S7_lS8_PT9_S7_li
		.amdhsa_group_segment_fixed_size 8192
		.amdhsa_private_segment_fixed_size 0
		.amdhsa_kernarg_size 116
		.amdhsa_user_sgpr_count 6
		.amdhsa_user_sgpr_private_segment_buffer 1
		.amdhsa_user_sgpr_dispatch_ptr 0
		.amdhsa_user_sgpr_queue_ptr 0
		.amdhsa_user_sgpr_kernarg_segment_ptr 1
		.amdhsa_user_sgpr_dispatch_id 0
		.amdhsa_user_sgpr_flat_scratch_init 0
		.amdhsa_user_sgpr_private_segment_size 0
		.amdhsa_uses_dynamic_stack 0
		.amdhsa_system_sgpr_private_segment_wavefront_offset 0
		.amdhsa_system_sgpr_workgroup_id_x 1
		.amdhsa_system_sgpr_workgroup_id_y 1
		.amdhsa_system_sgpr_workgroup_id_z 1
		.amdhsa_system_sgpr_workgroup_info 0
		.amdhsa_system_vgpr_workitem_id 1
		.amdhsa_next_free_vgpr 56
		.amdhsa_next_free_sgpr 61
		.amdhsa_reserve_vcc 1
		.amdhsa_reserve_flat_scratch 0
		.amdhsa_float_round_mode_32 0
		.amdhsa_float_round_mode_16_64 0
		.amdhsa_float_denorm_mode_32 3
		.amdhsa_float_denorm_mode_16_64 3
		.amdhsa_dx10_clamp 1
		.amdhsa_ieee_mode 1
		.amdhsa_fp16_overflow 0
		.amdhsa_exception_fp_ieee_invalid_op 0
		.amdhsa_exception_fp_denorm_src 0
		.amdhsa_exception_fp_ieee_div_zero 0
		.amdhsa_exception_fp_ieee_overflow 0
		.amdhsa_exception_fp_ieee_underflow 0
		.amdhsa_exception_fp_ieee_inexact 0
		.amdhsa_exception_int_div_zero 0
	.end_amdhsa_kernel
	.section	.text._ZL34rocblas_syrkx_herkx_general_kernelIi19rocblas_complex_numIdELi16ELi32ELi8ELb0ELb1ELc84ELc76EKPKS1_KPS1_EviT_T0_PT8_S7_lSA_S7_lS8_PT9_S7_li,"axG",@progbits,_ZL34rocblas_syrkx_herkx_general_kernelIi19rocblas_complex_numIdELi16ELi32ELi8ELb0ELb1ELc84ELc76EKPKS1_KPS1_EviT_T0_PT8_S7_lSA_S7_lS8_PT9_S7_li,comdat
.Lfunc_end915:
	.size	_ZL34rocblas_syrkx_herkx_general_kernelIi19rocblas_complex_numIdELi16ELi32ELi8ELb0ELb1ELc84ELc76EKPKS1_KPS1_EviT_T0_PT8_S7_lSA_S7_lS8_PT9_S7_li, .Lfunc_end915-_ZL34rocblas_syrkx_herkx_general_kernelIi19rocblas_complex_numIdELi16ELi32ELi8ELb0ELb1ELc84ELc76EKPKS1_KPS1_EviT_T0_PT8_S7_lSA_S7_lS8_PT9_S7_li
                                        ; -- End function
	.set _ZL34rocblas_syrkx_herkx_general_kernelIi19rocblas_complex_numIdELi16ELi32ELi8ELb0ELb1ELc84ELc76EKPKS1_KPS1_EviT_T0_PT8_S7_lSA_S7_lS8_PT9_S7_li.num_vgpr, 56
	.set _ZL34rocblas_syrkx_herkx_general_kernelIi19rocblas_complex_numIdELi16ELi32ELi8ELb0ELb1ELc84ELc76EKPKS1_KPS1_EviT_T0_PT8_S7_lSA_S7_lS8_PT9_S7_li.num_agpr, 0
	.set _ZL34rocblas_syrkx_herkx_general_kernelIi19rocblas_complex_numIdELi16ELi32ELi8ELb0ELb1ELc84ELc76EKPKS1_KPS1_EviT_T0_PT8_S7_lSA_S7_lS8_PT9_S7_li.numbered_sgpr, 27
	.set _ZL34rocblas_syrkx_herkx_general_kernelIi19rocblas_complex_numIdELi16ELi32ELi8ELb0ELb1ELc84ELc76EKPKS1_KPS1_EviT_T0_PT8_S7_lSA_S7_lS8_PT9_S7_li.num_named_barrier, 0
	.set _ZL34rocblas_syrkx_herkx_general_kernelIi19rocblas_complex_numIdELi16ELi32ELi8ELb0ELb1ELc84ELc76EKPKS1_KPS1_EviT_T0_PT8_S7_lSA_S7_lS8_PT9_S7_li.private_seg_size, 0
	.set _ZL34rocblas_syrkx_herkx_general_kernelIi19rocblas_complex_numIdELi16ELi32ELi8ELb0ELb1ELc84ELc76EKPKS1_KPS1_EviT_T0_PT8_S7_lSA_S7_lS8_PT9_S7_li.uses_vcc, 1
	.set _ZL34rocblas_syrkx_herkx_general_kernelIi19rocblas_complex_numIdELi16ELi32ELi8ELb0ELb1ELc84ELc76EKPKS1_KPS1_EviT_T0_PT8_S7_lSA_S7_lS8_PT9_S7_li.uses_flat_scratch, 0
	.set _ZL34rocblas_syrkx_herkx_general_kernelIi19rocblas_complex_numIdELi16ELi32ELi8ELb0ELb1ELc84ELc76EKPKS1_KPS1_EviT_T0_PT8_S7_lSA_S7_lS8_PT9_S7_li.has_dyn_sized_stack, 0
	.set _ZL34rocblas_syrkx_herkx_general_kernelIi19rocblas_complex_numIdELi16ELi32ELi8ELb0ELb1ELc84ELc76EKPKS1_KPS1_EviT_T0_PT8_S7_lSA_S7_lS8_PT9_S7_li.has_recursion, 0
	.set _ZL34rocblas_syrkx_herkx_general_kernelIi19rocblas_complex_numIdELi16ELi32ELi8ELb0ELb1ELc84ELc76EKPKS1_KPS1_EviT_T0_PT8_S7_lSA_S7_lS8_PT9_S7_li.has_indirect_call, 0
	.section	.AMDGPU.csdata,"",@progbits
; Kernel info:
; codeLenInByte = 3348
; TotalNumSgprs: 31
; NumVgprs: 56
; ScratchSize: 0
; MemoryBound: 0
; FloatMode: 240
; IeeeMode: 1
; LDSByteSize: 8192 bytes/workgroup (compile time only)
; SGPRBlocks: 8
; VGPRBlocks: 13
; NumSGPRsForWavesPerEU: 65
; NumVGPRsForWavesPerEU: 56
; Occupancy: 4
; WaveLimiterHint : 1
; COMPUTE_PGM_RSRC2:SCRATCH_EN: 0
; COMPUTE_PGM_RSRC2:USER_SGPR: 6
; COMPUTE_PGM_RSRC2:TRAP_HANDLER: 0
; COMPUTE_PGM_RSRC2:TGID_X_EN: 1
; COMPUTE_PGM_RSRC2:TGID_Y_EN: 1
; COMPUTE_PGM_RSRC2:TGID_Z_EN: 1
; COMPUTE_PGM_RSRC2:TIDIG_COMP_CNT: 1
	.section	.text._ZL34rocblas_syrkx_herkx_general_kernelIi19rocblas_complex_numIdELi16ELi32ELi8ELb0ELb1ELc67ELc76EKPKS1_KPS1_EviT_T0_PT8_S7_lSA_S7_lS8_PT9_S7_li,"axG",@progbits,_ZL34rocblas_syrkx_herkx_general_kernelIi19rocblas_complex_numIdELi16ELi32ELi8ELb0ELb1ELc67ELc76EKPKS1_KPS1_EviT_T0_PT8_S7_lSA_S7_lS8_PT9_S7_li,comdat
	.globl	_ZL34rocblas_syrkx_herkx_general_kernelIi19rocblas_complex_numIdELi16ELi32ELi8ELb0ELb1ELc67ELc76EKPKS1_KPS1_EviT_T0_PT8_S7_lSA_S7_lS8_PT9_S7_li ; -- Begin function _ZL34rocblas_syrkx_herkx_general_kernelIi19rocblas_complex_numIdELi16ELi32ELi8ELb0ELb1ELc67ELc76EKPKS1_KPS1_EviT_T0_PT8_S7_lSA_S7_lS8_PT9_S7_li
	.p2align	8
	.type	_ZL34rocblas_syrkx_herkx_general_kernelIi19rocblas_complex_numIdELi16ELi32ELi8ELb0ELb1ELc67ELc76EKPKS1_KPS1_EviT_T0_PT8_S7_lSA_S7_lS8_PT9_S7_li,@function
_ZL34rocblas_syrkx_herkx_general_kernelIi19rocblas_complex_numIdELi16ELi32ELi8ELb0ELb1ELc67ELc76EKPKS1_KPS1_EviT_T0_PT8_S7_lSA_S7_lS8_PT9_S7_li: ; @_ZL34rocblas_syrkx_herkx_general_kernelIi19rocblas_complex_numIdELi16ELi32ELi8ELb0ELb1ELc67ELc76EKPKS1_KPS1_EviT_T0_PT8_S7_lSA_S7_lS8_PT9_S7_li
; %bb.0:
	s_load_dwordx2 s[20:21], s[4:5], 0x0
	s_load_dwordx4 s[12:15], s[4:5], 0x8
	s_load_dwordx2 s[10:11], s[4:5], 0x58
	s_load_dwordx2 s[0:1], s[4:5], 0x18
	s_load_dwordx4 s[16:19], s[4:5], 0x48
	s_mov_b32 s9, 0
	s_lshl_b64 s[2:3], s[8:9], 3
	s_waitcnt lgkmcnt(0)
	s_add_u32 s10, s10, s2
	s_addc_u32 s11, s11, s3
	s_load_dwordx2 s[10:11], s[10:11], 0x0
	s_lshl_b32 s8, s6, 5
	s_lshl_b32 s22, s7, 5
	s_cmp_lt_i32 s21, 1
	s_cbranch_scc1 .LBB916_9
; %bb.1:
	s_load_dword s23, s[4:5], 0x20
	s_load_dwordx2 s[6:7], s[4:5], 0x30
	s_load_dword s26, s[4:5], 0x38
	v_lshl_add_u32 v2, v1, 4, v0
	v_lshrrev_b32_e32 v28, 5, v2
	v_lshrrev_b32_e32 v3, 3, v2
	s_waitcnt lgkmcnt(0)
	s_add_u32 s6, s6, s2
	s_addc_u32 s7, s7, s3
	v_and_b32_e32 v2, 31, v2
	s_add_u32 s0, s0, s2
	v_or_b32_e32 v5, s8, v2
	s_addc_u32 s1, s1, s3
	v_and_b32_e32 v27, 7, v0
	s_load_dwordx2 s[24:25], s[0:1], 0x0
	v_cmp_gt_i32_e64 s[0:1], s20, v5
	v_lshlrev_b32_e32 v5, 4, v2
	v_lshl_or_b32 v29, v28, 9, v5
	v_lshlrev_b32_e32 v5, 4, v27
	v_add_u32_e32 v4, s22, v3
	v_lshl_or_b32 v3, v3, 7, v5
	v_add_u32_e32 v2, s8, v2
	v_add_u32_e32 v30, 0x1000, v3
	v_mad_i64_i32 v[2:3], s[2:3], s23, v2, 0
	v_mov_b32_e32 v6, 0x1000
	v_lshl_add_u32 v32, v1, 7, v6
	v_lshlrev_b64 v[2:3], 4, v[2:3]
	v_lshlrev_b32_e32 v6, 4, v28
	v_add_co_u32_e64 v6, s[2:3], v2, v6
	v_addc_co_u32_e64 v8, s[2:3], 0, v3, s[2:3]
	v_mad_i64_i32 v[2:3], s[2:3], s26, v4, 0
	s_load_dwordx2 s[6:7], s[6:7], 0x0
	s_waitcnt lgkmcnt(0)
	v_mov_b32_e32 v9, s25
	v_add_co_u32_e64 v7, s[2:3], s24, v6
	v_lshlrev_b64 v[2:3], 4, v[2:3]
	v_addc_co_u32_e64 v8, s[2:3], v9, v8, s[2:3]
	v_add_co_u32_e64 v2, s[2:3], v2, v5
	v_addc_co_u32_e64 v3, s[2:3], 0, v3, s[2:3]
	v_cmp_gt_i32_e32 vcc, s20, v4
	v_mov_b32_e32 v4, s7
	v_add_co_u32_e64 v9, s[2:3], s6, v2
	v_addc_co_u32_e64 v10, s[2:3], v4, v3, s[2:3]
	v_mov_b32_e32 v23, 0
	v_mov_b32_e32 v25, 0
	;; [unrolled: 1-line block ×8, first 2 shown]
	v_lshlrev_b32_e32 v31, 4, v0
	v_mov_b32_e32 v24, 0
	s_xor_b64 s[2:3], vcc, -1
	v_mov_b32_e32 v26, 0
	v_mov_b32_e32 v18, 0
	;; [unrolled: 1-line block ×8, first 2 shown]
	s_branch .LBB916_3
.LBB916_2:                              ;   in Loop: Header=BB916_3 Depth=1
	s_or_b64 exec, exec, s[6:7]
	s_waitcnt lgkmcnt(0)
	s_barrier
	ds_read_b128 v[3:6], v32
	ds_read_b128 v[33:36], v32 offset:16
	ds_read_b128 v[37:40], v32 offset:32
	;; [unrolled: 1-line block ×3, first 2 shown]
	ds_read_b128 v[45:48], v31
	v_add_co_u32_e32 v7, vcc, 0x80, v7
	v_addc_co_u32_e32 v8, vcc, 0, v8, vcc
	s_waitcnt lgkmcnt(0)
	v_mul_f64 v[49:50], v[5:6], v[47:48]
	v_mul_f64 v[51:52], v[3:4], v[47:48]
	s_add_i32 s9, s9, 8
	v_add_co_u32_e32 v9, vcc, 0x80, v9
	v_addc_co_u32_e32 v10, vcc, 0, v10, vcc
	s_cmp_ge_i32 s9, s21
	v_fma_f64 v[49:50], v[3:4], v[45:46], -v[49:50]
	v_fma_f64 v[51:52], v[5:6], v[45:46], v[51:52]
	v_add_f64 v[49:50], v[19:20], v[49:50]
	v_add_f64 v[51:52], v[51:52], v[21:22]
	ds_read_b128 v[19:22], v31 offset:256
	s_waitcnt lgkmcnt(0)
	v_mul_f64 v[53:54], v[5:6], v[21:22]
	v_fma_f64 v[53:54], v[3:4], v[19:20], -v[53:54]
	v_mul_f64 v[3:4], v[3:4], v[21:22]
	v_add_f64 v[53:54], v[11:12], v[53:54]
	v_fma_f64 v[3:4], v[5:6], v[19:20], v[3:4]
	v_add_f64 v[55:56], v[3:4], v[13:14]
	ds_read_b128 v[3:6], v32 offset:2048
	s_waitcnt lgkmcnt(0)
	v_mul_f64 v[11:12], v[5:6], v[47:48]
	v_mul_f64 v[13:14], v[3:4], v[47:48]
	v_fma_f64 v[11:12], v[3:4], v[45:46], -v[11:12]
	v_fma_f64 v[13:14], v[5:6], v[45:46], v[13:14]
	v_add_f64 v[45:46], v[15:16], v[11:12]
	v_mul_f64 v[11:12], v[5:6], v[21:22]
	v_add_f64 v[47:48], v[13:14], v[17:18]
	v_fma_f64 v[11:12], v[3:4], v[19:20], -v[11:12]
	v_mul_f64 v[3:4], v[3:4], v[21:22]
	v_fma_f64 v[3:4], v[5:6], v[19:20], v[3:4]
	v_add_f64 v[19:20], v[25:26], v[11:12]
	v_add_f64 v[21:22], v[3:4], v[23:24]
	ds_read_b128 v[3:6], v31 offset:512
	s_waitcnt lgkmcnt(0)
	v_mul_f64 v[11:12], v[35:36], v[5:6]
	v_mul_f64 v[13:14], v[33:34], v[5:6]
	v_fma_f64 v[11:12], v[33:34], v[3:4], -v[11:12]
	v_fma_f64 v[13:14], v[35:36], v[3:4], v[13:14]
	v_add_f64 v[23:24], v[49:50], v[11:12]
	v_add_f64 v[25:26], v[13:14], v[51:52]
	ds_read_b128 v[11:14], v31 offset:768
	s_waitcnt lgkmcnt(0)
	v_mul_f64 v[15:16], v[35:36], v[13:14]
	v_mul_f64 v[17:18], v[33:34], v[13:14]
	v_fma_f64 v[15:16], v[33:34], v[11:12], -v[15:16]
	;; [unrolled: 8-line block ×3, first 2 shown]
	v_fma_f64 v[3:4], v[17:18], v[3:4], v[5:6]
	v_mul_f64 v[5:6], v[15:16], v[13:14]
	v_add_f64 v[45:46], v[45:46], v[49:50]
	v_add_f64 v[47:48], v[3:4], v[47:48]
	v_mul_f64 v[3:4], v[17:18], v[13:14]
	v_fma_f64 v[5:6], v[17:18], v[11:12], v[5:6]
	v_fma_f64 v[3:4], v[15:16], v[11:12], -v[3:4]
	v_add_f64 v[21:22], v[5:6], v[21:22]
	v_add_f64 v[19:20], v[19:20], v[3:4]
	ds_read_b128 v[3:6], v31 offset:1024
	s_waitcnt lgkmcnt(0)
	v_mul_f64 v[11:12], v[39:40], v[5:6]
	v_mul_f64 v[13:14], v[37:38], v[5:6]
	v_fma_f64 v[11:12], v[37:38], v[3:4], -v[11:12]
	v_fma_f64 v[13:14], v[39:40], v[3:4], v[13:14]
	v_add_f64 v[23:24], v[23:24], v[11:12]
	v_add_f64 v[25:26], v[13:14], v[25:26]
	ds_read_b128 v[11:14], v31 offset:1280
	s_waitcnt lgkmcnt(0)
	v_mul_f64 v[15:16], v[39:40], v[13:14]
	v_mul_f64 v[17:18], v[37:38], v[13:14]
	v_fma_f64 v[15:16], v[37:38], v[11:12], -v[15:16]
	v_fma_f64 v[17:18], v[39:40], v[11:12], v[17:18]
	v_add_f64 v[33:34], v[33:34], v[15:16]
	v_add_f64 v[35:36], v[17:18], v[35:36]
	ds_read_b128 v[15:18], v32 offset:2080
	s_waitcnt lgkmcnt(0)
	v_mul_f64 v[37:38], v[17:18], v[5:6]
	v_mul_f64 v[5:6], v[15:16], v[5:6]
	v_fma_f64 v[37:38], v[15:16], v[3:4], -v[37:38]
	v_fma_f64 v[3:4], v[17:18], v[3:4], v[5:6]
	v_mul_f64 v[5:6], v[15:16], v[13:14]
	v_add_f64 v[37:38], v[45:46], v[37:38]
	v_add_f64 v[39:40], v[3:4], v[47:48]
	v_mul_f64 v[3:4], v[17:18], v[13:14]
	v_fma_f64 v[5:6], v[17:18], v[11:12], v[5:6]
	v_fma_f64 v[3:4], v[15:16], v[11:12], -v[3:4]
	v_add_f64 v[21:22], v[5:6], v[21:22]
	v_add_f64 v[19:20], v[19:20], v[3:4]
	ds_read_b128 v[3:6], v31 offset:1536
	s_waitcnt lgkmcnt(0)
	v_mul_f64 v[11:12], v[43:44], v[5:6]
	v_mul_f64 v[13:14], v[41:42], v[5:6]
	v_fma_f64 v[11:12], v[41:42], v[3:4], -v[11:12]
	v_fma_f64 v[13:14], v[43:44], v[3:4], v[13:14]
	v_add_f64 v[23:24], v[23:24], v[11:12]
	v_add_f64 v[25:26], v[13:14], v[25:26]
	ds_read_b128 v[11:14], v31 offset:1792
	s_waitcnt lgkmcnt(0)
	v_mul_f64 v[15:16], v[43:44], v[13:14]
	v_mul_f64 v[17:18], v[41:42], v[13:14]
	v_fma_f64 v[15:16], v[41:42], v[11:12], -v[15:16]
	v_fma_f64 v[17:18], v[43:44], v[11:12], v[17:18]
	;; [unrolled: 8-line block ×3, first 2 shown]
	v_mul_f64 v[5:6], v[15:16], v[13:14]
	v_add_f64 v[37:38], v[37:38], v[41:42]
	v_add_f64 v[39:40], v[3:4], v[39:40]
	v_mul_f64 v[3:4], v[17:18], v[13:14]
	v_fma_f64 v[5:6], v[17:18], v[11:12], v[5:6]
	v_fma_f64 v[3:4], v[15:16], v[11:12], -v[3:4]
	v_add_f64 v[21:22], v[5:6], v[21:22]
	v_add_f64 v[19:20], v[19:20], v[3:4]
	ds_read_b128 v[3:6], v32 offset:64
	ds_read_b128 v[11:14], v31 offset:2048
	s_waitcnt lgkmcnt(0)
	v_mul_f64 v[15:16], v[5:6], v[13:14]
	v_mul_f64 v[17:18], v[3:4], v[13:14]
	v_fma_f64 v[15:16], v[3:4], v[11:12], -v[15:16]
	v_fma_f64 v[17:18], v[5:6], v[11:12], v[17:18]
	v_add_f64 v[23:24], v[23:24], v[15:16]
	v_add_f64 v[25:26], v[17:18], v[25:26]
	ds_read_b128 v[15:18], v31 offset:2304
	s_waitcnt lgkmcnt(0)
	v_mul_f64 v[41:42], v[5:6], v[17:18]
	v_fma_f64 v[41:42], v[3:4], v[15:16], -v[41:42]
	v_mul_f64 v[3:4], v[3:4], v[17:18]
	v_add_f64 v[33:34], v[33:34], v[41:42]
	v_fma_f64 v[3:4], v[5:6], v[15:16], v[3:4]
	v_add_f64 v[35:36], v[3:4], v[35:36]
	ds_read_b128 v[3:6], v32 offset:2112
	s_waitcnt lgkmcnt(0)
	v_mul_f64 v[41:42], v[5:6], v[13:14]
	v_mul_f64 v[13:14], v[3:4], v[13:14]
	v_fma_f64 v[41:42], v[3:4], v[11:12], -v[41:42]
	v_fma_f64 v[11:12], v[5:6], v[11:12], v[13:14]
	v_add_f64 v[37:38], v[37:38], v[41:42]
	v_add_f64 v[39:40], v[11:12], v[39:40]
	v_mul_f64 v[11:12], v[5:6], v[17:18]
	v_fma_f64 v[11:12], v[3:4], v[15:16], -v[11:12]
	v_mul_f64 v[3:4], v[3:4], v[17:18]
	v_add_f64 v[19:20], v[19:20], v[11:12]
	v_fma_f64 v[3:4], v[5:6], v[15:16], v[3:4]
	v_add_f64 v[21:22], v[3:4], v[21:22]
	ds_read_b128 v[3:6], v32 offset:80
	ds_read_b128 v[11:14], v31 offset:2560
	s_waitcnt lgkmcnt(0)
	v_mul_f64 v[15:16], v[5:6], v[13:14]
	v_mul_f64 v[17:18], v[3:4], v[13:14]
	v_fma_f64 v[15:16], v[3:4], v[11:12], -v[15:16]
	v_fma_f64 v[17:18], v[5:6], v[11:12], v[17:18]
	v_add_f64 v[23:24], v[23:24], v[15:16]
	v_add_f64 v[25:26], v[17:18], v[25:26]
	ds_read_b128 v[15:18], v31 offset:2816
	s_waitcnt lgkmcnt(0)
	v_mul_f64 v[41:42], v[5:6], v[17:18]
	v_fma_f64 v[41:42], v[3:4], v[15:16], -v[41:42]
	v_mul_f64 v[3:4], v[3:4], v[17:18]
	v_add_f64 v[33:34], v[33:34], v[41:42]
	v_fma_f64 v[3:4], v[5:6], v[15:16], v[3:4]
	v_add_f64 v[35:36], v[3:4], v[35:36]
	ds_read_b128 v[3:6], v32 offset:2128
	s_waitcnt lgkmcnt(0)
	v_mul_f64 v[41:42], v[5:6], v[13:14]
	v_mul_f64 v[13:14], v[3:4], v[13:14]
	v_fma_f64 v[41:42], v[3:4], v[11:12], -v[41:42]
	v_fma_f64 v[11:12], v[5:6], v[11:12], v[13:14]
	v_add_f64 v[37:38], v[37:38], v[41:42]
	v_add_f64 v[39:40], v[11:12], v[39:40]
	v_mul_f64 v[11:12], v[5:6], v[17:18]
	v_fma_f64 v[11:12], v[3:4], v[15:16], -v[11:12]
	v_mul_f64 v[3:4], v[3:4], v[17:18]
	v_add_f64 v[19:20], v[19:20], v[11:12]
	v_fma_f64 v[3:4], v[5:6], v[15:16], v[3:4]
	;; [unrolled: 31-line block ×3, first 2 shown]
	v_add_f64 v[43:44], v[3:4], v[21:22]
	ds_read_b128 v[3:6], v32 offset:112
	ds_read_b128 v[15:18], v31 offset:3584
	s_waitcnt lgkmcnt(0)
	v_mul_f64 v[11:12], v[5:6], v[17:18]
	v_mul_f64 v[13:14], v[3:4], v[17:18]
	v_fma_f64 v[11:12], v[3:4], v[15:16], -v[11:12]
	v_fma_f64 v[13:14], v[5:6], v[15:16], v[13:14]
	v_add_f64 v[19:20], v[23:24], v[11:12]
	v_add_f64 v[21:22], v[13:14], v[25:26]
	ds_read_b128 v[23:26], v31 offset:3840
	s_waitcnt lgkmcnt(0)
	v_mul_f64 v[11:12], v[5:6], v[25:26]
	v_fma_f64 v[11:12], v[3:4], v[23:24], -v[11:12]
	v_mul_f64 v[3:4], v[3:4], v[25:26]
	v_add_f64 v[11:12], v[33:34], v[11:12]
	v_fma_f64 v[3:4], v[5:6], v[23:24], v[3:4]
	v_add_f64 v[13:14], v[3:4], v[35:36]
	ds_read_b128 v[3:6], v32 offset:2160
	s_waitcnt lgkmcnt(0)
	s_barrier
	v_mul_f64 v[33:34], v[5:6], v[17:18]
	v_mul_f64 v[17:18], v[3:4], v[17:18]
	v_fma_f64 v[33:34], v[3:4], v[15:16], -v[33:34]
	v_fma_f64 v[17:18], v[5:6], v[15:16], v[17:18]
	v_add_f64 v[15:16], v[37:38], v[33:34]
	v_mul_f64 v[33:34], v[5:6], v[25:26]
	v_add_f64 v[17:18], v[17:18], v[39:40]
	v_fma_f64 v[33:34], v[3:4], v[23:24], -v[33:34]
	v_mul_f64 v[3:4], v[3:4], v[25:26]
	v_add_f64 v[25:26], v[41:42], v[33:34]
	v_fma_f64 v[3:4], v[5:6], v[23:24], v[3:4]
	v_add_f64 v[23:24], v[3:4], v[43:44]
	s_cbranch_scc1 .LBB916_10
.LBB916_3:                              ; =>This Inner Loop Header: Depth=1
	v_add_u32_e32 v3, s9, v28
	v_cmp_gt_i32_e32 vcc, s21, v3
	v_mov_b32_e32 v3, 0
	v_mov_b32_e32 v5, 0
	v_mov_b32_e32 v4, 0
	v_mov_b32_e32 v6, 0
	s_and_b64 s[24:25], s[0:1], vcc
	s_and_saveexec_b64 s[6:7], s[24:25]
	s_cbranch_execz .LBB916_5
; %bb.4:                                ;   in Loop: Header=BB916_3 Depth=1
	flat_load_dwordx4 v[3:6], v[7:8]
	s_waitcnt vmcnt(0) lgkmcnt(0)
	v_xor_b32_e32 v6, 0x80000000, v6
.LBB916_5:                              ;   in Loop: Header=BB916_3 Depth=1
	s_or_b64 exec, exec, s[6:7]
	ds_write_b128 v29, v[3:6]
	v_add_u32_e32 v3, s9, v27
	v_cmp_le_i32_e32 vcc, s21, v3
	s_or_b64 s[6:7], vcc, s[2:3]
	s_and_saveexec_b64 s[24:25], s[6:7]
	s_xor_b64 s[6:7], exec, s[24:25]
; %bb.6:                                ;   in Loop: Header=BB916_3 Depth=1
	v_mov_b32_e32 v3, v2
	v_mov_b32_e32 v4, v2
	;; [unrolled: 1-line block ×3, first 2 shown]
	ds_write_b128 v30, v[2:5]
; %bb.7:                                ;   in Loop: Header=BB916_3 Depth=1
	s_andn2_saveexec_b64 s[6:7], s[6:7]
	s_cbranch_execz .LBB916_2
; %bb.8:                                ;   in Loop: Header=BB916_3 Depth=1
	flat_load_dwordx4 v[3:6], v[9:10]
	s_waitcnt vmcnt(0) lgkmcnt(0)
	ds_write2_b64 v30, v[3:4], v[5:6] offset1:1
	s_branch .LBB916_2
.LBB916_9:
	v_mov_b32_e32 v19, 0
	v_mov_b32_e32 v21, 0
	;; [unrolled: 1-line block ×16, first 2 shown]
.LBB916_10:
	s_load_dword s6, s[4:5], 0x60
	v_add_u32_e32 v4, s22, v1
	s_waitcnt lgkmcnt(0)
	v_mov_b32_e32 v3, s11
	v_add_u32_e32 v0, s8, v0
	v_mad_i64_i32 v[1:2], s[0:1], v4, s6, 0
	v_cmp_le_i32_e64 s[0:1], v4, v0
	v_lshlrev_b64 v[1:2], 4, v[1:2]
	v_add_co_u32_e32 v5, vcc, s10, v1
	v_addc_co_u32_e32 v6, vcc, v3, v2, vcc
	v_cmp_gt_i32_e32 vcc, s20, v0
	s_and_b64 s[0:1], s[0:1], vcc
	s_and_saveexec_b64 s[2:3], s[0:1]
	s_cbranch_execz .LBB916_12
; %bb.11:
	v_ashrrev_i32_e32 v1, 31, v0
	v_lshlrev_b64 v[1:2], 4, v[0:1]
	v_mul_f64 v[27:28], s[12:13], v[21:22]
	v_add_co_u32_e64 v1, s[0:1], v5, v1
	v_addc_co_u32_e64 v2, s[0:1], v6, v2, s[0:1]
	flat_load_dwordx4 v[7:10], v[1:2]
	v_mul_f64 v[21:22], s[14:15], v[21:22]
	v_cmp_ne_u32_e64 s[0:1], v4, v0
	v_fma_f64 v[27:28], s[14:15], v[19:20], v[27:28]
	v_fma_f64 v[19:20], s[12:13], v[19:20], -v[21:22]
	s_waitcnt vmcnt(0) lgkmcnt(0)
	v_mul_f64 v[29:30], s[16:17], v[9:10]
	v_mul_f64 v[9:10], s[18:19], v[9:10]
	v_fma_f64 v[29:30], s[18:19], v[7:8], v[29:30]
	v_fma_f64 v[7:8], s[16:17], v[7:8], -v[9:10]
	v_add_f64 v[9:10], v[27:28], v[29:30]
	v_add_f64 v[7:8], v[19:20], v[7:8]
	v_cndmask_b32_e64 v10, 0, v10, s[0:1]
	v_cndmask_b32_e64 v9, 0, v9, s[0:1]
	flat_store_dwordx4 v[1:2], v[7:10]
.LBB916_12:
	s_or_b64 exec, exec, s[2:3]
	v_add_u32_e32 v2, 16, v0
	v_cmp_le_i32_e64 s[2:3], v4, v2
	v_cmp_gt_i32_e64 s[0:1], s20, v2
	s_and_b64 s[2:3], s[2:3], s[0:1]
	s_and_saveexec_b64 s[4:5], s[2:3]
	s_cbranch_execz .LBB916_14
; %bb.13:
	v_ashrrev_i32_e32 v3, 31, v2
	v_lshlrev_b64 v[7:8], 4, v[2:3]
	v_mul_f64 v[19:20], s[12:13], v[13:14]
	v_add_co_u32_e64 v9, s[2:3], v5, v7
	v_addc_co_u32_e64 v10, s[2:3], v6, v8, s[2:3]
	flat_load_dwordx4 v[5:8], v[9:10]
	v_mul_f64 v[13:14], s[14:15], v[13:14]
	v_cmp_ne_u32_e64 s[2:3], v4, v2
	v_fma_f64 v[19:20], s[14:15], v[11:12], v[19:20]
	v_fma_f64 v[11:12], s[12:13], v[11:12], -v[13:14]
	s_waitcnt vmcnt(0) lgkmcnt(0)
	v_mul_f64 v[21:22], s[16:17], v[7:8]
	v_mul_f64 v[7:8], s[18:19], v[7:8]
	v_fma_f64 v[21:22], s[18:19], v[5:6], v[21:22]
	v_fma_f64 v[5:6], s[16:17], v[5:6], -v[7:8]
	v_add_f64 v[7:8], v[19:20], v[21:22]
	v_add_f64 v[5:6], v[11:12], v[5:6]
	v_cndmask_b32_e64 v8, 0, v8, s[2:3]
	v_cndmask_b32_e64 v7, 0, v7, s[2:3]
	flat_store_dwordx4 v[9:10], v[5:8]
.LBB916_14:
	s_or_b64 exec, exec, s[4:5]
	v_add_u32_e32 v3, 16, v4
	v_mad_i64_i32 v[5:6], s[2:3], v3, s6, 0
	v_mov_b32_e32 v1, s11
	v_lshlrev_b64 v[5:6], 4, v[5:6]
	v_add_co_u32_e64 v5, s[2:3], s10, v5
	v_addc_co_u32_e64 v6, s[2:3], v1, v6, s[2:3]
	v_cmp_le_i32_e64 s[2:3], v3, v0
	s_and_b64 s[4:5], s[2:3], vcc
	s_and_saveexec_b64 s[2:3], s[4:5]
	s_cbranch_execz .LBB916_16
; %bb.15:
	v_ashrrev_i32_e32 v1, 31, v0
	v_lshlrev_b64 v[7:8], 4, v[0:1]
	v_mul_f64 v[13:14], s[12:13], v[17:18]
	v_add_co_u32_e32 v11, vcc, v5, v7
	v_addc_co_u32_e32 v12, vcc, v6, v8, vcc
	flat_load_dwordx4 v[7:10], v[11:12]
	v_mul_f64 v[17:18], s[14:15], v[17:18]
	v_cmp_ne_u32_e32 vcc, v3, v0
	v_fma_f64 v[13:14], s[14:15], v[15:16], v[13:14]
	v_fma_f64 v[15:16], s[12:13], v[15:16], -v[17:18]
	s_waitcnt vmcnt(0) lgkmcnt(0)
	v_mul_f64 v[19:20], s[16:17], v[9:10]
	v_mul_f64 v[9:10], s[18:19], v[9:10]
	v_fma_f64 v[19:20], s[18:19], v[7:8], v[19:20]
	v_fma_f64 v[7:8], s[16:17], v[7:8], -v[9:10]
	v_add_f64 v[9:10], v[13:14], v[19:20]
	v_add_f64 v[7:8], v[15:16], v[7:8]
	v_cndmask_b32_e32 v10, 0, v10, vcc
	v_cndmask_b32_e32 v9, 0, v9, vcc
	flat_store_dwordx4 v[11:12], v[7:10]
.LBB916_16:
	s_or_b64 exec, exec, s[2:3]
	v_cmp_le_i32_e32 vcc, v3, v2
	s_and_b64 s[0:1], vcc, s[0:1]
	s_and_saveexec_b64 s[2:3], s[0:1]
	s_cbranch_execz .LBB916_18
; %bb.17:
	v_ashrrev_i32_e32 v3, 31, v2
	v_lshlrev_b64 v[1:2], 4, v[2:3]
	v_mul_f64 v[13:14], s[14:15], v[23:24]
	v_add_co_u32_e32 v9, vcc, v5, v1
	v_addc_co_u32_e32 v10, vcc, v6, v2, vcc
	flat_load_dwordx4 v[5:8], v[9:10]
	v_mul_f64 v[1:2], s[12:13], v[23:24]
	v_cmp_ne_u32_e32 vcc, v4, v0
	v_fma_f64 v[13:14], s[12:13], v[25:26], -v[13:14]
	v_fma_f64 v[1:2], s[14:15], v[25:26], v[1:2]
	s_waitcnt vmcnt(0) lgkmcnt(0)
	v_mul_f64 v[11:12], s[16:17], v[7:8]
	v_mul_f64 v[7:8], s[18:19], v[7:8]
	v_fma_f64 v[11:12], s[18:19], v[5:6], v[11:12]
	v_fma_f64 v[5:6], s[16:17], v[5:6], -v[7:8]
	v_add_f64 v[7:8], v[1:2], v[11:12]
	v_add_f64 v[1:2], v[13:14], v[5:6]
	v_cndmask_b32_e32 v4, 0, v8, vcc
	v_cndmask_b32_e32 v3, 0, v7, vcc
	flat_store_dwordx4 v[9:10], v[1:4]
.LBB916_18:
	s_endpgm
	.section	.rodata,"a",@progbits
	.p2align	6, 0x0
	.amdhsa_kernel _ZL34rocblas_syrkx_herkx_general_kernelIi19rocblas_complex_numIdELi16ELi32ELi8ELb0ELb1ELc67ELc76EKPKS1_KPS1_EviT_T0_PT8_S7_lSA_S7_lS8_PT9_S7_li
		.amdhsa_group_segment_fixed_size 8192
		.amdhsa_private_segment_fixed_size 0
		.amdhsa_kernarg_size 116
		.amdhsa_user_sgpr_count 6
		.amdhsa_user_sgpr_private_segment_buffer 1
		.amdhsa_user_sgpr_dispatch_ptr 0
		.amdhsa_user_sgpr_queue_ptr 0
		.amdhsa_user_sgpr_kernarg_segment_ptr 1
		.amdhsa_user_sgpr_dispatch_id 0
		.amdhsa_user_sgpr_flat_scratch_init 0
		.amdhsa_user_sgpr_private_segment_size 0
		.amdhsa_uses_dynamic_stack 0
		.amdhsa_system_sgpr_private_segment_wavefront_offset 0
		.amdhsa_system_sgpr_workgroup_id_x 1
		.amdhsa_system_sgpr_workgroup_id_y 1
		.amdhsa_system_sgpr_workgroup_id_z 1
		.amdhsa_system_sgpr_workgroup_info 0
		.amdhsa_system_vgpr_workitem_id 1
		.amdhsa_next_free_vgpr 57
		.amdhsa_next_free_sgpr 61
		.amdhsa_reserve_vcc 1
		.amdhsa_reserve_flat_scratch 0
		.amdhsa_float_round_mode_32 0
		.amdhsa_float_round_mode_16_64 0
		.amdhsa_float_denorm_mode_32 3
		.amdhsa_float_denorm_mode_16_64 3
		.amdhsa_dx10_clamp 1
		.amdhsa_ieee_mode 1
		.amdhsa_fp16_overflow 0
		.amdhsa_exception_fp_ieee_invalid_op 0
		.amdhsa_exception_fp_denorm_src 0
		.amdhsa_exception_fp_ieee_div_zero 0
		.amdhsa_exception_fp_ieee_overflow 0
		.amdhsa_exception_fp_ieee_underflow 0
		.amdhsa_exception_fp_ieee_inexact 0
		.amdhsa_exception_int_div_zero 0
	.end_amdhsa_kernel
	.section	.text._ZL34rocblas_syrkx_herkx_general_kernelIi19rocblas_complex_numIdELi16ELi32ELi8ELb0ELb1ELc67ELc76EKPKS1_KPS1_EviT_T0_PT8_S7_lSA_S7_lS8_PT9_S7_li,"axG",@progbits,_ZL34rocblas_syrkx_herkx_general_kernelIi19rocblas_complex_numIdELi16ELi32ELi8ELb0ELb1ELc67ELc76EKPKS1_KPS1_EviT_T0_PT8_S7_lSA_S7_lS8_PT9_S7_li,comdat
.Lfunc_end916:
	.size	_ZL34rocblas_syrkx_herkx_general_kernelIi19rocblas_complex_numIdELi16ELi32ELi8ELb0ELb1ELc67ELc76EKPKS1_KPS1_EviT_T0_PT8_S7_lSA_S7_lS8_PT9_S7_li, .Lfunc_end916-_ZL34rocblas_syrkx_herkx_general_kernelIi19rocblas_complex_numIdELi16ELi32ELi8ELb0ELb1ELc67ELc76EKPKS1_KPS1_EviT_T0_PT8_S7_lSA_S7_lS8_PT9_S7_li
                                        ; -- End function
	.set _ZL34rocblas_syrkx_herkx_general_kernelIi19rocblas_complex_numIdELi16ELi32ELi8ELb0ELb1ELc67ELc76EKPKS1_KPS1_EviT_T0_PT8_S7_lSA_S7_lS8_PT9_S7_li.num_vgpr, 57
	.set _ZL34rocblas_syrkx_herkx_general_kernelIi19rocblas_complex_numIdELi16ELi32ELi8ELb0ELb1ELc67ELc76EKPKS1_KPS1_EviT_T0_PT8_S7_lSA_S7_lS8_PT9_S7_li.num_agpr, 0
	.set _ZL34rocblas_syrkx_herkx_general_kernelIi19rocblas_complex_numIdELi16ELi32ELi8ELb0ELb1ELc67ELc76EKPKS1_KPS1_EviT_T0_PT8_S7_lSA_S7_lS8_PT9_S7_li.numbered_sgpr, 27
	.set _ZL34rocblas_syrkx_herkx_general_kernelIi19rocblas_complex_numIdELi16ELi32ELi8ELb0ELb1ELc67ELc76EKPKS1_KPS1_EviT_T0_PT8_S7_lSA_S7_lS8_PT9_S7_li.num_named_barrier, 0
	.set _ZL34rocblas_syrkx_herkx_general_kernelIi19rocblas_complex_numIdELi16ELi32ELi8ELb0ELb1ELc67ELc76EKPKS1_KPS1_EviT_T0_PT8_S7_lSA_S7_lS8_PT9_S7_li.private_seg_size, 0
	.set _ZL34rocblas_syrkx_herkx_general_kernelIi19rocblas_complex_numIdELi16ELi32ELi8ELb0ELb1ELc67ELc76EKPKS1_KPS1_EviT_T0_PT8_S7_lSA_S7_lS8_PT9_S7_li.uses_vcc, 1
	.set _ZL34rocblas_syrkx_herkx_general_kernelIi19rocblas_complex_numIdELi16ELi32ELi8ELb0ELb1ELc67ELc76EKPKS1_KPS1_EviT_T0_PT8_S7_lSA_S7_lS8_PT9_S7_li.uses_flat_scratch, 0
	.set _ZL34rocblas_syrkx_herkx_general_kernelIi19rocblas_complex_numIdELi16ELi32ELi8ELb0ELb1ELc67ELc76EKPKS1_KPS1_EviT_T0_PT8_S7_lSA_S7_lS8_PT9_S7_li.has_dyn_sized_stack, 0
	.set _ZL34rocblas_syrkx_herkx_general_kernelIi19rocblas_complex_numIdELi16ELi32ELi8ELb0ELb1ELc67ELc76EKPKS1_KPS1_EviT_T0_PT8_S7_lSA_S7_lS8_PT9_S7_li.has_recursion, 0
	.set _ZL34rocblas_syrkx_herkx_general_kernelIi19rocblas_complex_numIdELi16ELi32ELi8ELb0ELb1ELc67ELc76EKPKS1_KPS1_EviT_T0_PT8_S7_lSA_S7_lS8_PT9_S7_li.has_indirect_call, 0
	.section	.AMDGPU.csdata,"",@progbits
; Kernel info:
; codeLenInByte = 3340
; TotalNumSgprs: 31
; NumVgprs: 57
; ScratchSize: 0
; MemoryBound: 1
; FloatMode: 240
; IeeeMode: 1
; LDSByteSize: 8192 bytes/workgroup (compile time only)
; SGPRBlocks: 8
; VGPRBlocks: 14
; NumSGPRsForWavesPerEU: 65
; NumVGPRsForWavesPerEU: 57
; Occupancy: 4
; WaveLimiterHint : 1
; COMPUTE_PGM_RSRC2:SCRATCH_EN: 0
; COMPUTE_PGM_RSRC2:USER_SGPR: 6
; COMPUTE_PGM_RSRC2:TRAP_HANDLER: 0
; COMPUTE_PGM_RSRC2:TGID_X_EN: 1
; COMPUTE_PGM_RSRC2:TGID_Y_EN: 1
; COMPUTE_PGM_RSRC2:TGID_Z_EN: 1
; COMPUTE_PGM_RSRC2:TIDIG_COMP_CNT: 1
	.section	.text._ZL34rocblas_syrkx_herkx_general_kernelIi19rocblas_complex_numIdELi16ELi32ELi8ELb0ELb1ELc78ELc76EKPKS1_KPS1_EviT_T0_PT8_S7_lSA_S7_lS8_PT9_S7_li,"axG",@progbits,_ZL34rocblas_syrkx_herkx_general_kernelIi19rocblas_complex_numIdELi16ELi32ELi8ELb0ELb1ELc78ELc76EKPKS1_KPS1_EviT_T0_PT8_S7_lSA_S7_lS8_PT9_S7_li,comdat
	.globl	_ZL34rocblas_syrkx_herkx_general_kernelIi19rocblas_complex_numIdELi16ELi32ELi8ELb0ELb1ELc78ELc76EKPKS1_KPS1_EviT_T0_PT8_S7_lSA_S7_lS8_PT9_S7_li ; -- Begin function _ZL34rocblas_syrkx_herkx_general_kernelIi19rocblas_complex_numIdELi16ELi32ELi8ELb0ELb1ELc78ELc76EKPKS1_KPS1_EviT_T0_PT8_S7_lSA_S7_lS8_PT9_S7_li
	.p2align	8
	.type	_ZL34rocblas_syrkx_herkx_general_kernelIi19rocblas_complex_numIdELi16ELi32ELi8ELb0ELb1ELc78ELc76EKPKS1_KPS1_EviT_T0_PT8_S7_lSA_S7_lS8_PT9_S7_li,@function
_ZL34rocblas_syrkx_herkx_general_kernelIi19rocblas_complex_numIdELi16ELi32ELi8ELb0ELb1ELc78ELc76EKPKS1_KPS1_EviT_T0_PT8_S7_lSA_S7_lS8_PT9_S7_li: ; @_ZL34rocblas_syrkx_herkx_general_kernelIi19rocblas_complex_numIdELi16ELi32ELi8ELb0ELb1ELc78ELc76EKPKS1_KPS1_EviT_T0_PT8_S7_lSA_S7_lS8_PT9_S7_li
; %bb.0:
	s_load_dwordx2 s[20:21], s[4:5], 0x0
	s_load_dwordx4 s[12:15], s[4:5], 0x8
	s_load_dwordx2 s[10:11], s[4:5], 0x58
	s_load_dwordx2 s[0:1], s[4:5], 0x18
	s_load_dwordx4 s[16:19], s[4:5], 0x48
	s_mov_b32 s9, 0
	s_lshl_b64 s[2:3], s[8:9], 3
	s_waitcnt lgkmcnt(0)
	s_add_u32 s10, s10, s2
	s_addc_u32 s11, s11, s3
	s_load_dwordx2 s[10:11], s[10:11], 0x0
	s_lshl_b32 s8, s6, 5
	s_lshl_b32 s24, s7, 5
	s_cmp_lt_i32 s21, 1
	s_cbranch_scc1 .LBB917_9
; %bb.1:
	s_load_dword s6, s[4:5], 0x20
	s_load_dword s22, s[4:5], 0x38
	s_load_dwordx2 s[26:27], s[4:5], 0x30
	v_lshl_add_u32 v3, v1, 4, v0
	v_and_b32_e32 v6, 31, v3
	s_waitcnt lgkmcnt(0)
	s_ashr_i32 s7, s6, 31
	s_ashr_i32 s23, s22, 31
	s_add_u32 s26, s26, s2
	s_addc_u32 s27, s27, s3
	s_add_u32 s0, s0, s2
	v_lshrrev_b32_e32 v28, 5, v3
	v_lshrrev_b32_e32 v4, 3, v3
	v_or_b32_e32 v3, s8, v6
	s_addc_u32 s1, s1, s3
	v_and_b32_e32 v27, 7, v0
	s_load_dwordx2 s[28:29], s[0:1], 0x0
	v_cmp_gt_i32_e64 s[0:1], s20, v3
	v_lshlrev_b32_e32 v3, 4, v6
	v_lshl_or_b32 v29, v28, 9, v3
	v_lshlrev_b32_e32 v3, 4, v27
	v_add_u32_e32 v2, s24, v4
	v_lshl_or_b32 v3, v4, 7, v3
	v_mad_i64_i32 v[4:5], s[2:3], v28, s6, 0
	v_mov_b32_e32 v7, 0x1000
	v_add_u32_e32 v6, s8, v6
	v_lshl_add_u32 v32, v1, 7, v7
	v_ashrrev_i32_e32 v7, 31, v6
	v_lshlrev_b64 v[4:5], 4, v[4:5]
	v_lshlrev_b64 v[6:7], 4, v[6:7]
	s_load_dwordx2 s[26:27], s[26:27], 0x0
	v_add_co_u32_e64 v6, s[2:3], v4, v6
	v_addc_co_u32_e64 v8, s[2:3], v5, v7, s[2:3]
	v_mad_i64_i32 v[4:5], s[2:3], s22, v27, 0
	v_add_u32_e32 v30, 0x1000, v3
	v_ashrrev_i32_e32 v3, 31, v2
	v_cmp_gt_i32_e32 vcc, s20, v2
	s_waitcnt lgkmcnt(0)
	v_mov_b32_e32 v9, s29
	v_add_co_u32_e64 v7, s[2:3], s28, v6
	v_lshlrev_b64 v[4:5], 4, v[4:5]
	v_lshlrev_b64 v[2:3], 4, v[2:3]
	v_addc_co_u32_e64 v8, s[2:3], v9, v8, s[2:3]
	v_add_co_u32_e64 v2, s[2:3], v4, v2
	v_addc_co_u32_e64 v3, s[2:3], v5, v3, s[2:3]
	v_mov_b32_e32 v4, s27
	v_add_co_u32_e64 v9, s[2:3], s26, v2
	v_addc_co_u32_e64 v10, s[2:3], v4, v3, s[2:3]
	s_lshl_b64 s[6:7], s[6:7], 7
	s_lshl_b64 s[2:3], s[22:23], 7
	v_mov_b32_e32 v23, 0
	v_mov_b32_e32 v25, 0
	;; [unrolled: 1-line block ×8, first 2 shown]
	v_lshlrev_b32_e32 v31, 4, v0
	v_mov_b32_e32 v24, 0
	s_xor_b64 s[22:23], s[0:1], -1
	v_mov_b32_e32 v33, s7
	v_mov_b32_e32 v34, s3
	;; [unrolled: 1-line block ×10, first 2 shown]
	s_branch .LBB917_3
.LBB917_2:                              ;   in Loop: Header=BB917_3 Depth=1
	s_or_b64 exec, exec, s[0:1]
	ds_write_b128 v30, v[3:6]
	s_waitcnt lgkmcnt(0)
	s_barrier
	ds_read_b128 v[3:6], v32
	ds_read_b128 v[35:38], v32 offset:16
	ds_read_b128 v[39:42], v32 offset:32
	;; [unrolled: 1-line block ×3, first 2 shown]
	ds_read_b128 v[47:50], v31
	v_add_co_u32_e64 v7, s[0:1], s6, v7
	v_addc_co_u32_e64 v8, s[0:1], v8, v33, s[0:1]
	s_waitcnt lgkmcnt(0)
	v_mul_f64 v[51:52], v[5:6], v[49:50]
	v_mul_f64 v[53:54], v[3:4], v[49:50]
	s_add_i32 s9, s9, 8
	v_add_co_u32_e64 v9, s[0:1], s2, v9
	v_addc_co_u32_e64 v10, s[0:1], v10, v34, s[0:1]
	s_cmp_ge_i32 s9, s21
	v_fma_f64 v[51:52], v[3:4], v[47:48], -v[51:52]
	v_fma_f64 v[53:54], v[5:6], v[47:48], v[53:54]
	v_add_f64 v[51:52], v[19:20], v[51:52]
	v_add_f64 v[53:54], v[53:54], v[21:22]
	ds_read_b128 v[19:22], v31 offset:256
	s_waitcnt lgkmcnt(0)
	v_mul_f64 v[55:56], v[5:6], v[21:22]
	v_fma_f64 v[55:56], v[3:4], v[19:20], -v[55:56]
	v_mul_f64 v[3:4], v[3:4], v[21:22]
	v_add_f64 v[55:56], v[11:12], v[55:56]
	v_fma_f64 v[3:4], v[5:6], v[19:20], v[3:4]
	v_add_f64 v[57:58], v[3:4], v[13:14]
	ds_read_b128 v[3:6], v32 offset:2048
	s_waitcnt lgkmcnt(0)
	v_mul_f64 v[11:12], v[5:6], v[49:50]
	v_mul_f64 v[13:14], v[3:4], v[49:50]
	v_fma_f64 v[11:12], v[3:4], v[47:48], -v[11:12]
	v_fma_f64 v[13:14], v[5:6], v[47:48], v[13:14]
	v_add_f64 v[47:48], v[15:16], v[11:12]
	v_mul_f64 v[11:12], v[5:6], v[21:22]
	v_add_f64 v[49:50], v[13:14], v[17:18]
	v_fma_f64 v[11:12], v[3:4], v[19:20], -v[11:12]
	v_mul_f64 v[3:4], v[3:4], v[21:22]
	v_fma_f64 v[3:4], v[5:6], v[19:20], v[3:4]
	v_add_f64 v[19:20], v[25:26], v[11:12]
	v_add_f64 v[21:22], v[3:4], v[23:24]
	ds_read_b128 v[3:6], v31 offset:512
	s_waitcnt lgkmcnt(0)
	v_mul_f64 v[11:12], v[37:38], v[5:6]
	v_mul_f64 v[13:14], v[35:36], v[5:6]
	v_fma_f64 v[11:12], v[35:36], v[3:4], -v[11:12]
	v_fma_f64 v[13:14], v[37:38], v[3:4], v[13:14]
	v_add_f64 v[23:24], v[51:52], v[11:12]
	v_add_f64 v[25:26], v[13:14], v[53:54]
	ds_read_b128 v[11:14], v31 offset:768
	s_waitcnt lgkmcnt(0)
	v_mul_f64 v[15:16], v[37:38], v[13:14]
	v_mul_f64 v[17:18], v[35:36], v[13:14]
	v_fma_f64 v[15:16], v[35:36], v[11:12], -v[15:16]
	;; [unrolled: 8-line block ×3, first 2 shown]
	v_fma_f64 v[3:4], v[17:18], v[3:4], v[5:6]
	v_mul_f64 v[5:6], v[15:16], v[13:14]
	v_add_f64 v[47:48], v[47:48], v[51:52]
	v_add_f64 v[49:50], v[3:4], v[49:50]
	v_mul_f64 v[3:4], v[17:18], v[13:14]
	v_fma_f64 v[5:6], v[17:18], v[11:12], v[5:6]
	v_fma_f64 v[3:4], v[15:16], v[11:12], -v[3:4]
	v_add_f64 v[21:22], v[5:6], v[21:22]
	v_add_f64 v[19:20], v[19:20], v[3:4]
	ds_read_b128 v[3:6], v31 offset:1024
	s_waitcnt lgkmcnt(0)
	v_mul_f64 v[11:12], v[41:42], v[5:6]
	v_mul_f64 v[13:14], v[39:40], v[5:6]
	v_fma_f64 v[11:12], v[39:40], v[3:4], -v[11:12]
	v_fma_f64 v[13:14], v[41:42], v[3:4], v[13:14]
	v_add_f64 v[23:24], v[23:24], v[11:12]
	v_add_f64 v[25:26], v[13:14], v[25:26]
	ds_read_b128 v[11:14], v31 offset:1280
	s_waitcnt lgkmcnt(0)
	v_mul_f64 v[15:16], v[41:42], v[13:14]
	v_mul_f64 v[17:18], v[39:40], v[13:14]
	v_fma_f64 v[15:16], v[39:40], v[11:12], -v[15:16]
	v_fma_f64 v[17:18], v[41:42], v[11:12], v[17:18]
	;; [unrolled: 8-line block ×3, first 2 shown]
	v_mul_f64 v[5:6], v[15:16], v[13:14]
	v_add_f64 v[39:40], v[47:48], v[39:40]
	v_add_f64 v[41:42], v[3:4], v[49:50]
	v_mul_f64 v[3:4], v[17:18], v[13:14]
	v_fma_f64 v[5:6], v[17:18], v[11:12], v[5:6]
	v_fma_f64 v[3:4], v[15:16], v[11:12], -v[3:4]
	v_add_f64 v[21:22], v[5:6], v[21:22]
	v_add_f64 v[19:20], v[19:20], v[3:4]
	ds_read_b128 v[3:6], v31 offset:1536
	s_waitcnt lgkmcnt(0)
	v_mul_f64 v[11:12], v[45:46], v[5:6]
	v_mul_f64 v[13:14], v[43:44], v[5:6]
	v_fma_f64 v[11:12], v[43:44], v[3:4], -v[11:12]
	v_fma_f64 v[13:14], v[45:46], v[3:4], v[13:14]
	v_add_f64 v[23:24], v[23:24], v[11:12]
	v_add_f64 v[25:26], v[13:14], v[25:26]
	ds_read_b128 v[11:14], v31 offset:1792
	s_waitcnt lgkmcnt(0)
	v_mul_f64 v[15:16], v[45:46], v[13:14]
	v_mul_f64 v[17:18], v[43:44], v[13:14]
	v_fma_f64 v[15:16], v[43:44], v[11:12], -v[15:16]
	v_fma_f64 v[17:18], v[45:46], v[11:12], v[17:18]
	;; [unrolled: 8-line block ×3, first 2 shown]
	v_mul_f64 v[5:6], v[15:16], v[13:14]
	v_add_f64 v[39:40], v[39:40], v[43:44]
	v_add_f64 v[41:42], v[3:4], v[41:42]
	v_mul_f64 v[3:4], v[17:18], v[13:14]
	v_fma_f64 v[5:6], v[17:18], v[11:12], v[5:6]
	v_fma_f64 v[3:4], v[15:16], v[11:12], -v[3:4]
	v_add_f64 v[21:22], v[5:6], v[21:22]
	v_add_f64 v[19:20], v[19:20], v[3:4]
	ds_read_b128 v[3:6], v32 offset:64
	ds_read_b128 v[11:14], v31 offset:2048
	s_waitcnt lgkmcnt(0)
	v_mul_f64 v[15:16], v[5:6], v[13:14]
	v_mul_f64 v[17:18], v[3:4], v[13:14]
	v_fma_f64 v[15:16], v[3:4], v[11:12], -v[15:16]
	v_fma_f64 v[17:18], v[5:6], v[11:12], v[17:18]
	v_add_f64 v[23:24], v[23:24], v[15:16]
	v_add_f64 v[25:26], v[17:18], v[25:26]
	ds_read_b128 v[15:18], v31 offset:2304
	s_waitcnt lgkmcnt(0)
	v_mul_f64 v[43:44], v[5:6], v[17:18]
	v_fma_f64 v[43:44], v[3:4], v[15:16], -v[43:44]
	v_mul_f64 v[3:4], v[3:4], v[17:18]
	v_add_f64 v[35:36], v[35:36], v[43:44]
	v_fma_f64 v[3:4], v[5:6], v[15:16], v[3:4]
	v_add_f64 v[37:38], v[3:4], v[37:38]
	ds_read_b128 v[3:6], v32 offset:2112
	s_waitcnt lgkmcnt(0)
	v_mul_f64 v[43:44], v[5:6], v[13:14]
	v_mul_f64 v[13:14], v[3:4], v[13:14]
	v_fma_f64 v[43:44], v[3:4], v[11:12], -v[43:44]
	v_fma_f64 v[11:12], v[5:6], v[11:12], v[13:14]
	v_add_f64 v[39:40], v[39:40], v[43:44]
	v_add_f64 v[41:42], v[11:12], v[41:42]
	v_mul_f64 v[11:12], v[5:6], v[17:18]
	v_fma_f64 v[11:12], v[3:4], v[15:16], -v[11:12]
	v_mul_f64 v[3:4], v[3:4], v[17:18]
	v_add_f64 v[19:20], v[19:20], v[11:12]
	v_fma_f64 v[3:4], v[5:6], v[15:16], v[3:4]
	v_add_f64 v[21:22], v[3:4], v[21:22]
	ds_read_b128 v[3:6], v32 offset:80
	ds_read_b128 v[11:14], v31 offset:2560
	s_waitcnt lgkmcnt(0)
	v_mul_f64 v[15:16], v[5:6], v[13:14]
	v_mul_f64 v[17:18], v[3:4], v[13:14]
	v_fma_f64 v[15:16], v[3:4], v[11:12], -v[15:16]
	v_fma_f64 v[17:18], v[5:6], v[11:12], v[17:18]
	v_add_f64 v[23:24], v[23:24], v[15:16]
	v_add_f64 v[25:26], v[17:18], v[25:26]
	ds_read_b128 v[15:18], v31 offset:2816
	s_waitcnt lgkmcnt(0)
	v_mul_f64 v[43:44], v[5:6], v[17:18]
	v_fma_f64 v[43:44], v[3:4], v[15:16], -v[43:44]
	v_mul_f64 v[3:4], v[3:4], v[17:18]
	v_add_f64 v[35:36], v[35:36], v[43:44]
	v_fma_f64 v[3:4], v[5:6], v[15:16], v[3:4]
	v_add_f64 v[37:38], v[3:4], v[37:38]
	ds_read_b128 v[3:6], v32 offset:2128
	s_waitcnt lgkmcnt(0)
	v_mul_f64 v[43:44], v[5:6], v[13:14]
	v_mul_f64 v[13:14], v[3:4], v[13:14]
	v_fma_f64 v[43:44], v[3:4], v[11:12], -v[43:44]
	v_fma_f64 v[11:12], v[5:6], v[11:12], v[13:14]
	v_add_f64 v[39:40], v[39:40], v[43:44]
	v_add_f64 v[41:42], v[11:12], v[41:42]
	v_mul_f64 v[11:12], v[5:6], v[17:18]
	v_fma_f64 v[11:12], v[3:4], v[15:16], -v[11:12]
	v_mul_f64 v[3:4], v[3:4], v[17:18]
	v_add_f64 v[19:20], v[19:20], v[11:12]
	v_fma_f64 v[3:4], v[5:6], v[15:16], v[3:4]
	;; [unrolled: 31-line block ×3, first 2 shown]
	v_add_f64 v[45:46], v[3:4], v[21:22]
	ds_read_b128 v[3:6], v32 offset:112
	ds_read_b128 v[15:18], v31 offset:3584
	s_waitcnt lgkmcnt(0)
	v_mul_f64 v[11:12], v[5:6], v[17:18]
	v_mul_f64 v[13:14], v[3:4], v[17:18]
	v_fma_f64 v[11:12], v[3:4], v[15:16], -v[11:12]
	v_fma_f64 v[13:14], v[5:6], v[15:16], v[13:14]
	v_add_f64 v[19:20], v[23:24], v[11:12]
	v_add_f64 v[21:22], v[13:14], v[25:26]
	ds_read_b128 v[23:26], v31 offset:3840
	s_waitcnt lgkmcnt(0)
	v_mul_f64 v[11:12], v[5:6], v[25:26]
	v_fma_f64 v[11:12], v[3:4], v[23:24], -v[11:12]
	v_mul_f64 v[3:4], v[3:4], v[25:26]
	v_add_f64 v[11:12], v[35:36], v[11:12]
	v_fma_f64 v[3:4], v[5:6], v[23:24], v[3:4]
	v_add_f64 v[13:14], v[3:4], v[37:38]
	ds_read_b128 v[3:6], v32 offset:2160
	s_waitcnt lgkmcnt(0)
	s_barrier
	v_mul_f64 v[35:36], v[5:6], v[17:18]
	v_mul_f64 v[17:18], v[3:4], v[17:18]
	v_fma_f64 v[35:36], v[3:4], v[15:16], -v[35:36]
	v_fma_f64 v[17:18], v[5:6], v[15:16], v[17:18]
	v_add_f64 v[15:16], v[39:40], v[35:36]
	v_mul_f64 v[35:36], v[5:6], v[25:26]
	v_add_f64 v[17:18], v[17:18], v[41:42]
	v_fma_f64 v[35:36], v[3:4], v[23:24], -v[35:36]
	v_mul_f64 v[3:4], v[3:4], v[25:26]
	v_add_f64 v[25:26], v[43:44], v[35:36]
	v_fma_f64 v[3:4], v[5:6], v[23:24], v[3:4]
	v_add_f64 v[23:24], v[3:4], v[45:46]
	s_cbranch_scc1 .LBB917_10
.LBB917_3:                              ; =>This Inner Loop Header: Depth=1
	v_add_u32_e32 v3, s9, v28
	v_cmp_le_i32_e64 s[0:1], s21, v3
	s_or_b64 s[0:1], s[22:23], s[0:1]
	s_and_saveexec_b64 s[26:27], s[0:1]
	s_xor_b64 s[0:1], exec, s[26:27]
; %bb.4:                                ;   in Loop: Header=BB917_3 Depth=1
	v_mov_b32_e32 v3, v2
	v_mov_b32_e32 v4, v2
	;; [unrolled: 1-line block ×3, first 2 shown]
	ds_write_b128 v29, v[2:5]
; %bb.5:                                ;   in Loop: Header=BB917_3 Depth=1
	s_andn2_saveexec_b64 s[0:1], s[0:1]
	s_cbranch_execz .LBB917_7
; %bb.6:                                ;   in Loop: Header=BB917_3 Depth=1
	flat_load_dwordx4 v[3:6], v[7:8]
	s_waitcnt vmcnt(0) lgkmcnt(0)
	ds_write2_b64 v29, v[3:4], v[5:6] offset1:1
.LBB917_7:                              ;   in Loop: Header=BB917_3 Depth=1
	s_or_b64 exec, exec, s[0:1]
	v_add_u32_e32 v3, s9, v27
	v_cmp_gt_i32_e64 s[0:1], s21, v3
	v_mov_b32_e32 v3, 0
	v_mov_b32_e32 v5, 0
	;; [unrolled: 1-line block ×4, first 2 shown]
	s_and_b64 s[26:27], s[0:1], vcc
	s_and_saveexec_b64 s[0:1], s[26:27]
	s_cbranch_execz .LBB917_2
; %bb.8:                                ;   in Loop: Header=BB917_3 Depth=1
	flat_load_dwordx4 v[3:6], v[9:10]
	s_waitcnt vmcnt(0) lgkmcnt(0)
	v_xor_b32_e32 v6, 0x80000000, v6
	s_branch .LBB917_2
.LBB917_9:
	v_mov_b32_e32 v19, 0
	v_mov_b32_e32 v21, 0
	;; [unrolled: 1-line block ×16, first 2 shown]
.LBB917_10:
	s_load_dword s6, s[4:5], 0x60
	v_add_u32_e32 v4, s24, v1
	s_waitcnt lgkmcnt(0)
	v_mov_b32_e32 v3, s11
	v_add_u32_e32 v0, s8, v0
	v_mad_i64_i32 v[1:2], s[0:1], v4, s6, 0
	v_cmp_le_i32_e64 s[0:1], v4, v0
	v_lshlrev_b64 v[1:2], 4, v[1:2]
	v_add_co_u32_e32 v5, vcc, s10, v1
	v_addc_co_u32_e32 v6, vcc, v3, v2, vcc
	v_cmp_gt_i32_e32 vcc, s20, v0
	s_and_b64 s[0:1], s[0:1], vcc
	s_and_saveexec_b64 s[2:3], s[0:1]
	s_cbranch_execz .LBB917_12
; %bb.11:
	v_ashrrev_i32_e32 v1, 31, v0
	v_lshlrev_b64 v[1:2], 4, v[0:1]
	v_mul_f64 v[27:28], s[12:13], v[21:22]
	v_add_co_u32_e64 v1, s[0:1], v5, v1
	v_addc_co_u32_e64 v2, s[0:1], v6, v2, s[0:1]
	flat_load_dwordx4 v[7:10], v[1:2]
	v_mul_f64 v[21:22], s[14:15], v[21:22]
	v_cmp_ne_u32_e64 s[0:1], v4, v0
	v_fma_f64 v[27:28], s[14:15], v[19:20], v[27:28]
	v_fma_f64 v[19:20], s[12:13], v[19:20], -v[21:22]
	s_waitcnt vmcnt(0) lgkmcnt(0)
	v_mul_f64 v[29:30], s[16:17], v[9:10]
	v_mul_f64 v[9:10], s[18:19], v[9:10]
	v_fma_f64 v[29:30], s[18:19], v[7:8], v[29:30]
	v_fma_f64 v[7:8], s[16:17], v[7:8], -v[9:10]
	v_add_f64 v[9:10], v[27:28], v[29:30]
	v_add_f64 v[7:8], v[19:20], v[7:8]
	v_cndmask_b32_e64 v10, 0, v10, s[0:1]
	v_cndmask_b32_e64 v9, 0, v9, s[0:1]
	flat_store_dwordx4 v[1:2], v[7:10]
.LBB917_12:
	s_or_b64 exec, exec, s[2:3]
	v_add_u32_e32 v2, 16, v0
	v_cmp_le_i32_e64 s[2:3], v4, v2
	v_cmp_gt_i32_e64 s[0:1], s20, v2
	s_and_b64 s[2:3], s[2:3], s[0:1]
	s_and_saveexec_b64 s[4:5], s[2:3]
	s_cbranch_execz .LBB917_14
; %bb.13:
	v_ashrrev_i32_e32 v3, 31, v2
	v_lshlrev_b64 v[7:8], 4, v[2:3]
	v_mul_f64 v[19:20], s[12:13], v[13:14]
	v_add_co_u32_e64 v9, s[2:3], v5, v7
	v_addc_co_u32_e64 v10, s[2:3], v6, v8, s[2:3]
	flat_load_dwordx4 v[5:8], v[9:10]
	v_mul_f64 v[13:14], s[14:15], v[13:14]
	v_cmp_ne_u32_e64 s[2:3], v4, v2
	v_fma_f64 v[19:20], s[14:15], v[11:12], v[19:20]
	v_fma_f64 v[11:12], s[12:13], v[11:12], -v[13:14]
	s_waitcnt vmcnt(0) lgkmcnt(0)
	v_mul_f64 v[21:22], s[16:17], v[7:8]
	v_mul_f64 v[7:8], s[18:19], v[7:8]
	v_fma_f64 v[21:22], s[18:19], v[5:6], v[21:22]
	v_fma_f64 v[5:6], s[16:17], v[5:6], -v[7:8]
	v_add_f64 v[7:8], v[19:20], v[21:22]
	v_add_f64 v[5:6], v[11:12], v[5:6]
	v_cndmask_b32_e64 v8, 0, v8, s[2:3]
	v_cndmask_b32_e64 v7, 0, v7, s[2:3]
	flat_store_dwordx4 v[9:10], v[5:8]
.LBB917_14:
	s_or_b64 exec, exec, s[4:5]
	v_add_u32_e32 v3, 16, v4
	v_mad_i64_i32 v[5:6], s[2:3], v3, s6, 0
	v_mov_b32_e32 v1, s11
	v_lshlrev_b64 v[5:6], 4, v[5:6]
	v_add_co_u32_e64 v5, s[2:3], s10, v5
	v_addc_co_u32_e64 v6, s[2:3], v1, v6, s[2:3]
	v_cmp_le_i32_e64 s[2:3], v3, v0
	s_and_b64 s[4:5], s[2:3], vcc
	s_and_saveexec_b64 s[2:3], s[4:5]
	s_cbranch_execz .LBB917_16
; %bb.15:
	v_ashrrev_i32_e32 v1, 31, v0
	v_lshlrev_b64 v[7:8], 4, v[0:1]
	v_mul_f64 v[13:14], s[12:13], v[17:18]
	v_add_co_u32_e32 v11, vcc, v5, v7
	v_addc_co_u32_e32 v12, vcc, v6, v8, vcc
	flat_load_dwordx4 v[7:10], v[11:12]
	v_mul_f64 v[17:18], s[14:15], v[17:18]
	v_cmp_ne_u32_e32 vcc, v3, v0
	v_fma_f64 v[13:14], s[14:15], v[15:16], v[13:14]
	v_fma_f64 v[15:16], s[12:13], v[15:16], -v[17:18]
	s_waitcnt vmcnt(0) lgkmcnt(0)
	v_mul_f64 v[19:20], s[16:17], v[9:10]
	v_mul_f64 v[9:10], s[18:19], v[9:10]
	v_fma_f64 v[19:20], s[18:19], v[7:8], v[19:20]
	v_fma_f64 v[7:8], s[16:17], v[7:8], -v[9:10]
	v_add_f64 v[9:10], v[13:14], v[19:20]
	v_add_f64 v[7:8], v[15:16], v[7:8]
	v_cndmask_b32_e32 v10, 0, v10, vcc
	v_cndmask_b32_e32 v9, 0, v9, vcc
	flat_store_dwordx4 v[11:12], v[7:10]
.LBB917_16:
	s_or_b64 exec, exec, s[2:3]
	v_cmp_le_i32_e32 vcc, v3, v2
	s_and_b64 s[0:1], vcc, s[0:1]
	s_and_saveexec_b64 s[2:3], s[0:1]
	s_cbranch_execz .LBB917_18
; %bb.17:
	v_ashrrev_i32_e32 v3, 31, v2
	v_lshlrev_b64 v[1:2], 4, v[2:3]
	v_mul_f64 v[13:14], s[14:15], v[23:24]
	v_add_co_u32_e32 v9, vcc, v5, v1
	v_addc_co_u32_e32 v10, vcc, v6, v2, vcc
	flat_load_dwordx4 v[5:8], v[9:10]
	v_mul_f64 v[1:2], s[12:13], v[23:24]
	v_cmp_ne_u32_e32 vcc, v4, v0
	v_fma_f64 v[13:14], s[12:13], v[25:26], -v[13:14]
	v_fma_f64 v[1:2], s[14:15], v[25:26], v[1:2]
	s_waitcnt vmcnt(0) lgkmcnt(0)
	v_mul_f64 v[11:12], s[16:17], v[7:8]
	v_mul_f64 v[7:8], s[18:19], v[7:8]
	v_fma_f64 v[11:12], s[18:19], v[5:6], v[11:12]
	v_fma_f64 v[5:6], s[16:17], v[5:6], -v[7:8]
	v_add_f64 v[7:8], v[1:2], v[11:12]
	v_add_f64 v[1:2], v[13:14], v[5:6]
	v_cndmask_b32_e32 v4, 0, v8, vcc
	v_cndmask_b32_e32 v3, 0, v7, vcc
	flat_store_dwordx4 v[9:10], v[1:4]
.LBB917_18:
	s_endpgm
	.section	.rodata,"a",@progbits
	.p2align	6, 0x0
	.amdhsa_kernel _ZL34rocblas_syrkx_herkx_general_kernelIi19rocblas_complex_numIdELi16ELi32ELi8ELb0ELb1ELc78ELc76EKPKS1_KPS1_EviT_T0_PT8_S7_lSA_S7_lS8_PT9_S7_li
		.amdhsa_group_segment_fixed_size 8192
		.amdhsa_private_segment_fixed_size 0
		.amdhsa_kernarg_size 116
		.amdhsa_user_sgpr_count 6
		.amdhsa_user_sgpr_private_segment_buffer 1
		.amdhsa_user_sgpr_dispatch_ptr 0
		.amdhsa_user_sgpr_queue_ptr 0
		.amdhsa_user_sgpr_kernarg_segment_ptr 1
		.amdhsa_user_sgpr_dispatch_id 0
		.amdhsa_user_sgpr_flat_scratch_init 0
		.amdhsa_user_sgpr_private_segment_size 0
		.amdhsa_uses_dynamic_stack 0
		.amdhsa_system_sgpr_private_segment_wavefront_offset 0
		.amdhsa_system_sgpr_workgroup_id_x 1
		.amdhsa_system_sgpr_workgroup_id_y 1
		.amdhsa_system_sgpr_workgroup_id_z 1
		.amdhsa_system_sgpr_workgroup_info 0
		.amdhsa_system_vgpr_workitem_id 1
		.amdhsa_next_free_vgpr 59
		.amdhsa_next_free_sgpr 61
		.amdhsa_reserve_vcc 1
		.amdhsa_reserve_flat_scratch 0
		.amdhsa_float_round_mode_32 0
		.amdhsa_float_round_mode_16_64 0
		.amdhsa_float_denorm_mode_32 3
		.amdhsa_float_denorm_mode_16_64 3
		.amdhsa_dx10_clamp 1
		.amdhsa_ieee_mode 1
		.amdhsa_fp16_overflow 0
		.amdhsa_exception_fp_ieee_invalid_op 0
		.amdhsa_exception_fp_denorm_src 0
		.amdhsa_exception_fp_ieee_div_zero 0
		.amdhsa_exception_fp_ieee_overflow 0
		.amdhsa_exception_fp_ieee_underflow 0
		.amdhsa_exception_fp_ieee_inexact 0
		.amdhsa_exception_int_div_zero 0
	.end_amdhsa_kernel
	.section	.text._ZL34rocblas_syrkx_herkx_general_kernelIi19rocblas_complex_numIdELi16ELi32ELi8ELb0ELb1ELc78ELc76EKPKS1_KPS1_EviT_T0_PT8_S7_lSA_S7_lS8_PT9_S7_li,"axG",@progbits,_ZL34rocblas_syrkx_herkx_general_kernelIi19rocblas_complex_numIdELi16ELi32ELi8ELb0ELb1ELc78ELc76EKPKS1_KPS1_EviT_T0_PT8_S7_lSA_S7_lS8_PT9_S7_li,comdat
.Lfunc_end917:
	.size	_ZL34rocblas_syrkx_herkx_general_kernelIi19rocblas_complex_numIdELi16ELi32ELi8ELb0ELb1ELc78ELc76EKPKS1_KPS1_EviT_T0_PT8_S7_lSA_S7_lS8_PT9_S7_li, .Lfunc_end917-_ZL34rocblas_syrkx_herkx_general_kernelIi19rocblas_complex_numIdELi16ELi32ELi8ELb0ELb1ELc78ELc76EKPKS1_KPS1_EviT_T0_PT8_S7_lSA_S7_lS8_PT9_S7_li
                                        ; -- End function
	.set _ZL34rocblas_syrkx_herkx_general_kernelIi19rocblas_complex_numIdELi16ELi32ELi8ELb0ELb1ELc78ELc76EKPKS1_KPS1_EviT_T0_PT8_S7_lSA_S7_lS8_PT9_S7_li.num_vgpr, 59
	.set _ZL34rocblas_syrkx_herkx_general_kernelIi19rocblas_complex_numIdELi16ELi32ELi8ELb0ELb1ELc78ELc76EKPKS1_KPS1_EviT_T0_PT8_S7_lSA_S7_lS8_PT9_S7_li.num_agpr, 0
	.set _ZL34rocblas_syrkx_herkx_general_kernelIi19rocblas_complex_numIdELi16ELi32ELi8ELb0ELb1ELc78ELc76EKPKS1_KPS1_EviT_T0_PT8_S7_lSA_S7_lS8_PT9_S7_li.numbered_sgpr, 30
	.set _ZL34rocblas_syrkx_herkx_general_kernelIi19rocblas_complex_numIdELi16ELi32ELi8ELb0ELb1ELc78ELc76EKPKS1_KPS1_EviT_T0_PT8_S7_lSA_S7_lS8_PT9_S7_li.num_named_barrier, 0
	.set _ZL34rocblas_syrkx_herkx_general_kernelIi19rocblas_complex_numIdELi16ELi32ELi8ELb0ELb1ELc78ELc76EKPKS1_KPS1_EviT_T0_PT8_S7_lSA_S7_lS8_PT9_S7_li.private_seg_size, 0
	.set _ZL34rocblas_syrkx_herkx_general_kernelIi19rocblas_complex_numIdELi16ELi32ELi8ELb0ELb1ELc78ELc76EKPKS1_KPS1_EviT_T0_PT8_S7_lSA_S7_lS8_PT9_S7_li.uses_vcc, 1
	.set _ZL34rocblas_syrkx_herkx_general_kernelIi19rocblas_complex_numIdELi16ELi32ELi8ELb0ELb1ELc78ELc76EKPKS1_KPS1_EviT_T0_PT8_S7_lSA_S7_lS8_PT9_S7_li.uses_flat_scratch, 0
	.set _ZL34rocblas_syrkx_herkx_general_kernelIi19rocblas_complex_numIdELi16ELi32ELi8ELb0ELb1ELc78ELc76EKPKS1_KPS1_EviT_T0_PT8_S7_lSA_S7_lS8_PT9_S7_li.has_dyn_sized_stack, 0
	.set _ZL34rocblas_syrkx_herkx_general_kernelIi19rocblas_complex_numIdELi16ELi32ELi8ELb0ELb1ELc78ELc76EKPKS1_KPS1_EviT_T0_PT8_S7_lSA_S7_lS8_PT9_S7_li.has_recursion, 0
	.set _ZL34rocblas_syrkx_herkx_general_kernelIi19rocblas_complex_numIdELi16ELi32ELi8ELb0ELb1ELc78ELc76EKPKS1_KPS1_EviT_T0_PT8_S7_lSA_S7_lS8_PT9_S7_li.has_indirect_call, 0
	.section	.AMDGPU.csdata,"",@progbits
; Kernel info:
; codeLenInByte = 3400
; TotalNumSgprs: 34
; NumVgprs: 59
; ScratchSize: 0
; MemoryBound: 1
; FloatMode: 240
; IeeeMode: 1
; LDSByteSize: 8192 bytes/workgroup (compile time only)
; SGPRBlocks: 8
; VGPRBlocks: 14
; NumSGPRsForWavesPerEU: 65
; NumVGPRsForWavesPerEU: 59
; Occupancy: 4
; WaveLimiterHint : 1
; COMPUTE_PGM_RSRC2:SCRATCH_EN: 0
; COMPUTE_PGM_RSRC2:USER_SGPR: 6
; COMPUTE_PGM_RSRC2:TRAP_HANDLER: 0
; COMPUTE_PGM_RSRC2:TGID_X_EN: 1
; COMPUTE_PGM_RSRC2:TGID_Y_EN: 1
; COMPUTE_PGM_RSRC2:TGID_Z_EN: 1
; COMPUTE_PGM_RSRC2:TIDIG_COMP_CNT: 1
	.section	.text._ZL34rocblas_syrkx_herkx_general_kernelIi19rocblas_complex_numIdELi16ELi32ELi8ELb0ELb1ELc84ELc85EKPKS1_KPS1_EviT_T0_PT8_S7_lSA_S7_lS8_PT9_S7_li,"axG",@progbits,_ZL34rocblas_syrkx_herkx_general_kernelIi19rocblas_complex_numIdELi16ELi32ELi8ELb0ELb1ELc84ELc85EKPKS1_KPS1_EviT_T0_PT8_S7_lSA_S7_lS8_PT9_S7_li,comdat
	.globl	_ZL34rocblas_syrkx_herkx_general_kernelIi19rocblas_complex_numIdELi16ELi32ELi8ELb0ELb1ELc84ELc85EKPKS1_KPS1_EviT_T0_PT8_S7_lSA_S7_lS8_PT9_S7_li ; -- Begin function _ZL34rocblas_syrkx_herkx_general_kernelIi19rocblas_complex_numIdELi16ELi32ELi8ELb0ELb1ELc84ELc85EKPKS1_KPS1_EviT_T0_PT8_S7_lSA_S7_lS8_PT9_S7_li
	.p2align	8
	.type	_ZL34rocblas_syrkx_herkx_general_kernelIi19rocblas_complex_numIdELi16ELi32ELi8ELb0ELb1ELc84ELc85EKPKS1_KPS1_EviT_T0_PT8_S7_lSA_S7_lS8_PT9_S7_li,@function
_ZL34rocblas_syrkx_herkx_general_kernelIi19rocblas_complex_numIdELi16ELi32ELi8ELb0ELb1ELc84ELc85EKPKS1_KPS1_EviT_T0_PT8_S7_lSA_S7_lS8_PT9_S7_li: ; @_ZL34rocblas_syrkx_herkx_general_kernelIi19rocblas_complex_numIdELi16ELi32ELi8ELb0ELb1ELc84ELc85EKPKS1_KPS1_EviT_T0_PT8_S7_lSA_S7_lS8_PT9_S7_li
; %bb.0:
	s_load_dwordx2 s[10:11], s[4:5], 0x0
	s_load_dwordx4 s[12:15], s[4:5], 0x8
	s_load_dwordx2 s[20:21], s[4:5], 0x58
	s_load_dwordx2 s[0:1], s[4:5], 0x18
	s_load_dwordx4 s[16:19], s[4:5], 0x48
	s_mov_b32 s9, 0
	s_lshl_b64 s[2:3], s[8:9], 3
	s_waitcnt lgkmcnt(0)
	s_add_u32 s20, s20, s2
	s_addc_u32 s21, s21, s3
	s_load_dwordx2 s[20:21], s[20:21], 0x0
	s_lshl_b32 s8, s6, 5
	s_lshl_b32 s22, s7, 5
	s_cmp_lt_i32 s11, 1
	s_cbranch_scc1 .LBB918_11
; %bb.1:
	s_load_dword s23, s[4:5], 0x20
	s_load_dwordx2 s[6:7], s[4:5], 0x30
	s_load_dword s26, s[4:5], 0x38
	v_lshl_add_u32 v2, v1, 4, v0
	v_lshrrev_b32_e32 v27, 5, v2
	v_lshrrev_b32_e32 v3, 3, v2
	v_and_b32_e32 v2, 31, v2
	v_or_b32_e32 v5, s8, v2
	v_and_b32_e32 v26, 7, v0
	s_waitcnt lgkmcnt(0)
	s_add_u32 s6, s6, s2
	v_cmp_gt_i32_e32 vcc, s10, v5
	v_lshlrev_b32_e32 v5, 4, v2
	s_addc_u32 s7, s7, s3
	v_lshl_or_b32 v28, v27, 9, v5
	v_lshlrev_b32_e32 v5, 4, v26
	v_add_u32_e32 v4, s22, v3
	s_add_u32 s0, s0, s2
	v_lshl_or_b32 v3, v3, 7, v5
	v_add_u32_e32 v2, s8, v2
	s_addc_u32 s1, s1, s3
	v_add_u32_e32 v29, 0x1000, v3
	v_mad_i64_i32 v[2:3], s[2:3], s23, v2, 0
	v_mov_b32_e32 v6, 0x1000
	v_lshl_add_u32 v31, v1, 7, v6
	v_lshlrev_b64 v[2:3], 4, v[2:3]
	v_lshlrev_b32_e32 v6, 4, v27
	s_load_dwordx2 s[24:25], s[0:1], 0x0
	v_add_co_u32_e64 v6, s[2:3], v2, v6
	v_addc_co_u32_e64 v7, s[2:3], 0, v3, s[2:3]
	v_mad_i64_i32 v[2:3], s[2:3], s26, v4, 0
	s_load_dwordx2 s[6:7], s[6:7], 0x0
	s_waitcnt lgkmcnt(0)
	v_mov_b32_e32 v8, s25
	v_add_co_u32_e64 v6, s[2:3], s24, v6
	v_lshlrev_b64 v[2:3], 4, v[2:3]
	v_addc_co_u32_e64 v7, s[2:3], v8, v7, s[2:3]
	v_add_co_u32_e64 v2, s[2:3], v2, v5
	v_addc_co_u32_e64 v3, s[2:3], 0, v3, s[2:3]
	v_cmp_gt_i32_e64 s[0:1], s10, v4
	v_mov_b32_e32 v4, s7
	v_add_co_u32_e64 v8, s[2:3], s6, v2
	v_addc_co_u32_e64 v9, s[2:3], v4, v3, s[2:3]
	v_mov_b32_e32 v22, 0
	v_mov_b32_e32 v24, 0
	;; [unrolled: 1-line block ×8, first 2 shown]
	v_lshlrev_b32_e32 v30, 4, v0
	v_mov_b32_e32 v23, 0
	s_xor_b64 s[2:3], vcc, -1
	s_xor_b64 s[0:1], s[0:1], -1
	v_mov_b32_e32 v25, 0
	v_mov_b32_e32 v17, 0
	;; [unrolled: 1-line block ×8, first 2 shown]
	s_branch .LBB918_3
.LBB918_2:                              ;   in Loop: Header=BB918_3 Depth=1
	s_or_b64 exec, exec, s[6:7]
	s_waitcnt lgkmcnt(0)
	s_barrier
	ds_read_b128 v[32:35], v31
	ds_read_b128 v[36:39], v31 offset:16
	ds_read_b128 v[40:43], v31 offset:32
	;; [unrolled: 1-line block ×3, first 2 shown]
	ds_read_b128 v[48:51], v30
	v_add_co_u32_e32 v6, vcc, 0x80, v6
	v_addc_co_u32_e32 v7, vcc, 0, v7, vcc
	s_waitcnt lgkmcnt(0)
	v_mul_f64 v[3:4], v[34:35], v[50:51]
	v_mul_f64 v[52:53], v[32:33], v[50:51]
	s_add_i32 s9, s9, 8
	v_add_co_u32_e32 v8, vcc, 0x80, v8
	v_addc_co_u32_e32 v9, vcc, 0, v9, vcc
	s_cmp_ge_i32 s9, s11
	v_fma_f64 v[3:4], v[32:33], v[48:49], -v[3:4]
	v_fma_f64 v[52:53], v[34:35], v[48:49], v[52:53]
	v_add_f64 v[3:4], v[18:19], v[3:4]
	v_add_f64 v[52:53], v[52:53], v[20:21]
	ds_read_b128 v[18:21], v30 offset:256
	s_waitcnt lgkmcnt(0)
	v_mul_f64 v[54:55], v[34:35], v[20:21]
	v_fma_f64 v[54:55], v[32:33], v[18:19], -v[54:55]
	v_mul_f64 v[32:33], v[32:33], v[20:21]
	v_fma_f64 v[32:33], v[34:35], v[18:19], v[32:33]
	v_add_f64 v[34:35], v[10:11], v[54:55]
	v_add_f64 v[32:33], v[32:33], v[12:13]
	ds_read_b128 v[10:13], v31 offset:2048
	s_waitcnt lgkmcnt(0)
	v_mul_f64 v[54:55], v[12:13], v[50:51]
	v_mul_f64 v[50:51], v[10:11], v[50:51]
	v_fma_f64 v[54:55], v[10:11], v[48:49], -v[54:55]
	v_fma_f64 v[48:49], v[12:13], v[48:49], v[50:51]
	v_add_f64 v[50:51], v[14:15], v[54:55]
	v_mul_f64 v[14:15], v[12:13], v[20:21]
	v_add_f64 v[48:49], v[48:49], v[16:17]
	v_fma_f64 v[14:15], v[10:11], v[18:19], -v[14:15]
	v_mul_f64 v[10:11], v[10:11], v[20:21]
	v_add_f64 v[24:25], v[24:25], v[14:15]
	v_fma_f64 v[10:11], v[12:13], v[18:19], v[10:11]
	v_add_f64 v[22:23], v[10:11], v[22:23]
	ds_read_b128 v[10:13], v30 offset:512
	s_waitcnt lgkmcnt(0)
	v_mul_f64 v[14:15], v[38:39], v[12:13]
	v_mul_f64 v[16:17], v[36:37], v[12:13]
	v_fma_f64 v[14:15], v[36:37], v[10:11], -v[14:15]
	v_fma_f64 v[16:17], v[38:39], v[10:11], v[16:17]
	v_add_f64 v[3:4], v[3:4], v[14:15]
	v_add_f64 v[52:53], v[16:17], v[52:53]
	ds_read_b128 v[14:17], v30 offset:768
	s_waitcnt lgkmcnt(0)
	v_mul_f64 v[18:19], v[38:39], v[16:17]
	v_mul_f64 v[20:21], v[36:37], v[16:17]
	v_fma_f64 v[18:19], v[36:37], v[14:15], -v[18:19]
	v_fma_f64 v[20:21], v[38:39], v[14:15], v[20:21]
	v_add_f64 v[34:35], v[34:35], v[18:19]
	v_add_f64 v[32:33], v[20:21], v[32:33]
	ds_read_b128 v[18:21], v31 offset:2064
	s_waitcnt lgkmcnt(0)
	v_mul_f64 v[36:37], v[20:21], v[12:13]
	v_mul_f64 v[12:13], v[18:19], v[12:13]
	v_fma_f64 v[36:37], v[18:19], v[10:11], -v[36:37]
	v_fma_f64 v[10:11], v[20:21], v[10:11], v[12:13]
	v_mul_f64 v[12:13], v[18:19], v[16:17]
	v_add_f64 v[36:37], v[50:51], v[36:37]
	v_add_f64 v[38:39], v[10:11], v[48:49]
	v_mul_f64 v[10:11], v[20:21], v[16:17]
	v_fma_f64 v[12:13], v[20:21], v[14:15], v[12:13]
	v_fma_f64 v[10:11], v[18:19], v[14:15], -v[10:11]
	v_add_f64 v[22:23], v[12:13], v[22:23]
	v_add_f64 v[24:25], v[24:25], v[10:11]
	ds_read_b128 v[10:13], v30 offset:1024
	s_waitcnt lgkmcnt(0)
	v_mul_f64 v[14:15], v[42:43], v[12:13]
	v_mul_f64 v[16:17], v[40:41], v[12:13]
	v_fma_f64 v[14:15], v[40:41], v[10:11], -v[14:15]
	v_fma_f64 v[16:17], v[42:43], v[10:11], v[16:17]
	v_add_f64 v[3:4], v[3:4], v[14:15]
	v_add_f64 v[48:49], v[16:17], v[52:53]
	ds_read_b128 v[14:17], v30 offset:1280
	s_waitcnt lgkmcnt(0)
	v_mul_f64 v[18:19], v[42:43], v[16:17]
	v_mul_f64 v[20:21], v[40:41], v[16:17]
	v_fma_f64 v[18:19], v[40:41], v[14:15], -v[18:19]
	v_fma_f64 v[20:21], v[42:43], v[14:15], v[20:21]
	v_add_f64 v[34:35], v[34:35], v[18:19]
	v_add_f64 v[32:33], v[20:21], v[32:33]
	ds_read_b128 v[18:21], v31 offset:2080
	s_waitcnt lgkmcnt(0)
	v_mul_f64 v[40:41], v[20:21], v[12:13]
	v_mul_f64 v[12:13], v[18:19], v[12:13]
	v_fma_f64 v[40:41], v[18:19], v[10:11], -v[40:41]
	v_fma_f64 v[10:11], v[20:21], v[10:11], v[12:13]
	v_mul_f64 v[12:13], v[18:19], v[16:17]
	v_add_f64 v[36:37], v[36:37], v[40:41]
	v_add_f64 v[38:39], v[10:11], v[38:39]
	v_mul_f64 v[10:11], v[20:21], v[16:17]
	v_fma_f64 v[12:13], v[20:21], v[14:15], v[12:13]
	v_fma_f64 v[10:11], v[18:19], v[14:15], -v[10:11]
	v_add_f64 v[22:23], v[12:13], v[22:23]
	;; [unrolled: 30-line block ×3, first 2 shown]
	v_add_f64 v[24:25], v[24:25], v[10:11]
	ds_read_b128 v[10:13], v31 offset:64
	ds_read_b128 v[14:17], v30 offset:2048
	s_waitcnt lgkmcnt(0)
	v_mul_f64 v[18:19], v[12:13], v[16:17]
	v_mul_f64 v[20:21], v[10:11], v[16:17]
	v_fma_f64 v[18:19], v[10:11], v[14:15], -v[18:19]
	v_fma_f64 v[20:21], v[12:13], v[14:15], v[20:21]
	v_add_f64 v[3:4], v[3:4], v[18:19]
	v_add_f64 v[40:41], v[20:21], v[40:41]
	ds_read_b128 v[18:21], v30 offset:2304
	s_waitcnt lgkmcnt(0)
	v_mul_f64 v[42:43], v[12:13], v[20:21]
	v_fma_f64 v[42:43], v[10:11], v[18:19], -v[42:43]
	v_mul_f64 v[10:11], v[10:11], v[20:21]
	v_add_f64 v[34:35], v[34:35], v[42:43]
	v_fma_f64 v[10:11], v[12:13], v[18:19], v[10:11]
	v_add_f64 v[32:33], v[10:11], v[32:33]
	ds_read_b128 v[10:13], v31 offset:2112
	s_waitcnt lgkmcnt(0)
	v_mul_f64 v[42:43], v[12:13], v[16:17]
	v_mul_f64 v[16:17], v[10:11], v[16:17]
	v_fma_f64 v[42:43], v[10:11], v[14:15], -v[42:43]
	v_fma_f64 v[14:15], v[12:13], v[14:15], v[16:17]
	v_add_f64 v[36:37], v[36:37], v[42:43]
	v_add_f64 v[38:39], v[14:15], v[38:39]
	v_mul_f64 v[14:15], v[12:13], v[20:21]
	v_fma_f64 v[14:15], v[10:11], v[18:19], -v[14:15]
	v_mul_f64 v[10:11], v[10:11], v[20:21]
	v_add_f64 v[24:25], v[24:25], v[14:15]
	v_fma_f64 v[10:11], v[12:13], v[18:19], v[10:11]
	v_add_f64 v[22:23], v[10:11], v[22:23]
	ds_read_b128 v[10:13], v31 offset:80
	ds_read_b128 v[14:17], v30 offset:2560
	s_waitcnt lgkmcnt(0)
	v_mul_f64 v[18:19], v[12:13], v[16:17]
	v_mul_f64 v[20:21], v[10:11], v[16:17]
	v_fma_f64 v[18:19], v[10:11], v[14:15], -v[18:19]
	v_fma_f64 v[20:21], v[12:13], v[14:15], v[20:21]
	v_add_f64 v[3:4], v[3:4], v[18:19]
	v_add_f64 v[40:41], v[20:21], v[40:41]
	ds_read_b128 v[18:21], v30 offset:2816
	s_waitcnt lgkmcnt(0)
	v_mul_f64 v[42:43], v[12:13], v[20:21]
	v_fma_f64 v[42:43], v[10:11], v[18:19], -v[42:43]
	v_mul_f64 v[10:11], v[10:11], v[20:21]
	v_add_f64 v[34:35], v[34:35], v[42:43]
	v_fma_f64 v[10:11], v[12:13], v[18:19], v[10:11]
	v_add_f64 v[32:33], v[10:11], v[32:33]
	ds_read_b128 v[10:13], v31 offset:2128
	s_waitcnt lgkmcnt(0)
	v_mul_f64 v[42:43], v[12:13], v[16:17]
	v_mul_f64 v[16:17], v[10:11], v[16:17]
	v_fma_f64 v[42:43], v[10:11], v[14:15], -v[42:43]
	v_fma_f64 v[14:15], v[12:13], v[14:15], v[16:17]
	v_add_f64 v[36:37], v[36:37], v[42:43]
	v_add_f64 v[38:39], v[14:15], v[38:39]
	v_mul_f64 v[14:15], v[12:13], v[20:21]
	v_fma_f64 v[14:15], v[10:11], v[18:19], -v[14:15]
	v_mul_f64 v[10:11], v[10:11], v[20:21]
	v_add_f64 v[24:25], v[24:25], v[14:15]
	v_fma_f64 v[10:11], v[12:13], v[18:19], v[10:11]
	;; [unrolled: 31-line block ×3, first 2 shown]
	v_add_f64 v[44:45], v[10:11], v[22:23]
	ds_read_b128 v[10:13], v31 offset:112
	ds_read_b128 v[14:17], v30 offset:3584
	;; [unrolled: 1-line block ×3, first 2 shown]
	s_waitcnt lgkmcnt(1)
	v_mul_f64 v[18:19], v[12:13], v[16:17]
	v_mul_f64 v[20:21], v[10:11], v[16:17]
	v_fma_f64 v[18:19], v[10:11], v[14:15], -v[18:19]
	v_fma_f64 v[20:21], v[12:13], v[14:15], v[20:21]
	v_add_f64 v[18:19], v[3:4], v[18:19]
	s_waitcnt lgkmcnt(0)
	v_mul_f64 v[3:4], v[12:13], v[24:25]
	v_add_f64 v[20:21], v[20:21], v[40:41]
	v_fma_f64 v[3:4], v[10:11], v[22:23], -v[3:4]
	v_mul_f64 v[10:11], v[10:11], v[24:25]
	v_fma_f64 v[12:13], v[12:13], v[22:23], v[10:11]
	v_add_f64 v[10:11], v[34:35], v[3:4]
	v_add_f64 v[12:13], v[12:13], v[32:33]
	ds_read_b128 v[32:35], v31 offset:2160
	s_waitcnt lgkmcnt(0)
	s_barrier
	v_mul_f64 v[3:4], v[34:35], v[16:17]
	v_mul_f64 v[16:17], v[32:33], v[16:17]
	v_fma_f64 v[3:4], v[32:33], v[14:15], -v[3:4]
	v_fma_f64 v[16:17], v[34:35], v[14:15], v[16:17]
	v_add_f64 v[14:15], v[36:37], v[3:4]
	v_mul_f64 v[3:4], v[34:35], v[24:25]
	v_mul_f64 v[24:25], v[32:33], v[24:25]
	v_add_f64 v[16:17], v[16:17], v[38:39]
	v_fma_f64 v[3:4], v[32:33], v[22:23], -v[3:4]
	v_fma_f64 v[22:23], v[34:35], v[22:23], v[24:25]
	v_add_f64 v[24:25], v[42:43], v[3:4]
	v_add_f64 v[22:23], v[22:23], v[44:45]
	s_cbranch_scc1 .LBB918_12
.LBB918_3:                              ; =>This Inner Loop Header: Depth=1
	v_add_u32_e32 v3, s9, v27
	v_cmp_le_i32_e32 vcc, s11, v3
	s_or_b64 s[6:7], s[2:3], vcc
	s_and_saveexec_b64 s[24:25], s[6:7]
	s_xor_b64 s[6:7], exec, s[24:25]
; %bb.4:                                ;   in Loop: Header=BB918_3 Depth=1
	v_mov_b32_e32 v3, v2
	v_mov_b32_e32 v4, v2
	;; [unrolled: 1-line block ×3, first 2 shown]
	ds_write_b128 v28, v[2:5]
; %bb.5:                                ;   in Loop: Header=BB918_3 Depth=1
	s_andn2_saveexec_b64 s[6:7], s[6:7]
	s_cbranch_execz .LBB918_7
; %bb.6:                                ;   in Loop: Header=BB918_3 Depth=1
	flat_load_dwordx4 v[32:35], v[6:7]
	s_waitcnt vmcnt(0) lgkmcnt(0)
	ds_write2_b64 v28, v[32:33], v[34:35] offset1:1
.LBB918_7:                              ;   in Loop: Header=BB918_3 Depth=1
	s_or_b64 exec, exec, s[6:7]
	v_add_u32_e32 v3, s9, v26
	v_cmp_le_i32_e32 vcc, s11, v3
	s_or_b64 s[6:7], vcc, s[0:1]
	s_and_saveexec_b64 s[24:25], s[6:7]
	s_xor_b64 s[6:7], exec, s[24:25]
; %bb.8:                                ;   in Loop: Header=BB918_3 Depth=1
	v_mov_b32_e32 v3, v2
	v_mov_b32_e32 v4, v2
	;; [unrolled: 1-line block ×3, first 2 shown]
	ds_write_b128 v29, v[2:5]
; %bb.9:                                ;   in Loop: Header=BB918_3 Depth=1
	s_andn2_saveexec_b64 s[6:7], s[6:7]
	s_cbranch_execz .LBB918_2
; %bb.10:                               ;   in Loop: Header=BB918_3 Depth=1
	flat_load_dwordx4 v[32:35], v[8:9]
	s_waitcnt vmcnt(0) lgkmcnt(0)
	ds_write2_b64 v29, v[32:33], v[34:35] offset1:1
	s_branch .LBB918_2
.LBB918_11:
	v_mov_b32_e32 v18, 0
	v_mov_b32_e32 v20, 0
	;; [unrolled: 1-line block ×16, first 2 shown]
.LBB918_12:
	s_load_dword s4, s[4:5], 0x60
	v_add_u32_e32 v4, s22, v1
	s_waitcnt lgkmcnt(0)
	v_mov_b32_e32 v3, s21
	v_add_u32_e32 v0, s8, v0
	v_cmp_gt_i32_e32 vcc, s10, v4
	v_mad_i64_i32 v[1:2], s[0:1], v4, s4, 0
	v_lshlrev_b64 v[1:2], 4, v[1:2]
	v_add_co_u32_e64 v5, s[0:1], s20, v1
	v_addc_co_u32_e64 v6, s[0:1], v3, v2, s[0:1]
	v_cmp_le_i32_e64 s[0:1], v0, v4
	s_and_b64 s[0:1], vcc, s[0:1]
	s_and_saveexec_b64 s[2:3], s[0:1]
	s_cbranch_execz .LBB918_14
; %bb.13:
	v_ashrrev_i32_e32 v1, 31, v0
	v_lshlrev_b64 v[1:2], 4, v[0:1]
	v_mul_f64 v[7:8], s[12:13], v[20:21]
	v_add_co_u32_e64 v1, s[0:1], v5, v1
	v_addc_co_u32_e64 v2, s[0:1], v6, v2, s[0:1]
	flat_load_dwordx4 v[26:29], v[1:2]
	v_mul_f64 v[20:21], s[14:15], v[20:21]
	v_cmp_ne_u32_e64 s[0:1], v4, v0
	v_fma_f64 v[7:8], s[14:15], v[18:19], v[7:8]
	v_fma_f64 v[18:19], s[12:13], v[18:19], -v[20:21]
	s_waitcnt vmcnt(0) lgkmcnt(0)
	v_mul_f64 v[30:31], s[16:17], v[28:29]
	v_mul_f64 v[28:29], s[18:19], v[28:29]
	v_fma_f64 v[30:31], s[18:19], v[26:27], v[30:31]
	v_fma_f64 v[20:21], s[16:17], v[26:27], -v[28:29]
	v_add_f64 v[7:8], v[7:8], v[30:31]
	v_add_f64 v[18:19], v[18:19], v[20:21]
	v_cndmask_b32_e64 v21, 0, v8, s[0:1]
	v_cndmask_b32_e64 v20, 0, v7, s[0:1]
	flat_store_dwordx4 v[1:2], v[18:21]
.LBB918_14:
	s_or_b64 exec, exec, s[2:3]
	v_add_u32_e32 v2, 16, v0
	v_cmp_le_i32_e64 s[0:1], v2, v4
	s_and_b64 s[2:3], vcc, s[0:1]
	s_and_saveexec_b64 s[0:1], s[2:3]
	s_cbranch_execz .LBB918_16
; %bb.15:
	v_ashrrev_i32_e32 v3, 31, v2
	v_lshlrev_b64 v[7:8], 4, v[2:3]
	v_mul_f64 v[20:21], s[12:13], v[12:13]
	v_add_co_u32_e32 v18, vcc, v5, v7
	v_addc_co_u32_e32 v19, vcc, v6, v8, vcc
	flat_load_dwordx4 v[5:8], v[18:19]
	v_mul_f64 v[12:13], s[14:15], v[12:13]
	v_cmp_ne_u32_e32 vcc, v4, v2
	v_fma_f64 v[20:21], s[14:15], v[10:11], v[20:21]
	v_fma_f64 v[9:10], s[12:13], v[10:11], -v[12:13]
	s_waitcnt vmcnt(0) lgkmcnt(0)
	v_mul_f64 v[26:27], s[16:17], v[7:8]
	v_mul_f64 v[7:8], s[18:19], v[7:8]
	v_fma_f64 v[26:27], s[18:19], v[5:6], v[26:27]
	v_fma_f64 v[5:6], s[16:17], v[5:6], -v[7:8]
	v_add_f64 v[7:8], v[20:21], v[26:27]
	v_add_f64 v[5:6], v[9:10], v[5:6]
	v_cndmask_b32_e32 v8, 0, v8, vcc
	v_cndmask_b32_e32 v7, 0, v7, vcc
	flat_store_dwordx4 v[18:19], v[5:8]
.LBB918_16:
	s_or_b64 exec, exec, s[0:1]
	v_add_u32_e32 v3, 16, v4
	v_mad_i64_i32 v[5:6], s[0:1], v3, s4, 0
	v_mov_b32_e32 v1, s21
	v_cmp_gt_i32_e32 vcc, s10, v3
	v_lshlrev_b64 v[5:6], 4, v[5:6]
	v_add_co_u32_e64 v5, s[0:1], s20, v5
	v_addc_co_u32_e64 v6, s[0:1], v1, v6, s[0:1]
	v_cmp_le_i32_e64 s[0:1], v0, v3
	s_and_b64 s[0:1], vcc, s[0:1]
	s_and_saveexec_b64 s[2:3], s[0:1]
	s_cbranch_execz .LBB918_18
; %bb.17:
	v_ashrrev_i32_e32 v1, 31, v0
	v_lshlrev_b64 v[7:8], 4, v[0:1]
	v_mul_f64 v[18:19], s[12:13], v[16:17]
	v_add_co_u32_e64 v11, s[0:1], v5, v7
	v_addc_co_u32_e64 v12, s[0:1], v6, v8, s[0:1]
	flat_load_dwordx4 v[7:10], v[11:12]
	v_mul_f64 v[16:17], s[14:15], v[16:17]
	v_cmp_ne_u32_e64 s[0:1], v3, v0
	v_fma_f64 v[18:19], s[14:15], v[14:15], v[18:19]
	v_fma_f64 v[13:14], s[12:13], v[14:15], -v[16:17]
	s_waitcnt vmcnt(0) lgkmcnt(0)
	v_mul_f64 v[20:21], s[16:17], v[9:10]
	v_mul_f64 v[9:10], s[18:19], v[9:10]
	v_fma_f64 v[20:21], s[18:19], v[7:8], v[20:21]
	v_fma_f64 v[7:8], s[16:17], v[7:8], -v[9:10]
	v_add_f64 v[9:10], v[18:19], v[20:21]
	v_add_f64 v[7:8], v[13:14], v[7:8]
	v_cndmask_b32_e64 v10, 0, v10, s[0:1]
	v_cndmask_b32_e64 v9, 0, v9, s[0:1]
	flat_store_dwordx4 v[11:12], v[7:10]
.LBB918_18:
	s_or_b64 exec, exec, s[2:3]
	v_cmp_le_i32_e64 s[0:1], v2, v3
	s_and_b64 s[0:1], vcc, s[0:1]
	s_and_saveexec_b64 s[2:3], s[0:1]
	s_cbranch_execz .LBB918_20
; %bb.19:
	v_ashrrev_i32_e32 v3, 31, v2
	v_lshlrev_b64 v[1:2], 4, v[2:3]
	v_mul_f64 v[13:14], s[14:15], v[22:23]
	v_add_co_u32_e32 v9, vcc, v5, v1
	v_addc_co_u32_e32 v10, vcc, v6, v2, vcc
	flat_load_dwordx4 v[5:8], v[9:10]
	v_mul_f64 v[1:2], s[12:13], v[22:23]
	v_cmp_ne_u32_e32 vcc, v4, v0
	v_fma_f64 v[13:14], s[12:13], v[24:25], -v[13:14]
	v_fma_f64 v[1:2], s[14:15], v[24:25], v[1:2]
	s_waitcnt vmcnt(0) lgkmcnt(0)
	v_mul_f64 v[11:12], s[16:17], v[7:8]
	v_mul_f64 v[7:8], s[18:19], v[7:8]
	v_fma_f64 v[11:12], s[18:19], v[5:6], v[11:12]
	v_fma_f64 v[5:6], s[16:17], v[5:6], -v[7:8]
	v_add_f64 v[7:8], v[1:2], v[11:12]
	v_add_f64 v[1:2], v[13:14], v[5:6]
	v_cndmask_b32_e32 v4, 0, v8, vcc
	v_cndmask_b32_e32 v3, 0, v7, vcc
	flat_store_dwordx4 v[9:10], v[1:4]
.LBB918_20:
	s_endpgm
	.section	.rodata,"a",@progbits
	.p2align	6, 0x0
	.amdhsa_kernel _ZL34rocblas_syrkx_herkx_general_kernelIi19rocblas_complex_numIdELi16ELi32ELi8ELb0ELb1ELc84ELc85EKPKS1_KPS1_EviT_T0_PT8_S7_lSA_S7_lS8_PT9_S7_li
		.amdhsa_group_segment_fixed_size 8192
		.amdhsa_private_segment_fixed_size 0
		.amdhsa_kernarg_size 116
		.amdhsa_user_sgpr_count 6
		.amdhsa_user_sgpr_private_segment_buffer 1
		.amdhsa_user_sgpr_dispatch_ptr 0
		.amdhsa_user_sgpr_queue_ptr 0
		.amdhsa_user_sgpr_kernarg_segment_ptr 1
		.amdhsa_user_sgpr_dispatch_id 0
		.amdhsa_user_sgpr_flat_scratch_init 0
		.amdhsa_user_sgpr_private_segment_size 0
		.amdhsa_uses_dynamic_stack 0
		.amdhsa_system_sgpr_private_segment_wavefront_offset 0
		.amdhsa_system_sgpr_workgroup_id_x 1
		.amdhsa_system_sgpr_workgroup_id_y 1
		.amdhsa_system_sgpr_workgroup_id_z 1
		.amdhsa_system_sgpr_workgroup_info 0
		.amdhsa_system_vgpr_workitem_id 1
		.amdhsa_next_free_vgpr 56
		.amdhsa_next_free_sgpr 61
		.amdhsa_reserve_vcc 1
		.amdhsa_reserve_flat_scratch 0
		.amdhsa_float_round_mode_32 0
		.amdhsa_float_round_mode_16_64 0
		.amdhsa_float_denorm_mode_32 3
		.amdhsa_float_denorm_mode_16_64 3
		.amdhsa_dx10_clamp 1
		.amdhsa_ieee_mode 1
		.amdhsa_fp16_overflow 0
		.amdhsa_exception_fp_ieee_invalid_op 0
		.amdhsa_exception_fp_denorm_src 0
		.amdhsa_exception_fp_ieee_div_zero 0
		.amdhsa_exception_fp_ieee_overflow 0
		.amdhsa_exception_fp_ieee_underflow 0
		.amdhsa_exception_fp_ieee_inexact 0
		.amdhsa_exception_int_div_zero 0
	.end_amdhsa_kernel
	.section	.text._ZL34rocblas_syrkx_herkx_general_kernelIi19rocblas_complex_numIdELi16ELi32ELi8ELb0ELb1ELc84ELc85EKPKS1_KPS1_EviT_T0_PT8_S7_lSA_S7_lS8_PT9_S7_li,"axG",@progbits,_ZL34rocblas_syrkx_herkx_general_kernelIi19rocblas_complex_numIdELi16ELi32ELi8ELb0ELb1ELc84ELc85EKPKS1_KPS1_EviT_T0_PT8_S7_lSA_S7_lS8_PT9_S7_li,comdat
.Lfunc_end918:
	.size	_ZL34rocblas_syrkx_herkx_general_kernelIi19rocblas_complex_numIdELi16ELi32ELi8ELb0ELb1ELc84ELc85EKPKS1_KPS1_EviT_T0_PT8_S7_lSA_S7_lS8_PT9_S7_li, .Lfunc_end918-_ZL34rocblas_syrkx_herkx_general_kernelIi19rocblas_complex_numIdELi16ELi32ELi8ELb0ELb1ELc84ELc85EKPKS1_KPS1_EviT_T0_PT8_S7_lSA_S7_lS8_PT9_S7_li
                                        ; -- End function
	.set _ZL34rocblas_syrkx_herkx_general_kernelIi19rocblas_complex_numIdELi16ELi32ELi8ELb0ELb1ELc84ELc85EKPKS1_KPS1_EviT_T0_PT8_S7_lSA_S7_lS8_PT9_S7_li.num_vgpr, 56
	.set _ZL34rocblas_syrkx_herkx_general_kernelIi19rocblas_complex_numIdELi16ELi32ELi8ELb0ELb1ELc84ELc85EKPKS1_KPS1_EviT_T0_PT8_S7_lSA_S7_lS8_PT9_S7_li.num_agpr, 0
	.set _ZL34rocblas_syrkx_herkx_general_kernelIi19rocblas_complex_numIdELi16ELi32ELi8ELb0ELb1ELc84ELc85EKPKS1_KPS1_EviT_T0_PT8_S7_lSA_S7_lS8_PT9_S7_li.numbered_sgpr, 27
	.set _ZL34rocblas_syrkx_herkx_general_kernelIi19rocblas_complex_numIdELi16ELi32ELi8ELb0ELb1ELc84ELc85EKPKS1_KPS1_EviT_T0_PT8_S7_lSA_S7_lS8_PT9_S7_li.num_named_barrier, 0
	.set _ZL34rocblas_syrkx_herkx_general_kernelIi19rocblas_complex_numIdELi16ELi32ELi8ELb0ELb1ELc84ELc85EKPKS1_KPS1_EviT_T0_PT8_S7_lSA_S7_lS8_PT9_S7_li.private_seg_size, 0
	.set _ZL34rocblas_syrkx_herkx_general_kernelIi19rocblas_complex_numIdELi16ELi32ELi8ELb0ELb1ELc84ELc85EKPKS1_KPS1_EviT_T0_PT8_S7_lSA_S7_lS8_PT9_S7_li.uses_vcc, 1
	.set _ZL34rocblas_syrkx_herkx_general_kernelIi19rocblas_complex_numIdELi16ELi32ELi8ELb0ELb1ELc84ELc85EKPKS1_KPS1_EviT_T0_PT8_S7_lSA_S7_lS8_PT9_S7_li.uses_flat_scratch, 0
	.set _ZL34rocblas_syrkx_herkx_general_kernelIi19rocblas_complex_numIdELi16ELi32ELi8ELb0ELb1ELc84ELc85EKPKS1_KPS1_EviT_T0_PT8_S7_lSA_S7_lS8_PT9_S7_li.has_dyn_sized_stack, 0
	.set _ZL34rocblas_syrkx_herkx_general_kernelIi19rocblas_complex_numIdELi16ELi32ELi8ELb0ELb1ELc84ELc85EKPKS1_KPS1_EviT_T0_PT8_S7_lSA_S7_lS8_PT9_S7_li.has_recursion, 0
	.set _ZL34rocblas_syrkx_herkx_general_kernelIi19rocblas_complex_numIdELi16ELi32ELi8ELb0ELb1ELc84ELc85EKPKS1_KPS1_EviT_T0_PT8_S7_lSA_S7_lS8_PT9_S7_li.has_indirect_call, 0
	.section	.AMDGPU.csdata,"",@progbits
; Kernel info:
; codeLenInByte = 3356
; TotalNumSgprs: 31
; NumVgprs: 56
; ScratchSize: 0
; MemoryBound: 0
; FloatMode: 240
; IeeeMode: 1
; LDSByteSize: 8192 bytes/workgroup (compile time only)
; SGPRBlocks: 8
; VGPRBlocks: 13
; NumSGPRsForWavesPerEU: 65
; NumVGPRsForWavesPerEU: 56
; Occupancy: 4
; WaveLimiterHint : 1
; COMPUTE_PGM_RSRC2:SCRATCH_EN: 0
; COMPUTE_PGM_RSRC2:USER_SGPR: 6
; COMPUTE_PGM_RSRC2:TRAP_HANDLER: 0
; COMPUTE_PGM_RSRC2:TGID_X_EN: 1
; COMPUTE_PGM_RSRC2:TGID_Y_EN: 1
; COMPUTE_PGM_RSRC2:TGID_Z_EN: 1
; COMPUTE_PGM_RSRC2:TIDIG_COMP_CNT: 1
	.section	.text._ZL34rocblas_syrkx_herkx_general_kernelIi19rocblas_complex_numIdELi16ELi32ELi8ELb0ELb1ELc67ELc85EKPKS1_KPS1_EviT_T0_PT8_S7_lSA_S7_lS8_PT9_S7_li,"axG",@progbits,_ZL34rocblas_syrkx_herkx_general_kernelIi19rocblas_complex_numIdELi16ELi32ELi8ELb0ELb1ELc67ELc85EKPKS1_KPS1_EviT_T0_PT8_S7_lSA_S7_lS8_PT9_S7_li,comdat
	.globl	_ZL34rocblas_syrkx_herkx_general_kernelIi19rocblas_complex_numIdELi16ELi32ELi8ELb0ELb1ELc67ELc85EKPKS1_KPS1_EviT_T0_PT8_S7_lSA_S7_lS8_PT9_S7_li ; -- Begin function _ZL34rocblas_syrkx_herkx_general_kernelIi19rocblas_complex_numIdELi16ELi32ELi8ELb0ELb1ELc67ELc85EKPKS1_KPS1_EviT_T0_PT8_S7_lSA_S7_lS8_PT9_S7_li
	.p2align	8
	.type	_ZL34rocblas_syrkx_herkx_general_kernelIi19rocblas_complex_numIdELi16ELi32ELi8ELb0ELb1ELc67ELc85EKPKS1_KPS1_EviT_T0_PT8_S7_lSA_S7_lS8_PT9_S7_li,@function
_ZL34rocblas_syrkx_herkx_general_kernelIi19rocblas_complex_numIdELi16ELi32ELi8ELb0ELb1ELc67ELc85EKPKS1_KPS1_EviT_T0_PT8_S7_lSA_S7_lS8_PT9_S7_li: ; @_ZL34rocblas_syrkx_herkx_general_kernelIi19rocblas_complex_numIdELi16ELi32ELi8ELb0ELb1ELc67ELc85EKPKS1_KPS1_EviT_T0_PT8_S7_lSA_S7_lS8_PT9_S7_li
; %bb.0:
	s_load_dwordx2 s[10:11], s[4:5], 0x0
	s_load_dwordx4 s[12:15], s[4:5], 0x8
	s_load_dwordx2 s[20:21], s[4:5], 0x58
	s_load_dwordx2 s[0:1], s[4:5], 0x18
	s_load_dwordx4 s[16:19], s[4:5], 0x48
	s_mov_b32 s9, 0
	s_lshl_b64 s[2:3], s[8:9], 3
	s_waitcnt lgkmcnt(0)
	s_add_u32 s20, s20, s2
	s_addc_u32 s21, s21, s3
	s_load_dwordx2 s[20:21], s[20:21], 0x0
	s_lshl_b32 s8, s6, 5
	s_lshl_b32 s22, s7, 5
	s_cmp_lt_i32 s11, 1
	s_cbranch_scc1 .LBB919_9
; %bb.1:
	s_load_dword s23, s[4:5], 0x20
	s_load_dwordx2 s[6:7], s[4:5], 0x30
	s_load_dword s26, s[4:5], 0x38
	v_lshl_add_u32 v2, v1, 4, v0
	v_lshrrev_b32_e32 v28, 5, v2
	v_lshrrev_b32_e32 v3, 3, v2
	s_waitcnt lgkmcnt(0)
	s_add_u32 s6, s6, s2
	s_addc_u32 s7, s7, s3
	v_and_b32_e32 v2, 31, v2
	s_add_u32 s0, s0, s2
	v_or_b32_e32 v5, s8, v2
	s_addc_u32 s1, s1, s3
	v_and_b32_e32 v27, 7, v0
	s_load_dwordx2 s[24:25], s[0:1], 0x0
	v_cmp_gt_i32_e64 s[0:1], s10, v5
	v_lshlrev_b32_e32 v5, 4, v2
	v_lshl_or_b32 v29, v28, 9, v5
	v_lshlrev_b32_e32 v5, 4, v27
	v_add_u32_e32 v4, s22, v3
	v_lshl_or_b32 v3, v3, 7, v5
	v_add_u32_e32 v2, s8, v2
	v_add_u32_e32 v30, 0x1000, v3
	v_mad_i64_i32 v[2:3], s[2:3], s23, v2, 0
	v_mov_b32_e32 v6, 0x1000
	v_lshl_add_u32 v32, v1, 7, v6
	v_lshlrev_b64 v[2:3], 4, v[2:3]
	v_lshlrev_b32_e32 v6, 4, v28
	v_add_co_u32_e64 v6, s[2:3], v2, v6
	v_addc_co_u32_e64 v8, s[2:3], 0, v3, s[2:3]
	v_mad_i64_i32 v[2:3], s[2:3], s26, v4, 0
	s_load_dwordx2 s[6:7], s[6:7], 0x0
	s_waitcnt lgkmcnt(0)
	v_mov_b32_e32 v9, s25
	v_add_co_u32_e64 v7, s[2:3], s24, v6
	v_lshlrev_b64 v[2:3], 4, v[2:3]
	v_addc_co_u32_e64 v8, s[2:3], v9, v8, s[2:3]
	v_add_co_u32_e64 v2, s[2:3], v2, v5
	v_addc_co_u32_e64 v3, s[2:3], 0, v3, s[2:3]
	v_cmp_gt_i32_e32 vcc, s10, v4
	v_mov_b32_e32 v4, s7
	v_add_co_u32_e64 v9, s[2:3], s6, v2
	v_addc_co_u32_e64 v10, s[2:3], v4, v3, s[2:3]
	v_mov_b32_e32 v23, 0
	v_mov_b32_e32 v25, 0
	;; [unrolled: 1-line block ×8, first 2 shown]
	v_lshlrev_b32_e32 v31, 4, v0
	v_mov_b32_e32 v24, 0
	s_xor_b64 s[2:3], vcc, -1
	v_mov_b32_e32 v26, 0
	v_mov_b32_e32 v18, 0
	;; [unrolled: 1-line block ×8, first 2 shown]
	s_branch .LBB919_3
.LBB919_2:                              ;   in Loop: Header=BB919_3 Depth=1
	s_or_b64 exec, exec, s[6:7]
	s_waitcnt lgkmcnt(0)
	s_barrier
	ds_read_b128 v[3:6], v32
	ds_read_b128 v[33:36], v32 offset:16
	ds_read_b128 v[37:40], v32 offset:32
	;; [unrolled: 1-line block ×3, first 2 shown]
	ds_read_b128 v[45:48], v31
	v_add_co_u32_e32 v7, vcc, 0x80, v7
	v_addc_co_u32_e32 v8, vcc, 0, v8, vcc
	s_waitcnt lgkmcnt(0)
	v_mul_f64 v[49:50], v[5:6], v[47:48]
	v_mul_f64 v[51:52], v[3:4], v[47:48]
	s_add_i32 s9, s9, 8
	v_add_co_u32_e32 v9, vcc, 0x80, v9
	v_addc_co_u32_e32 v10, vcc, 0, v10, vcc
	s_cmp_ge_i32 s9, s11
	v_fma_f64 v[49:50], v[3:4], v[45:46], -v[49:50]
	v_fma_f64 v[51:52], v[5:6], v[45:46], v[51:52]
	v_add_f64 v[49:50], v[19:20], v[49:50]
	v_add_f64 v[51:52], v[51:52], v[21:22]
	ds_read_b128 v[19:22], v31 offset:256
	s_waitcnt lgkmcnt(0)
	v_mul_f64 v[53:54], v[5:6], v[21:22]
	v_fma_f64 v[53:54], v[3:4], v[19:20], -v[53:54]
	v_mul_f64 v[3:4], v[3:4], v[21:22]
	v_add_f64 v[53:54], v[11:12], v[53:54]
	v_fma_f64 v[3:4], v[5:6], v[19:20], v[3:4]
	v_add_f64 v[55:56], v[3:4], v[13:14]
	ds_read_b128 v[3:6], v32 offset:2048
	s_waitcnt lgkmcnt(0)
	v_mul_f64 v[11:12], v[5:6], v[47:48]
	v_mul_f64 v[13:14], v[3:4], v[47:48]
	v_fma_f64 v[11:12], v[3:4], v[45:46], -v[11:12]
	v_fma_f64 v[13:14], v[5:6], v[45:46], v[13:14]
	v_add_f64 v[45:46], v[15:16], v[11:12]
	v_mul_f64 v[11:12], v[5:6], v[21:22]
	v_add_f64 v[47:48], v[13:14], v[17:18]
	v_fma_f64 v[11:12], v[3:4], v[19:20], -v[11:12]
	v_mul_f64 v[3:4], v[3:4], v[21:22]
	v_fma_f64 v[3:4], v[5:6], v[19:20], v[3:4]
	v_add_f64 v[19:20], v[25:26], v[11:12]
	v_add_f64 v[21:22], v[3:4], v[23:24]
	ds_read_b128 v[3:6], v31 offset:512
	s_waitcnt lgkmcnt(0)
	v_mul_f64 v[11:12], v[35:36], v[5:6]
	v_mul_f64 v[13:14], v[33:34], v[5:6]
	v_fma_f64 v[11:12], v[33:34], v[3:4], -v[11:12]
	v_fma_f64 v[13:14], v[35:36], v[3:4], v[13:14]
	v_add_f64 v[23:24], v[49:50], v[11:12]
	v_add_f64 v[25:26], v[13:14], v[51:52]
	ds_read_b128 v[11:14], v31 offset:768
	s_waitcnt lgkmcnt(0)
	v_mul_f64 v[15:16], v[35:36], v[13:14]
	v_mul_f64 v[17:18], v[33:34], v[13:14]
	v_fma_f64 v[15:16], v[33:34], v[11:12], -v[15:16]
	;; [unrolled: 8-line block ×3, first 2 shown]
	v_fma_f64 v[3:4], v[17:18], v[3:4], v[5:6]
	v_mul_f64 v[5:6], v[15:16], v[13:14]
	v_add_f64 v[45:46], v[45:46], v[49:50]
	v_add_f64 v[47:48], v[3:4], v[47:48]
	v_mul_f64 v[3:4], v[17:18], v[13:14]
	v_fma_f64 v[5:6], v[17:18], v[11:12], v[5:6]
	v_fma_f64 v[3:4], v[15:16], v[11:12], -v[3:4]
	v_add_f64 v[21:22], v[5:6], v[21:22]
	v_add_f64 v[19:20], v[19:20], v[3:4]
	ds_read_b128 v[3:6], v31 offset:1024
	s_waitcnt lgkmcnt(0)
	v_mul_f64 v[11:12], v[39:40], v[5:6]
	v_mul_f64 v[13:14], v[37:38], v[5:6]
	v_fma_f64 v[11:12], v[37:38], v[3:4], -v[11:12]
	v_fma_f64 v[13:14], v[39:40], v[3:4], v[13:14]
	v_add_f64 v[23:24], v[23:24], v[11:12]
	v_add_f64 v[25:26], v[13:14], v[25:26]
	ds_read_b128 v[11:14], v31 offset:1280
	s_waitcnt lgkmcnt(0)
	v_mul_f64 v[15:16], v[39:40], v[13:14]
	v_mul_f64 v[17:18], v[37:38], v[13:14]
	v_fma_f64 v[15:16], v[37:38], v[11:12], -v[15:16]
	v_fma_f64 v[17:18], v[39:40], v[11:12], v[17:18]
	;; [unrolled: 8-line block ×3, first 2 shown]
	v_mul_f64 v[5:6], v[15:16], v[13:14]
	v_add_f64 v[37:38], v[45:46], v[37:38]
	v_add_f64 v[39:40], v[3:4], v[47:48]
	v_mul_f64 v[3:4], v[17:18], v[13:14]
	v_fma_f64 v[5:6], v[17:18], v[11:12], v[5:6]
	v_fma_f64 v[3:4], v[15:16], v[11:12], -v[3:4]
	v_add_f64 v[21:22], v[5:6], v[21:22]
	v_add_f64 v[19:20], v[19:20], v[3:4]
	ds_read_b128 v[3:6], v31 offset:1536
	s_waitcnt lgkmcnt(0)
	v_mul_f64 v[11:12], v[43:44], v[5:6]
	v_mul_f64 v[13:14], v[41:42], v[5:6]
	v_fma_f64 v[11:12], v[41:42], v[3:4], -v[11:12]
	v_fma_f64 v[13:14], v[43:44], v[3:4], v[13:14]
	v_add_f64 v[23:24], v[23:24], v[11:12]
	v_add_f64 v[25:26], v[13:14], v[25:26]
	ds_read_b128 v[11:14], v31 offset:1792
	s_waitcnt lgkmcnt(0)
	v_mul_f64 v[15:16], v[43:44], v[13:14]
	v_mul_f64 v[17:18], v[41:42], v[13:14]
	v_fma_f64 v[15:16], v[41:42], v[11:12], -v[15:16]
	v_fma_f64 v[17:18], v[43:44], v[11:12], v[17:18]
	;; [unrolled: 8-line block ×3, first 2 shown]
	v_mul_f64 v[5:6], v[15:16], v[13:14]
	v_add_f64 v[37:38], v[37:38], v[41:42]
	v_add_f64 v[39:40], v[3:4], v[39:40]
	v_mul_f64 v[3:4], v[17:18], v[13:14]
	v_fma_f64 v[5:6], v[17:18], v[11:12], v[5:6]
	v_fma_f64 v[3:4], v[15:16], v[11:12], -v[3:4]
	v_add_f64 v[21:22], v[5:6], v[21:22]
	v_add_f64 v[19:20], v[19:20], v[3:4]
	ds_read_b128 v[3:6], v32 offset:64
	ds_read_b128 v[11:14], v31 offset:2048
	s_waitcnt lgkmcnt(0)
	v_mul_f64 v[15:16], v[5:6], v[13:14]
	v_mul_f64 v[17:18], v[3:4], v[13:14]
	v_fma_f64 v[15:16], v[3:4], v[11:12], -v[15:16]
	v_fma_f64 v[17:18], v[5:6], v[11:12], v[17:18]
	v_add_f64 v[23:24], v[23:24], v[15:16]
	v_add_f64 v[25:26], v[17:18], v[25:26]
	ds_read_b128 v[15:18], v31 offset:2304
	s_waitcnt lgkmcnt(0)
	v_mul_f64 v[41:42], v[5:6], v[17:18]
	v_fma_f64 v[41:42], v[3:4], v[15:16], -v[41:42]
	v_mul_f64 v[3:4], v[3:4], v[17:18]
	v_add_f64 v[33:34], v[33:34], v[41:42]
	v_fma_f64 v[3:4], v[5:6], v[15:16], v[3:4]
	v_add_f64 v[35:36], v[3:4], v[35:36]
	ds_read_b128 v[3:6], v32 offset:2112
	s_waitcnt lgkmcnt(0)
	v_mul_f64 v[41:42], v[5:6], v[13:14]
	v_mul_f64 v[13:14], v[3:4], v[13:14]
	v_fma_f64 v[41:42], v[3:4], v[11:12], -v[41:42]
	v_fma_f64 v[11:12], v[5:6], v[11:12], v[13:14]
	v_add_f64 v[37:38], v[37:38], v[41:42]
	v_add_f64 v[39:40], v[11:12], v[39:40]
	v_mul_f64 v[11:12], v[5:6], v[17:18]
	v_fma_f64 v[11:12], v[3:4], v[15:16], -v[11:12]
	v_mul_f64 v[3:4], v[3:4], v[17:18]
	v_add_f64 v[19:20], v[19:20], v[11:12]
	v_fma_f64 v[3:4], v[5:6], v[15:16], v[3:4]
	v_add_f64 v[21:22], v[3:4], v[21:22]
	ds_read_b128 v[3:6], v32 offset:80
	ds_read_b128 v[11:14], v31 offset:2560
	s_waitcnt lgkmcnt(0)
	v_mul_f64 v[15:16], v[5:6], v[13:14]
	v_mul_f64 v[17:18], v[3:4], v[13:14]
	v_fma_f64 v[15:16], v[3:4], v[11:12], -v[15:16]
	v_fma_f64 v[17:18], v[5:6], v[11:12], v[17:18]
	v_add_f64 v[23:24], v[23:24], v[15:16]
	v_add_f64 v[25:26], v[17:18], v[25:26]
	ds_read_b128 v[15:18], v31 offset:2816
	s_waitcnt lgkmcnt(0)
	v_mul_f64 v[41:42], v[5:6], v[17:18]
	v_fma_f64 v[41:42], v[3:4], v[15:16], -v[41:42]
	v_mul_f64 v[3:4], v[3:4], v[17:18]
	v_add_f64 v[33:34], v[33:34], v[41:42]
	v_fma_f64 v[3:4], v[5:6], v[15:16], v[3:4]
	v_add_f64 v[35:36], v[3:4], v[35:36]
	ds_read_b128 v[3:6], v32 offset:2128
	s_waitcnt lgkmcnt(0)
	v_mul_f64 v[41:42], v[5:6], v[13:14]
	v_mul_f64 v[13:14], v[3:4], v[13:14]
	v_fma_f64 v[41:42], v[3:4], v[11:12], -v[41:42]
	v_fma_f64 v[11:12], v[5:6], v[11:12], v[13:14]
	v_add_f64 v[37:38], v[37:38], v[41:42]
	v_add_f64 v[39:40], v[11:12], v[39:40]
	v_mul_f64 v[11:12], v[5:6], v[17:18]
	v_fma_f64 v[11:12], v[3:4], v[15:16], -v[11:12]
	v_mul_f64 v[3:4], v[3:4], v[17:18]
	v_add_f64 v[19:20], v[19:20], v[11:12]
	v_fma_f64 v[3:4], v[5:6], v[15:16], v[3:4]
	;; [unrolled: 31-line block ×3, first 2 shown]
	v_add_f64 v[43:44], v[3:4], v[21:22]
	ds_read_b128 v[3:6], v32 offset:112
	ds_read_b128 v[15:18], v31 offset:3584
	s_waitcnt lgkmcnt(0)
	v_mul_f64 v[11:12], v[5:6], v[17:18]
	v_mul_f64 v[13:14], v[3:4], v[17:18]
	v_fma_f64 v[11:12], v[3:4], v[15:16], -v[11:12]
	v_fma_f64 v[13:14], v[5:6], v[15:16], v[13:14]
	v_add_f64 v[19:20], v[23:24], v[11:12]
	v_add_f64 v[21:22], v[13:14], v[25:26]
	ds_read_b128 v[23:26], v31 offset:3840
	s_waitcnt lgkmcnt(0)
	v_mul_f64 v[11:12], v[5:6], v[25:26]
	v_fma_f64 v[11:12], v[3:4], v[23:24], -v[11:12]
	v_mul_f64 v[3:4], v[3:4], v[25:26]
	v_add_f64 v[11:12], v[33:34], v[11:12]
	v_fma_f64 v[3:4], v[5:6], v[23:24], v[3:4]
	v_add_f64 v[13:14], v[3:4], v[35:36]
	ds_read_b128 v[3:6], v32 offset:2160
	s_waitcnt lgkmcnt(0)
	s_barrier
	v_mul_f64 v[33:34], v[5:6], v[17:18]
	v_mul_f64 v[17:18], v[3:4], v[17:18]
	v_fma_f64 v[33:34], v[3:4], v[15:16], -v[33:34]
	v_fma_f64 v[17:18], v[5:6], v[15:16], v[17:18]
	v_add_f64 v[15:16], v[37:38], v[33:34]
	v_mul_f64 v[33:34], v[5:6], v[25:26]
	v_add_f64 v[17:18], v[17:18], v[39:40]
	v_fma_f64 v[33:34], v[3:4], v[23:24], -v[33:34]
	v_mul_f64 v[3:4], v[3:4], v[25:26]
	v_add_f64 v[25:26], v[41:42], v[33:34]
	v_fma_f64 v[3:4], v[5:6], v[23:24], v[3:4]
	v_add_f64 v[23:24], v[3:4], v[43:44]
	s_cbranch_scc1 .LBB919_10
.LBB919_3:                              ; =>This Inner Loop Header: Depth=1
	v_add_u32_e32 v3, s9, v28
	v_cmp_gt_i32_e32 vcc, s11, v3
	v_mov_b32_e32 v3, 0
	v_mov_b32_e32 v5, 0
	;; [unrolled: 1-line block ×4, first 2 shown]
	s_and_b64 s[24:25], s[0:1], vcc
	s_and_saveexec_b64 s[6:7], s[24:25]
	s_cbranch_execz .LBB919_5
; %bb.4:                                ;   in Loop: Header=BB919_3 Depth=1
	flat_load_dwordx4 v[3:6], v[7:8]
	s_waitcnt vmcnt(0) lgkmcnt(0)
	v_xor_b32_e32 v6, 0x80000000, v6
.LBB919_5:                              ;   in Loop: Header=BB919_3 Depth=1
	s_or_b64 exec, exec, s[6:7]
	ds_write_b128 v29, v[3:6]
	v_add_u32_e32 v3, s9, v27
	v_cmp_le_i32_e32 vcc, s11, v3
	s_or_b64 s[6:7], vcc, s[2:3]
	s_and_saveexec_b64 s[24:25], s[6:7]
	s_xor_b64 s[6:7], exec, s[24:25]
; %bb.6:                                ;   in Loop: Header=BB919_3 Depth=1
	v_mov_b32_e32 v3, v2
	v_mov_b32_e32 v4, v2
	;; [unrolled: 1-line block ×3, first 2 shown]
	ds_write_b128 v30, v[2:5]
; %bb.7:                                ;   in Loop: Header=BB919_3 Depth=1
	s_andn2_saveexec_b64 s[6:7], s[6:7]
	s_cbranch_execz .LBB919_2
; %bb.8:                                ;   in Loop: Header=BB919_3 Depth=1
	flat_load_dwordx4 v[3:6], v[9:10]
	s_waitcnt vmcnt(0) lgkmcnt(0)
	ds_write2_b64 v30, v[3:4], v[5:6] offset1:1
	s_branch .LBB919_2
.LBB919_9:
	v_mov_b32_e32 v19, 0
	v_mov_b32_e32 v21, 0
	;; [unrolled: 1-line block ×16, first 2 shown]
.LBB919_10:
	s_load_dword s4, s[4:5], 0x60
	v_add_u32_e32 v4, s22, v1
	s_waitcnt lgkmcnt(0)
	v_mov_b32_e32 v3, s21
	v_add_u32_e32 v0, s8, v0
	v_cmp_gt_i32_e32 vcc, s10, v4
	v_mad_i64_i32 v[1:2], s[0:1], v4, s4, 0
	v_lshlrev_b64 v[1:2], 4, v[1:2]
	v_add_co_u32_e64 v5, s[0:1], s20, v1
	v_addc_co_u32_e64 v6, s[0:1], v3, v2, s[0:1]
	v_cmp_le_i32_e64 s[0:1], v0, v4
	s_and_b64 s[0:1], vcc, s[0:1]
	s_and_saveexec_b64 s[2:3], s[0:1]
	s_cbranch_execz .LBB919_12
; %bb.11:
	v_ashrrev_i32_e32 v1, 31, v0
	v_lshlrev_b64 v[1:2], 4, v[0:1]
	v_mul_f64 v[27:28], s[12:13], v[21:22]
	v_add_co_u32_e64 v1, s[0:1], v5, v1
	v_addc_co_u32_e64 v2, s[0:1], v6, v2, s[0:1]
	flat_load_dwordx4 v[7:10], v[1:2]
	v_mul_f64 v[21:22], s[14:15], v[21:22]
	v_cmp_ne_u32_e64 s[0:1], v4, v0
	v_fma_f64 v[27:28], s[14:15], v[19:20], v[27:28]
	v_fma_f64 v[19:20], s[12:13], v[19:20], -v[21:22]
	s_waitcnt vmcnt(0) lgkmcnt(0)
	v_mul_f64 v[29:30], s[16:17], v[9:10]
	v_mul_f64 v[9:10], s[18:19], v[9:10]
	v_fma_f64 v[29:30], s[18:19], v[7:8], v[29:30]
	v_fma_f64 v[7:8], s[16:17], v[7:8], -v[9:10]
	v_add_f64 v[9:10], v[27:28], v[29:30]
	v_add_f64 v[7:8], v[19:20], v[7:8]
	v_cndmask_b32_e64 v10, 0, v10, s[0:1]
	v_cndmask_b32_e64 v9, 0, v9, s[0:1]
	flat_store_dwordx4 v[1:2], v[7:10]
.LBB919_12:
	s_or_b64 exec, exec, s[2:3]
	v_add_u32_e32 v2, 16, v0
	v_cmp_le_i32_e64 s[0:1], v2, v4
	s_and_b64 s[2:3], vcc, s[0:1]
	s_and_saveexec_b64 s[0:1], s[2:3]
	s_cbranch_execz .LBB919_14
; %bb.13:
	v_ashrrev_i32_e32 v3, 31, v2
	v_lshlrev_b64 v[7:8], 4, v[2:3]
	v_mul_f64 v[19:20], s[12:13], v[13:14]
	v_add_co_u32_e32 v9, vcc, v5, v7
	v_addc_co_u32_e32 v10, vcc, v6, v8, vcc
	flat_load_dwordx4 v[5:8], v[9:10]
	v_mul_f64 v[13:14], s[14:15], v[13:14]
	v_cmp_ne_u32_e32 vcc, v4, v2
	v_fma_f64 v[19:20], s[14:15], v[11:12], v[19:20]
	v_fma_f64 v[11:12], s[12:13], v[11:12], -v[13:14]
	s_waitcnt vmcnt(0) lgkmcnt(0)
	v_mul_f64 v[21:22], s[16:17], v[7:8]
	v_mul_f64 v[7:8], s[18:19], v[7:8]
	v_fma_f64 v[21:22], s[18:19], v[5:6], v[21:22]
	v_fma_f64 v[5:6], s[16:17], v[5:6], -v[7:8]
	v_add_f64 v[7:8], v[19:20], v[21:22]
	v_add_f64 v[5:6], v[11:12], v[5:6]
	v_cndmask_b32_e32 v8, 0, v8, vcc
	v_cndmask_b32_e32 v7, 0, v7, vcc
	flat_store_dwordx4 v[9:10], v[5:8]
.LBB919_14:
	s_or_b64 exec, exec, s[0:1]
	v_add_u32_e32 v3, 16, v4
	v_mad_i64_i32 v[5:6], s[0:1], v3, s4, 0
	v_mov_b32_e32 v1, s21
	v_cmp_gt_i32_e32 vcc, s10, v3
	v_lshlrev_b64 v[5:6], 4, v[5:6]
	v_add_co_u32_e64 v5, s[0:1], s20, v5
	v_addc_co_u32_e64 v6, s[0:1], v1, v6, s[0:1]
	v_cmp_le_i32_e64 s[0:1], v0, v3
	s_and_b64 s[0:1], vcc, s[0:1]
	s_and_saveexec_b64 s[2:3], s[0:1]
	s_cbranch_execz .LBB919_16
; %bb.15:
	v_ashrrev_i32_e32 v1, 31, v0
	v_lshlrev_b64 v[7:8], 4, v[0:1]
	v_mul_f64 v[13:14], s[12:13], v[17:18]
	v_add_co_u32_e64 v11, s[0:1], v5, v7
	v_addc_co_u32_e64 v12, s[0:1], v6, v8, s[0:1]
	flat_load_dwordx4 v[7:10], v[11:12]
	v_mul_f64 v[17:18], s[14:15], v[17:18]
	v_cmp_ne_u32_e64 s[0:1], v3, v0
	v_fma_f64 v[13:14], s[14:15], v[15:16], v[13:14]
	v_fma_f64 v[15:16], s[12:13], v[15:16], -v[17:18]
	s_waitcnt vmcnt(0) lgkmcnt(0)
	v_mul_f64 v[19:20], s[16:17], v[9:10]
	v_mul_f64 v[9:10], s[18:19], v[9:10]
	v_fma_f64 v[19:20], s[18:19], v[7:8], v[19:20]
	v_fma_f64 v[7:8], s[16:17], v[7:8], -v[9:10]
	v_add_f64 v[9:10], v[13:14], v[19:20]
	v_add_f64 v[7:8], v[15:16], v[7:8]
	v_cndmask_b32_e64 v10, 0, v10, s[0:1]
	v_cndmask_b32_e64 v9, 0, v9, s[0:1]
	flat_store_dwordx4 v[11:12], v[7:10]
.LBB919_16:
	s_or_b64 exec, exec, s[2:3]
	v_cmp_le_i32_e64 s[0:1], v2, v3
	s_and_b64 s[0:1], vcc, s[0:1]
	s_and_saveexec_b64 s[2:3], s[0:1]
	s_cbranch_execz .LBB919_18
; %bb.17:
	v_ashrrev_i32_e32 v3, 31, v2
	v_lshlrev_b64 v[1:2], 4, v[2:3]
	v_mul_f64 v[13:14], s[14:15], v[23:24]
	v_add_co_u32_e32 v9, vcc, v5, v1
	v_addc_co_u32_e32 v10, vcc, v6, v2, vcc
	flat_load_dwordx4 v[5:8], v[9:10]
	v_mul_f64 v[1:2], s[12:13], v[23:24]
	v_cmp_ne_u32_e32 vcc, v4, v0
	v_fma_f64 v[13:14], s[12:13], v[25:26], -v[13:14]
	v_fma_f64 v[1:2], s[14:15], v[25:26], v[1:2]
	s_waitcnt vmcnt(0) lgkmcnt(0)
	v_mul_f64 v[11:12], s[16:17], v[7:8]
	v_mul_f64 v[7:8], s[18:19], v[7:8]
	v_fma_f64 v[11:12], s[18:19], v[5:6], v[11:12]
	v_fma_f64 v[5:6], s[16:17], v[5:6], -v[7:8]
	v_add_f64 v[7:8], v[1:2], v[11:12]
	v_add_f64 v[1:2], v[13:14], v[5:6]
	v_cndmask_b32_e32 v4, 0, v8, vcc
	v_cndmask_b32_e32 v3, 0, v7, vcc
	flat_store_dwordx4 v[9:10], v[1:4]
.LBB919_18:
	s_endpgm
	.section	.rodata,"a",@progbits
	.p2align	6, 0x0
	.amdhsa_kernel _ZL34rocblas_syrkx_herkx_general_kernelIi19rocblas_complex_numIdELi16ELi32ELi8ELb0ELb1ELc67ELc85EKPKS1_KPS1_EviT_T0_PT8_S7_lSA_S7_lS8_PT9_S7_li
		.amdhsa_group_segment_fixed_size 8192
		.amdhsa_private_segment_fixed_size 0
		.amdhsa_kernarg_size 116
		.amdhsa_user_sgpr_count 6
		.amdhsa_user_sgpr_private_segment_buffer 1
		.amdhsa_user_sgpr_dispatch_ptr 0
		.amdhsa_user_sgpr_queue_ptr 0
		.amdhsa_user_sgpr_kernarg_segment_ptr 1
		.amdhsa_user_sgpr_dispatch_id 0
		.amdhsa_user_sgpr_flat_scratch_init 0
		.amdhsa_user_sgpr_private_segment_size 0
		.amdhsa_uses_dynamic_stack 0
		.amdhsa_system_sgpr_private_segment_wavefront_offset 0
		.amdhsa_system_sgpr_workgroup_id_x 1
		.amdhsa_system_sgpr_workgroup_id_y 1
		.amdhsa_system_sgpr_workgroup_id_z 1
		.amdhsa_system_sgpr_workgroup_info 0
		.amdhsa_system_vgpr_workitem_id 1
		.amdhsa_next_free_vgpr 57
		.amdhsa_next_free_sgpr 61
		.amdhsa_reserve_vcc 1
		.amdhsa_reserve_flat_scratch 0
		.amdhsa_float_round_mode_32 0
		.amdhsa_float_round_mode_16_64 0
		.amdhsa_float_denorm_mode_32 3
		.amdhsa_float_denorm_mode_16_64 3
		.amdhsa_dx10_clamp 1
		.amdhsa_ieee_mode 1
		.amdhsa_fp16_overflow 0
		.amdhsa_exception_fp_ieee_invalid_op 0
		.amdhsa_exception_fp_denorm_src 0
		.amdhsa_exception_fp_ieee_div_zero 0
		.amdhsa_exception_fp_ieee_overflow 0
		.amdhsa_exception_fp_ieee_underflow 0
		.amdhsa_exception_fp_ieee_inexact 0
		.amdhsa_exception_int_div_zero 0
	.end_amdhsa_kernel
	.section	.text._ZL34rocblas_syrkx_herkx_general_kernelIi19rocblas_complex_numIdELi16ELi32ELi8ELb0ELb1ELc67ELc85EKPKS1_KPS1_EviT_T0_PT8_S7_lSA_S7_lS8_PT9_S7_li,"axG",@progbits,_ZL34rocblas_syrkx_herkx_general_kernelIi19rocblas_complex_numIdELi16ELi32ELi8ELb0ELb1ELc67ELc85EKPKS1_KPS1_EviT_T0_PT8_S7_lSA_S7_lS8_PT9_S7_li,comdat
.Lfunc_end919:
	.size	_ZL34rocblas_syrkx_herkx_general_kernelIi19rocblas_complex_numIdELi16ELi32ELi8ELb0ELb1ELc67ELc85EKPKS1_KPS1_EviT_T0_PT8_S7_lSA_S7_lS8_PT9_S7_li, .Lfunc_end919-_ZL34rocblas_syrkx_herkx_general_kernelIi19rocblas_complex_numIdELi16ELi32ELi8ELb0ELb1ELc67ELc85EKPKS1_KPS1_EviT_T0_PT8_S7_lSA_S7_lS8_PT9_S7_li
                                        ; -- End function
	.set _ZL34rocblas_syrkx_herkx_general_kernelIi19rocblas_complex_numIdELi16ELi32ELi8ELb0ELb1ELc67ELc85EKPKS1_KPS1_EviT_T0_PT8_S7_lSA_S7_lS8_PT9_S7_li.num_vgpr, 57
	.set _ZL34rocblas_syrkx_herkx_general_kernelIi19rocblas_complex_numIdELi16ELi32ELi8ELb0ELb1ELc67ELc85EKPKS1_KPS1_EviT_T0_PT8_S7_lSA_S7_lS8_PT9_S7_li.num_agpr, 0
	.set _ZL34rocblas_syrkx_herkx_general_kernelIi19rocblas_complex_numIdELi16ELi32ELi8ELb0ELb1ELc67ELc85EKPKS1_KPS1_EviT_T0_PT8_S7_lSA_S7_lS8_PT9_S7_li.numbered_sgpr, 27
	.set _ZL34rocblas_syrkx_herkx_general_kernelIi19rocblas_complex_numIdELi16ELi32ELi8ELb0ELb1ELc67ELc85EKPKS1_KPS1_EviT_T0_PT8_S7_lSA_S7_lS8_PT9_S7_li.num_named_barrier, 0
	.set _ZL34rocblas_syrkx_herkx_general_kernelIi19rocblas_complex_numIdELi16ELi32ELi8ELb0ELb1ELc67ELc85EKPKS1_KPS1_EviT_T0_PT8_S7_lSA_S7_lS8_PT9_S7_li.private_seg_size, 0
	.set _ZL34rocblas_syrkx_herkx_general_kernelIi19rocblas_complex_numIdELi16ELi32ELi8ELb0ELb1ELc67ELc85EKPKS1_KPS1_EviT_T0_PT8_S7_lSA_S7_lS8_PT9_S7_li.uses_vcc, 1
	.set _ZL34rocblas_syrkx_herkx_general_kernelIi19rocblas_complex_numIdELi16ELi32ELi8ELb0ELb1ELc67ELc85EKPKS1_KPS1_EviT_T0_PT8_S7_lSA_S7_lS8_PT9_S7_li.uses_flat_scratch, 0
	.set _ZL34rocblas_syrkx_herkx_general_kernelIi19rocblas_complex_numIdELi16ELi32ELi8ELb0ELb1ELc67ELc85EKPKS1_KPS1_EviT_T0_PT8_S7_lSA_S7_lS8_PT9_S7_li.has_dyn_sized_stack, 0
	.set _ZL34rocblas_syrkx_herkx_general_kernelIi19rocblas_complex_numIdELi16ELi32ELi8ELb0ELb1ELc67ELc85EKPKS1_KPS1_EviT_T0_PT8_S7_lSA_S7_lS8_PT9_S7_li.has_recursion, 0
	.set _ZL34rocblas_syrkx_herkx_general_kernelIi19rocblas_complex_numIdELi16ELi32ELi8ELb0ELb1ELc67ELc85EKPKS1_KPS1_EviT_T0_PT8_S7_lSA_S7_lS8_PT9_S7_li.has_indirect_call, 0
	.section	.AMDGPU.csdata,"",@progbits
; Kernel info:
; codeLenInByte = 3348
; TotalNumSgprs: 31
; NumVgprs: 57
; ScratchSize: 0
; MemoryBound: 1
; FloatMode: 240
; IeeeMode: 1
; LDSByteSize: 8192 bytes/workgroup (compile time only)
; SGPRBlocks: 8
; VGPRBlocks: 14
; NumSGPRsForWavesPerEU: 65
; NumVGPRsForWavesPerEU: 57
; Occupancy: 4
; WaveLimiterHint : 1
; COMPUTE_PGM_RSRC2:SCRATCH_EN: 0
; COMPUTE_PGM_RSRC2:USER_SGPR: 6
; COMPUTE_PGM_RSRC2:TRAP_HANDLER: 0
; COMPUTE_PGM_RSRC2:TGID_X_EN: 1
; COMPUTE_PGM_RSRC2:TGID_Y_EN: 1
; COMPUTE_PGM_RSRC2:TGID_Z_EN: 1
; COMPUTE_PGM_RSRC2:TIDIG_COMP_CNT: 1
	.section	.text._ZL34rocblas_syrkx_herkx_general_kernelIi19rocblas_complex_numIdELi16ELi32ELi8ELb0ELb1ELc78ELc85EKPKS1_KPS1_EviT_T0_PT8_S7_lSA_S7_lS8_PT9_S7_li,"axG",@progbits,_ZL34rocblas_syrkx_herkx_general_kernelIi19rocblas_complex_numIdELi16ELi32ELi8ELb0ELb1ELc78ELc85EKPKS1_KPS1_EviT_T0_PT8_S7_lSA_S7_lS8_PT9_S7_li,comdat
	.globl	_ZL34rocblas_syrkx_herkx_general_kernelIi19rocblas_complex_numIdELi16ELi32ELi8ELb0ELb1ELc78ELc85EKPKS1_KPS1_EviT_T0_PT8_S7_lSA_S7_lS8_PT9_S7_li ; -- Begin function _ZL34rocblas_syrkx_herkx_general_kernelIi19rocblas_complex_numIdELi16ELi32ELi8ELb0ELb1ELc78ELc85EKPKS1_KPS1_EviT_T0_PT8_S7_lSA_S7_lS8_PT9_S7_li
	.p2align	8
	.type	_ZL34rocblas_syrkx_herkx_general_kernelIi19rocblas_complex_numIdELi16ELi32ELi8ELb0ELb1ELc78ELc85EKPKS1_KPS1_EviT_T0_PT8_S7_lSA_S7_lS8_PT9_S7_li,@function
_ZL34rocblas_syrkx_herkx_general_kernelIi19rocblas_complex_numIdELi16ELi32ELi8ELb0ELb1ELc78ELc85EKPKS1_KPS1_EviT_T0_PT8_S7_lSA_S7_lS8_PT9_S7_li: ; @_ZL34rocblas_syrkx_herkx_general_kernelIi19rocblas_complex_numIdELi16ELi32ELi8ELb0ELb1ELc78ELc85EKPKS1_KPS1_EviT_T0_PT8_S7_lSA_S7_lS8_PT9_S7_li
; %bb.0:
	s_load_dwordx2 s[10:11], s[4:5], 0x0
	s_load_dwordx4 s[12:15], s[4:5], 0x8
	s_load_dwordx2 s[20:21], s[4:5], 0x58
	s_load_dwordx2 s[0:1], s[4:5], 0x18
	s_load_dwordx4 s[16:19], s[4:5], 0x48
	s_mov_b32 s9, 0
	s_lshl_b64 s[2:3], s[8:9], 3
	s_waitcnt lgkmcnt(0)
	s_add_u32 s20, s20, s2
	s_addc_u32 s21, s21, s3
	s_load_dwordx2 s[20:21], s[20:21], 0x0
	s_lshl_b32 s8, s6, 5
	s_lshl_b32 s24, s7, 5
	s_cmp_lt_i32 s11, 1
	s_cbranch_scc1 .LBB920_9
; %bb.1:
	s_load_dword s6, s[4:5], 0x20
	s_load_dword s22, s[4:5], 0x38
	s_load_dwordx2 s[26:27], s[4:5], 0x30
	v_lshl_add_u32 v3, v1, 4, v0
	v_and_b32_e32 v6, 31, v3
	s_waitcnt lgkmcnt(0)
	s_ashr_i32 s7, s6, 31
	s_ashr_i32 s23, s22, 31
	s_add_u32 s26, s26, s2
	s_addc_u32 s27, s27, s3
	s_add_u32 s0, s0, s2
	v_lshrrev_b32_e32 v28, 5, v3
	v_lshrrev_b32_e32 v4, 3, v3
	v_or_b32_e32 v3, s8, v6
	s_addc_u32 s1, s1, s3
	v_and_b32_e32 v27, 7, v0
	s_load_dwordx2 s[28:29], s[0:1], 0x0
	v_cmp_gt_i32_e64 s[0:1], s10, v3
	v_lshlrev_b32_e32 v3, 4, v6
	v_lshl_or_b32 v29, v28, 9, v3
	v_lshlrev_b32_e32 v3, 4, v27
	v_add_u32_e32 v2, s24, v4
	v_lshl_or_b32 v3, v4, 7, v3
	v_mad_i64_i32 v[4:5], s[2:3], v28, s6, 0
	v_mov_b32_e32 v7, 0x1000
	v_add_u32_e32 v6, s8, v6
	v_lshl_add_u32 v32, v1, 7, v7
	v_ashrrev_i32_e32 v7, 31, v6
	v_lshlrev_b64 v[4:5], 4, v[4:5]
	v_lshlrev_b64 v[6:7], 4, v[6:7]
	s_load_dwordx2 s[26:27], s[26:27], 0x0
	v_add_co_u32_e64 v6, s[2:3], v4, v6
	v_addc_co_u32_e64 v8, s[2:3], v5, v7, s[2:3]
	v_mad_i64_i32 v[4:5], s[2:3], s22, v27, 0
	v_add_u32_e32 v30, 0x1000, v3
	v_ashrrev_i32_e32 v3, 31, v2
	v_cmp_gt_i32_e32 vcc, s10, v2
	s_waitcnt lgkmcnt(0)
	v_mov_b32_e32 v9, s29
	v_add_co_u32_e64 v7, s[2:3], s28, v6
	v_lshlrev_b64 v[4:5], 4, v[4:5]
	v_lshlrev_b64 v[2:3], 4, v[2:3]
	v_addc_co_u32_e64 v8, s[2:3], v9, v8, s[2:3]
	v_add_co_u32_e64 v2, s[2:3], v4, v2
	v_addc_co_u32_e64 v3, s[2:3], v5, v3, s[2:3]
	v_mov_b32_e32 v4, s27
	v_add_co_u32_e64 v9, s[2:3], s26, v2
	v_addc_co_u32_e64 v10, s[2:3], v4, v3, s[2:3]
	s_lshl_b64 s[6:7], s[6:7], 7
	s_lshl_b64 s[2:3], s[22:23], 7
	v_mov_b32_e32 v23, 0
	v_mov_b32_e32 v25, 0
	;; [unrolled: 1-line block ×8, first 2 shown]
	v_lshlrev_b32_e32 v31, 4, v0
	v_mov_b32_e32 v24, 0
	s_xor_b64 s[22:23], s[0:1], -1
	v_mov_b32_e32 v33, s7
	v_mov_b32_e32 v34, s3
	;; [unrolled: 1-line block ×10, first 2 shown]
	s_branch .LBB920_3
.LBB920_2:                              ;   in Loop: Header=BB920_3 Depth=1
	s_or_b64 exec, exec, s[0:1]
	ds_write_b128 v30, v[3:6]
	s_waitcnt lgkmcnt(0)
	s_barrier
	ds_read_b128 v[3:6], v32
	ds_read_b128 v[35:38], v32 offset:16
	ds_read_b128 v[39:42], v32 offset:32
	;; [unrolled: 1-line block ×3, first 2 shown]
	ds_read_b128 v[47:50], v31
	v_add_co_u32_e64 v7, s[0:1], s6, v7
	v_addc_co_u32_e64 v8, s[0:1], v8, v33, s[0:1]
	s_waitcnt lgkmcnt(0)
	v_mul_f64 v[51:52], v[5:6], v[49:50]
	v_mul_f64 v[53:54], v[3:4], v[49:50]
	s_add_i32 s9, s9, 8
	v_add_co_u32_e64 v9, s[0:1], s2, v9
	v_addc_co_u32_e64 v10, s[0:1], v10, v34, s[0:1]
	s_cmp_ge_i32 s9, s11
	v_fma_f64 v[51:52], v[3:4], v[47:48], -v[51:52]
	v_fma_f64 v[53:54], v[5:6], v[47:48], v[53:54]
	v_add_f64 v[51:52], v[19:20], v[51:52]
	v_add_f64 v[53:54], v[53:54], v[21:22]
	ds_read_b128 v[19:22], v31 offset:256
	s_waitcnt lgkmcnt(0)
	v_mul_f64 v[55:56], v[5:6], v[21:22]
	v_fma_f64 v[55:56], v[3:4], v[19:20], -v[55:56]
	v_mul_f64 v[3:4], v[3:4], v[21:22]
	v_add_f64 v[55:56], v[11:12], v[55:56]
	v_fma_f64 v[3:4], v[5:6], v[19:20], v[3:4]
	v_add_f64 v[57:58], v[3:4], v[13:14]
	ds_read_b128 v[3:6], v32 offset:2048
	s_waitcnt lgkmcnt(0)
	v_mul_f64 v[11:12], v[5:6], v[49:50]
	v_mul_f64 v[13:14], v[3:4], v[49:50]
	v_fma_f64 v[11:12], v[3:4], v[47:48], -v[11:12]
	v_fma_f64 v[13:14], v[5:6], v[47:48], v[13:14]
	v_add_f64 v[47:48], v[15:16], v[11:12]
	v_mul_f64 v[11:12], v[5:6], v[21:22]
	v_add_f64 v[49:50], v[13:14], v[17:18]
	v_fma_f64 v[11:12], v[3:4], v[19:20], -v[11:12]
	v_mul_f64 v[3:4], v[3:4], v[21:22]
	v_fma_f64 v[3:4], v[5:6], v[19:20], v[3:4]
	v_add_f64 v[19:20], v[25:26], v[11:12]
	v_add_f64 v[21:22], v[3:4], v[23:24]
	ds_read_b128 v[3:6], v31 offset:512
	s_waitcnt lgkmcnt(0)
	v_mul_f64 v[11:12], v[37:38], v[5:6]
	v_mul_f64 v[13:14], v[35:36], v[5:6]
	v_fma_f64 v[11:12], v[35:36], v[3:4], -v[11:12]
	v_fma_f64 v[13:14], v[37:38], v[3:4], v[13:14]
	v_add_f64 v[23:24], v[51:52], v[11:12]
	v_add_f64 v[25:26], v[13:14], v[53:54]
	ds_read_b128 v[11:14], v31 offset:768
	s_waitcnt lgkmcnt(0)
	v_mul_f64 v[15:16], v[37:38], v[13:14]
	v_mul_f64 v[17:18], v[35:36], v[13:14]
	v_fma_f64 v[15:16], v[35:36], v[11:12], -v[15:16]
	;; [unrolled: 8-line block ×3, first 2 shown]
	v_fma_f64 v[3:4], v[17:18], v[3:4], v[5:6]
	v_mul_f64 v[5:6], v[15:16], v[13:14]
	v_add_f64 v[47:48], v[47:48], v[51:52]
	v_add_f64 v[49:50], v[3:4], v[49:50]
	v_mul_f64 v[3:4], v[17:18], v[13:14]
	v_fma_f64 v[5:6], v[17:18], v[11:12], v[5:6]
	v_fma_f64 v[3:4], v[15:16], v[11:12], -v[3:4]
	v_add_f64 v[21:22], v[5:6], v[21:22]
	v_add_f64 v[19:20], v[19:20], v[3:4]
	ds_read_b128 v[3:6], v31 offset:1024
	s_waitcnt lgkmcnt(0)
	v_mul_f64 v[11:12], v[41:42], v[5:6]
	v_mul_f64 v[13:14], v[39:40], v[5:6]
	v_fma_f64 v[11:12], v[39:40], v[3:4], -v[11:12]
	v_fma_f64 v[13:14], v[41:42], v[3:4], v[13:14]
	v_add_f64 v[23:24], v[23:24], v[11:12]
	v_add_f64 v[25:26], v[13:14], v[25:26]
	ds_read_b128 v[11:14], v31 offset:1280
	s_waitcnt lgkmcnt(0)
	v_mul_f64 v[15:16], v[41:42], v[13:14]
	v_mul_f64 v[17:18], v[39:40], v[13:14]
	v_fma_f64 v[15:16], v[39:40], v[11:12], -v[15:16]
	v_fma_f64 v[17:18], v[41:42], v[11:12], v[17:18]
	;; [unrolled: 8-line block ×3, first 2 shown]
	v_mul_f64 v[5:6], v[15:16], v[13:14]
	v_add_f64 v[39:40], v[47:48], v[39:40]
	v_add_f64 v[41:42], v[3:4], v[49:50]
	v_mul_f64 v[3:4], v[17:18], v[13:14]
	v_fma_f64 v[5:6], v[17:18], v[11:12], v[5:6]
	v_fma_f64 v[3:4], v[15:16], v[11:12], -v[3:4]
	v_add_f64 v[21:22], v[5:6], v[21:22]
	v_add_f64 v[19:20], v[19:20], v[3:4]
	ds_read_b128 v[3:6], v31 offset:1536
	s_waitcnt lgkmcnt(0)
	v_mul_f64 v[11:12], v[45:46], v[5:6]
	v_mul_f64 v[13:14], v[43:44], v[5:6]
	v_fma_f64 v[11:12], v[43:44], v[3:4], -v[11:12]
	v_fma_f64 v[13:14], v[45:46], v[3:4], v[13:14]
	v_add_f64 v[23:24], v[23:24], v[11:12]
	v_add_f64 v[25:26], v[13:14], v[25:26]
	ds_read_b128 v[11:14], v31 offset:1792
	s_waitcnt lgkmcnt(0)
	v_mul_f64 v[15:16], v[45:46], v[13:14]
	v_mul_f64 v[17:18], v[43:44], v[13:14]
	v_fma_f64 v[15:16], v[43:44], v[11:12], -v[15:16]
	v_fma_f64 v[17:18], v[45:46], v[11:12], v[17:18]
	;; [unrolled: 8-line block ×3, first 2 shown]
	v_mul_f64 v[5:6], v[15:16], v[13:14]
	v_add_f64 v[39:40], v[39:40], v[43:44]
	v_add_f64 v[41:42], v[3:4], v[41:42]
	v_mul_f64 v[3:4], v[17:18], v[13:14]
	v_fma_f64 v[5:6], v[17:18], v[11:12], v[5:6]
	v_fma_f64 v[3:4], v[15:16], v[11:12], -v[3:4]
	v_add_f64 v[21:22], v[5:6], v[21:22]
	v_add_f64 v[19:20], v[19:20], v[3:4]
	ds_read_b128 v[3:6], v32 offset:64
	ds_read_b128 v[11:14], v31 offset:2048
	s_waitcnt lgkmcnt(0)
	v_mul_f64 v[15:16], v[5:6], v[13:14]
	v_mul_f64 v[17:18], v[3:4], v[13:14]
	v_fma_f64 v[15:16], v[3:4], v[11:12], -v[15:16]
	v_fma_f64 v[17:18], v[5:6], v[11:12], v[17:18]
	v_add_f64 v[23:24], v[23:24], v[15:16]
	v_add_f64 v[25:26], v[17:18], v[25:26]
	ds_read_b128 v[15:18], v31 offset:2304
	s_waitcnt lgkmcnt(0)
	v_mul_f64 v[43:44], v[5:6], v[17:18]
	v_fma_f64 v[43:44], v[3:4], v[15:16], -v[43:44]
	v_mul_f64 v[3:4], v[3:4], v[17:18]
	v_add_f64 v[35:36], v[35:36], v[43:44]
	v_fma_f64 v[3:4], v[5:6], v[15:16], v[3:4]
	v_add_f64 v[37:38], v[3:4], v[37:38]
	ds_read_b128 v[3:6], v32 offset:2112
	s_waitcnt lgkmcnt(0)
	v_mul_f64 v[43:44], v[5:6], v[13:14]
	v_mul_f64 v[13:14], v[3:4], v[13:14]
	v_fma_f64 v[43:44], v[3:4], v[11:12], -v[43:44]
	v_fma_f64 v[11:12], v[5:6], v[11:12], v[13:14]
	v_add_f64 v[39:40], v[39:40], v[43:44]
	v_add_f64 v[41:42], v[11:12], v[41:42]
	v_mul_f64 v[11:12], v[5:6], v[17:18]
	v_fma_f64 v[11:12], v[3:4], v[15:16], -v[11:12]
	v_mul_f64 v[3:4], v[3:4], v[17:18]
	v_add_f64 v[19:20], v[19:20], v[11:12]
	v_fma_f64 v[3:4], v[5:6], v[15:16], v[3:4]
	v_add_f64 v[21:22], v[3:4], v[21:22]
	ds_read_b128 v[3:6], v32 offset:80
	ds_read_b128 v[11:14], v31 offset:2560
	s_waitcnt lgkmcnt(0)
	v_mul_f64 v[15:16], v[5:6], v[13:14]
	v_mul_f64 v[17:18], v[3:4], v[13:14]
	v_fma_f64 v[15:16], v[3:4], v[11:12], -v[15:16]
	v_fma_f64 v[17:18], v[5:6], v[11:12], v[17:18]
	v_add_f64 v[23:24], v[23:24], v[15:16]
	v_add_f64 v[25:26], v[17:18], v[25:26]
	ds_read_b128 v[15:18], v31 offset:2816
	s_waitcnt lgkmcnt(0)
	v_mul_f64 v[43:44], v[5:6], v[17:18]
	v_fma_f64 v[43:44], v[3:4], v[15:16], -v[43:44]
	v_mul_f64 v[3:4], v[3:4], v[17:18]
	v_add_f64 v[35:36], v[35:36], v[43:44]
	v_fma_f64 v[3:4], v[5:6], v[15:16], v[3:4]
	v_add_f64 v[37:38], v[3:4], v[37:38]
	ds_read_b128 v[3:6], v32 offset:2128
	s_waitcnt lgkmcnt(0)
	v_mul_f64 v[43:44], v[5:6], v[13:14]
	v_mul_f64 v[13:14], v[3:4], v[13:14]
	v_fma_f64 v[43:44], v[3:4], v[11:12], -v[43:44]
	v_fma_f64 v[11:12], v[5:6], v[11:12], v[13:14]
	v_add_f64 v[39:40], v[39:40], v[43:44]
	v_add_f64 v[41:42], v[11:12], v[41:42]
	v_mul_f64 v[11:12], v[5:6], v[17:18]
	v_fma_f64 v[11:12], v[3:4], v[15:16], -v[11:12]
	v_mul_f64 v[3:4], v[3:4], v[17:18]
	v_add_f64 v[19:20], v[19:20], v[11:12]
	v_fma_f64 v[3:4], v[5:6], v[15:16], v[3:4]
	;; [unrolled: 31-line block ×3, first 2 shown]
	v_add_f64 v[45:46], v[3:4], v[21:22]
	ds_read_b128 v[3:6], v32 offset:112
	ds_read_b128 v[15:18], v31 offset:3584
	s_waitcnt lgkmcnt(0)
	v_mul_f64 v[11:12], v[5:6], v[17:18]
	v_mul_f64 v[13:14], v[3:4], v[17:18]
	v_fma_f64 v[11:12], v[3:4], v[15:16], -v[11:12]
	v_fma_f64 v[13:14], v[5:6], v[15:16], v[13:14]
	v_add_f64 v[19:20], v[23:24], v[11:12]
	v_add_f64 v[21:22], v[13:14], v[25:26]
	ds_read_b128 v[23:26], v31 offset:3840
	s_waitcnt lgkmcnt(0)
	v_mul_f64 v[11:12], v[5:6], v[25:26]
	v_fma_f64 v[11:12], v[3:4], v[23:24], -v[11:12]
	v_mul_f64 v[3:4], v[3:4], v[25:26]
	v_add_f64 v[11:12], v[35:36], v[11:12]
	v_fma_f64 v[3:4], v[5:6], v[23:24], v[3:4]
	v_add_f64 v[13:14], v[3:4], v[37:38]
	ds_read_b128 v[3:6], v32 offset:2160
	s_waitcnt lgkmcnt(0)
	s_barrier
	v_mul_f64 v[35:36], v[5:6], v[17:18]
	v_mul_f64 v[17:18], v[3:4], v[17:18]
	v_fma_f64 v[35:36], v[3:4], v[15:16], -v[35:36]
	v_fma_f64 v[17:18], v[5:6], v[15:16], v[17:18]
	v_add_f64 v[15:16], v[39:40], v[35:36]
	v_mul_f64 v[35:36], v[5:6], v[25:26]
	v_add_f64 v[17:18], v[17:18], v[41:42]
	v_fma_f64 v[35:36], v[3:4], v[23:24], -v[35:36]
	v_mul_f64 v[3:4], v[3:4], v[25:26]
	v_add_f64 v[25:26], v[43:44], v[35:36]
	v_fma_f64 v[3:4], v[5:6], v[23:24], v[3:4]
	v_add_f64 v[23:24], v[3:4], v[45:46]
	s_cbranch_scc1 .LBB920_10
.LBB920_3:                              ; =>This Inner Loop Header: Depth=1
	v_add_u32_e32 v3, s9, v28
	v_cmp_le_i32_e64 s[0:1], s11, v3
	s_or_b64 s[0:1], s[22:23], s[0:1]
	s_and_saveexec_b64 s[26:27], s[0:1]
	s_xor_b64 s[0:1], exec, s[26:27]
; %bb.4:                                ;   in Loop: Header=BB920_3 Depth=1
	v_mov_b32_e32 v3, v2
	v_mov_b32_e32 v4, v2
	;; [unrolled: 1-line block ×3, first 2 shown]
	ds_write_b128 v29, v[2:5]
; %bb.5:                                ;   in Loop: Header=BB920_3 Depth=1
	s_andn2_saveexec_b64 s[0:1], s[0:1]
	s_cbranch_execz .LBB920_7
; %bb.6:                                ;   in Loop: Header=BB920_3 Depth=1
	flat_load_dwordx4 v[3:6], v[7:8]
	s_waitcnt vmcnt(0) lgkmcnt(0)
	ds_write2_b64 v29, v[3:4], v[5:6] offset1:1
.LBB920_7:                              ;   in Loop: Header=BB920_3 Depth=1
	s_or_b64 exec, exec, s[0:1]
	v_add_u32_e32 v3, s9, v27
	v_cmp_gt_i32_e64 s[0:1], s11, v3
	v_mov_b32_e32 v3, 0
	v_mov_b32_e32 v5, 0
	;; [unrolled: 1-line block ×4, first 2 shown]
	s_and_b64 s[26:27], s[0:1], vcc
	s_and_saveexec_b64 s[0:1], s[26:27]
	s_cbranch_execz .LBB920_2
; %bb.8:                                ;   in Loop: Header=BB920_3 Depth=1
	flat_load_dwordx4 v[3:6], v[9:10]
	s_waitcnt vmcnt(0) lgkmcnt(0)
	v_xor_b32_e32 v6, 0x80000000, v6
	s_branch .LBB920_2
.LBB920_9:
	v_mov_b32_e32 v19, 0
	v_mov_b32_e32 v21, 0
	v_mov_b32_e32 v11, 0
	v_mov_b32_e32 v13, 0
	v_mov_b32_e32 v15, 0
	v_mov_b32_e32 v17, 0
	v_mov_b32_e32 v25, 0
	v_mov_b32_e32 v23, 0
	v_mov_b32_e32 v20, 0
	v_mov_b32_e32 v22, 0
	v_mov_b32_e32 v12, 0
	v_mov_b32_e32 v14, 0
	v_mov_b32_e32 v16, 0
	v_mov_b32_e32 v18, 0
	v_mov_b32_e32 v26, 0
	v_mov_b32_e32 v24, 0
.LBB920_10:
	s_load_dword s4, s[4:5], 0x60
	v_add_u32_e32 v4, s24, v1
	s_waitcnt lgkmcnt(0)
	v_mov_b32_e32 v3, s21
	v_add_u32_e32 v0, s8, v0
	v_cmp_gt_i32_e32 vcc, s10, v4
	v_mad_i64_i32 v[1:2], s[0:1], v4, s4, 0
	v_lshlrev_b64 v[1:2], 4, v[1:2]
	v_add_co_u32_e64 v5, s[0:1], s20, v1
	v_addc_co_u32_e64 v6, s[0:1], v3, v2, s[0:1]
	v_cmp_le_i32_e64 s[0:1], v0, v4
	s_and_b64 s[0:1], vcc, s[0:1]
	s_and_saveexec_b64 s[2:3], s[0:1]
	s_cbranch_execz .LBB920_12
; %bb.11:
	v_ashrrev_i32_e32 v1, 31, v0
	v_lshlrev_b64 v[1:2], 4, v[0:1]
	v_mul_f64 v[27:28], s[12:13], v[21:22]
	v_add_co_u32_e64 v1, s[0:1], v5, v1
	v_addc_co_u32_e64 v2, s[0:1], v6, v2, s[0:1]
	flat_load_dwordx4 v[7:10], v[1:2]
	v_mul_f64 v[21:22], s[14:15], v[21:22]
	v_cmp_ne_u32_e64 s[0:1], v4, v0
	v_fma_f64 v[27:28], s[14:15], v[19:20], v[27:28]
	v_fma_f64 v[19:20], s[12:13], v[19:20], -v[21:22]
	s_waitcnt vmcnt(0) lgkmcnt(0)
	v_mul_f64 v[29:30], s[16:17], v[9:10]
	v_mul_f64 v[9:10], s[18:19], v[9:10]
	v_fma_f64 v[29:30], s[18:19], v[7:8], v[29:30]
	v_fma_f64 v[7:8], s[16:17], v[7:8], -v[9:10]
	v_add_f64 v[9:10], v[27:28], v[29:30]
	v_add_f64 v[7:8], v[19:20], v[7:8]
	v_cndmask_b32_e64 v10, 0, v10, s[0:1]
	v_cndmask_b32_e64 v9, 0, v9, s[0:1]
	flat_store_dwordx4 v[1:2], v[7:10]
.LBB920_12:
	s_or_b64 exec, exec, s[2:3]
	v_add_u32_e32 v2, 16, v0
	v_cmp_le_i32_e64 s[0:1], v2, v4
	s_and_b64 s[2:3], vcc, s[0:1]
	s_and_saveexec_b64 s[0:1], s[2:3]
	s_cbranch_execz .LBB920_14
; %bb.13:
	v_ashrrev_i32_e32 v3, 31, v2
	v_lshlrev_b64 v[7:8], 4, v[2:3]
	v_mul_f64 v[19:20], s[12:13], v[13:14]
	v_add_co_u32_e32 v9, vcc, v5, v7
	v_addc_co_u32_e32 v10, vcc, v6, v8, vcc
	flat_load_dwordx4 v[5:8], v[9:10]
	v_mul_f64 v[13:14], s[14:15], v[13:14]
	v_cmp_ne_u32_e32 vcc, v4, v2
	v_fma_f64 v[19:20], s[14:15], v[11:12], v[19:20]
	v_fma_f64 v[11:12], s[12:13], v[11:12], -v[13:14]
	s_waitcnt vmcnt(0) lgkmcnt(0)
	v_mul_f64 v[21:22], s[16:17], v[7:8]
	v_mul_f64 v[7:8], s[18:19], v[7:8]
	v_fma_f64 v[21:22], s[18:19], v[5:6], v[21:22]
	v_fma_f64 v[5:6], s[16:17], v[5:6], -v[7:8]
	v_add_f64 v[7:8], v[19:20], v[21:22]
	v_add_f64 v[5:6], v[11:12], v[5:6]
	v_cndmask_b32_e32 v8, 0, v8, vcc
	v_cndmask_b32_e32 v7, 0, v7, vcc
	flat_store_dwordx4 v[9:10], v[5:8]
.LBB920_14:
	s_or_b64 exec, exec, s[0:1]
	v_add_u32_e32 v3, 16, v4
	v_mad_i64_i32 v[5:6], s[0:1], v3, s4, 0
	v_mov_b32_e32 v1, s21
	v_cmp_gt_i32_e32 vcc, s10, v3
	v_lshlrev_b64 v[5:6], 4, v[5:6]
	v_add_co_u32_e64 v5, s[0:1], s20, v5
	v_addc_co_u32_e64 v6, s[0:1], v1, v6, s[0:1]
	v_cmp_le_i32_e64 s[0:1], v0, v3
	s_and_b64 s[0:1], vcc, s[0:1]
	s_and_saveexec_b64 s[2:3], s[0:1]
	s_cbranch_execz .LBB920_16
; %bb.15:
	v_ashrrev_i32_e32 v1, 31, v0
	v_lshlrev_b64 v[7:8], 4, v[0:1]
	v_mul_f64 v[13:14], s[12:13], v[17:18]
	v_add_co_u32_e64 v11, s[0:1], v5, v7
	v_addc_co_u32_e64 v12, s[0:1], v6, v8, s[0:1]
	flat_load_dwordx4 v[7:10], v[11:12]
	v_mul_f64 v[17:18], s[14:15], v[17:18]
	v_cmp_ne_u32_e64 s[0:1], v3, v0
	v_fma_f64 v[13:14], s[14:15], v[15:16], v[13:14]
	v_fma_f64 v[15:16], s[12:13], v[15:16], -v[17:18]
	s_waitcnt vmcnt(0) lgkmcnt(0)
	v_mul_f64 v[19:20], s[16:17], v[9:10]
	v_mul_f64 v[9:10], s[18:19], v[9:10]
	v_fma_f64 v[19:20], s[18:19], v[7:8], v[19:20]
	v_fma_f64 v[7:8], s[16:17], v[7:8], -v[9:10]
	v_add_f64 v[9:10], v[13:14], v[19:20]
	v_add_f64 v[7:8], v[15:16], v[7:8]
	v_cndmask_b32_e64 v10, 0, v10, s[0:1]
	v_cndmask_b32_e64 v9, 0, v9, s[0:1]
	flat_store_dwordx4 v[11:12], v[7:10]
.LBB920_16:
	s_or_b64 exec, exec, s[2:3]
	v_cmp_le_i32_e64 s[0:1], v2, v3
	s_and_b64 s[0:1], vcc, s[0:1]
	s_and_saveexec_b64 s[2:3], s[0:1]
	s_cbranch_execz .LBB920_18
; %bb.17:
	v_ashrrev_i32_e32 v3, 31, v2
	v_lshlrev_b64 v[1:2], 4, v[2:3]
	v_mul_f64 v[13:14], s[14:15], v[23:24]
	v_add_co_u32_e32 v9, vcc, v5, v1
	v_addc_co_u32_e32 v10, vcc, v6, v2, vcc
	flat_load_dwordx4 v[5:8], v[9:10]
	v_mul_f64 v[1:2], s[12:13], v[23:24]
	v_cmp_ne_u32_e32 vcc, v4, v0
	v_fma_f64 v[13:14], s[12:13], v[25:26], -v[13:14]
	v_fma_f64 v[1:2], s[14:15], v[25:26], v[1:2]
	s_waitcnt vmcnt(0) lgkmcnt(0)
	v_mul_f64 v[11:12], s[16:17], v[7:8]
	v_mul_f64 v[7:8], s[18:19], v[7:8]
	v_fma_f64 v[11:12], s[18:19], v[5:6], v[11:12]
	v_fma_f64 v[5:6], s[16:17], v[5:6], -v[7:8]
	v_add_f64 v[7:8], v[1:2], v[11:12]
	v_add_f64 v[1:2], v[13:14], v[5:6]
	v_cndmask_b32_e32 v4, 0, v8, vcc
	v_cndmask_b32_e32 v3, 0, v7, vcc
	flat_store_dwordx4 v[9:10], v[1:4]
.LBB920_18:
	s_endpgm
	.section	.rodata,"a",@progbits
	.p2align	6, 0x0
	.amdhsa_kernel _ZL34rocblas_syrkx_herkx_general_kernelIi19rocblas_complex_numIdELi16ELi32ELi8ELb0ELb1ELc78ELc85EKPKS1_KPS1_EviT_T0_PT8_S7_lSA_S7_lS8_PT9_S7_li
		.amdhsa_group_segment_fixed_size 8192
		.amdhsa_private_segment_fixed_size 0
		.amdhsa_kernarg_size 116
		.amdhsa_user_sgpr_count 6
		.amdhsa_user_sgpr_private_segment_buffer 1
		.amdhsa_user_sgpr_dispatch_ptr 0
		.amdhsa_user_sgpr_queue_ptr 0
		.amdhsa_user_sgpr_kernarg_segment_ptr 1
		.amdhsa_user_sgpr_dispatch_id 0
		.amdhsa_user_sgpr_flat_scratch_init 0
		.amdhsa_user_sgpr_private_segment_size 0
		.amdhsa_uses_dynamic_stack 0
		.amdhsa_system_sgpr_private_segment_wavefront_offset 0
		.amdhsa_system_sgpr_workgroup_id_x 1
		.amdhsa_system_sgpr_workgroup_id_y 1
		.amdhsa_system_sgpr_workgroup_id_z 1
		.amdhsa_system_sgpr_workgroup_info 0
		.amdhsa_system_vgpr_workitem_id 1
		.amdhsa_next_free_vgpr 59
		.amdhsa_next_free_sgpr 61
		.amdhsa_reserve_vcc 1
		.amdhsa_reserve_flat_scratch 0
		.amdhsa_float_round_mode_32 0
		.amdhsa_float_round_mode_16_64 0
		.amdhsa_float_denorm_mode_32 3
		.amdhsa_float_denorm_mode_16_64 3
		.amdhsa_dx10_clamp 1
		.amdhsa_ieee_mode 1
		.amdhsa_fp16_overflow 0
		.amdhsa_exception_fp_ieee_invalid_op 0
		.amdhsa_exception_fp_denorm_src 0
		.amdhsa_exception_fp_ieee_div_zero 0
		.amdhsa_exception_fp_ieee_overflow 0
		.amdhsa_exception_fp_ieee_underflow 0
		.amdhsa_exception_fp_ieee_inexact 0
		.amdhsa_exception_int_div_zero 0
	.end_amdhsa_kernel
	.section	.text._ZL34rocblas_syrkx_herkx_general_kernelIi19rocblas_complex_numIdELi16ELi32ELi8ELb0ELb1ELc78ELc85EKPKS1_KPS1_EviT_T0_PT8_S7_lSA_S7_lS8_PT9_S7_li,"axG",@progbits,_ZL34rocblas_syrkx_herkx_general_kernelIi19rocblas_complex_numIdELi16ELi32ELi8ELb0ELb1ELc78ELc85EKPKS1_KPS1_EviT_T0_PT8_S7_lSA_S7_lS8_PT9_S7_li,comdat
.Lfunc_end920:
	.size	_ZL34rocblas_syrkx_herkx_general_kernelIi19rocblas_complex_numIdELi16ELi32ELi8ELb0ELb1ELc78ELc85EKPKS1_KPS1_EviT_T0_PT8_S7_lSA_S7_lS8_PT9_S7_li, .Lfunc_end920-_ZL34rocblas_syrkx_herkx_general_kernelIi19rocblas_complex_numIdELi16ELi32ELi8ELb0ELb1ELc78ELc85EKPKS1_KPS1_EviT_T0_PT8_S7_lSA_S7_lS8_PT9_S7_li
                                        ; -- End function
	.set _ZL34rocblas_syrkx_herkx_general_kernelIi19rocblas_complex_numIdELi16ELi32ELi8ELb0ELb1ELc78ELc85EKPKS1_KPS1_EviT_T0_PT8_S7_lSA_S7_lS8_PT9_S7_li.num_vgpr, 59
	.set _ZL34rocblas_syrkx_herkx_general_kernelIi19rocblas_complex_numIdELi16ELi32ELi8ELb0ELb1ELc78ELc85EKPKS1_KPS1_EviT_T0_PT8_S7_lSA_S7_lS8_PT9_S7_li.num_agpr, 0
	.set _ZL34rocblas_syrkx_herkx_general_kernelIi19rocblas_complex_numIdELi16ELi32ELi8ELb0ELb1ELc78ELc85EKPKS1_KPS1_EviT_T0_PT8_S7_lSA_S7_lS8_PT9_S7_li.numbered_sgpr, 30
	.set _ZL34rocblas_syrkx_herkx_general_kernelIi19rocblas_complex_numIdELi16ELi32ELi8ELb0ELb1ELc78ELc85EKPKS1_KPS1_EviT_T0_PT8_S7_lSA_S7_lS8_PT9_S7_li.num_named_barrier, 0
	.set _ZL34rocblas_syrkx_herkx_general_kernelIi19rocblas_complex_numIdELi16ELi32ELi8ELb0ELb1ELc78ELc85EKPKS1_KPS1_EviT_T0_PT8_S7_lSA_S7_lS8_PT9_S7_li.private_seg_size, 0
	.set _ZL34rocblas_syrkx_herkx_general_kernelIi19rocblas_complex_numIdELi16ELi32ELi8ELb0ELb1ELc78ELc85EKPKS1_KPS1_EviT_T0_PT8_S7_lSA_S7_lS8_PT9_S7_li.uses_vcc, 1
	.set _ZL34rocblas_syrkx_herkx_general_kernelIi19rocblas_complex_numIdELi16ELi32ELi8ELb0ELb1ELc78ELc85EKPKS1_KPS1_EviT_T0_PT8_S7_lSA_S7_lS8_PT9_S7_li.uses_flat_scratch, 0
	.set _ZL34rocblas_syrkx_herkx_general_kernelIi19rocblas_complex_numIdELi16ELi32ELi8ELb0ELb1ELc78ELc85EKPKS1_KPS1_EviT_T0_PT8_S7_lSA_S7_lS8_PT9_S7_li.has_dyn_sized_stack, 0
	.set _ZL34rocblas_syrkx_herkx_general_kernelIi19rocblas_complex_numIdELi16ELi32ELi8ELb0ELb1ELc78ELc85EKPKS1_KPS1_EviT_T0_PT8_S7_lSA_S7_lS8_PT9_S7_li.has_recursion, 0
	.set _ZL34rocblas_syrkx_herkx_general_kernelIi19rocblas_complex_numIdELi16ELi32ELi8ELb0ELb1ELc78ELc85EKPKS1_KPS1_EviT_T0_PT8_S7_lSA_S7_lS8_PT9_S7_li.has_indirect_call, 0
	.section	.AMDGPU.csdata,"",@progbits
; Kernel info:
; codeLenInByte = 3408
; TotalNumSgprs: 34
; NumVgprs: 59
; ScratchSize: 0
; MemoryBound: 1
; FloatMode: 240
; IeeeMode: 1
; LDSByteSize: 8192 bytes/workgroup (compile time only)
; SGPRBlocks: 8
; VGPRBlocks: 14
; NumSGPRsForWavesPerEU: 65
; NumVGPRsForWavesPerEU: 59
; Occupancy: 4
; WaveLimiterHint : 1
; COMPUTE_PGM_RSRC2:SCRATCH_EN: 0
; COMPUTE_PGM_RSRC2:USER_SGPR: 6
; COMPUTE_PGM_RSRC2:TRAP_HANDLER: 0
; COMPUTE_PGM_RSRC2:TGID_X_EN: 1
; COMPUTE_PGM_RSRC2:TGID_Y_EN: 1
; COMPUTE_PGM_RSRC2:TGID_Z_EN: 1
; COMPUTE_PGM_RSRC2:TIDIG_COMP_CNT: 1
	.section	.text._ZL26rocblas_syr2k_scale_kernelIiLi128ELi8ELb1E19rocblas_complex_numIdES1_PKPS1_EvbiT_T3_T4_T5_S5_li,"axG",@progbits,_ZL26rocblas_syr2k_scale_kernelIiLi128ELi8ELb1E19rocblas_complex_numIdES1_PKPS1_EvbiT_T3_T4_T5_S5_li,comdat
	.globl	_ZL26rocblas_syr2k_scale_kernelIiLi128ELi8ELb1E19rocblas_complex_numIdES1_PKPS1_EvbiT_T3_T4_T5_S5_li ; -- Begin function _ZL26rocblas_syr2k_scale_kernelIiLi128ELi8ELb1E19rocblas_complex_numIdES1_PKPS1_EvbiT_T3_T4_T5_S5_li
	.p2align	8
	.type	_ZL26rocblas_syr2k_scale_kernelIiLi128ELi8ELb1E19rocblas_complex_numIdES1_PKPS1_EvbiT_T3_T4_T5_S5_li,@function
_ZL26rocblas_syr2k_scale_kernelIiLi128ELi8ELb1E19rocblas_complex_numIdES1_PKPS1_EvbiT_T3_T4_T5_S5_li: ; @_ZL26rocblas_syr2k_scale_kernelIiLi128ELi8ELb1E19rocblas_complex_numIdES1_PKPS1_EvbiT_T3_T4_T5_S5_li
; %bb.0:
	s_load_dwordx8 s[12:19], s[4:5], 0x10
	s_load_dwordx4 s[0:3], s[4:5], 0x0
	s_load_dwordx2 s[10:11], s[4:5], 0x30
	s_mov_b64 s[20:21], 0
	s_waitcnt lgkmcnt(0)
	v_cmp_eq_f64_e64 s[22:23], s[16:17], 1.0
	v_cmp_eq_f64_e64 s[24:25], s[18:19], 0
	s_and_b64 s[22:23], s[22:23], s[24:25]
	s_andn2_b64 vcc, exec, s[22:23]
	s_mov_b64 s[22:23], -1
	s_cbranch_vccnz .LBB921_4
; %bb.1:
	s_cmp_lg_u32 s2, 0
	s_cbranch_scc0 .LBB921_3
; %bb.2:
	v_cmp_neq_f64_e64 s[2:3], s[12:13], 0
	v_cmp_neq_f64_e64 s[12:13], s[14:15], 0
	s_or_b64 s[20:21], s[2:3], s[12:13]
.LBB921_3:
	s_mov_b64 s[22:23], s[20:21]
.LBB921_4:
	s_and_b64 vcc, exec, s[22:23]
	s_cbranch_vccz .LBB921_9
; %bb.5:
	s_load_dword s2, s[4:5], 0x5c
	s_bitcmp1_b32 s0, 0
	s_cselect_b64 vcc, -1, 0
	s_waitcnt lgkmcnt(0)
	s_lshr_b32 s0, s2, 16
	s_and_b32 s2, s2, 0xffff
	s_mul_i32 s6, s6, s2
	s_mul_i32 s7, s7, s0
	v_add_u32_e32 v2, s6, v0
	v_add_u32_e32 v8, s7, v1
	v_cndmask_b32_e32 v0, v8, v2, vcc
	v_cndmask_b32_e32 v1, v2, v8, vcc
	v_max_u32_e32 v3, v2, v8
	v_cmp_gt_u32_e32 vcc, s1, v3
	v_cmp_le_i32_e64 s[0:1], v0, v1
	s_and_b64 s[0:1], vcc, s[0:1]
	s_and_saveexec_b64 s[2:3], s[0:1]
	s_cbranch_execz .LBB921_9
; %bb.6:
	s_load_dword s6, s[4:5], 0x38
	s_load_dwordx2 s[0:1], s[4:5], 0x40
	s_mov_b32 s9, 0
	s_lshl_b64 s[2:3], s[8:9], 3
	v_mov_b32_e32 v6, 0
	s_waitcnt lgkmcnt(0)
	s_ashr_i32 s7, s6, 31
	s_add_u32 s2, s10, s2
	s_addc_u32 s3, s11, s3
	v_mad_u64_u32 v[0:1], s[4:5], v8, s6, 0
	s_load_dwordx2 s[2:3], s[2:3], 0x0
	s_lshl_b64 s[0:1], s[0:1], 4
	v_mad_u64_u32 v[3:4], s[4:5], v8, s7, v[1:2]
	v_mov_b32_e32 v7, 0
	s_waitcnt lgkmcnt(0)
	s_add_u32 s4, s2, s0
	s_addc_u32 s5, s3, s1
	v_cmp_neq_f64_e64 s[0:1], s[16:17], 0
	v_cmp_neq_f64_e64 s[2:3], s[18:19], 0
	v_mov_b32_e32 v1, v3
	v_lshlrev_b64 v[0:1], 4, v[0:1]
	v_mov_b32_e32 v3, 0
	v_mov_b32_e32 v4, s5
	v_add_co_u32_e32 v9, vcc, s4, v0
	v_addc_co_u32_e32 v10, vcc, v4, v1, vcc
	v_lshlrev_b64 v[4:5], 4, v[2:3]
	s_or_b64 s[0:1], s[0:1], s[2:3]
	v_mov_b32_e32 v0, 0
	s_andn2_b64 vcc, exec, s[0:1]
	v_add_co_u32_e64 v4, s[0:1], v9, v4
	v_mov_b32_e32 v1, 0
	v_addc_co_u32_e64 v5, s[0:1], v10, v5, s[0:1]
	s_cbranch_vccnz .LBB921_8
; %bb.7:
	flat_load_dwordx4 v[9:12], v[4:5]
	s_waitcnt vmcnt(0) lgkmcnt(0)
	v_mul_f64 v[0:1], s[18:19], v[11:12]
	v_mul_f64 v[6:7], s[16:17], v[11:12]
	v_fma_f64 v[0:1], s[16:17], v[9:10], -v[0:1]
	v_fma_f64 v[6:7], s[18:19], v[9:10], v[6:7]
.LBB921_8:
	v_cmp_ne_u32_e32 vcc, v2, v8
	v_cndmask_b32_e32 v3, 0, v7, vcc
	v_cndmask_b32_e32 v2, 0, v6, vcc
	flat_store_dwordx4 v[4:5], v[0:3]
.LBB921_9:
	s_endpgm
	.section	.rodata,"a",@progbits
	.p2align	6, 0x0
	.amdhsa_kernel _ZL26rocblas_syr2k_scale_kernelIiLi128ELi8ELb1E19rocblas_complex_numIdES1_PKPS1_EvbiT_T3_T4_T5_S5_li
		.amdhsa_group_segment_fixed_size 0
		.amdhsa_private_segment_fixed_size 0
		.amdhsa_kernarg_size 336
		.amdhsa_user_sgpr_count 6
		.amdhsa_user_sgpr_private_segment_buffer 1
		.amdhsa_user_sgpr_dispatch_ptr 0
		.amdhsa_user_sgpr_queue_ptr 0
		.amdhsa_user_sgpr_kernarg_segment_ptr 1
		.amdhsa_user_sgpr_dispatch_id 0
		.amdhsa_user_sgpr_flat_scratch_init 0
		.amdhsa_user_sgpr_private_segment_size 0
		.amdhsa_uses_dynamic_stack 0
		.amdhsa_system_sgpr_private_segment_wavefront_offset 0
		.amdhsa_system_sgpr_workgroup_id_x 1
		.amdhsa_system_sgpr_workgroup_id_y 1
		.amdhsa_system_sgpr_workgroup_id_z 1
		.amdhsa_system_sgpr_workgroup_info 0
		.amdhsa_system_vgpr_workitem_id 1
		.amdhsa_next_free_vgpr 13
		.amdhsa_next_free_sgpr 26
		.amdhsa_reserve_vcc 1
		.amdhsa_reserve_flat_scratch 0
		.amdhsa_float_round_mode_32 0
		.amdhsa_float_round_mode_16_64 0
		.amdhsa_float_denorm_mode_32 3
		.amdhsa_float_denorm_mode_16_64 3
		.amdhsa_dx10_clamp 1
		.amdhsa_ieee_mode 1
		.amdhsa_fp16_overflow 0
		.amdhsa_exception_fp_ieee_invalid_op 0
		.amdhsa_exception_fp_denorm_src 0
		.amdhsa_exception_fp_ieee_div_zero 0
		.amdhsa_exception_fp_ieee_overflow 0
		.amdhsa_exception_fp_ieee_underflow 0
		.amdhsa_exception_fp_ieee_inexact 0
		.amdhsa_exception_int_div_zero 0
	.end_amdhsa_kernel
	.section	.text._ZL26rocblas_syr2k_scale_kernelIiLi128ELi8ELb1E19rocblas_complex_numIdES1_PKPS1_EvbiT_T3_T4_T5_S5_li,"axG",@progbits,_ZL26rocblas_syr2k_scale_kernelIiLi128ELi8ELb1E19rocblas_complex_numIdES1_PKPS1_EvbiT_T3_T4_T5_S5_li,comdat
.Lfunc_end921:
	.size	_ZL26rocblas_syr2k_scale_kernelIiLi128ELi8ELb1E19rocblas_complex_numIdES1_PKPS1_EvbiT_T3_T4_T5_S5_li, .Lfunc_end921-_ZL26rocblas_syr2k_scale_kernelIiLi128ELi8ELb1E19rocblas_complex_numIdES1_PKPS1_EvbiT_T3_T4_T5_S5_li
                                        ; -- End function
	.set _ZL26rocblas_syr2k_scale_kernelIiLi128ELi8ELb1E19rocblas_complex_numIdES1_PKPS1_EvbiT_T3_T4_T5_S5_li.num_vgpr, 13
	.set _ZL26rocblas_syr2k_scale_kernelIiLi128ELi8ELb1E19rocblas_complex_numIdES1_PKPS1_EvbiT_T3_T4_T5_S5_li.num_agpr, 0
	.set _ZL26rocblas_syr2k_scale_kernelIiLi128ELi8ELb1E19rocblas_complex_numIdES1_PKPS1_EvbiT_T3_T4_T5_S5_li.numbered_sgpr, 26
	.set _ZL26rocblas_syr2k_scale_kernelIiLi128ELi8ELb1E19rocblas_complex_numIdES1_PKPS1_EvbiT_T3_T4_T5_S5_li.num_named_barrier, 0
	.set _ZL26rocblas_syr2k_scale_kernelIiLi128ELi8ELb1E19rocblas_complex_numIdES1_PKPS1_EvbiT_T3_T4_T5_S5_li.private_seg_size, 0
	.set _ZL26rocblas_syr2k_scale_kernelIiLi128ELi8ELb1E19rocblas_complex_numIdES1_PKPS1_EvbiT_T3_T4_T5_S5_li.uses_vcc, 1
	.set _ZL26rocblas_syr2k_scale_kernelIiLi128ELi8ELb1E19rocblas_complex_numIdES1_PKPS1_EvbiT_T3_T4_T5_S5_li.uses_flat_scratch, 0
	.set _ZL26rocblas_syr2k_scale_kernelIiLi128ELi8ELb1E19rocblas_complex_numIdES1_PKPS1_EvbiT_T3_T4_T5_S5_li.has_dyn_sized_stack, 0
	.set _ZL26rocblas_syr2k_scale_kernelIiLi128ELi8ELb1E19rocblas_complex_numIdES1_PKPS1_EvbiT_T3_T4_T5_S5_li.has_recursion, 0
	.set _ZL26rocblas_syr2k_scale_kernelIiLi128ELi8ELb1E19rocblas_complex_numIdES1_PKPS1_EvbiT_T3_T4_T5_S5_li.has_indirect_call, 0
	.section	.AMDGPU.csdata,"",@progbits
; Kernel info:
; codeLenInByte = 432
; TotalNumSgprs: 30
; NumVgprs: 13
; ScratchSize: 0
; MemoryBound: 0
; FloatMode: 240
; IeeeMode: 1
; LDSByteSize: 0 bytes/workgroup (compile time only)
; SGPRBlocks: 3
; VGPRBlocks: 3
; NumSGPRsForWavesPerEU: 30
; NumVGPRsForWavesPerEU: 13
; Occupancy: 10
; WaveLimiterHint : 1
; COMPUTE_PGM_RSRC2:SCRATCH_EN: 0
; COMPUTE_PGM_RSRC2:USER_SGPR: 6
; COMPUTE_PGM_RSRC2:TRAP_HANDLER: 0
; COMPUTE_PGM_RSRC2:TGID_X_EN: 1
; COMPUTE_PGM_RSRC2:TGID_Y_EN: 1
; COMPUTE_PGM_RSRC2:TGID_Z_EN: 1
; COMPUTE_PGM_RSRC2:TIDIG_COMP_CNT: 1
	.section	.text._ZL26rocblas_syr2k_her2k_kernelIiLb0ELb1ELb0ELi32EPK19rocblas_complex_numIdEPKS3_PKPS1_EvbiT_T4_T5_S9_lSB_S9_lT6_S9_li,"axG",@progbits,_ZL26rocblas_syr2k_her2k_kernelIiLb0ELb1ELb0ELi32EPK19rocblas_complex_numIdEPKS3_PKPS1_EvbiT_T4_T5_S9_lSB_S9_lT6_S9_li,comdat
	.globl	_ZL26rocblas_syr2k_her2k_kernelIiLb0ELb1ELb0ELi32EPK19rocblas_complex_numIdEPKS3_PKPS1_EvbiT_T4_T5_S9_lSB_S9_lT6_S9_li ; -- Begin function _ZL26rocblas_syr2k_her2k_kernelIiLb0ELb1ELb0ELi32EPK19rocblas_complex_numIdEPKS3_PKPS1_EvbiT_T4_T5_S9_lSB_S9_lT6_S9_li
	.p2align	8
	.type	_ZL26rocblas_syr2k_her2k_kernelIiLb0ELb1ELb0ELi32EPK19rocblas_complex_numIdEPKS3_PKPS1_EvbiT_T4_T5_S9_lSB_S9_lT6_S9_li,@function
_ZL26rocblas_syr2k_her2k_kernelIiLb0ELb1ELb0ELi32EPK19rocblas_complex_numIdEPKS3_PKPS1_EvbiT_T4_T5_S9_lSB_S9_lT6_S9_li: ; @_ZL26rocblas_syr2k_her2k_kernelIiLb0ELb1ELb0ELi32EPK19rocblas_complex_numIdEPKS3_PKPS1_EvbiT_T4_T5_S9_lSB_S9_lT6_S9_li
; %bb.0:
	s_load_dwordx4 s[0:3], s[4:5], 0x10
	s_waitcnt lgkmcnt(0)
	s_load_dwordx4 s[12:15], s[0:1], 0x0
	s_waitcnt lgkmcnt(0)
	v_cmp_eq_f64_e64 s[0:1], s[12:13], 0
	v_cmp_eq_f64_e64 s[10:11], s[14:15], 0
	s_and_b64 s[0:1], s[0:1], s[10:11]
	s_and_b64 vcc, exec, s[0:1]
	s_cbranch_vccnz .LBB922_13
; %bb.1:
	s_load_dwordx4 s[16:19], s[4:5], 0x0
	s_lshl_b32 s11, s7, 5
	s_waitcnt lgkmcnt(0)
	s_lshl_b32 s19, s6, 5
	s_and_b32 s0, 1, s16
	s_cmp_eq_u32 s0, 1
	s_cselect_b64 s[0:1], -1, 0
	s_and_b64 s[6:7], s[0:1], exec
	s_cselect_b32 s6, s19, s11
	s_cselect_b32 s7, s11, s19
	s_cmp_gt_i32 s6, s7
	s_cbranch_scc1 .LBB922_13
; %bb.2:
	s_load_dwordx4 s[20:23], s[4:5], 0x40
	s_load_dword s10, s[4:5], 0x50
	s_load_dwordx2 s[24:25], s[4:5], 0x58
	s_mov_b32 s9, 0
	s_lshl_b64 s[6:7], s[8:9], 3
	s_waitcnt lgkmcnt(0)
	s_add_u32 s22, s22, s6
	s_addc_u32 s23, s23, s7
	s_load_dwordx2 s[22:23], s[22:23], 0x0
	s_lshl_b64 s[24:25], s[24:25], 4
	v_add_u32_e32 v8, s19, v0
	v_add_u32_e32 v10, s11, v1
	v_cmp_gt_i32_e32 vcc, s17, v8
	s_waitcnt lgkmcnt(0)
	s_add_u32 s8, s22, s24
	s_addc_u32 s11, s23, s25
	s_cmp_lt_i32 s18, 1
	v_ashrrev_i32_e32 v9, 31, v8
	s_cbranch_scc1 .LBB922_11
; %bb.3:
	s_load_dword s16, s[4:5], 0x20
	s_load_dwordx4 s[24:27], s[4:5], 0x28
	s_load_dword s19, s[4:5], 0x38
	s_add_u32 s2, s2, s6
	s_addc_u32 s3, s3, s7
	s_load_dwordx2 s[2:3], s[2:3], 0x0
	s_waitcnt lgkmcnt(0)
	s_add_u32 s4, s26, s6
	s_addc_u32 s5, s27, s7
	s_load_dwordx2 s[4:5], s[4:5], 0x0
	s_lshl_b64 s[6:7], s[24:25], 4
	s_add_u32 s6, s2, s6
	v_lshlrev_b64 v[2:3], 4, v[8:9]
	s_addc_u32 s7, s3, s7
	s_lshl_b64 s[2:3], s[20:21], 4
	v_cndmask_b32_e64 v6, v8, v10, s[0:1]
	v_cndmask_b32_e64 v7, v10, v8, s[0:1]
	v_mov_b32_e32 v4, s7
	v_add_co_u32_e64 v13, s[0:1], s6, v2
	v_ashrrev_i32_e32 v11, 31, v10
	s_waitcnt lgkmcnt(0)
	s_add_u32 s2, s4, s2
	v_addc_co_u32_e64 v14, s[0:1], v4, v3, s[0:1]
	v_lshlrev_b64 v[4:5], 4, v[10:11]
	s_addc_u32 s3, s5, s3
	v_mov_b32_e32 v11, s3
	v_add_co_u32_e64 v17, s[2:3], s2, v4
	v_addc_co_u32_e64 v18, s[2:3], v11, v5, s[2:3]
	v_mad_i64_i32 v[4:5], s[2:3], s10, v10, 0
	v_cmp_gt_i32_e64 s[0:1], s17, v10
	v_cmp_le_i32_e64 s[2:3], v7, v6
	v_lshlrev_b64 v[4:5], 4, v[4:5]
	s_and_b64 s[4:5], s[0:1], vcc
	s_and_b64 s[4:5], s[4:5], s[2:3]
	v_mov_b32_e32 v6, s11
	v_add_co_u32_e64 v4, s[2:3], s8, v4
	v_lshlrev_b32_e32 v12, 4, v1
	v_addc_co_u32_e64 v5, s[2:3], v6, v5, s[2:3]
	v_lshlrev_b32_e32 v15, 9, v0
	v_or_b32_e32 v19, 0x4000, v12
	v_add_co_u32_e64 v11, s[2:3], v4, v2
	v_add_u32_e32 v16, v15, v12
	v_add_u32_e32 v20, v19, v15
	v_addc_co_u32_e64 v12, s[2:3], v5, v3, s[2:3]
	s_branch .LBB922_5
.LBB922_4:                              ;   in Loop: Header=BB922_5 Depth=1
	s_or_b64 exec, exec, s[2:3]
	s_add_i32 s9, s9, 32
	s_cmp_ge_i32 s9, s18
	s_waitcnt vmcnt(0) lgkmcnt(0)
	s_barrier
	s_cbranch_scc1 .LBB922_11
.LBB922_5:                              ; =>This Inner Loop Header: Depth=1
	v_add_u32_e32 v21, s9, v1
	v_cmp_gt_i32_e64 s[2:3], s18, v21
	v_mov_b32_e32 v2, 0
	v_mov_b32_e32 v4, 0
	;; [unrolled: 1-line block ×6, first 2 shown]
	s_and_b64 s[2:3], vcc, s[2:3]
	s_and_saveexec_b64 s[6:7], s[2:3]
	s_cbranch_execz .LBB922_7
; %bb.6:                                ;   in Loop: Header=BB922_5 Depth=1
	v_mad_i64_i32 v[4:5], s[2:3], v21, s16, 0
	v_lshlrev_b64 v[4:5], 4, v[4:5]
	v_add_co_u32_e64 v4, s[2:3], v13, v4
	v_addc_co_u32_e64 v5, s[2:3], v14, v5, s[2:3]
	flat_load_dwordx4 v[4:7], v[4:5]
.LBB922_7:                              ;   in Loop: Header=BB922_5 Depth=1
	s_or_b64 exec, exec, s[6:7]
	s_waitcnt vmcnt(0) lgkmcnt(0)
	ds_write_b128 v16, v[4:7]
	v_add_u32_e32 v6, s9, v0
	v_cmp_gt_i32_e64 s[2:3], s18, v6
	v_mov_b32_e32 v4, 0
	v_mov_b32_e32 v5, 0
	s_and_b64 s[2:3], s[0:1], s[2:3]
	s_and_saveexec_b64 s[6:7], s[2:3]
	s_cbranch_execz .LBB922_9
; %bb.8:                                ;   in Loop: Header=BB922_5 Depth=1
	v_mad_i64_i32 v[2:3], s[2:3], v6, s19, 0
	v_lshlrev_b64 v[2:3], 4, v[2:3]
	v_add_co_u32_e64 v2, s[2:3], v17, v2
	v_addc_co_u32_e64 v3, s[2:3], v18, v3, s[2:3]
	flat_load_dwordx4 v[2:5], v[2:3]
	s_waitcnt vmcnt(0) lgkmcnt(0)
	v_xor_b32_e32 v5, 0x80000000, v5
.LBB922_9:                              ;   in Loop: Header=BB922_5 Depth=1
	s_or_b64 exec, exec, s[6:7]
	ds_write_b128 v20, v[2:5]
	s_waitcnt lgkmcnt(0)
	s_barrier
	s_and_saveexec_b64 s[2:3], s[4:5]
	s_cbranch_execz .LBB922_4
; %bb.10:                               ;   in Loop: Header=BB922_5 Depth=1
	ds_read_b128 v[21:24], v19
	ds_read_b128 v[25:28], v15
	ds_read_b128 v[29:32], v15 offset:16
	ds_read_b128 v[33:36], v15 offset:32
	;; [unrolled: 1-line block ×3, first 2 shown]
	s_waitcnt lgkmcnt(3)
	v_mul_f64 v[6:7], v[23:24], v[27:28]
	v_fma_f64 v[6:7], v[21:22], v[25:26], -v[6:7]
	v_mul_f64 v[21:22], v[21:22], v[27:28]
	v_add_f64 v[6:7], v[6:7], 0
	v_fma_f64 v[21:22], v[23:24], v[25:26], v[21:22]
	v_add_f64 v[25:26], v[21:22], 0
	ds_read_b128 v[21:24], v19 offset:512
	s_waitcnt lgkmcnt(0)
	v_mul_f64 v[27:28], v[23:24], v[31:32]
	v_fma_f64 v[27:28], v[21:22], v[29:30], -v[27:28]
	v_mul_f64 v[21:22], v[21:22], v[31:32]
	v_add_f64 v[6:7], v[6:7], v[27:28]
	v_fma_f64 v[21:22], v[23:24], v[29:30], v[21:22]
	v_add_f64 v[25:26], v[25:26], v[21:22]
	ds_read_b128 v[21:24], v19 offset:1024
	;; [unrolled: 8-line block ×3, first 2 shown]
	s_waitcnt lgkmcnt(0)
	v_mul_f64 v[27:28], v[23:24], v[4:5]
	v_mul_f64 v[4:5], v[21:22], v[4:5]
	v_fma_f64 v[27:28], v[21:22], v[2:3], -v[27:28]
	v_fma_f64 v[2:3], v[23:24], v[2:3], v[4:5]
	v_add_f64 v[6:7], v[6:7], v[27:28]
	v_add_f64 v[25:26], v[25:26], v[2:3]
	ds_read_b128 v[2:5], v19 offset:2048
	ds_read_b128 v[21:24], v15 offset:64
	s_waitcnt lgkmcnt(0)
	v_mul_f64 v[27:28], v[4:5], v[23:24]
	v_fma_f64 v[27:28], v[2:3], v[21:22], -v[27:28]
	v_mul_f64 v[2:3], v[2:3], v[23:24]
	v_add_f64 v[6:7], v[6:7], v[27:28]
	v_fma_f64 v[2:3], v[4:5], v[21:22], v[2:3]
	v_add_f64 v[25:26], v[25:26], v[2:3]
	ds_read_b128 v[2:5], v19 offset:2560
	ds_read_b128 v[21:24], v15 offset:80
	s_waitcnt lgkmcnt(0)
	v_mul_f64 v[27:28], v[4:5], v[23:24]
	v_fma_f64 v[27:28], v[2:3], v[21:22], -v[27:28]
	v_mul_f64 v[2:3], v[2:3], v[23:24]
	v_add_f64 v[6:7], v[6:7], v[27:28]
	v_fma_f64 v[2:3], v[4:5], v[21:22], v[2:3]
	;; [unrolled: 9-line block ×27, first 2 shown]
	v_add_f64 v[25:26], v[25:26], v[2:3]
	ds_read_b128 v[2:5], v19 offset:15872
	ds_read_b128 v[21:24], v15 offset:496
	s_waitcnt lgkmcnt(0)
	v_mul_f64 v[27:28], v[4:5], v[23:24]
	v_fma_f64 v[27:28], v[2:3], v[21:22], -v[27:28]
	v_mul_f64 v[2:3], v[2:3], v[23:24]
	v_fma_f64 v[2:3], v[4:5], v[21:22], v[2:3]
	flat_load_dwordx4 v[21:24], v[11:12]
	v_add_f64 v[4:5], v[6:7], v[27:28]
	v_add_f64 v[6:7], v[25:26], v[2:3]
	v_mul_f64 v[2:3], s[14:15], v[6:7]
	v_mul_f64 v[6:7], s[12:13], v[6:7]
	v_fma_f64 v[2:3], s[12:13], v[4:5], -v[2:3]
	v_fma_f64 v[4:5], s[14:15], v[4:5], v[6:7]
	s_waitcnt vmcnt(0) lgkmcnt(0)
	v_add_f64 v[2:3], v[21:22], v[2:3]
	v_add_f64 v[4:5], v[23:24], v[4:5]
	flat_store_dwordx4 v[11:12], v[2:5]
	s_branch .LBB922_4
.LBB922_11:
	v_cmp_eq_u32_e32 vcc, v8, v10
	v_cmp_gt_i32_e64 s[0:1], s17, v8
	s_and_b64 s[0:1], vcc, s[0:1]
	s_and_saveexec_b64 s[2:3], s[0:1]
	s_cbranch_execz .LBB922_13
; %bb.12:
	v_mad_i64_i32 v[0:1], s[0:1], s10, v8, 0
	v_mov_b32_e32 v2, s11
	v_lshlrev_b64 v[0:1], 4, v[0:1]
	v_add_co_u32_e32 v3, vcc, s8, v0
	v_addc_co_u32_e32 v2, vcc, v2, v1, vcc
	v_lshlrev_b64 v[0:1], 4, v[8:9]
	v_add_co_u32_e32 v0, vcc, v3, v0
	v_addc_co_u32_e32 v1, vcc, v2, v1, vcc
	v_mov_b32_e32 v2, 0
	v_mov_b32_e32 v3, v2
	flat_store_dwordx2 v[0:1], v[2:3] offset:8
.LBB922_13:
	s_endpgm
	.section	.rodata,"a",@progbits
	.p2align	6, 0x0
	.amdhsa_kernel _ZL26rocblas_syr2k_her2k_kernelIiLb0ELb1ELb0ELi32EPK19rocblas_complex_numIdEPKS3_PKPS1_EvbiT_T4_T5_S9_lSB_S9_lT6_S9_li
		.amdhsa_group_segment_fixed_size 32768
		.amdhsa_private_segment_fixed_size 0
		.amdhsa_kernarg_size 100
		.amdhsa_user_sgpr_count 6
		.amdhsa_user_sgpr_private_segment_buffer 1
		.amdhsa_user_sgpr_dispatch_ptr 0
		.amdhsa_user_sgpr_queue_ptr 0
		.amdhsa_user_sgpr_kernarg_segment_ptr 1
		.amdhsa_user_sgpr_dispatch_id 0
		.amdhsa_user_sgpr_flat_scratch_init 0
		.amdhsa_user_sgpr_private_segment_size 0
		.amdhsa_uses_dynamic_stack 0
		.amdhsa_system_sgpr_private_segment_wavefront_offset 0
		.amdhsa_system_sgpr_workgroup_id_x 1
		.amdhsa_system_sgpr_workgroup_id_y 1
		.amdhsa_system_sgpr_workgroup_id_z 1
		.amdhsa_system_sgpr_workgroup_info 0
		.amdhsa_system_vgpr_workitem_id 1
		.amdhsa_next_free_vgpr 37
		.amdhsa_next_free_sgpr 61
		.amdhsa_reserve_vcc 1
		.amdhsa_reserve_flat_scratch 0
		.amdhsa_float_round_mode_32 0
		.amdhsa_float_round_mode_16_64 0
		.amdhsa_float_denorm_mode_32 3
		.amdhsa_float_denorm_mode_16_64 3
		.amdhsa_dx10_clamp 1
		.amdhsa_ieee_mode 1
		.amdhsa_fp16_overflow 0
		.amdhsa_exception_fp_ieee_invalid_op 0
		.amdhsa_exception_fp_denorm_src 0
		.amdhsa_exception_fp_ieee_div_zero 0
		.amdhsa_exception_fp_ieee_overflow 0
		.amdhsa_exception_fp_ieee_underflow 0
		.amdhsa_exception_fp_ieee_inexact 0
		.amdhsa_exception_int_div_zero 0
	.end_amdhsa_kernel
	.section	.text._ZL26rocblas_syr2k_her2k_kernelIiLb0ELb1ELb0ELi32EPK19rocblas_complex_numIdEPKS3_PKPS1_EvbiT_T4_T5_S9_lSB_S9_lT6_S9_li,"axG",@progbits,_ZL26rocblas_syr2k_her2k_kernelIiLb0ELb1ELb0ELi32EPK19rocblas_complex_numIdEPKS3_PKPS1_EvbiT_T4_T5_S9_lSB_S9_lT6_S9_li,comdat
.Lfunc_end922:
	.size	_ZL26rocblas_syr2k_her2k_kernelIiLb0ELb1ELb0ELi32EPK19rocblas_complex_numIdEPKS3_PKPS1_EvbiT_T4_T5_S9_lSB_S9_lT6_S9_li, .Lfunc_end922-_ZL26rocblas_syr2k_her2k_kernelIiLb0ELb1ELb0ELi32EPK19rocblas_complex_numIdEPKS3_PKPS1_EvbiT_T4_T5_S9_lSB_S9_lT6_S9_li
                                        ; -- End function
	.set _ZL26rocblas_syr2k_her2k_kernelIiLb0ELb1ELb0ELi32EPK19rocblas_complex_numIdEPKS3_PKPS1_EvbiT_T4_T5_S9_lSB_S9_lT6_S9_li.num_vgpr, 37
	.set _ZL26rocblas_syr2k_her2k_kernelIiLb0ELb1ELb0ELi32EPK19rocblas_complex_numIdEPKS3_PKPS1_EvbiT_T4_T5_S9_lSB_S9_lT6_S9_li.num_agpr, 0
	.set _ZL26rocblas_syr2k_her2k_kernelIiLb0ELb1ELb0ELi32EPK19rocblas_complex_numIdEPKS3_PKPS1_EvbiT_T4_T5_S9_lSB_S9_lT6_S9_li.numbered_sgpr, 28
	.set _ZL26rocblas_syr2k_her2k_kernelIiLb0ELb1ELb0ELi32EPK19rocblas_complex_numIdEPKS3_PKPS1_EvbiT_T4_T5_S9_lSB_S9_lT6_S9_li.num_named_barrier, 0
	.set _ZL26rocblas_syr2k_her2k_kernelIiLb0ELb1ELb0ELi32EPK19rocblas_complex_numIdEPKS3_PKPS1_EvbiT_T4_T5_S9_lSB_S9_lT6_S9_li.private_seg_size, 0
	.set _ZL26rocblas_syr2k_her2k_kernelIiLb0ELb1ELb0ELi32EPK19rocblas_complex_numIdEPKS3_PKPS1_EvbiT_T4_T5_S9_lSB_S9_lT6_S9_li.uses_vcc, 1
	.set _ZL26rocblas_syr2k_her2k_kernelIiLb0ELb1ELb0ELi32EPK19rocblas_complex_numIdEPKS3_PKPS1_EvbiT_T4_T5_S9_lSB_S9_lT6_S9_li.uses_flat_scratch, 0
	.set _ZL26rocblas_syr2k_her2k_kernelIiLb0ELb1ELb0ELi32EPK19rocblas_complex_numIdEPKS3_PKPS1_EvbiT_T4_T5_S9_lSB_S9_lT6_S9_li.has_dyn_sized_stack, 0
	.set _ZL26rocblas_syr2k_her2k_kernelIiLb0ELb1ELb0ELi32EPK19rocblas_complex_numIdEPKS3_PKPS1_EvbiT_T4_T5_S9_lSB_S9_lT6_S9_li.has_recursion, 0
	.set _ZL26rocblas_syr2k_her2k_kernelIiLb0ELb1ELb0ELi32EPK19rocblas_complex_numIdEPKS3_PKPS1_EvbiT_T4_T5_S9_lSB_S9_lT6_S9_li.has_indirect_call, 0
	.section	.AMDGPU.csdata,"",@progbits
; Kernel info:
; codeLenInByte = 3040
; TotalNumSgprs: 32
; NumVgprs: 37
; ScratchSize: 0
; MemoryBound: 1
; FloatMode: 240
; IeeeMode: 1
; LDSByteSize: 32768 bytes/workgroup (compile time only)
; SGPRBlocks: 8
; VGPRBlocks: 9
; NumSGPRsForWavesPerEU: 65
; NumVGPRsForWavesPerEU: 37
; Occupancy: 6
; WaveLimiterHint : 1
; COMPUTE_PGM_RSRC2:SCRATCH_EN: 0
; COMPUTE_PGM_RSRC2:USER_SGPR: 6
; COMPUTE_PGM_RSRC2:TRAP_HANDLER: 0
; COMPUTE_PGM_RSRC2:TGID_X_EN: 1
; COMPUTE_PGM_RSRC2:TGID_Y_EN: 1
; COMPUTE_PGM_RSRC2:TGID_Z_EN: 1
; COMPUTE_PGM_RSRC2:TIDIG_COMP_CNT: 1
	.section	.text._ZL26rocblas_syr2k_her2k_kernelIiLb0ELb1ELb1ELi32EPK19rocblas_complex_numIdEPKS3_PKPS1_EvbiT_T4_T5_S9_lSB_S9_lT6_S9_li,"axG",@progbits,_ZL26rocblas_syr2k_her2k_kernelIiLb0ELb1ELb1ELi32EPK19rocblas_complex_numIdEPKS3_PKPS1_EvbiT_T4_T5_S9_lSB_S9_lT6_S9_li,comdat
	.globl	_ZL26rocblas_syr2k_her2k_kernelIiLb0ELb1ELb1ELi32EPK19rocblas_complex_numIdEPKS3_PKPS1_EvbiT_T4_T5_S9_lSB_S9_lT6_S9_li ; -- Begin function _ZL26rocblas_syr2k_her2k_kernelIiLb0ELb1ELb1ELi32EPK19rocblas_complex_numIdEPKS3_PKPS1_EvbiT_T4_T5_S9_lSB_S9_lT6_S9_li
	.p2align	8
	.type	_ZL26rocblas_syr2k_her2k_kernelIiLb0ELb1ELb1ELi32EPK19rocblas_complex_numIdEPKS3_PKPS1_EvbiT_T4_T5_S9_lSB_S9_lT6_S9_li,@function
_ZL26rocblas_syr2k_her2k_kernelIiLb0ELb1ELb1ELi32EPK19rocblas_complex_numIdEPKS3_PKPS1_EvbiT_T4_T5_S9_lSB_S9_lT6_S9_li: ; @_ZL26rocblas_syr2k_her2k_kernelIiLb0ELb1ELb1ELi32EPK19rocblas_complex_numIdEPKS3_PKPS1_EvbiT_T4_T5_S9_lSB_S9_lT6_S9_li
; %bb.0:
	s_load_dwordx4 s[0:3], s[4:5], 0x10
	s_waitcnt lgkmcnt(0)
	s_load_dwordx4 s[12:15], s[0:1], 0x0
	s_waitcnt lgkmcnt(0)
	v_cmp_eq_f64_e64 s[0:1], s[12:13], 0
	v_cmp_eq_f64_e64 s[10:11], s[14:15], 0
	s_and_b64 s[0:1], s[0:1], s[10:11]
	s_and_b64 vcc, exec, s[0:1]
	s_cbranch_vccnz .LBB923_13
; %bb.1:
	s_load_dwordx4 s[16:19], s[4:5], 0x0
	s_lshl_b32 s11, s7, 5
	s_waitcnt lgkmcnt(0)
	s_lshl_b32 s19, s6, 5
	s_and_b32 s0, 1, s16
	s_cmp_eq_u32 s0, 1
	s_cselect_b64 s[0:1], -1, 0
	s_and_b64 s[6:7], s[0:1], exec
	s_cselect_b32 s6, s19, s11
	s_cselect_b32 s7, s11, s19
	s_cmp_gt_i32 s6, s7
	s_cbranch_scc1 .LBB923_13
; %bb.2:
	s_load_dwordx4 s[20:23], s[4:5], 0x40
	s_load_dword s10, s[4:5], 0x50
	s_load_dwordx2 s[24:25], s[4:5], 0x58
	s_mov_b32 s9, 0
	s_lshl_b64 s[6:7], s[8:9], 3
	s_waitcnt lgkmcnt(0)
	s_add_u32 s22, s22, s6
	s_addc_u32 s23, s23, s7
	s_load_dwordx2 s[22:23], s[22:23], 0x0
	s_lshl_b64 s[24:25], s[24:25], 4
	v_add_u32_e32 v8, s19, v0
	v_add_u32_e32 v14, s11, v1
	v_cmp_gt_i32_e32 vcc, s17, v8
	s_waitcnt lgkmcnt(0)
	s_add_u32 s8, s22, s24
	s_addc_u32 s11, s23, s25
	s_cmp_lt_i32 s18, 1
	v_ashrrev_i32_e32 v9, 31, v8
	s_cbranch_scc1 .LBB923_11
; %bb.3:
	s_add_u32 s2, s2, s6
	s_load_dword s16, s[4:5], 0x20
	s_load_dwordx4 s[24:27], s[4:5], 0x28
	s_load_dword s19, s[4:5], 0x38
	s_addc_u32 s3, s3, s7
	s_load_dwordx2 s[2:3], s[2:3], 0x0
	v_cndmask_b32_e64 v4, v8, v14, s[0:1]
	s_waitcnt lgkmcnt(0)
	s_add_u32 s4, s26, s6
	s_addc_u32 s5, s27, s7
	s_lshl_b64 s[6:7], s[24:25], 4
	s_add_u32 s22, s2, s6
	s_addc_u32 s23, s3, s7
	v_mad_i64_i32 v[2:3], s[6:7], s16, v8, 0
	s_load_dwordx2 s[4:5], s[4:5], 0x0
	v_cndmask_b32_e64 v5, v14, v8, s[0:1]
	v_lshlrev_b64 v[2:3], 4, v[2:3]
	v_mov_b32_e32 v6, s23
	v_add_co_u32_e64 v15, s[0:1], s22, v2
	v_addc_co_u32_e64 v16, s[0:1], v6, v3, s[0:1]
	v_mad_i64_i32 v[2:3], s[0:1], s19, v14, 0
	s_lshl_b64 s[2:3], s[20:21], 4
	s_waitcnt lgkmcnt(0)
	s_add_u32 s2, s4, s2
	v_lshlrev_b64 v[2:3], 4, v[2:3]
	s_addc_u32 s3, s5, s3
	v_mov_b32_e32 v7, s3
	v_add_co_u32_e64 v19, s[2:3], s2, v2
	v_addc_co_u32_e64 v20, s[2:3], v7, v3, s[2:3]
	v_mad_i64_i32 v[2:3], s[2:3], s10, v14, 0
	v_cmp_gt_i32_e64 s[0:1], s17, v14
	v_cmp_le_i32_e64 s[2:3], v5, v4
	v_lshlrev_b64 v[2:3], 4, v[2:3]
	s_and_b64 s[4:5], s[0:1], vcc
	s_and_b64 s[4:5], s[4:5], s[2:3]
	v_mov_b32_e32 v4, s11
	v_add_co_u32_e64 v5, s[2:3], s8, v2
	v_addc_co_u32_e64 v4, s[2:3], v4, v3, s[2:3]
	v_lshlrev_b64 v[2:3], 4, v[8:9]
	v_lshlrev_b32_e32 v6, 4, v1
	v_lshlrev_b32_e32 v17, 9, v0
	v_or_b32_e32 v21, 0x4000, v6
	v_add_co_u32_e64 v10, s[2:3], v5, v2
	v_add_u32_e32 v18, v17, v6
	v_add_u32_e32 v22, v21, v17
	v_addc_co_u32_e64 v11, s[2:3], v4, v3, s[2:3]
	s_branch .LBB923_5
.LBB923_4:                              ;   in Loop: Header=BB923_5 Depth=1
	s_or_b64 exec, exec, s[2:3]
	s_add_i32 s9, s9, 32
	s_cmp_ge_i32 s9, s18
	s_waitcnt vmcnt(0) lgkmcnt(0)
	s_barrier
	s_cbranch_scc1 .LBB923_11
.LBB923_5:                              ; =>This Inner Loop Header: Depth=1
	v_add_u32_e32 v12, s9, v1
	v_cmp_gt_i32_e64 s[2:3], s18, v12
	v_mov_b32_e32 v2, 0
	v_mov_b32_e32 v4, 0
	v_mov_b32_e32 v6, 0
	v_mov_b32_e32 v3, 0
	v_mov_b32_e32 v5, 0
	v_mov_b32_e32 v7, 0
	s_and_b64 s[2:3], vcc, s[2:3]
	s_and_saveexec_b64 s[6:7], s[2:3]
	s_cbranch_execz .LBB923_7
; %bb.6:                                ;   in Loop: Header=BB923_5 Depth=1
	v_ashrrev_i32_e32 v13, 31, v12
	v_lshlrev_b64 v[4:5], 4, v[12:13]
	v_add_co_u32_e64 v4, s[2:3], v15, v4
	v_addc_co_u32_e64 v5, s[2:3], v16, v5, s[2:3]
	flat_load_dwordx4 v[4:7], v[4:5]
	s_waitcnt vmcnt(0) lgkmcnt(0)
	v_xor_b32_e32 v7, 0x80000000, v7
.LBB923_7:                              ;   in Loop: Header=BB923_5 Depth=1
	s_or_b64 exec, exec, s[6:7]
	ds_write_b128 v18, v[4:7]
	v_add_u32_e32 v6, s9, v0
	v_cmp_gt_i32_e64 s[2:3], s18, v6
	v_mov_b32_e32 v4, 0
	v_mov_b32_e32 v5, 0
	s_and_b64 s[2:3], s[0:1], s[2:3]
	s_and_saveexec_b64 s[6:7], s[2:3]
	s_cbranch_execz .LBB923_9
; %bb.8:                                ;   in Loop: Header=BB923_5 Depth=1
	v_ashrrev_i32_e32 v7, 31, v6
	v_lshlrev_b64 v[2:3], 4, v[6:7]
	v_add_co_u32_e64 v2, s[2:3], v19, v2
	v_addc_co_u32_e64 v3, s[2:3], v20, v3, s[2:3]
	flat_load_dwordx4 v[2:5], v[2:3]
.LBB923_9:                              ;   in Loop: Header=BB923_5 Depth=1
	s_or_b64 exec, exec, s[6:7]
	s_waitcnt vmcnt(0) lgkmcnt(0)
	ds_write_b128 v22, v[2:5]
	s_waitcnt lgkmcnt(0)
	s_barrier
	s_and_saveexec_b64 s[2:3], s[4:5]
	s_cbranch_execz .LBB923_4
; %bb.10:                               ;   in Loop: Header=BB923_5 Depth=1
	ds_read_b128 v[23:26], v21
	ds_read_b128 v[27:30], v17
	ds_read_b128 v[31:34], v17 offset:16
	ds_read_b128 v[35:38], v17 offset:32
	;; [unrolled: 1-line block ×3, first 2 shown]
	s_waitcnt lgkmcnt(3)
	v_mul_f64 v[6:7], v[25:26], v[29:30]
	v_mul_f64 v[12:13], v[23:24], v[29:30]
	v_fma_f64 v[6:7], v[23:24], v[27:28], -v[6:7]
	v_fma_f64 v[12:13], v[25:26], v[27:28], v[12:13]
	ds_read_b128 v[23:26], v21 offset:512
	s_waitcnt lgkmcnt(0)
	v_mul_f64 v[27:28], v[25:26], v[33:34]
	v_add_f64 v[6:7], v[6:7], 0
	v_add_f64 v[12:13], v[12:13], 0
	v_fma_f64 v[27:28], v[23:24], v[31:32], -v[27:28]
	v_mul_f64 v[23:24], v[23:24], v[33:34]
	v_add_f64 v[6:7], v[6:7], v[27:28]
	v_fma_f64 v[23:24], v[25:26], v[31:32], v[23:24]
	v_add_f64 v[12:13], v[12:13], v[23:24]
	ds_read_b128 v[23:26], v21 offset:1024
	s_waitcnt lgkmcnt(0)
	v_mul_f64 v[27:28], v[25:26], v[37:38]
	v_fma_f64 v[27:28], v[23:24], v[35:36], -v[27:28]
	v_mul_f64 v[23:24], v[23:24], v[37:38]
	v_add_f64 v[6:7], v[6:7], v[27:28]
	v_fma_f64 v[23:24], v[25:26], v[35:36], v[23:24]
	v_add_f64 v[12:13], v[12:13], v[23:24]
	ds_read_b128 v[23:26], v21 offset:1536
	s_waitcnt lgkmcnt(0)
	v_mul_f64 v[27:28], v[25:26], v[4:5]
	v_mul_f64 v[4:5], v[23:24], v[4:5]
	v_fma_f64 v[27:28], v[23:24], v[2:3], -v[27:28]
	v_fma_f64 v[2:3], v[25:26], v[2:3], v[4:5]
	v_add_f64 v[6:7], v[6:7], v[27:28]
	v_add_f64 v[12:13], v[12:13], v[2:3]
	ds_read_b128 v[2:5], v21 offset:2048
	ds_read_b128 v[23:26], v17 offset:64
	s_waitcnt lgkmcnt(0)
	v_mul_f64 v[27:28], v[4:5], v[25:26]
	v_fma_f64 v[27:28], v[2:3], v[23:24], -v[27:28]
	v_mul_f64 v[2:3], v[2:3], v[25:26]
	v_add_f64 v[6:7], v[6:7], v[27:28]
	v_fma_f64 v[2:3], v[4:5], v[23:24], v[2:3]
	v_add_f64 v[12:13], v[12:13], v[2:3]
	ds_read_b128 v[2:5], v21 offset:2560
	ds_read_b128 v[23:26], v17 offset:80
	s_waitcnt lgkmcnt(0)
	v_mul_f64 v[27:28], v[4:5], v[25:26]
	v_fma_f64 v[27:28], v[2:3], v[23:24], -v[27:28]
	v_mul_f64 v[2:3], v[2:3], v[25:26]
	v_add_f64 v[6:7], v[6:7], v[27:28]
	v_fma_f64 v[2:3], v[4:5], v[23:24], v[2:3]
	;; [unrolled: 9-line block ×27, first 2 shown]
	v_add_f64 v[12:13], v[12:13], v[2:3]
	ds_read_b128 v[2:5], v21 offset:15872
	ds_read_b128 v[23:26], v17 offset:496
	s_waitcnt lgkmcnt(0)
	v_mul_f64 v[27:28], v[4:5], v[25:26]
	v_fma_f64 v[27:28], v[2:3], v[23:24], -v[27:28]
	v_mul_f64 v[2:3], v[2:3], v[25:26]
	v_fma_f64 v[2:3], v[4:5], v[23:24], v[2:3]
	flat_load_dwordx4 v[23:26], v[10:11]
	v_add_f64 v[4:5], v[6:7], v[27:28]
	v_add_f64 v[6:7], v[12:13], v[2:3]
	v_mul_f64 v[2:3], s[14:15], v[6:7]
	v_mul_f64 v[6:7], s[12:13], v[6:7]
	v_fma_f64 v[2:3], s[12:13], v[4:5], -v[2:3]
	v_fma_f64 v[4:5], s[14:15], v[4:5], v[6:7]
	s_waitcnt vmcnt(0) lgkmcnt(0)
	v_add_f64 v[2:3], v[23:24], v[2:3]
	v_add_f64 v[4:5], v[25:26], v[4:5]
	flat_store_dwordx4 v[10:11], v[2:5]
	s_branch .LBB923_4
.LBB923_11:
	v_cmp_eq_u32_e32 vcc, v8, v14
	v_cmp_gt_i32_e64 s[0:1], s17, v8
	s_and_b64 s[0:1], vcc, s[0:1]
	s_and_saveexec_b64 s[2:3], s[0:1]
	s_cbranch_execz .LBB923_13
; %bb.12:
	v_mad_i64_i32 v[0:1], s[0:1], s10, v8, 0
	v_mov_b32_e32 v2, s11
	v_lshlrev_b64 v[0:1], 4, v[0:1]
	v_add_co_u32_e32 v3, vcc, s8, v0
	v_addc_co_u32_e32 v2, vcc, v2, v1, vcc
	v_lshlrev_b64 v[0:1], 4, v[8:9]
	v_add_co_u32_e32 v0, vcc, v3, v0
	v_addc_co_u32_e32 v1, vcc, v2, v1, vcc
	v_mov_b32_e32 v2, 0
	v_mov_b32_e32 v3, v2
	flat_store_dwordx2 v[0:1], v[2:3] offset:8
.LBB923_13:
	s_endpgm
	.section	.rodata,"a",@progbits
	.p2align	6, 0x0
	.amdhsa_kernel _ZL26rocblas_syr2k_her2k_kernelIiLb0ELb1ELb1ELi32EPK19rocblas_complex_numIdEPKS3_PKPS1_EvbiT_T4_T5_S9_lSB_S9_lT6_S9_li
		.amdhsa_group_segment_fixed_size 32768
		.amdhsa_private_segment_fixed_size 0
		.amdhsa_kernarg_size 100
		.amdhsa_user_sgpr_count 6
		.amdhsa_user_sgpr_private_segment_buffer 1
		.amdhsa_user_sgpr_dispatch_ptr 0
		.amdhsa_user_sgpr_queue_ptr 0
		.amdhsa_user_sgpr_kernarg_segment_ptr 1
		.amdhsa_user_sgpr_dispatch_id 0
		.amdhsa_user_sgpr_flat_scratch_init 0
		.amdhsa_user_sgpr_private_segment_size 0
		.amdhsa_uses_dynamic_stack 0
		.amdhsa_system_sgpr_private_segment_wavefront_offset 0
		.amdhsa_system_sgpr_workgroup_id_x 1
		.amdhsa_system_sgpr_workgroup_id_y 1
		.amdhsa_system_sgpr_workgroup_id_z 1
		.amdhsa_system_sgpr_workgroup_info 0
		.amdhsa_system_vgpr_workitem_id 1
		.amdhsa_next_free_vgpr 39
		.amdhsa_next_free_sgpr 61
		.amdhsa_reserve_vcc 1
		.amdhsa_reserve_flat_scratch 0
		.amdhsa_float_round_mode_32 0
		.amdhsa_float_round_mode_16_64 0
		.amdhsa_float_denorm_mode_32 3
		.amdhsa_float_denorm_mode_16_64 3
		.amdhsa_dx10_clamp 1
		.amdhsa_ieee_mode 1
		.amdhsa_fp16_overflow 0
		.amdhsa_exception_fp_ieee_invalid_op 0
		.amdhsa_exception_fp_denorm_src 0
		.amdhsa_exception_fp_ieee_div_zero 0
		.amdhsa_exception_fp_ieee_overflow 0
		.amdhsa_exception_fp_ieee_underflow 0
		.amdhsa_exception_fp_ieee_inexact 0
		.amdhsa_exception_int_div_zero 0
	.end_amdhsa_kernel
	.section	.text._ZL26rocblas_syr2k_her2k_kernelIiLb0ELb1ELb1ELi32EPK19rocblas_complex_numIdEPKS3_PKPS1_EvbiT_T4_T5_S9_lSB_S9_lT6_S9_li,"axG",@progbits,_ZL26rocblas_syr2k_her2k_kernelIiLb0ELb1ELb1ELi32EPK19rocblas_complex_numIdEPKS3_PKPS1_EvbiT_T4_T5_S9_lSB_S9_lT6_S9_li,comdat
.Lfunc_end923:
	.size	_ZL26rocblas_syr2k_her2k_kernelIiLb0ELb1ELb1ELi32EPK19rocblas_complex_numIdEPKS3_PKPS1_EvbiT_T4_T5_S9_lSB_S9_lT6_S9_li, .Lfunc_end923-_ZL26rocblas_syr2k_her2k_kernelIiLb0ELb1ELb1ELi32EPK19rocblas_complex_numIdEPKS3_PKPS1_EvbiT_T4_T5_S9_lSB_S9_lT6_S9_li
                                        ; -- End function
	.set _ZL26rocblas_syr2k_her2k_kernelIiLb0ELb1ELb1ELi32EPK19rocblas_complex_numIdEPKS3_PKPS1_EvbiT_T4_T5_S9_lSB_S9_lT6_S9_li.num_vgpr, 39
	.set _ZL26rocblas_syr2k_her2k_kernelIiLb0ELb1ELb1ELi32EPK19rocblas_complex_numIdEPKS3_PKPS1_EvbiT_T4_T5_S9_lSB_S9_lT6_S9_li.num_agpr, 0
	.set _ZL26rocblas_syr2k_her2k_kernelIiLb0ELb1ELb1ELi32EPK19rocblas_complex_numIdEPKS3_PKPS1_EvbiT_T4_T5_S9_lSB_S9_lT6_S9_li.numbered_sgpr, 28
	.set _ZL26rocblas_syr2k_her2k_kernelIiLb0ELb1ELb1ELi32EPK19rocblas_complex_numIdEPKS3_PKPS1_EvbiT_T4_T5_S9_lSB_S9_lT6_S9_li.num_named_barrier, 0
	.set _ZL26rocblas_syr2k_her2k_kernelIiLb0ELb1ELb1ELi32EPK19rocblas_complex_numIdEPKS3_PKPS1_EvbiT_T4_T5_S9_lSB_S9_lT6_S9_li.private_seg_size, 0
	.set _ZL26rocblas_syr2k_her2k_kernelIiLb0ELb1ELb1ELi32EPK19rocblas_complex_numIdEPKS3_PKPS1_EvbiT_T4_T5_S9_lSB_S9_lT6_S9_li.uses_vcc, 1
	.set _ZL26rocblas_syr2k_her2k_kernelIiLb0ELb1ELb1ELi32EPK19rocblas_complex_numIdEPKS3_PKPS1_EvbiT_T4_T5_S9_lSB_S9_lT6_S9_li.uses_flat_scratch, 0
	.set _ZL26rocblas_syr2k_her2k_kernelIiLb0ELb1ELb1ELi32EPK19rocblas_complex_numIdEPKS3_PKPS1_EvbiT_T4_T5_S9_lSB_S9_lT6_S9_li.has_dyn_sized_stack, 0
	.set _ZL26rocblas_syr2k_her2k_kernelIiLb0ELb1ELb1ELi32EPK19rocblas_complex_numIdEPKS3_PKPS1_EvbiT_T4_T5_S9_lSB_S9_lT6_S9_li.has_recursion, 0
	.set _ZL26rocblas_syr2k_her2k_kernelIiLb0ELb1ELb1ELi32EPK19rocblas_complex_numIdEPKS3_PKPS1_EvbiT_T4_T5_S9_lSB_S9_lT6_S9_li.has_indirect_call, 0
	.section	.AMDGPU.csdata,"",@progbits
; Kernel info:
; codeLenInByte = 3052
; TotalNumSgprs: 32
; NumVgprs: 39
; ScratchSize: 0
; MemoryBound: 1
; FloatMode: 240
; IeeeMode: 1
; LDSByteSize: 32768 bytes/workgroup (compile time only)
; SGPRBlocks: 8
; VGPRBlocks: 9
; NumSGPRsForWavesPerEU: 65
; NumVGPRsForWavesPerEU: 39
; Occupancy: 6
; WaveLimiterHint : 1
; COMPUTE_PGM_RSRC2:SCRATCH_EN: 0
; COMPUTE_PGM_RSRC2:USER_SGPR: 6
; COMPUTE_PGM_RSRC2:TRAP_HANDLER: 0
; COMPUTE_PGM_RSRC2:TGID_X_EN: 1
; COMPUTE_PGM_RSRC2:TGID_Y_EN: 1
; COMPUTE_PGM_RSRC2:TGID_Z_EN: 1
; COMPUTE_PGM_RSRC2:TIDIG_COMP_CNT: 1
	.section	.text._ZL26rocblas_syr2k_her2k_kernelIlLb0ELb0ELb0ELi32EfPKfPfEvbiT_T4_T5_S3_lS5_S3_lT6_S3_li,"axG",@progbits,_ZL26rocblas_syr2k_her2k_kernelIlLb0ELb0ELb0ELi32EfPKfPfEvbiT_T4_T5_S3_lS5_S3_lT6_S3_li,comdat
	.globl	_ZL26rocblas_syr2k_her2k_kernelIlLb0ELb0ELb0ELi32EfPKfPfEvbiT_T4_T5_S3_lS5_S3_lT6_S3_li ; -- Begin function _ZL26rocblas_syr2k_her2k_kernelIlLb0ELb0ELb0ELi32EfPKfPfEvbiT_T4_T5_S3_lS5_S3_lT6_S3_li
	.p2align	8
	.type	_ZL26rocblas_syr2k_her2k_kernelIlLb0ELb0ELb0ELi32EfPKfPfEvbiT_T4_T5_S3_lS5_S3_lT6_S3_li,@function
_ZL26rocblas_syr2k_her2k_kernelIlLb0ELb0ELb0ELi32EfPKfPfEvbiT_T4_T5_S3_lS5_S3_lT6_S3_li: ; @_ZL26rocblas_syr2k_her2k_kernelIlLb0ELb0ELb0ELi32EfPKfPfEvbiT_T4_T5_S3_lS5_S3_lT6_S3_li
; %bb.0:
	s_load_dword s33, s[4:5], 0x10
	s_waitcnt lgkmcnt(0)
	v_cmp_eq_f32_e64 s[0:1], s33, 0
	s_and_b64 vcc, exec, s[0:1]
	s_cbranch_vccnz .LBB924_10
; %bb.1:
	s_load_dwordx4 s[28:31], s[4:5], 0x0
	s_lshl_b32 s3, s7, 5
	s_lshl_b32 s2, s6, 5
	s_waitcnt lgkmcnt(0)
	s_and_b32 s0, 1, s28
	s_cmp_eq_u32 s0, 1
	s_cselect_b64 s[0:1], -1, 0
	s_and_b64 s[6:7], s[0:1], exec
	s_cselect_b32 s6, s2, s3
	s_cselect_b32 s7, s3, s2
	s_cmp_gt_i32 s6, s7
	v_cmp_lt_i64_e64 s[6:7], s[30:31], 1
	s_cselect_b64 s[10:11], -1, 0
	s_or_b64 s[6:7], s[10:11], s[6:7]
	s_and_b64 vcc, exec, s[6:7]
	s_cbranch_vccnz .LBB924_10
; %bb.2:
	s_load_dwordx2 s[6:7], s[4:5], 0x58
	s_load_dwordx16 s[12:27], s[4:5], 0x18
	v_add_u32_e32 v4, s3, v1
	v_lshlrev_b32_e32 v8, 7, v0
	v_lshlrev_b32_e32 v2, 2, v1
	s_waitcnt lgkmcnt(0)
	s_mul_i32 s3, s7, s8
	s_mul_hi_u32 s5, s6, s8
	s_mul_i32 s4, s6, s8
	s_add_i32 s5, s5, s3
	s_lshl_b64 s[4:5], s[4:5], 2
	s_add_u32 s9, s24, s4
	v_add_u32_e32 v9, v8, v2
	v_or_b32_e32 v10, 0x1000, v2
	v_ashrrev_i32_e32 v2, 31, v4
	s_addc_u32 s10, s25, s5
	v_mul_lo_u32 v15, s26, v2
	v_mul_lo_u32 v16, s27, v4
	v_mad_u64_u32 v[2:3], s[4:5], s26, v4, 0
	v_add_u32_e32 v6, s2, v0
	v_cndmask_b32_e64 v12, v6, v4, s[0:1]
	v_add3_u32 v3, v3, v15, v16
	v_cndmask_b32_e64 v13, v4, v6, s[0:1]
	v_max_i32_e32 v14, v6, v4
	v_lshlrev_b64 v[2:3], 2, v[2:3]
	v_cmp_gt_i32_e32 vcc, s29, v14
	v_cmp_le_i32_e64 s[4:5], v13, v12
	s_and_b64 s[6:7], s[4:5], vcc
	v_ashrrev_i32_e32 v13, 31, v6
	v_mov_b32_e32 v12, v6
	v_mov_b32_e32 v14, s10
	v_add_co_u32_e32 v15, vcc, s9, v2
	v_addc_co_u32_e32 v14, vcc, v14, v3, vcc
	v_lshlrev_b64 v[2:3], 2, v[12:13]
	v_mad_u64_u32 v[12:13], s[4:5], s20, v0, 0
	v_add_co_u32_e32 v2, vcc, v15, v2
	v_addc_co_u32_e32 v3, vcc, v14, v3, vcc
	v_mad_u64_u32 v[13:14], s[4:5], s21, v0, v[13:14]
	s_mul_i32 s9, s23, s8
	s_mul_hi_u32 s10, s22, s8
	v_mov_b32_e32 v7, 0
	s_add_i32 s5, s10, s9
	s_mul_i32 s4, s22, s8
	v_lshlrev_b64 v[12:13], 2, v[12:13]
	s_ashr_i32 s3, s29, 31
	s_mov_b32 s2, s29
	v_mov_b32_e32 v5, v7
	s_lshl_b64 s[4:5], s[4:5], 2
	v_cmp_gt_i64_e64 s[0:1], s[2:3], v[6:7]
	v_cmp_gt_i64_e64 s[2:3], s[2:3], v[4:5]
	v_mov_b32_e32 v14, s5
	v_add_co_u32_e32 v12, vcc, s4, v12
	v_lshlrev_b64 v[4:5], 2, v[4:5]
	v_addc_co_u32_e32 v13, vcc, v14, v13, vcc
	v_add_co_u32_e32 v4, vcc, v12, v4
	v_addc_co_u32_e32 v5, vcc, v13, v5, vcc
	v_mov_b32_e32 v12, s19
	v_add_co_u32_e32 v4, vcc, s18, v4
	v_addc_co_u32_e32 v5, vcc, v12, v5, vcc
	v_mad_u64_u32 v[12:13], s[4:5], s14, v1, 0
	s_mul_i32 s9, s17, s8
	s_mul_hi_u32 s17, s16, s8
	v_mad_u64_u32 v[13:14], s[4:5], s15, v1, v[13:14]
	s_add_i32 s5, s17, s9
	s_mul_i32 s4, s16, s8
	v_lshlrev_b64 v[12:13], 2, v[12:13]
	s_lshl_b64 s[4:5], s[4:5], 2
	v_mov_b32_e32 v14, s5
	v_add_co_u32_e32 v12, vcc, s4, v12
	v_lshlrev_b64 v[6:7], 2, v[6:7]
	v_addc_co_u32_e32 v13, vcc, v14, v13, vcc
	v_add_co_u32_e32 v6, vcc, v12, v6
	v_addc_co_u32_e32 v7, vcc, v13, v7, vcc
	v_mov_b32_e32 v12, s13
	v_add_co_u32_e32 v6, vcc, s12, v6
	v_add_u32_e32 v11, v10, v8
	s_lshl_b64 s[10:11], s[20:21], 7
	v_addc_co_u32_e32 v7, vcc, v12, v7, vcc
	s_lshl_b64 s[8:9], s[14:15], 7
	s_mov_b64 s[12:13], 0
	v_add_u32_e32 v12, 0x400, v10
	v_add_u32_e32 v13, 0x800, v10
	v_add_u32_e32 v14, 0xc00, v10
	s_branch .LBB924_4
.LBB924_3:                              ;   in Loop: Header=BB924_4 Depth=1
	s_or_b64 exec, exec, s[4:5]
	v_mov_b32_e32 v15, s11
	v_add_co_u32_e32 v4, vcc, s10, v4
	s_add_u32 s12, s12, 32
	v_addc_co_u32_e32 v5, vcc, v5, v15, vcc
	v_mov_b32_e32 v15, s30
	s_addc_u32 s13, s13, 0
	v_mov_b32_e32 v16, s31
	v_cmp_lt_i64_e32 vcc, s[12:13], v[15:16]
	v_mov_b32_e32 v17, s9
	v_add_co_u32_e64 v6, s[4:5], s8, v6
	v_addc_co_u32_e64 v7, s[4:5], v7, v17, s[4:5]
	s_waitcnt vmcnt(0)
	s_barrier
	s_cbranch_vccz .LBB924_10
.LBB924_4:                              ; =>This Inner Loop Header: Depth=1
	v_mov_b32_e32 v16, s13
	v_add_co_u32_e32 v15, vcc, s12, v1
	v_addc_co_u32_e32 v16, vcc, 0, v16, vcc
	v_cmp_gt_i64_e32 vcc, s[30:31], v[15:16]
	v_mov_b32_e32 v15, 0
	s_and_b64 s[14:15], s[0:1], vcc
	s_and_saveexec_b64 s[4:5], s[14:15]
	s_cbranch_execz .LBB924_6
; %bb.5:                                ;   in Loop: Header=BB924_4 Depth=1
	global_load_dword v15, v[6:7], off
.LBB924_6:                              ;   in Loop: Header=BB924_4 Depth=1
	s_or_b64 exec, exec, s[4:5]
	v_mov_b32_e32 v17, s13
	v_add_co_u32_e32 v16, vcc, s12, v0
	v_addc_co_u32_e32 v17, vcc, 0, v17, vcc
	v_cmp_gt_i64_e32 vcc, s[30:31], v[16:17]
	s_waitcnt vmcnt(0)
	ds_write_b32 v9, v15
	s_and_b64 s[14:15], s[2:3], vcc
	v_mov_b32_e32 v15, 0
	s_and_saveexec_b64 s[4:5], s[14:15]
	s_cbranch_execz .LBB924_8
; %bb.7:                                ;   in Loop: Header=BB924_4 Depth=1
	global_load_dword v15, v[4:5], off
.LBB924_8:                              ;   in Loop: Header=BB924_4 Depth=1
	s_or_b64 exec, exec, s[4:5]
	s_waitcnt vmcnt(0)
	ds_write_b32 v11, v15
	s_waitcnt lgkmcnt(0)
	s_barrier
	s_and_saveexec_b64 s[4:5], s[6:7]
	s_cbranch_execz .LBB924_3
; %bb.9:                                ;   in Loop: Header=BB924_4 Depth=1
	global_load_dword v27, v[2:3], off
	ds_read_b128 v[15:18], v8
	ds_read2_b32 v[23:24], v10 offset1:32
	ds_read2_b32 v[25:26], v10 offset0:64 offset1:96
	ds_read_b128 v[19:22], v8 offset:16
	s_waitcnt lgkmcnt(2)
	v_fma_f32 v28, v15, v23, 0
	v_fmac_f32_e32 v28, v16, v24
	ds_read2_b32 v[23:24], v10 offset0:128 offset1:160
	s_waitcnt lgkmcnt(2)
	v_fmac_f32_e32 v28, v17, v25
	v_fmac_f32_e32 v28, v18, v26
	ds_read2_b32 v[25:26], v10 offset0:192 offset1:224
	ds_read_b128 v[15:18], v8 offset:32
	s_waitcnt lgkmcnt(2)
	v_fmac_f32_e32 v28, v19, v23
	v_fmac_f32_e32 v28, v20, v24
	ds_read2_b32 v[23:24], v12 offset1:32
	s_waitcnt lgkmcnt(2)
	v_fmac_f32_e32 v28, v21, v25
	v_fmac_f32_e32 v28, v22, v26
	ds_read_b128 v[19:22], v8 offset:48
	ds_read2_b32 v[25:26], v12 offset0:64 offset1:96
	s_waitcnt lgkmcnt(2)
	v_fmac_f32_e32 v28, v15, v23
	v_fmac_f32_e32 v28, v16, v24
	ds_read2_b32 v[15:16], v12 offset0:128 offset1:160
	s_waitcnt lgkmcnt(1)
	v_fmac_f32_e32 v28, v17, v25
	v_fmac_f32_e32 v28, v18, v26
	;; [unrolled: 4-line block ×3, first 2 shown]
	ds_read_b128 v[15:18], v8 offset:64
	ds_read2_b32 v[25:26], v13 offset1:32
	s_waitcnt lgkmcnt(2)
	v_fmac_f32_e32 v28, v21, v23
	v_fmac_f32_e32 v28, v22, v24
	ds_read2_b32 v[23:24], v13 offset0:64 offset1:96
	ds_read_b128 v[19:22], v8 offset:80
	s_waitcnt lgkmcnt(2)
	v_fmac_f32_e32 v28, v15, v25
	v_fmac_f32_e32 v28, v16, v26
	ds_read2_b32 v[15:16], v13 offset0:128 offset1:160
	s_waitcnt lgkmcnt(2)
	v_fmac_f32_e32 v28, v17, v23
	v_fmac_f32_e32 v28, v18, v24
	ds_read2_b32 v[23:24], v13 offset0:192 offset1:224
	s_waitcnt lgkmcnt(1)
	v_fmac_f32_e32 v28, v19, v15
	v_fmac_f32_e32 v28, v20, v16
	ds_read_b128 v[15:18], v8 offset:96
	ds_read2_b32 v[25:26], v14 offset1:32
	s_waitcnt lgkmcnt(2)
	v_fmac_f32_e32 v28, v21, v23
	v_fmac_f32_e32 v28, v22, v24
	ds_read2_b32 v[23:24], v14 offset0:64 offset1:96
	ds_read_b128 v[19:22], v8 offset:112
	s_waitcnt lgkmcnt(2)
	v_fmac_f32_e32 v28, v15, v25
	v_fmac_f32_e32 v28, v16, v26
	ds_read2_b32 v[15:16], v14 offset0:128 offset1:160
	s_waitcnt lgkmcnt(2)
	v_fmac_f32_e32 v28, v17, v23
	v_fmac_f32_e32 v28, v18, v24
	ds_read2_b32 v[17:18], v14 offset0:192 offset1:224
	s_waitcnt lgkmcnt(1)
	v_fmac_f32_e32 v28, v19, v15
	v_fmac_f32_e32 v28, v20, v16
	s_waitcnt lgkmcnt(0)
	v_fmac_f32_e32 v28, v21, v17
	v_fmac_f32_e32 v28, v22, v18
	s_waitcnt vmcnt(0)
	v_fmac_f32_e32 v27, s33, v28
	global_store_dword v[2:3], v27, off
	s_branch .LBB924_3
.LBB924_10:
	s_endpgm
	.section	.rodata,"a",@progbits
	.p2align	6, 0x0
	.amdhsa_kernel _ZL26rocblas_syr2k_her2k_kernelIlLb0ELb0ELb0ELi32EfPKfPfEvbiT_T4_T5_S3_lS5_S3_lT6_S3_li
		.amdhsa_group_segment_fixed_size 8192
		.amdhsa_private_segment_fixed_size 0
		.amdhsa_kernarg_size 100
		.amdhsa_user_sgpr_count 6
		.amdhsa_user_sgpr_private_segment_buffer 1
		.amdhsa_user_sgpr_dispatch_ptr 0
		.amdhsa_user_sgpr_queue_ptr 0
		.amdhsa_user_sgpr_kernarg_segment_ptr 1
		.amdhsa_user_sgpr_dispatch_id 0
		.amdhsa_user_sgpr_flat_scratch_init 0
		.amdhsa_user_sgpr_private_segment_size 0
		.amdhsa_uses_dynamic_stack 0
		.amdhsa_system_sgpr_private_segment_wavefront_offset 0
		.amdhsa_system_sgpr_workgroup_id_x 1
		.amdhsa_system_sgpr_workgroup_id_y 1
		.amdhsa_system_sgpr_workgroup_id_z 1
		.amdhsa_system_sgpr_workgroup_info 0
		.amdhsa_system_vgpr_workitem_id 1
		.amdhsa_next_free_vgpr 29
		.amdhsa_next_free_sgpr 61
		.amdhsa_reserve_vcc 1
		.amdhsa_reserve_flat_scratch 0
		.amdhsa_float_round_mode_32 0
		.amdhsa_float_round_mode_16_64 0
		.amdhsa_float_denorm_mode_32 3
		.amdhsa_float_denorm_mode_16_64 3
		.amdhsa_dx10_clamp 1
		.amdhsa_ieee_mode 1
		.amdhsa_fp16_overflow 0
		.amdhsa_exception_fp_ieee_invalid_op 0
		.amdhsa_exception_fp_denorm_src 0
		.amdhsa_exception_fp_ieee_div_zero 0
		.amdhsa_exception_fp_ieee_overflow 0
		.amdhsa_exception_fp_ieee_underflow 0
		.amdhsa_exception_fp_ieee_inexact 0
		.amdhsa_exception_int_div_zero 0
	.end_amdhsa_kernel
	.section	.text._ZL26rocblas_syr2k_her2k_kernelIlLb0ELb0ELb0ELi32EfPKfPfEvbiT_T4_T5_S3_lS5_S3_lT6_S3_li,"axG",@progbits,_ZL26rocblas_syr2k_her2k_kernelIlLb0ELb0ELb0ELi32EfPKfPfEvbiT_T4_T5_S3_lS5_S3_lT6_S3_li,comdat
.Lfunc_end924:
	.size	_ZL26rocblas_syr2k_her2k_kernelIlLb0ELb0ELb0ELi32EfPKfPfEvbiT_T4_T5_S3_lS5_S3_lT6_S3_li, .Lfunc_end924-_ZL26rocblas_syr2k_her2k_kernelIlLb0ELb0ELb0ELi32EfPKfPfEvbiT_T4_T5_S3_lS5_S3_lT6_S3_li
                                        ; -- End function
	.set _ZL26rocblas_syr2k_her2k_kernelIlLb0ELb0ELb0ELi32EfPKfPfEvbiT_T4_T5_S3_lS5_S3_lT6_S3_li.num_vgpr, 29
	.set _ZL26rocblas_syr2k_her2k_kernelIlLb0ELb0ELb0ELi32EfPKfPfEvbiT_T4_T5_S3_lS5_S3_lT6_S3_li.num_agpr, 0
	.set _ZL26rocblas_syr2k_her2k_kernelIlLb0ELb0ELb0ELi32EfPKfPfEvbiT_T4_T5_S3_lS5_S3_lT6_S3_li.numbered_sgpr, 34
	.set _ZL26rocblas_syr2k_her2k_kernelIlLb0ELb0ELb0ELi32EfPKfPfEvbiT_T4_T5_S3_lS5_S3_lT6_S3_li.num_named_barrier, 0
	.set _ZL26rocblas_syr2k_her2k_kernelIlLb0ELb0ELb0ELi32EfPKfPfEvbiT_T4_T5_S3_lS5_S3_lT6_S3_li.private_seg_size, 0
	.set _ZL26rocblas_syr2k_her2k_kernelIlLb0ELb0ELb0ELi32EfPKfPfEvbiT_T4_T5_S3_lS5_S3_lT6_S3_li.uses_vcc, 1
	.set _ZL26rocblas_syr2k_her2k_kernelIlLb0ELb0ELb0ELi32EfPKfPfEvbiT_T4_T5_S3_lS5_S3_lT6_S3_li.uses_flat_scratch, 0
	.set _ZL26rocblas_syr2k_her2k_kernelIlLb0ELb0ELb0ELi32EfPKfPfEvbiT_T4_T5_S3_lS5_S3_lT6_S3_li.has_dyn_sized_stack, 0
	.set _ZL26rocblas_syr2k_her2k_kernelIlLb0ELb0ELb0ELi32EfPKfPfEvbiT_T4_T5_S3_lS5_S3_lT6_S3_li.has_recursion, 0
	.set _ZL26rocblas_syr2k_her2k_kernelIlLb0ELb0ELb0ELi32EfPKfPfEvbiT_T4_T5_S3_lS5_S3_lT6_S3_li.has_indirect_call, 0
	.section	.AMDGPU.csdata,"",@progbits
; Kernel info:
; codeLenInByte = 1152
; TotalNumSgprs: 38
; NumVgprs: 29
; ScratchSize: 0
; MemoryBound: 0
; FloatMode: 240
; IeeeMode: 1
; LDSByteSize: 8192 bytes/workgroup (compile time only)
; SGPRBlocks: 8
; VGPRBlocks: 7
; NumSGPRsForWavesPerEU: 65
; NumVGPRsForWavesPerEU: 29
; Occupancy: 8
; WaveLimiterHint : 0
; COMPUTE_PGM_RSRC2:SCRATCH_EN: 0
; COMPUTE_PGM_RSRC2:USER_SGPR: 6
; COMPUTE_PGM_RSRC2:TRAP_HANDLER: 0
; COMPUTE_PGM_RSRC2:TGID_X_EN: 1
; COMPUTE_PGM_RSRC2:TGID_Y_EN: 1
; COMPUTE_PGM_RSRC2:TGID_Z_EN: 1
; COMPUTE_PGM_RSRC2:TIDIG_COMP_CNT: 1
	.section	.text._ZL26rocblas_syr2k_her2k_kernelIlLb0ELb0ELb1ELi32EfPKfPfEvbiT_T4_T5_S3_lS5_S3_lT6_S3_li,"axG",@progbits,_ZL26rocblas_syr2k_her2k_kernelIlLb0ELb0ELb1ELi32EfPKfPfEvbiT_T4_T5_S3_lS5_S3_lT6_S3_li,comdat
	.globl	_ZL26rocblas_syr2k_her2k_kernelIlLb0ELb0ELb1ELi32EfPKfPfEvbiT_T4_T5_S3_lS5_S3_lT6_S3_li ; -- Begin function _ZL26rocblas_syr2k_her2k_kernelIlLb0ELb0ELb1ELi32EfPKfPfEvbiT_T4_T5_S3_lS5_S3_lT6_S3_li
	.p2align	8
	.type	_ZL26rocblas_syr2k_her2k_kernelIlLb0ELb0ELb1ELi32EfPKfPfEvbiT_T4_T5_S3_lS5_S3_lT6_S3_li,@function
_ZL26rocblas_syr2k_her2k_kernelIlLb0ELb0ELb1ELi32EfPKfPfEvbiT_T4_T5_S3_lS5_S3_lT6_S3_li: ; @_ZL26rocblas_syr2k_her2k_kernelIlLb0ELb0ELb1ELi32EfPKfPfEvbiT_T4_T5_S3_lS5_S3_lT6_S3_li
; %bb.0:
	s_load_dword s10, s[4:5], 0x10
	s_waitcnt lgkmcnt(0)
	v_cmp_eq_f32_e64 s[0:1], s10, 0
	s_and_b64 vcc, exec, s[0:1]
	s_cbranch_vccnz .LBB925_10
; %bb.1:
	s_load_dwordx4 s[28:31], s[4:5], 0x0
	s_lshl_b32 s3, s7, 5
	s_lshl_b32 s2, s6, 5
	s_waitcnt lgkmcnt(0)
	s_and_b32 s0, 1, s28
	s_cmp_eq_u32 s0, 1
	s_cselect_b64 s[0:1], -1, 0
	s_and_b64 s[6:7], s[0:1], exec
	s_cselect_b32 s6, s2, s3
	s_cselect_b32 s7, s3, s2
	s_cmp_gt_i32 s6, s7
	v_cmp_lt_i64_e64 s[6:7], s[30:31], 1
	s_cselect_b64 s[12:13], -1, 0
	s_or_b64 s[6:7], s[12:13], s[6:7]
	s_and_b64 vcc, exec, s[6:7]
	s_cbranch_vccnz .LBB925_10
; %bb.2:
	s_load_dwordx2 s[6:7], s[4:5], 0x58
	s_load_dwordx16 s[12:27], s[4:5], 0x18
	v_add_u32_e32 v4, s3, v1
	v_add_u32_e32 v6, s2, v0
	s_mov_b32 s2, s29
	s_waitcnt lgkmcnt(0)
	s_mul_i32 s3, s7, s8
	s_mul_hi_u32 s5, s6, s8
	s_mul_i32 s4, s6, s8
	s_add_i32 s5, s5, s3
	s_lshl_b64 s[4:5], s[4:5], 2
	s_add_u32 s9, s24, s4
	s_addc_u32 s11, s25, s5
	s_ashr_i32 s3, s29, 31
	v_mov_b32_e32 v7, 0
	v_ashrrev_i32_e32 v2, 31, v4
	v_cndmask_b32_e64 v12, v6, v4, s[0:1]
	v_cndmask_b32_e64 v13, v4, v6, s[0:1]
	v_cmp_gt_i64_e64 s[0:1], s[2:3], v[6:7]
	v_mov_b32_e32 v5, v7
	v_mul_lo_u32 v7, s26, v2
	v_mul_lo_u32 v15, s27, v4
	v_mad_u64_u32 v[2:3], s[4:5], s26, v4, 0
	v_cmp_gt_i64_e64 s[2:3], s[2:3], v[4:5]
	v_max_i32_e32 v5, v6, v4
	v_add3_u32 v3, v3, v7, v15
	v_lshlrev_b64 v[2:3], 2, v[2:3]
	v_cmp_gt_i32_e32 vcc, s29, v5
	v_cmp_le_i32_e64 s[4:5], v13, v12
	s_and_b64 s[6:7], s[4:5], vcc
	v_ashrrev_i32_e32 v7, 31, v6
	v_mov_b32_e32 v5, s11
	v_add_co_u32_e32 v15, vcc, s9, v2
	v_mad_u64_u32 v[12:13], s[4:5], s20, v4, 0
	v_addc_co_u32_e32 v5, vcc, v5, v3, vcc
	v_lshlrev_b64 v[2:3], 2, v[6:7]
	s_mul_i32 s9, s23, s8
	v_add_co_u32_e32 v2, vcc, v15, v2
	v_addc_co_u32_e32 v3, vcc, v5, v3, vcc
	v_mov_b32_e32 v5, v13
	v_mad_u64_u32 v[4:5], s[4:5], s21, v4, v[5:6]
	s_mul_hi_u32 s11, s22, s8
	s_add_i32 s5, s11, s9
	v_mov_b32_e32 v13, v4
	s_mul_i32 s4, s22, s8
	v_lshlrev_b64 v[4:5], 2, v[12:13]
	s_lshl_b64 s[4:5], s[4:5], 2
	v_mov_b32_e32 v7, s5
	v_add_co_u32_e32 v4, vcc, s4, v4
	v_addc_co_u32_e32 v5, vcc, v7, v5, vcc
	v_lshlrev_b32_e32 v7, 2, v0
	v_mad_u64_u32 v[12:13], s[4:5], s14, v6, 0
	v_add_co_u32_e32 v4, vcc, v4, v7
	v_addc_co_u32_e32 v5, vcc, 0, v5, vcc
	v_mov_b32_e32 v7, s19
	v_add_co_u32_e32 v4, vcc, s18, v4
	v_lshlrev_b32_e32 v8, 7, v0
	v_addc_co_u32_e32 v5, vcc, v7, v5, vcc
	v_mov_b32_e32 v7, v13
	v_mad_u64_u32 v[6:7], s[4:5], s15, v6, v[7:8]
	s_mul_i32 s9, s17, s8
	s_mul_hi_u32 s11, s16, s8
	v_mov_b32_e32 v13, v6
	s_add_i32 s5, s11, s9
	s_mul_i32 s4, s16, s8
	v_lshlrev_b64 v[6:7], 2, v[12:13]
	s_lshl_b64 s[4:5], s[4:5], 2
	v_mov_b32_e32 v12, s5
	v_add_co_u32_e32 v6, vcc, s4, v6
	v_lshlrev_b32_e32 v14, 2, v1
	v_addc_co_u32_e32 v7, vcc, v12, v7, vcc
	v_add_co_u32_e32 v6, vcc, v6, v14
	v_addc_co_u32_e32 v7, vcc, 0, v7, vcc
	v_or_b32_e32 v10, 0x1000, v14
	v_mov_b32_e32 v12, s13
	v_add_co_u32_e32 v6, vcc, s12, v6
	v_add_u32_e32 v9, v8, v14
	v_add_u32_e32 v11, v10, v8
	v_addc_co_u32_e32 v7, vcc, v12, v7, vcc
	s_mov_b64 s[8:9], 0
	v_add_u32_e32 v12, 0x400, v10
	v_add_u32_e32 v13, 0x800, v10
	;; [unrolled: 1-line block ×3, first 2 shown]
	s_branch .LBB925_4
.LBB925_3:                              ;   in Loop: Header=BB925_4 Depth=1
	s_or_b64 exec, exec, s[4:5]
	s_add_u32 s8, s8, 32
	v_add_co_u32_e32 v4, vcc, 0x80, v4
	v_mov_b32_e32 v15, s30
	s_addc_u32 s9, s9, 0
	v_addc_co_u32_e32 v5, vcc, 0, v5, vcc
	v_mov_b32_e32 v16, s31
	v_add_co_u32_e32 v6, vcc, 0x80, v6
	v_cmp_lt_i64_e64 s[4:5], s[8:9], v[15:16]
	v_addc_co_u32_e32 v7, vcc, 0, v7, vcc
	s_and_b64 vcc, exec, s[4:5]
	s_waitcnt vmcnt(0)
	s_barrier
	s_cbranch_vccz .LBB925_10
.LBB925_4:                              ; =>This Inner Loop Header: Depth=1
	v_mov_b32_e32 v16, s9
	v_add_co_u32_e32 v15, vcc, s8, v1
	v_addc_co_u32_e32 v16, vcc, 0, v16, vcc
	v_cmp_gt_i64_e32 vcc, s[30:31], v[15:16]
	v_mov_b32_e32 v15, 0
	s_and_b64 s[12:13], s[0:1], vcc
	s_and_saveexec_b64 s[4:5], s[12:13]
	s_cbranch_execz .LBB925_6
; %bb.5:                                ;   in Loop: Header=BB925_4 Depth=1
	global_load_dword v15, v[6:7], off
.LBB925_6:                              ;   in Loop: Header=BB925_4 Depth=1
	s_or_b64 exec, exec, s[4:5]
	v_mov_b32_e32 v17, s9
	v_add_co_u32_e32 v16, vcc, s8, v0
	v_addc_co_u32_e32 v17, vcc, 0, v17, vcc
	v_cmp_gt_i64_e32 vcc, s[30:31], v[16:17]
	s_waitcnt vmcnt(0)
	ds_write_b32 v9, v15
	s_and_b64 s[12:13], s[2:3], vcc
	v_mov_b32_e32 v15, 0
	s_and_saveexec_b64 s[4:5], s[12:13]
	s_cbranch_execz .LBB925_8
; %bb.7:                                ;   in Loop: Header=BB925_4 Depth=1
	global_load_dword v15, v[4:5], off
.LBB925_8:                              ;   in Loop: Header=BB925_4 Depth=1
	s_or_b64 exec, exec, s[4:5]
	s_waitcnt vmcnt(0)
	ds_write_b32 v11, v15
	s_waitcnt lgkmcnt(0)
	s_barrier
	s_and_saveexec_b64 s[4:5], s[6:7]
	s_cbranch_execz .LBB925_3
; %bb.9:                                ;   in Loop: Header=BB925_4 Depth=1
	global_load_dword v27, v[2:3], off
	ds_read_b128 v[15:18], v8
	ds_read2_b32 v[23:24], v10 offset1:32
	ds_read2_b32 v[25:26], v10 offset0:64 offset1:96
	ds_read_b128 v[19:22], v8 offset:16
	s_waitcnt lgkmcnt(2)
	v_fma_f32 v28, v15, v23, 0
	v_fmac_f32_e32 v28, v16, v24
	ds_read2_b32 v[23:24], v10 offset0:128 offset1:160
	s_waitcnt lgkmcnt(2)
	v_fmac_f32_e32 v28, v17, v25
	v_fmac_f32_e32 v28, v18, v26
	ds_read2_b32 v[25:26], v10 offset0:192 offset1:224
	ds_read_b128 v[15:18], v8 offset:32
	s_waitcnt lgkmcnt(2)
	v_fmac_f32_e32 v28, v19, v23
	v_fmac_f32_e32 v28, v20, v24
	ds_read2_b32 v[23:24], v12 offset1:32
	s_waitcnt lgkmcnt(2)
	v_fmac_f32_e32 v28, v21, v25
	v_fmac_f32_e32 v28, v22, v26
	ds_read_b128 v[19:22], v8 offset:48
	ds_read2_b32 v[25:26], v12 offset0:64 offset1:96
	s_waitcnt lgkmcnt(2)
	v_fmac_f32_e32 v28, v15, v23
	v_fmac_f32_e32 v28, v16, v24
	ds_read2_b32 v[15:16], v12 offset0:128 offset1:160
	s_waitcnt lgkmcnt(1)
	v_fmac_f32_e32 v28, v17, v25
	v_fmac_f32_e32 v28, v18, v26
	;; [unrolled: 4-line block ×3, first 2 shown]
	ds_read_b128 v[15:18], v8 offset:64
	ds_read2_b32 v[25:26], v13 offset1:32
	s_waitcnt lgkmcnt(2)
	v_fmac_f32_e32 v28, v21, v23
	v_fmac_f32_e32 v28, v22, v24
	ds_read2_b32 v[23:24], v13 offset0:64 offset1:96
	ds_read_b128 v[19:22], v8 offset:80
	s_waitcnt lgkmcnt(2)
	v_fmac_f32_e32 v28, v15, v25
	v_fmac_f32_e32 v28, v16, v26
	ds_read2_b32 v[15:16], v13 offset0:128 offset1:160
	s_waitcnt lgkmcnt(2)
	v_fmac_f32_e32 v28, v17, v23
	v_fmac_f32_e32 v28, v18, v24
	ds_read2_b32 v[23:24], v13 offset0:192 offset1:224
	s_waitcnt lgkmcnt(1)
	v_fmac_f32_e32 v28, v19, v15
	v_fmac_f32_e32 v28, v20, v16
	ds_read_b128 v[15:18], v8 offset:96
	ds_read2_b32 v[25:26], v14 offset1:32
	s_waitcnt lgkmcnt(2)
	v_fmac_f32_e32 v28, v21, v23
	v_fmac_f32_e32 v28, v22, v24
	ds_read2_b32 v[23:24], v14 offset0:64 offset1:96
	ds_read_b128 v[19:22], v8 offset:112
	s_waitcnt lgkmcnt(2)
	v_fmac_f32_e32 v28, v15, v25
	v_fmac_f32_e32 v28, v16, v26
	ds_read2_b32 v[15:16], v14 offset0:128 offset1:160
	s_waitcnt lgkmcnt(2)
	v_fmac_f32_e32 v28, v17, v23
	v_fmac_f32_e32 v28, v18, v24
	ds_read2_b32 v[17:18], v14 offset0:192 offset1:224
	s_waitcnt lgkmcnt(1)
	v_fmac_f32_e32 v28, v19, v15
	v_fmac_f32_e32 v28, v20, v16
	s_waitcnt lgkmcnt(0)
	v_fmac_f32_e32 v28, v21, v17
	v_fmac_f32_e32 v28, v22, v18
	s_waitcnt vmcnt(0)
	v_fmac_f32_e32 v27, s10, v28
	global_store_dword v[2:3], v27, off
	s_branch .LBB925_3
.LBB925_10:
	s_endpgm
	.section	.rodata,"a",@progbits
	.p2align	6, 0x0
	.amdhsa_kernel _ZL26rocblas_syr2k_her2k_kernelIlLb0ELb0ELb1ELi32EfPKfPfEvbiT_T4_T5_S3_lS5_S3_lT6_S3_li
		.amdhsa_group_segment_fixed_size 8192
		.amdhsa_private_segment_fixed_size 0
		.amdhsa_kernarg_size 100
		.amdhsa_user_sgpr_count 6
		.amdhsa_user_sgpr_private_segment_buffer 1
		.amdhsa_user_sgpr_dispatch_ptr 0
		.amdhsa_user_sgpr_queue_ptr 0
		.amdhsa_user_sgpr_kernarg_segment_ptr 1
		.amdhsa_user_sgpr_dispatch_id 0
		.amdhsa_user_sgpr_flat_scratch_init 0
		.amdhsa_user_sgpr_private_segment_size 0
		.amdhsa_uses_dynamic_stack 0
		.amdhsa_system_sgpr_private_segment_wavefront_offset 0
		.amdhsa_system_sgpr_workgroup_id_x 1
		.amdhsa_system_sgpr_workgroup_id_y 1
		.amdhsa_system_sgpr_workgroup_id_z 1
		.amdhsa_system_sgpr_workgroup_info 0
		.amdhsa_system_vgpr_workitem_id 1
		.amdhsa_next_free_vgpr 29
		.amdhsa_next_free_sgpr 61
		.amdhsa_reserve_vcc 1
		.amdhsa_reserve_flat_scratch 0
		.amdhsa_float_round_mode_32 0
		.amdhsa_float_round_mode_16_64 0
		.amdhsa_float_denorm_mode_32 3
		.amdhsa_float_denorm_mode_16_64 3
		.amdhsa_dx10_clamp 1
		.amdhsa_ieee_mode 1
		.amdhsa_fp16_overflow 0
		.amdhsa_exception_fp_ieee_invalid_op 0
		.amdhsa_exception_fp_denorm_src 0
		.amdhsa_exception_fp_ieee_div_zero 0
		.amdhsa_exception_fp_ieee_overflow 0
		.amdhsa_exception_fp_ieee_underflow 0
		.amdhsa_exception_fp_ieee_inexact 0
		.amdhsa_exception_int_div_zero 0
	.end_amdhsa_kernel
	.section	.text._ZL26rocblas_syr2k_her2k_kernelIlLb0ELb0ELb1ELi32EfPKfPfEvbiT_T4_T5_S3_lS5_S3_lT6_S3_li,"axG",@progbits,_ZL26rocblas_syr2k_her2k_kernelIlLb0ELb0ELb1ELi32EfPKfPfEvbiT_T4_T5_S3_lS5_S3_lT6_S3_li,comdat
.Lfunc_end925:
	.size	_ZL26rocblas_syr2k_her2k_kernelIlLb0ELb0ELb1ELi32EfPKfPfEvbiT_T4_T5_S3_lS5_S3_lT6_S3_li, .Lfunc_end925-_ZL26rocblas_syr2k_her2k_kernelIlLb0ELb0ELb1ELi32EfPKfPfEvbiT_T4_T5_S3_lS5_S3_lT6_S3_li
                                        ; -- End function
	.set _ZL26rocblas_syr2k_her2k_kernelIlLb0ELb0ELb1ELi32EfPKfPfEvbiT_T4_T5_S3_lS5_S3_lT6_S3_li.num_vgpr, 29
	.set _ZL26rocblas_syr2k_her2k_kernelIlLb0ELb0ELb1ELi32EfPKfPfEvbiT_T4_T5_S3_lS5_S3_lT6_S3_li.num_agpr, 0
	.set _ZL26rocblas_syr2k_her2k_kernelIlLb0ELb0ELb1ELi32EfPKfPfEvbiT_T4_T5_S3_lS5_S3_lT6_S3_li.numbered_sgpr, 32
	.set _ZL26rocblas_syr2k_her2k_kernelIlLb0ELb0ELb1ELi32EfPKfPfEvbiT_T4_T5_S3_lS5_S3_lT6_S3_li.num_named_barrier, 0
	.set _ZL26rocblas_syr2k_her2k_kernelIlLb0ELb0ELb1ELi32EfPKfPfEvbiT_T4_T5_S3_lS5_S3_lT6_S3_li.private_seg_size, 0
	.set _ZL26rocblas_syr2k_her2k_kernelIlLb0ELb0ELb1ELi32EfPKfPfEvbiT_T4_T5_S3_lS5_S3_lT6_S3_li.uses_vcc, 1
	.set _ZL26rocblas_syr2k_her2k_kernelIlLb0ELb0ELb1ELi32EfPKfPfEvbiT_T4_T5_S3_lS5_S3_lT6_S3_li.uses_flat_scratch, 0
	.set _ZL26rocblas_syr2k_her2k_kernelIlLb0ELb0ELb1ELi32EfPKfPfEvbiT_T4_T5_S3_lS5_S3_lT6_S3_li.has_dyn_sized_stack, 0
	.set _ZL26rocblas_syr2k_her2k_kernelIlLb0ELb0ELb1ELi32EfPKfPfEvbiT_T4_T5_S3_lS5_S3_lT6_S3_li.has_recursion, 0
	.set _ZL26rocblas_syr2k_her2k_kernelIlLb0ELb0ELb1ELi32EfPKfPfEvbiT_T4_T5_S3_lS5_S3_lT6_S3_li.has_indirect_call, 0
	.section	.AMDGPU.csdata,"",@progbits
; Kernel info:
; codeLenInByte = 1144
; TotalNumSgprs: 36
; NumVgprs: 29
; ScratchSize: 0
; MemoryBound: 0
; FloatMode: 240
; IeeeMode: 1
; LDSByteSize: 8192 bytes/workgroup (compile time only)
; SGPRBlocks: 8
; VGPRBlocks: 7
; NumSGPRsForWavesPerEU: 65
; NumVGPRsForWavesPerEU: 29
; Occupancy: 8
; WaveLimiterHint : 0
; COMPUTE_PGM_RSRC2:SCRATCH_EN: 0
; COMPUTE_PGM_RSRC2:USER_SGPR: 6
; COMPUTE_PGM_RSRC2:TRAP_HANDLER: 0
; COMPUTE_PGM_RSRC2:TGID_X_EN: 1
; COMPUTE_PGM_RSRC2:TGID_Y_EN: 1
; COMPUTE_PGM_RSRC2:TGID_Z_EN: 1
; COMPUTE_PGM_RSRC2:TIDIG_COMP_CNT: 1
	.section	.text._ZL37rocblas_syrkx_herkx_restricted_kernelIlfLi16ELi32ELi8ELi1ELi1ELb0ELc84ELc76EKffEviT_PT9_S1_lS3_S1_lPT10_S1_li,"axG",@progbits,_ZL37rocblas_syrkx_herkx_restricted_kernelIlfLi16ELi32ELi8ELi1ELi1ELb0ELc84ELc76EKffEviT_PT9_S1_lS3_S1_lPT10_S1_li,comdat
	.globl	_ZL37rocblas_syrkx_herkx_restricted_kernelIlfLi16ELi32ELi8ELi1ELi1ELb0ELc84ELc76EKffEviT_PT9_S1_lS3_S1_lPT10_S1_li ; -- Begin function _ZL37rocblas_syrkx_herkx_restricted_kernelIlfLi16ELi32ELi8ELi1ELi1ELb0ELc84ELc76EKffEviT_PT9_S1_lS3_S1_lPT10_S1_li
	.p2align	8
	.type	_ZL37rocblas_syrkx_herkx_restricted_kernelIlfLi16ELi32ELi8ELi1ELi1ELb0ELc84ELc76EKffEviT_PT9_S1_lS3_S1_lPT10_S1_li,@function
_ZL37rocblas_syrkx_herkx_restricted_kernelIlfLi16ELi32ELi8ELi1ELi1ELb0ELc84ELc76EKffEviT_PT9_S1_lS3_S1_lPT10_S1_li: ; @_ZL37rocblas_syrkx_herkx_restricted_kernelIlfLi16ELi32ELi8ELi1ELi1ELb0ELc84ELc76EKffEviT_PT9_S1_lS3_S1_lPT10_S1_li
; %bb.0:
	s_load_dwordx16 s[12:27], s[4:5], 0x8
	s_lshl_b32 s6, s6, 5
	s_lshl_b32 s7, s7, 5
	s_waitcnt lgkmcnt(0)
	v_cmp_lt_i64_e64 s[0:1], s[12:13], 1
	s_and_b64 vcc, exec, s[0:1]
	s_cbranch_vccnz .LBB926_3
; %bb.1:
	v_lshl_add_u32 v4, v1, 4, v0
	v_lshrrev_b32_e32 v8, 3, v4
	v_add_u32_e32 v5, s7, v8
	v_ashrrev_i32_e32 v6, 31, v5
	v_and_b32_e32 v2, 7, v0
	v_mov_b32_e32 v3, 0
	v_mul_lo_u32 v9, s22, v6
	v_mul_lo_u32 v10, s23, v5
	v_mad_u64_u32 v[6:7], s[0:1], s22, v5, v[2:3]
	v_lshlrev_b32_e32 v2, 2, v2
	v_lshl_or_b32 v2, v8, 5, v2
	v_add3_u32 v7, v10, v7, v9
	v_and_b32_e32 v9, 31, v4
	v_add_u32_e32 v11, 0x400, v2
	v_mov_b32_e32 v2, 0x400
	v_lshl_add_u32 v13, v1, 5, v2
	v_add_u32_e32 v2, s6, v9
	v_lshrrev_b32_e32 v4, 5, v4
	v_mov_b32_e32 v5, v3
	v_lshlrev_b32_e32 v10, 2, v9
	v_ashrrev_i32_e32 v8, 31, v2
	v_lshl_or_b32 v10, v4, 7, v10
	v_mul_lo_u32 v8, s16, v8
	v_mad_u64_u32 v[4:5], s[0:1], s16, v2, v[4:5]
	v_mul_lo_u32 v2, s17, v2
	s_mul_i32 s2, s19, s8
	s_mul_hi_u32 s3, s18, s8
	s_add_i32 s1, s3, s2
	s_mul_i32 s0, s18, s8
	s_lshl_b64 s[0:1], s[0:1], 2
	v_add3_u32 v5, v2, v5, v8
	v_lshlrev_b64 v[4:5], 2, v[4:5]
	s_add_u32 s0, s14, s0
	s_addc_u32 s1, s15, s1
	v_mov_b32_e32 v2, s1
	v_add_co_u32_e32 v4, vcc, s0, v4
	s_mul_i32 s0, s25, s8
	s_mul_hi_u32 s1, s24, s8
	s_add_i32 s1, s1, s0
	s_mul_i32 s0, s24, s8
	s_lshl_b64 s[0:1], s[0:1], 2
	v_lshlrev_b64 v[6:7], 2, v[6:7]
	s_add_u32 s0, s20, s0
	v_addc_co_u32_e32 v5, vcc, v2, v5, vcc
	s_addc_u32 s1, s21, s1
	v_mov_b32_e32 v2, s1
	v_add_co_u32_e32 v6, vcc, s0, v6
	v_lshlrev_b32_e32 v12, 2, v0
	v_addc_co_u32_e32 v7, vcc, v2, v7, vcc
	s_mov_b64 s[2:3], 0
	v_mov_b32_e32 v2, v3
	v_mov_b32_e32 v8, v3
	;; [unrolled: 1-line block ×3, first 2 shown]
.LBB926_2:                              ; =>This Inner Loop Header: Depth=1
	global_load_dword v14, v[4:5], off
	global_load_dword v15, v[6:7], off
	s_add_u32 s2, s2, 8
	s_addc_u32 s3, s3, 0
	v_add_co_u32_e64 v4, s[0:1], 32, v4
	v_addc_co_u32_e64 v5, s[0:1], 0, v5, s[0:1]
	v_add_co_u32_e64 v6, s[0:1], 32, v6
	v_addc_co_u32_e64 v7, s[0:1], 0, v7, s[0:1]
	s_waitcnt vmcnt(1)
	ds_write_b32 v10, v14
	s_waitcnt vmcnt(0)
	ds_write_b32 v11, v15
	s_waitcnt lgkmcnt(0)
	s_barrier
	ds_read2_b32 v[26:27], v12 offset1:16
	ds_read_b128 v[14:17], v13
	ds_read2_b32 v[28:29], v12 offset0:32 offset1:48
	ds_read2_b32 v[30:31], v12 offset0:64 offset1:80
	ds_read_b128 v[18:21], v13 offset:16
	ds_read2_b32 v[32:33], v12 offset0:96 offset1:112
	s_waitcnt lgkmcnt(4)
	v_fmac_f32_e32 v9, v26, v14
	v_fmac_f32_e32 v8, v27, v14
	s_waitcnt lgkmcnt(3)
	v_fmac_f32_e32 v9, v28, v15
	v_fmac_f32_e32 v8, v29, v15
	v_mov_b32_e32 v15, s3
	s_waitcnt lgkmcnt(2)
	v_fmac_f32_e32 v9, v30, v16
	v_fmac_f32_e32 v8, v31, v16
	v_mov_b32_e32 v14, s2
	s_waitcnt lgkmcnt(0)
	v_fmac_f32_e32 v9, v32, v17
	v_fmac_f32_e32 v8, v33, v17
	v_cmp_le_u64_e32 vcc, s[12:13], v[14:15]
	ds_read_b128 v[14:17], v13 offset:512
	ds_read_b128 v[22:25], v13 offset:528
	s_and_b64 vcc, exec, vcc
	s_waitcnt lgkmcnt(1)
	v_fmac_f32_e32 v2, v26, v14
	v_fmac_f32_e32 v3, v27, v14
	;; [unrolled: 1-line block ×8, first 2 shown]
	ds_read2_b32 v[14:15], v12 offset0:128 offset1:144
	ds_read2_b32 v[16:17], v12 offset0:160 offset1:176
	;; [unrolled: 1-line block ×3, first 2 shown]
	s_waitcnt lgkmcnt(2)
	v_fmac_f32_e32 v9, v14, v18
	v_fmac_f32_e32 v8, v15, v18
	;; [unrolled: 1-line block ×4, first 2 shown]
	ds_read2_b32 v[14:15], v12 offset0:224 offset1:240
	s_waitcnt lgkmcnt(2)
	v_fmac_f32_e32 v9, v16, v19
	v_fmac_f32_e32 v8, v17, v19
	v_fmac_f32_e32 v2, v16, v23
	v_fmac_f32_e32 v3, v17, v23
	s_waitcnt lgkmcnt(1)
	v_fmac_f32_e32 v9, v26, v20
	v_fmac_f32_e32 v8, v27, v20
	v_fmac_f32_e32 v2, v26, v24
	v_fmac_f32_e32 v3, v27, v24
	;; [unrolled: 5-line block ×3, first 2 shown]
	s_barrier
	s_cbranch_vccz .LBB926_2
	s_branch .LBB926_4
.LBB926_3:
	v_mov_b32_e32 v9, 0
	v_mov_b32_e32 v8, 0
	;; [unrolled: 1-line block ×4, first 2 shown]
.LBB926_4:
	s_load_dwordx4 s[12:15], s[4:5], 0x48
	s_load_dword s9, s[4:5], 0x0
	v_add_u32_e32 v6, s7, v1
	v_ashrrev_i32_e32 v1, 31, v6
	v_add_u32_e32 v0, s6, v0
	s_waitcnt lgkmcnt(0)
	s_mul_i32 s1, s15, s8
	s_mul_hi_u32 s2, s14, s8
	s_add_i32 s1, s2, s1
	v_mul_lo_u32 v1, s12, v1
	v_mul_lo_u32 v7, s13, v6
	v_mad_u64_u32 v[4:5], s[2:3], s12, v6, 0
	s_mul_i32 s0, s14, s8
	s_lshl_b64 s[0:1], s[0:1], 2
	v_add3_u32 v5, v5, v1, v7
	s_add_u32 s7, s26, s0
	v_lshlrev_b64 v[4:5], 2, v[4:5]
	s_addc_u32 s8, s27, s1
	v_mov_b32_e32 v1, s8
	v_add_co_u32_e32 v7, vcc, s7, v4
	v_addc_co_u32_e32 v10, vcc, v1, v5, vcc
	v_cmp_le_i32_e64 s[0:1], v6, v0
	v_cmp_gt_i32_e32 vcc, s9, v0
	s_and_b64 s[0:1], s[0:1], vcc
	s_and_saveexec_b64 s[2:3], s[0:1]
	s_cbranch_execz .LBB926_6
; %bb.5:
	v_ashrrev_i32_e32 v1, 31, v0
	v_lshlrev_b64 v[4:5], 2, v[0:1]
	v_add_co_u32_e64 v4, s[0:1], v7, v4
	v_addc_co_u32_e64 v5, s[0:1], v10, v5, s[0:1]
	global_load_dword v1, v[4:5], off
	s_waitcnt vmcnt(0)
	v_add_f32_e32 v1, v9, v1
	global_store_dword v[4:5], v1, off
.LBB926_6:
	s_or_b64 exec, exec, s[2:3]
	v_add_u32_e32 v4, 16, v0
	v_cmp_le_i32_e64 s[2:3], v6, v4
	v_cmp_gt_i32_e64 s[0:1], s9, v4
	s_and_b64 s[2:3], s[2:3], s[0:1]
	s_and_saveexec_b64 s[4:5], s[2:3]
	s_cbranch_execz .LBB926_8
; %bb.7:
	v_ashrrev_i32_e32 v5, 31, v4
	v_lshlrev_b64 v[11:12], 2, v[4:5]
	v_add_co_u32_e64 v9, s[2:3], v7, v11
	v_addc_co_u32_e64 v10, s[2:3], v10, v12, s[2:3]
	global_load_dword v1, v[9:10], off
	s_waitcnt vmcnt(0)
	v_add_f32_e32 v1, v8, v1
	global_store_dword v[9:10], v1, off
.LBB926_8:
	s_or_b64 exec, exec, s[4:5]
	v_add_u32_e32 v5, 16, v6
	v_ashrrev_i32_e32 v1, 31, v5
	v_mul_lo_u32 v8, s13, v5
	v_mad_u64_u32 v[6:7], s[2:3], s12, v5, 0
	v_mul_lo_u32 v1, s12, v1
	v_add3_u32 v7, v7, v1, v8
	v_lshlrev_b64 v[6:7], 2, v[6:7]
	v_mov_b32_e32 v1, s8
	v_add_co_u32_e64 v6, s[2:3], s7, v6
	v_addc_co_u32_e64 v7, s[2:3], v1, v7, s[2:3]
	v_cmp_le_i32_e64 s[2:3], v5, v0
	s_and_b64 s[4:5], s[2:3], vcc
	s_and_saveexec_b64 s[2:3], s[4:5]
	s_cbranch_execz .LBB926_10
; %bb.9:
	v_ashrrev_i32_e32 v1, 31, v0
	v_lshlrev_b64 v[0:1], 2, v[0:1]
	v_add_co_u32_e32 v0, vcc, v6, v0
	v_addc_co_u32_e32 v1, vcc, v7, v1, vcc
	global_load_dword v8, v[0:1], off
	s_waitcnt vmcnt(0)
	v_add_f32_e32 v2, v2, v8
	global_store_dword v[0:1], v2, off
.LBB926_10:
	s_or_b64 exec, exec, s[2:3]
	v_cmp_le_i32_e32 vcc, v5, v4
	s_and_b64 s[0:1], vcc, s[0:1]
	s_and_saveexec_b64 s[2:3], s[0:1]
	s_cbranch_execz .LBB926_12
; %bb.11:
	v_ashrrev_i32_e32 v5, 31, v4
	v_lshlrev_b64 v[0:1], 2, v[4:5]
	v_add_co_u32_e32 v0, vcc, v6, v0
	v_addc_co_u32_e32 v1, vcc, v7, v1, vcc
	global_load_dword v2, v[0:1], off
	s_waitcnt vmcnt(0)
	v_add_f32_e32 v2, v3, v2
	global_store_dword v[0:1], v2, off
.LBB926_12:
	s_endpgm
	.section	.rodata,"a",@progbits
	.p2align	6, 0x0
	.amdhsa_kernel _ZL37rocblas_syrkx_herkx_restricted_kernelIlfLi16ELi32ELi8ELi1ELi1ELb0ELc84ELc76EKffEviT_PT9_S1_lS3_S1_lPT10_S1_li
		.amdhsa_group_segment_fixed_size 2048
		.amdhsa_private_segment_fixed_size 0
		.amdhsa_kernarg_size 92
		.amdhsa_user_sgpr_count 6
		.amdhsa_user_sgpr_private_segment_buffer 1
		.amdhsa_user_sgpr_dispatch_ptr 0
		.amdhsa_user_sgpr_queue_ptr 0
		.amdhsa_user_sgpr_kernarg_segment_ptr 1
		.amdhsa_user_sgpr_dispatch_id 0
		.amdhsa_user_sgpr_flat_scratch_init 0
		.amdhsa_user_sgpr_private_segment_size 0
		.amdhsa_uses_dynamic_stack 0
		.amdhsa_system_sgpr_private_segment_wavefront_offset 0
		.amdhsa_system_sgpr_workgroup_id_x 1
		.amdhsa_system_sgpr_workgroup_id_y 1
		.amdhsa_system_sgpr_workgroup_id_z 1
		.amdhsa_system_sgpr_workgroup_info 0
		.amdhsa_system_vgpr_workitem_id 1
		.amdhsa_next_free_vgpr 34
		.amdhsa_next_free_sgpr 28
		.amdhsa_reserve_vcc 1
		.amdhsa_reserve_flat_scratch 0
		.amdhsa_float_round_mode_32 0
		.amdhsa_float_round_mode_16_64 0
		.amdhsa_float_denorm_mode_32 3
		.amdhsa_float_denorm_mode_16_64 3
		.amdhsa_dx10_clamp 1
		.amdhsa_ieee_mode 1
		.amdhsa_fp16_overflow 0
		.amdhsa_exception_fp_ieee_invalid_op 0
		.amdhsa_exception_fp_denorm_src 0
		.amdhsa_exception_fp_ieee_div_zero 0
		.amdhsa_exception_fp_ieee_overflow 0
		.amdhsa_exception_fp_ieee_underflow 0
		.amdhsa_exception_fp_ieee_inexact 0
		.amdhsa_exception_int_div_zero 0
	.end_amdhsa_kernel
	.section	.text._ZL37rocblas_syrkx_herkx_restricted_kernelIlfLi16ELi32ELi8ELi1ELi1ELb0ELc84ELc76EKffEviT_PT9_S1_lS3_S1_lPT10_S1_li,"axG",@progbits,_ZL37rocblas_syrkx_herkx_restricted_kernelIlfLi16ELi32ELi8ELi1ELi1ELb0ELc84ELc76EKffEviT_PT9_S1_lS3_S1_lPT10_S1_li,comdat
.Lfunc_end926:
	.size	_ZL37rocblas_syrkx_herkx_restricted_kernelIlfLi16ELi32ELi8ELi1ELi1ELb0ELc84ELc76EKffEviT_PT9_S1_lS3_S1_lPT10_S1_li, .Lfunc_end926-_ZL37rocblas_syrkx_herkx_restricted_kernelIlfLi16ELi32ELi8ELi1ELi1ELb0ELc84ELc76EKffEviT_PT9_S1_lS3_S1_lPT10_S1_li
                                        ; -- End function
	.set _ZL37rocblas_syrkx_herkx_restricted_kernelIlfLi16ELi32ELi8ELi1ELi1ELb0ELc84ELc76EKffEviT_PT9_S1_lS3_S1_lPT10_S1_li.num_vgpr, 34
	.set _ZL37rocblas_syrkx_herkx_restricted_kernelIlfLi16ELi32ELi8ELi1ELi1ELb0ELc84ELc76EKffEviT_PT9_S1_lS3_S1_lPT10_S1_li.num_agpr, 0
	.set _ZL37rocblas_syrkx_herkx_restricted_kernelIlfLi16ELi32ELi8ELi1ELi1ELb0ELc84ELc76EKffEviT_PT9_S1_lS3_S1_lPT10_S1_li.numbered_sgpr, 28
	.set _ZL37rocblas_syrkx_herkx_restricted_kernelIlfLi16ELi32ELi8ELi1ELi1ELb0ELc84ELc76EKffEviT_PT9_S1_lS3_S1_lPT10_S1_li.num_named_barrier, 0
	.set _ZL37rocblas_syrkx_herkx_restricted_kernelIlfLi16ELi32ELi8ELi1ELi1ELb0ELc84ELc76EKffEviT_PT9_S1_lS3_S1_lPT10_S1_li.private_seg_size, 0
	.set _ZL37rocblas_syrkx_herkx_restricted_kernelIlfLi16ELi32ELi8ELi1ELi1ELb0ELc84ELc76EKffEviT_PT9_S1_lS3_S1_lPT10_S1_li.uses_vcc, 1
	.set _ZL37rocblas_syrkx_herkx_restricted_kernelIlfLi16ELi32ELi8ELi1ELi1ELb0ELc84ELc76EKffEviT_PT9_S1_lS3_S1_lPT10_S1_li.uses_flat_scratch, 0
	.set _ZL37rocblas_syrkx_herkx_restricted_kernelIlfLi16ELi32ELi8ELi1ELi1ELb0ELc84ELc76EKffEviT_PT9_S1_lS3_S1_lPT10_S1_li.has_dyn_sized_stack, 0
	.set _ZL37rocblas_syrkx_herkx_restricted_kernelIlfLi16ELi32ELi8ELi1ELi1ELb0ELc84ELc76EKffEviT_PT9_S1_lS3_S1_lPT10_S1_li.has_recursion, 0
	.set _ZL37rocblas_syrkx_herkx_restricted_kernelIlfLi16ELi32ELi8ELi1ELi1ELb0ELc84ELc76EKffEviT_PT9_S1_lS3_S1_lPT10_S1_li.has_indirect_call, 0
	.section	.AMDGPU.csdata,"",@progbits
; Kernel info:
; codeLenInByte = 1184
; TotalNumSgprs: 32
; NumVgprs: 34
; ScratchSize: 0
; MemoryBound: 0
; FloatMode: 240
; IeeeMode: 1
; LDSByteSize: 2048 bytes/workgroup (compile time only)
; SGPRBlocks: 3
; VGPRBlocks: 8
; NumSGPRsForWavesPerEU: 32
; NumVGPRsForWavesPerEU: 34
; Occupancy: 7
; WaveLimiterHint : 1
; COMPUTE_PGM_RSRC2:SCRATCH_EN: 0
; COMPUTE_PGM_RSRC2:USER_SGPR: 6
; COMPUTE_PGM_RSRC2:TRAP_HANDLER: 0
; COMPUTE_PGM_RSRC2:TGID_X_EN: 1
; COMPUTE_PGM_RSRC2:TGID_Y_EN: 1
; COMPUTE_PGM_RSRC2:TGID_Z_EN: 1
; COMPUTE_PGM_RSRC2:TIDIG_COMP_CNT: 1
	.section	.text._ZL37rocblas_syrkx_herkx_restricted_kernelIlfLi16ELi32ELi8ELi1ELi1ELb0ELc67ELc76EKffEviT_PT9_S1_lS3_S1_lPT10_S1_li,"axG",@progbits,_ZL37rocblas_syrkx_herkx_restricted_kernelIlfLi16ELi32ELi8ELi1ELi1ELb0ELc67ELc76EKffEviT_PT9_S1_lS3_S1_lPT10_S1_li,comdat
	.globl	_ZL37rocblas_syrkx_herkx_restricted_kernelIlfLi16ELi32ELi8ELi1ELi1ELb0ELc67ELc76EKffEviT_PT9_S1_lS3_S1_lPT10_S1_li ; -- Begin function _ZL37rocblas_syrkx_herkx_restricted_kernelIlfLi16ELi32ELi8ELi1ELi1ELb0ELc67ELc76EKffEviT_PT9_S1_lS3_S1_lPT10_S1_li
	.p2align	8
	.type	_ZL37rocblas_syrkx_herkx_restricted_kernelIlfLi16ELi32ELi8ELi1ELi1ELb0ELc67ELc76EKffEviT_PT9_S1_lS3_S1_lPT10_S1_li,@function
_ZL37rocblas_syrkx_herkx_restricted_kernelIlfLi16ELi32ELi8ELi1ELi1ELb0ELc67ELc76EKffEviT_PT9_S1_lS3_S1_lPT10_S1_li: ; @_ZL37rocblas_syrkx_herkx_restricted_kernelIlfLi16ELi32ELi8ELi1ELi1ELb0ELc67ELc76EKffEviT_PT9_S1_lS3_S1_lPT10_S1_li
; %bb.0:
	s_load_dwordx16 s[12:27], s[4:5], 0x8
	s_lshl_b32 s6, s6, 5
	s_lshl_b32 s7, s7, 5
	s_waitcnt lgkmcnt(0)
	v_cmp_lt_i64_e64 s[0:1], s[12:13], 1
	s_and_b64 vcc, exec, s[0:1]
	s_cbranch_vccnz .LBB927_3
; %bb.1:
	v_lshl_add_u32 v4, v1, 4, v0
	v_lshrrev_b32_e32 v8, 3, v4
	v_add_u32_e32 v5, s7, v8
	v_ashrrev_i32_e32 v6, 31, v5
	v_and_b32_e32 v2, 7, v0
	v_mov_b32_e32 v3, 0
	v_mul_lo_u32 v9, s22, v6
	v_mul_lo_u32 v10, s23, v5
	v_mad_u64_u32 v[6:7], s[0:1], s22, v5, v[2:3]
	v_lshlrev_b32_e32 v2, 2, v2
	v_lshl_or_b32 v2, v8, 5, v2
	v_add3_u32 v7, v10, v7, v9
	v_and_b32_e32 v9, 31, v4
	v_add_u32_e32 v11, 0x400, v2
	v_mov_b32_e32 v2, 0x400
	v_lshl_add_u32 v13, v1, 5, v2
	v_add_u32_e32 v2, s6, v9
	v_lshrrev_b32_e32 v4, 5, v4
	v_mov_b32_e32 v5, v3
	v_lshlrev_b32_e32 v10, 2, v9
	v_ashrrev_i32_e32 v8, 31, v2
	v_lshl_or_b32 v10, v4, 7, v10
	v_mul_lo_u32 v8, s16, v8
	v_mad_u64_u32 v[4:5], s[0:1], s16, v2, v[4:5]
	v_mul_lo_u32 v2, s17, v2
	s_mul_i32 s2, s19, s8
	s_mul_hi_u32 s3, s18, s8
	s_add_i32 s1, s3, s2
	s_mul_i32 s0, s18, s8
	s_lshl_b64 s[0:1], s[0:1], 2
	v_add3_u32 v5, v2, v5, v8
	v_lshlrev_b64 v[4:5], 2, v[4:5]
	s_add_u32 s0, s14, s0
	s_addc_u32 s1, s15, s1
	v_mov_b32_e32 v2, s1
	v_add_co_u32_e32 v4, vcc, s0, v4
	s_mul_i32 s0, s25, s8
	s_mul_hi_u32 s1, s24, s8
	s_add_i32 s1, s1, s0
	s_mul_i32 s0, s24, s8
	s_lshl_b64 s[0:1], s[0:1], 2
	v_lshlrev_b64 v[6:7], 2, v[6:7]
	s_add_u32 s0, s20, s0
	v_addc_co_u32_e32 v5, vcc, v2, v5, vcc
	s_addc_u32 s1, s21, s1
	v_mov_b32_e32 v2, s1
	v_add_co_u32_e32 v6, vcc, s0, v6
	v_lshlrev_b32_e32 v12, 2, v0
	v_addc_co_u32_e32 v7, vcc, v2, v7, vcc
	s_mov_b64 s[2:3], 0
	v_mov_b32_e32 v2, v3
	v_mov_b32_e32 v8, v3
	;; [unrolled: 1-line block ×3, first 2 shown]
.LBB927_2:                              ; =>This Inner Loop Header: Depth=1
	global_load_dword v14, v[4:5], off
	global_load_dword v15, v[6:7], off
	s_add_u32 s2, s2, 8
	s_addc_u32 s3, s3, 0
	v_add_co_u32_e64 v4, s[0:1], 32, v4
	v_addc_co_u32_e64 v5, s[0:1], 0, v5, s[0:1]
	v_add_co_u32_e64 v6, s[0:1], 32, v6
	v_addc_co_u32_e64 v7, s[0:1], 0, v7, s[0:1]
	s_waitcnt vmcnt(1)
	ds_write_b32 v10, v14
	s_waitcnt vmcnt(0)
	ds_write_b32 v11, v15
	s_waitcnt lgkmcnt(0)
	s_barrier
	ds_read2_b32 v[26:27], v12 offset1:16
	ds_read_b128 v[14:17], v13
	ds_read2_b32 v[28:29], v12 offset0:32 offset1:48
	ds_read2_b32 v[30:31], v12 offset0:64 offset1:80
	ds_read_b128 v[18:21], v13 offset:16
	ds_read2_b32 v[32:33], v12 offset0:96 offset1:112
	s_waitcnt lgkmcnt(4)
	v_fmac_f32_e32 v9, v26, v14
	v_fmac_f32_e32 v8, v27, v14
	s_waitcnt lgkmcnt(3)
	v_fmac_f32_e32 v9, v28, v15
	v_fmac_f32_e32 v8, v29, v15
	v_mov_b32_e32 v15, s3
	s_waitcnt lgkmcnt(2)
	v_fmac_f32_e32 v9, v30, v16
	v_fmac_f32_e32 v8, v31, v16
	v_mov_b32_e32 v14, s2
	s_waitcnt lgkmcnt(0)
	v_fmac_f32_e32 v9, v32, v17
	v_fmac_f32_e32 v8, v33, v17
	v_cmp_le_u64_e32 vcc, s[12:13], v[14:15]
	ds_read_b128 v[14:17], v13 offset:512
	ds_read_b128 v[22:25], v13 offset:528
	s_and_b64 vcc, exec, vcc
	s_waitcnt lgkmcnt(1)
	v_fmac_f32_e32 v2, v26, v14
	v_fmac_f32_e32 v3, v27, v14
	;; [unrolled: 1-line block ×8, first 2 shown]
	ds_read2_b32 v[14:15], v12 offset0:128 offset1:144
	ds_read2_b32 v[16:17], v12 offset0:160 offset1:176
	;; [unrolled: 1-line block ×3, first 2 shown]
	s_waitcnt lgkmcnt(2)
	v_fmac_f32_e32 v9, v14, v18
	v_fmac_f32_e32 v8, v15, v18
	;; [unrolled: 1-line block ×4, first 2 shown]
	ds_read2_b32 v[14:15], v12 offset0:224 offset1:240
	s_waitcnt lgkmcnt(2)
	v_fmac_f32_e32 v9, v16, v19
	v_fmac_f32_e32 v8, v17, v19
	v_fmac_f32_e32 v2, v16, v23
	v_fmac_f32_e32 v3, v17, v23
	s_waitcnt lgkmcnt(1)
	v_fmac_f32_e32 v9, v26, v20
	v_fmac_f32_e32 v8, v27, v20
	v_fmac_f32_e32 v2, v26, v24
	v_fmac_f32_e32 v3, v27, v24
	;; [unrolled: 5-line block ×3, first 2 shown]
	s_barrier
	s_cbranch_vccz .LBB927_2
	s_branch .LBB927_4
.LBB927_3:
	v_mov_b32_e32 v9, 0
	v_mov_b32_e32 v8, 0
	;; [unrolled: 1-line block ×4, first 2 shown]
.LBB927_4:
	s_load_dwordx4 s[12:15], s[4:5], 0x48
	s_load_dword s9, s[4:5], 0x0
	v_add_u32_e32 v6, s7, v1
	v_ashrrev_i32_e32 v1, 31, v6
	v_add_u32_e32 v0, s6, v0
	s_waitcnt lgkmcnt(0)
	s_mul_i32 s1, s15, s8
	s_mul_hi_u32 s2, s14, s8
	s_add_i32 s1, s2, s1
	v_mul_lo_u32 v1, s12, v1
	v_mul_lo_u32 v7, s13, v6
	v_mad_u64_u32 v[4:5], s[2:3], s12, v6, 0
	s_mul_i32 s0, s14, s8
	s_lshl_b64 s[0:1], s[0:1], 2
	v_add3_u32 v5, v5, v1, v7
	s_add_u32 s7, s26, s0
	v_lshlrev_b64 v[4:5], 2, v[4:5]
	s_addc_u32 s8, s27, s1
	v_mov_b32_e32 v1, s8
	v_add_co_u32_e32 v7, vcc, s7, v4
	v_addc_co_u32_e32 v10, vcc, v1, v5, vcc
	v_cmp_le_i32_e64 s[0:1], v6, v0
	v_cmp_gt_i32_e32 vcc, s9, v0
	s_and_b64 s[0:1], s[0:1], vcc
	s_and_saveexec_b64 s[2:3], s[0:1]
	s_cbranch_execz .LBB927_6
; %bb.5:
	v_ashrrev_i32_e32 v1, 31, v0
	v_lshlrev_b64 v[4:5], 2, v[0:1]
	v_add_co_u32_e64 v4, s[0:1], v7, v4
	v_addc_co_u32_e64 v5, s[0:1], v10, v5, s[0:1]
	global_load_dword v1, v[4:5], off
	s_waitcnt vmcnt(0)
	v_add_f32_e32 v1, v9, v1
	global_store_dword v[4:5], v1, off
.LBB927_6:
	s_or_b64 exec, exec, s[2:3]
	v_add_u32_e32 v4, 16, v0
	v_cmp_le_i32_e64 s[2:3], v6, v4
	v_cmp_gt_i32_e64 s[0:1], s9, v4
	s_and_b64 s[2:3], s[2:3], s[0:1]
	s_and_saveexec_b64 s[4:5], s[2:3]
	s_cbranch_execz .LBB927_8
; %bb.7:
	v_ashrrev_i32_e32 v5, 31, v4
	v_lshlrev_b64 v[11:12], 2, v[4:5]
	v_add_co_u32_e64 v9, s[2:3], v7, v11
	v_addc_co_u32_e64 v10, s[2:3], v10, v12, s[2:3]
	global_load_dword v1, v[9:10], off
	s_waitcnt vmcnt(0)
	v_add_f32_e32 v1, v8, v1
	global_store_dword v[9:10], v1, off
.LBB927_8:
	s_or_b64 exec, exec, s[4:5]
	v_add_u32_e32 v5, 16, v6
	v_ashrrev_i32_e32 v1, 31, v5
	v_mul_lo_u32 v8, s13, v5
	v_mad_u64_u32 v[6:7], s[2:3], s12, v5, 0
	v_mul_lo_u32 v1, s12, v1
	v_add3_u32 v7, v7, v1, v8
	v_lshlrev_b64 v[6:7], 2, v[6:7]
	v_mov_b32_e32 v1, s8
	v_add_co_u32_e64 v6, s[2:3], s7, v6
	v_addc_co_u32_e64 v7, s[2:3], v1, v7, s[2:3]
	v_cmp_le_i32_e64 s[2:3], v5, v0
	s_and_b64 s[4:5], s[2:3], vcc
	s_and_saveexec_b64 s[2:3], s[4:5]
	s_cbranch_execz .LBB927_10
; %bb.9:
	v_ashrrev_i32_e32 v1, 31, v0
	v_lshlrev_b64 v[0:1], 2, v[0:1]
	v_add_co_u32_e32 v0, vcc, v6, v0
	v_addc_co_u32_e32 v1, vcc, v7, v1, vcc
	global_load_dword v8, v[0:1], off
	s_waitcnt vmcnt(0)
	v_add_f32_e32 v2, v2, v8
	global_store_dword v[0:1], v2, off
.LBB927_10:
	s_or_b64 exec, exec, s[2:3]
	v_cmp_le_i32_e32 vcc, v5, v4
	s_and_b64 s[0:1], vcc, s[0:1]
	s_and_saveexec_b64 s[2:3], s[0:1]
	s_cbranch_execz .LBB927_12
; %bb.11:
	v_ashrrev_i32_e32 v5, 31, v4
	v_lshlrev_b64 v[0:1], 2, v[4:5]
	v_add_co_u32_e32 v0, vcc, v6, v0
	v_addc_co_u32_e32 v1, vcc, v7, v1, vcc
	global_load_dword v2, v[0:1], off
	s_waitcnt vmcnt(0)
	v_add_f32_e32 v2, v3, v2
	global_store_dword v[0:1], v2, off
.LBB927_12:
	s_endpgm
	.section	.rodata,"a",@progbits
	.p2align	6, 0x0
	.amdhsa_kernel _ZL37rocblas_syrkx_herkx_restricted_kernelIlfLi16ELi32ELi8ELi1ELi1ELb0ELc67ELc76EKffEviT_PT9_S1_lS3_S1_lPT10_S1_li
		.amdhsa_group_segment_fixed_size 2048
		.amdhsa_private_segment_fixed_size 0
		.amdhsa_kernarg_size 92
		.amdhsa_user_sgpr_count 6
		.amdhsa_user_sgpr_private_segment_buffer 1
		.amdhsa_user_sgpr_dispatch_ptr 0
		.amdhsa_user_sgpr_queue_ptr 0
		.amdhsa_user_sgpr_kernarg_segment_ptr 1
		.amdhsa_user_sgpr_dispatch_id 0
		.amdhsa_user_sgpr_flat_scratch_init 0
		.amdhsa_user_sgpr_private_segment_size 0
		.amdhsa_uses_dynamic_stack 0
		.amdhsa_system_sgpr_private_segment_wavefront_offset 0
		.amdhsa_system_sgpr_workgroup_id_x 1
		.amdhsa_system_sgpr_workgroup_id_y 1
		.amdhsa_system_sgpr_workgroup_id_z 1
		.amdhsa_system_sgpr_workgroup_info 0
		.amdhsa_system_vgpr_workitem_id 1
		.amdhsa_next_free_vgpr 34
		.amdhsa_next_free_sgpr 28
		.amdhsa_reserve_vcc 1
		.amdhsa_reserve_flat_scratch 0
		.amdhsa_float_round_mode_32 0
		.amdhsa_float_round_mode_16_64 0
		.amdhsa_float_denorm_mode_32 3
		.amdhsa_float_denorm_mode_16_64 3
		.amdhsa_dx10_clamp 1
		.amdhsa_ieee_mode 1
		.amdhsa_fp16_overflow 0
		.amdhsa_exception_fp_ieee_invalid_op 0
		.amdhsa_exception_fp_denorm_src 0
		.amdhsa_exception_fp_ieee_div_zero 0
		.amdhsa_exception_fp_ieee_overflow 0
		.amdhsa_exception_fp_ieee_underflow 0
		.amdhsa_exception_fp_ieee_inexact 0
		.amdhsa_exception_int_div_zero 0
	.end_amdhsa_kernel
	.section	.text._ZL37rocblas_syrkx_herkx_restricted_kernelIlfLi16ELi32ELi8ELi1ELi1ELb0ELc67ELc76EKffEviT_PT9_S1_lS3_S1_lPT10_S1_li,"axG",@progbits,_ZL37rocblas_syrkx_herkx_restricted_kernelIlfLi16ELi32ELi8ELi1ELi1ELb0ELc67ELc76EKffEviT_PT9_S1_lS3_S1_lPT10_S1_li,comdat
.Lfunc_end927:
	.size	_ZL37rocblas_syrkx_herkx_restricted_kernelIlfLi16ELi32ELi8ELi1ELi1ELb0ELc67ELc76EKffEviT_PT9_S1_lS3_S1_lPT10_S1_li, .Lfunc_end927-_ZL37rocblas_syrkx_herkx_restricted_kernelIlfLi16ELi32ELi8ELi1ELi1ELb0ELc67ELc76EKffEviT_PT9_S1_lS3_S1_lPT10_S1_li
                                        ; -- End function
	.set _ZL37rocblas_syrkx_herkx_restricted_kernelIlfLi16ELi32ELi8ELi1ELi1ELb0ELc67ELc76EKffEviT_PT9_S1_lS3_S1_lPT10_S1_li.num_vgpr, 34
	.set _ZL37rocblas_syrkx_herkx_restricted_kernelIlfLi16ELi32ELi8ELi1ELi1ELb0ELc67ELc76EKffEviT_PT9_S1_lS3_S1_lPT10_S1_li.num_agpr, 0
	.set _ZL37rocblas_syrkx_herkx_restricted_kernelIlfLi16ELi32ELi8ELi1ELi1ELb0ELc67ELc76EKffEviT_PT9_S1_lS3_S1_lPT10_S1_li.numbered_sgpr, 28
	.set _ZL37rocblas_syrkx_herkx_restricted_kernelIlfLi16ELi32ELi8ELi1ELi1ELb0ELc67ELc76EKffEviT_PT9_S1_lS3_S1_lPT10_S1_li.num_named_barrier, 0
	.set _ZL37rocblas_syrkx_herkx_restricted_kernelIlfLi16ELi32ELi8ELi1ELi1ELb0ELc67ELc76EKffEviT_PT9_S1_lS3_S1_lPT10_S1_li.private_seg_size, 0
	.set _ZL37rocblas_syrkx_herkx_restricted_kernelIlfLi16ELi32ELi8ELi1ELi1ELb0ELc67ELc76EKffEviT_PT9_S1_lS3_S1_lPT10_S1_li.uses_vcc, 1
	.set _ZL37rocblas_syrkx_herkx_restricted_kernelIlfLi16ELi32ELi8ELi1ELi1ELb0ELc67ELc76EKffEviT_PT9_S1_lS3_S1_lPT10_S1_li.uses_flat_scratch, 0
	.set _ZL37rocblas_syrkx_herkx_restricted_kernelIlfLi16ELi32ELi8ELi1ELi1ELb0ELc67ELc76EKffEviT_PT9_S1_lS3_S1_lPT10_S1_li.has_dyn_sized_stack, 0
	.set _ZL37rocblas_syrkx_herkx_restricted_kernelIlfLi16ELi32ELi8ELi1ELi1ELb0ELc67ELc76EKffEviT_PT9_S1_lS3_S1_lPT10_S1_li.has_recursion, 0
	.set _ZL37rocblas_syrkx_herkx_restricted_kernelIlfLi16ELi32ELi8ELi1ELi1ELb0ELc67ELc76EKffEviT_PT9_S1_lS3_S1_lPT10_S1_li.has_indirect_call, 0
	.section	.AMDGPU.csdata,"",@progbits
; Kernel info:
; codeLenInByte = 1184
; TotalNumSgprs: 32
; NumVgprs: 34
; ScratchSize: 0
; MemoryBound: 0
; FloatMode: 240
; IeeeMode: 1
; LDSByteSize: 2048 bytes/workgroup (compile time only)
; SGPRBlocks: 3
; VGPRBlocks: 8
; NumSGPRsForWavesPerEU: 32
; NumVGPRsForWavesPerEU: 34
; Occupancy: 7
; WaveLimiterHint : 1
; COMPUTE_PGM_RSRC2:SCRATCH_EN: 0
; COMPUTE_PGM_RSRC2:USER_SGPR: 6
; COMPUTE_PGM_RSRC2:TRAP_HANDLER: 0
; COMPUTE_PGM_RSRC2:TGID_X_EN: 1
; COMPUTE_PGM_RSRC2:TGID_Y_EN: 1
; COMPUTE_PGM_RSRC2:TGID_Z_EN: 1
; COMPUTE_PGM_RSRC2:TIDIG_COMP_CNT: 1
	.section	.text._ZL37rocblas_syrkx_herkx_restricted_kernelIlfLi16ELi32ELi8ELi1ELi1ELb0ELc78ELc76EKffEviT_PT9_S1_lS3_S1_lPT10_S1_li,"axG",@progbits,_ZL37rocblas_syrkx_herkx_restricted_kernelIlfLi16ELi32ELi8ELi1ELi1ELb0ELc78ELc76EKffEviT_PT9_S1_lS3_S1_lPT10_S1_li,comdat
	.globl	_ZL37rocblas_syrkx_herkx_restricted_kernelIlfLi16ELi32ELi8ELi1ELi1ELb0ELc78ELc76EKffEviT_PT9_S1_lS3_S1_lPT10_S1_li ; -- Begin function _ZL37rocblas_syrkx_herkx_restricted_kernelIlfLi16ELi32ELi8ELi1ELi1ELb0ELc78ELc76EKffEviT_PT9_S1_lS3_S1_lPT10_S1_li
	.p2align	8
	.type	_ZL37rocblas_syrkx_herkx_restricted_kernelIlfLi16ELi32ELi8ELi1ELi1ELb0ELc78ELc76EKffEviT_PT9_S1_lS3_S1_lPT10_S1_li,@function
_ZL37rocblas_syrkx_herkx_restricted_kernelIlfLi16ELi32ELi8ELi1ELi1ELb0ELc78ELc76EKffEviT_PT9_S1_lS3_S1_lPT10_S1_li: ; @_ZL37rocblas_syrkx_herkx_restricted_kernelIlfLi16ELi32ELi8ELi1ELi1ELb0ELc78ELc76EKffEviT_PT9_S1_lS3_S1_lPT10_S1_li
; %bb.0:
	s_load_dwordx16 s[12:27], s[4:5], 0x8
	s_lshl_b32 s9, s6, 5
	s_lshl_b32 s28, s7, 5
	s_waitcnt lgkmcnt(0)
	v_cmp_lt_i64_e64 s[0:1], s[12:13], 1
	s_and_b64 vcc, exec, s[0:1]
	s_cbranch_vccnz .LBB928_3
; %bb.1:
	v_lshl_add_u32 v7, v1, 4, v0
	v_lshrrev_b32_e32 v8, 3, v7
	v_add_u32_e32 v2, s28, v8
	v_and_b32_e32 v6, 7, v0
	v_ashrrev_i32_e32 v3, 31, v2
	v_mad_u64_u32 v[4:5], s[0:1], s22, v6, v[2:3]
	v_lshrrev_b32_e32 v9, 5, v7
	s_mul_i32 s2, s19, s8
	v_mov_b32_e32 v2, v5
	v_mad_u64_u32 v[2:3], s[0:1], s23, v6, v[2:3]
	v_and_b32_e32 v3, 31, v7
	v_lshlrev_b32_e32 v7, 2, v3
	v_mov_b32_e32 v5, v2
	v_lshlrev_b32_e32 v2, 2, v6
	v_lshl_or_b32 v2, v8, 5, v2
	v_add_u32_e32 v11, 0x400, v2
	v_add_u32_e32 v2, s9, v3
	v_ashrrev_i32_e32 v3, 31, v2
	v_mad_u64_u32 v[2:3], s[0:1], s16, v9, v[2:3]
	v_mov_b32_e32 v6, 0x400
	v_lshl_or_b32 v10, v9, 7, v7
	v_lshl_add_u32 v13, v1, 5, v6
	v_mad_u64_u32 v[6:7], s[0:1], s17, v9, v[3:4]
	s_mul_hi_u32 s3, s18, s8
	s_add_i32 s1, s3, s2
	s_mul_i32 s0, s18, s8
	s_lshl_b64 s[0:1], s[0:1], 2
	v_mov_b32_e32 v3, v6
	v_lshlrev_b64 v[2:3], 2, v[2:3]
	s_add_u32 s0, s14, s0
	s_addc_u32 s1, s15, s1
	v_mov_b32_e32 v6, s1
	v_add_co_u32_e32 v2, vcc, s0, v2
	s_mul_i32 s0, s25, s8
	s_mul_hi_u32 s1, s24, s8
	s_add_i32 s1, s1, s0
	s_mul_i32 s0, s24, s8
	s_lshl_b64 s[2:3], s[16:17], 5
	s_lshl_b64 s[0:1], s[0:1], 2
	v_lshlrev_b64 v[4:5], 2, v[4:5]
	s_add_u32 s0, s20, s0
	v_addc_co_u32_e32 v3, vcc, v6, v3, vcc
	s_addc_u32 s1, s21, s1
	v_mov_b32_e32 v6, s1
	v_add_co_u32_e32 v4, vcc, s0, v4
	v_lshlrev_b32_e32 v12, 2, v0
	v_addc_co_u32_e32 v5, vcc, v6, v5, vcc
	s_lshl_b64 s[6:7], s[22:23], 5
	v_mov_b32_e32 v6, 0
	s_mov_b64 s[10:11], 0
	v_mov_b32_e32 v7, 0
	v_mov_b32_e32 v8, 0
	v_mov_b32_e32 v9, 0
.LBB928_2:                              ; =>This Inner Loop Header: Depth=1
	global_load_dword v16, v[2:3], off
	global_load_dword v17, v[4:5], off
	s_add_u32 s10, s10, 8
	s_addc_u32 s11, s11, 0
	v_mov_b32_e32 v15, s11
	v_mov_b32_e32 v14, s10
	v_cmp_le_u64_e32 vcc, s[12:13], v[14:15]
	v_add_co_u32_e64 v2, s[0:1], s2, v2
	s_and_b64 vcc, exec, vcc
	s_waitcnt vmcnt(1)
	ds_write_b32 v10, v16
	s_waitcnt vmcnt(0)
	ds_write_b32 v11, v17
	s_waitcnt lgkmcnt(0)
	s_barrier
	ds_read2_b32 v[26:27], v12 offset1:16
	ds_read_b128 v[14:17], v13
	ds_read2_b32 v[28:29], v12 offset0:32 offset1:48
	ds_read2_b32 v[30:31], v12 offset0:64 offset1:80
	;; [unrolled: 1-line block ×3, first 2 shown]
	ds_read_b128 v[18:21], v13 offset:16
	s_waitcnt lgkmcnt(4)
	v_fmac_f32_e32 v9, v26, v14
	v_fmac_f32_e32 v8, v27, v14
	s_waitcnt lgkmcnt(3)
	v_fmac_f32_e32 v9, v28, v15
	v_fmac_f32_e32 v8, v29, v15
	;; [unrolled: 3-line block ×4, first 2 shown]
	ds_read_b128 v[14:17], v13 offset:512
	ds_read_b128 v[22:25], v13 offset:528
	s_waitcnt lgkmcnt(1)
	v_fmac_f32_e32 v7, v26, v14
	v_fmac_f32_e32 v6, v27, v14
	v_mov_b32_e32 v14, s3
	v_addc_co_u32_e64 v3, s[0:1], v3, v14, s[0:1]
	v_mov_b32_e32 v14, s7
	v_add_co_u32_e64 v4, s[0:1], s6, v4
	v_fmac_f32_e32 v7, v28, v15
	v_fmac_f32_e32 v6, v29, v15
	v_addc_co_u32_e64 v5, s[0:1], v5, v14, s[0:1]
	ds_read2_b32 v[14:15], v12 offset0:128 offset1:144
	v_fmac_f32_e32 v7, v30, v16
	v_fmac_f32_e32 v6, v31, v16
	;; [unrolled: 1-line block ×4, first 2 shown]
	ds_read2_b32 v[16:17], v12 offset0:160 offset1:176
	ds_read2_b32 v[26:27], v12 offset0:192 offset1:208
	;; [unrolled: 1-line block ×3, first 2 shown]
	s_waitcnt lgkmcnt(3)
	v_fmac_f32_e32 v9, v14, v18
	v_fmac_f32_e32 v8, v15, v18
	v_fmac_f32_e32 v7, v14, v22
	v_fmac_f32_e32 v6, v15, v22
	s_waitcnt lgkmcnt(2)
	v_fmac_f32_e32 v9, v16, v19
	v_fmac_f32_e32 v8, v17, v19
	v_fmac_f32_e32 v7, v16, v23
	v_fmac_f32_e32 v6, v17, v23
	;; [unrolled: 5-line block ×4, first 2 shown]
	s_barrier
	s_cbranch_vccz .LBB928_2
	s_branch .LBB928_4
.LBB928_3:
	v_mov_b32_e32 v9, 0
	v_mov_b32_e32 v8, 0
	;; [unrolled: 1-line block ×4, first 2 shown]
.LBB928_4:
	s_load_dwordx4 s[12:15], s[4:5], 0x48
	s_load_dword s10, s[4:5], 0x0
	v_add_u32_e32 v4, s28, v1
	v_ashrrev_i32_e32 v1, 31, v4
	v_add_u32_e32 v0, s9, v0
	s_waitcnt lgkmcnt(0)
	s_mul_i32 s1, s15, s8
	s_mul_hi_u32 s2, s14, s8
	s_add_i32 s1, s2, s1
	v_mul_lo_u32 v3, s12, v1
	v_mul_lo_u32 v5, s13, v4
	v_mad_u64_u32 v[1:2], s[2:3], s12, v4, 0
	s_mul_i32 s0, s14, s8
	s_lshl_b64 s[0:1], s[0:1], 2
	v_add3_u32 v2, v2, v3, v5
	s_add_u32 s6, s26, s0
	v_lshlrev_b64 v[1:2], 2, v[1:2]
	s_addc_u32 s7, s27, s1
	v_mov_b32_e32 v3, s7
	v_add_co_u32_e32 v5, vcc, s6, v1
	v_addc_co_u32_e32 v10, vcc, v3, v2, vcc
	v_cmp_le_i32_e64 s[0:1], v4, v0
	v_cmp_gt_i32_e32 vcc, s10, v0
	s_and_b64 s[0:1], s[0:1], vcc
	s_and_saveexec_b64 s[2:3], s[0:1]
	s_cbranch_execz .LBB928_6
; %bb.5:
	v_ashrrev_i32_e32 v1, 31, v0
	v_lshlrev_b64 v[1:2], 2, v[0:1]
	v_add_co_u32_e64 v1, s[0:1], v5, v1
	v_addc_co_u32_e64 v2, s[0:1], v10, v2, s[0:1]
	global_load_dword v3, v[1:2], off
	s_waitcnt vmcnt(0)
	v_add_f32_e32 v3, v9, v3
	global_store_dword v[1:2], v3, off
.LBB928_6:
	s_or_b64 exec, exec, s[2:3]
	v_add_u32_e32 v2, 16, v0
	v_cmp_le_i32_e64 s[2:3], v4, v2
	v_cmp_gt_i32_e64 s[0:1], s10, v2
	s_and_b64 s[2:3], s[2:3], s[0:1]
	s_and_saveexec_b64 s[4:5], s[2:3]
	s_cbranch_execz .LBB928_8
; %bb.7:
	v_ashrrev_i32_e32 v3, 31, v2
	v_lshlrev_b64 v[11:12], 2, v[2:3]
	v_add_co_u32_e64 v9, s[2:3], v5, v11
	v_addc_co_u32_e64 v10, s[2:3], v10, v12, s[2:3]
	global_load_dword v1, v[9:10], off
	s_waitcnt vmcnt(0)
	v_add_f32_e32 v1, v8, v1
	global_store_dword v[9:10], v1, off
.LBB928_8:
	s_or_b64 exec, exec, s[4:5]
	v_add_u32_e32 v3, 16, v4
	v_ashrrev_i32_e32 v1, 31, v3
	v_mul_lo_u32 v8, s13, v3
	v_mad_u64_u32 v[4:5], s[2:3], s12, v3, 0
	v_mul_lo_u32 v1, s12, v1
	v_add3_u32 v5, v5, v1, v8
	v_lshlrev_b64 v[4:5], 2, v[4:5]
	v_mov_b32_e32 v1, s7
	v_add_co_u32_e64 v4, s[2:3], s6, v4
	v_addc_co_u32_e64 v5, s[2:3], v1, v5, s[2:3]
	v_cmp_le_i32_e64 s[2:3], v3, v0
	s_and_b64 s[4:5], s[2:3], vcc
	s_and_saveexec_b64 s[2:3], s[4:5]
	s_cbranch_execz .LBB928_10
; %bb.9:
	v_ashrrev_i32_e32 v1, 31, v0
	v_lshlrev_b64 v[0:1], 2, v[0:1]
	v_add_co_u32_e32 v0, vcc, v4, v0
	v_addc_co_u32_e32 v1, vcc, v5, v1, vcc
	global_load_dword v8, v[0:1], off
	s_waitcnt vmcnt(0)
	v_add_f32_e32 v7, v7, v8
	global_store_dword v[0:1], v7, off
.LBB928_10:
	s_or_b64 exec, exec, s[2:3]
	v_cmp_le_i32_e32 vcc, v3, v2
	s_and_b64 s[0:1], vcc, s[0:1]
	s_and_saveexec_b64 s[2:3], s[0:1]
	s_cbranch_execz .LBB928_12
; %bb.11:
	v_ashrrev_i32_e32 v3, 31, v2
	v_lshlrev_b64 v[0:1], 2, v[2:3]
	v_add_co_u32_e32 v0, vcc, v4, v0
	v_addc_co_u32_e32 v1, vcc, v5, v1, vcc
	global_load_dword v2, v[0:1], off
	s_waitcnt vmcnt(0)
	v_add_f32_e32 v2, v6, v2
	global_store_dword v[0:1], v2, off
.LBB928_12:
	s_endpgm
	.section	.rodata,"a",@progbits
	.p2align	6, 0x0
	.amdhsa_kernel _ZL37rocblas_syrkx_herkx_restricted_kernelIlfLi16ELi32ELi8ELi1ELi1ELb0ELc78ELc76EKffEviT_PT9_S1_lS3_S1_lPT10_S1_li
		.amdhsa_group_segment_fixed_size 2048
		.amdhsa_private_segment_fixed_size 0
		.amdhsa_kernarg_size 92
		.amdhsa_user_sgpr_count 6
		.amdhsa_user_sgpr_private_segment_buffer 1
		.amdhsa_user_sgpr_dispatch_ptr 0
		.amdhsa_user_sgpr_queue_ptr 0
		.amdhsa_user_sgpr_kernarg_segment_ptr 1
		.amdhsa_user_sgpr_dispatch_id 0
		.amdhsa_user_sgpr_flat_scratch_init 0
		.amdhsa_user_sgpr_private_segment_size 0
		.amdhsa_uses_dynamic_stack 0
		.amdhsa_system_sgpr_private_segment_wavefront_offset 0
		.amdhsa_system_sgpr_workgroup_id_x 1
		.amdhsa_system_sgpr_workgroup_id_y 1
		.amdhsa_system_sgpr_workgroup_id_z 1
		.amdhsa_system_sgpr_workgroup_info 0
		.amdhsa_system_vgpr_workitem_id 1
		.amdhsa_next_free_vgpr 34
		.amdhsa_next_free_sgpr 29
		.amdhsa_reserve_vcc 1
		.amdhsa_reserve_flat_scratch 0
		.amdhsa_float_round_mode_32 0
		.amdhsa_float_round_mode_16_64 0
		.amdhsa_float_denorm_mode_32 3
		.amdhsa_float_denorm_mode_16_64 3
		.amdhsa_dx10_clamp 1
		.amdhsa_ieee_mode 1
		.amdhsa_fp16_overflow 0
		.amdhsa_exception_fp_ieee_invalid_op 0
		.amdhsa_exception_fp_denorm_src 0
		.amdhsa_exception_fp_ieee_div_zero 0
		.amdhsa_exception_fp_ieee_overflow 0
		.amdhsa_exception_fp_ieee_underflow 0
		.amdhsa_exception_fp_ieee_inexact 0
		.amdhsa_exception_int_div_zero 0
	.end_amdhsa_kernel
	.section	.text._ZL37rocblas_syrkx_herkx_restricted_kernelIlfLi16ELi32ELi8ELi1ELi1ELb0ELc78ELc76EKffEviT_PT9_S1_lS3_S1_lPT10_S1_li,"axG",@progbits,_ZL37rocblas_syrkx_herkx_restricted_kernelIlfLi16ELi32ELi8ELi1ELi1ELb0ELc78ELc76EKffEviT_PT9_S1_lS3_S1_lPT10_S1_li,comdat
.Lfunc_end928:
	.size	_ZL37rocblas_syrkx_herkx_restricted_kernelIlfLi16ELi32ELi8ELi1ELi1ELb0ELc78ELc76EKffEviT_PT9_S1_lS3_S1_lPT10_S1_li, .Lfunc_end928-_ZL37rocblas_syrkx_herkx_restricted_kernelIlfLi16ELi32ELi8ELi1ELi1ELb0ELc78ELc76EKffEviT_PT9_S1_lS3_S1_lPT10_S1_li
                                        ; -- End function
	.set _ZL37rocblas_syrkx_herkx_restricted_kernelIlfLi16ELi32ELi8ELi1ELi1ELb0ELc78ELc76EKffEviT_PT9_S1_lS3_S1_lPT10_S1_li.num_vgpr, 34
	.set _ZL37rocblas_syrkx_herkx_restricted_kernelIlfLi16ELi32ELi8ELi1ELi1ELb0ELc78ELc76EKffEviT_PT9_S1_lS3_S1_lPT10_S1_li.num_agpr, 0
	.set _ZL37rocblas_syrkx_herkx_restricted_kernelIlfLi16ELi32ELi8ELi1ELi1ELb0ELc78ELc76EKffEviT_PT9_S1_lS3_S1_lPT10_S1_li.numbered_sgpr, 29
	.set _ZL37rocblas_syrkx_herkx_restricted_kernelIlfLi16ELi32ELi8ELi1ELi1ELb0ELc78ELc76EKffEviT_PT9_S1_lS3_S1_lPT10_S1_li.num_named_barrier, 0
	.set _ZL37rocblas_syrkx_herkx_restricted_kernelIlfLi16ELi32ELi8ELi1ELi1ELb0ELc78ELc76EKffEviT_PT9_S1_lS3_S1_lPT10_S1_li.private_seg_size, 0
	.set _ZL37rocblas_syrkx_herkx_restricted_kernelIlfLi16ELi32ELi8ELi1ELi1ELb0ELc78ELc76EKffEviT_PT9_S1_lS3_S1_lPT10_S1_li.uses_vcc, 1
	.set _ZL37rocblas_syrkx_herkx_restricted_kernelIlfLi16ELi32ELi8ELi1ELi1ELb0ELc78ELc76EKffEviT_PT9_S1_lS3_S1_lPT10_S1_li.uses_flat_scratch, 0
	.set _ZL37rocblas_syrkx_herkx_restricted_kernelIlfLi16ELi32ELi8ELi1ELi1ELb0ELc78ELc76EKffEviT_PT9_S1_lS3_S1_lPT10_S1_li.has_dyn_sized_stack, 0
	.set _ZL37rocblas_syrkx_herkx_restricted_kernelIlfLi16ELi32ELi8ELi1ELi1ELb0ELc78ELc76EKffEviT_PT9_S1_lS3_S1_lPT10_S1_li.has_recursion, 0
	.set _ZL37rocblas_syrkx_herkx_restricted_kernelIlfLi16ELi32ELi8ELi1ELi1ELb0ELc78ELc76EKffEviT_PT9_S1_lS3_S1_lPT10_S1_li.has_indirect_call, 0
	.section	.AMDGPU.csdata,"",@progbits
; Kernel info:
; codeLenInByte = 1176
; TotalNumSgprs: 33
; NumVgprs: 34
; ScratchSize: 0
; MemoryBound: 0
; FloatMode: 240
; IeeeMode: 1
; LDSByteSize: 2048 bytes/workgroup (compile time only)
; SGPRBlocks: 4
; VGPRBlocks: 8
; NumSGPRsForWavesPerEU: 33
; NumVGPRsForWavesPerEU: 34
; Occupancy: 7
; WaveLimiterHint : 1
; COMPUTE_PGM_RSRC2:SCRATCH_EN: 0
; COMPUTE_PGM_RSRC2:USER_SGPR: 6
; COMPUTE_PGM_RSRC2:TRAP_HANDLER: 0
; COMPUTE_PGM_RSRC2:TGID_X_EN: 1
; COMPUTE_PGM_RSRC2:TGID_Y_EN: 1
; COMPUTE_PGM_RSRC2:TGID_Z_EN: 1
; COMPUTE_PGM_RSRC2:TIDIG_COMP_CNT: 1
	.section	.text._ZL37rocblas_syrkx_herkx_restricted_kernelIlfLi16ELi32ELi8ELi1ELi1ELb0ELc84ELc85EKffEviT_PT9_S1_lS3_S1_lPT10_S1_li,"axG",@progbits,_ZL37rocblas_syrkx_herkx_restricted_kernelIlfLi16ELi32ELi8ELi1ELi1ELb0ELc84ELc85EKffEviT_PT9_S1_lS3_S1_lPT10_S1_li,comdat
	.globl	_ZL37rocblas_syrkx_herkx_restricted_kernelIlfLi16ELi32ELi8ELi1ELi1ELb0ELc84ELc85EKffEviT_PT9_S1_lS3_S1_lPT10_S1_li ; -- Begin function _ZL37rocblas_syrkx_herkx_restricted_kernelIlfLi16ELi32ELi8ELi1ELi1ELb0ELc84ELc85EKffEviT_PT9_S1_lS3_S1_lPT10_S1_li
	.p2align	8
	.type	_ZL37rocblas_syrkx_herkx_restricted_kernelIlfLi16ELi32ELi8ELi1ELi1ELb0ELc84ELc85EKffEviT_PT9_S1_lS3_S1_lPT10_S1_li,@function
_ZL37rocblas_syrkx_herkx_restricted_kernelIlfLi16ELi32ELi8ELi1ELi1ELb0ELc84ELc85EKffEviT_PT9_S1_lS3_S1_lPT10_S1_li: ; @_ZL37rocblas_syrkx_herkx_restricted_kernelIlfLi16ELi32ELi8ELi1ELi1ELb0ELc84ELc85EKffEviT_PT9_S1_lS3_S1_lPT10_S1_li
; %bb.0:
	s_load_dwordx16 s[12:27], s[4:5], 0x8
	s_lshl_b32 s6, s6, 5
	s_lshl_b32 s7, s7, 5
	s_waitcnt lgkmcnt(0)
	v_cmp_lt_i64_e64 s[0:1], s[12:13], 1
	s_and_b64 vcc, exec, s[0:1]
	s_cbranch_vccnz .LBB929_3
; %bb.1:
	v_lshl_add_u32 v4, v1, 4, v0
	v_lshrrev_b32_e32 v8, 3, v4
	v_add_u32_e32 v5, s7, v8
	v_ashrrev_i32_e32 v6, 31, v5
	v_and_b32_e32 v2, 7, v0
	v_mov_b32_e32 v3, 0
	v_mul_lo_u32 v9, s22, v6
	v_mul_lo_u32 v10, s23, v5
	v_mad_u64_u32 v[6:7], s[0:1], s22, v5, v[2:3]
	v_lshlrev_b32_e32 v2, 2, v2
	v_lshl_or_b32 v2, v8, 5, v2
	v_add3_u32 v7, v10, v7, v9
	v_and_b32_e32 v9, 31, v4
	v_add_u32_e32 v11, 0x400, v2
	v_mov_b32_e32 v2, 0x400
	v_lshl_add_u32 v13, v1, 5, v2
	v_add_u32_e32 v2, s6, v9
	v_lshrrev_b32_e32 v4, 5, v4
	v_mov_b32_e32 v5, v3
	v_lshlrev_b32_e32 v10, 2, v9
	v_ashrrev_i32_e32 v8, 31, v2
	v_lshl_or_b32 v10, v4, 7, v10
	v_mul_lo_u32 v8, s16, v8
	v_mad_u64_u32 v[4:5], s[0:1], s16, v2, v[4:5]
	v_mul_lo_u32 v2, s17, v2
	s_mul_i32 s2, s19, s8
	s_mul_hi_u32 s3, s18, s8
	s_add_i32 s1, s3, s2
	s_mul_i32 s0, s18, s8
	s_lshl_b64 s[0:1], s[0:1], 2
	v_add3_u32 v5, v2, v5, v8
	v_lshlrev_b64 v[4:5], 2, v[4:5]
	s_add_u32 s0, s14, s0
	s_addc_u32 s1, s15, s1
	v_mov_b32_e32 v2, s1
	v_add_co_u32_e32 v4, vcc, s0, v4
	s_mul_i32 s0, s25, s8
	s_mul_hi_u32 s1, s24, s8
	s_add_i32 s1, s1, s0
	s_mul_i32 s0, s24, s8
	s_lshl_b64 s[0:1], s[0:1], 2
	v_lshlrev_b64 v[6:7], 2, v[6:7]
	s_add_u32 s0, s20, s0
	v_addc_co_u32_e32 v5, vcc, v2, v5, vcc
	s_addc_u32 s1, s21, s1
	v_mov_b32_e32 v2, s1
	v_add_co_u32_e32 v6, vcc, s0, v6
	v_lshlrev_b32_e32 v12, 2, v0
	v_addc_co_u32_e32 v7, vcc, v2, v7, vcc
	s_mov_b64 s[2:3], 0
	v_mov_b32_e32 v2, v3
	v_mov_b32_e32 v8, v3
	;; [unrolled: 1-line block ×3, first 2 shown]
.LBB929_2:                              ; =>This Inner Loop Header: Depth=1
	global_load_dword v14, v[4:5], off
	global_load_dword v15, v[6:7], off
	s_add_u32 s2, s2, 8
	s_addc_u32 s3, s3, 0
	v_add_co_u32_e64 v4, s[0:1], 32, v4
	v_addc_co_u32_e64 v5, s[0:1], 0, v5, s[0:1]
	v_add_co_u32_e64 v6, s[0:1], 32, v6
	v_addc_co_u32_e64 v7, s[0:1], 0, v7, s[0:1]
	s_waitcnt vmcnt(1)
	ds_write_b32 v10, v14
	s_waitcnt vmcnt(0)
	ds_write_b32 v11, v15
	s_waitcnt lgkmcnt(0)
	s_barrier
	ds_read2_b32 v[26:27], v12 offset1:16
	ds_read_b128 v[14:17], v13
	ds_read2_b32 v[28:29], v12 offset0:32 offset1:48
	ds_read2_b32 v[30:31], v12 offset0:64 offset1:80
	ds_read_b128 v[18:21], v13 offset:16
	ds_read2_b32 v[32:33], v12 offset0:96 offset1:112
	s_waitcnt lgkmcnt(4)
	v_fmac_f32_e32 v9, v26, v14
	v_fmac_f32_e32 v8, v27, v14
	s_waitcnt lgkmcnt(3)
	v_fmac_f32_e32 v9, v28, v15
	v_fmac_f32_e32 v8, v29, v15
	v_mov_b32_e32 v15, s3
	s_waitcnt lgkmcnt(2)
	v_fmac_f32_e32 v9, v30, v16
	v_fmac_f32_e32 v8, v31, v16
	v_mov_b32_e32 v14, s2
	s_waitcnt lgkmcnt(0)
	v_fmac_f32_e32 v9, v32, v17
	v_fmac_f32_e32 v8, v33, v17
	v_cmp_le_u64_e32 vcc, s[12:13], v[14:15]
	ds_read_b128 v[14:17], v13 offset:512
	ds_read_b128 v[22:25], v13 offset:528
	s_and_b64 vcc, exec, vcc
	s_waitcnt lgkmcnt(1)
	v_fmac_f32_e32 v2, v26, v14
	v_fmac_f32_e32 v3, v27, v14
	;; [unrolled: 1-line block ×8, first 2 shown]
	ds_read2_b32 v[14:15], v12 offset0:128 offset1:144
	ds_read2_b32 v[16:17], v12 offset0:160 offset1:176
	;; [unrolled: 1-line block ×3, first 2 shown]
	s_waitcnt lgkmcnt(2)
	v_fmac_f32_e32 v9, v14, v18
	v_fmac_f32_e32 v8, v15, v18
	;; [unrolled: 1-line block ×4, first 2 shown]
	ds_read2_b32 v[14:15], v12 offset0:224 offset1:240
	s_waitcnt lgkmcnt(2)
	v_fmac_f32_e32 v9, v16, v19
	v_fmac_f32_e32 v8, v17, v19
	v_fmac_f32_e32 v2, v16, v23
	v_fmac_f32_e32 v3, v17, v23
	s_waitcnt lgkmcnt(1)
	v_fmac_f32_e32 v9, v26, v20
	v_fmac_f32_e32 v8, v27, v20
	v_fmac_f32_e32 v2, v26, v24
	v_fmac_f32_e32 v3, v27, v24
	;; [unrolled: 5-line block ×3, first 2 shown]
	s_barrier
	s_cbranch_vccz .LBB929_2
	s_branch .LBB929_4
.LBB929_3:
	v_mov_b32_e32 v9, 0
	v_mov_b32_e32 v8, 0
	;; [unrolled: 1-line block ×4, first 2 shown]
.LBB929_4:
	s_load_dwordx4 s[12:15], s[4:5], 0x48
	s_load_dword s9, s[4:5], 0x0
	v_add_u32_e32 v6, s7, v1
	v_ashrrev_i32_e32 v1, 31, v6
	v_add_u32_e32 v0, s6, v0
	s_waitcnt lgkmcnt(0)
	s_mul_i32 s1, s15, s8
	s_mul_hi_u32 s2, s14, s8
	s_add_i32 s1, s2, s1
	v_mul_lo_u32 v1, s12, v1
	v_mul_lo_u32 v7, s13, v6
	v_mad_u64_u32 v[4:5], s[2:3], s12, v6, 0
	s_mul_i32 s0, s14, s8
	s_lshl_b64 s[0:1], s[0:1], 2
	v_add3_u32 v5, v5, v1, v7
	s_add_u32 s4, s26, s0
	v_lshlrev_b64 v[4:5], 2, v[4:5]
	s_addc_u32 s5, s27, s1
	v_mov_b32_e32 v1, s5
	v_add_co_u32_e64 v7, s[0:1], s4, v4
	v_addc_co_u32_e64 v10, s[0:1], v1, v5, s[0:1]
	v_cmp_gt_i32_e32 vcc, s9, v6
	v_cmp_le_i32_e64 s[0:1], v0, v6
	s_and_b64 s[0:1], vcc, s[0:1]
	s_and_saveexec_b64 s[2:3], s[0:1]
	s_cbranch_execz .LBB929_6
; %bb.5:
	v_ashrrev_i32_e32 v1, 31, v0
	v_lshlrev_b64 v[4:5], 2, v[0:1]
	v_add_co_u32_e64 v4, s[0:1], v7, v4
	v_addc_co_u32_e64 v5, s[0:1], v10, v5, s[0:1]
	global_load_dword v1, v[4:5], off
	s_waitcnt vmcnt(0)
	v_add_f32_e32 v1, v9, v1
	global_store_dword v[4:5], v1, off
.LBB929_6:
	s_or_b64 exec, exec, s[2:3]
	v_add_u32_e32 v4, 16, v0
	v_cmp_le_i32_e64 s[0:1], v4, v6
	s_and_b64 s[2:3], vcc, s[0:1]
	s_and_saveexec_b64 s[0:1], s[2:3]
	s_cbranch_execz .LBB929_8
; %bb.7:
	v_ashrrev_i32_e32 v5, 31, v4
	v_lshlrev_b64 v[11:12], 2, v[4:5]
	v_add_co_u32_e32 v9, vcc, v7, v11
	v_addc_co_u32_e32 v10, vcc, v10, v12, vcc
	global_load_dword v1, v[9:10], off
	s_waitcnt vmcnt(0)
	v_add_f32_e32 v1, v8, v1
	global_store_dword v[9:10], v1, off
.LBB929_8:
	s_or_b64 exec, exec, s[0:1]
	v_add_u32_e32 v5, 16, v6
	v_ashrrev_i32_e32 v1, 31, v5
	v_mul_lo_u32 v1, s12, v1
	v_mul_lo_u32 v8, s13, v5
	v_mad_u64_u32 v[6:7], s[0:1], s12, v5, 0
	v_cmp_gt_i32_e32 vcc, s9, v5
	v_add3_u32 v7, v7, v1, v8
	v_lshlrev_b64 v[6:7], 2, v[6:7]
	v_mov_b32_e32 v1, s5
	v_add_co_u32_e64 v6, s[0:1], s4, v6
	v_addc_co_u32_e64 v7, s[0:1], v1, v7, s[0:1]
	v_cmp_le_i32_e64 s[0:1], v0, v5
	s_and_b64 s[0:1], vcc, s[0:1]
	s_and_saveexec_b64 s[2:3], s[0:1]
	s_cbranch_execz .LBB929_10
; %bb.9:
	v_ashrrev_i32_e32 v1, 31, v0
	v_lshlrev_b64 v[0:1], 2, v[0:1]
	v_add_co_u32_e64 v0, s[0:1], v6, v0
	v_addc_co_u32_e64 v1, s[0:1], v7, v1, s[0:1]
	global_load_dword v8, v[0:1], off
	s_waitcnt vmcnt(0)
	v_add_f32_e32 v2, v2, v8
	global_store_dword v[0:1], v2, off
.LBB929_10:
	s_or_b64 exec, exec, s[2:3]
	v_cmp_le_i32_e64 s[0:1], v4, v5
	s_and_b64 s[0:1], vcc, s[0:1]
	s_and_saveexec_b64 s[2:3], s[0:1]
	s_cbranch_execz .LBB929_12
; %bb.11:
	v_ashrrev_i32_e32 v5, 31, v4
	v_lshlrev_b64 v[0:1], 2, v[4:5]
	v_add_co_u32_e32 v0, vcc, v6, v0
	v_addc_co_u32_e32 v1, vcc, v7, v1, vcc
	global_load_dword v2, v[0:1], off
	s_waitcnt vmcnt(0)
	v_add_f32_e32 v2, v3, v2
	global_store_dword v[0:1], v2, off
.LBB929_12:
	s_endpgm
	.section	.rodata,"a",@progbits
	.p2align	6, 0x0
	.amdhsa_kernel _ZL37rocblas_syrkx_herkx_restricted_kernelIlfLi16ELi32ELi8ELi1ELi1ELb0ELc84ELc85EKffEviT_PT9_S1_lS3_S1_lPT10_S1_li
		.amdhsa_group_segment_fixed_size 2048
		.amdhsa_private_segment_fixed_size 0
		.amdhsa_kernarg_size 92
		.amdhsa_user_sgpr_count 6
		.amdhsa_user_sgpr_private_segment_buffer 1
		.amdhsa_user_sgpr_dispatch_ptr 0
		.amdhsa_user_sgpr_queue_ptr 0
		.amdhsa_user_sgpr_kernarg_segment_ptr 1
		.amdhsa_user_sgpr_dispatch_id 0
		.amdhsa_user_sgpr_flat_scratch_init 0
		.amdhsa_user_sgpr_private_segment_size 0
		.amdhsa_uses_dynamic_stack 0
		.amdhsa_system_sgpr_private_segment_wavefront_offset 0
		.amdhsa_system_sgpr_workgroup_id_x 1
		.amdhsa_system_sgpr_workgroup_id_y 1
		.amdhsa_system_sgpr_workgroup_id_z 1
		.amdhsa_system_sgpr_workgroup_info 0
		.amdhsa_system_vgpr_workitem_id 1
		.amdhsa_next_free_vgpr 34
		.amdhsa_next_free_sgpr 28
		.amdhsa_reserve_vcc 1
		.amdhsa_reserve_flat_scratch 0
		.amdhsa_float_round_mode_32 0
		.amdhsa_float_round_mode_16_64 0
		.amdhsa_float_denorm_mode_32 3
		.amdhsa_float_denorm_mode_16_64 3
		.amdhsa_dx10_clamp 1
		.amdhsa_ieee_mode 1
		.amdhsa_fp16_overflow 0
		.amdhsa_exception_fp_ieee_invalid_op 0
		.amdhsa_exception_fp_denorm_src 0
		.amdhsa_exception_fp_ieee_div_zero 0
		.amdhsa_exception_fp_ieee_overflow 0
		.amdhsa_exception_fp_ieee_underflow 0
		.amdhsa_exception_fp_ieee_inexact 0
		.amdhsa_exception_int_div_zero 0
	.end_amdhsa_kernel
	.section	.text._ZL37rocblas_syrkx_herkx_restricted_kernelIlfLi16ELi32ELi8ELi1ELi1ELb0ELc84ELc85EKffEviT_PT9_S1_lS3_S1_lPT10_S1_li,"axG",@progbits,_ZL37rocblas_syrkx_herkx_restricted_kernelIlfLi16ELi32ELi8ELi1ELi1ELb0ELc84ELc85EKffEviT_PT9_S1_lS3_S1_lPT10_S1_li,comdat
.Lfunc_end929:
	.size	_ZL37rocblas_syrkx_herkx_restricted_kernelIlfLi16ELi32ELi8ELi1ELi1ELb0ELc84ELc85EKffEviT_PT9_S1_lS3_S1_lPT10_S1_li, .Lfunc_end929-_ZL37rocblas_syrkx_herkx_restricted_kernelIlfLi16ELi32ELi8ELi1ELi1ELb0ELc84ELc85EKffEviT_PT9_S1_lS3_S1_lPT10_S1_li
                                        ; -- End function
	.set _ZL37rocblas_syrkx_herkx_restricted_kernelIlfLi16ELi32ELi8ELi1ELi1ELb0ELc84ELc85EKffEviT_PT9_S1_lS3_S1_lPT10_S1_li.num_vgpr, 34
	.set _ZL37rocblas_syrkx_herkx_restricted_kernelIlfLi16ELi32ELi8ELi1ELi1ELb0ELc84ELc85EKffEviT_PT9_S1_lS3_S1_lPT10_S1_li.num_agpr, 0
	.set _ZL37rocblas_syrkx_herkx_restricted_kernelIlfLi16ELi32ELi8ELi1ELi1ELb0ELc84ELc85EKffEviT_PT9_S1_lS3_S1_lPT10_S1_li.numbered_sgpr, 28
	.set _ZL37rocblas_syrkx_herkx_restricted_kernelIlfLi16ELi32ELi8ELi1ELi1ELb0ELc84ELc85EKffEviT_PT9_S1_lS3_S1_lPT10_S1_li.num_named_barrier, 0
	.set _ZL37rocblas_syrkx_herkx_restricted_kernelIlfLi16ELi32ELi8ELi1ELi1ELb0ELc84ELc85EKffEviT_PT9_S1_lS3_S1_lPT10_S1_li.private_seg_size, 0
	.set _ZL37rocblas_syrkx_herkx_restricted_kernelIlfLi16ELi32ELi8ELi1ELi1ELb0ELc84ELc85EKffEviT_PT9_S1_lS3_S1_lPT10_S1_li.uses_vcc, 1
	.set _ZL37rocblas_syrkx_herkx_restricted_kernelIlfLi16ELi32ELi8ELi1ELi1ELb0ELc84ELc85EKffEviT_PT9_S1_lS3_S1_lPT10_S1_li.uses_flat_scratch, 0
	.set _ZL37rocblas_syrkx_herkx_restricted_kernelIlfLi16ELi32ELi8ELi1ELi1ELb0ELc84ELc85EKffEviT_PT9_S1_lS3_S1_lPT10_S1_li.has_dyn_sized_stack, 0
	.set _ZL37rocblas_syrkx_herkx_restricted_kernelIlfLi16ELi32ELi8ELi1ELi1ELb0ELc84ELc85EKffEviT_PT9_S1_lS3_S1_lPT10_S1_li.has_recursion, 0
	.set _ZL37rocblas_syrkx_herkx_restricted_kernelIlfLi16ELi32ELi8ELi1ELi1ELb0ELc84ELc85EKffEviT_PT9_S1_lS3_S1_lPT10_S1_li.has_indirect_call, 0
	.section	.AMDGPU.csdata,"",@progbits
; Kernel info:
; codeLenInByte = 1192
; TotalNumSgprs: 32
; NumVgprs: 34
; ScratchSize: 0
; MemoryBound: 0
; FloatMode: 240
; IeeeMode: 1
; LDSByteSize: 2048 bytes/workgroup (compile time only)
; SGPRBlocks: 3
; VGPRBlocks: 8
; NumSGPRsForWavesPerEU: 32
; NumVGPRsForWavesPerEU: 34
; Occupancy: 7
; WaveLimiterHint : 1
; COMPUTE_PGM_RSRC2:SCRATCH_EN: 0
; COMPUTE_PGM_RSRC2:USER_SGPR: 6
; COMPUTE_PGM_RSRC2:TRAP_HANDLER: 0
; COMPUTE_PGM_RSRC2:TGID_X_EN: 1
; COMPUTE_PGM_RSRC2:TGID_Y_EN: 1
; COMPUTE_PGM_RSRC2:TGID_Z_EN: 1
; COMPUTE_PGM_RSRC2:TIDIG_COMP_CNT: 1
	.section	.text._ZL37rocblas_syrkx_herkx_restricted_kernelIlfLi16ELi32ELi8ELi1ELi1ELb0ELc67ELc85EKffEviT_PT9_S1_lS3_S1_lPT10_S1_li,"axG",@progbits,_ZL37rocblas_syrkx_herkx_restricted_kernelIlfLi16ELi32ELi8ELi1ELi1ELb0ELc67ELc85EKffEviT_PT9_S1_lS3_S1_lPT10_S1_li,comdat
	.globl	_ZL37rocblas_syrkx_herkx_restricted_kernelIlfLi16ELi32ELi8ELi1ELi1ELb0ELc67ELc85EKffEviT_PT9_S1_lS3_S1_lPT10_S1_li ; -- Begin function _ZL37rocblas_syrkx_herkx_restricted_kernelIlfLi16ELi32ELi8ELi1ELi1ELb0ELc67ELc85EKffEviT_PT9_S1_lS3_S1_lPT10_S1_li
	.p2align	8
	.type	_ZL37rocblas_syrkx_herkx_restricted_kernelIlfLi16ELi32ELi8ELi1ELi1ELb0ELc67ELc85EKffEviT_PT9_S1_lS3_S1_lPT10_S1_li,@function
_ZL37rocblas_syrkx_herkx_restricted_kernelIlfLi16ELi32ELi8ELi1ELi1ELb0ELc67ELc85EKffEviT_PT9_S1_lS3_S1_lPT10_S1_li: ; @_ZL37rocblas_syrkx_herkx_restricted_kernelIlfLi16ELi32ELi8ELi1ELi1ELb0ELc67ELc85EKffEviT_PT9_S1_lS3_S1_lPT10_S1_li
; %bb.0:
	s_load_dwordx16 s[12:27], s[4:5], 0x8
	s_lshl_b32 s6, s6, 5
	s_lshl_b32 s7, s7, 5
	s_waitcnt lgkmcnt(0)
	v_cmp_lt_i64_e64 s[0:1], s[12:13], 1
	s_and_b64 vcc, exec, s[0:1]
	s_cbranch_vccnz .LBB930_3
; %bb.1:
	v_lshl_add_u32 v4, v1, 4, v0
	v_lshrrev_b32_e32 v8, 3, v4
	v_add_u32_e32 v5, s7, v8
	v_ashrrev_i32_e32 v6, 31, v5
	v_and_b32_e32 v2, 7, v0
	v_mov_b32_e32 v3, 0
	v_mul_lo_u32 v9, s22, v6
	v_mul_lo_u32 v10, s23, v5
	v_mad_u64_u32 v[6:7], s[0:1], s22, v5, v[2:3]
	v_lshlrev_b32_e32 v2, 2, v2
	v_lshl_or_b32 v2, v8, 5, v2
	v_add3_u32 v7, v10, v7, v9
	v_and_b32_e32 v9, 31, v4
	v_add_u32_e32 v11, 0x400, v2
	v_mov_b32_e32 v2, 0x400
	v_lshl_add_u32 v13, v1, 5, v2
	v_add_u32_e32 v2, s6, v9
	v_lshrrev_b32_e32 v4, 5, v4
	v_mov_b32_e32 v5, v3
	v_lshlrev_b32_e32 v10, 2, v9
	v_ashrrev_i32_e32 v8, 31, v2
	v_lshl_or_b32 v10, v4, 7, v10
	v_mul_lo_u32 v8, s16, v8
	v_mad_u64_u32 v[4:5], s[0:1], s16, v2, v[4:5]
	v_mul_lo_u32 v2, s17, v2
	s_mul_i32 s2, s19, s8
	s_mul_hi_u32 s3, s18, s8
	s_add_i32 s1, s3, s2
	s_mul_i32 s0, s18, s8
	s_lshl_b64 s[0:1], s[0:1], 2
	v_add3_u32 v5, v2, v5, v8
	v_lshlrev_b64 v[4:5], 2, v[4:5]
	s_add_u32 s0, s14, s0
	s_addc_u32 s1, s15, s1
	v_mov_b32_e32 v2, s1
	v_add_co_u32_e32 v4, vcc, s0, v4
	s_mul_i32 s0, s25, s8
	s_mul_hi_u32 s1, s24, s8
	s_add_i32 s1, s1, s0
	s_mul_i32 s0, s24, s8
	s_lshl_b64 s[0:1], s[0:1], 2
	v_lshlrev_b64 v[6:7], 2, v[6:7]
	s_add_u32 s0, s20, s0
	v_addc_co_u32_e32 v5, vcc, v2, v5, vcc
	s_addc_u32 s1, s21, s1
	v_mov_b32_e32 v2, s1
	v_add_co_u32_e32 v6, vcc, s0, v6
	v_lshlrev_b32_e32 v12, 2, v0
	v_addc_co_u32_e32 v7, vcc, v2, v7, vcc
	s_mov_b64 s[2:3], 0
	v_mov_b32_e32 v2, v3
	v_mov_b32_e32 v8, v3
	;; [unrolled: 1-line block ×3, first 2 shown]
.LBB930_2:                              ; =>This Inner Loop Header: Depth=1
	global_load_dword v14, v[4:5], off
	global_load_dword v15, v[6:7], off
	s_add_u32 s2, s2, 8
	s_addc_u32 s3, s3, 0
	v_add_co_u32_e64 v4, s[0:1], 32, v4
	v_addc_co_u32_e64 v5, s[0:1], 0, v5, s[0:1]
	v_add_co_u32_e64 v6, s[0:1], 32, v6
	v_addc_co_u32_e64 v7, s[0:1], 0, v7, s[0:1]
	s_waitcnt vmcnt(1)
	ds_write_b32 v10, v14
	s_waitcnt vmcnt(0)
	ds_write_b32 v11, v15
	s_waitcnt lgkmcnt(0)
	s_barrier
	ds_read2_b32 v[26:27], v12 offset1:16
	ds_read_b128 v[14:17], v13
	ds_read2_b32 v[28:29], v12 offset0:32 offset1:48
	ds_read2_b32 v[30:31], v12 offset0:64 offset1:80
	ds_read_b128 v[18:21], v13 offset:16
	ds_read2_b32 v[32:33], v12 offset0:96 offset1:112
	s_waitcnt lgkmcnt(4)
	v_fmac_f32_e32 v9, v26, v14
	v_fmac_f32_e32 v8, v27, v14
	s_waitcnt lgkmcnt(3)
	v_fmac_f32_e32 v9, v28, v15
	v_fmac_f32_e32 v8, v29, v15
	v_mov_b32_e32 v15, s3
	s_waitcnt lgkmcnt(2)
	v_fmac_f32_e32 v9, v30, v16
	v_fmac_f32_e32 v8, v31, v16
	v_mov_b32_e32 v14, s2
	s_waitcnt lgkmcnt(0)
	v_fmac_f32_e32 v9, v32, v17
	v_fmac_f32_e32 v8, v33, v17
	v_cmp_le_u64_e32 vcc, s[12:13], v[14:15]
	ds_read_b128 v[14:17], v13 offset:512
	ds_read_b128 v[22:25], v13 offset:528
	s_and_b64 vcc, exec, vcc
	s_waitcnt lgkmcnt(1)
	v_fmac_f32_e32 v2, v26, v14
	v_fmac_f32_e32 v3, v27, v14
	;; [unrolled: 1-line block ×8, first 2 shown]
	ds_read2_b32 v[14:15], v12 offset0:128 offset1:144
	ds_read2_b32 v[16:17], v12 offset0:160 offset1:176
	;; [unrolled: 1-line block ×3, first 2 shown]
	s_waitcnt lgkmcnt(2)
	v_fmac_f32_e32 v9, v14, v18
	v_fmac_f32_e32 v8, v15, v18
	;; [unrolled: 1-line block ×4, first 2 shown]
	ds_read2_b32 v[14:15], v12 offset0:224 offset1:240
	s_waitcnt lgkmcnt(2)
	v_fmac_f32_e32 v9, v16, v19
	v_fmac_f32_e32 v8, v17, v19
	v_fmac_f32_e32 v2, v16, v23
	v_fmac_f32_e32 v3, v17, v23
	s_waitcnt lgkmcnt(1)
	v_fmac_f32_e32 v9, v26, v20
	v_fmac_f32_e32 v8, v27, v20
	v_fmac_f32_e32 v2, v26, v24
	v_fmac_f32_e32 v3, v27, v24
	;; [unrolled: 5-line block ×3, first 2 shown]
	s_barrier
	s_cbranch_vccz .LBB930_2
	s_branch .LBB930_4
.LBB930_3:
	v_mov_b32_e32 v9, 0
	v_mov_b32_e32 v8, 0
	;; [unrolled: 1-line block ×4, first 2 shown]
.LBB930_4:
	s_load_dwordx4 s[12:15], s[4:5], 0x48
	s_load_dword s9, s[4:5], 0x0
	v_add_u32_e32 v6, s7, v1
	v_ashrrev_i32_e32 v1, 31, v6
	v_add_u32_e32 v0, s6, v0
	s_waitcnt lgkmcnt(0)
	s_mul_i32 s1, s15, s8
	s_mul_hi_u32 s2, s14, s8
	s_add_i32 s1, s2, s1
	v_mul_lo_u32 v1, s12, v1
	v_mul_lo_u32 v7, s13, v6
	v_mad_u64_u32 v[4:5], s[2:3], s12, v6, 0
	s_mul_i32 s0, s14, s8
	s_lshl_b64 s[0:1], s[0:1], 2
	v_add3_u32 v5, v5, v1, v7
	s_add_u32 s4, s26, s0
	v_lshlrev_b64 v[4:5], 2, v[4:5]
	s_addc_u32 s5, s27, s1
	v_mov_b32_e32 v1, s5
	v_add_co_u32_e64 v7, s[0:1], s4, v4
	v_addc_co_u32_e64 v10, s[0:1], v1, v5, s[0:1]
	v_cmp_gt_i32_e32 vcc, s9, v6
	v_cmp_le_i32_e64 s[0:1], v0, v6
	s_and_b64 s[0:1], vcc, s[0:1]
	s_and_saveexec_b64 s[2:3], s[0:1]
	s_cbranch_execz .LBB930_6
; %bb.5:
	v_ashrrev_i32_e32 v1, 31, v0
	v_lshlrev_b64 v[4:5], 2, v[0:1]
	v_add_co_u32_e64 v4, s[0:1], v7, v4
	v_addc_co_u32_e64 v5, s[0:1], v10, v5, s[0:1]
	global_load_dword v1, v[4:5], off
	s_waitcnt vmcnt(0)
	v_add_f32_e32 v1, v9, v1
	global_store_dword v[4:5], v1, off
.LBB930_6:
	s_or_b64 exec, exec, s[2:3]
	v_add_u32_e32 v4, 16, v0
	v_cmp_le_i32_e64 s[0:1], v4, v6
	s_and_b64 s[2:3], vcc, s[0:1]
	s_and_saveexec_b64 s[0:1], s[2:3]
	s_cbranch_execz .LBB930_8
; %bb.7:
	v_ashrrev_i32_e32 v5, 31, v4
	v_lshlrev_b64 v[11:12], 2, v[4:5]
	v_add_co_u32_e32 v9, vcc, v7, v11
	v_addc_co_u32_e32 v10, vcc, v10, v12, vcc
	global_load_dword v1, v[9:10], off
	s_waitcnt vmcnt(0)
	v_add_f32_e32 v1, v8, v1
	global_store_dword v[9:10], v1, off
.LBB930_8:
	s_or_b64 exec, exec, s[0:1]
	v_add_u32_e32 v5, 16, v6
	v_ashrrev_i32_e32 v1, 31, v5
	v_mul_lo_u32 v1, s12, v1
	v_mul_lo_u32 v8, s13, v5
	v_mad_u64_u32 v[6:7], s[0:1], s12, v5, 0
	v_cmp_gt_i32_e32 vcc, s9, v5
	v_add3_u32 v7, v7, v1, v8
	v_lshlrev_b64 v[6:7], 2, v[6:7]
	v_mov_b32_e32 v1, s5
	v_add_co_u32_e64 v6, s[0:1], s4, v6
	v_addc_co_u32_e64 v7, s[0:1], v1, v7, s[0:1]
	v_cmp_le_i32_e64 s[0:1], v0, v5
	s_and_b64 s[0:1], vcc, s[0:1]
	s_and_saveexec_b64 s[2:3], s[0:1]
	s_cbranch_execz .LBB930_10
; %bb.9:
	v_ashrrev_i32_e32 v1, 31, v0
	v_lshlrev_b64 v[0:1], 2, v[0:1]
	v_add_co_u32_e64 v0, s[0:1], v6, v0
	v_addc_co_u32_e64 v1, s[0:1], v7, v1, s[0:1]
	global_load_dword v8, v[0:1], off
	s_waitcnt vmcnt(0)
	v_add_f32_e32 v2, v2, v8
	global_store_dword v[0:1], v2, off
.LBB930_10:
	s_or_b64 exec, exec, s[2:3]
	v_cmp_le_i32_e64 s[0:1], v4, v5
	s_and_b64 s[0:1], vcc, s[0:1]
	s_and_saveexec_b64 s[2:3], s[0:1]
	s_cbranch_execz .LBB930_12
; %bb.11:
	v_ashrrev_i32_e32 v5, 31, v4
	v_lshlrev_b64 v[0:1], 2, v[4:5]
	v_add_co_u32_e32 v0, vcc, v6, v0
	v_addc_co_u32_e32 v1, vcc, v7, v1, vcc
	global_load_dword v2, v[0:1], off
	s_waitcnt vmcnt(0)
	v_add_f32_e32 v2, v3, v2
	global_store_dword v[0:1], v2, off
.LBB930_12:
	s_endpgm
	.section	.rodata,"a",@progbits
	.p2align	6, 0x0
	.amdhsa_kernel _ZL37rocblas_syrkx_herkx_restricted_kernelIlfLi16ELi32ELi8ELi1ELi1ELb0ELc67ELc85EKffEviT_PT9_S1_lS3_S1_lPT10_S1_li
		.amdhsa_group_segment_fixed_size 2048
		.amdhsa_private_segment_fixed_size 0
		.amdhsa_kernarg_size 92
		.amdhsa_user_sgpr_count 6
		.amdhsa_user_sgpr_private_segment_buffer 1
		.amdhsa_user_sgpr_dispatch_ptr 0
		.amdhsa_user_sgpr_queue_ptr 0
		.amdhsa_user_sgpr_kernarg_segment_ptr 1
		.amdhsa_user_sgpr_dispatch_id 0
		.amdhsa_user_sgpr_flat_scratch_init 0
		.amdhsa_user_sgpr_private_segment_size 0
		.amdhsa_uses_dynamic_stack 0
		.amdhsa_system_sgpr_private_segment_wavefront_offset 0
		.amdhsa_system_sgpr_workgroup_id_x 1
		.amdhsa_system_sgpr_workgroup_id_y 1
		.amdhsa_system_sgpr_workgroup_id_z 1
		.amdhsa_system_sgpr_workgroup_info 0
		.amdhsa_system_vgpr_workitem_id 1
		.amdhsa_next_free_vgpr 34
		.amdhsa_next_free_sgpr 28
		.amdhsa_reserve_vcc 1
		.amdhsa_reserve_flat_scratch 0
		.amdhsa_float_round_mode_32 0
		.amdhsa_float_round_mode_16_64 0
		.amdhsa_float_denorm_mode_32 3
		.amdhsa_float_denorm_mode_16_64 3
		.amdhsa_dx10_clamp 1
		.amdhsa_ieee_mode 1
		.amdhsa_fp16_overflow 0
		.amdhsa_exception_fp_ieee_invalid_op 0
		.amdhsa_exception_fp_denorm_src 0
		.amdhsa_exception_fp_ieee_div_zero 0
		.amdhsa_exception_fp_ieee_overflow 0
		.amdhsa_exception_fp_ieee_underflow 0
		.amdhsa_exception_fp_ieee_inexact 0
		.amdhsa_exception_int_div_zero 0
	.end_amdhsa_kernel
	.section	.text._ZL37rocblas_syrkx_herkx_restricted_kernelIlfLi16ELi32ELi8ELi1ELi1ELb0ELc67ELc85EKffEviT_PT9_S1_lS3_S1_lPT10_S1_li,"axG",@progbits,_ZL37rocblas_syrkx_herkx_restricted_kernelIlfLi16ELi32ELi8ELi1ELi1ELb0ELc67ELc85EKffEviT_PT9_S1_lS3_S1_lPT10_S1_li,comdat
.Lfunc_end930:
	.size	_ZL37rocblas_syrkx_herkx_restricted_kernelIlfLi16ELi32ELi8ELi1ELi1ELb0ELc67ELc85EKffEviT_PT9_S1_lS3_S1_lPT10_S1_li, .Lfunc_end930-_ZL37rocblas_syrkx_herkx_restricted_kernelIlfLi16ELi32ELi8ELi1ELi1ELb0ELc67ELc85EKffEviT_PT9_S1_lS3_S1_lPT10_S1_li
                                        ; -- End function
	.set _ZL37rocblas_syrkx_herkx_restricted_kernelIlfLi16ELi32ELi8ELi1ELi1ELb0ELc67ELc85EKffEviT_PT9_S1_lS3_S1_lPT10_S1_li.num_vgpr, 34
	.set _ZL37rocblas_syrkx_herkx_restricted_kernelIlfLi16ELi32ELi8ELi1ELi1ELb0ELc67ELc85EKffEviT_PT9_S1_lS3_S1_lPT10_S1_li.num_agpr, 0
	.set _ZL37rocblas_syrkx_herkx_restricted_kernelIlfLi16ELi32ELi8ELi1ELi1ELb0ELc67ELc85EKffEviT_PT9_S1_lS3_S1_lPT10_S1_li.numbered_sgpr, 28
	.set _ZL37rocblas_syrkx_herkx_restricted_kernelIlfLi16ELi32ELi8ELi1ELi1ELb0ELc67ELc85EKffEviT_PT9_S1_lS3_S1_lPT10_S1_li.num_named_barrier, 0
	.set _ZL37rocblas_syrkx_herkx_restricted_kernelIlfLi16ELi32ELi8ELi1ELi1ELb0ELc67ELc85EKffEviT_PT9_S1_lS3_S1_lPT10_S1_li.private_seg_size, 0
	.set _ZL37rocblas_syrkx_herkx_restricted_kernelIlfLi16ELi32ELi8ELi1ELi1ELb0ELc67ELc85EKffEviT_PT9_S1_lS3_S1_lPT10_S1_li.uses_vcc, 1
	.set _ZL37rocblas_syrkx_herkx_restricted_kernelIlfLi16ELi32ELi8ELi1ELi1ELb0ELc67ELc85EKffEviT_PT9_S1_lS3_S1_lPT10_S1_li.uses_flat_scratch, 0
	.set _ZL37rocblas_syrkx_herkx_restricted_kernelIlfLi16ELi32ELi8ELi1ELi1ELb0ELc67ELc85EKffEviT_PT9_S1_lS3_S1_lPT10_S1_li.has_dyn_sized_stack, 0
	.set _ZL37rocblas_syrkx_herkx_restricted_kernelIlfLi16ELi32ELi8ELi1ELi1ELb0ELc67ELc85EKffEviT_PT9_S1_lS3_S1_lPT10_S1_li.has_recursion, 0
	.set _ZL37rocblas_syrkx_herkx_restricted_kernelIlfLi16ELi32ELi8ELi1ELi1ELb0ELc67ELc85EKffEviT_PT9_S1_lS3_S1_lPT10_S1_li.has_indirect_call, 0
	.section	.AMDGPU.csdata,"",@progbits
; Kernel info:
; codeLenInByte = 1192
; TotalNumSgprs: 32
; NumVgprs: 34
; ScratchSize: 0
; MemoryBound: 0
; FloatMode: 240
; IeeeMode: 1
; LDSByteSize: 2048 bytes/workgroup (compile time only)
; SGPRBlocks: 3
; VGPRBlocks: 8
; NumSGPRsForWavesPerEU: 32
; NumVGPRsForWavesPerEU: 34
; Occupancy: 7
; WaveLimiterHint : 1
; COMPUTE_PGM_RSRC2:SCRATCH_EN: 0
; COMPUTE_PGM_RSRC2:USER_SGPR: 6
; COMPUTE_PGM_RSRC2:TRAP_HANDLER: 0
; COMPUTE_PGM_RSRC2:TGID_X_EN: 1
; COMPUTE_PGM_RSRC2:TGID_Y_EN: 1
; COMPUTE_PGM_RSRC2:TGID_Z_EN: 1
; COMPUTE_PGM_RSRC2:TIDIG_COMP_CNT: 1
	.section	.text._ZL37rocblas_syrkx_herkx_restricted_kernelIlfLi16ELi32ELi8ELi1ELi1ELb0ELc78ELc85EKffEviT_PT9_S1_lS3_S1_lPT10_S1_li,"axG",@progbits,_ZL37rocblas_syrkx_herkx_restricted_kernelIlfLi16ELi32ELi8ELi1ELi1ELb0ELc78ELc85EKffEviT_PT9_S1_lS3_S1_lPT10_S1_li,comdat
	.globl	_ZL37rocblas_syrkx_herkx_restricted_kernelIlfLi16ELi32ELi8ELi1ELi1ELb0ELc78ELc85EKffEviT_PT9_S1_lS3_S1_lPT10_S1_li ; -- Begin function _ZL37rocblas_syrkx_herkx_restricted_kernelIlfLi16ELi32ELi8ELi1ELi1ELb0ELc78ELc85EKffEviT_PT9_S1_lS3_S1_lPT10_S1_li
	.p2align	8
	.type	_ZL37rocblas_syrkx_herkx_restricted_kernelIlfLi16ELi32ELi8ELi1ELi1ELb0ELc78ELc85EKffEviT_PT9_S1_lS3_S1_lPT10_S1_li,@function
_ZL37rocblas_syrkx_herkx_restricted_kernelIlfLi16ELi32ELi8ELi1ELi1ELb0ELc78ELc85EKffEviT_PT9_S1_lS3_S1_lPT10_S1_li: ; @_ZL37rocblas_syrkx_herkx_restricted_kernelIlfLi16ELi32ELi8ELi1ELi1ELb0ELc78ELc85EKffEviT_PT9_S1_lS3_S1_lPT10_S1_li
; %bb.0:
	s_load_dwordx16 s[12:27], s[4:5], 0x8
	s_lshl_b32 s9, s6, 5
	s_lshl_b32 s28, s7, 5
	s_waitcnt lgkmcnt(0)
	v_cmp_lt_i64_e64 s[0:1], s[12:13], 1
	s_and_b64 vcc, exec, s[0:1]
	s_cbranch_vccnz .LBB931_3
; %bb.1:
	v_lshl_add_u32 v7, v1, 4, v0
	v_lshrrev_b32_e32 v8, 3, v7
	v_add_u32_e32 v2, s28, v8
	v_and_b32_e32 v6, 7, v0
	v_ashrrev_i32_e32 v3, 31, v2
	v_mad_u64_u32 v[4:5], s[0:1], s22, v6, v[2:3]
	v_lshrrev_b32_e32 v9, 5, v7
	s_mul_i32 s2, s19, s8
	v_mov_b32_e32 v2, v5
	v_mad_u64_u32 v[2:3], s[0:1], s23, v6, v[2:3]
	v_and_b32_e32 v3, 31, v7
	v_lshlrev_b32_e32 v7, 2, v3
	v_mov_b32_e32 v5, v2
	v_lshlrev_b32_e32 v2, 2, v6
	v_lshl_or_b32 v2, v8, 5, v2
	v_add_u32_e32 v11, 0x400, v2
	v_add_u32_e32 v2, s9, v3
	v_ashrrev_i32_e32 v3, 31, v2
	v_mad_u64_u32 v[2:3], s[0:1], s16, v9, v[2:3]
	v_mov_b32_e32 v6, 0x400
	v_lshl_or_b32 v10, v9, 7, v7
	v_lshl_add_u32 v13, v1, 5, v6
	v_mad_u64_u32 v[6:7], s[0:1], s17, v9, v[3:4]
	s_mul_hi_u32 s3, s18, s8
	s_add_i32 s1, s3, s2
	s_mul_i32 s0, s18, s8
	s_lshl_b64 s[0:1], s[0:1], 2
	v_mov_b32_e32 v3, v6
	v_lshlrev_b64 v[2:3], 2, v[2:3]
	s_add_u32 s0, s14, s0
	s_addc_u32 s1, s15, s1
	v_mov_b32_e32 v6, s1
	v_add_co_u32_e32 v2, vcc, s0, v2
	s_mul_i32 s0, s25, s8
	s_mul_hi_u32 s1, s24, s8
	s_add_i32 s1, s1, s0
	s_mul_i32 s0, s24, s8
	s_lshl_b64 s[2:3], s[16:17], 5
	s_lshl_b64 s[0:1], s[0:1], 2
	v_lshlrev_b64 v[4:5], 2, v[4:5]
	s_add_u32 s0, s20, s0
	v_addc_co_u32_e32 v3, vcc, v6, v3, vcc
	s_addc_u32 s1, s21, s1
	v_mov_b32_e32 v6, s1
	v_add_co_u32_e32 v4, vcc, s0, v4
	v_lshlrev_b32_e32 v12, 2, v0
	v_addc_co_u32_e32 v5, vcc, v6, v5, vcc
	s_lshl_b64 s[6:7], s[22:23], 5
	v_mov_b32_e32 v6, 0
	s_mov_b64 s[10:11], 0
	v_mov_b32_e32 v7, 0
	v_mov_b32_e32 v8, 0
	v_mov_b32_e32 v9, 0
.LBB931_2:                              ; =>This Inner Loop Header: Depth=1
	global_load_dword v16, v[2:3], off
	global_load_dword v17, v[4:5], off
	s_add_u32 s10, s10, 8
	s_addc_u32 s11, s11, 0
	v_mov_b32_e32 v15, s11
	v_mov_b32_e32 v14, s10
	v_cmp_le_u64_e32 vcc, s[12:13], v[14:15]
	v_add_co_u32_e64 v2, s[0:1], s2, v2
	s_and_b64 vcc, exec, vcc
	s_waitcnt vmcnt(1)
	ds_write_b32 v10, v16
	s_waitcnt vmcnt(0)
	ds_write_b32 v11, v17
	s_waitcnt lgkmcnt(0)
	s_barrier
	ds_read2_b32 v[26:27], v12 offset1:16
	ds_read_b128 v[14:17], v13
	ds_read2_b32 v[28:29], v12 offset0:32 offset1:48
	ds_read2_b32 v[30:31], v12 offset0:64 offset1:80
	;; [unrolled: 1-line block ×3, first 2 shown]
	ds_read_b128 v[18:21], v13 offset:16
	s_waitcnt lgkmcnt(4)
	v_fmac_f32_e32 v9, v26, v14
	v_fmac_f32_e32 v8, v27, v14
	s_waitcnt lgkmcnt(3)
	v_fmac_f32_e32 v9, v28, v15
	v_fmac_f32_e32 v8, v29, v15
	;; [unrolled: 3-line block ×4, first 2 shown]
	ds_read_b128 v[14:17], v13 offset:512
	ds_read_b128 v[22:25], v13 offset:528
	s_waitcnt lgkmcnt(1)
	v_fmac_f32_e32 v7, v26, v14
	v_fmac_f32_e32 v6, v27, v14
	v_mov_b32_e32 v14, s3
	v_addc_co_u32_e64 v3, s[0:1], v3, v14, s[0:1]
	v_mov_b32_e32 v14, s7
	v_add_co_u32_e64 v4, s[0:1], s6, v4
	v_fmac_f32_e32 v7, v28, v15
	v_fmac_f32_e32 v6, v29, v15
	v_addc_co_u32_e64 v5, s[0:1], v5, v14, s[0:1]
	ds_read2_b32 v[14:15], v12 offset0:128 offset1:144
	v_fmac_f32_e32 v7, v30, v16
	v_fmac_f32_e32 v6, v31, v16
	v_fmac_f32_e32 v7, v32, v17
	v_fmac_f32_e32 v6, v33, v17
	ds_read2_b32 v[16:17], v12 offset0:160 offset1:176
	ds_read2_b32 v[26:27], v12 offset0:192 offset1:208
	;; [unrolled: 1-line block ×3, first 2 shown]
	s_waitcnt lgkmcnt(3)
	v_fmac_f32_e32 v9, v14, v18
	v_fmac_f32_e32 v8, v15, v18
	v_fmac_f32_e32 v7, v14, v22
	v_fmac_f32_e32 v6, v15, v22
	s_waitcnt lgkmcnt(2)
	v_fmac_f32_e32 v9, v16, v19
	v_fmac_f32_e32 v8, v17, v19
	v_fmac_f32_e32 v7, v16, v23
	v_fmac_f32_e32 v6, v17, v23
	;; [unrolled: 5-line block ×4, first 2 shown]
	s_barrier
	s_cbranch_vccz .LBB931_2
	s_branch .LBB931_4
.LBB931_3:
	v_mov_b32_e32 v9, 0
	v_mov_b32_e32 v8, 0
	;; [unrolled: 1-line block ×4, first 2 shown]
.LBB931_4:
	s_load_dwordx4 s[12:15], s[4:5], 0x48
	s_load_dword s6, s[4:5], 0x0
	v_add_u32_e32 v4, s28, v1
	v_ashrrev_i32_e32 v1, 31, v4
	v_add_u32_e32 v0, s9, v0
	s_waitcnt lgkmcnt(0)
	s_mul_i32 s1, s15, s8
	s_mul_hi_u32 s2, s14, s8
	s_add_i32 s1, s2, s1
	v_mul_lo_u32 v3, s12, v1
	v_mul_lo_u32 v5, s13, v4
	v_mad_u64_u32 v[1:2], s[2:3], s12, v4, 0
	s_mul_i32 s0, s14, s8
	s_lshl_b64 s[0:1], s[0:1], 2
	v_add3_u32 v2, v2, v3, v5
	s_add_u32 s4, s26, s0
	v_lshlrev_b64 v[1:2], 2, v[1:2]
	s_addc_u32 s5, s27, s1
	v_mov_b32_e32 v3, s5
	v_add_co_u32_e64 v5, s[0:1], s4, v1
	v_addc_co_u32_e64 v10, s[0:1], v3, v2, s[0:1]
	v_cmp_gt_i32_e32 vcc, s6, v4
	v_cmp_le_i32_e64 s[0:1], v0, v4
	s_and_b64 s[0:1], vcc, s[0:1]
	s_and_saveexec_b64 s[2:3], s[0:1]
	s_cbranch_execz .LBB931_6
; %bb.5:
	v_ashrrev_i32_e32 v1, 31, v0
	v_lshlrev_b64 v[1:2], 2, v[0:1]
	v_add_co_u32_e64 v1, s[0:1], v5, v1
	v_addc_co_u32_e64 v2, s[0:1], v10, v2, s[0:1]
	global_load_dword v3, v[1:2], off
	s_waitcnt vmcnt(0)
	v_add_f32_e32 v3, v9, v3
	global_store_dword v[1:2], v3, off
.LBB931_6:
	s_or_b64 exec, exec, s[2:3]
	v_add_u32_e32 v2, 16, v0
	v_cmp_le_i32_e64 s[0:1], v2, v4
	s_and_b64 s[2:3], vcc, s[0:1]
	s_and_saveexec_b64 s[0:1], s[2:3]
	s_cbranch_execz .LBB931_8
; %bb.7:
	v_ashrrev_i32_e32 v3, 31, v2
	v_lshlrev_b64 v[11:12], 2, v[2:3]
	v_add_co_u32_e32 v9, vcc, v5, v11
	v_addc_co_u32_e32 v10, vcc, v10, v12, vcc
	global_load_dword v1, v[9:10], off
	s_waitcnt vmcnt(0)
	v_add_f32_e32 v1, v8, v1
	global_store_dword v[9:10], v1, off
.LBB931_8:
	s_or_b64 exec, exec, s[0:1]
	v_add_u32_e32 v3, 16, v4
	v_ashrrev_i32_e32 v1, 31, v3
	v_mul_lo_u32 v1, s12, v1
	v_mul_lo_u32 v8, s13, v3
	v_mad_u64_u32 v[4:5], s[0:1], s12, v3, 0
	v_cmp_gt_i32_e32 vcc, s6, v3
	v_add3_u32 v5, v5, v1, v8
	v_lshlrev_b64 v[4:5], 2, v[4:5]
	v_mov_b32_e32 v1, s5
	v_add_co_u32_e64 v4, s[0:1], s4, v4
	v_addc_co_u32_e64 v5, s[0:1], v1, v5, s[0:1]
	v_cmp_le_i32_e64 s[0:1], v0, v3
	s_and_b64 s[0:1], vcc, s[0:1]
	s_and_saveexec_b64 s[2:3], s[0:1]
	s_cbranch_execz .LBB931_10
; %bb.9:
	v_ashrrev_i32_e32 v1, 31, v0
	v_lshlrev_b64 v[0:1], 2, v[0:1]
	v_add_co_u32_e64 v0, s[0:1], v4, v0
	v_addc_co_u32_e64 v1, s[0:1], v5, v1, s[0:1]
	global_load_dword v8, v[0:1], off
	s_waitcnt vmcnt(0)
	v_add_f32_e32 v7, v7, v8
	global_store_dword v[0:1], v7, off
.LBB931_10:
	s_or_b64 exec, exec, s[2:3]
	v_cmp_le_i32_e64 s[0:1], v2, v3
	s_and_b64 s[0:1], vcc, s[0:1]
	s_and_saveexec_b64 s[2:3], s[0:1]
	s_cbranch_execz .LBB931_12
; %bb.11:
	v_ashrrev_i32_e32 v3, 31, v2
	v_lshlrev_b64 v[0:1], 2, v[2:3]
	v_add_co_u32_e32 v0, vcc, v4, v0
	v_addc_co_u32_e32 v1, vcc, v5, v1, vcc
	global_load_dword v2, v[0:1], off
	s_waitcnt vmcnt(0)
	v_add_f32_e32 v2, v6, v2
	global_store_dword v[0:1], v2, off
.LBB931_12:
	s_endpgm
	.section	.rodata,"a",@progbits
	.p2align	6, 0x0
	.amdhsa_kernel _ZL37rocblas_syrkx_herkx_restricted_kernelIlfLi16ELi32ELi8ELi1ELi1ELb0ELc78ELc85EKffEviT_PT9_S1_lS3_S1_lPT10_S1_li
		.amdhsa_group_segment_fixed_size 2048
		.amdhsa_private_segment_fixed_size 0
		.amdhsa_kernarg_size 92
		.amdhsa_user_sgpr_count 6
		.amdhsa_user_sgpr_private_segment_buffer 1
		.amdhsa_user_sgpr_dispatch_ptr 0
		.amdhsa_user_sgpr_queue_ptr 0
		.amdhsa_user_sgpr_kernarg_segment_ptr 1
		.amdhsa_user_sgpr_dispatch_id 0
		.amdhsa_user_sgpr_flat_scratch_init 0
		.amdhsa_user_sgpr_private_segment_size 0
		.amdhsa_uses_dynamic_stack 0
		.amdhsa_system_sgpr_private_segment_wavefront_offset 0
		.amdhsa_system_sgpr_workgroup_id_x 1
		.amdhsa_system_sgpr_workgroup_id_y 1
		.amdhsa_system_sgpr_workgroup_id_z 1
		.amdhsa_system_sgpr_workgroup_info 0
		.amdhsa_system_vgpr_workitem_id 1
		.amdhsa_next_free_vgpr 34
		.amdhsa_next_free_sgpr 29
		.amdhsa_reserve_vcc 1
		.amdhsa_reserve_flat_scratch 0
		.amdhsa_float_round_mode_32 0
		.amdhsa_float_round_mode_16_64 0
		.amdhsa_float_denorm_mode_32 3
		.amdhsa_float_denorm_mode_16_64 3
		.amdhsa_dx10_clamp 1
		.amdhsa_ieee_mode 1
		.amdhsa_fp16_overflow 0
		.amdhsa_exception_fp_ieee_invalid_op 0
		.amdhsa_exception_fp_denorm_src 0
		.amdhsa_exception_fp_ieee_div_zero 0
		.amdhsa_exception_fp_ieee_overflow 0
		.amdhsa_exception_fp_ieee_underflow 0
		.amdhsa_exception_fp_ieee_inexact 0
		.amdhsa_exception_int_div_zero 0
	.end_amdhsa_kernel
	.section	.text._ZL37rocblas_syrkx_herkx_restricted_kernelIlfLi16ELi32ELi8ELi1ELi1ELb0ELc78ELc85EKffEviT_PT9_S1_lS3_S1_lPT10_S1_li,"axG",@progbits,_ZL37rocblas_syrkx_herkx_restricted_kernelIlfLi16ELi32ELi8ELi1ELi1ELb0ELc78ELc85EKffEviT_PT9_S1_lS3_S1_lPT10_S1_li,comdat
.Lfunc_end931:
	.size	_ZL37rocblas_syrkx_herkx_restricted_kernelIlfLi16ELi32ELi8ELi1ELi1ELb0ELc78ELc85EKffEviT_PT9_S1_lS3_S1_lPT10_S1_li, .Lfunc_end931-_ZL37rocblas_syrkx_herkx_restricted_kernelIlfLi16ELi32ELi8ELi1ELi1ELb0ELc78ELc85EKffEviT_PT9_S1_lS3_S1_lPT10_S1_li
                                        ; -- End function
	.set _ZL37rocblas_syrkx_herkx_restricted_kernelIlfLi16ELi32ELi8ELi1ELi1ELb0ELc78ELc85EKffEviT_PT9_S1_lS3_S1_lPT10_S1_li.num_vgpr, 34
	.set _ZL37rocblas_syrkx_herkx_restricted_kernelIlfLi16ELi32ELi8ELi1ELi1ELb0ELc78ELc85EKffEviT_PT9_S1_lS3_S1_lPT10_S1_li.num_agpr, 0
	.set _ZL37rocblas_syrkx_herkx_restricted_kernelIlfLi16ELi32ELi8ELi1ELi1ELb0ELc78ELc85EKffEviT_PT9_S1_lS3_S1_lPT10_S1_li.numbered_sgpr, 29
	.set _ZL37rocblas_syrkx_herkx_restricted_kernelIlfLi16ELi32ELi8ELi1ELi1ELb0ELc78ELc85EKffEviT_PT9_S1_lS3_S1_lPT10_S1_li.num_named_barrier, 0
	.set _ZL37rocblas_syrkx_herkx_restricted_kernelIlfLi16ELi32ELi8ELi1ELi1ELb0ELc78ELc85EKffEviT_PT9_S1_lS3_S1_lPT10_S1_li.private_seg_size, 0
	.set _ZL37rocblas_syrkx_herkx_restricted_kernelIlfLi16ELi32ELi8ELi1ELi1ELb0ELc78ELc85EKffEviT_PT9_S1_lS3_S1_lPT10_S1_li.uses_vcc, 1
	.set _ZL37rocblas_syrkx_herkx_restricted_kernelIlfLi16ELi32ELi8ELi1ELi1ELb0ELc78ELc85EKffEviT_PT9_S1_lS3_S1_lPT10_S1_li.uses_flat_scratch, 0
	.set _ZL37rocblas_syrkx_herkx_restricted_kernelIlfLi16ELi32ELi8ELi1ELi1ELb0ELc78ELc85EKffEviT_PT9_S1_lS3_S1_lPT10_S1_li.has_dyn_sized_stack, 0
	.set _ZL37rocblas_syrkx_herkx_restricted_kernelIlfLi16ELi32ELi8ELi1ELi1ELb0ELc78ELc85EKffEviT_PT9_S1_lS3_S1_lPT10_S1_li.has_recursion, 0
	.set _ZL37rocblas_syrkx_herkx_restricted_kernelIlfLi16ELi32ELi8ELi1ELi1ELb0ELc78ELc85EKffEviT_PT9_S1_lS3_S1_lPT10_S1_li.has_indirect_call, 0
	.section	.AMDGPU.csdata,"",@progbits
; Kernel info:
; codeLenInByte = 1184
; TotalNumSgprs: 33
; NumVgprs: 34
; ScratchSize: 0
; MemoryBound: 0
; FloatMode: 240
; IeeeMode: 1
; LDSByteSize: 2048 bytes/workgroup (compile time only)
; SGPRBlocks: 4
; VGPRBlocks: 8
; NumSGPRsForWavesPerEU: 33
; NumVGPRsForWavesPerEU: 34
; Occupancy: 7
; WaveLimiterHint : 1
; COMPUTE_PGM_RSRC2:SCRATCH_EN: 0
; COMPUTE_PGM_RSRC2:USER_SGPR: 6
; COMPUTE_PGM_RSRC2:TRAP_HANDLER: 0
; COMPUTE_PGM_RSRC2:TGID_X_EN: 1
; COMPUTE_PGM_RSRC2:TGID_Y_EN: 1
; COMPUTE_PGM_RSRC2:TGID_Z_EN: 1
; COMPUTE_PGM_RSRC2:TIDIG_COMP_CNT: 1
	.section	.text._ZL37rocblas_syrkx_herkx_restricted_kernelIlfLi16ELi32ELi8ELi1ELin1ELb0ELc84ELc76EKffEviT_PT9_S1_lS3_S1_lPT10_S1_li,"axG",@progbits,_ZL37rocblas_syrkx_herkx_restricted_kernelIlfLi16ELi32ELi8ELi1ELin1ELb0ELc84ELc76EKffEviT_PT9_S1_lS3_S1_lPT10_S1_li,comdat
	.globl	_ZL37rocblas_syrkx_herkx_restricted_kernelIlfLi16ELi32ELi8ELi1ELin1ELb0ELc84ELc76EKffEviT_PT9_S1_lS3_S1_lPT10_S1_li ; -- Begin function _ZL37rocblas_syrkx_herkx_restricted_kernelIlfLi16ELi32ELi8ELi1ELin1ELb0ELc84ELc76EKffEviT_PT9_S1_lS3_S1_lPT10_S1_li
	.p2align	8
	.type	_ZL37rocblas_syrkx_herkx_restricted_kernelIlfLi16ELi32ELi8ELi1ELin1ELb0ELc84ELc76EKffEviT_PT9_S1_lS3_S1_lPT10_S1_li,@function
_ZL37rocblas_syrkx_herkx_restricted_kernelIlfLi16ELi32ELi8ELi1ELin1ELb0ELc84ELc76EKffEviT_PT9_S1_lS3_S1_lPT10_S1_li: ; @_ZL37rocblas_syrkx_herkx_restricted_kernelIlfLi16ELi32ELi8ELi1ELin1ELb0ELc84ELc76EKffEviT_PT9_S1_lS3_S1_lPT10_S1_li
; %bb.0:
	s_load_dwordx16 s[12:27], s[4:5], 0x8
	s_lshl_b32 s6, s6, 5
	s_lshl_b32 s7, s7, 5
	s_waitcnt lgkmcnt(0)
	v_cmp_lt_i64_e64 s[0:1], s[12:13], 1
	s_and_b64 vcc, exec, s[0:1]
	s_cbranch_vccnz .LBB932_3
; %bb.1:
	v_lshl_add_u32 v4, v1, 4, v0
	v_lshrrev_b32_e32 v8, 3, v4
	v_add_u32_e32 v5, s7, v8
	v_ashrrev_i32_e32 v6, 31, v5
	v_and_b32_e32 v2, 7, v0
	v_mov_b32_e32 v3, 0
	v_mul_lo_u32 v9, s22, v6
	v_mul_lo_u32 v10, s23, v5
	v_mad_u64_u32 v[6:7], s[0:1], s22, v5, v[2:3]
	v_lshlrev_b32_e32 v2, 2, v2
	v_lshl_or_b32 v2, v8, 5, v2
	v_add3_u32 v7, v10, v7, v9
	v_and_b32_e32 v9, 31, v4
	v_add_u32_e32 v11, 0x400, v2
	v_mov_b32_e32 v2, 0x400
	v_lshl_add_u32 v13, v1, 5, v2
	v_add_u32_e32 v2, s6, v9
	v_lshrrev_b32_e32 v4, 5, v4
	v_mov_b32_e32 v5, v3
	v_lshlrev_b32_e32 v10, 2, v9
	v_ashrrev_i32_e32 v8, 31, v2
	v_lshl_or_b32 v10, v4, 7, v10
	v_mul_lo_u32 v8, s16, v8
	v_mad_u64_u32 v[4:5], s[0:1], s16, v2, v[4:5]
	v_mul_lo_u32 v2, s17, v2
	s_mul_i32 s2, s19, s8
	s_mul_hi_u32 s3, s18, s8
	s_add_i32 s1, s3, s2
	s_mul_i32 s0, s18, s8
	s_lshl_b64 s[0:1], s[0:1], 2
	v_add3_u32 v5, v2, v5, v8
	v_lshlrev_b64 v[4:5], 2, v[4:5]
	s_add_u32 s0, s14, s0
	s_addc_u32 s1, s15, s1
	v_mov_b32_e32 v2, s1
	v_add_co_u32_e32 v4, vcc, s0, v4
	s_mul_i32 s0, s25, s8
	s_mul_hi_u32 s1, s24, s8
	s_add_i32 s1, s1, s0
	s_mul_i32 s0, s24, s8
	s_lshl_b64 s[0:1], s[0:1], 2
	v_lshlrev_b64 v[6:7], 2, v[6:7]
	s_add_u32 s0, s20, s0
	v_addc_co_u32_e32 v5, vcc, v2, v5, vcc
	s_addc_u32 s1, s21, s1
	v_mov_b32_e32 v2, s1
	v_add_co_u32_e32 v6, vcc, s0, v6
	v_lshlrev_b32_e32 v12, 2, v0
	v_addc_co_u32_e32 v7, vcc, v2, v7, vcc
	s_mov_b64 s[2:3], 0
	v_mov_b32_e32 v2, v3
	v_mov_b32_e32 v8, v3
	;; [unrolled: 1-line block ×3, first 2 shown]
.LBB932_2:                              ; =>This Inner Loop Header: Depth=1
	global_load_dword v14, v[4:5], off
	global_load_dword v15, v[6:7], off
	s_add_u32 s2, s2, 8
	s_addc_u32 s3, s3, 0
	v_add_co_u32_e64 v4, s[0:1], 32, v4
	v_addc_co_u32_e64 v5, s[0:1], 0, v5, s[0:1]
	v_add_co_u32_e64 v6, s[0:1], 32, v6
	v_addc_co_u32_e64 v7, s[0:1], 0, v7, s[0:1]
	s_waitcnt vmcnt(1)
	ds_write_b32 v10, v14
	s_waitcnt vmcnt(0)
	ds_write_b32 v11, v15
	s_waitcnt lgkmcnt(0)
	s_barrier
	ds_read2_b32 v[26:27], v12 offset1:16
	ds_read_b128 v[14:17], v13
	ds_read2_b32 v[28:29], v12 offset0:32 offset1:48
	ds_read2_b32 v[30:31], v12 offset0:64 offset1:80
	ds_read_b128 v[18:21], v13 offset:16
	ds_read2_b32 v[32:33], v12 offset0:96 offset1:112
	s_waitcnt lgkmcnt(4)
	v_fmac_f32_e32 v9, v26, v14
	v_fmac_f32_e32 v8, v27, v14
	s_waitcnt lgkmcnt(3)
	v_fmac_f32_e32 v9, v28, v15
	v_fmac_f32_e32 v8, v29, v15
	v_mov_b32_e32 v15, s3
	s_waitcnt lgkmcnt(2)
	v_fmac_f32_e32 v9, v30, v16
	v_fmac_f32_e32 v8, v31, v16
	v_mov_b32_e32 v14, s2
	s_waitcnt lgkmcnt(0)
	v_fmac_f32_e32 v9, v32, v17
	v_fmac_f32_e32 v8, v33, v17
	v_cmp_le_u64_e32 vcc, s[12:13], v[14:15]
	ds_read_b128 v[14:17], v13 offset:512
	ds_read_b128 v[22:25], v13 offset:528
	s_and_b64 vcc, exec, vcc
	s_waitcnt lgkmcnt(1)
	v_fmac_f32_e32 v2, v26, v14
	v_fmac_f32_e32 v3, v27, v14
	;; [unrolled: 1-line block ×8, first 2 shown]
	ds_read2_b32 v[14:15], v12 offset0:128 offset1:144
	ds_read2_b32 v[16:17], v12 offset0:160 offset1:176
	;; [unrolled: 1-line block ×3, first 2 shown]
	s_waitcnt lgkmcnt(2)
	v_fmac_f32_e32 v9, v14, v18
	v_fmac_f32_e32 v8, v15, v18
	;; [unrolled: 1-line block ×4, first 2 shown]
	ds_read2_b32 v[14:15], v12 offset0:224 offset1:240
	s_waitcnt lgkmcnt(2)
	v_fmac_f32_e32 v9, v16, v19
	v_fmac_f32_e32 v8, v17, v19
	v_fmac_f32_e32 v2, v16, v23
	v_fmac_f32_e32 v3, v17, v23
	s_waitcnt lgkmcnt(1)
	v_fmac_f32_e32 v9, v26, v20
	v_fmac_f32_e32 v8, v27, v20
	v_fmac_f32_e32 v2, v26, v24
	v_fmac_f32_e32 v3, v27, v24
	;; [unrolled: 5-line block ×3, first 2 shown]
	s_barrier
	s_cbranch_vccz .LBB932_2
	s_branch .LBB932_4
.LBB932_3:
	v_mov_b32_e32 v9, 0
	v_mov_b32_e32 v8, 0
	;; [unrolled: 1-line block ×4, first 2 shown]
.LBB932_4:
	s_load_dwordx4 s[12:15], s[4:5], 0x48
	s_load_dword s9, s[4:5], 0x0
	v_add_u32_e32 v6, s7, v1
	v_ashrrev_i32_e32 v1, 31, v6
	v_add_u32_e32 v0, s6, v0
	s_waitcnt lgkmcnt(0)
	s_mul_i32 s1, s15, s8
	s_mul_hi_u32 s2, s14, s8
	s_add_i32 s1, s2, s1
	v_mul_lo_u32 v1, s12, v1
	v_mul_lo_u32 v7, s13, v6
	v_mad_u64_u32 v[4:5], s[2:3], s12, v6, 0
	s_mul_i32 s0, s14, s8
	s_lshl_b64 s[0:1], s[0:1], 2
	v_add3_u32 v5, v5, v1, v7
	s_add_u32 s7, s26, s0
	v_lshlrev_b64 v[4:5], 2, v[4:5]
	s_addc_u32 s8, s27, s1
	v_mov_b32_e32 v1, s8
	v_add_co_u32_e32 v7, vcc, s7, v4
	v_addc_co_u32_e32 v10, vcc, v1, v5, vcc
	v_cmp_le_i32_e64 s[0:1], v6, v0
	v_cmp_gt_i32_e32 vcc, s9, v0
	s_and_b64 s[0:1], s[0:1], vcc
	s_and_saveexec_b64 s[2:3], s[0:1]
	s_cbranch_execz .LBB932_6
; %bb.5:
	v_ashrrev_i32_e32 v1, 31, v0
	v_lshlrev_b64 v[4:5], 2, v[0:1]
	v_add_co_u32_e64 v4, s[0:1], v7, v4
	v_addc_co_u32_e64 v5, s[0:1], v10, v5, s[0:1]
	global_load_dword v1, v[4:5], off
	s_waitcnt vmcnt(0)
	v_sub_f32_e32 v1, v9, v1
	global_store_dword v[4:5], v1, off
.LBB932_6:
	s_or_b64 exec, exec, s[2:3]
	v_add_u32_e32 v4, 16, v0
	v_cmp_le_i32_e64 s[2:3], v6, v4
	v_cmp_gt_i32_e64 s[0:1], s9, v4
	s_and_b64 s[2:3], s[2:3], s[0:1]
	s_and_saveexec_b64 s[4:5], s[2:3]
	s_cbranch_execz .LBB932_8
; %bb.7:
	v_ashrrev_i32_e32 v5, 31, v4
	v_lshlrev_b64 v[11:12], 2, v[4:5]
	v_add_co_u32_e64 v9, s[2:3], v7, v11
	v_addc_co_u32_e64 v10, s[2:3], v10, v12, s[2:3]
	global_load_dword v1, v[9:10], off
	s_waitcnt vmcnt(0)
	v_sub_f32_e32 v1, v8, v1
	global_store_dword v[9:10], v1, off
.LBB932_8:
	s_or_b64 exec, exec, s[4:5]
	v_add_u32_e32 v5, 16, v6
	v_ashrrev_i32_e32 v1, 31, v5
	v_mul_lo_u32 v8, s13, v5
	v_mad_u64_u32 v[6:7], s[2:3], s12, v5, 0
	v_mul_lo_u32 v1, s12, v1
	v_add3_u32 v7, v7, v1, v8
	v_lshlrev_b64 v[6:7], 2, v[6:7]
	v_mov_b32_e32 v1, s8
	v_add_co_u32_e64 v6, s[2:3], s7, v6
	v_addc_co_u32_e64 v7, s[2:3], v1, v7, s[2:3]
	v_cmp_le_i32_e64 s[2:3], v5, v0
	s_and_b64 s[4:5], s[2:3], vcc
	s_and_saveexec_b64 s[2:3], s[4:5]
	s_cbranch_execz .LBB932_10
; %bb.9:
	v_ashrrev_i32_e32 v1, 31, v0
	v_lshlrev_b64 v[0:1], 2, v[0:1]
	v_add_co_u32_e32 v0, vcc, v6, v0
	v_addc_co_u32_e32 v1, vcc, v7, v1, vcc
	global_load_dword v8, v[0:1], off
	s_waitcnt vmcnt(0)
	v_sub_f32_e32 v2, v2, v8
	global_store_dword v[0:1], v2, off
.LBB932_10:
	s_or_b64 exec, exec, s[2:3]
	v_cmp_le_i32_e32 vcc, v5, v4
	s_and_b64 s[0:1], vcc, s[0:1]
	s_and_saveexec_b64 s[2:3], s[0:1]
	s_cbranch_execz .LBB932_12
; %bb.11:
	v_ashrrev_i32_e32 v5, 31, v4
	v_lshlrev_b64 v[0:1], 2, v[4:5]
	v_add_co_u32_e32 v0, vcc, v6, v0
	v_addc_co_u32_e32 v1, vcc, v7, v1, vcc
	global_load_dword v2, v[0:1], off
	s_waitcnt vmcnt(0)
	v_sub_f32_e32 v2, v3, v2
	global_store_dword v[0:1], v2, off
.LBB932_12:
	s_endpgm
	.section	.rodata,"a",@progbits
	.p2align	6, 0x0
	.amdhsa_kernel _ZL37rocblas_syrkx_herkx_restricted_kernelIlfLi16ELi32ELi8ELi1ELin1ELb0ELc84ELc76EKffEviT_PT9_S1_lS3_S1_lPT10_S1_li
		.amdhsa_group_segment_fixed_size 2048
		.amdhsa_private_segment_fixed_size 0
		.amdhsa_kernarg_size 92
		.amdhsa_user_sgpr_count 6
		.amdhsa_user_sgpr_private_segment_buffer 1
		.amdhsa_user_sgpr_dispatch_ptr 0
		.amdhsa_user_sgpr_queue_ptr 0
		.amdhsa_user_sgpr_kernarg_segment_ptr 1
		.amdhsa_user_sgpr_dispatch_id 0
		.amdhsa_user_sgpr_flat_scratch_init 0
		.amdhsa_user_sgpr_private_segment_size 0
		.amdhsa_uses_dynamic_stack 0
		.amdhsa_system_sgpr_private_segment_wavefront_offset 0
		.amdhsa_system_sgpr_workgroup_id_x 1
		.amdhsa_system_sgpr_workgroup_id_y 1
		.amdhsa_system_sgpr_workgroup_id_z 1
		.amdhsa_system_sgpr_workgroup_info 0
		.amdhsa_system_vgpr_workitem_id 1
		.amdhsa_next_free_vgpr 34
		.amdhsa_next_free_sgpr 28
		.amdhsa_reserve_vcc 1
		.amdhsa_reserve_flat_scratch 0
		.amdhsa_float_round_mode_32 0
		.amdhsa_float_round_mode_16_64 0
		.amdhsa_float_denorm_mode_32 3
		.amdhsa_float_denorm_mode_16_64 3
		.amdhsa_dx10_clamp 1
		.amdhsa_ieee_mode 1
		.amdhsa_fp16_overflow 0
		.amdhsa_exception_fp_ieee_invalid_op 0
		.amdhsa_exception_fp_denorm_src 0
		.amdhsa_exception_fp_ieee_div_zero 0
		.amdhsa_exception_fp_ieee_overflow 0
		.amdhsa_exception_fp_ieee_underflow 0
		.amdhsa_exception_fp_ieee_inexact 0
		.amdhsa_exception_int_div_zero 0
	.end_amdhsa_kernel
	.section	.text._ZL37rocblas_syrkx_herkx_restricted_kernelIlfLi16ELi32ELi8ELi1ELin1ELb0ELc84ELc76EKffEviT_PT9_S1_lS3_S1_lPT10_S1_li,"axG",@progbits,_ZL37rocblas_syrkx_herkx_restricted_kernelIlfLi16ELi32ELi8ELi1ELin1ELb0ELc84ELc76EKffEviT_PT9_S1_lS3_S1_lPT10_S1_li,comdat
.Lfunc_end932:
	.size	_ZL37rocblas_syrkx_herkx_restricted_kernelIlfLi16ELi32ELi8ELi1ELin1ELb0ELc84ELc76EKffEviT_PT9_S1_lS3_S1_lPT10_S1_li, .Lfunc_end932-_ZL37rocblas_syrkx_herkx_restricted_kernelIlfLi16ELi32ELi8ELi1ELin1ELb0ELc84ELc76EKffEviT_PT9_S1_lS3_S1_lPT10_S1_li
                                        ; -- End function
	.set _ZL37rocblas_syrkx_herkx_restricted_kernelIlfLi16ELi32ELi8ELi1ELin1ELb0ELc84ELc76EKffEviT_PT9_S1_lS3_S1_lPT10_S1_li.num_vgpr, 34
	.set _ZL37rocblas_syrkx_herkx_restricted_kernelIlfLi16ELi32ELi8ELi1ELin1ELb0ELc84ELc76EKffEviT_PT9_S1_lS3_S1_lPT10_S1_li.num_agpr, 0
	.set _ZL37rocblas_syrkx_herkx_restricted_kernelIlfLi16ELi32ELi8ELi1ELin1ELb0ELc84ELc76EKffEviT_PT9_S1_lS3_S1_lPT10_S1_li.numbered_sgpr, 28
	.set _ZL37rocblas_syrkx_herkx_restricted_kernelIlfLi16ELi32ELi8ELi1ELin1ELb0ELc84ELc76EKffEviT_PT9_S1_lS3_S1_lPT10_S1_li.num_named_barrier, 0
	.set _ZL37rocblas_syrkx_herkx_restricted_kernelIlfLi16ELi32ELi8ELi1ELin1ELb0ELc84ELc76EKffEviT_PT9_S1_lS3_S1_lPT10_S1_li.private_seg_size, 0
	.set _ZL37rocblas_syrkx_herkx_restricted_kernelIlfLi16ELi32ELi8ELi1ELin1ELb0ELc84ELc76EKffEviT_PT9_S1_lS3_S1_lPT10_S1_li.uses_vcc, 1
	.set _ZL37rocblas_syrkx_herkx_restricted_kernelIlfLi16ELi32ELi8ELi1ELin1ELb0ELc84ELc76EKffEviT_PT9_S1_lS3_S1_lPT10_S1_li.uses_flat_scratch, 0
	.set _ZL37rocblas_syrkx_herkx_restricted_kernelIlfLi16ELi32ELi8ELi1ELin1ELb0ELc84ELc76EKffEviT_PT9_S1_lS3_S1_lPT10_S1_li.has_dyn_sized_stack, 0
	.set _ZL37rocblas_syrkx_herkx_restricted_kernelIlfLi16ELi32ELi8ELi1ELin1ELb0ELc84ELc76EKffEviT_PT9_S1_lS3_S1_lPT10_S1_li.has_recursion, 0
	.set _ZL37rocblas_syrkx_herkx_restricted_kernelIlfLi16ELi32ELi8ELi1ELin1ELb0ELc84ELc76EKffEviT_PT9_S1_lS3_S1_lPT10_S1_li.has_indirect_call, 0
	.section	.AMDGPU.csdata,"",@progbits
; Kernel info:
; codeLenInByte = 1184
; TotalNumSgprs: 32
; NumVgprs: 34
; ScratchSize: 0
; MemoryBound: 0
; FloatMode: 240
; IeeeMode: 1
; LDSByteSize: 2048 bytes/workgroup (compile time only)
; SGPRBlocks: 3
; VGPRBlocks: 8
; NumSGPRsForWavesPerEU: 32
; NumVGPRsForWavesPerEU: 34
; Occupancy: 7
; WaveLimiterHint : 1
; COMPUTE_PGM_RSRC2:SCRATCH_EN: 0
; COMPUTE_PGM_RSRC2:USER_SGPR: 6
; COMPUTE_PGM_RSRC2:TRAP_HANDLER: 0
; COMPUTE_PGM_RSRC2:TGID_X_EN: 1
; COMPUTE_PGM_RSRC2:TGID_Y_EN: 1
; COMPUTE_PGM_RSRC2:TGID_Z_EN: 1
; COMPUTE_PGM_RSRC2:TIDIG_COMP_CNT: 1
	.section	.text._ZL37rocblas_syrkx_herkx_restricted_kernelIlfLi16ELi32ELi8ELi1ELin1ELb0ELc67ELc76EKffEviT_PT9_S1_lS3_S1_lPT10_S1_li,"axG",@progbits,_ZL37rocblas_syrkx_herkx_restricted_kernelIlfLi16ELi32ELi8ELi1ELin1ELb0ELc67ELc76EKffEviT_PT9_S1_lS3_S1_lPT10_S1_li,comdat
	.globl	_ZL37rocblas_syrkx_herkx_restricted_kernelIlfLi16ELi32ELi8ELi1ELin1ELb0ELc67ELc76EKffEviT_PT9_S1_lS3_S1_lPT10_S1_li ; -- Begin function _ZL37rocblas_syrkx_herkx_restricted_kernelIlfLi16ELi32ELi8ELi1ELin1ELb0ELc67ELc76EKffEviT_PT9_S1_lS3_S1_lPT10_S1_li
	.p2align	8
	.type	_ZL37rocblas_syrkx_herkx_restricted_kernelIlfLi16ELi32ELi8ELi1ELin1ELb0ELc67ELc76EKffEviT_PT9_S1_lS3_S1_lPT10_S1_li,@function
_ZL37rocblas_syrkx_herkx_restricted_kernelIlfLi16ELi32ELi8ELi1ELin1ELb0ELc67ELc76EKffEviT_PT9_S1_lS3_S1_lPT10_S1_li: ; @_ZL37rocblas_syrkx_herkx_restricted_kernelIlfLi16ELi32ELi8ELi1ELin1ELb0ELc67ELc76EKffEviT_PT9_S1_lS3_S1_lPT10_S1_li
; %bb.0:
	s_load_dwordx16 s[12:27], s[4:5], 0x8
	s_lshl_b32 s6, s6, 5
	s_lshl_b32 s7, s7, 5
	s_waitcnt lgkmcnt(0)
	v_cmp_lt_i64_e64 s[0:1], s[12:13], 1
	s_and_b64 vcc, exec, s[0:1]
	s_cbranch_vccnz .LBB933_3
; %bb.1:
	v_lshl_add_u32 v4, v1, 4, v0
	v_lshrrev_b32_e32 v8, 3, v4
	v_add_u32_e32 v5, s7, v8
	v_ashrrev_i32_e32 v6, 31, v5
	v_and_b32_e32 v2, 7, v0
	v_mov_b32_e32 v3, 0
	v_mul_lo_u32 v9, s22, v6
	v_mul_lo_u32 v10, s23, v5
	v_mad_u64_u32 v[6:7], s[0:1], s22, v5, v[2:3]
	v_lshlrev_b32_e32 v2, 2, v2
	v_lshl_or_b32 v2, v8, 5, v2
	v_add3_u32 v7, v10, v7, v9
	v_and_b32_e32 v9, 31, v4
	v_add_u32_e32 v11, 0x400, v2
	v_mov_b32_e32 v2, 0x400
	v_lshl_add_u32 v13, v1, 5, v2
	v_add_u32_e32 v2, s6, v9
	v_lshrrev_b32_e32 v4, 5, v4
	v_mov_b32_e32 v5, v3
	v_lshlrev_b32_e32 v10, 2, v9
	v_ashrrev_i32_e32 v8, 31, v2
	v_lshl_or_b32 v10, v4, 7, v10
	v_mul_lo_u32 v8, s16, v8
	v_mad_u64_u32 v[4:5], s[0:1], s16, v2, v[4:5]
	v_mul_lo_u32 v2, s17, v2
	s_mul_i32 s2, s19, s8
	s_mul_hi_u32 s3, s18, s8
	s_add_i32 s1, s3, s2
	s_mul_i32 s0, s18, s8
	s_lshl_b64 s[0:1], s[0:1], 2
	v_add3_u32 v5, v2, v5, v8
	v_lshlrev_b64 v[4:5], 2, v[4:5]
	s_add_u32 s0, s14, s0
	s_addc_u32 s1, s15, s1
	v_mov_b32_e32 v2, s1
	v_add_co_u32_e32 v4, vcc, s0, v4
	s_mul_i32 s0, s25, s8
	s_mul_hi_u32 s1, s24, s8
	s_add_i32 s1, s1, s0
	s_mul_i32 s0, s24, s8
	s_lshl_b64 s[0:1], s[0:1], 2
	v_lshlrev_b64 v[6:7], 2, v[6:7]
	s_add_u32 s0, s20, s0
	v_addc_co_u32_e32 v5, vcc, v2, v5, vcc
	s_addc_u32 s1, s21, s1
	v_mov_b32_e32 v2, s1
	v_add_co_u32_e32 v6, vcc, s0, v6
	v_lshlrev_b32_e32 v12, 2, v0
	v_addc_co_u32_e32 v7, vcc, v2, v7, vcc
	s_mov_b64 s[2:3], 0
	v_mov_b32_e32 v2, v3
	v_mov_b32_e32 v8, v3
	;; [unrolled: 1-line block ×3, first 2 shown]
.LBB933_2:                              ; =>This Inner Loop Header: Depth=1
	global_load_dword v14, v[4:5], off
	global_load_dword v15, v[6:7], off
	s_add_u32 s2, s2, 8
	s_addc_u32 s3, s3, 0
	v_add_co_u32_e64 v4, s[0:1], 32, v4
	v_addc_co_u32_e64 v5, s[0:1], 0, v5, s[0:1]
	v_add_co_u32_e64 v6, s[0:1], 32, v6
	v_addc_co_u32_e64 v7, s[0:1], 0, v7, s[0:1]
	s_waitcnt vmcnt(1)
	ds_write_b32 v10, v14
	s_waitcnt vmcnt(0)
	ds_write_b32 v11, v15
	s_waitcnt lgkmcnt(0)
	s_barrier
	ds_read2_b32 v[26:27], v12 offset1:16
	ds_read_b128 v[14:17], v13
	ds_read2_b32 v[28:29], v12 offset0:32 offset1:48
	ds_read2_b32 v[30:31], v12 offset0:64 offset1:80
	ds_read_b128 v[18:21], v13 offset:16
	ds_read2_b32 v[32:33], v12 offset0:96 offset1:112
	s_waitcnt lgkmcnt(4)
	v_fmac_f32_e32 v9, v26, v14
	v_fmac_f32_e32 v8, v27, v14
	s_waitcnt lgkmcnt(3)
	v_fmac_f32_e32 v9, v28, v15
	v_fmac_f32_e32 v8, v29, v15
	v_mov_b32_e32 v15, s3
	s_waitcnt lgkmcnt(2)
	v_fmac_f32_e32 v9, v30, v16
	v_fmac_f32_e32 v8, v31, v16
	v_mov_b32_e32 v14, s2
	s_waitcnt lgkmcnt(0)
	v_fmac_f32_e32 v9, v32, v17
	v_fmac_f32_e32 v8, v33, v17
	v_cmp_le_u64_e32 vcc, s[12:13], v[14:15]
	ds_read_b128 v[14:17], v13 offset:512
	ds_read_b128 v[22:25], v13 offset:528
	s_and_b64 vcc, exec, vcc
	s_waitcnt lgkmcnt(1)
	v_fmac_f32_e32 v2, v26, v14
	v_fmac_f32_e32 v3, v27, v14
	;; [unrolled: 1-line block ×8, first 2 shown]
	ds_read2_b32 v[14:15], v12 offset0:128 offset1:144
	ds_read2_b32 v[16:17], v12 offset0:160 offset1:176
	;; [unrolled: 1-line block ×3, first 2 shown]
	s_waitcnt lgkmcnt(2)
	v_fmac_f32_e32 v9, v14, v18
	v_fmac_f32_e32 v8, v15, v18
	v_fmac_f32_e32 v2, v14, v22
	v_fmac_f32_e32 v3, v15, v22
	ds_read2_b32 v[14:15], v12 offset0:224 offset1:240
	s_waitcnt lgkmcnt(2)
	v_fmac_f32_e32 v9, v16, v19
	v_fmac_f32_e32 v8, v17, v19
	v_fmac_f32_e32 v2, v16, v23
	v_fmac_f32_e32 v3, v17, v23
	s_waitcnt lgkmcnt(1)
	v_fmac_f32_e32 v9, v26, v20
	v_fmac_f32_e32 v8, v27, v20
	v_fmac_f32_e32 v2, v26, v24
	v_fmac_f32_e32 v3, v27, v24
	;; [unrolled: 5-line block ×3, first 2 shown]
	s_barrier
	s_cbranch_vccz .LBB933_2
	s_branch .LBB933_4
.LBB933_3:
	v_mov_b32_e32 v9, 0
	v_mov_b32_e32 v8, 0
	;; [unrolled: 1-line block ×4, first 2 shown]
.LBB933_4:
	s_load_dwordx4 s[12:15], s[4:5], 0x48
	s_load_dword s9, s[4:5], 0x0
	v_add_u32_e32 v6, s7, v1
	v_ashrrev_i32_e32 v1, 31, v6
	v_add_u32_e32 v0, s6, v0
	s_waitcnt lgkmcnt(0)
	s_mul_i32 s1, s15, s8
	s_mul_hi_u32 s2, s14, s8
	s_add_i32 s1, s2, s1
	v_mul_lo_u32 v1, s12, v1
	v_mul_lo_u32 v7, s13, v6
	v_mad_u64_u32 v[4:5], s[2:3], s12, v6, 0
	s_mul_i32 s0, s14, s8
	s_lshl_b64 s[0:1], s[0:1], 2
	v_add3_u32 v5, v5, v1, v7
	s_add_u32 s7, s26, s0
	v_lshlrev_b64 v[4:5], 2, v[4:5]
	s_addc_u32 s8, s27, s1
	v_mov_b32_e32 v1, s8
	v_add_co_u32_e32 v7, vcc, s7, v4
	v_addc_co_u32_e32 v10, vcc, v1, v5, vcc
	v_cmp_le_i32_e64 s[0:1], v6, v0
	v_cmp_gt_i32_e32 vcc, s9, v0
	s_and_b64 s[0:1], s[0:1], vcc
	s_and_saveexec_b64 s[2:3], s[0:1]
	s_cbranch_execz .LBB933_6
; %bb.5:
	v_ashrrev_i32_e32 v1, 31, v0
	v_lshlrev_b64 v[4:5], 2, v[0:1]
	v_add_co_u32_e64 v4, s[0:1], v7, v4
	v_addc_co_u32_e64 v5, s[0:1], v10, v5, s[0:1]
	global_load_dword v1, v[4:5], off
	s_waitcnt vmcnt(0)
	v_sub_f32_e32 v1, v9, v1
	global_store_dword v[4:5], v1, off
.LBB933_6:
	s_or_b64 exec, exec, s[2:3]
	v_add_u32_e32 v4, 16, v0
	v_cmp_le_i32_e64 s[2:3], v6, v4
	v_cmp_gt_i32_e64 s[0:1], s9, v4
	s_and_b64 s[2:3], s[2:3], s[0:1]
	s_and_saveexec_b64 s[4:5], s[2:3]
	s_cbranch_execz .LBB933_8
; %bb.7:
	v_ashrrev_i32_e32 v5, 31, v4
	v_lshlrev_b64 v[11:12], 2, v[4:5]
	v_add_co_u32_e64 v9, s[2:3], v7, v11
	v_addc_co_u32_e64 v10, s[2:3], v10, v12, s[2:3]
	global_load_dword v1, v[9:10], off
	s_waitcnt vmcnt(0)
	v_sub_f32_e32 v1, v8, v1
	global_store_dword v[9:10], v1, off
.LBB933_8:
	s_or_b64 exec, exec, s[4:5]
	v_add_u32_e32 v5, 16, v6
	v_ashrrev_i32_e32 v1, 31, v5
	v_mul_lo_u32 v8, s13, v5
	v_mad_u64_u32 v[6:7], s[2:3], s12, v5, 0
	v_mul_lo_u32 v1, s12, v1
	v_add3_u32 v7, v7, v1, v8
	v_lshlrev_b64 v[6:7], 2, v[6:7]
	v_mov_b32_e32 v1, s8
	v_add_co_u32_e64 v6, s[2:3], s7, v6
	v_addc_co_u32_e64 v7, s[2:3], v1, v7, s[2:3]
	v_cmp_le_i32_e64 s[2:3], v5, v0
	s_and_b64 s[4:5], s[2:3], vcc
	s_and_saveexec_b64 s[2:3], s[4:5]
	s_cbranch_execz .LBB933_10
; %bb.9:
	v_ashrrev_i32_e32 v1, 31, v0
	v_lshlrev_b64 v[0:1], 2, v[0:1]
	v_add_co_u32_e32 v0, vcc, v6, v0
	v_addc_co_u32_e32 v1, vcc, v7, v1, vcc
	global_load_dword v8, v[0:1], off
	s_waitcnt vmcnt(0)
	v_sub_f32_e32 v2, v2, v8
	global_store_dword v[0:1], v2, off
.LBB933_10:
	s_or_b64 exec, exec, s[2:3]
	v_cmp_le_i32_e32 vcc, v5, v4
	s_and_b64 s[0:1], vcc, s[0:1]
	s_and_saveexec_b64 s[2:3], s[0:1]
	s_cbranch_execz .LBB933_12
; %bb.11:
	v_ashrrev_i32_e32 v5, 31, v4
	v_lshlrev_b64 v[0:1], 2, v[4:5]
	v_add_co_u32_e32 v0, vcc, v6, v0
	v_addc_co_u32_e32 v1, vcc, v7, v1, vcc
	global_load_dword v2, v[0:1], off
	s_waitcnt vmcnt(0)
	v_sub_f32_e32 v2, v3, v2
	global_store_dword v[0:1], v2, off
.LBB933_12:
	s_endpgm
	.section	.rodata,"a",@progbits
	.p2align	6, 0x0
	.amdhsa_kernel _ZL37rocblas_syrkx_herkx_restricted_kernelIlfLi16ELi32ELi8ELi1ELin1ELb0ELc67ELc76EKffEviT_PT9_S1_lS3_S1_lPT10_S1_li
		.amdhsa_group_segment_fixed_size 2048
		.amdhsa_private_segment_fixed_size 0
		.amdhsa_kernarg_size 92
		.amdhsa_user_sgpr_count 6
		.amdhsa_user_sgpr_private_segment_buffer 1
		.amdhsa_user_sgpr_dispatch_ptr 0
		.amdhsa_user_sgpr_queue_ptr 0
		.amdhsa_user_sgpr_kernarg_segment_ptr 1
		.amdhsa_user_sgpr_dispatch_id 0
		.amdhsa_user_sgpr_flat_scratch_init 0
		.amdhsa_user_sgpr_private_segment_size 0
		.amdhsa_uses_dynamic_stack 0
		.amdhsa_system_sgpr_private_segment_wavefront_offset 0
		.amdhsa_system_sgpr_workgroup_id_x 1
		.amdhsa_system_sgpr_workgroup_id_y 1
		.amdhsa_system_sgpr_workgroup_id_z 1
		.amdhsa_system_sgpr_workgroup_info 0
		.amdhsa_system_vgpr_workitem_id 1
		.amdhsa_next_free_vgpr 34
		.amdhsa_next_free_sgpr 28
		.amdhsa_reserve_vcc 1
		.amdhsa_reserve_flat_scratch 0
		.amdhsa_float_round_mode_32 0
		.amdhsa_float_round_mode_16_64 0
		.amdhsa_float_denorm_mode_32 3
		.amdhsa_float_denorm_mode_16_64 3
		.amdhsa_dx10_clamp 1
		.amdhsa_ieee_mode 1
		.amdhsa_fp16_overflow 0
		.amdhsa_exception_fp_ieee_invalid_op 0
		.amdhsa_exception_fp_denorm_src 0
		.amdhsa_exception_fp_ieee_div_zero 0
		.amdhsa_exception_fp_ieee_overflow 0
		.amdhsa_exception_fp_ieee_underflow 0
		.amdhsa_exception_fp_ieee_inexact 0
		.amdhsa_exception_int_div_zero 0
	.end_amdhsa_kernel
	.section	.text._ZL37rocblas_syrkx_herkx_restricted_kernelIlfLi16ELi32ELi8ELi1ELin1ELb0ELc67ELc76EKffEviT_PT9_S1_lS3_S1_lPT10_S1_li,"axG",@progbits,_ZL37rocblas_syrkx_herkx_restricted_kernelIlfLi16ELi32ELi8ELi1ELin1ELb0ELc67ELc76EKffEviT_PT9_S1_lS3_S1_lPT10_S1_li,comdat
.Lfunc_end933:
	.size	_ZL37rocblas_syrkx_herkx_restricted_kernelIlfLi16ELi32ELi8ELi1ELin1ELb0ELc67ELc76EKffEviT_PT9_S1_lS3_S1_lPT10_S1_li, .Lfunc_end933-_ZL37rocblas_syrkx_herkx_restricted_kernelIlfLi16ELi32ELi8ELi1ELin1ELb0ELc67ELc76EKffEviT_PT9_S1_lS3_S1_lPT10_S1_li
                                        ; -- End function
	.set _ZL37rocblas_syrkx_herkx_restricted_kernelIlfLi16ELi32ELi8ELi1ELin1ELb0ELc67ELc76EKffEviT_PT9_S1_lS3_S1_lPT10_S1_li.num_vgpr, 34
	.set _ZL37rocblas_syrkx_herkx_restricted_kernelIlfLi16ELi32ELi8ELi1ELin1ELb0ELc67ELc76EKffEviT_PT9_S1_lS3_S1_lPT10_S1_li.num_agpr, 0
	.set _ZL37rocblas_syrkx_herkx_restricted_kernelIlfLi16ELi32ELi8ELi1ELin1ELb0ELc67ELc76EKffEviT_PT9_S1_lS3_S1_lPT10_S1_li.numbered_sgpr, 28
	.set _ZL37rocblas_syrkx_herkx_restricted_kernelIlfLi16ELi32ELi8ELi1ELin1ELb0ELc67ELc76EKffEviT_PT9_S1_lS3_S1_lPT10_S1_li.num_named_barrier, 0
	.set _ZL37rocblas_syrkx_herkx_restricted_kernelIlfLi16ELi32ELi8ELi1ELin1ELb0ELc67ELc76EKffEviT_PT9_S1_lS3_S1_lPT10_S1_li.private_seg_size, 0
	.set _ZL37rocblas_syrkx_herkx_restricted_kernelIlfLi16ELi32ELi8ELi1ELin1ELb0ELc67ELc76EKffEviT_PT9_S1_lS3_S1_lPT10_S1_li.uses_vcc, 1
	.set _ZL37rocblas_syrkx_herkx_restricted_kernelIlfLi16ELi32ELi8ELi1ELin1ELb0ELc67ELc76EKffEviT_PT9_S1_lS3_S1_lPT10_S1_li.uses_flat_scratch, 0
	.set _ZL37rocblas_syrkx_herkx_restricted_kernelIlfLi16ELi32ELi8ELi1ELin1ELb0ELc67ELc76EKffEviT_PT9_S1_lS3_S1_lPT10_S1_li.has_dyn_sized_stack, 0
	.set _ZL37rocblas_syrkx_herkx_restricted_kernelIlfLi16ELi32ELi8ELi1ELin1ELb0ELc67ELc76EKffEviT_PT9_S1_lS3_S1_lPT10_S1_li.has_recursion, 0
	.set _ZL37rocblas_syrkx_herkx_restricted_kernelIlfLi16ELi32ELi8ELi1ELin1ELb0ELc67ELc76EKffEviT_PT9_S1_lS3_S1_lPT10_S1_li.has_indirect_call, 0
	.section	.AMDGPU.csdata,"",@progbits
; Kernel info:
; codeLenInByte = 1184
; TotalNumSgprs: 32
; NumVgprs: 34
; ScratchSize: 0
; MemoryBound: 0
; FloatMode: 240
; IeeeMode: 1
; LDSByteSize: 2048 bytes/workgroup (compile time only)
; SGPRBlocks: 3
; VGPRBlocks: 8
; NumSGPRsForWavesPerEU: 32
; NumVGPRsForWavesPerEU: 34
; Occupancy: 7
; WaveLimiterHint : 1
; COMPUTE_PGM_RSRC2:SCRATCH_EN: 0
; COMPUTE_PGM_RSRC2:USER_SGPR: 6
; COMPUTE_PGM_RSRC2:TRAP_HANDLER: 0
; COMPUTE_PGM_RSRC2:TGID_X_EN: 1
; COMPUTE_PGM_RSRC2:TGID_Y_EN: 1
; COMPUTE_PGM_RSRC2:TGID_Z_EN: 1
; COMPUTE_PGM_RSRC2:TIDIG_COMP_CNT: 1
	.section	.text._ZL37rocblas_syrkx_herkx_restricted_kernelIlfLi16ELi32ELi8ELi1ELin1ELb0ELc78ELc76EKffEviT_PT9_S1_lS3_S1_lPT10_S1_li,"axG",@progbits,_ZL37rocblas_syrkx_herkx_restricted_kernelIlfLi16ELi32ELi8ELi1ELin1ELb0ELc78ELc76EKffEviT_PT9_S1_lS3_S1_lPT10_S1_li,comdat
	.globl	_ZL37rocblas_syrkx_herkx_restricted_kernelIlfLi16ELi32ELi8ELi1ELin1ELb0ELc78ELc76EKffEviT_PT9_S1_lS3_S1_lPT10_S1_li ; -- Begin function _ZL37rocblas_syrkx_herkx_restricted_kernelIlfLi16ELi32ELi8ELi1ELin1ELb0ELc78ELc76EKffEviT_PT9_S1_lS3_S1_lPT10_S1_li
	.p2align	8
	.type	_ZL37rocblas_syrkx_herkx_restricted_kernelIlfLi16ELi32ELi8ELi1ELin1ELb0ELc78ELc76EKffEviT_PT9_S1_lS3_S1_lPT10_S1_li,@function
_ZL37rocblas_syrkx_herkx_restricted_kernelIlfLi16ELi32ELi8ELi1ELin1ELb0ELc78ELc76EKffEviT_PT9_S1_lS3_S1_lPT10_S1_li: ; @_ZL37rocblas_syrkx_herkx_restricted_kernelIlfLi16ELi32ELi8ELi1ELin1ELb0ELc78ELc76EKffEviT_PT9_S1_lS3_S1_lPT10_S1_li
; %bb.0:
	s_load_dwordx16 s[12:27], s[4:5], 0x8
	s_lshl_b32 s9, s6, 5
	s_lshl_b32 s28, s7, 5
	s_waitcnt lgkmcnt(0)
	v_cmp_lt_i64_e64 s[0:1], s[12:13], 1
	s_and_b64 vcc, exec, s[0:1]
	s_cbranch_vccnz .LBB934_3
; %bb.1:
	v_lshl_add_u32 v7, v1, 4, v0
	v_lshrrev_b32_e32 v8, 3, v7
	v_add_u32_e32 v2, s28, v8
	v_and_b32_e32 v6, 7, v0
	v_ashrrev_i32_e32 v3, 31, v2
	v_mad_u64_u32 v[4:5], s[0:1], s22, v6, v[2:3]
	v_lshrrev_b32_e32 v9, 5, v7
	s_mul_i32 s2, s19, s8
	v_mov_b32_e32 v2, v5
	v_mad_u64_u32 v[2:3], s[0:1], s23, v6, v[2:3]
	v_and_b32_e32 v3, 31, v7
	v_lshlrev_b32_e32 v7, 2, v3
	v_mov_b32_e32 v5, v2
	v_lshlrev_b32_e32 v2, 2, v6
	v_lshl_or_b32 v2, v8, 5, v2
	v_add_u32_e32 v11, 0x400, v2
	v_add_u32_e32 v2, s9, v3
	v_ashrrev_i32_e32 v3, 31, v2
	v_mad_u64_u32 v[2:3], s[0:1], s16, v9, v[2:3]
	v_mov_b32_e32 v6, 0x400
	v_lshl_or_b32 v10, v9, 7, v7
	v_lshl_add_u32 v13, v1, 5, v6
	v_mad_u64_u32 v[6:7], s[0:1], s17, v9, v[3:4]
	s_mul_hi_u32 s3, s18, s8
	s_add_i32 s1, s3, s2
	s_mul_i32 s0, s18, s8
	s_lshl_b64 s[0:1], s[0:1], 2
	v_mov_b32_e32 v3, v6
	v_lshlrev_b64 v[2:3], 2, v[2:3]
	s_add_u32 s0, s14, s0
	s_addc_u32 s1, s15, s1
	v_mov_b32_e32 v6, s1
	v_add_co_u32_e32 v2, vcc, s0, v2
	s_mul_i32 s0, s25, s8
	s_mul_hi_u32 s1, s24, s8
	s_add_i32 s1, s1, s0
	s_mul_i32 s0, s24, s8
	s_lshl_b64 s[2:3], s[16:17], 5
	s_lshl_b64 s[0:1], s[0:1], 2
	v_lshlrev_b64 v[4:5], 2, v[4:5]
	s_add_u32 s0, s20, s0
	v_addc_co_u32_e32 v3, vcc, v6, v3, vcc
	s_addc_u32 s1, s21, s1
	v_mov_b32_e32 v6, s1
	v_add_co_u32_e32 v4, vcc, s0, v4
	v_lshlrev_b32_e32 v12, 2, v0
	v_addc_co_u32_e32 v5, vcc, v6, v5, vcc
	s_lshl_b64 s[6:7], s[22:23], 5
	v_mov_b32_e32 v6, 0
	s_mov_b64 s[10:11], 0
	v_mov_b32_e32 v7, 0
	v_mov_b32_e32 v8, 0
	;; [unrolled: 1-line block ×3, first 2 shown]
.LBB934_2:                              ; =>This Inner Loop Header: Depth=1
	global_load_dword v16, v[2:3], off
	global_load_dword v17, v[4:5], off
	s_add_u32 s10, s10, 8
	s_addc_u32 s11, s11, 0
	v_mov_b32_e32 v15, s11
	v_mov_b32_e32 v14, s10
	v_cmp_le_u64_e32 vcc, s[12:13], v[14:15]
	v_add_co_u32_e64 v2, s[0:1], s2, v2
	s_and_b64 vcc, exec, vcc
	s_waitcnt vmcnt(1)
	ds_write_b32 v10, v16
	s_waitcnt vmcnt(0)
	ds_write_b32 v11, v17
	s_waitcnt lgkmcnt(0)
	s_barrier
	ds_read2_b32 v[26:27], v12 offset1:16
	ds_read_b128 v[14:17], v13
	ds_read2_b32 v[28:29], v12 offset0:32 offset1:48
	ds_read2_b32 v[30:31], v12 offset0:64 offset1:80
	;; [unrolled: 1-line block ×3, first 2 shown]
	ds_read_b128 v[18:21], v13 offset:16
	s_waitcnt lgkmcnt(4)
	v_fmac_f32_e32 v9, v26, v14
	v_fmac_f32_e32 v8, v27, v14
	s_waitcnt lgkmcnt(3)
	v_fmac_f32_e32 v9, v28, v15
	v_fmac_f32_e32 v8, v29, v15
	;; [unrolled: 3-line block ×4, first 2 shown]
	ds_read_b128 v[14:17], v13 offset:512
	ds_read_b128 v[22:25], v13 offset:528
	s_waitcnt lgkmcnt(1)
	v_fmac_f32_e32 v7, v26, v14
	v_fmac_f32_e32 v6, v27, v14
	v_mov_b32_e32 v14, s3
	v_addc_co_u32_e64 v3, s[0:1], v3, v14, s[0:1]
	v_mov_b32_e32 v14, s7
	v_add_co_u32_e64 v4, s[0:1], s6, v4
	v_fmac_f32_e32 v7, v28, v15
	v_fmac_f32_e32 v6, v29, v15
	v_addc_co_u32_e64 v5, s[0:1], v5, v14, s[0:1]
	ds_read2_b32 v[14:15], v12 offset0:128 offset1:144
	v_fmac_f32_e32 v7, v30, v16
	v_fmac_f32_e32 v6, v31, v16
	;; [unrolled: 1-line block ×4, first 2 shown]
	ds_read2_b32 v[16:17], v12 offset0:160 offset1:176
	ds_read2_b32 v[26:27], v12 offset0:192 offset1:208
	;; [unrolled: 1-line block ×3, first 2 shown]
	s_waitcnt lgkmcnt(3)
	v_fmac_f32_e32 v9, v14, v18
	v_fmac_f32_e32 v8, v15, v18
	v_fmac_f32_e32 v7, v14, v22
	v_fmac_f32_e32 v6, v15, v22
	s_waitcnt lgkmcnt(2)
	v_fmac_f32_e32 v9, v16, v19
	v_fmac_f32_e32 v8, v17, v19
	v_fmac_f32_e32 v7, v16, v23
	v_fmac_f32_e32 v6, v17, v23
	;; [unrolled: 5-line block ×4, first 2 shown]
	s_barrier
	s_cbranch_vccz .LBB934_2
	s_branch .LBB934_4
.LBB934_3:
	v_mov_b32_e32 v9, 0
	v_mov_b32_e32 v8, 0
	;; [unrolled: 1-line block ×4, first 2 shown]
.LBB934_4:
	s_load_dwordx4 s[12:15], s[4:5], 0x48
	s_load_dword s10, s[4:5], 0x0
	v_add_u32_e32 v4, s28, v1
	v_ashrrev_i32_e32 v1, 31, v4
	v_add_u32_e32 v0, s9, v0
	s_waitcnt lgkmcnt(0)
	s_mul_i32 s1, s15, s8
	s_mul_hi_u32 s2, s14, s8
	s_add_i32 s1, s2, s1
	v_mul_lo_u32 v3, s12, v1
	v_mul_lo_u32 v5, s13, v4
	v_mad_u64_u32 v[1:2], s[2:3], s12, v4, 0
	s_mul_i32 s0, s14, s8
	s_lshl_b64 s[0:1], s[0:1], 2
	v_add3_u32 v2, v2, v3, v5
	s_add_u32 s6, s26, s0
	v_lshlrev_b64 v[1:2], 2, v[1:2]
	s_addc_u32 s7, s27, s1
	v_mov_b32_e32 v3, s7
	v_add_co_u32_e32 v5, vcc, s6, v1
	v_addc_co_u32_e32 v10, vcc, v3, v2, vcc
	v_cmp_le_i32_e64 s[0:1], v4, v0
	v_cmp_gt_i32_e32 vcc, s10, v0
	s_and_b64 s[0:1], s[0:1], vcc
	s_and_saveexec_b64 s[2:3], s[0:1]
	s_cbranch_execz .LBB934_6
; %bb.5:
	v_ashrrev_i32_e32 v1, 31, v0
	v_lshlrev_b64 v[1:2], 2, v[0:1]
	v_add_co_u32_e64 v1, s[0:1], v5, v1
	v_addc_co_u32_e64 v2, s[0:1], v10, v2, s[0:1]
	global_load_dword v3, v[1:2], off
	s_waitcnt vmcnt(0)
	v_sub_f32_e32 v3, v9, v3
	global_store_dword v[1:2], v3, off
.LBB934_6:
	s_or_b64 exec, exec, s[2:3]
	v_add_u32_e32 v2, 16, v0
	v_cmp_le_i32_e64 s[2:3], v4, v2
	v_cmp_gt_i32_e64 s[0:1], s10, v2
	s_and_b64 s[2:3], s[2:3], s[0:1]
	s_and_saveexec_b64 s[4:5], s[2:3]
	s_cbranch_execz .LBB934_8
; %bb.7:
	v_ashrrev_i32_e32 v3, 31, v2
	v_lshlrev_b64 v[11:12], 2, v[2:3]
	v_add_co_u32_e64 v9, s[2:3], v5, v11
	v_addc_co_u32_e64 v10, s[2:3], v10, v12, s[2:3]
	global_load_dword v1, v[9:10], off
	s_waitcnt vmcnt(0)
	v_sub_f32_e32 v1, v8, v1
	global_store_dword v[9:10], v1, off
.LBB934_8:
	s_or_b64 exec, exec, s[4:5]
	v_add_u32_e32 v3, 16, v4
	v_ashrrev_i32_e32 v1, 31, v3
	v_mul_lo_u32 v8, s13, v3
	v_mad_u64_u32 v[4:5], s[2:3], s12, v3, 0
	v_mul_lo_u32 v1, s12, v1
	v_add3_u32 v5, v5, v1, v8
	v_lshlrev_b64 v[4:5], 2, v[4:5]
	v_mov_b32_e32 v1, s7
	v_add_co_u32_e64 v4, s[2:3], s6, v4
	v_addc_co_u32_e64 v5, s[2:3], v1, v5, s[2:3]
	v_cmp_le_i32_e64 s[2:3], v3, v0
	s_and_b64 s[4:5], s[2:3], vcc
	s_and_saveexec_b64 s[2:3], s[4:5]
	s_cbranch_execz .LBB934_10
; %bb.9:
	v_ashrrev_i32_e32 v1, 31, v0
	v_lshlrev_b64 v[0:1], 2, v[0:1]
	v_add_co_u32_e32 v0, vcc, v4, v0
	v_addc_co_u32_e32 v1, vcc, v5, v1, vcc
	global_load_dword v8, v[0:1], off
	s_waitcnt vmcnt(0)
	v_sub_f32_e32 v7, v7, v8
	global_store_dword v[0:1], v7, off
.LBB934_10:
	s_or_b64 exec, exec, s[2:3]
	v_cmp_le_i32_e32 vcc, v3, v2
	s_and_b64 s[0:1], vcc, s[0:1]
	s_and_saveexec_b64 s[2:3], s[0:1]
	s_cbranch_execz .LBB934_12
; %bb.11:
	v_ashrrev_i32_e32 v3, 31, v2
	v_lshlrev_b64 v[0:1], 2, v[2:3]
	v_add_co_u32_e32 v0, vcc, v4, v0
	v_addc_co_u32_e32 v1, vcc, v5, v1, vcc
	global_load_dword v2, v[0:1], off
	s_waitcnt vmcnt(0)
	v_sub_f32_e32 v2, v6, v2
	global_store_dword v[0:1], v2, off
.LBB934_12:
	s_endpgm
	.section	.rodata,"a",@progbits
	.p2align	6, 0x0
	.amdhsa_kernel _ZL37rocblas_syrkx_herkx_restricted_kernelIlfLi16ELi32ELi8ELi1ELin1ELb0ELc78ELc76EKffEviT_PT9_S1_lS3_S1_lPT10_S1_li
		.amdhsa_group_segment_fixed_size 2048
		.amdhsa_private_segment_fixed_size 0
		.amdhsa_kernarg_size 92
		.amdhsa_user_sgpr_count 6
		.amdhsa_user_sgpr_private_segment_buffer 1
		.amdhsa_user_sgpr_dispatch_ptr 0
		.amdhsa_user_sgpr_queue_ptr 0
		.amdhsa_user_sgpr_kernarg_segment_ptr 1
		.amdhsa_user_sgpr_dispatch_id 0
		.amdhsa_user_sgpr_flat_scratch_init 0
		.amdhsa_user_sgpr_private_segment_size 0
		.amdhsa_uses_dynamic_stack 0
		.amdhsa_system_sgpr_private_segment_wavefront_offset 0
		.amdhsa_system_sgpr_workgroup_id_x 1
		.amdhsa_system_sgpr_workgroup_id_y 1
		.amdhsa_system_sgpr_workgroup_id_z 1
		.amdhsa_system_sgpr_workgroup_info 0
		.amdhsa_system_vgpr_workitem_id 1
		.amdhsa_next_free_vgpr 34
		.amdhsa_next_free_sgpr 29
		.amdhsa_reserve_vcc 1
		.amdhsa_reserve_flat_scratch 0
		.amdhsa_float_round_mode_32 0
		.amdhsa_float_round_mode_16_64 0
		.amdhsa_float_denorm_mode_32 3
		.amdhsa_float_denorm_mode_16_64 3
		.amdhsa_dx10_clamp 1
		.amdhsa_ieee_mode 1
		.amdhsa_fp16_overflow 0
		.amdhsa_exception_fp_ieee_invalid_op 0
		.amdhsa_exception_fp_denorm_src 0
		.amdhsa_exception_fp_ieee_div_zero 0
		.amdhsa_exception_fp_ieee_overflow 0
		.amdhsa_exception_fp_ieee_underflow 0
		.amdhsa_exception_fp_ieee_inexact 0
		.amdhsa_exception_int_div_zero 0
	.end_amdhsa_kernel
	.section	.text._ZL37rocblas_syrkx_herkx_restricted_kernelIlfLi16ELi32ELi8ELi1ELin1ELb0ELc78ELc76EKffEviT_PT9_S1_lS3_S1_lPT10_S1_li,"axG",@progbits,_ZL37rocblas_syrkx_herkx_restricted_kernelIlfLi16ELi32ELi8ELi1ELin1ELb0ELc78ELc76EKffEviT_PT9_S1_lS3_S1_lPT10_S1_li,comdat
.Lfunc_end934:
	.size	_ZL37rocblas_syrkx_herkx_restricted_kernelIlfLi16ELi32ELi8ELi1ELin1ELb0ELc78ELc76EKffEviT_PT9_S1_lS3_S1_lPT10_S1_li, .Lfunc_end934-_ZL37rocblas_syrkx_herkx_restricted_kernelIlfLi16ELi32ELi8ELi1ELin1ELb0ELc78ELc76EKffEviT_PT9_S1_lS3_S1_lPT10_S1_li
                                        ; -- End function
	.set _ZL37rocblas_syrkx_herkx_restricted_kernelIlfLi16ELi32ELi8ELi1ELin1ELb0ELc78ELc76EKffEviT_PT9_S1_lS3_S1_lPT10_S1_li.num_vgpr, 34
	.set _ZL37rocblas_syrkx_herkx_restricted_kernelIlfLi16ELi32ELi8ELi1ELin1ELb0ELc78ELc76EKffEviT_PT9_S1_lS3_S1_lPT10_S1_li.num_agpr, 0
	.set _ZL37rocblas_syrkx_herkx_restricted_kernelIlfLi16ELi32ELi8ELi1ELin1ELb0ELc78ELc76EKffEviT_PT9_S1_lS3_S1_lPT10_S1_li.numbered_sgpr, 29
	.set _ZL37rocblas_syrkx_herkx_restricted_kernelIlfLi16ELi32ELi8ELi1ELin1ELb0ELc78ELc76EKffEviT_PT9_S1_lS3_S1_lPT10_S1_li.num_named_barrier, 0
	.set _ZL37rocblas_syrkx_herkx_restricted_kernelIlfLi16ELi32ELi8ELi1ELin1ELb0ELc78ELc76EKffEviT_PT9_S1_lS3_S1_lPT10_S1_li.private_seg_size, 0
	.set _ZL37rocblas_syrkx_herkx_restricted_kernelIlfLi16ELi32ELi8ELi1ELin1ELb0ELc78ELc76EKffEviT_PT9_S1_lS3_S1_lPT10_S1_li.uses_vcc, 1
	.set _ZL37rocblas_syrkx_herkx_restricted_kernelIlfLi16ELi32ELi8ELi1ELin1ELb0ELc78ELc76EKffEviT_PT9_S1_lS3_S1_lPT10_S1_li.uses_flat_scratch, 0
	.set _ZL37rocblas_syrkx_herkx_restricted_kernelIlfLi16ELi32ELi8ELi1ELin1ELb0ELc78ELc76EKffEviT_PT9_S1_lS3_S1_lPT10_S1_li.has_dyn_sized_stack, 0
	.set _ZL37rocblas_syrkx_herkx_restricted_kernelIlfLi16ELi32ELi8ELi1ELin1ELb0ELc78ELc76EKffEviT_PT9_S1_lS3_S1_lPT10_S1_li.has_recursion, 0
	.set _ZL37rocblas_syrkx_herkx_restricted_kernelIlfLi16ELi32ELi8ELi1ELin1ELb0ELc78ELc76EKffEviT_PT9_S1_lS3_S1_lPT10_S1_li.has_indirect_call, 0
	.section	.AMDGPU.csdata,"",@progbits
; Kernel info:
; codeLenInByte = 1176
; TotalNumSgprs: 33
; NumVgprs: 34
; ScratchSize: 0
; MemoryBound: 0
; FloatMode: 240
; IeeeMode: 1
; LDSByteSize: 2048 bytes/workgroup (compile time only)
; SGPRBlocks: 4
; VGPRBlocks: 8
; NumSGPRsForWavesPerEU: 33
; NumVGPRsForWavesPerEU: 34
; Occupancy: 7
; WaveLimiterHint : 1
; COMPUTE_PGM_RSRC2:SCRATCH_EN: 0
; COMPUTE_PGM_RSRC2:USER_SGPR: 6
; COMPUTE_PGM_RSRC2:TRAP_HANDLER: 0
; COMPUTE_PGM_RSRC2:TGID_X_EN: 1
; COMPUTE_PGM_RSRC2:TGID_Y_EN: 1
; COMPUTE_PGM_RSRC2:TGID_Z_EN: 1
; COMPUTE_PGM_RSRC2:TIDIG_COMP_CNT: 1
	.section	.text._ZL37rocblas_syrkx_herkx_restricted_kernelIlfLi16ELi32ELi8ELi1ELin1ELb0ELc84ELc85EKffEviT_PT9_S1_lS3_S1_lPT10_S1_li,"axG",@progbits,_ZL37rocblas_syrkx_herkx_restricted_kernelIlfLi16ELi32ELi8ELi1ELin1ELb0ELc84ELc85EKffEviT_PT9_S1_lS3_S1_lPT10_S1_li,comdat
	.globl	_ZL37rocblas_syrkx_herkx_restricted_kernelIlfLi16ELi32ELi8ELi1ELin1ELb0ELc84ELc85EKffEviT_PT9_S1_lS3_S1_lPT10_S1_li ; -- Begin function _ZL37rocblas_syrkx_herkx_restricted_kernelIlfLi16ELi32ELi8ELi1ELin1ELb0ELc84ELc85EKffEviT_PT9_S1_lS3_S1_lPT10_S1_li
	.p2align	8
	.type	_ZL37rocblas_syrkx_herkx_restricted_kernelIlfLi16ELi32ELi8ELi1ELin1ELb0ELc84ELc85EKffEviT_PT9_S1_lS3_S1_lPT10_S1_li,@function
_ZL37rocblas_syrkx_herkx_restricted_kernelIlfLi16ELi32ELi8ELi1ELin1ELb0ELc84ELc85EKffEviT_PT9_S1_lS3_S1_lPT10_S1_li: ; @_ZL37rocblas_syrkx_herkx_restricted_kernelIlfLi16ELi32ELi8ELi1ELin1ELb0ELc84ELc85EKffEviT_PT9_S1_lS3_S1_lPT10_S1_li
; %bb.0:
	s_load_dwordx16 s[12:27], s[4:5], 0x8
	s_lshl_b32 s6, s6, 5
	s_lshl_b32 s7, s7, 5
	s_waitcnt lgkmcnt(0)
	v_cmp_lt_i64_e64 s[0:1], s[12:13], 1
	s_and_b64 vcc, exec, s[0:1]
	s_cbranch_vccnz .LBB935_3
; %bb.1:
	v_lshl_add_u32 v4, v1, 4, v0
	v_lshrrev_b32_e32 v8, 3, v4
	v_add_u32_e32 v5, s7, v8
	v_ashrrev_i32_e32 v6, 31, v5
	v_and_b32_e32 v2, 7, v0
	v_mov_b32_e32 v3, 0
	v_mul_lo_u32 v9, s22, v6
	v_mul_lo_u32 v10, s23, v5
	v_mad_u64_u32 v[6:7], s[0:1], s22, v5, v[2:3]
	v_lshlrev_b32_e32 v2, 2, v2
	v_lshl_or_b32 v2, v8, 5, v2
	v_add3_u32 v7, v10, v7, v9
	v_and_b32_e32 v9, 31, v4
	v_add_u32_e32 v11, 0x400, v2
	v_mov_b32_e32 v2, 0x400
	v_lshl_add_u32 v13, v1, 5, v2
	v_add_u32_e32 v2, s6, v9
	v_lshrrev_b32_e32 v4, 5, v4
	v_mov_b32_e32 v5, v3
	v_lshlrev_b32_e32 v10, 2, v9
	v_ashrrev_i32_e32 v8, 31, v2
	v_lshl_or_b32 v10, v4, 7, v10
	v_mul_lo_u32 v8, s16, v8
	v_mad_u64_u32 v[4:5], s[0:1], s16, v2, v[4:5]
	v_mul_lo_u32 v2, s17, v2
	s_mul_i32 s2, s19, s8
	s_mul_hi_u32 s3, s18, s8
	s_add_i32 s1, s3, s2
	s_mul_i32 s0, s18, s8
	s_lshl_b64 s[0:1], s[0:1], 2
	v_add3_u32 v5, v2, v5, v8
	v_lshlrev_b64 v[4:5], 2, v[4:5]
	s_add_u32 s0, s14, s0
	s_addc_u32 s1, s15, s1
	v_mov_b32_e32 v2, s1
	v_add_co_u32_e32 v4, vcc, s0, v4
	s_mul_i32 s0, s25, s8
	s_mul_hi_u32 s1, s24, s8
	s_add_i32 s1, s1, s0
	s_mul_i32 s0, s24, s8
	s_lshl_b64 s[0:1], s[0:1], 2
	v_lshlrev_b64 v[6:7], 2, v[6:7]
	s_add_u32 s0, s20, s0
	v_addc_co_u32_e32 v5, vcc, v2, v5, vcc
	s_addc_u32 s1, s21, s1
	v_mov_b32_e32 v2, s1
	v_add_co_u32_e32 v6, vcc, s0, v6
	v_lshlrev_b32_e32 v12, 2, v0
	v_addc_co_u32_e32 v7, vcc, v2, v7, vcc
	s_mov_b64 s[2:3], 0
	v_mov_b32_e32 v2, v3
	v_mov_b32_e32 v8, v3
	;; [unrolled: 1-line block ×3, first 2 shown]
.LBB935_2:                              ; =>This Inner Loop Header: Depth=1
	global_load_dword v14, v[4:5], off
	global_load_dword v15, v[6:7], off
	s_add_u32 s2, s2, 8
	s_addc_u32 s3, s3, 0
	v_add_co_u32_e64 v4, s[0:1], 32, v4
	v_addc_co_u32_e64 v5, s[0:1], 0, v5, s[0:1]
	v_add_co_u32_e64 v6, s[0:1], 32, v6
	v_addc_co_u32_e64 v7, s[0:1], 0, v7, s[0:1]
	s_waitcnt vmcnt(1)
	ds_write_b32 v10, v14
	s_waitcnt vmcnt(0)
	ds_write_b32 v11, v15
	s_waitcnt lgkmcnt(0)
	s_barrier
	ds_read2_b32 v[26:27], v12 offset1:16
	ds_read_b128 v[14:17], v13
	ds_read2_b32 v[28:29], v12 offset0:32 offset1:48
	ds_read2_b32 v[30:31], v12 offset0:64 offset1:80
	ds_read_b128 v[18:21], v13 offset:16
	ds_read2_b32 v[32:33], v12 offset0:96 offset1:112
	s_waitcnt lgkmcnt(4)
	v_fmac_f32_e32 v9, v26, v14
	v_fmac_f32_e32 v8, v27, v14
	s_waitcnt lgkmcnt(3)
	v_fmac_f32_e32 v9, v28, v15
	v_fmac_f32_e32 v8, v29, v15
	v_mov_b32_e32 v15, s3
	s_waitcnt lgkmcnt(2)
	v_fmac_f32_e32 v9, v30, v16
	v_fmac_f32_e32 v8, v31, v16
	v_mov_b32_e32 v14, s2
	s_waitcnt lgkmcnt(0)
	v_fmac_f32_e32 v9, v32, v17
	v_fmac_f32_e32 v8, v33, v17
	v_cmp_le_u64_e32 vcc, s[12:13], v[14:15]
	ds_read_b128 v[14:17], v13 offset:512
	ds_read_b128 v[22:25], v13 offset:528
	s_and_b64 vcc, exec, vcc
	s_waitcnt lgkmcnt(1)
	v_fmac_f32_e32 v2, v26, v14
	v_fmac_f32_e32 v3, v27, v14
	;; [unrolled: 1-line block ×8, first 2 shown]
	ds_read2_b32 v[14:15], v12 offset0:128 offset1:144
	ds_read2_b32 v[16:17], v12 offset0:160 offset1:176
	;; [unrolled: 1-line block ×3, first 2 shown]
	s_waitcnt lgkmcnt(2)
	v_fmac_f32_e32 v9, v14, v18
	v_fmac_f32_e32 v8, v15, v18
	;; [unrolled: 1-line block ×4, first 2 shown]
	ds_read2_b32 v[14:15], v12 offset0:224 offset1:240
	s_waitcnt lgkmcnt(2)
	v_fmac_f32_e32 v9, v16, v19
	v_fmac_f32_e32 v8, v17, v19
	v_fmac_f32_e32 v2, v16, v23
	v_fmac_f32_e32 v3, v17, v23
	s_waitcnt lgkmcnt(1)
	v_fmac_f32_e32 v9, v26, v20
	v_fmac_f32_e32 v8, v27, v20
	v_fmac_f32_e32 v2, v26, v24
	v_fmac_f32_e32 v3, v27, v24
	s_waitcnt lgkmcnt(0)
	v_fmac_f32_e32 v9, v14, v21
	v_fmac_f32_e32 v8, v15, v21
	v_fmac_f32_e32 v2, v14, v25
	v_fmac_f32_e32 v3, v15, v25
	s_barrier
	s_cbranch_vccz .LBB935_2
	s_branch .LBB935_4
.LBB935_3:
	v_mov_b32_e32 v9, 0
	v_mov_b32_e32 v8, 0
	;; [unrolled: 1-line block ×4, first 2 shown]
.LBB935_4:
	s_load_dwordx4 s[12:15], s[4:5], 0x48
	s_load_dword s9, s[4:5], 0x0
	v_add_u32_e32 v6, s7, v1
	v_ashrrev_i32_e32 v1, 31, v6
	v_add_u32_e32 v0, s6, v0
	s_waitcnt lgkmcnt(0)
	s_mul_i32 s1, s15, s8
	s_mul_hi_u32 s2, s14, s8
	s_add_i32 s1, s2, s1
	v_mul_lo_u32 v1, s12, v1
	v_mul_lo_u32 v7, s13, v6
	v_mad_u64_u32 v[4:5], s[2:3], s12, v6, 0
	s_mul_i32 s0, s14, s8
	s_lshl_b64 s[0:1], s[0:1], 2
	v_add3_u32 v5, v5, v1, v7
	s_add_u32 s4, s26, s0
	v_lshlrev_b64 v[4:5], 2, v[4:5]
	s_addc_u32 s5, s27, s1
	v_mov_b32_e32 v1, s5
	v_add_co_u32_e64 v7, s[0:1], s4, v4
	v_addc_co_u32_e64 v10, s[0:1], v1, v5, s[0:1]
	v_cmp_gt_i32_e32 vcc, s9, v6
	v_cmp_le_i32_e64 s[0:1], v0, v6
	s_and_b64 s[0:1], vcc, s[0:1]
	s_and_saveexec_b64 s[2:3], s[0:1]
	s_cbranch_execz .LBB935_6
; %bb.5:
	v_ashrrev_i32_e32 v1, 31, v0
	v_lshlrev_b64 v[4:5], 2, v[0:1]
	v_add_co_u32_e64 v4, s[0:1], v7, v4
	v_addc_co_u32_e64 v5, s[0:1], v10, v5, s[0:1]
	global_load_dword v1, v[4:5], off
	s_waitcnt vmcnt(0)
	v_sub_f32_e32 v1, v9, v1
	global_store_dword v[4:5], v1, off
.LBB935_6:
	s_or_b64 exec, exec, s[2:3]
	v_add_u32_e32 v4, 16, v0
	v_cmp_le_i32_e64 s[0:1], v4, v6
	s_and_b64 s[2:3], vcc, s[0:1]
	s_and_saveexec_b64 s[0:1], s[2:3]
	s_cbranch_execz .LBB935_8
; %bb.7:
	v_ashrrev_i32_e32 v5, 31, v4
	v_lshlrev_b64 v[11:12], 2, v[4:5]
	v_add_co_u32_e32 v9, vcc, v7, v11
	v_addc_co_u32_e32 v10, vcc, v10, v12, vcc
	global_load_dword v1, v[9:10], off
	s_waitcnt vmcnt(0)
	v_sub_f32_e32 v1, v8, v1
	global_store_dword v[9:10], v1, off
.LBB935_8:
	s_or_b64 exec, exec, s[0:1]
	v_add_u32_e32 v5, 16, v6
	v_ashrrev_i32_e32 v1, 31, v5
	v_mul_lo_u32 v1, s12, v1
	v_mul_lo_u32 v8, s13, v5
	v_mad_u64_u32 v[6:7], s[0:1], s12, v5, 0
	v_cmp_gt_i32_e32 vcc, s9, v5
	v_add3_u32 v7, v7, v1, v8
	v_lshlrev_b64 v[6:7], 2, v[6:7]
	v_mov_b32_e32 v1, s5
	v_add_co_u32_e64 v6, s[0:1], s4, v6
	v_addc_co_u32_e64 v7, s[0:1], v1, v7, s[0:1]
	v_cmp_le_i32_e64 s[0:1], v0, v5
	s_and_b64 s[0:1], vcc, s[0:1]
	s_and_saveexec_b64 s[2:3], s[0:1]
	s_cbranch_execz .LBB935_10
; %bb.9:
	v_ashrrev_i32_e32 v1, 31, v0
	v_lshlrev_b64 v[0:1], 2, v[0:1]
	v_add_co_u32_e64 v0, s[0:1], v6, v0
	v_addc_co_u32_e64 v1, s[0:1], v7, v1, s[0:1]
	global_load_dword v8, v[0:1], off
	s_waitcnt vmcnt(0)
	v_sub_f32_e32 v2, v2, v8
	global_store_dword v[0:1], v2, off
.LBB935_10:
	s_or_b64 exec, exec, s[2:3]
	v_cmp_le_i32_e64 s[0:1], v4, v5
	s_and_b64 s[0:1], vcc, s[0:1]
	s_and_saveexec_b64 s[2:3], s[0:1]
	s_cbranch_execz .LBB935_12
; %bb.11:
	v_ashrrev_i32_e32 v5, 31, v4
	v_lshlrev_b64 v[0:1], 2, v[4:5]
	v_add_co_u32_e32 v0, vcc, v6, v0
	v_addc_co_u32_e32 v1, vcc, v7, v1, vcc
	global_load_dword v2, v[0:1], off
	s_waitcnt vmcnt(0)
	v_sub_f32_e32 v2, v3, v2
	global_store_dword v[0:1], v2, off
.LBB935_12:
	s_endpgm
	.section	.rodata,"a",@progbits
	.p2align	6, 0x0
	.amdhsa_kernel _ZL37rocblas_syrkx_herkx_restricted_kernelIlfLi16ELi32ELi8ELi1ELin1ELb0ELc84ELc85EKffEviT_PT9_S1_lS3_S1_lPT10_S1_li
		.amdhsa_group_segment_fixed_size 2048
		.amdhsa_private_segment_fixed_size 0
		.amdhsa_kernarg_size 92
		.amdhsa_user_sgpr_count 6
		.amdhsa_user_sgpr_private_segment_buffer 1
		.amdhsa_user_sgpr_dispatch_ptr 0
		.amdhsa_user_sgpr_queue_ptr 0
		.amdhsa_user_sgpr_kernarg_segment_ptr 1
		.amdhsa_user_sgpr_dispatch_id 0
		.amdhsa_user_sgpr_flat_scratch_init 0
		.amdhsa_user_sgpr_private_segment_size 0
		.amdhsa_uses_dynamic_stack 0
		.amdhsa_system_sgpr_private_segment_wavefront_offset 0
		.amdhsa_system_sgpr_workgroup_id_x 1
		.amdhsa_system_sgpr_workgroup_id_y 1
		.amdhsa_system_sgpr_workgroup_id_z 1
		.amdhsa_system_sgpr_workgroup_info 0
		.amdhsa_system_vgpr_workitem_id 1
		.amdhsa_next_free_vgpr 34
		.amdhsa_next_free_sgpr 28
		.amdhsa_reserve_vcc 1
		.amdhsa_reserve_flat_scratch 0
		.amdhsa_float_round_mode_32 0
		.amdhsa_float_round_mode_16_64 0
		.amdhsa_float_denorm_mode_32 3
		.amdhsa_float_denorm_mode_16_64 3
		.amdhsa_dx10_clamp 1
		.amdhsa_ieee_mode 1
		.amdhsa_fp16_overflow 0
		.amdhsa_exception_fp_ieee_invalid_op 0
		.amdhsa_exception_fp_denorm_src 0
		.amdhsa_exception_fp_ieee_div_zero 0
		.amdhsa_exception_fp_ieee_overflow 0
		.amdhsa_exception_fp_ieee_underflow 0
		.amdhsa_exception_fp_ieee_inexact 0
		.amdhsa_exception_int_div_zero 0
	.end_amdhsa_kernel
	.section	.text._ZL37rocblas_syrkx_herkx_restricted_kernelIlfLi16ELi32ELi8ELi1ELin1ELb0ELc84ELc85EKffEviT_PT9_S1_lS3_S1_lPT10_S1_li,"axG",@progbits,_ZL37rocblas_syrkx_herkx_restricted_kernelIlfLi16ELi32ELi8ELi1ELin1ELb0ELc84ELc85EKffEviT_PT9_S1_lS3_S1_lPT10_S1_li,comdat
.Lfunc_end935:
	.size	_ZL37rocblas_syrkx_herkx_restricted_kernelIlfLi16ELi32ELi8ELi1ELin1ELb0ELc84ELc85EKffEviT_PT9_S1_lS3_S1_lPT10_S1_li, .Lfunc_end935-_ZL37rocblas_syrkx_herkx_restricted_kernelIlfLi16ELi32ELi8ELi1ELin1ELb0ELc84ELc85EKffEviT_PT9_S1_lS3_S1_lPT10_S1_li
                                        ; -- End function
	.set _ZL37rocblas_syrkx_herkx_restricted_kernelIlfLi16ELi32ELi8ELi1ELin1ELb0ELc84ELc85EKffEviT_PT9_S1_lS3_S1_lPT10_S1_li.num_vgpr, 34
	.set _ZL37rocblas_syrkx_herkx_restricted_kernelIlfLi16ELi32ELi8ELi1ELin1ELb0ELc84ELc85EKffEviT_PT9_S1_lS3_S1_lPT10_S1_li.num_agpr, 0
	.set _ZL37rocblas_syrkx_herkx_restricted_kernelIlfLi16ELi32ELi8ELi1ELin1ELb0ELc84ELc85EKffEviT_PT9_S1_lS3_S1_lPT10_S1_li.numbered_sgpr, 28
	.set _ZL37rocblas_syrkx_herkx_restricted_kernelIlfLi16ELi32ELi8ELi1ELin1ELb0ELc84ELc85EKffEviT_PT9_S1_lS3_S1_lPT10_S1_li.num_named_barrier, 0
	.set _ZL37rocblas_syrkx_herkx_restricted_kernelIlfLi16ELi32ELi8ELi1ELin1ELb0ELc84ELc85EKffEviT_PT9_S1_lS3_S1_lPT10_S1_li.private_seg_size, 0
	.set _ZL37rocblas_syrkx_herkx_restricted_kernelIlfLi16ELi32ELi8ELi1ELin1ELb0ELc84ELc85EKffEviT_PT9_S1_lS3_S1_lPT10_S1_li.uses_vcc, 1
	.set _ZL37rocblas_syrkx_herkx_restricted_kernelIlfLi16ELi32ELi8ELi1ELin1ELb0ELc84ELc85EKffEviT_PT9_S1_lS3_S1_lPT10_S1_li.uses_flat_scratch, 0
	.set _ZL37rocblas_syrkx_herkx_restricted_kernelIlfLi16ELi32ELi8ELi1ELin1ELb0ELc84ELc85EKffEviT_PT9_S1_lS3_S1_lPT10_S1_li.has_dyn_sized_stack, 0
	.set _ZL37rocblas_syrkx_herkx_restricted_kernelIlfLi16ELi32ELi8ELi1ELin1ELb0ELc84ELc85EKffEviT_PT9_S1_lS3_S1_lPT10_S1_li.has_recursion, 0
	.set _ZL37rocblas_syrkx_herkx_restricted_kernelIlfLi16ELi32ELi8ELi1ELin1ELb0ELc84ELc85EKffEviT_PT9_S1_lS3_S1_lPT10_S1_li.has_indirect_call, 0
	.section	.AMDGPU.csdata,"",@progbits
; Kernel info:
; codeLenInByte = 1192
; TotalNumSgprs: 32
; NumVgprs: 34
; ScratchSize: 0
; MemoryBound: 0
; FloatMode: 240
; IeeeMode: 1
; LDSByteSize: 2048 bytes/workgroup (compile time only)
; SGPRBlocks: 3
; VGPRBlocks: 8
; NumSGPRsForWavesPerEU: 32
; NumVGPRsForWavesPerEU: 34
; Occupancy: 7
; WaveLimiterHint : 1
; COMPUTE_PGM_RSRC2:SCRATCH_EN: 0
; COMPUTE_PGM_RSRC2:USER_SGPR: 6
; COMPUTE_PGM_RSRC2:TRAP_HANDLER: 0
; COMPUTE_PGM_RSRC2:TGID_X_EN: 1
; COMPUTE_PGM_RSRC2:TGID_Y_EN: 1
; COMPUTE_PGM_RSRC2:TGID_Z_EN: 1
; COMPUTE_PGM_RSRC2:TIDIG_COMP_CNT: 1
	.section	.text._ZL37rocblas_syrkx_herkx_restricted_kernelIlfLi16ELi32ELi8ELi1ELin1ELb0ELc67ELc85EKffEviT_PT9_S1_lS3_S1_lPT10_S1_li,"axG",@progbits,_ZL37rocblas_syrkx_herkx_restricted_kernelIlfLi16ELi32ELi8ELi1ELin1ELb0ELc67ELc85EKffEviT_PT9_S1_lS3_S1_lPT10_S1_li,comdat
	.globl	_ZL37rocblas_syrkx_herkx_restricted_kernelIlfLi16ELi32ELi8ELi1ELin1ELb0ELc67ELc85EKffEviT_PT9_S1_lS3_S1_lPT10_S1_li ; -- Begin function _ZL37rocblas_syrkx_herkx_restricted_kernelIlfLi16ELi32ELi8ELi1ELin1ELb0ELc67ELc85EKffEviT_PT9_S1_lS3_S1_lPT10_S1_li
	.p2align	8
	.type	_ZL37rocblas_syrkx_herkx_restricted_kernelIlfLi16ELi32ELi8ELi1ELin1ELb0ELc67ELc85EKffEviT_PT9_S1_lS3_S1_lPT10_S1_li,@function
_ZL37rocblas_syrkx_herkx_restricted_kernelIlfLi16ELi32ELi8ELi1ELin1ELb0ELc67ELc85EKffEviT_PT9_S1_lS3_S1_lPT10_S1_li: ; @_ZL37rocblas_syrkx_herkx_restricted_kernelIlfLi16ELi32ELi8ELi1ELin1ELb0ELc67ELc85EKffEviT_PT9_S1_lS3_S1_lPT10_S1_li
; %bb.0:
	s_load_dwordx16 s[12:27], s[4:5], 0x8
	s_lshl_b32 s6, s6, 5
	s_lshl_b32 s7, s7, 5
	s_waitcnt lgkmcnt(0)
	v_cmp_lt_i64_e64 s[0:1], s[12:13], 1
	s_and_b64 vcc, exec, s[0:1]
	s_cbranch_vccnz .LBB936_3
; %bb.1:
	v_lshl_add_u32 v4, v1, 4, v0
	v_lshrrev_b32_e32 v8, 3, v4
	v_add_u32_e32 v5, s7, v8
	v_ashrrev_i32_e32 v6, 31, v5
	v_and_b32_e32 v2, 7, v0
	v_mov_b32_e32 v3, 0
	v_mul_lo_u32 v9, s22, v6
	v_mul_lo_u32 v10, s23, v5
	v_mad_u64_u32 v[6:7], s[0:1], s22, v5, v[2:3]
	v_lshlrev_b32_e32 v2, 2, v2
	v_lshl_or_b32 v2, v8, 5, v2
	v_add3_u32 v7, v10, v7, v9
	v_and_b32_e32 v9, 31, v4
	v_add_u32_e32 v11, 0x400, v2
	v_mov_b32_e32 v2, 0x400
	v_lshl_add_u32 v13, v1, 5, v2
	v_add_u32_e32 v2, s6, v9
	v_lshrrev_b32_e32 v4, 5, v4
	v_mov_b32_e32 v5, v3
	v_lshlrev_b32_e32 v10, 2, v9
	v_ashrrev_i32_e32 v8, 31, v2
	v_lshl_or_b32 v10, v4, 7, v10
	v_mul_lo_u32 v8, s16, v8
	v_mad_u64_u32 v[4:5], s[0:1], s16, v2, v[4:5]
	v_mul_lo_u32 v2, s17, v2
	s_mul_i32 s2, s19, s8
	s_mul_hi_u32 s3, s18, s8
	s_add_i32 s1, s3, s2
	s_mul_i32 s0, s18, s8
	s_lshl_b64 s[0:1], s[0:1], 2
	v_add3_u32 v5, v2, v5, v8
	v_lshlrev_b64 v[4:5], 2, v[4:5]
	s_add_u32 s0, s14, s0
	s_addc_u32 s1, s15, s1
	v_mov_b32_e32 v2, s1
	v_add_co_u32_e32 v4, vcc, s0, v4
	s_mul_i32 s0, s25, s8
	s_mul_hi_u32 s1, s24, s8
	s_add_i32 s1, s1, s0
	s_mul_i32 s0, s24, s8
	s_lshl_b64 s[0:1], s[0:1], 2
	v_lshlrev_b64 v[6:7], 2, v[6:7]
	s_add_u32 s0, s20, s0
	v_addc_co_u32_e32 v5, vcc, v2, v5, vcc
	s_addc_u32 s1, s21, s1
	v_mov_b32_e32 v2, s1
	v_add_co_u32_e32 v6, vcc, s0, v6
	v_lshlrev_b32_e32 v12, 2, v0
	v_addc_co_u32_e32 v7, vcc, v2, v7, vcc
	s_mov_b64 s[2:3], 0
	v_mov_b32_e32 v2, v3
	v_mov_b32_e32 v8, v3
	;; [unrolled: 1-line block ×3, first 2 shown]
.LBB936_2:                              ; =>This Inner Loop Header: Depth=1
	global_load_dword v14, v[4:5], off
	global_load_dword v15, v[6:7], off
	s_add_u32 s2, s2, 8
	s_addc_u32 s3, s3, 0
	v_add_co_u32_e64 v4, s[0:1], 32, v4
	v_addc_co_u32_e64 v5, s[0:1], 0, v5, s[0:1]
	v_add_co_u32_e64 v6, s[0:1], 32, v6
	v_addc_co_u32_e64 v7, s[0:1], 0, v7, s[0:1]
	s_waitcnt vmcnt(1)
	ds_write_b32 v10, v14
	s_waitcnt vmcnt(0)
	ds_write_b32 v11, v15
	s_waitcnt lgkmcnt(0)
	s_barrier
	ds_read2_b32 v[26:27], v12 offset1:16
	ds_read_b128 v[14:17], v13
	ds_read2_b32 v[28:29], v12 offset0:32 offset1:48
	ds_read2_b32 v[30:31], v12 offset0:64 offset1:80
	ds_read_b128 v[18:21], v13 offset:16
	ds_read2_b32 v[32:33], v12 offset0:96 offset1:112
	s_waitcnt lgkmcnt(4)
	v_fmac_f32_e32 v9, v26, v14
	v_fmac_f32_e32 v8, v27, v14
	s_waitcnt lgkmcnt(3)
	v_fmac_f32_e32 v9, v28, v15
	v_fmac_f32_e32 v8, v29, v15
	v_mov_b32_e32 v15, s3
	s_waitcnt lgkmcnt(2)
	v_fmac_f32_e32 v9, v30, v16
	v_fmac_f32_e32 v8, v31, v16
	v_mov_b32_e32 v14, s2
	s_waitcnt lgkmcnt(0)
	v_fmac_f32_e32 v9, v32, v17
	v_fmac_f32_e32 v8, v33, v17
	v_cmp_le_u64_e32 vcc, s[12:13], v[14:15]
	ds_read_b128 v[14:17], v13 offset:512
	ds_read_b128 v[22:25], v13 offset:528
	s_and_b64 vcc, exec, vcc
	s_waitcnt lgkmcnt(1)
	v_fmac_f32_e32 v2, v26, v14
	v_fmac_f32_e32 v3, v27, v14
	;; [unrolled: 1-line block ×8, first 2 shown]
	ds_read2_b32 v[14:15], v12 offset0:128 offset1:144
	ds_read2_b32 v[16:17], v12 offset0:160 offset1:176
	;; [unrolled: 1-line block ×3, first 2 shown]
	s_waitcnt lgkmcnt(2)
	v_fmac_f32_e32 v9, v14, v18
	v_fmac_f32_e32 v8, v15, v18
	;; [unrolled: 1-line block ×4, first 2 shown]
	ds_read2_b32 v[14:15], v12 offset0:224 offset1:240
	s_waitcnt lgkmcnt(2)
	v_fmac_f32_e32 v9, v16, v19
	v_fmac_f32_e32 v8, v17, v19
	v_fmac_f32_e32 v2, v16, v23
	v_fmac_f32_e32 v3, v17, v23
	s_waitcnt lgkmcnt(1)
	v_fmac_f32_e32 v9, v26, v20
	v_fmac_f32_e32 v8, v27, v20
	v_fmac_f32_e32 v2, v26, v24
	v_fmac_f32_e32 v3, v27, v24
	;; [unrolled: 5-line block ×3, first 2 shown]
	s_barrier
	s_cbranch_vccz .LBB936_2
	s_branch .LBB936_4
.LBB936_3:
	v_mov_b32_e32 v9, 0
	v_mov_b32_e32 v8, 0
	;; [unrolled: 1-line block ×4, first 2 shown]
.LBB936_4:
	s_load_dwordx4 s[12:15], s[4:5], 0x48
	s_load_dword s9, s[4:5], 0x0
	v_add_u32_e32 v6, s7, v1
	v_ashrrev_i32_e32 v1, 31, v6
	v_add_u32_e32 v0, s6, v0
	s_waitcnt lgkmcnt(0)
	s_mul_i32 s1, s15, s8
	s_mul_hi_u32 s2, s14, s8
	s_add_i32 s1, s2, s1
	v_mul_lo_u32 v1, s12, v1
	v_mul_lo_u32 v7, s13, v6
	v_mad_u64_u32 v[4:5], s[2:3], s12, v6, 0
	s_mul_i32 s0, s14, s8
	s_lshl_b64 s[0:1], s[0:1], 2
	v_add3_u32 v5, v5, v1, v7
	s_add_u32 s4, s26, s0
	v_lshlrev_b64 v[4:5], 2, v[4:5]
	s_addc_u32 s5, s27, s1
	v_mov_b32_e32 v1, s5
	v_add_co_u32_e64 v7, s[0:1], s4, v4
	v_addc_co_u32_e64 v10, s[0:1], v1, v5, s[0:1]
	v_cmp_gt_i32_e32 vcc, s9, v6
	v_cmp_le_i32_e64 s[0:1], v0, v6
	s_and_b64 s[0:1], vcc, s[0:1]
	s_and_saveexec_b64 s[2:3], s[0:1]
	s_cbranch_execz .LBB936_6
; %bb.5:
	v_ashrrev_i32_e32 v1, 31, v0
	v_lshlrev_b64 v[4:5], 2, v[0:1]
	v_add_co_u32_e64 v4, s[0:1], v7, v4
	v_addc_co_u32_e64 v5, s[0:1], v10, v5, s[0:1]
	global_load_dword v1, v[4:5], off
	s_waitcnt vmcnt(0)
	v_sub_f32_e32 v1, v9, v1
	global_store_dword v[4:5], v1, off
.LBB936_6:
	s_or_b64 exec, exec, s[2:3]
	v_add_u32_e32 v4, 16, v0
	v_cmp_le_i32_e64 s[0:1], v4, v6
	s_and_b64 s[2:3], vcc, s[0:1]
	s_and_saveexec_b64 s[0:1], s[2:3]
	s_cbranch_execz .LBB936_8
; %bb.7:
	v_ashrrev_i32_e32 v5, 31, v4
	v_lshlrev_b64 v[11:12], 2, v[4:5]
	v_add_co_u32_e32 v9, vcc, v7, v11
	v_addc_co_u32_e32 v10, vcc, v10, v12, vcc
	global_load_dword v1, v[9:10], off
	s_waitcnt vmcnt(0)
	v_sub_f32_e32 v1, v8, v1
	global_store_dword v[9:10], v1, off
.LBB936_8:
	s_or_b64 exec, exec, s[0:1]
	v_add_u32_e32 v5, 16, v6
	v_ashrrev_i32_e32 v1, 31, v5
	v_mul_lo_u32 v1, s12, v1
	v_mul_lo_u32 v8, s13, v5
	v_mad_u64_u32 v[6:7], s[0:1], s12, v5, 0
	v_cmp_gt_i32_e32 vcc, s9, v5
	v_add3_u32 v7, v7, v1, v8
	v_lshlrev_b64 v[6:7], 2, v[6:7]
	v_mov_b32_e32 v1, s5
	v_add_co_u32_e64 v6, s[0:1], s4, v6
	v_addc_co_u32_e64 v7, s[0:1], v1, v7, s[0:1]
	v_cmp_le_i32_e64 s[0:1], v0, v5
	s_and_b64 s[0:1], vcc, s[0:1]
	s_and_saveexec_b64 s[2:3], s[0:1]
	s_cbranch_execz .LBB936_10
; %bb.9:
	v_ashrrev_i32_e32 v1, 31, v0
	v_lshlrev_b64 v[0:1], 2, v[0:1]
	v_add_co_u32_e64 v0, s[0:1], v6, v0
	v_addc_co_u32_e64 v1, s[0:1], v7, v1, s[0:1]
	global_load_dword v8, v[0:1], off
	s_waitcnt vmcnt(0)
	v_sub_f32_e32 v2, v2, v8
	global_store_dword v[0:1], v2, off
.LBB936_10:
	s_or_b64 exec, exec, s[2:3]
	v_cmp_le_i32_e64 s[0:1], v4, v5
	s_and_b64 s[0:1], vcc, s[0:1]
	s_and_saveexec_b64 s[2:3], s[0:1]
	s_cbranch_execz .LBB936_12
; %bb.11:
	v_ashrrev_i32_e32 v5, 31, v4
	v_lshlrev_b64 v[0:1], 2, v[4:5]
	v_add_co_u32_e32 v0, vcc, v6, v0
	v_addc_co_u32_e32 v1, vcc, v7, v1, vcc
	global_load_dword v2, v[0:1], off
	s_waitcnt vmcnt(0)
	v_sub_f32_e32 v2, v3, v2
	global_store_dword v[0:1], v2, off
.LBB936_12:
	s_endpgm
	.section	.rodata,"a",@progbits
	.p2align	6, 0x0
	.amdhsa_kernel _ZL37rocblas_syrkx_herkx_restricted_kernelIlfLi16ELi32ELi8ELi1ELin1ELb0ELc67ELc85EKffEviT_PT9_S1_lS3_S1_lPT10_S1_li
		.amdhsa_group_segment_fixed_size 2048
		.amdhsa_private_segment_fixed_size 0
		.amdhsa_kernarg_size 92
		.amdhsa_user_sgpr_count 6
		.amdhsa_user_sgpr_private_segment_buffer 1
		.amdhsa_user_sgpr_dispatch_ptr 0
		.amdhsa_user_sgpr_queue_ptr 0
		.amdhsa_user_sgpr_kernarg_segment_ptr 1
		.amdhsa_user_sgpr_dispatch_id 0
		.amdhsa_user_sgpr_flat_scratch_init 0
		.amdhsa_user_sgpr_private_segment_size 0
		.amdhsa_uses_dynamic_stack 0
		.amdhsa_system_sgpr_private_segment_wavefront_offset 0
		.amdhsa_system_sgpr_workgroup_id_x 1
		.amdhsa_system_sgpr_workgroup_id_y 1
		.amdhsa_system_sgpr_workgroup_id_z 1
		.amdhsa_system_sgpr_workgroup_info 0
		.amdhsa_system_vgpr_workitem_id 1
		.amdhsa_next_free_vgpr 34
		.amdhsa_next_free_sgpr 28
		.amdhsa_reserve_vcc 1
		.amdhsa_reserve_flat_scratch 0
		.amdhsa_float_round_mode_32 0
		.amdhsa_float_round_mode_16_64 0
		.amdhsa_float_denorm_mode_32 3
		.amdhsa_float_denorm_mode_16_64 3
		.amdhsa_dx10_clamp 1
		.amdhsa_ieee_mode 1
		.amdhsa_fp16_overflow 0
		.amdhsa_exception_fp_ieee_invalid_op 0
		.amdhsa_exception_fp_denorm_src 0
		.amdhsa_exception_fp_ieee_div_zero 0
		.amdhsa_exception_fp_ieee_overflow 0
		.amdhsa_exception_fp_ieee_underflow 0
		.amdhsa_exception_fp_ieee_inexact 0
		.amdhsa_exception_int_div_zero 0
	.end_amdhsa_kernel
	.section	.text._ZL37rocblas_syrkx_herkx_restricted_kernelIlfLi16ELi32ELi8ELi1ELin1ELb0ELc67ELc85EKffEviT_PT9_S1_lS3_S1_lPT10_S1_li,"axG",@progbits,_ZL37rocblas_syrkx_herkx_restricted_kernelIlfLi16ELi32ELi8ELi1ELin1ELb0ELc67ELc85EKffEviT_PT9_S1_lS3_S1_lPT10_S1_li,comdat
.Lfunc_end936:
	.size	_ZL37rocblas_syrkx_herkx_restricted_kernelIlfLi16ELi32ELi8ELi1ELin1ELb0ELc67ELc85EKffEviT_PT9_S1_lS3_S1_lPT10_S1_li, .Lfunc_end936-_ZL37rocblas_syrkx_herkx_restricted_kernelIlfLi16ELi32ELi8ELi1ELin1ELb0ELc67ELc85EKffEviT_PT9_S1_lS3_S1_lPT10_S1_li
                                        ; -- End function
	.set _ZL37rocblas_syrkx_herkx_restricted_kernelIlfLi16ELi32ELi8ELi1ELin1ELb0ELc67ELc85EKffEviT_PT9_S1_lS3_S1_lPT10_S1_li.num_vgpr, 34
	.set _ZL37rocblas_syrkx_herkx_restricted_kernelIlfLi16ELi32ELi8ELi1ELin1ELb0ELc67ELc85EKffEviT_PT9_S1_lS3_S1_lPT10_S1_li.num_agpr, 0
	.set _ZL37rocblas_syrkx_herkx_restricted_kernelIlfLi16ELi32ELi8ELi1ELin1ELb0ELc67ELc85EKffEviT_PT9_S1_lS3_S1_lPT10_S1_li.numbered_sgpr, 28
	.set _ZL37rocblas_syrkx_herkx_restricted_kernelIlfLi16ELi32ELi8ELi1ELin1ELb0ELc67ELc85EKffEviT_PT9_S1_lS3_S1_lPT10_S1_li.num_named_barrier, 0
	.set _ZL37rocblas_syrkx_herkx_restricted_kernelIlfLi16ELi32ELi8ELi1ELin1ELb0ELc67ELc85EKffEviT_PT9_S1_lS3_S1_lPT10_S1_li.private_seg_size, 0
	.set _ZL37rocblas_syrkx_herkx_restricted_kernelIlfLi16ELi32ELi8ELi1ELin1ELb0ELc67ELc85EKffEviT_PT9_S1_lS3_S1_lPT10_S1_li.uses_vcc, 1
	.set _ZL37rocblas_syrkx_herkx_restricted_kernelIlfLi16ELi32ELi8ELi1ELin1ELb0ELc67ELc85EKffEviT_PT9_S1_lS3_S1_lPT10_S1_li.uses_flat_scratch, 0
	.set _ZL37rocblas_syrkx_herkx_restricted_kernelIlfLi16ELi32ELi8ELi1ELin1ELb0ELc67ELc85EKffEviT_PT9_S1_lS3_S1_lPT10_S1_li.has_dyn_sized_stack, 0
	.set _ZL37rocblas_syrkx_herkx_restricted_kernelIlfLi16ELi32ELi8ELi1ELin1ELb0ELc67ELc85EKffEviT_PT9_S1_lS3_S1_lPT10_S1_li.has_recursion, 0
	.set _ZL37rocblas_syrkx_herkx_restricted_kernelIlfLi16ELi32ELi8ELi1ELin1ELb0ELc67ELc85EKffEviT_PT9_S1_lS3_S1_lPT10_S1_li.has_indirect_call, 0
	.section	.AMDGPU.csdata,"",@progbits
; Kernel info:
; codeLenInByte = 1192
; TotalNumSgprs: 32
; NumVgprs: 34
; ScratchSize: 0
; MemoryBound: 0
; FloatMode: 240
; IeeeMode: 1
; LDSByteSize: 2048 bytes/workgroup (compile time only)
; SGPRBlocks: 3
; VGPRBlocks: 8
; NumSGPRsForWavesPerEU: 32
; NumVGPRsForWavesPerEU: 34
; Occupancy: 7
; WaveLimiterHint : 1
; COMPUTE_PGM_RSRC2:SCRATCH_EN: 0
; COMPUTE_PGM_RSRC2:USER_SGPR: 6
; COMPUTE_PGM_RSRC2:TRAP_HANDLER: 0
; COMPUTE_PGM_RSRC2:TGID_X_EN: 1
; COMPUTE_PGM_RSRC2:TGID_Y_EN: 1
; COMPUTE_PGM_RSRC2:TGID_Z_EN: 1
; COMPUTE_PGM_RSRC2:TIDIG_COMP_CNT: 1
	.section	.text._ZL37rocblas_syrkx_herkx_restricted_kernelIlfLi16ELi32ELi8ELi1ELin1ELb0ELc78ELc85EKffEviT_PT9_S1_lS3_S1_lPT10_S1_li,"axG",@progbits,_ZL37rocblas_syrkx_herkx_restricted_kernelIlfLi16ELi32ELi8ELi1ELin1ELb0ELc78ELc85EKffEviT_PT9_S1_lS3_S1_lPT10_S1_li,comdat
	.globl	_ZL37rocblas_syrkx_herkx_restricted_kernelIlfLi16ELi32ELi8ELi1ELin1ELb0ELc78ELc85EKffEviT_PT9_S1_lS3_S1_lPT10_S1_li ; -- Begin function _ZL37rocblas_syrkx_herkx_restricted_kernelIlfLi16ELi32ELi8ELi1ELin1ELb0ELc78ELc85EKffEviT_PT9_S1_lS3_S1_lPT10_S1_li
	.p2align	8
	.type	_ZL37rocblas_syrkx_herkx_restricted_kernelIlfLi16ELi32ELi8ELi1ELin1ELb0ELc78ELc85EKffEviT_PT9_S1_lS3_S1_lPT10_S1_li,@function
_ZL37rocblas_syrkx_herkx_restricted_kernelIlfLi16ELi32ELi8ELi1ELin1ELb0ELc78ELc85EKffEviT_PT9_S1_lS3_S1_lPT10_S1_li: ; @_ZL37rocblas_syrkx_herkx_restricted_kernelIlfLi16ELi32ELi8ELi1ELin1ELb0ELc78ELc85EKffEviT_PT9_S1_lS3_S1_lPT10_S1_li
; %bb.0:
	s_load_dwordx16 s[12:27], s[4:5], 0x8
	s_lshl_b32 s9, s6, 5
	s_lshl_b32 s28, s7, 5
	s_waitcnt lgkmcnt(0)
	v_cmp_lt_i64_e64 s[0:1], s[12:13], 1
	s_and_b64 vcc, exec, s[0:1]
	s_cbranch_vccnz .LBB937_3
; %bb.1:
	v_lshl_add_u32 v7, v1, 4, v0
	v_lshrrev_b32_e32 v8, 3, v7
	v_add_u32_e32 v2, s28, v8
	v_and_b32_e32 v6, 7, v0
	v_ashrrev_i32_e32 v3, 31, v2
	v_mad_u64_u32 v[4:5], s[0:1], s22, v6, v[2:3]
	v_lshrrev_b32_e32 v9, 5, v7
	s_mul_i32 s2, s19, s8
	v_mov_b32_e32 v2, v5
	v_mad_u64_u32 v[2:3], s[0:1], s23, v6, v[2:3]
	v_and_b32_e32 v3, 31, v7
	v_lshlrev_b32_e32 v7, 2, v3
	v_mov_b32_e32 v5, v2
	v_lshlrev_b32_e32 v2, 2, v6
	v_lshl_or_b32 v2, v8, 5, v2
	v_add_u32_e32 v11, 0x400, v2
	v_add_u32_e32 v2, s9, v3
	v_ashrrev_i32_e32 v3, 31, v2
	v_mad_u64_u32 v[2:3], s[0:1], s16, v9, v[2:3]
	v_mov_b32_e32 v6, 0x400
	v_lshl_or_b32 v10, v9, 7, v7
	v_lshl_add_u32 v13, v1, 5, v6
	v_mad_u64_u32 v[6:7], s[0:1], s17, v9, v[3:4]
	s_mul_hi_u32 s3, s18, s8
	s_add_i32 s1, s3, s2
	s_mul_i32 s0, s18, s8
	s_lshl_b64 s[0:1], s[0:1], 2
	v_mov_b32_e32 v3, v6
	v_lshlrev_b64 v[2:3], 2, v[2:3]
	s_add_u32 s0, s14, s0
	s_addc_u32 s1, s15, s1
	v_mov_b32_e32 v6, s1
	v_add_co_u32_e32 v2, vcc, s0, v2
	s_mul_i32 s0, s25, s8
	s_mul_hi_u32 s1, s24, s8
	s_add_i32 s1, s1, s0
	s_mul_i32 s0, s24, s8
	s_lshl_b64 s[2:3], s[16:17], 5
	s_lshl_b64 s[0:1], s[0:1], 2
	v_lshlrev_b64 v[4:5], 2, v[4:5]
	s_add_u32 s0, s20, s0
	v_addc_co_u32_e32 v3, vcc, v6, v3, vcc
	s_addc_u32 s1, s21, s1
	v_mov_b32_e32 v6, s1
	v_add_co_u32_e32 v4, vcc, s0, v4
	v_lshlrev_b32_e32 v12, 2, v0
	v_addc_co_u32_e32 v5, vcc, v6, v5, vcc
	s_lshl_b64 s[6:7], s[22:23], 5
	v_mov_b32_e32 v6, 0
	s_mov_b64 s[10:11], 0
	v_mov_b32_e32 v7, 0
	v_mov_b32_e32 v8, 0
	;; [unrolled: 1-line block ×3, first 2 shown]
.LBB937_2:                              ; =>This Inner Loop Header: Depth=1
	global_load_dword v16, v[2:3], off
	global_load_dword v17, v[4:5], off
	s_add_u32 s10, s10, 8
	s_addc_u32 s11, s11, 0
	v_mov_b32_e32 v15, s11
	v_mov_b32_e32 v14, s10
	v_cmp_le_u64_e32 vcc, s[12:13], v[14:15]
	v_add_co_u32_e64 v2, s[0:1], s2, v2
	s_and_b64 vcc, exec, vcc
	s_waitcnt vmcnt(1)
	ds_write_b32 v10, v16
	s_waitcnt vmcnt(0)
	ds_write_b32 v11, v17
	s_waitcnt lgkmcnt(0)
	s_barrier
	ds_read2_b32 v[26:27], v12 offset1:16
	ds_read_b128 v[14:17], v13
	ds_read2_b32 v[28:29], v12 offset0:32 offset1:48
	ds_read2_b32 v[30:31], v12 offset0:64 offset1:80
	;; [unrolled: 1-line block ×3, first 2 shown]
	ds_read_b128 v[18:21], v13 offset:16
	s_waitcnt lgkmcnt(4)
	v_fmac_f32_e32 v9, v26, v14
	v_fmac_f32_e32 v8, v27, v14
	s_waitcnt lgkmcnt(3)
	v_fmac_f32_e32 v9, v28, v15
	v_fmac_f32_e32 v8, v29, v15
	s_waitcnt lgkmcnt(2)
	v_fmac_f32_e32 v9, v30, v16
	v_fmac_f32_e32 v8, v31, v16
	s_waitcnt lgkmcnt(1)
	v_fmac_f32_e32 v9, v32, v17
	v_fmac_f32_e32 v8, v33, v17
	ds_read_b128 v[14:17], v13 offset:512
	ds_read_b128 v[22:25], v13 offset:528
	s_waitcnt lgkmcnt(1)
	v_fmac_f32_e32 v7, v26, v14
	v_fmac_f32_e32 v6, v27, v14
	v_mov_b32_e32 v14, s3
	v_addc_co_u32_e64 v3, s[0:1], v3, v14, s[0:1]
	v_mov_b32_e32 v14, s7
	v_add_co_u32_e64 v4, s[0:1], s6, v4
	v_fmac_f32_e32 v7, v28, v15
	v_fmac_f32_e32 v6, v29, v15
	v_addc_co_u32_e64 v5, s[0:1], v5, v14, s[0:1]
	ds_read2_b32 v[14:15], v12 offset0:128 offset1:144
	v_fmac_f32_e32 v7, v30, v16
	v_fmac_f32_e32 v6, v31, v16
	;; [unrolled: 1-line block ×4, first 2 shown]
	ds_read2_b32 v[16:17], v12 offset0:160 offset1:176
	ds_read2_b32 v[26:27], v12 offset0:192 offset1:208
	;; [unrolled: 1-line block ×3, first 2 shown]
	s_waitcnt lgkmcnt(3)
	v_fmac_f32_e32 v9, v14, v18
	v_fmac_f32_e32 v8, v15, v18
	v_fmac_f32_e32 v7, v14, v22
	v_fmac_f32_e32 v6, v15, v22
	s_waitcnt lgkmcnt(2)
	v_fmac_f32_e32 v9, v16, v19
	v_fmac_f32_e32 v8, v17, v19
	v_fmac_f32_e32 v7, v16, v23
	v_fmac_f32_e32 v6, v17, v23
	;; [unrolled: 5-line block ×4, first 2 shown]
	s_barrier
	s_cbranch_vccz .LBB937_2
	s_branch .LBB937_4
.LBB937_3:
	v_mov_b32_e32 v9, 0
	v_mov_b32_e32 v8, 0
	;; [unrolled: 1-line block ×4, first 2 shown]
.LBB937_4:
	s_load_dwordx4 s[12:15], s[4:5], 0x48
	s_load_dword s6, s[4:5], 0x0
	v_add_u32_e32 v4, s28, v1
	v_ashrrev_i32_e32 v1, 31, v4
	v_add_u32_e32 v0, s9, v0
	s_waitcnt lgkmcnt(0)
	s_mul_i32 s1, s15, s8
	s_mul_hi_u32 s2, s14, s8
	s_add_i32 s1, s2, s1
	v_mul_lo_u32 v3, s12, v1
	v_mul_lo_u32 v5, s13, v4
	v_mad_u64_u32 v[1:2], s[2:3], s12, v4, 0
	s_mul_i32 s0, s14, s8
	s_lshl_b64 s[0:1], s[0:1], 2
	v_add3_u32 v2, v2, v3, v5
	s_add_u32 s4, s26, s0
	v_lshlrev_b64 v[1:2], 2, v[1:2]
	s_addc_u32 s5, s27, s1
	v_mov_b32_e32 v3, s5
	v_add_co_u32_e64 v5, s[0:1], s4, v1
	v_addc_co_u32_e64 v10, s[0:1], v3, v2, s[0:1]
	v_cmp_gt_i32_e32 vcc, s6, v4
	v_cmp_le_i32_e64 s[0:1], v0, v4
	s_and_b64 s[0:1], vcc, s[0:1]
	s_and_saveexec_b64 s[2:3], s[0:1]
	s_cbranch_execz .LBB937_6
; %bb.5:
	v_ashrrev_i32_e32 v1, 31, v0
	v_lshlrev_b64 v[1:2], 2, v[0:1]
	v_add_co_u32_e64 v1, s[0:1], v5, v1
	v_addc_co_u32_e64 v2, s[0:1], v10, v2, s[0:1]
	global_load_dword v3, v[1:2], off
	s_waitcnt vmcnt(0)
	v_sub_f32_e32 v3, v9, v3
	global_store_dword v[1:2], v3, off
.LBB937_6:
	s_or_b64 exec, exec, s[2:3]
	v_add_u32_e32 v2, 16, v0
	v_cmp_le_i32_e64 s[0:1], v2, v4
	s_and_b64 s[2:3], vcc, s[0:1]
	s_and_saveexec_b64 s[0:1], s[2:3]
	s_cbranch_execz .LBB937_8
; %bb.7:
	v_ashrrev_i32_e32 v3, 31, v2
	v_lshlrev_b64 v[11:12], 2, v[2:3]
	v_add_co_u32_e32 v9, vcc, v5, v11
	v_addc_co_u32_e32 v10, vcc, v10, v12, vcc
	global_load_dword v1, v[9:10], off
	s_waitcnt vmcnt(0)
	v_sub_f32_e32 v1, v8, v1
	global_store_dword v[9:10], v1, off
.LBB937_8:
	s_or_b64 exec, exec, s[0:1]
	v_add_u32_e32 v3, 16, v4
	v_ashrrev_i32_e32 v1, 31, v3
	v_mul_lo_u32 v1, s12, v1
	v_mul_lo_u32 v8, s13, v3
	v_mad_u64_u32 v[4:5], s[0:1], s12, v3, 0
	v_cmp_gt_i32_e32 vcc, s6, v3
	v_add3_u32 v5, v5, v1, v8
	v_lshlrev_b64 v[4:5], 2, v[4:5]
	v_mov_b32_e32 v1, s5
	v_add_co_u32_e64 v4, s[0:1], s4, v4
	v_addc_co_u32_e64 v5, s[0:1], v1, v5, s[0:1]
	v_cmp_le_i32_e64 s[0:1], v0, v3
	s_and_b64 s[0:1], vcc, s[0:1]
	s_and_saveexec_b64 s[2:3], s[0:1]
	s_cbranch_execz .LBB937_10
; %bb.9:
	v_ashrrev_i32_e32 v1, 31, v0
	v_lshlrev_b64 v[0:1], 2, v[0:1]
	v_add_co_u32_e64 v0, s[0:1], v4, v0
	v_addc_co_u32_e64 v1, s[0:1], v5, v1, s[0:1]
	global_load_dword v8, v[0:1], off
	s_waitcnt vmcnt(0)
	v_sub_f32_e32 v7, v7, v8
	global_store_dword v[0:1], v7, off
.LBB937_10:
	s_or_b64 exec, exec, s[2:3]
	v_cmp_le_i32_e64 s[0:1], v2, v3
	s_and_b64 s[0:1], vcc, s[0:1]
	s_and_saveexec_b64 s[2:3], s[0:1]
	s_cbranch_execz .LBB937_12
; %bb.11:
	v_ashrrev_i32_e32 v3, 31, v2
	v_lshlrev_b64 v[0:1], 2, v[2:3]
	v_add_co_u32_e32 v0, vcc, v4, v0
	v_addc_co_u32_e32 v1, vcc, v5, v1, vcc
	global_load_dword v2, v[0:1], off
	s_waitcnt vmcnt(0)
	v_sub_f32_e32 v2, v6, v2
	global_store_dword v[0:1], v2, off
.LBB937_12:
	s_endpgm
	.section	.rodata,"a",@progbits
	.p2align	6, 0x0
	.amdhsa_kernel _ZL37rocblas_syrkx_herkx_restricted_kernelIlfLi16ELi32ELi8ELi1ELin1ELb0ELc78ELc85EKffEviT_PT9_S1_lS3_S1_lPT10_S1_li
		.amdhsa_group_segment_fixed_size 2048
		.amdhsa_private_segment_fixed_size 0
		.amdhsa_kernarg_size 92
		.amdhsa_user_sgpr_count 6
		.amdhsa_user_sgpr_private_segment_buffer 1
		.amdhsa_user_sgpr_dispatch_ptr 0
		.amdhsa_user_sgpr_queue_ptr 0
		.amdhsa_user_sgpr_kernarg_segment_ptr 1
		.amdhsa_user_sgpr_dispatch_id 0
		.amdhsa_user_sgpr_flat_scratch_init 0
		.amdhsa_user_sgpr_private_segment_size 0
		.amdhsa_uses_dynamic_stack 0
		.amdhsa_system_sgpr_private_segment_wavefront_offset 0
		.amdhsa_system_sgpr_workgroup_id_x 1
		.amdhsa_system_sgpr_workgroup_id_y 1
		.amdhsa_system_sgpr_workgroup_id_z 1
		.amdhsa_system_sgpr_workgroup_info 0
		.amdhsa_system_vgpr_workitem_id 1
		.amdhsa_next_free_vgpr 34
		.amdhsa_next_free_sgpr 29
		.amdhsa_reserve_vcc 1
		.amdhsa_reserve_flat_scratch 0
		.amdhsa_float_round_mode_32 0
		.amdhsa_float_round_mode_16_64 0
		.amdhsa_float_denorm_mode_32 3
		.amdhsa_float_denorm_mode_16_64 3
		.amdhsa_dx10_clamp 1
		.amdhsa_ieee_mode 1
		.amdhsa_fp16_overflow 0
		.amdhsa_exception_fp_ieee_invalid_op 0
		.amdhsa_exception_fp_denorm_src 0
		.amdhsa_exception_fp_ieee_div_zero 0
		.amdhsa_exception_fp_ieee_overflow 0
		.amdhsa_exception_fp_ieee_underflow 0
		.amdhsa_exception_fp_ieee_inexact 0
		.amdhsa_exception_int_div_zero 0
	.end_amdhsa_kernel
	.section	.text._ZL37rocblas_syrkx_herkx_restricted_kernelIlfLi16ELi32ELi8ELi1ELin1ELb0ELc78ELc85EKffEviT_PT9_S1_lS3_S1_lPT10_S1_li,"axG",@progbits,_ZL37rocblas_syrkx_herkx_restricted_kernelIlfLi16ELi32ELi8ELi1ELin1ELb0ELc78ELc85EKffEviT_PT9_S1_lS3_S1_lPT10_S1_li,comdat
.Lfunc_end937:
	.size	_ZL37rocblas_syrkx_herkx_restricted_kernelIlfLi16ELi32ELi8ELi1ELin1ELb0ELc78ELc85EKffEviT_PT9_S1_lS3_S1_lPT10_S1_li, .Lfunc_end937-_ZL37rocblas_syrkx_herkx_restricted_kernelIlfLi16ELi32ELi8ELi1ELin1ELb0ELc78ELc85EKffEviT_PT9_S1_lS3_S1_lPT10_S1_li
                                        ; -- End function
	.set _ZL37rocblas_syrkx_herkx_restricted_kernelIlfLi16ELi32ELi8ELi1ELin1ELb0ELc78ELc85EKffEviT_PT9_S1_lS3_S1_lPT10_S1_li.num_vgpr, 34
	.set _ZL37rocblas_syrkx_herkx_restricted_kernelIlfLi16ELi32ELi8ELi1ELin1ELb0ELc78ELc85EKffEviT_PT9_S1_lS3_S1_lPT10_S1_li.num_agpr, 0
	.set _ZL37rocblas_syrkx_herkx_restricted_kernelIlfLi16ELi32ELi8ELi1ELin1ELb0ELc78ELc85EKffEviT_PT9_S1_lS3_S1_lPT10_S1_li.numbered_sgpr, 29
	.set _ZL37rocblas_syrkx_herkx_restricted_kernelIlfLi16ELi32ELi8ELi1ELin1ELb0ELc78ELc85EKffEviT_PT9_S1_lS3_S1_lPT10_S1_li.num_named_barrier, 0
	.set _ZL37rocblas_syrkx_herkx_restricted_kernelIlfLi16ELi32ELi8ELi1ELin1ELb0ELc78ELc85EKffEviT_PT9_S1_lS3_S1_lPT10_S1_li.private_seg_size, 0
	.set _ZL37rocblas_syrkx_herkx_restricted_kernelIlfLi16ELi32ELi8ELi1ELin1ELb0ELc78ELc85EKffEviT_PT9_S1_lS3_S1_lPT10_S1_li.uses_vcc, 1
	.set _ZL37rocblas_syrkx_herkx_restricted_kernelIlfLi16ELi32ELi8ELi1ELin1ELb0ELc78ELc85EKffEviT_PT9_S1_lS3_S1_lPT10_S1_li.uses_flat_scratch, 0
	.set _ZL37rocblas_syrkx_herkx_restricted_kernelIlfLi16ELi32ELi8ELi1ELin1ELb0ELc78ELc85EKffEviT_PT9_S1_lS3_S1_lPT10_S1_li.has_dyn_sized_stack, 0
	.set _ZL37rocblas_syrkx_herkx_restricted_kernelIlfLi16ELi32ELi8ELi1ELin1ELb0ELc78ELc85EKffEviT_PT9_S1_lS3_S1_lPT10_S1_li.has_recursion, 0
	.set _ZL37rocblas_syrkx_herkx_restricted_kernelIlfLi16ELi32ELi8ELi1ELin1ELb0ELc78ELc85EKffEviT_PT9_S1_lS3_S1_lPT10_S1_li.has_indirect_call, 0
	.section	.AMDGPU.csdata,"",@progbits
; Kernel info:
; codeLenInByte = 1184
; TotalNumSgprs: 33
; NumVgprs: 34
; ScratchSize: 0
; MemoryBound: 0
; FloatMode: 240
; IeeeMode: 1
; LDSByteSize: 2048 bytes/workgroup (compile time only)
; SGPRBlocks: 4
; VGPRBlocks: 8
; NumSGPRsForWavesPerEU: 33
; NumVGPRsForWavesPerEU: 34
; Occupancy: 7
; WaveLimiterHint : 1
; COMPUTE_PGM_RSRC2:SCRATCH_EN: 0
; COMPUTE_PGM_RSRC2:USER_SGPR: 6
; COMPUTE_PGM_RSRC2:TRAP_HANDLER: 0
; COMPUTE_PGM_RSRC2:TGID_X_EN: 1
; COMPUTE_PGM_RSRC2:TGID_Y_EN: 1
; COMPUTE_PGM_RSRC2:TGID_Z_EN: 1
; COMPUTE_PGM_RSRC2:TIDIG_COMP_CNT: 1
	.section	.text._ZL37rocblas_syrkx_herkx_restricted_kernelIlfLi16ELi32ELi8ELi1ELi0ELb0ELc84ELc76EKffEviT_PT9_S1_lS3_S1_lPT10_S1_li,"axG",@progbits,_ZL37rocblas_syrkx_herkx_restricted_kernelIlfLi16ELi32ELi8ELi1ELi0ELb0ELc84ELc76EKffEviT_PT9_S1_lS3_S1_lPT10_S1_li,comdat
	.globl	_ZL37rocblas_syrkx_herkx_restricted_kernelIlfLi16ELi32ELi8ELi1ELi0ELb0ELc84ELc76EKffEviT_PT9_S1_lS3_S1_lPT10_S1_li ; -- Begin function _ZL37rocblas_syrkx_herkx_restricted_kernelIlfLi16ELi32ELi8ELi1ELi0ELb0ELc84ELc76EKffEviT_PT9_S1_lS3_S1_lPT10_S1_li
	.p2align	8
	.type	_ZL37rocblas_syrkx_herkx_restricted_kernelIlfLi16ELi32ELi8ELi1ELi0ELb0ELc84ELc76EKffEviT_PT9_S1_lS3_S1_lPT10_S1_li,@function
_ZL37rocblas_syrkx_herkx_restricted_kernelIlfLi16ELi32ELi8ELi1ELi0ELb0ELc84ELc76EKffEviT_PT9_S1_lS3_S1_lPT10_S1_li: ; @_ZL37rocblas_syrkx_herkx_restricted_kernelIlfLi16ELi32ELi8ELi1ELi0ELb0ELc84ELc76EKffEviT_PT9_S1_lS3_S1_lPT10_S1_li
; %bb.0:
	s_load_dwordx16 s[12:27], s[4:5], 0x8
	s_lshl_b32 s6, s6, 5
	s_lshl_b32 s7, s7, 5
	s_waitcnt lgkmcnt(0)
	v_cmp_lt_i64_e64 s[0:1], s[12:13], 1
	s_and_b64 vcc, exec, s[0:1]
	s_cbranch_vccnz .LBB938_3
; %bb.1:
	v_lshl_add_u32 v4, v1, 4, v0
	v_lshrrev_b32_e32 v8, 3, v4
	v_add_u32_e32 v5, s7, v8
	v_ashrrev_i32_e32 v6, 31, v5
	v_and_b32_e32 v2, 7, v0
	v_mov_b32_e32 v3, 0
	v_mul_lo_u32 v9, s22, v6
	v_mul_lo_u32 v10, s23, v5
	v_mad_u64_u32 v[6:7], s[0:1], s22, v5, v[2:3]
	v_lshlrev_b32_e32 v2, 2, v2
	v_lshl_or_b32 v2, v8, 5, v2
	v_add3_u32 v7, v10, v7, v9
	v_and_b32_e32 v9, 31, v4
	v_add_u32_e32 v11, 0x400, v2
	v_mov_b32_e32 v2, 0x400
	v_lshl_add_u32 v13, v1, 5, v2
	v_add_u32_e32 v2, s6, v9
	v_lshrrev_b32_e32 v4, 5, v4
	v_mov_b32_e32 v5, v3
	v_lshlrev_b32_e32 v10, 2, v9
	v_ashrrev_i32_e32 v8, 31, v2
	v_lshl_or_b32 v10, v4, 7, v10
	v_mul_lo_u32 v8, s16, v8
	v_mad_u64_u32 v[4:5], s[0:1], s16, v2, v[4:5]
	v_mul_lo_u32 v2, s17, v2
	s_mul_i32 s2, s19, s8
	s_mul_hi_u32 s3, s18, s8
	s_add_i32 s1, s3, s2
	s_mul_i32 s0, s18, s8
	s_lshl_b64 s[0:1], s[0:1], 2
	v_add3_u32 v5, v2, v5, v8
	v_lshlrev_b64 v[4:5], 2, v[4:5]
	s_add_u32 s0, s14, s0
	s_addc_u32 s1, s15, s1
	v_mov_b32_e32 v2, s1
	v_add_co_u32_e32 v4, vcc, s0, v4
	s_mul_i32 s0, s25, s8
	s_mul_hi_u32 s1, s24, s8
	s_add_i32 s1, s1, s0
	s_mul_i32 s0, s24, s8
	s_lshl_b64 s[0:1], s[0:1], 2
	v_lshlrev_b64 v[6:7], 2, v[6:7]
	s_add_u32 s0, s20, s0
	v_addc_co_u32_e32 v5, vcc, v2, v5, vcc
	s_addc_u32 s1, s21, s1
	v_mov_b32_e32 v2, s1
	v_add_co_u32_e32 v6, vcc, s0, v6
	v_lshlrev_b32_e32 v12, 2, v0
	v_addc_co_u32_e32 v7, vcc, v2, v7, vcc
	s_mov_b64 s[2:3], 0
	v_mov_b32_e32 v2, v3
	v_mov_b32_e32 v8, v3
	v_mov_b32_e32 v9, v3
.LBB938_2:                              ; =>This Inner Loop Header: Depth=1
	global_load_dword v14, v[4:5], off
	global_load_dword v15, v[6:7], off
	s_add_u32 s2, s2, 8
	s_addc_u32 s3, s3, 0
	v_add_co_u32_e64 v4, s[0:1], 32, v4
	v_addc_co_u32_e64 v5, s[0:1], 0, v5, s[0:1]
	v_add_co_u32_e64 v6, s[0:1], 32, v6
	v_addc_co_u32_e64 v7, s[0:1], 0, v7, s[0:1]
	s_waitcnt vmcnt(1)
	ds_write_b32 v10, v14
	s_waitcnt vmcnt(0)
	ds_write_b32 v11, v15
	s_waitcnt lgkmcnt(0)
	s_barrier
	ds_read2_b32 v[26:27], v12 offset1:16
	ds_read_b128 v[14:17], v13
	ds_read2_b32 v[28:29], v12 offset0:32 offset1:48
	ds_read2_b32 v[30:31], v12 offset0:64 offset1:80
	ds_read_b128 v[18:21], v13 offset:16
	ds_read2_b32 v[32:33], v12 offset0:96 offset1:112
	s_waitcnt lgkmcnt(4)
	v_fmac_f32_e32 v9, v26, v14
	v_fmac_f32_e32 v8, v27, v14
	s_waitcnt lgkmcnt(3)
	v_fmac_f32_e32 v9, v28, v15
	v_fmac_f32_e32 v8, v29, v15
	v_mov_b32_e32 v15, s3
	s_waitcnt lgkmcnt(2)
	v_fmac_f32_e32 v9, v30, v16
	v_fmac_f32_e32 v8, v31, v16
	v_mov_b32_e32 v14, s2
	s_waitcnt lgkmcnt(0)
	v_fmac_f32_e32 v9, v32, v17
	v_fmac_f32_e32 v8, v33, v17
	v_cmp_le_u64_e32 vcc, s[12:13], v[14:15]
	ds_read_b128 v[14:17], v13 offset:512
	ds_read_b128 v[22:25], v13 offset:528
	s_and_b64 vcc, exec, vcc
	s_waitcnt lgkmcnt(1)
	v_fmac_f32_e32 v2, v26, v14
	v_fmac_f32_e32 v3, v27, v14
	;; [unrolled: 1-line block ×8, first 2 shown]
	ds_read2_b32 v[14:15], v12 offset0:128 offset1:144
	ds_read2_b32 v[16:17], v12 offset0:160 offset1:176
	;; [unrolled: 1-line block ×3, first 2 shown]
	s_waitcnt lgkmcnt(2)
	v_fmac_f32_e32 v9, v14, v18
	v_fmac_f32_e32 v8, v15, v18
	;; [unrolled: 1-line block ×4, first 2 shown]
	ds_read2_b32 v[14:15], v12 offset0:224 offset1:240
	s_waitcnt lgkmcnt(2)
	v_fmac_f32_e32 v9, v16, v19
	v_fmac_f32_e32 v8, v17, v19
	v_fmac_f32_e32 v2, v16, v23
	v_fmac_f32_e32 v3, v17, v23
	s_waitcnt lgkmcnt(1)
	v_fmac_f32_e32 v9, v26, v20
	v_fmac_f32_e32 v8, v27, v20
	v_fmac_f32_e32 v2, v26, v24
	v_fmac_f32_e32 v3, v27, v24
	;; [unrolled: 5-line block ×3, first 2 shown]
	s_barrier
	s_cbranch_vccz .LBB938_2
	s_branch .LBB938_4
.LBB938_3:
	v_mov_b32_e32 v9, 0
	v_mov_b32_e32 v8, 0
	;; [unrolled: 1-line block ×4, first 2 shown]
.LBB938_4:
	s_load_dwordx4 s[12:15], s[4:5], 0x48
	s_load_dword s9, s[4:5], 0x0
	v_add_u32_e32 v6, s7, v1
	v_ashrrev_i32_e32 v1, 31, v6
	v_add_u32_e32 v0, s6, v0
	s_waitcnt lgkmcnt(0)
	s_mul_i32 s1, s15, s8
	s_mul_hi_u32 s2, s14, s8
	s_add_i32 s1, s2, s1
	v_mul_lo_u32 v1, s12, v1
	v_mul_lo_u32 v7, s13, v6
	v_mad_u64_u32 v[4:5], s[2:3], s12, v6, 0
	s_mul_i32 s0, s14, s8
	s_lshl_b64 s[0:1], s[0:1], 2
	v_add3_u32 v5, v5, v1, v7
	s_add_u32 s7, s26, s0
	v_lshlrev_b64 v[4:5], 2, v[4:5]
	s_addc_u32 s8, s27, s1
	v_mov_b32_e32 v1, s8
	v_add_co_u32_e32 v7, vcc, s7, v4
	v_addc_co_u32_e32 v10, vcc, v1, v5, vcc
	v_cmp_le_i32_e64 s[0:1], v6, v0
	v_cmp_gt_i32_e32 vcc, s9, v0
	s_and_b64 s[0:1], s[0:1], vcc
	s_and_saveexec_b64 s[2:3], s[0:1]
	s_cbranch_execz .LBB938_6
; %bb.5:
	v_ashrrev_i32_e32 v1, 31, v0
	v_lshlrev_b64 v[4:5], 2, v[0:1]
	v_add_co_u32_e64 v4, s[0:1], v7, v4
	v_addc_co_u32_e64 v5, s[0:1], v10, v5, s[0:1]
	global_store_dword v[4:5], v9, off
.LBB938_6:
	s_or_b64 exec, exec, s[2:3]
	v_add_u32_e32 v4, 16, v0
	v_cmp_le_i32_e64 s[2:3], v6, v4
	v_cmp_gt_i32_e64 s[0:1], s9, v4
	s_and_b64 s[2:3], s[2:3], s[0:1]
	s_and_saveexec_b64 s[4:5], s[2:3]
	s_cbranch_execz .LBB938_8
; %bb.7:
	v_ashrrev_i32_e32 v5, 31, v4
	v_lshlrev_b64 v[11:12], 2, v[4:5]
	v_add_co_u32_e64 v9, s[2:3], v7, v11
	v_addc_co_u32_e64 v10, s[2:3], v10, v12, s[2:3]
	global_store_dword v[9:10], v8, off
.LBB938_8:
	s_or_b64 exec, exec, s[4:5]
	v_add_u32_e32 v5, 16, v6
	v_ashrrev_i32_e32 v1, 31, v5
	v_mul_lo_u32 v8, s13, v5
	v_mad_u64_u32 v[6:7], s[2:3], s12, v5, 0
	v_mul_lo_u32 v1, s12, v1
	v_add3_u32 v7, v7, v1, v8
	v_lshlrev_b64 v[6:7], 2, v[6:7]
	v_mov_b32_e32 v1, s8
	v_add_co_u32_e64 v6, s[2:3], s7, v6
	v_addc_co_u32_e64 v7, s[2:3], v1, v7, s[2:3]
	v_cmp_le_i32_e64 s[2:3], v5, v0
	s_and_b64 s[4:5], s[2:3], vcc
	s_and_saveexec_b64 s[2:3], s[4:5]
	s_cbranch_execz .LBB938_10
; %bb.9:
	v_ashrrev_i32_e32 v1, 31, v0
	v_lshlrev_b64 v[0:1], 2, v[0:1]
	v_add_co_u32_e32 v0, vcc, v6, v0
	v_addc_co_u32_e32 v1, vcc, v7, v1, vcc
	global_store_dword v[0:1], v2, off
.LBB938_10:
	s_or_b64 exec, exec, s[2:3]
	v_cmp_le_i32_e32 vcc, v5, v4
	s_and_b64 s[0:1], vcc, s[0:1]
	s_and_saveexec_b64 s[2:3], s[0:1]
	s_cbranch_execz .LBB938_12
; %bb.11:
	v_ashrrev_i32_e32 v5, 31, v4
	v_lshlrev_b64 v[0:1], 2, v[4:5]
	v_add_co_u32_e32 v0, vcc, v6, v0
	v_addc_co_u32_e32 v1, vcc, v7, v1, vcc
	global_store_dword v[0:1], v3, off
.LBB938_12:
	s_endpgm
	.section	.rodata,"a",@progbits
	.p2align	6, 0x0
	.amdhsa_kernel _ZL37rocblas_syrkx_herkx_restricted_kernelIlfLi16ELi32ELi8ELi1ELi0ELb0ELc84ELc76EKffEviT_PT9_S1_lS3_S1_lPT10_S1_li
		.amdhsa_group_segment_fixed_size 2048
		.amdhsa_private_segment_fixed_size 0
		.amdhsa_kernarg_size 92
		.amdhsa_user_sgpr_count 6
		.amdhsa_user_sgpr_private_segment_buffer 1
		.amdhsa_user_sgpr_dispatch_ptr 0
		.amdhsa_user_sgpr_queue_ptr 0
		.amdhsa_user_sgpr_kernarg_segment_ptr 1
		.amdhsa_user_sgpr_dispatch_id 0
		.amdhsa_user_sgpr_flat_scratch_init 0
		.amdhsa_user_sgpr_private_segment_size 0
		.amdhsa_uses_dynamic_stack 0
		.amdhsa_system_sgpr_private_segment_wavefront_offset 0
		.amdhsa_system_sgpr_workgroup_id_x 1
		.amdhsa_system_sgpr_workgroup_id_y 1
		.amdhsa_system_sgpr_workgroup_id_z 1
		.amdhsa_system_sgpr_workgroup_info 0
		.amdhsa_system_vgpr_workitem_id 1
		.amdhsa_next_free_vgpr 34
		.amdhsa_next_free_sgpr 28
		.amdhsa_reserve_vcc 1
		.amdhsa_reserve_flat_scratch 0
		.amdhsa_float_round_mode_32 0
		.amdhsa_float_round_mode_16_64 0
		.amdhsa_float_denorm_mode_32 3
		.amdhsa_float_denorm_mode_16_64 3
		.amdhsa_dx10_clamp 1
		.amdhsa_ieee_mode 1
		.amdhsa_fp16_overflow 0
		.amdhsa_exception_fp_ieee_invalid_op 0
		.amdhsa_exception_fp_denorm_src 0
		.amdhsa_exception_fp_ieee_div_zero 0
		.amdhsa_exception_fp_ieee_overflow 0
		.amdhsa_exception_fp_ieee_underflow 0
		.amdhsa_exception_fp_ieee_inexact 0
		.amdhsa_exception_int_div_zero 0
	.end_amdhsa_kernel
	.section	.text._ZL37rocblas_syrkx_herkx_restricted_kernelIlfLi16ELi32ELi8ELi1ELi0ELb0ELc84ELc76EKffEviT_PT9_S1_lS3_S1_lPT10_S1_li,"axG",@progbits,_ZL37rocblas_syrkx_herkx_restricted_kernelIlfLi16ELi32ELi8ELi1ELi0ELb0ELc84ELc76EKffEviT_PT9_S1_lS3_S1_lPT10_S1_li,comdat
.Lfunc_end938:
	.size	_ZL37rocblas_syrkx_herkx_restricted_kernelIlfLi16ELi32ELi8ELi1ELi0ELb0ELc84ELc76EKffEviT_PT9_S1_lS3_S1_lPT10_S1_li, .Lfunc_end938-_ZL37rocblas_syrkx_herkx_restricted_kernelIlfLi16ELi32ELi8ELi1ELi0ELb0ELc84ELc76EKffEviT_PT9_S1_lS3_S1_lPT10_S1_li
                                        ; -- End function
	.set _ZL37rocblas_syrkx_herkx_restricted_kernelIlfLi16ELi32ELi8ELi1ELi0ELb0ELc84ELc76EKffEviT_PT9_S1_lS3_S1_lPT10_S1_li.num_vgpr, 34
	.set _ZL37rocblas_syrkx_herkx_restricted_kernelIlfLi16ELi32ELi8ELi1ELi0ELb0ELc84ELc76EKffEviT_PT9_S1_lS3_S1_lPT10_S1_li.num_agpr, 0
	.set _ZL37rocblas_syrkx_herkx_restricted_kernelIlfLi16ELi32ELi8ELi1ELi0ELb0ELc84ELc76EKffEviT_PT9_S1_lS3_S1_lPT10_S1_li.numbered_sgpr, 28
	.set _ZL37rocblas_syrkx_herkx_restricted_kernelIlfLi16ELi32ELi8ELi1ELi0ELb0ELc84ELc76EKffEviT_PT9_S1_lS3_S1_lPT10_S1_li.num_named_barrier, 0
	.set _ZL37rocblas_syrkx_herkx_restricted_kernelIlfLi16ELi32ELi8ELi1ELi0ELb0ELc84ELc76EKffEviT_PT9_S1_lS3_S1_lPT10_S1_li.private_seg_size, 0
	.set _ZL37rocblas_syrkx_herkx_restricted_kernelIlfLi16ELi32ELi8ELi1ELi0ELb0ELc84ELc76EKffEviT_PT9_S1_lS3_S1_lPT10_S1_li.uses_vcc, 1
	.set _ZL37rocblas_syrkx_herkx_restricted_kernelIlfLi16ELi32ELi8ELi1ELi0ELb0ELc84ELc76EKffEviT_PT9_S1_lS3_S1_lPT10_S1_li.uses_flat_scratch, 0
	.set _ZL37rocblas_syrkx_herkx_restricted_kernelIlfLi16ELi32ELi8ELi1ELi0ELb0ELc84ELc76EKffEviT_PT9_S1_lS3_S1_lPT10_S1_li.has_dyn_sized_stack, 0
	.set _ZL37rocblas_syrkx_herkx_restricted_kernelIlfLi16ELi32ELi8ELi1ELi0ELb0ELc84ELc76EKffEviT_PT9_S1_lS3_S1_lPT10_S1_li.has_recursion, 0
	.set _ZL37rocblas_syrkx_herkx_restricted_kernelIlfLi16ELi32ELi8ELi1ELi0ELb0ELc84ELc76EKffEviT_PT9_S1_lS3_S1_lPT10_S1_li.has_indirect_call, 0
	.section	.AMDGPU.csdata,"",@progbits
; Kernel info:
; codeLenInByte = 1120
; TotalNumSgprs: 32
; NumVgprs: 34
; ScratchSize: 0
; MemoryBound: 0
; FloatMode: 240
; IeeeMode: 1
; LDSByteSize: 2048 bytes/workgroup (compile time only)
; SGPRBlocks: 3
; VGPRBlocks: 8
; NumSGPRsForWavesPerEU: 32
; NumVGPRsForWavesPerEU: 34
; Occupancy: 7
; WaveLimiterHint : 1
; COMPUTE_PGM_RSRC2:SCRATCH_EN: 0
; COMPUTE_PGM_RSRC2:USER_SGPR: 6
; COMPUTE_PGM_RSRC2:TRAP_HANDLER: 0
; COMPUTE_PGM_RSRC2:TGID_X_EN: 1
; COMPUTE_PGM_RSRC2:TGID_Y_EN: 1
; COMPUTE_PGM_RSRC2:TGID_Z_EN: 1
; COMPUTE_PGM_RSRC2:TIDIG_COMP_CNT: 1
	.section	.text._ZL37rocblas_syrkx_herkx_restricted_kernelIlfLi16ELi32ELi8ELi1ELi0ELb0ELc67ELc76EKffEviT_PT9_S1_lS3_S1_lPT10_S1_li,"axG",@progbits,_ZL37rocblas_syrkx_herkx_restricted_kernelIlfLi16ELi32ELi8ELi1ELi0ELb0ELc67ELc76EKffEviT_PT9_S1_lS3_S1_lPT10_S1_li,comdat
	.globl	_ZL37rocblas_syrkx_herkx_restricted_kernelIlfLi16ELi32ELi8ELi1ELi0ELb0ELc67ELc76EKffEviT_PT9_S1_lS3_S1_lPT10_S1_li ; -- Begin function _ZL37rocblas_syrkx_herkx_restricted_kernelIlfLi16ELi32ELi8ELi1ELi0ELb0ELc67ELc76EKffEviT_PT9_S1_lS3_S1_lPT10_S1_li
	.p2align	8
	.type	_ZL37rocblas_syrkx_herkx_restricted_kernelIlfLi16ELi32ELi8ELi1ELi0ELb0ELc67ELc76EKffEviT_PT9_S1_lS3_S1_lPT10_S1_li,@function
_ZL37rocblas_syrkx_herkx_restricted_kernelIlfLi16ELi32ELi8ELi1ELi0ELb0ELc67ELc76EKffEviT_PT9_S1_lS3_S1_lPT10_S1_li: ; @_ZL37rocblas_syrkx_herkx_restricted_kernelIlfLi16ELi32ELi8ELi1ELi0ELb0ELc67ELc76EKffEviT_PT9_S1_lS3_S1_lPT10_S1_li
; %bb.0:
	s_load_dwordx16 s[12:27], s[4:5], 0x8
	s_lshl_b32 s6, s6, 5
	s_lshl_b32 s7, s7, 5
	s_waitcnt lgkmcnt(0)
	v_cmp_lt_i64_e64 s[0:1], s[12:13], 1
	s_and_b64 vcc, exec, s[0:1]
	s_cbranch_vccnz .LBB939_3
; %bb.1:
	v_lshl_add_u32 v4, v1, 4, v0
	v_lshrrev_b32_e32 v8, 3, v4
	v_add_u32_e32 v5, s7, v8
	v_ashrrev_i32_e32 v6, 31, v5
	v_and_b32_e32 v2, 7, v0
	v_mov_b32_e32 v3, 0
	v_mul_lo_u32 v9, s22, v6
	v_mul_lo_u32 v10, s23, v5
	v_mad_u64_u32 v[6:7], s[0:1], s22, v5, v[2:3]
	v_lshlrev_b32_e32 v2, 2, v2
	v_lshl_or_b32 v2, v8, 5, v2
	v_add3_u32 v7, v10, v7, v9
	v_and_b32_e32 v9, 31, v4
	v_add_u32_e32 v11, 0x400, v2
	v_mov_b32_e32 v2, 0x400
	v_lshl_add_u32 v13, v1, 5, v2
	v_add_u32_e32 v2, s6, v9
	v_lshrrev_b32_e32 v4, 5, v4
	v_mov_b32_e32 v5, v3
	v_lshlrev_b32_e32 v10, 2, v9
	v_ashrrev_i32_e32 v8, 31, v2
	v_lshl_or_b32 v10, v4, 7, v10
	v_mul_lo_u32 v8, s16, v8
	v_mad_u64_u32 v[4:5], s[0:1], s16, v2, v[4:5]
	v_mul_lo_u32 v2, s17, v2
	s_mul_i32 s2, s19, s8
	s_mul_hi_u32 s3, s18, s8
	s_add_i32 s1, s3, s2
	s_mul_i32 s0, s18, s8
	s_lshl_b64 s[0:1], s[0:1], 2
	v_add3_u32 v5, v2, v5, v8
	v_lshlrev_b64 v[4:5], 2, v[4:5]
	s_add_u32 s0, s14, s0
	s_addc_u32 s1, s15, s1
	v_mov_b32_e32 v2, s1
	v_add_co_u32_e32 v4, vcc, s0, v4
	s_mul_i32 s0, s25, s8
	s_mul_hi_u32 s1, s24, s8
	s_add_i32 s1, s1, s0
	s_mul_i32 s0, s24, s8
	s_lshl_b64 s[0:1], s[0:1], 2
	v_lshlrev_b64 v[6:7], 2, v[6:7]
	s_add_u32 s0, s20, s0
	v_addc_co_u32_e32 v5, vcc, v2, v5, vcc
	s_addc_u32 s1, s21, s1
	v_mov_b32_e32 v2, s1
	v_add_co_u32_e32 v6, vcc, s0, v6
	v_lshlrev_b32_e32 v12, 2, v0
	v_addc_co_u32_e32 v7, vcc, v2, v7, vcc
	s_mov_b64 s[2:3], 0
	v_mov_b32_e32 v2, v3
	v_mov_b32_e32 v8, v3
	;; [unrolled: 1-line block ×3, first 2 shown]
.LBB939_2:                              ; =>This Inner Loop Header: Depth=1
	global_load_dword v14, v[4:5], off
	global_load_dword v15, v[6:7], off
	s_add_u32 s2, s2, 8
	s_addc_u32 s3, s3, 0
	v_add_co_u32_e64 v4, s[0:1], 32, v4
	v_addc_co_u32_e64 v5, s[0:1], 0, v5, s[0:1]
	v_add_co_u32_e64 v6, s[0:1], 32, v6
	v_addc_co_u32_e64 v7, s[0:1], 0, v7, s[0:1]
	s_waitcnt vmcnt(1)
	ds_write_b32 v10, v14
	s_waitcnt vmcnt(0)
	ds_write_b32 v11, v15
	s_waitcnt lgkmcnt(0)
	s_barrier
	ds_read2_b32 v[26:27], v12 offset1:16
	ds_read_b128 v[14:17], v13
	ds_read2_b32 v[28:29], v12 offset0:32 offset1:48
	ds_read2_b32 v[30:31], v12 offset0:64 offset1:80
	ds_read_b128 v[18:21], v13 offset:16
	ds_read2_b32 v[32:33], v12 offset0:96 offset1:112
	s_waitcnt lgkmcnt(4)
	v_fmac_f32_e32 v9, v26, v14
	v_fmac_f32_e32 v8, v27, v14
	s_waitcnt lgkmcnt(3)
	v_fmac_f32_e32 v9, v28, v15
	v_fmac_f32_e32 v8, v29, v15
	v_mov_b32_e32 v15, s3
	s_waitcnt lgkmcnt(2)
	v_fmac_f32_e32 v9, v30, v16
	v_fmac_f32_e32 v8, v31, v16
	v_mov_b32_e32 v14, s2
	s_waitcnt lgkmcnt(0)
	v_fmac_f32_e32 v9, v32, v17
	v_fmac_f32_e32 v8, v33, v17
	v_cmp_le_u64_e32 vcc, s[12:13], v[14:15]
	ds_read_b128 v[14:17], v13 offset:512
	ds_read_b128 v[22:25], v13 offset:528
	s_and_b64 vcc, exec, vcc
	s_waitcnt lgkmcnt(1)
	v_fmac_f32_e32 v2, v26, v14
	v_fmac_f32_e32 v3, v27, v14
	;; [unrolled: 1-line block ×8, first 2 shown]
	ds_read2_b32 v[14:15], v12 offset0:128 offset1:144
	ds_read2_b32 v[16:17], v12 offset0:160 offset1:176
	;; [unrolled: 1-line block ×3, first 2 shown]
	s_waitcnt lgkmcnt(2)
	v_fmac_f32_e32 v9, v14, v18
	v_fmac_f32_e32 v8, v15, v18
	;; [unrolled: 1-line block ×4, first 2 shown]
	ds_read2_b32 v[14:15], v12 offset0:224 offset1:240
	s_waitcnt lgkmcnt(2)
	v_fmac_f32_e32 v9, v16, v19
	v_fmac_f32_e32 v8, v17, v19
	v_fmac_f32_e32 v2, v16, v23
	v_fmac_f32_e32 v3, v17, v23
	s_waitcnt lgkmcnt(1)
	v_fmac_f32_e32 v9, v26, v20
	v_fmac_f32_e32 v8, v27, v20
	v_fmac_f32_e32 v2, v26, v24
	v_fmac_f32_e32 v3, v27, v24
	;; [unrolled: 5-line block ×3, first 2 shown]
	s_barrier
	s_cbranch_vccz .LBB939_2
	s_branch .LBB939_4
.LBB939_3:
	v_mov_b32_e32 v9, 0
	v_mov_b32_e32 v8, 0
	;; [unrolled: 1-line block ×4, first 2 shown]
.LBB939_4:
	s_load_dwordx4 s[12:15], s[4:5], 0x48
	s_load_dword s9, s[4:5], 0x0
	v_add_u32_e32 v6, s7, v1
	v_ashrrev_i32_e32 v1, 31, v6
	v_add_u32_e32 v0, s6, v0
	s_waitcnt lgkmcnt(0)
	s_mul_i32 s1, s15, s8
	s_mul_hi_u32 s2, s14, s8
	s_add_i32 s1, s2, s1
	v_mul_lo_u32 v1, s12, v1
	v_mul_lo_u32 v7, s13, v6
	v_mad_u64_u32 v[4:5], s[2:3], s12, v6, 0
	s_mul_i32 s0, s14, s8
	s_lshl_b64 s[0:1], s[0:1], 2
	v_add3_u32 v5, v5, v1, v7
	s_add_u32 s7, s26, s0
	v_lshlrev_b64 v[4:5], 2, v[4:5]
	s_addc_u32 s8, s27, s1
	v_mov_b32_e32 v1, s8
	v_add_co_u32_e32 v7, vcc, s7, v4
	v_addc_co_u32_e32 v10, vcc, v1, v5, vcc
	v_cmp_le_i32_e64 s[0:1], v6, v0
	v_cmp_gt_i32_e32 vcc, s9, v0
	s_and_b64 s[0:1], s[0:1], vcc
	s_and_saveexec_b64 s[2:3], s[0:1]
	s_cbranch_execz .LBB939_6
; %bb.5:
	v_ashrrev_i32_e32 v1, 31, v0
	v_lshlrev_b64 v[4:5], 2, v[0:1]
	v_add_co_u32_e64 v4, s[0:1], v7, v4
	v_addc_co_u32_e64 v5, s[0:1], v10, v5, s[0:1]
	global_store_dword v[4:5], v9, off
.LBB939_6:
	s_or_b64 exec, exec, s[2:3]
	v_add_u32_e32 v4, 16, v0
	v_cmp_le_i32_e64 s[2:3], v6, v4
	v_cmp_gt_i32_e64 s[0:1], s9, v4
	s_and_b64 s[2:3], s[2:3], s[0:1]
	s_and_saveexec_b64 s[4:5], s[2:3]
	s_cbranch_execz .LBB939_8
; %bb.7:
	v_ashrrev_i32_e32 v5, 31, v4
	v_lshlrev_b64 v[11:12], 2, v[4:5]
	v_add_co_u32_e64 v9, s[2:3], v7, v11
	v_addc_co_u32_e64 v10, s[2:3], v10, v12, s[2:3]
	global_store_dword v[9:10], v8, off
.LBB939_8:
	s_or_b64 exec, exec, s[4:5]
	v_add_u32_e32 v5, 16, v6
	v_ashrrev_i32_e32 v1, 31, v5
	v_mul_lo_u32 v8, s13, v5
	v_mad_u64_u32 v[6:7], s[2:3], s12, v5, 0
	v_mul_lo_u32 v1, s12, v1
	v_add3_u32 v7, v7, v1, v8
	v_lshlrev_b64 v[6:7], 2, v[6:7]
	v_mov_b32_e32 v1, s8
	v_add_co_u32_e64 v6, s[2:3], s7, v6
	v_addc_co_u32_e64 v7, s[2:3], v1, v7, s[2:3]
	v_cmp_le_i32_e64 s[2:3], v5, v0
	s_and_b64 s[4:5], s[2:3], vcc
	s_and_saveexec_b64 s[2:3], s[4:5]
	s_cbranch_execz .LBB939_10
; %bb.9:
	v_ashrrev_i32_e32 v1, 31, v0
	v_lshlrev_b64 v[0:1], 2, v[0:1]
	v_add_co_u32_e32 v0, vcc, v6, v0
	v_addc_co_u32_e32 v1, vcc, v7, v1, vcc
	global_store_dword v[0:1], v2, off
.LBB939_10:
	s_or_b64 exec, exec, s[2:3]
	v_cmp_le_i32_e32 vcc, v5, v4
	s_and_b64 s[0:1], vcc, s[0:1]
	s_and_saveexec_b64 s[2:3], s[0:1]
	s_cbranch_execz .LBB939_12
; %bb.11:
	v_ashrrev_i32_e32 v5, 31, v4
	v_lshlrev_b64 v[0:1], 2, v[4:5]
	v_add_co_u32_e32 v0, vcc, v6, v0
	v_addc_co_u32_e32 v1, vcc, v7, v1, vcc
	global_store_dword v[0:1], v3, off
.LBB939_12:
	s_endpgm
	.section	.rodata,"a",@progbits
	.p2align	6, 0x0
	.amdhsa_kernel _ZL37rocblas_syrkx_herkx_restricted_kernelIlfLi16ELi32ELi8ELi1ELi0ELb0ELc67ELc76EKffEviT_PT9_S1_lS3_S1_lPT10_S1_li
		.amdhsa_group_segment_fixed_size 2048
		.amdhsa_private_segment_fixed_size 0
		.amdhsa_kernarg_size 92
		.amdhsa_user_sgpr_count 6
		.amdhsa_user_sgpr_private_segment_buffer 1
		.amdhsa_user_sgpr_dispatch_ptr 0
		.amdhsa_user_sgpr_queue_ptr 0
		.amdhsa_user_sgpr_kernarg_segment_ptr 1
		.amdhsa_user_sgpr_dispatch_id 0
		.amdhsa_user_sgpr_flat_scratch_init 0
		.amdhsa_user_sgpr_private_segment_size 0
		.amdhsa_uses_dynamic_stack 0
		.amdhsa_system_sgpr_private_segment_wavefront_offset 0
		.amdhsa_system_sgpr_workgroup_id_x 1
		.amdhsa_system_sgpr_workgroup_id_y 1
		.amdhsa_system_sgpr_workgroup_id_z 1
		.amdhsa_system_sgpr_workgroup_info 0
		.amdhsa_system_vgpr_workitem_id 1
		.amdhsa_next_free_vgpr 34
		.amdhsa_next_free_sgpr 28
		.amdhsa_reserve_vcc 1
		.amdhsa_reserve_flat_scratch 0
		.amdhsa_float_round_mode_32 0
		.amdhsa_float_round_mode_16_64 0
		.amdhsa_float_denorm_mode_32 3
		.amdhsa_float_denorm_mode_16_64 3
		.amdhsa_dx10_clamp 1
		.amdhsa_ieee_mode 1
		.amdhsa_fp16_overflow 0
		.amdhsa_exception_fp_ieee_invalid_op 0
		.amdhsa_exception_fp_denorm_src 0
		.amdhsa_exception_fp_ieee_div_zero 0
		.amdhsa_exception_fp_ieee_overflow 0
		.amdhsa_exception_fp_ieee_underflow 0
		.amdhsa_exception_fp_ieee_inexact 0
		.amdhsa_exception_int_div_zero 0
	.end_amdhsa_kernel
	.section	.text._ZL37rocblas_syrkx_herkx_restricted_kernelIlfLi16ELi32ELi8ELi1ELi0ELb0ELc67ELc76EKffEviT_PT9_S1_lS3_S1_lPT10_S1_li,"axG",@progbits,_ZL37rocblas_syrkx_herkx_restricted_kernelIlfLi16ELi32ELi8ELi1ELi0ELb0ELc67ELc76EKffEviT_PT9_S1_lS3_S1_lPT10_S1_li,comdat
.Lfunc_end939:
	.size	_ZL37rocblas_syrkx_herkx_restricted_kernelIlfLi16ELi32ELi8ELi1ELi0ELb0ELc67ELc76EKffEviT_PT9_S1_lS3_S1_lPT10_S1_li, .Lfunc_end939-_ZL37rocblas_syrkx_herkx_restricted_kernelIlfLi16ELi32ELi8ELi1ELi0ELb0ELc67ELc76EKffEviT_PT9_S1_lS3_S1_lPT10_S1_li
                                        ; -- End function
	.set _ZL37rocblas_syrkx_herkx_restricted_kernelIlfLi16ELi32ELi8ELi1ELi0ELb0ELc67ELc76EKffEviT_PT9_S1_lS3_S1_lPT10_S1_li.num_vgpr, 34
	.set _ZL37rocblas_syrkx_herkx_restricted_kernelIlfLi16ELi32ELi8ELi1ELi0ELb0ELc67ELc76EKffEviT_PT9_S1_lS3_S1_lPT10_S1_li.num_agpr, 0
	.set _ZL37rocblas_syrkx_herkx_restricted_kernelIlfLi16ELi32ELi8ELi1ELi0ELb0ELc67ELc76EKffEviT_PT9_S1_lS3_S1_lPT10_S1_li.numbered_sgpr, 28
	.set _ZL37rocblas_syrkx_herkx_restricted_kernelIlfLi16ELi32ELi8ELi1ELi0ELb0ELc67ELc76EKffEviT_PT9_S1_lS3_S1_lPT10_S1_li.num_named_barrier, 0
	.set _ZL37rocblas_syrkx_herkx_restricted_kernelIlfLi16ELi32ELi8ELi1ELi0ELb0ELc67ELc76EKffEviT_PT9_S1_lS3_S1_lPT10_S1_li.private_seg_size, 0
	.set _ZL37rocblas_syrkx_herkx_restricted_kernelIlfLi16ELi32ELi8ELi1ELi0ELb0ELc67ELc76EKffEviT_PT9_S1_lS3_S1_lPT10_S1_li.uses_vcc, 1
	.set _ZL37rocblas_syrkx_herkx_restricted_kernelIlfLi16ELi32ELi8ELi1ELi0ELb0ELc67ELc76EKffEviT_PT9_S1_lS3_S1_lPT10_S1_li.uses_flat_scratch, 0
	.set _ZL37rocblas_syrkx_herkx_restricted_kernelIlfLi16ELi32ELi8ELi1ELi0ELb0ELc67ELc76EKffEviT_PT9_S1_lS3_S1_lPT10_S1_li.has_dyn_sized_stack, 0
	.set _ZL37rocblas_syrkx_herkx_restricted_kernelIlfLi16ELi32ELi8ELi1ELi0ELb0ELc67ELc76EKffEviT_PT9_S1_lS3_S1_lPT10_S1_li.has_recursion, 0
	.set _ZL37rocblas_syrkx_herkx_restricted_kernelIlfLi16ELi32ELi8ELi1ELi0ELb0ELc67ELc76EKffEviT_PT9_S1_lS3_S1_lPT10_S1_li.has_indirect_call, 0
	.section	.AMDGPU.csdata,"",@progbits
; Kernel info:
; codeLenInByte = 1120
; TotalNumSgprs: 32
; NumVgprs: 34
; ScratchSize: 0
; MemoryBound: 0
; FloatMode: 240
; IeeeMode: 1
; LDSByteSize: 2048 bytes/workgroup (compile time only)
; SGPRBlocks: 3
; VGPRBlocks: 8
; NumSGPRsForWavesPerEU: 32
; NumVGPRsForWavesPerEU: 34
; Occupancy: 7
; WaveLimiterHint : 1
; COMPUTE_PGM_RSRC2:SCRATCH_EN: 0
; COMPUTE_PGM_RSRC2:USER_SGPR: 6
; COMPUTE_PGM_RSRC2:TRAP_HANDLER: 0
; COMPUTE_PGM_RSRC2:TGID_X_EN: 1
; COMPUTE_PGM_RSRC2:TGID_Y_EN: 1
; COMPUTE_PGM_RSRC2:TGID_Z_EN: 1
; COMPUTE_PGM_RSRC2:TIDIG_COMP_CNT: 1
	.section	.text._ZL37rocblas_syrkx_herkx_restricted_kernelIlfLi16ELi32ELi8ELi1ELi0ELb0ELc78ELc76EKffEviT_PT9_S1_lS3_S1_lPT10_S1_li,"axG",@progbits,_ZL37rocblas_syrkx_herkx_restricted_kernelIlfLi16ELi32ELi8ELi1ELi0ELb0ELc78ELc76EKffEviT_PT9_S1_lS3_S1_lPT10_S1_li,comdat
	.globl	_ZL37rocblas_syrkx_herkx_restricted_kernelIlfLi16ELi32ELi8ELi1ELi0ELb0ELc78ELc76EKffEviT_PT9_S1_lS3_S1_lPT10_S1_li ; -- Begin function _ZL37rocblas_syrkx_herkx_restricted_kernelIlfLi16ELi32ELi8ELi1ELi0ELb0ELc78ELc76EKffEviT_PT9_S1_lS3_S1_lPT10_S1_li
	.p2align	8
	.type	_ZL37rocblas_syrkx_herkx_restricted_kernelIlfLi16ELi32ELi8ELi1ELi0ELb0ELc78ELc76EKffEviT_PT9_S1_lS3_S1_lPT10_S1_li,@function
_ZL37rocblas_syrkx_herkx_restricted_kernelIlfLi16ELi32ELi8ELi1ELi0ELb0ELc78ELc76EKffEviT_PT9_S1_lS3_S1_lPT10_S1_li: ; @_ZL37rocblas_syrkx_herkx_restricted_kernelIlfLi16ELi32ELi8ELi1ELi0ELb0ELc78ELc76EKffEviT_PT9_S1_lS3_S1_lPT10_S1_li
; %bb.0:
	s_load_dwordx16 s[12:27], s[4:5], 0x8
	s_lshl_b32 s9, s6, 5
	s_lshl_b32 s28, s7, 5
	s_waitcnt lgkmcnt(0)
	v_cmp_lt_i64_e64 s[0:1], s[12:13], 1
	s_and_b64 vcc, exec, s[0:1]
	s_cbranch_vccnz .LBB940_3
; %bb.1:
	v_lshl_add_u32 v7, v1, 4, v0
	v_lshrrev_b32_e32 v8, 3, v7
	v_add_u32_e32 v2, s28, v8
	v_and_b32_e32 v6, 7, v0
	v_ashrrev_i32_e32 v3, 31, v2
	v_mad_u64_u32 v[4:5], s[0:1], s22, v6, v[2:3]
	v_lshrrev_b32_e32 v9, 5, v7
	s_mul_i32 s2, s19, s8
	v_mov_b32_e32 v2, v5
	v_mad_u64_u32 v[2:3], s[0:1], s23, v6, v[2:3]
	v_and_b32_e32 v3, 31, v7
	v_lshlrev_b32_e32 v7, 2, v3
	v_mov_b32_e32 v5, v2
	v_lshlrev_b32_e32 v2, 2, v6
	v_lshl_or_b32 v2, v8, 5, v2
	v_add_u32_e32 v11, 0x400, v2
	v_add_u32_e32 v2, s9, v3
	v_ashrrev_i32_e32 v3, 31, v2
	v_mad_u64_u32 v[2:3], s[0:1], s16, v9, v[2:3]
	v_mov_b32_e32 v6, 0x400
	v_lshl_or_b32 v10, v9, 7, v7
	v_lshl_add_u32 v13, v1, 5, v6
	v_mad_u64_u32 v[6:7], s[0:1], s17, v9, v[3:4]
	s_mul_hi_u32 s3, s18, s8
	s_add_i32 s1, s3, s2
	s_mul_i32 s0, s18, s8
	s_lshl_b64 s[0:1], s[0:1], 2
	v_mov_b32_e32 v3, v6
	v_lshlrev_b64 v[2:3], 2, v[2:3]
	s_add_u32 s0, s14, s0
	s_addc_u32 s1, s15, s1
	v_mov_b32_e32 v6, s1
	v_add_co_u32_e32 v2, vcc, s0, v2
	s_mul_i32 s0, s25, s8
	s_mul_hi_u32 s1, s24, s8
	s_add_i32 s1, s1, s0
	s_mul_i32 s0, s24, s8
	s_lshl_b64 s[2:3], s[16:17], 5
	s_lshl_b64 s[0:1], s[0:1], 2
	v_lshlrev_b64 v[4:5], 2, v[4:5]
	s_add_u32 s0, s20, s0
	v_addc_co_u32_e32 v3, vcc, v6, v3, vcc
	s_addc_u32 s1, s21, s1
	v_mov_b32_e32 v6, s1
	v_add_co_u32_e32 v4, vcc, s0, v4
	v_lshlrev_b32_e32 v12, 2, v0
	v_addc_co_u32_e32 v5, vcc, v6, v5, vcc
	s_lshl_b64 s[6:7], s[22:23], 5
	v_mov_b32_e32 v6, 0
	s_mov_b64 s[10:11], 0
	v_mov_b32_e32 v7, 0
	v_mov_b32_e32 v8, 0
	;; [unrolled: 1-line block ×3, first 2 shown]
.LBB940_2:                              ; =>This Inner Loop Header: Depth=1
	global_load_dword v16, v[2:3], off
	global_load_dword v17, v[4:5], off
	s_add_u32 s10, s10, 8
	s_addc_u32 s11, s11, 0
	v_mov_b32_e32 v15, s11
	v_mov_b32_e32 v14, s10
	v_cmp_le_u64_e32 vcc, s[12:13], v[14:15]
	v_add_co_u32_e64 v2, s[0:1], s2, v2
	s_and_b64 vcc, exec, vcc
	s_waitcnt vmcnt(1)
	ds_write_b32 v10, v16
	s_waitcnt vmcnt(0)
	ds_write_b32 v11, v17
	s_waitcnt lgkmcnt(0)
	s_barrier
	ds_read2_b32 v[26:27], v12 offset1:16
	ds_read_b128 v[14:17], v13
	ds_read2_b32 v[28:29], v12 offset0:32 offset1:48
	ds_read2_b32 v[30:31], v12 offset0:64 offset1:80
	;; [unrolled: 1-line block ×3, first 2 shown]
	ds_read_b128 v[18:21], v13 offset:16
	s_waitcnt lgkmcnt(4)
	v_fmac_f32_e32 v9, v26, v14
	v_fmac_f32_e32 v8, v27, v14
	s_waitcnt lgkmcnt(3)
	v_fmac_f32_e32 v9, v28, v15
	v_fmac_f32_e32 v8, v29, v15
	;; [unrolled: 3-line block ×4, first 2 shown]
	ds_read_b128 v[14:17], v13 offset:512
	ds_read_b128 v[22:25], v13 offset:528
	s_waitcnt lgkmcnt(1)
	v_fmac_f32_e32 v7, v26, v14
	v_fmac_f32_e32 v6, v27, v14
	v_mov_b32_e32 v14, s3
	v_addc_co_u32_e64 v3, s[0:1], v3, v14, s[0:1]
	v_mov_b32_e32 v14, s7
	v_add_co_u32_e64 v4, s[0:1], s6, v4
	v_fmac_f32_e32 v7, v28, v15
	v_fmac_f32_e32 v6, v29, v15
	v_addc_co_u32_e64 v5, s[0:1], v5, v14, s[0:1]
	ds_read2_b32 v[14:15], v12 offset0:128 offset1:144
	v_fmac_f32_e32 v7, v30, v16
	v_fmac_f32_e32 v6, v31, v16
	;; [unrolled: 1-line block ×4, first 2 shown]
	ds_read2_b32 v[16:17], v12 offset0:160 offset1:176
	ds_read2_b32 v[26:27], v12 offset0:192 offset1:208
	;; [unrolled: 1-line block ×3, first 2 shown]
	s_waitcnt lgkmcnt(3)
	v_fmac_f32_e32 v9, v14, v18
	v_fmac_f32_e32 v8, v15, v18
	v_fmac_f32_e32 v7, v14, v22
	v_fmac_f32_e32 v6, v15, v22
	s_waitcnt lgkmcnt(2)
	v_fmac_f32_e32 v9, v16, v19
	v_fmac_f32_e32 v8, v17, v19
	v_fmac_f32_e32 v7, v16, v23
	v_fmac_f32_e32 v6, v17, v23
	;; [unrolled: 5-line block ×4, first 2 shown]
	s_barrier
	s_cbranch_vccz .LBB940_2
	s_branch .LBB940_4
.LBB940_3:
	v_mov_b32_e32 v9, 0
	v_mov_b32_e32 v8, 0
	;; [unrolled: 1-line block ×4, first 2 shown]
.LBB940_4:
	s_load_dwordx4 s[12:15], s[4:5], 0x48
	s_load_dword s10, s[4:5], 0x0
	v_add_u32_e32 v4, s28, v1
	v_ashrrev_i32_e32 v1, 31, v4
	v_add_u32_e32 v0, s9, v0
	s_waitcnt lgkmcnt(0)
	s_mul_i32 s1, s15, s8
	s_mul_hi_u32 s2, s14, s8
	s_add_i32 s1, s2, s1
	v_mul_lo_u32 v3, s12, v1
	v_mul_lo_u32 v5, s13, v4
	v_mad_u64_u32 v[1:2], s[2:3], s12, v4, 0
	s_mul_i32 s0, s14, s8
	s_lshl_b64 s[0:1], s[0:1], 2
	v_add3_u32 v2, v2, v3, v5
	s_add_u32 s6, s26, s0
	v_lshlrev_b64 v[1:2], 2, v[1:2]
	s_addc_u32 s7, s27, s1
	v_mov_b32_e32 v3, s7
	v_add_co_u32_e32 v5, vcc, s6, v1
	v_addc_co_u32_e32 v10, vcc, v3, v2, vcc
	v_cmp_le_i32_e64 s[0:1], v4, v0
	v_cmp_gt_i32_e32 vcc, s10, v0
	s_and_b64 s[0:1], s[0:1], vcc
	s_and_saveexec_b64 s[2:3], s[0:1]
	s_cbranch_execz .LBB940_6
; %bb.5:
	v_ashrrev_i32_e32 v1, 31, v0
	v_lshlrev_b64 v[1:2], 2, v[0:1]
	v_add_co_u32_e64 v1, s[0:1], v5, v1
	v_addc_co_u32_e64 v2, s[0:1], v10, v2, s[0:1]
	global_store_dword v[1:2], v9, off
.LBB940_6:
	s_or_b64 exec, exec, s[2:3]
	v_add_u32_e32 v2, 16, v0
	v_cmp_le_i32_e64 s[2:3], v4, v2
	v_cmp_gt_i32_e64 s[0:1], s10, v2
	s_and_b64 s[2:3], s[2:3], s[0:1]
	s_and_saveexec_b64 s[4:5], s[2:3]
	s_cbranch_execz .LBB940_8
; %bb.7:
	v_ashrrev_i32_e32 v3, 31, v2
	v_lshlrev_b64 v[11:12], 2, v[2:3]
	v_add_co_u32_e64 v9, s[2:3], v5, v11
	v_addc_co_u32_e64 v10, s[2:3], v10, v12, s[2:3]
	global_store_dword v[9:10], v8, off
.LBB940_8:
	s_or_b64 exec, exec, s[4:5]
	v_add_u32_e32 v3, 16, v4
	v_ashrrev_i32_e32 v1, 31, v3
	v_mul_lo_u32 v8, s13, v3
	v_mad_u64_u32 v[4:5], s[2:3], s12, v3, 0
	v_mul_lo_u32 v1, s12, v1
	v_add3_u32 v5, v5, v1, v8
	v_lshlrev_b64 v[4:5], 2, v[4:5]
	v_mov_b32_e32 v1, s7
	v_add_co_u32_e64 v4, s[2:3], s6, v4
	v_addc_co_u32_e64 v5, s[2:3], v1, v5, s[2:3]
	v_cmp_le_i32_e64 s[2:3], v3, v0
	s_and_b64 s[4:5], s[2:3], vcc
	s_and_saveexec_b64 s[2:3], s[4:5]
	s_cbranch_execz .LBB940_10
; %bb.9:
	v_ashrrev_i32_e32 v1, 31, v0
	v_lshlrev_b64 v[0:1], 2, v[0:1]
	v_add_co_u32_e32 v0, vcc, v4, v0
	v_addc_co_u32_e32 v1, vcc, v5, v1, vcc
	global_store_dword v[0:1], v7, off
.LBB940_10:
	s_or_b64 exec, exec, s[2:3]
	v_cmp_le_i32_e32 vcc, v3, v2
	s_and_b64 s[0:1], vcc, s[0:1]
	s_and_saveexec_b64 s[2:3], s[0:1]
	s_cbranch_execz .LBB940_12
; %bb.11:
	v_ashrrev_i32_e32 v3, 31, v2
	v_lshlrev_b64 v[0:1], 2, v[2:3]
	v_add_co_u32_e32 v0, vcc, v4, v0
	v_addc_co_u32_e32 v1, vcc, v5, v1, vcc
	global_store_dword v[0:1], v6, off
.LBB940_12:
	s_endpgm
	.section	.rodata,"a",@progbits
	.p2align	6, 0x0
	.amdhsa_kernel _ZL37rocblas_syrkx_herkx_restricted_kernelIlfLi16ELi32ELi8ELi1ELi0ELb0ELc78ELc76EKffEviT_PT9_S1_lS3_S1_lPT10_S1_li
		.amdhsa_group_segment_fixed_size 2048
		.amdhsa_private_segment_fixed_size 0
		.amdhsa_kernarg_size 92
		.amdhsa_user_sgpr_count 6
		.amdhsa_user_sgpr_private_segment_buffer 1
		.amdhsa_user_sgpr_dispatch_ptr 0
		.amdhsa_user_sgpr_queue_ptr 0
		.amdhsa_user_sgpr_kernarg_segment_ptr 1
		.amdhsa_user_sgpr_dispatch_id 0
		.amdhsa_user_sgpr_flat_scratch_init 0
		.amdhsa_user_sgpr_private_segment_size 0
		.amdhsa_uses_dynamic_stack 0
		.amdhsa_system_sgpr_private_segment_wavefront_offset 0
		.amdhsa_system_sgpr_workgroup_id_x 1
		.amdhsa_system_sgpr_workgroup_id_y 1
		.amdhsa_system_sgpr_workgroup_id_z 1
		.amdhsa_system_sgpr_workgroup_info 0
		.amdhsa_system_vgpr_workitem_id 1
		.amdhsa_next_free_vgpr 34
		.amdhsa_next_free_sgpr 29
		.amdhsa_reserve_vcc 1
		.amdhsa_reserve_flat_scratch 0
		.amdhsa_float_round_mode_32 0
		.amdhsa_float_round_mode_16_64 0
		.amdhsa_float_denorm_mode_32 3
		.amdhsa_float_denorm_mode_16_64 3
		.amdhsa_dx10_clamp 1
		.amdhsa_ieee_mode 1
		.amdhsa_fp16_overflow 0
		.amdhsa_exception_fp_ieee_invalid_op 0
		.amdhsa_exception_fp_denorm_src 0
		.amdhsa_exception_fp_ieee_div_zero 0
		.amdhsa_exception_fp_ieee_overflow 0
		.amdhsa_exception_fp_ieee_underflow 0
		.amdhsa_exception_fp_ieee_inexact 0
		.amdhsa_exception_int_div_zero 0
	.end_amdhsa_kernel
	.section	.text._ZL37rocblas_syrkx_herkx_restricted_kernelIlfLi16ELi32ELi8ELi1ELi0ELb0ELc78ELc76EKffEviT_PT9_S1_lS3_S1_lPT10_S1_li,"axG",@progbits,_ZL37rocblas_syrkx_herkx_restricted_kernelIlfLi16ELi32ELi8ELi1ELi0ELb0ELc78ELc76EKffEviT_PT9_S1_lS3_S1_lPT10_S1_li,comdat
.Lfunc_end940:
	.size	_ZL37rocblas_syrkx_herkx_restricted_kernelIlfLi16ELi32ELi8ELi1ELi0ELb0ELc78ELc76EKffEviT_PT9_S1_lS3_S1_lPT10_S1_li, .Lfunc_end940-_ZL37rocblas_syrkx_herkx_restricted_kernelIlfLi16ELi32ELi8ELi1ELi0ELb0ELc78ELc76EKffEviT_PT9_S1_lS3_S1_lPT10_S1_li
                                        ; -- End function
	.set _ZL37rocblas_syrkx_herkx_restricted_kernelIlfLi16ELi32ELi8ELi1ELi0ELb0ELc78ELc76EKffEviT_PT9_S1_lS3_S1_lPT10_S1_li.num_vgpr, 34
	.set _ZL37rocblas_syrkx_herkx_restricted_kernelIlfLi16ELi32ELi8ELi1ELi0ELb0ELc78ELc76EKffEviT_PT9_S1_lS3_S1_lPT10_S1_li.num_agpr, 0
	.set _ZL37rocblas_syrkx_herkx_restricted_kernelIlfLi16ELi32ELi8ELi1ELi0ELb0ELc78ELc76EKffEviT_PT9_S1_lS3_S1_lPT10_S1_li.numbered_sgpr, 29
	.set _ZL37rocblas_syrkx_herkx_restricted_kernelIlfLi16ELi32ELi8ELi1ELi0ELb0ELc78ELc76EKffEviT_PT9_S1_lS3_S1_lPT10_S1_li.num_named_barrier, 0
	.set _ZL37rocblas_syrkx_herkx_restricted_kernelIlfLi16ELi32ELi8ELi1ELi0ELb0ELc78ELc76EKffEviT_PT9_S1_lS3_S1_lPT10_S1_li.private_seg_size, 0
	.set _ZL37rocblas_syrkx_herkx_restricted_kernelIlfLi16ELi32ELi8ELi1ELi0ELb0ELc78ELc76EKffEviT_PT9_S1_lS3_S1_lPT10_S1_li.uses_vcc, 1
	.set _ZL37rocblas_syrkx_herkx_restricted_kernelIlfLi16ELi32ELi8ELi1ELi0ELb0ELc78ELc76EKffEviT_PT9_S1_lS3_S1_lPT10_S1_li.uses_flat_scratch, 0
	.set _ZL37rocblas_syrkx_herkx_restricted_kernelIlfLi16ELi32ELi8ELi1ELi0ELb0ELc78ELc76EKffEviT_PT9_S1_lS3_S1_lPT10_S1_li.has_dyn_sized_stack, 0
	.set _ZL37rocblas_syrkx_herkx_restricted_kernelIlfLi16ELi32ELi8ELi1ELi0ELb0ELc78ELc76EKffEviT_PT9_S1_lS3_S1_lPT10_S1_li.has_recursion, 0
	.set _ZL37rocblas_syrkx_herkx_restricted_kernelIlfLi16ELi32ELi8ELi1ELi0ELb0ELc78ELc76EKffEviT_PT9_S1_lS3_S1_lPT10_S1_li.has_indirect_call, 0
	.section	.AMDGPU.csdata,"",@progbits
; Kernel info:
; codeLenInByte = 1112
; TotalNumSgprs: 33
; NumVgprs: 34
; ScratchSize: 0
; MemoryBound: 0
; FloatMode: 240
; IeeeMode: 1
; LDSByteSize: 2048 bytes/workgroup (compile time only)
; SGPRBlocks: 4
; VGPRBlocks: 8
; NumSGPRsForWavesPerEU: 33
; NumVGPRsForWavesPerEU: 34
; Occupancy: 7
; WaveLimiterHint : 1
; COMPUTE_PGM_RSRC2:SCRATCH_EN: 0
; COMPUTE_PGM_RSRC2:USER_SGPR: 6
; COMPUTE_PGM_RSRC2:TRAP_HANDLER: 0
; COMPUTE_PGM_RSRC2:TGID_X_EN: 1
; COMPUTE_PGM_RSRC2:TGID_Y_EN: 1
; COMPUTE_PGM_RSRC2:TGID_Z_EN: 1
; COMPUTE_PGM_RSRC2:TIDIG_COMP_CNT: 1
	.section	.text._ZL37rocblas_syrkx_herkx_restricted_kernelIlfLi16ELi32ELi8ELi1ELi0ELb0ELc84ELc85EKffEviT_PT9_S1_lS3_S1_lPT10_S1_li,"axG",@progbits,_ZL37rocblas_syrkx_herkx_restricted_kernelIlfLi16ELi32ELi8ELi1ELi0ELb0ELc84ELc85EKffEviT_PT9_S1_lS3_S1_lPT10_S1_li,comdat
	.globl	_ZL37rocblas_syrkx_herkx_restricted_kernelIlfLi16ELi32ELi8ELi1ELi0ELb0ELc84ELc85EKffEviT_PT9_S1_lS3_S1_lPT10_S1_li ; -- Begin function _ZL37rocblas_syrkx_herkx_restricted_kernelIlfLi16ELi32ELi8ELi1ELi0ELb0ELc84ELc85EKffEviT_PT9_S1_lS3_S1_lPT10_S1_li
	.p2align	8
	.type	_ZL37rocblas_syrkx_herkx_restricted_kernelIlfLi16ELi32ELi8ELi1ELi0ELb0ELc84ELc85EKffEviT_PT9_S1_lS3_S1_lPT10_S1_li,@function
_ZL37rocblas_syrkx_herkx_restricted_kernelIlfLi16ELi32ELi8ELi1ELi0ELb0ELc84ELc85EKffEviT_PT9_S1_lS3_S1_lPT10_S1_li: ; @_ZL37rocblas_syrkx_herkx_restricted_kernelIlfLi16ELi32ELi8ELi1ELi0ELb0ELc84ELc85EKffEviT_PT9_S1_lS3_S1_lPT10_S1_li
; %bb.0:
	s_load_dwordx16 s[12:27], s[4:5], 0x8
	s_lshl_b32 s6, s6, 5
	s_lshl_b32 s7, s7, 5
	s_waitcnt lgkmcnt(0)
	v_cmp_lt_i64_e64 s[0:1], s[12:13], 1
	s_and_b64 vcc, exec, s[0:1]
	s_cbranch_vccnz .LBB941_3
; %bb.1:
	v_lshl_add_u32 v4, v1, 4, v0
	v_lshrrev_b32_e32 v8, 3, v4
	v_add_u32_e32 v5, s7, v8
	v_ashrrev_i32_e32 v6, 31, v5
	v_and_b32_e32 v2, 7, v0
	v_mov_b32_e32 v3, 0
	v_mul_lo_u32 v9, s22, v6
	v_mul_lo_u32 v10, s23, v5
	v_mad_u64_u32 v[6:7], s[0:1], s22, v5, v[2:3]
	v_lshlrev_b32_e32 v2, 2, v2
	v_lshl_or_b32 v2, v8, 5, v2
	v_add3_u32 v7, v10, v7, v9
	v_and_b32_e32 v9, 31, v4
	v_add_u32_e32 v11, 0x400, v2
	v_mov_b32_e32 v2, 0x400
	v_lshl_add_u32 v13, v1, 5, v2
	v_add_u32_e32 v2, s6, v9
	v_lshrrev_b32_e32 v4, 5, v4
	v_mov_b32_e32 v5, v3
	v_lshlrev_b32_e32 v10, 2, v9
	v_ashrrev_i32_e32 v8, 31, v2
	v_lshl_or_b32 v10, v4, 7, v10
	v_mul_lo_u32 v8, s16, v8
	v_mad_u64_u32 v[4:5], s[0:1], s16, v2, v[4:5]
	v_mul_lo_u32 v2, s17, v2
	s_mul_i32 s2, s19, s8
	s_mul_hi_u32 s3, s18, s8
	s_add_i32 s1, s3, s2
	s_mul_i32 s0, s18, s8
	s_lshl_b64 s[0:1], s[0:1], 2
	v_add3_u32 v5, v2, v5, v8
	v_lshlrev_b64 v[4:5], 2, v[4:5]
	s_add_u32 s0, s14, s0
	s_addc_u32 s1, s15, s1
	v_mov_b32_e32 v2, s1
	v_add_co_u32_e32 v4, vcc, s0, v4
	s_mul_i32 s0, s25, s8
	s_mul_hi_u32 s1, s24, s8
	s_add_i32 s1, s1, s0
	s_mul_i32 s0, s24, s8
	s_lshl_b64 s[0:1], s[0:1], 2
	v_lshlrev_b64 v[6:7], 2, v[6:7]
	s_add_u32 s0, s20, s0
	v_addc_co_u32_e32 v5, vcc, v2, v5, vcc
	s_addc_u32 s1, s21, s1
	v_mov_b32_e32 v2, s1
	v_add_co_u32_e32 v6, vcc, s0, v6
	v_lshlrev_b32_e32 v12, 2, v0
	v_addc_co_u32_e32 v7, vcc, v2, v7, vcc
	s_mov_b64 s[2:3], 0
	v_mov_b32_e32 v2, v3
	v_mov_b32_e32 v8, v3
	;; [unrolled: 1-line block ×3, first 2 shown]
.LBB941_2:                              ; =>This Inner Loop Header: Depth=1
	global_load_dword v14, v[4:5], off
	global_load_dword v15, v[6:7], off
	s_add_u32 s2, s2, 8
	s_addc_u32 s3, s3, 0
	v_add_co_u32_e64 v4, s[0:1], 32, v4
	v_addc_co_u32_e64 v5, s[0:1], 0, v5, s[0:1]
	v_add_co_u32_e64 v6, s[0:1], 32, v6
	v_addc_co_u32_e64 v7, s[0:1], 0, v7, s[0:1]
	s_waitcnt vmcnt(1)
	ds_write_b32 v10, v14
	s_waitcnt vmcnt(0)
	ds_write_b32 v11, v15
	s_waitcnt lgkmcnt(0)
	s_barrier
	ds_read2_b32 v[26:27], v12 offset1:16
	ds_read_b128 v[14:17], v13
	ds_read2_b32 v[28:29], v12 offset0:32 offset1:48
	ds_read2_b32 v[30:31], v12 offset0:64 offset1:80
	ds_read_b128 v[18:21], v13 offset:16
	ds_read2_b32 v[32:33], v12 offset0:96 offset1:112
	s_waitcnt lgkmcnt(4)
	v_fmac_f32_e32 v9, v26, v14
	v_fmac_f32_e32 v8, v27, v14
	s_waitcnt lgkmcnt(3)
	v_fmac_f32_e32 v9, v28, v15
	v_fmac_f32_e32 v8, v29, v15
	v_mov_b32_e32 v15, s3
	s_waitcnt lgkmcnt(2)
	v_fmac_f32_e32 v9, v30, v16
	v_fmac_f32_e32 v8, v31, v16
	v_mov_b32_e32 v14, s2
	s_waitcnt lgkmcnt(0)
	v_fmac_f32_e32 v9, v32, v17
	v_fmac_f32_e32 v8, v33, v17
	v_cmp_le_u64_e32 vcc, s[12:13], v[14:15]
	ds_read_b128 v[14:17], v13 offset:512
	ds_read_b128 v[22:25], v13 offset:528
	s_and_b64 vcc, exec, vcc
	s_waitcnt lgkmcnt(1)
	v_fmac_f32_e32 v2, v26, v14
	v_fmac_f32_e32 v3, v27, v14
	;; [unrolled: 1-line block ×8, first 2 shown]
	ds_read2_b32 v[14:15], v12 offset0:128 offset1:144
	ds_read2_b32 v[16:17], v12 offset0:160 offset1:176
	;; [unrolled: 1-line block ×3, first 2 shown]
	s_waitcnt lgkmcnt(2)
	v_fmac_f32_e32 v9, v14, v18
	v_fmac_f32_e32 v8, v15, v18
	;; [unrolled: 1-line block ×4, first 2 shown]
	ds_read2_b32 v[14:15], v12 offset0:224 offset1:240
	s_waitcnt lgkmcnt(2)
	v_fmac_f32_e32 v9, v16, v19
	v_fmac_f32_e32 v8, v17, v19
	v_fmac_f32_e32 v2, v16, v23
	v_fmac_f32_e32 v3, v17, v23
	s_waitcnt lgkmcnt(1)
	v_fmac_f32_e32 v9, v26, v20
	v_fmac_f32_e32 v8, v27, v20
	v_fmac_f32_e32 v2, v26, v24
	v_fmac_f32_e32 v3, v27, v24
	;; [unrolled: 5-line block ×3, first 2 shown]
	s_barrier
	s_cbranch_vccz .LBB941_2
	s_branch .LBB941_4
.LBB941_3:
	v_mov_b32_e32 v9, 0
	v_mov_b32_e32 v8, 0
	;; [unrolled: 1-line block ×4, first 2 shown]
.LBB941_4:
	s_load_dwordx4 s[12:15], s[4:5], 0x48
	s_load_dword s9, s[4:5], 0x0
	v_add_u32_e32 v6, s7, v1
	v_ashrrev_i32_e32 v1, 31, v6
	v_add_u32_e32 v0, s6, v0
	s_waitcnt lgkmcnt(0)
	s_mul_i32 s1, s15, s8
	s_mul_hi_u32 s2, s14, s8
	s_add_i32 s1, s2, s1
	v_mul_lo_u32 v1, s12, v1
	v_mul_lo_u32 v7, s13, v6
	v_mad_u64_u32 v[4:5], s[2:3], s12, v6, 0
	s_mul_i32 s0, s14, s8
	s_lshl_b64 s[0:1], s[0:1], 2
	v_add3_u32 v5, v5, v1, v7
	s_add_u32 s4, s26, s0
	v_lshlrev_b64 v[4:5], 2, v[4:5]
	s_addc_u32 s5, s27, s1
	v_mov_b32_e32 v1, s5
	v_add_co_u32_e64 v7, s[0:1], s4, v4
	v_addc_co_u32_e64 v10, s[0:1], v1, v5, s[0:1]
	v_cmp_gt_i32_e32 vcc, s9, v6
	v_cmp_le_i32_e64 s[0:1], v0, v6
	s_and_b64 s[0:1], vcc, s[0:1]
	s_and_saveexec_b64 s[2:3], s[0:1]
	s_cbranch_execz .LBB941_6
; %bb.5:
	v_ashrrev_i32_e32 v1, 31, v0
	v_lshlrev_b64 v[4:5], 2, v[0:1]
	v_add_co_u32_e64 v4, s[0:1], v7, v4
	v_addc_co_u32_e64 v5, s[0:1], v10, v5, s[0:1]
	global_store_dword v[4:5], v9, off
.LBB941_6:
	s_or_b64 exec, exec, s[2:3]
	v_add_u32_e32 v4, 16, v0
	v_cmp_le_i32_e64 s[0:1], v4, v6
	s_and_b64 s[2:3], vcc, s[0:1]
	s_and_saveexec_b64 s[0:1], s[2:3]
	s_cbranch_execz .LBB941_8
; %bb.7:
	v_ashrrev_i32_e32 v5, 31, v4
	v_lshlrev_b64 v[11:12], 2, v[4:5]
	v_add_co_u32_e32 v9, vcc, v7, v11
	v_addc_co_u32_e32 v10, vcc, v10, v12, vcc
	global_store_dword v[9:10], v8, off
.LBB941_8:
	s_or_b64 exec, exec, s[0:1]
	v_add_u32_e32 v5, 16, v6
	v_ashrrev_i32_e32 v1, 31, v5
	v_mul_lo_u32 v1, s12, v1
	v_mul_lo_u32 v8, s13, v5
	v_mad_u64_u32 v[6:7], s[0:1], s12, v5, 0
	v_cmp_gt_i32_e32 vcc, s9, v5
	v_add3_u32 v7, v7, v1, v8
	v_lshlrev_b64 v[6:7], 2, v[6:7]
	v_mov_b32_e32 v1, s5
	v_add_co_u32_e64 v6, s[0:1], s4, v6
	v_addc_co_u32_e64 v7, s[0:1], v1, v7, s[0:1]
	v_cmp_le_i32_e64 s[0:1], v0, v5
	s_and_b64 s[0:1], vcc, s[0:1]
	s_and_saveexec_b64 s[2:3], s[0:1]
	s_cbranch_execz .LBB941_10
; %bb.9:
	v_ashrrev_i32_e32 v1, 31, v0
	v_lshlrev_b64 v[0:1], 2, v[0:1]
	v_add_co_u32_e64 v0, s[0:1], v6, v0
	v_addc_co_u32_e64 v1, s[0:1], v7, v1, s[0:1]
	global_store_dword v[0:1], v2, off
.LBB941_10:
	s_or_b64 exec, exec, s[2:3]
	v_cmp_le_i32_e64 s[0:1], v4, v5
	s_and_b64 s[0:1], vcc, s[0:1]
	s_and_saveexec_b64 s[2:3], s[0:1]
	s_cbranch_execz .LBB941_12
; %bb.11:
	v_ashrrev_i32_e32 v5, 31, v4
	v_lshlrev_b64 v[0:1], 2, v[4:5]
	v_add_co_u32_e32 v0, vcc, v6, v0
	v_addc_co_u32_e32 v1, vcc, v7, v1, vcc
	global_store_dword v[0:1], v3, off
.LBB941_12:
	s_endpgm
	.section	.rodata,"a",@progbits
	.p2align	6, 0x0
	.amdhsa_kernel _ZL37rocblas_syrkx_herkx_restricted_kernelIlfLi16ELi32ELi8ELi1ELi0ELb0ELc84ELc85EKffEviT_PT9_S1_lS3_S1_lPT10_S1_li
		.amdhsa_group_segment_fixed_size 2048
		.amdhsa_private_segment_fixed_size 0
		.amdhsa_kernarg_size 92
		.amdhsa_user_sgpr_count 6
		.amdhsa_user_sgpr_private_segment_buffer 1
		.amdhsa_user_sgpr_dispatch_ptr 0
		.amdhsa_user_sgpr_queue_ptr 0
		.amdhsa_user_sgpr_kernarg_segment_ptr 1
		.amdhsa_user_sgpr_dispatch_id 0
		.amdhsa_user_sgpr_flat_scratch_init 0
		.amdhsa_user_sgpr_private_segment_size 0
		.amdhsa_uses_dynamic_stack 0
		.amdhsa_system_sgpr_private_segment_wavefront_offset 0
		.amdhsa_system_sgpr_workgroup_id_x 1
		.amdhsa_system_sgpr_workgroup_id_y 1
		.amdhsa_system_sgpr_workgroup_id_z 1
		.amdhsa_system_sgpr_workgroup_info 0
		.amdhsa_system_vgpr_workitem_id 1
		.amdhsa_next_free_vgpr 34
		.amdhsa_next_free_sgpr 28
		.amdhsa_reserve_vcc 1
		.amdhsa_reserve_flat_scratch 0
		.amdhsa_float_round_mode_32 0
		.amdhsa_float_round_mode_16_64 0
		.amdhsa_float_denorm_mode_32 3
		.amdhsa_float_denorm_mode_16_64 3
		.amdhsa_dx10_clamp 1
		.amdhsa_ieee_mode 1
		.amdhsa_fp16_overflow 0
		.amdhsa_exception_fp_ieee_invalid_op 0
		.amdhsa_exception_fp_denorm_src 0
		.amdhsa_exception_fp_ieee_div_zero 0
		.amdhsa_exception_fp_ieee_overflow 0
		.amdhsa_exception_fp_ieee_underflow 0
		.amdhsa_exception_fp_ieee_inexact 0
		.amdhsa_exception_int_div_zero 0
	.end_amdhsa_kernel
	.section	.text._ZL37rocblas_syrkx_herkx_restricted_kernelIlfLi16ELi32ELi8ELi1ELi0ELb0ELc84ELc85EKffEviT_PT9_S1_lS3_S1_lPT10_S1_li,"axG",@progbits,_ZL37rocblas_syrkx_herkx_restricted_kernelIlfLi16ELi32ELi8ELi1ELi0ELb0ELc84ELc85EKffEviT_PT9_S1_lS3_S1_lPT10_S1_li,comdat
.Lfunc_end941:
	.size	_ZL37rocblas_syrkx_herkx_restricted_kernelIlfLi16ELi32ELi8ELi1ELi0ELb0ELc84ELc85EKffEviT_PT9_S1_lS3_S1_lPT10_S1_li, .Lfunc_end941-_ZL37rocblas_syrkx_herkx_restricted_kernelIlfLi16ELi32ELi8ELi1ELi0ELb0ELc84ELc85EKffEviT_PT9_S1_lS3_S1_lPT10_S1_li
                                        ; -- End function
	.set _ZL37rocblas_syrkx_herkx_restricted_kernelIlfLi16ELi32ELi8ELi1ELi0ELb0ELc84ELc85EKffEviT_PT9_S1_lS3_S1_lPT10_S1_li.num_vgpr, 34
	.set _ZL37rocblas_syrkx_herkx_restricted_kernelIlfLi16ELi32ELi8ELi1ELi0ELb0ELc84ELc85EKffEviT_PT9_S1_lS3_S1_lPT10_S1_li.num_agpr, 0
	.set _ZL37rocblas_syrkx_herkx_restricted_kernelIlfLi16ELi32ELi8ELi1ELi0ELb0ELc84ELc85EKffEviT_PT9_S1_lS3_S1_lPT10_S1_li.numbered_sgpr, 28
	.set _ZL37rocblas_syrkx_herkx_restricted_kernelIlfLi16ELi32ELi8ELi1ELi0ELb0ELc84ELc85EKffEviT_PT9_S1_lS3_S1_lPT10_S1_li.num_named_barrier, 0
	.set _ZL37rocblas_syrkx_herkx_restricted_kernelIlfLi16ELi32ELi8ELi1ELi0ELb0ELc84ELc85EKffEviT_PT9_S1_lS3_S1_lPT10_S1_li.private_seg_size, 0
	.set _ZL37rocblas_syrkx_herkx_restricted_kernelIlfLi16ELi32ELi8ELi1ELi0ELb0ELc84ELc85EKffEviT_PT9_S1_lS3_S1_lPT10_S1_li.uses_vcc, 1
	.set _ZL37rocblas_syrkx_herkx_restricted_kernelIlfLi16ELi32ELi8ELi1ELi0ELb0ELc84ELc85EKffEviT_PT9_S1_lS3_S1_lPT10_S1_li.uses_flat_scratch, 0
	.set _ZL37rocblas_syrkx_herkx_restricted_kernelIlfLi16ELi32ELi8ELi1ELi0ELb0ELc84ELc85EKffEviT_PT9_S1_lS3_S1_lPT10_S1_li.has_dyn_sized_stack, 0
	.set _ZL37rocblas_syrkx_herkx_restricted_kernelIlfLi16ELi32ELi8ELi1ELi0ELb0ELc84ELc85EKffEviT_PT9_S1_lS3_S1_lPT10_S1_li.has_recursion, 0
	.set _ZL37rocblas_syrkx_herkx_restricted_kernelIlfLi16ELi32ELi8ELi1ELi0ELb0ELc84ELc85EKffEviT_PT9_S1_lS3_S1_lPT10_S1_li.has_indirect_call, 0
	.section	.AMDGPU.csdata,"",@progbits
; Kernel info:
; codeLenInByte = 1128
; TotalNumSgprs: 32
; NumVgprs: 34
; ScratchSize: 0
; MemoryBound: 0
; FloatMode: 240
; IeeeMode: 1
; LDSByteSize: 2048 bytes/workgroup (compile time only)
; SGPRBlocks: 3
; VGPRBlocks: 8
; NumSGPRsForWavesPerEU: 32
; NumVGPRsForWavesPerEU: 34
; Occupancy: 7
; WaveLimiterHint : 1
; COMPUTE_PGM_RSRC2:SCRATCH_EN: 0
; COMPUTE_PGM_RSRC2:USER_SGPR: 6
; COMPUTE_PGM_RSRC2:TRAP_HANDLER: 0
; COMPUTE_PGM_RSRC2:TGID_X_EN: 1
; COMPUTE_PGM_RSRC2:TGID_Y_EN: 1
; COMPUTE_PGM_RSRC2:TGID_Z_EN: 1
; COMPUTE_PGM_RSRC2:TIDIG_COMP_CNT: 1
	.section	.text._ZL37rocblas_syrkx_herkx_restricted_kernelIlfLi16ELi32ELi8ELi1ELi0ELb0ELc67ELc85EKffEviT_PT9_S1_lS3_S1_lPT10_S1_li,"axG",@progbits,_ZL37rocblas_syrkx_herkx_restricted_kernelIlfLi16ELi32ELi8ELi1ELi0ELb0ELc67ELc85EKffEviT_PT9_S1_lS3_S1_lPT10_S1_li,comdat
	.globl	_ZL37rocblas_syrkx_herkx_restricted_kernelIlfLi16ELi32ELi8ELi1ELi0ELb0ELc67ELc85EKffEviT_PT9_S1_lS3_S1_lPT10_S1_li ; -- Begin function _ZL37rocblas_syrkx_herkx_restricted_kernelIlfLi16ELi32ELi8ELi1ELi0ELb0ELc67ELc85EKffEviT_PT9_S1_lS3_S1_lPT10_S1_li
	.p2align	8
	.type	_ZL37rocblas_syrkx_herkx_restricted_kernelIlfLi16ELi32ELi8ELi1ELi0ELb0ELc67ELc85EKffEviT_PT9_S1_lS3_S1_lPT10_S1_li,@function
_ZL37rocblas_syrkx_herkx_restricted_kernelIlfLi16ELi32ELi8ELi1ELi0ELb0ELc67ELc85EKffEviT_PT9_S1_lS3_S1_lPT10_S1_li: ; @_ZL37rocblas_syrkx_herkx_restricted_kernelIlfLi16ELi32ELi8ELi1ELi0ELb0ELc67ELc85EKffEviT_PT9_S1_lS3_S1_lPT10_S1_li
; %bb.0:
	s_load_dwordx16 s[12:27], s[4:5], 0x8
	s_lshl_b32 s6, s6, 5
	s_lshl_b32 s7, s7, 5
	s_waitcnt lgkmcnt(0)
	v_cmp_lt_i64_e64 s[0:1], s[12:13], 1
	s_and_b64 vcc, exec, s[0:1]
	s_cbranch_vccnz .LBB942_3
; %bb.1:
	v_lshl_add_u32 v4, v1, 4, v0
	v_lshrrev_b32_e32 v8, 3, v4
	v_add_u32_e32 v5, s7, v8
	v_ashrrev_i32_e32 v6, 31, v5
	v_and_b32_e32 v2, 7, v0
	v_mov_b32_e32 v3, 0
	v_mul_lo_u32 v9, s22, v6
	v_mul_lo_u32 v10, s23, v5
	v_mad_u64_u32 v[6:7], s[0:1], s22, v5, v[2:3]
	v_lshlrev_b32_e32 v2, 2, v2
	v_lshl_or_b32 v2, v8, 5, v2
	v_add3_u32 v7, v10, v7, v9
	v_and_b32_e32 v9, 31, v4
	v_add_u32_e32 v11, 0x400, v2
	v_mov_b32_e32 v2, 0x400
	v_lshl_add_u32 v13, v1, 5, v2
	v_add_u32_e32 v2, s6, v9
	v_lshrrev_b32_e32 v4, 5, v4
	v_mov_b32_e32 v5, v3
	v_lshlrev_b32_e32 v10, 2, v9
	v_ashrrev_i32_e32 v8, 31, v2
	v_lshl_or_b32 v10, v4, 7, v10
	v_mul_lo_u32 v8, s16, v8
	v_mad_u64_u32 v[4:5], s[0:1], s16, v2, v[4:5]
	v_mul_lo_u32 v2, s17, v2
	s_mul_i32 s2, s19, s8
	s_mul_hi_u32 s3, s18, s8
	s_add_i32 s1, s3, s2
	s_mul_i32 s0, s18, s8
	s_lshl_b64 s[0:1], s[0:1], 2
	v_add3_u32 v5, v2, v5, v8
	v_lshlrev_b64 v[4:5], 2, v[4:5]
	s_add_u32 s0, s14, s0
	s_addc_u32 s1, s15, s1
	v_mov_b32_e32 v2, s1
	v_add_co_u32_e32 v4, vcc, s0, v4
	s_mul_i32 s0, s25, s8
	s_mul_hi_u32 s1, s24, s8
	s_add_i32 s1, s1, s0
	s_mul_i32 s0, s24, s8
	s_lshl_b64 s[0:1], s[0:1], 2
	v_lshlrev_b64 v[6:7], 2, v[6:7]
	s_add_u32 s0, s20, s0
	v_addc_co_u32_e32 v5, vcc, v2, v5, vcc
	s_addc_u32 s1, s21, s1
	v_mov_b32_e32 v2, s1
	v_add_co_u32_e32 v6, vcc, s0, v6
	v_lshlrev_b32_e32 v12, 2, v0
	v_addc_co_u32_e32 v7, vcc, v2, v7, vcc
	s_mov_b64 s[2:3], 0
	v_mov_b32_e32 v2, v3
	v_mov_b32_e32 v8, v3
	;; [unrolled: 1-line block ×3, first 2 shown]
.LBB942_2:                              ; =>This Inner Loop Header: Depth=1
	global_load_dword v14, v[4:5], off
	global_load_dword v15, v[6:7], off
	s_add_u32 s2, s2, 8
	s_addc_u32 s3, s3, 0
	v_add_co_u32_e64 v4, s[0:1], 32, v4
	v_addc_co_u32_e64 v5, s[0:1], 0, v5, s[0:1]
	v_add_co_u32_e64 v6, s[0:1], 32, v6
	v_addc_co_u32_e64 v7, s[0:1], 0, v7, s[0:1]
	s_waitcnt vmcnt(1)
	ds_write_b32 v10, v14
	s_waitcnt vmcnt(0)
	ds_write_b32 v11, v15
	s_waitcnt lgkmcnt(0)
	s_barrier
	ds_read2_b32 v[26:27], v12 offset1:16
	ds_read_b128 v[14:17], v13
	ds_read2_b32 v[28:29], v12 offset0:32 offset1:48
	ds_read2_b32 v[30:31], v12 offset0:64 offset1:80
	ds_read_b128 v[18:21], v13 offset:16
	ds_read2_b32 v[32:33], v12 offset0:96 offset1:112
	s_waitcnt lgkmcnt(4)
	v_fmac_f32_e32 v9, v26, v14
	v_fmac_f32_e32 v8, v27, v14
	s_waitcnt lgkmcnt(3)
	v_fmac_f32_e32 v9, v28, v15
	v_fmac_f32_e32 v8, v29, v15
	v_mov_b32_e32 v15, s3
	s_waitcnt lgkmcnt(2)
	v_fmac_f32_e32 v9, v30, v16
	v_fmac_f32_e32 v8, v31, v16
	v_mov_b32_e32 v14, s2
	s_waitcnt lgkmcnt(0)
	v_fmac_f32_e32 v9, v32, v17
	v_fmac_f32_e32 v8, v33, v17
	v_cmp_le_u64_e32 vcc, s[12:13], v[14:15]
	ds_read_b128 v[14:17], v13 offset:512
	ds_read_b128 v[22:25], v13 offset:528
	s_and_b64 vcc, exec, vcc
	s_waitcnt lgkmcnt(1)
	v_fmac_f32_e32 v2, v26, v14
	v_fmac_f32_e32 v3, v27, v14
	;; [unrolled: 1-line block ×8, first 2 shown]
	ds_read2_b32 v[14:15], v12 offset0:128 offset1:144
	ds_read2_b32 v[16:17], v12 offset0:160 offset1:176
	;; [unrolled: 1-line block ×3, first 2 shown]
	s_waitcnt lgkmcnt(2)
	v_fmac_f32_e32 v9, v14, v18
	v_fmac_f32_e32 v8, v15, v18
	;; [unrolled: 1-line block ×4, first 2 shown]
	ds_read2_b32 v[14:15], v12 offset0:224 offset1:240
	s_waitcnt lgkmcnt(2)
	v_fmac_f32_e32 v9, v16, v19
	v_fmac_f32_e32 v8, v17, v19
	v_fmac_f32_e32 v2, v16, v23
	v_fmac_f32_e32 v3, v17, v23
	s_waitcnt lgkmcnt(1)
	v_fmac_f32_e32 v9, v26, v20
	v_fmac_f32_e32 v8, v27, v20
	v_fmac_f32_e32 v2, v26, v24
	v_fmac_f32_e32 v3, v27, v24
	;; [unrolled: 5-line block ×3, first 2 shown]
	s_barrier
	s_cbranch_vccz .LBB942_2
	s_branch .LBB942_4
.LBB942_3:
	v_mov_b32_e32 v9, 0
	v_mov_b32_e32 v8, 0
	v_mov_b32_e32 v2, 0
	v_mov_b32_e32 v3, 0
.LBB942_4:
	s_load_dwordx4 s[12:15], s[4:5], 0x48
	s_load_dword s9, s[4:5], 0x0
	v_add_u32_e32 v6, s7, v1
	v_ashrrev_i32_e32 v1, 31, v6
	v_add_u32_e32 v0, s6, v0
	s_waitcnt lgkmcnt(0)
	s_mul_i32 s1, s15, s8
	s_mul_hi_u32 s2, s14, s8
	s_add_i32 s1, s2, s1
	v_mul_lo_u32 v1, s12, v1
	v_mul_lo_u32 v7, s13, v6
	v_mad_u64_u32 v[4:5], s[2:3], s12, v6, 0
	s_mul_i32 s0, s14, s8
	s_lshl_b64 s[0:1], s[0:1], 2
	v_add3_u32 v5, v5, v1, v7
	s_add_u32 s4, s26, s0
	v_lshlrev_b64 v[4:5], 2, v[4:5]
	s_addc_u32 s5, s27, s1
	v_mov_b32_e32 v1, s5
	v_add_co_u32_e64 v7, s[0:1], s4, v4
	v_addc_co_u32_e64 v10, s[0:1], v1, v5, s[0:1]
	v_cmp_gt_i32_e32 vcc, s9, v6
	v_cmp_le_i32_e64 s[0:1], v0, v6
	s_and_b64 s[0:1], vcc, s[0:1]
	s_and_saveexec_b64 s[2:3], s[0:1]
	s_cbranch_execz .LBB942_6
; %bb.5:
	v_ashrrev_i32_e32 v1, 31, v0
	v_lshlrev_b64 v[4:5], 2, v[0:1]
	v_add_co_u32_e64 v4, s[0:1], v7, v4
	v_addc_co_u32_e64 v5, s[0:1], v10, v5, s[0:1]
	global_store_dword v[4:5], v9, off
.LBB942_6:
	s_or_b64 exec, exec, s[2:3]
	v_add_u32_e32 v4, 16, v0
	v_cmp_le_i32_e64 s[0:1], v4, v6
	s_and_b64 s[2:3], vcc, s[0:1]
	s_and_saveexec_b64 s[0:1], s[2:3]
	s_cbranch_execz .LBB942_8
; %bb.7:
	v_ashrrev_i32_e32 v5, 31, v4
	v_lshlrev_b64 v[11:12], 2, v[4:5]
	v_add_co_u32_e32 v9, vcc, v7, v11
	v_addc_co_u32_e32 v10, vcc, v10, v12, vcc
	global_store_dword v[9:10], v8, off
.LBB942_8:
	s_or_b64 exec, exec, s[0:1]
	v_add_u32_e32 v5, 16, v6
	v_ashrrev_i32_e32 v1, 31, v5
	v_mul_lo_u32 v1, s12, v1
	v_mul_lo_u32 v8, s13, v5
	v_mad_u64_u32 v[6:7], s[0:1], s12, v5, 0
	v_cmp_gt_i32_e32 vcc, s9, v5
	v_add3_u32 v7, v7, v1, v8
	v_lshlrev_b64 v[6:7], 2, v[6:7]
	v_mov_b32_e32 v1, s5
	v_add_co_u32_e64 v6, s[0:1], s4, v6
	v_addc_co_u32_e64 v7, s[0:1], v1, v7, s[0:1]
	v_cmp_le_i32_e64 s[0:1], v0, v5
	s_and_b64 s[0:1], vcc, s[0:1]
	s_and_saveexec_b64 s[2:3], s[0:1]
	s_cbranch_execz .LBB942_10
; %bb.9:
	v_ashrrev_i32_e32 v1, 31, v0
	v_lshlrev_b64 v[0:1], 2, v[0:1]
	v_add_co_u32_e64 v0, s[0:1], v6, v0
	v_addc_co_u32_e64 v1, s[0:1], v7, v1, s[0:1]
	global_store_dword v[0:1], v2, off
.LBB942_10:
	s_or_b64 exec, exec, s[2:3]
	v_cmp_le_i32_e64 s[0:1], v4, v5
	s_and_b64 s[0:1], vcc, s[0:1]
	s_and_saveexec_b64 s[2:3], s[0:1]
	s_cbranch_execz .LBB942_12
; %bb.11:
	v_ashrrev_i32_e32 v5, 31, v4
	v_lshlrev_b64 v[0:1], 2, v[4:5]
	v_add_co_u32_e32 v0, vcc, v6, v0
	v_addc_co_u32_e32 v1, vcc, v7, v1, vcc
	global_store_dword v[0:1], v3, off
.LBB942_12:
	s_endpgm
	.section	.rodata,"a",@progbits
	.p2align	6, 0x0
	.amdhsa_kernel _ZL37rocblas_syrkx_herkx_restricted_kernelIlfLi16ELi32ELi8ELi1ELi0ELb0ELc67ELc85EKffEviT_PT9_S1_lS3_S1_lPT10_S1_li
		.amdhsa_group_segment_fixed_size 2048
		.amdhsa_private_segment_fixed_size 0
		.amdhsa_kernarg_size 92
		.amdhsa_user_sgpr_count 6
		.amdhsa_user_sgpr_private_segment_buffer 1
		.amdhsa_user_sgpr_dispatch_ptr 0
		.amdhsa_user_sgpr_queue_ptr 0
		.amdhsa_user_sgpr_kernarg_segment_ptr 1
		.amdhsa_user_sgpr_dispatch_id 0
		.amdhsa_user_sgpr_flat_scratch_init 0
		.amdhsa_user_sgpr_private_segment_size 0
		.amdhsa_uses_dynamic_stack 0
		.amdhsa_system_sgpr_private_segment_wavefront_offset 0
		.amdhsa_system_sgpr_workgroup_id_x 1
		.amdhsa_system_sgpr_workgroup_id_y 1
		.amdhsa_system_sgpr_workgroup_id_z 1
		.amdhsa_system_sgpr_workgroup_info 0
		.amdhsa_system_vgpr_workitem_id 1
		.amdhsa_next_free_vgpr 34
		.amdhsa_next_free_sgpr 28
		.amdhsa_reserve_vcc 1
		.amdhsa_reserve_flat_scratch 0
		.amdhsa_float_round_mode_32 0
		.amdhsa_float_round_mode_16_64 0
		.amdhsa_float_denorm_mode_32 3
		.amdhsa_float_denorm_mode_16_64 3
		.amdhsa_dx10_clamp 1
		.amdhsa_ieee_mode 1
		.amdhsa_fp16_overflow 0
		.amdhsa_exception_fp_ieee_invalid_op 0
		.amdhsa_exception_fp_denorm_src 0
		.amdhsa_exception_fp_ieee_div_zero 0
		.amdhsa_exception_fp_ieee_overflow 0
		.amdhsa_exception_fp_ieee_underflow 0
		.amdhsa_exception_fp_ieee_inexact 0
		.amdhsa_exception_int_div_zero 0
	.end_amdhsa_kernel
	.section	.text._ZL37rocblas_syrkx_herkx_restricted_kernelIlfLi16ELi32ELi8ELi1ELi0ELb0ELc67ELc85EKffEviT_PT9_S1_lS3_S1_lPT10_S1_li,"axG",@progbits,_ZL37rocblas_syrkx_herkx_restricted_kernelIlfLi16ELi32ELi8ELi1ELi0ELb0ELc67ELc85EKffEviT_PT9_S1_lS3_S1_lPT10_S1_li,comdat
.Lfunc_end942:
	.size	_ZL37rocblas_syrkx_herkx_restricted_kernelIlfLi16ELi32ELi8ELi1ELi0ELb0ELc67ELc85EKffEviT_PT9_S1_lS3_S1_lPT10_S1_li, .Lfunc_end942-_ZL37rocblas_syrkx_herkx_restricted_kernelIlfLi16ELi32ELi8ELi1ELi0ELb0ELc67ELc85EKffEviT_PT9_S1_lS3_S1_lPT10_S1_li
                                        ; -- End function
	.set _ZL37rocblas_syrkx_herkx_restricted_kernelIlfLi16ELi32ELi8ELi1ELi0ELb0ELc67ELc85EKffEviT_PT9_S1_lS3_S1_lPT10_S1_li.num_vgpr, 34
	.set _ZL37rocblas_syrkx_herkx_restricted_kernelIlfLi16ELi32ELi8ELi1ELi0ELb0ELc67ELc85EKffEviT_PT9_S1_lS3_S1_lPT10_S1_li.num_agpr, 0
	.set _ZL37rocblas_syrkx_herkx_restricted_kernelIlfLi16ELi32ELi8ELi1ELi0ELb0ELc67ELc85EKffEviT_PT9_S1_lS3_S1_lPT10_S1_li.numbered_sgpr, 28
	.set _ZL37rocblas_syrkx_herkx_restricted_kernelIlfLi16ELi32ELi8ELi1ELi0ELb0ELc67ELc85EKffEviT_PT9_S1_lS3_S1_lPT10_S1_li.num_named_barrier, 0
	.set _ZL37rocblas_syrkx_herkx_restricted_kernelIlfLi16ELi32ELi8ELi1ELi0ELb0ELc67ELc85EKffEviT_PT9_S1_lS3_S1_lPT10_S1_li.private_seg_size, 0
	.set _ZL37rocblas_syrkx_herkx_restricted_kernelIlfLi16ELi32ELi8ELi1ELi0ELb0ELc67ELc85EKffEviT_PT9_S1_lS3_S1_lPT10_S1_li.uses_vcc, 1
	.set _ZL37rocblas_syrkx_herkx_restricted_kernelIlfLi16ELi32ELi8ELi1ELi0ELb0ELc67ELc85EKffEviT_PT9_S1_lS3_S1_lPT10_S1_li.uses_flat_scratch, 0
	.set _ZL37rocblas_syrkx_herkx_restricted_kernelIlfLi16ELi32ELi8ELi1ELi0ELb0ELc67ELc85EKffEviT_PT9_S1_lS3_S1_lPT10_S1_li.has_dyn_sized_stack, 0
	.set _ZL37rocblas_syrkx_herkx_restricted_kernelIlfLi16ELi32ELi8ELi1ELi0ELb0ELc67ELc85EKffEviT_PT9_S1_lS3_S1_lPT10_S1_li.has_recursion, 0
	.set _ZL37rocblas_syrkx_herkx_restricted_kernelIlfLi16ELi32ELi8ELi1ELi0ELb0ELc67ELc85EKffEviT_PT9_S1_lS3_S1_lPT10_S1_li.has_indirect_call, 0
	.section	.AMDGPU.csdata,"",@progbits
; Kernel info:
; codeLenInByte = 1128
; TotalNumSgprs: 32
; NumVgprs: 34
; ScratchSize: 0
; MemoryBound: 0
; FloatMode: 240
; IeeeMode: 1
; LDSByteSize: 2048 bytes/workgroup (compile time only)
; SGPRBlocks: 3
; VGPRBlocks: 8
; NumSGPRsForWavesPerEU: 32
; NumVGPRsForWavesPerEU: 34
; Occupancy: 7
; WaveLimiterHint : 1
; COMPUTE_PGM_RSRC2:SCRATCH_EN: 0
; COMPUTE_PGM_RSRC2:USER_SGPR: 6
; COMPUTE_PGM_RSRC2:TRAP_HANDLER: 0
; COMPUTE_PGM_RSRC2:TGID_X_EN: 1
; COMPUTE_PGM_RSRC2:TGID_Y_EN: 1
; COMPUTE_PGM_RSRC2:TGID_Z_EN: 1
; COMPUTE_PGM_RSRC2:TIDIG_COMP_CNT: 1
	.section	.text._ZL37rocblas_syrkx_herkx_restricted_kernelIlfLi16ELi32ELi8ELi1ELi0ELb0ELc78ELc85EKffEviT_PT9_S1_lS3_S1_lPT10_S1_li,"axG",@progbits,_ZL37rocblas_syrkx_herkx_restricted_kernelIlfLi16ELi32ELi8ELi1ELi0ELb0ELc78ELc85EKffEviT_PT9_S1_lS3_S1_lPT10_S1_li,comdat
	.globl	_ZL37rocblas_syrkx_herkx_restricted_kernelIlfLi16ELi32ELi8ELi1ELi0ELb0ELc78ELc85EKffEviT_PT9_S1_lS3_S1_lPT10_S1_li ; -- Begin function _ZL37rocblas_syrkx_herkx_restricted_kernelIlfLi16ELi32ELi8ELi1ELi0ELb0ELc78ELc85EKffEviT_PT9_S1_lS3_S1_lPT10_S1_li
	.p2align	8
	.type	_ZL37rocblas_syrkx_herkx_restricted_kernelIlfLi16ELi32ELi8ELi1ELi0ELb0ELc78ELc85EKffEviT_PT9_S1_lS3_S1_lPT10_S1_li,@function
_ZL37rocblas_syrkx_herkx_restricted_kernelIlfLi16ELi32ELi8ELi1ELi0ELb0ELc78ELc85EKffEviT_PT9_S1_lS3_S1_lPT10_S1_li: ; @_ZL37rocblas_syrkx_herkx_restricted_kernelIlfLi16ELi32ELi8ELi1ELi0ELb0ELc78ELc85EKffEviT_PT9_S1_lS3_S1_lPT10_S1_li
; %bb.0:
	s_load_dwordx16 s[12:27], s[4:5], 0x8
	s_lshl_b32 s9, s6, 5
	s_lshl_b32 s28, s7, 5
	s_waitcnt lgkmcnt(0)
	v_cmp_lt_i64_e64 s[0:1], s[12:13], 1
	s_and_b64 vcc, exec, s[0:1]
	s_cbranch_vccnz .LBB943_3
; %bb.1:
	v_lshl_add_u32 v7, v1, 4, v0
	v_lshrrev_b32_e32 v8, 3, v7
	v_add_u32_e32 v2, s28, v8
	v_and_b32_e32 v6, 7, v0
	v_ashrrev_i32_e32 v3, 31, v2
	v_mad_u64_u32 v[4:5], s[0:1], s22, v6, v[2:3]
	v_lshrrev_b32_e32 v9, 5, v7
	s_mul_i32 s2, s19, s8
	v_mov_b32_e32 v2, v5
	v_mad_u64_u32 v[2:3], s[0:1], s23, v6, v[2:3]
	v_and_b32_e32 v3, 31, v7
	v_lshlrev_b32_e32 v7, 2, v3
	v_mov_b32_e32 v5, v2
	v_lshlrev_b32_e32 v2, 2, v6
	v_lshl_or_b32 v2, v8, 5, v2
	v_add_u32_e32 v11, 0x400, v2
	v_add_u32_e32 v2, s9, v3
	v_ashrrev_i32_e32 v3, 31, v2
	v_mad_u64_u32 v[2:3], s[0:1], s16, v9, v[2:3]
	v_mov_b32_e32 v6, 0x400
	v_lshl_or_b32 v10, v9, 7, v7
	v_lshl_add_u32 v13, v1, 5, v6
	v_mad_u64_u32 v[6:7], s[0:1], s17, v9, v[3:4]
	s_mul_hi_u32 s3, s18, s8
	s_add_i32 s1, s3, s2
	s_mul_i32 s0, s18, s8
	s_lshl_b64 s[0:1], s[0:1], 2
	v_mov_b32_e32 v3, v6
	v_lshlrev_b64 v[2:3], 2, v[2:3]
	s_add_u32 s0, s14, s0
	s_addc_u32 s1, s15, s1
	v_mov_b32_e32 v6, s1
	v_add_co_u32_e32 v2, vcc, s0, v2
	s_mul_i32 s0, s25, s8
	s_mul_hi_u32 s1, s24, s8
	s_add_i32 s1, s1, s0
	s_mul_i32 s0, s24, s8
	s_lshl_b64 s[2:3], s[16:17], 5
	s_lshl_b64 s[0:1], s[0:1], 2
	v_lshlrev_b64 v[4:5], 2, v[4:5]
	s_add_u32 s0, s20, s0
	v_addc_co_u32_e32 v3, vcc, v6, v3, vcc
	s_addc_u32 s1, s21, s1
	v_mov_b32_e32 v6, s1
	v_add_co_u32_e32 v4, vcc, s0, v4
	v_lshlrev_b32_e32 v12, 2, v0
	v_addc_co_u32_e32 v5, vcc, v6, v5, vcc
	s_lshl_b64 s[6:7], s[22:23], 5
	v_mov_b32_e32 v6, 0
	s_mov_b64 s[10:11], 0
	v_mov_b32_e32 v7, 0
	v_mov_b32_e32 v8, 0
	;; [unrolled: 1-line block ×3, first 2 shown]
.LBB943_2:                              ; =>This Inner Loop Header: Depth=1
	global_load_dword v16, v[2:3], off
	global_load_dword v17, v[4:5], off
	s_add_u32 s10, s10, 8
	s_addc_u32 s11, s11, 0
	v_mov_b32_e32 v15, s11
	v_mov_b32_e32 v14, s10
	v_cmp_le_u64_e32 vcc, s[12:13], v[14:15]
	v_add_co_u32_e64 v2, s[0:1], s2, v2
	s_and_b64 vcc, exec, vcc
	s_waitcnt vmcnt(1)
	ds_write_b32 v10, v16
	s_waitcnt vmcnt(0)
	ds_write_b32 v11, v17
	s_waitcnt lgkmcnt(0)
	s_barrier
	ds_read2_b32 v[26:27], v12 offset1:16
	ds_read_b128 v[14:17], v13
	ds_read2_b32 v[28:29], v12 offset0:32 offset1:48
	ds_read2_b32 v[30:31], v12 offset0:64 offset1:80
	;; [unrolled: 1-line block ×3, first 2 shown]
	ds_read_b128 v[18:21], v13 offset:16
	s_waitcnt lgkmcnt(4)
	v_fmac_f32_e32 v9, v26, v14
	v_fmac_f32_e32 v8, v27, v14
	s_waitcnt lgkmcnt(3)
	v_fmac_f32_e32 v9, v28, v15
	v_fmac_f32_e32 v8, v29, v15
	;; [unrolled: 3-line block ×4, first 2 shown]
	ds_read_b128 v[14:17], v13 offset:512
	ds_read_b128 v[22:25], v13 offset:528
	s_waitcnt lgkmcnt(1)
	v_fmac_f32_e32 v7, v26, v14
	v_fmac_f32_e32 v6, v27, v14
	v_mov_b32_e32 v14, s3
	v_addc_co_u32_e64 v3, s[0:1], v3, v14, s[0:1]
	v_mov_b32_e32 v14, s7
	v_add_co_u32_e64 v4, s[0:1], s6, v4
	v_fmac_f32_e32 v7, v28, v15
	v_fmac_f32_e32 v6, v29, v15
	v_addc_co_u32_e64 v5, s[0:1], v5, v14, s[0:1]
	ds_read2_b32 v[14:15], v12 offset0:128 offset1:144
	v_fmac_f32_e32 v7, v30, v16
	v_fmac_f32_e32 v6, v31, v16
	;; [unrolled: 1-line block ×4, first 2 shown]
	ds_read2_b32 v[16:17], v12 offset0:160 offset1:176
	ds_read2_b32 v[26:27], v12 offset0:192 offset1:208
	ds_read2_b32 v[28:29], v12 offset0:224 offset1:240
	s_waitcnt lgkmcnt(3)
	v_fmac_f32_e32 v9, v14, v18
	v_fmac_f32_e32 v8, v15, v18
	v_fmac_f32_e32 v7, v14, v22
	v_fmac_f32_e32 v6, v15, v22
	s_waitcnt lgkmcnt(2)
	v_fmac_f32_e32 v9, v16, v19
	v_fmac_f32_e32 v8, v17, v19
	v_fmac_f32_e32 v7, v16, v23
	v_fmac_f32_e32 v6, v17, v23
	;; [unrolled: 5-line block ×4, first 2 shown]
	s_barrier
	s_cbranch_vccz .LBB943_2
	s_branch .LBB943_4
.LBB943_3:
	v_mov_b32_e32 v9, 0
	v_mov_b32_e32 v8, 0
	;; [unrolled: 1-line block ×4, first 2 shown]
.LBB943_4:
	s_load_dwordx4 s[12:15], s[4:5], 0x48
	s_load_dword s6, s[4:5], 0x0
	v_add_u32_e32 v4, s28, v1
	v_ashrrev_i32_e32 v1, 31, v4
	v_add_u32_e32 v0, s9, v0
	s_waitcnt lgkmcnt(0)
	s_mul_i32 s1, s15, s8
	s_mul_hi_u32 s2, s14, s8
	s_add_i32 s1, s2, s1
	v_mul_lo_u32 v3, s12, v1
	v_mul_lo_u32 v5, s13, v4
	v_mad_u64_u32 v[1:2], s[2:3], s12, v4, 0
	s_mul_i32 s0, s14, s8
	s_lshl_b64 s[0:1], s[0:1], 2
	v_add3_u32 v2, v2, v3, v5
	s_add_u32 s4, s26, s0
	v_lshlrev_b64 v[1:2], 2, v[1:2]
	s_addc_u32 s5, s27, s1
	v_mov_b32_e32 v3, s5
	v_add_co_u32_e64 v5, s[0:1], s4, v1
	v_addc_co_u32_e64 v10, s[0:1], v3, v2, s[0:1]
	v_cmp_gt_i32_e32 vcc, s6, v4
	v_cmp_le_i32_e64 s[0:1], v0, v4
	s_and_b64 s[0:1], vcc, s[0:1]
	s_and_saveexec_b64 s[2:3], s[0:1]
	s_cbranch_execz .LBB943_6
; %bb.5:
	v_ashrrev_i32_e32 v1, 31, v0
	v_lshlrev_b64 v[1:2], 2, v[0:1]
	v_add_co_u32_e64 v1, s[0:1], v5, v1
	v_addc_co_u32_e64 v2, s[0:1], v10, v2, s[0:1]
	global_store_dword v[1:2], v9, off
.LBB943_6:
	s_or_b64 exec, exec, s[2:3]
	v_add_u32_e32 v2, 16, v0
	v_cmp_le_i32_e64 s[0:1], v2, v4
	s_and_b64 s[2:3], vcc, s[0:1]
	s_and_saveexec_b64 s[0:1], s[2:3]
	s_cbranch_execz .LBB943_8
; %bb.7:
	v_ashrrev_i32_e32 v3, 31, v2
	v_lshlrev_b64 v[11:12], 2, v[2:3]
	v_add_co_u32_e32 v9, vcc, v5, v11
	v_addc_co_u32_e32 v10, vcc, v10, v12, vcc
	global_store_dword v[9:10], v8, off
.LBB943_8:
	s_or_b64 exec, exec, s[0:1]
	v_add_u32_e32 v3, 16, v4
	v_ashrrev_i32_e32 v1, 31, v3
	v_mul_lo_u32 v1, s12, v1
	v_mul_lo_u32 v8, s13, v3
	v_mad_u64_u32 v[4:5], s[0:1], s12, v3, 0
	v_cmp_gt_i32_e32 vcc, s6, v3
	v_add3_u32 v5, v5, v1, v8
	v_lshlrev_b64 v[4:5], 2, v[4:5]
	v_mov_b32_e32 v1, s5
	v_add_co_u32_e64 v4, s[0:1], s4, v4
	v_addc_co_u32_e64 v5, s[0:1], v1, v5, s[0:1]
	v_cmp_le_i32_e64 s[0:1], v0, v3
	s_and_b64 s[0:1], vcc, s[0:1]
	s_and_saveexec_b64 s[2:3], s[0:1]
	s_cbranch_execz .LBB943_10
; %bb.9:
	v_ashrrev_i32_e32 v1, 31, v0
	v_lshlrev_b64 v[0:1], 2, v[0:1]
	v_add_co_u32_e64 v0, s[0:1], v4, v0
	v_addc_co_u32_e64 v1, s[0:1], v5, v1, s[0:1]
	global_store_dword v[0:1], v7, off
.LBB943_10:
	s_or_b64 exec, exec, s[2:3]
	v_cmp_le_i32_e64 s[0:1], v2, v3
	s_and_b64 s[0:1], vcc, s[0:1]
	s_and_saveexec_b64 s[2:3], s[0:1]
	s_cbranch_execz .LBB943_12
; %bb.11:
	v_ashrrev_i32_e32 v3, 31, v2
	v_lshlrev_b64 v[0:1], 2, v[2:3]
	v_add_co_u32_e32 v0, vcc, v4, v0
	v_addc_co_u32_e32 v1, vcc, v5, v1, vcc
	global_store_dword v[0:1], v6, off
.LBB943_12:
	s_endpgm
	.section	.rodata,"a",@progbits
	.p2align	6, 0x0
	.amdhsa_kernel _ZL37rocblas_syrkx_herkx_restricted_kernelIlfLi16ELi32ELi8ELi1ELi0ELb0ELc78ELc85EKffEviT_PT9_S1_lS3_S1_lPT10_S1_li
		.amdhsa_group_segment_fixed_size 2048
		.amdhsa_private_segment_fixed_size 0
		.amdhsa_kernarg_size 92
		.amdhsa_user_sgpr_count 6
		.amdhsa_user_sgpr_private_segment_buffer 1
		.amdhsa_user_sgpr_dispatch_ptr 0
		.amdhsa_user_sgpr_queue_ptr 0
		.amdhsa_user_sgpr_kernarg_segment_ptr 1
		.amdhsa_user_sgpr_dispatch_id 0
		.amdhsa_user_sgpr_flat_scratch_init 0
		.amdhsa_user_sgpr_private_segment_size 0
		.amdhsa_uses_dynamic_stack 0
		.amdhsa_system_sgpr_private_segment_wavefront_offset 0
		.amdhsa_system_sgpr_workgroup_id_x 1
		.amdhsa_system_sgpr_workgroup_id_y 1
		.amdhsa_system_sgpr_workgroup_id_z 1
		.amdhsa_system_sgpr_workgroup_info 0
		.amdhsa_system_vgpr_workitem_id 1
		.amdhsa_next_free_vgpr 34
		.amdhsa_next_free_sgpr 29
		.amdhsa_reserve_vcc 1
		.amdhsa_reserve_flat_scratch 0
		.amdhsa_float_round_mode_32 0
		.amdhsa_float_round_mode_16_64 0
		.amdhsa_float_denorm_mode_32 3
		.amdhsa_float_denorm_mode_16_64 3
		.amdhsa_dx10_clamp 1
		.amdhsa_ieee_mode 1
		.amdhsa_fp16_overflow 0
		.amdhsa_exception_fp_ieee_invalid_op 0
		.amdhsa_exception_fp_denorm_src 0
		.amdhsa_exception_fp_ieee_div_zero 0
		.amdhsa_exception_fp_ieee_overflow 0
		.amdhsa_exception_fp_ieee_underflow 0
		.amdhsa_exception_fp_ieee_inexact 0
		.amdhsa_exception_int_div_zero 0
	.end_amdhsa_kernel
	.section	.text._ZL37rocblas_syrkx_herkx_restricted_kernelIlfLi16ELi32ELi8ELi1ELi0ELb0ELc78ELc85EKffEviT_PT9_S1_lS3_S1_lPT10_S1_li,"axG",@progbits,_ZL37rocblas_syrkx_herkx_restricted_kernelIlfLi16ELi32ELi8ELi1ELi0ELb0ELc78ELc85EKffEviT_PT9_S1_lS3_S1_lPT10_S1_li,comdat
.Lfunc_end943:
	.size	_ZL37rocblas_syrkx_herkx_restricted_kernelIlfLi16ELi32ELi8ELi1ELi0ELb0ELc78ELc85EKffEviT_PT9_S1_lS3_S1_lPT10_S1_li, .Lfunc_end943-_ZL37rocblas_syrkx_herkx_restricted_kernelIlfLi16ELi32ELi8ELi1ELi0ELb0ELc78ELc85EKffEviT_PT9_S1_lS3_S1_lPT10_S1_li
                                        ; -- End function
	.set _ZL37rocblas_syrkx_herkx_restricted_kernelIlfLi16ELi32ELi8ELi1ELi0ELb0ELc78ELc85EKffEviT_PT9_S1_lS3_S1_lPT10_S1_li.num_vgpr, 34
	.set _ZL37rocblas_syrkx_herkx_restricted_kernelIlfLi16ELi32ELi8ELi1ELi0ELb0ELc78ELc85EKffEviT_PT9_S1_lS3_S1_lPT10_S1_li.num_agpr, 0
	.set _ZL37rocblas_syrkx_herkx_restricted_kernelIlfLi16ELi32ELi8ELi1ELi0ELb0ELc78ELc85EKffEviT_PT9_S1_lS3_S1_lPT10_S1_li.numbered_sgpr, 29
	.set _ZL37rocblas_syrkx_herkx_restricted_kernelIlfLi16ELi32ELi8ELi1ELi0ELb0ELc78ELc85EKffEviT_PT9_S1_lS3_S1_lPT10_S1_li.num_named_barrier, 0
	.set _ZL37rocblas_syrkx_herkx_restricted_kernelIlfLi16ELi32ELi8ELi1ELi0ELb0ELc78ELc85EKffEviT_PT9_S1_lS3_S1_lPT10_S1_li.private_seg_size, 0
	.set _ZL37rocblas_syrkx_herkx_restricted_kernelIlfLi16ELi32ELi8ELi1ELi0ELb0ELc78ELc85EKffEviT_PT9_S1_lS3_S1_lPT10_S1_li.uses_vcc, 1
	.set _ZL37rocblas_syrkx_herkx_restricted_kernelIlfLi16ELi32ELi8ELi1ELi0ELb0ELc78ELc85EKffEviT_PT9_S1_lS3_S1_lPT10_S1_li.uses_flat_scratch, 0
	.set _ZL37rocblas_syrkx_herkx_restricted_kernelIlfLi16ELi32ELi8ELi1ELi0ELb0ELc78ELc85EKffEviT_PT9_S1_lS3_S1_lPT10_S1_li.has_dyn_sized_stack, 0
	.set _ZL37rocblas_syrkx_herkx_restricted_kernelIlfLi16ELi32ELi8ELi1ELi0ELb0ELc78ELc85EKffEviT_PT9_S1_lS3_S1_lPT10_S1_li.has_recursion, 0
	.set _ZL37rocblas_syrkx_herkx_restricted_kernelIlfLi16ELi32ELi8ELi1ELi0ELb0ELc78ELc85EKffEviT_PT9_S1_lS3_S1_lPT10_S1_li.has_indirect_call, 0
	.section	.AMDGPU.csdata,"",@progbits
; Kernel info:
; codeLenInByte = 1120
; TotalNumSgprs: 33
; NumVgprs: 34
; ScratchSize: 0
; MemoryBound: 0
; FloatMode: 240
; IeeeMode: 1
; LDSByteSize: 2048 bytes/workgroup (compile time only)
; SGPRBlocks: 4
; VGPRBlocks: 8
; NumSGPRsForWavesPerEU: 33
; NumVGPRsForWavesPerEU: 34
; Occupancy: 7
; WaveLimiterHint : 1
; COMPUTE_PGM_RSRC2:SCRATCH_EN: 0
; COMPUTE_PGM_RSRC2:USER_SGPR: 6
; COMPUTE_PGM_RSRC2:TRAP_HANDLER: 0
; COMPUTE_PGM_RSRC2:TGID_X_EN: 1
; COMPUTE_PGM_RSRC2:TGID_Y_EN: 1
; COMPUTE_PGM_RSRC2:TGID_Z_EN: 1
; COMPUTE_PGM_RSRC2:TIDIG_COMP_CNT: 1
	.section	.text._ZL37rocblas_syrkx_herkx_restricted_kernelIlfLi16ELi32ELi8ELin1ELi0ELb0ELc84ELc76EKffEviT_PT9_S1_lS3_S1_lPT10_S1_li,"axG",@progbits,_ZL37rocblas_syrkx_herkx_restricted_kernelIlfLi16ELi32ELi8ELin1ELi0ELb0ELc84ELc76EKffEviT_PT9_S1_lS3_S1_lPT10_S1_li,comdat
	.globl	_ZL37rocblas_syrkx_herkx_restricted_kernelIlfLi16ELi32ELi8ELin1ELi0ELb0ELc84ELc76EKffEviT_PT9_S1_lS3_S1_lPT10_S1_li ; -- Begin function _ZL37rocblas_syrkx_herkx_restricted_kernelIlfLi16ELi32ELi8ELin1ELi0ELb0ELc84ELc76EKffEviT_PT9_S1_lS3_S1_lPT10_S1_li
	.p2align	8
	.type	_ZL37rocblas_syrkx_herkx_restricted_kernelIlfLi16ELi32ELi8ELin1ELi0ELb0ELc84ELc76EKffEviT_PT9_S1_lS3_S1_lPT10_S1_li,@function
_ZL37rocblas_syrkx_herkx_restricted_kernelIlfLi16ELi32ELi8ELin1ELi0ELb0ELc84ELc76EKffEviT_PT9_S1_lS3_S1_lPT10_S1_li: ; @_ZL37rocblas_syrkx_herkx_restricted_kernelIlfLi16ELi32ELi8ELin1ELi0ELb0ELc84ELc76EKffEviT_PT9_S1_lS3_S1_lPT10_S1_li
; %bb.0:
	s_load_dwordx16 s[12:27], s[4:5], 0x8
	s_lshl_b32 s6, s6, 5
	s_lshl_b32 s7, s7, 5
	s_waitcnt lgkmcnt(0)
	v_cmp_lt_i64_e64 s[0:1], s[12:13], 1
	s_and_b64 vcc, exec, s[0:1]
	s_cbranch_vccnz .LBB944_3
; %bb.1:
	v_lshl_add_u32 v4, v1, 4, v0
	v_lshrrev_b32_e32 v8, 3, v4
	v_add_u32_e32 v5, s7, v8
	v_ashrrev_i32_e32 v6, 31, v5
	v_and_b32_e32 v2, 7, v0
	v_mov_b32_e32 v3, 0
	v_mul_lo_u32 v9, s22, v6
	v_mul_lo_u32 v10, s23, v5
	v_mad_u64_u32 v[6:7], s[0:1], s22, v5, v[2:3]
	v_lshlrev_b32_e32 v2, 2, v2
	v_lshl_or_b32 v2, v8, 5, v2
	v_add3_u32 v7, v10, v7, v9
	v_and_b32_e32 v9, 31, v4
	v_add_u32_e32 v11, 0x400, v2
	v_mov_b32_e32 v2, 0x400
	v_lshl_add_u32 v13, v1, 5, v2
	v_add_u32_e32 v2, s6, v9
	v_lshrrev_b32_e32 v4, 5, v4
	v_mov_b32_e32 v5, v3
	v_lshlrev_b32_e32 v10, 2, v9
	v_ashrrev_i32_e32 v8, 31, v2
	v_lshl_or_b32 v10, v4, 7, v10
	v_mul_lo_u32 v8, s16, v8
	v_mad_u64_u32 v[4:5], s[0:1], s16, v2, v[4:5]
	v_mul_lo_u32 v2, s17, v2
	s_mul_i32 s2, s19, s8
	s_mul_hi_u32 s3, s18, s8
	s_add_i32 s1, s3, s2
	s_mul_i32 s0, s18, s8
	s_lshl_b64 s[0:1], s[0:1], 2
	v_add3_u32 v5, v2, v5, v8
	v_lshlrev_b64 v[4:5], 2, v[4:5]
	s_add_u32 s0, s14, s0
	s_addc_u32 s1, s15, s1
	v_mov_b32_e32 v2, s1
	v_add_co_u32_e32 v4, vcc, s0, v4
	s_mul_i32 s0, s25, s8
	s_mul_hi_u32 s1, s24, s8
	s_add_i32 s1, s1, s0
	s_mul_i32 s0, s24, s8
	s_lshl_b64 s[0:1], s[0:1], 2
	v_lshlrev_b64 v[6:7], 2, v[6:7]
	s_add_u32 s0, s20, s0
	v_addc_co_u32_e32 v5, vcc, v2, v5, vcc
	s_addc_u32 s1, s21, s1
	v_mov_b32_e32 v2, s1
	v_add_co_u32_e32 v6, vcc, s0, v6
	v_lshlrev_b32_e32 v12, 2, v0
	v_addc_co_u32_e32 v7, vcc, v2, v7, vcc
	s_mov_b64 s[2:3], 0
	v_mov_b32_e32 v2, v3
	v_mov_b32_e32 v8, v3
	;; [unrolled: 1-line block ×3, first 2 shown]
.LBB944_2:                              ; =>This Inner Loop Header: Depth=1
	global_load_dword v14, v[4:5], off
	global_load_dword v15, v[6:7], off
	s_add_u32 s2, s2, 8
	s_addc_u32 s3, s3, 0
	v_add_co_u32_e64 v4, s[0:1], 32, v4
	v_addc_co_u32_e64 v5, s[0:1], 0, v5, s[0:1]
	v_add_co_u32_e64 v6, s[0:1], 32, v6
	v_addc_co_u32_e64 v7, s[0:1], 0, v7, s[0:1]
	s_waitcnt vmcnt(1)
	ds_write_b32 v10, v14
	s_waitcnt vmcnt(0)
	ds_write_b32 v11, v15
	s_waitcnt lgkmcnt(0)
	s_barrier
	ds_read2_b32 v[26:27], v12 offset1:16
	ds_read_b128 v[14:17], v13
	ds_read2_b32 v[28:29], v12 offset0:32 offset1:48
	ds_read2_b32 v[30:31], v12 offset0:64 offset1:80
	ds_read_b128 v[18:21], v13 offset:16
	ds_read2_b32 v[32:33], v12 offset0:96 offset1:112
	s_waitcnt lgkmcnt(4)
	v_fmac_f32_e32 v9, v26, v14
	v_fmac_f32_e32 v8, v27, v14
	s_waitcnt lgkmcnt(3)
	v_fmac_f32_e32 v9, v28, v15
	v_fmac_f32_e32 v8, v29, v15
	v_mov_b32_e32 v15, s3
	s_waitcnt lgkmcnt(2)
	v_fmac_f32_e32 v9, v30, v16
	v_fmac_f32_e32 v8, v31, v16
	v_mov_b32_e32 v14, s2
	s_waitcnt lgkmcnt(0)
	v_fmac_f32_e32 v9, v32, v17
	v_fmac_f32_e32 v8, v33, v17
	v_cmp_le_u64_e32 vcc, s[12:13], v[14:15]
	ds_read_b128 v[14:17], v13 offset:512
	ds_read_b128 v[22:25], v13 offset:528
	s_and_b64 vcc, exec, vcc
	s_waitcnt lgkmcnt(1)
	v_fmac_f32_e32 v2, v26, v14
	v_fmac_f32_e32 v3, v27, v14
	v_fmac_f32_e32 v2, v28, v15
	v_fmac_f32_e32 v3, v29, v15
	v_fmac_f32_e32 v2, v30, v16
	v_fmac_f32_e32 v3, v31, v16
	v_fmac_f32_e32 v2, v32, v17
	v_fmac_f32_e32 v3, v33, v17
	ds_read2_b32 v[14:15], v12 offset0:128 offset1:144
	ds_read2_b32 v[16:17], v12 offset0:160 offset1:176
	ds_read2_b32 v[26:27], v12 offset0:192 offset1:208
	s_waitcnt lgkmcnt(2)
	v_fmac_f32_e32 v9, v14, v18
	v_fmac_f32_e32 v8, v15, v18
	;; [unrolled: 1-line block ×4, first 2 shown]
	ds_read2_b32 v[14:15], v12 offset0:224 offset1:240
	s_waitcnt lgkmcnt(2)
	v_fmac_f32_e32 v9, v16, v19
	v_fmac_f32_e32 v8, v17, v19
	v_fmac_f32_e32 v2, v16, v23
	v_fmac_f32_e32 v3, v17, v23
	s_waitcnt lgkmcnt(1)
	v_fmac_f32_e32 v9, v26, v20
	v_fmac_f32_e32 v8, v27, v20
	v_fmac_f32_e32 v2, v26, v24
	v_fmac_f32_e32 v3, v27, v24
	;; [unrolled: 5-line block ×3, first 2 shown]
	s_barrier
	s_cbranch_vccz .LBB944_2
	s_branch .LBB944_4
.LBB944_3:
	v_mov_b32_e32 v9, 0
	v_mov_b32_e32 v8, 0
	;; [unrolled: 1-line block ×4, first 2 shown]
.LBB944_4:
	s_load_dwordx4 s[12:15], s[4:5], 0x48
	s_load_dword s9, s[4:5], 0x0
	v_add_u32_e32 v6, s7, v1
	v_ashrrev_i32_e32 v1, 31, v6
	v_add_u32_e32 v0, s6, v0
	s_waitcnt lgkmcnt(0)
	s_mul_i32 s1, s15, s8
	s_mul_hi_u32 s2, s14, s8
	s_add_i32 s1, s2, s1
	v_mul_lo_u32 v1, s12, v1
	v_mul_lo_u32 v7, s13, v6
	v_mad_u64_u32 v[4:5], s[2:3], s12, v6, 0
	s_mul_i32 s0, s14, s8
	s_lshl_b64 s[0:1], s[0:1], 2
	v_add3_u32 v5, v5, v1, v7
	s_add_u32 s7, s26, s0
	v_lshlrev_b64 v[4:5], 2, v[4:5]
	s_addc_u32 s8, s27, s1
	v_mov_b32_e32 v1, s8
	v_add_co_u32_e32 v7, vcc, s7, v4
	v_addc_co_u32_e32 v10, vcc, v1, v5, vcc
	v_cmp_le_i32_e64 s[0:1], v6, v0
	v_cmp_gt_i32_e32 vcc, s9, v0
	s_and_b64 s[0:1], s[0:1], vcc
	s_and_saveexec_b64 s[2:3], s[0:1]
	s_cbranch_execz .LBB944_6
; %bb.5:
	v_ashrrev_i32_e32 v1, 31, v0
	v_lshlrev_b64 v[4:5], 2, v[0:1]
	v_xor_b32_e32 v9, 0x80000000, v9
	v_add_co_u32_e64 v4, s[0:1], v7, v4
	v_addc_co_u32_e64 v5, s[0:1], v10, v5, s[0:1]
	global_store_dword v[4:5], v9, off
.LBB944_6:
	s_or_b64 exec, exec, s[2:3]
	v_add_u32_e32 v4, 16, v0
	v_cmp_le_i32_e64 s[2:3], v6, v4
	v_cmp_gt_i32_e64 s[0:1], s9, v4
	s_and_b64 s[2:3], s[2:3], s[0:1]
	s_and_saveexec_b64 s[4:5], s[2:3]
	s_cbranch_execz .LBB944_8
; %bb.7:
	v_ashrrev_i32_e32 v5, 31, v4
	v_xor_b32_e32 v1, 0x80000000, v8
	v_lshlrev_b64 v[8:9], 2, v[4:5]
	v_add_co_u32_e64 v7, s[2:3], v7, v8
	v_addc_co_u32_e64 v8, s[2:3], v10, v9, s[2:3]
	global_store_dword v[7:8], v1, off
.LBB944_8:
	s_or_b64 exec, exec, s[4:5]
	v_add_u32_e32 v5, 16, v6
	v_ashrrev_i32_e32 v1, 31, v5
	v_mul_lo_u32 v8, s13, v5
	v_mad_u64_u32 v[6:7], s[2:3], s12, v5, 0
	v_mul_lo_u32 v1, s12, v1
	v_add3_u32 v7, v7, v1, v8
	v_lshlrev_b64 v[6:7], 2, v[6:7]
	v_mov_b32_e32 v1, s8
	v_add_co_u32_e64 v6, s[2:3], s7, v6
	v_addc_co_u32_e64 v7, s[2:3], v1, v7, s[2:3]
	v_cmp_le_i32_e64 s[2:3], v5, v0
	s_and_b64 s[4:5], s[2:3], vcc
	s_and_saveexec_b64 s[2:3], s[4:5]
	s_cbranch_execz .LBB944_10
; %bb.9:
	v_ashrrev_i32_e32 v1, 31, v0
	v_lshlrev_b64 v[0:1], 2, v[0:1]
	v_xor_b32_e32 v2, 0x80000000, v2
	v_add_co_u32_e32 v0, vcc, v6, v0
	v_addc_co_u32_e32 v1, vcc, v7, v1, vcc
	global_store_dword v[0:1], v2, off
.LBB944_10:
	s_or_b64 exec, exec, s[2:3]
	v_cmp_le_i32_e32 vcc, v5, v4
	s_and_b64 s[0:1], vcc, s[0:1]
	s_and_saveexec_b64 s[2:3], s[0:1]
	s_cbranch_execz .LBB944_12
; %bb.11:
	v_ashrrev_i32_e32 v5, 31, v4
	v_lshlrev_b64 v[0:1], 2, v[4:5]
	v_xor_b32_e32 v2, 0x80000000, v3
	v_add_co_u32_e32 v0, vcc, v6, v0
	v_addc_co_u32_e32 v1, vcc, v7, v1, vcc
	global_store_dword v[0:1], v2, off
.LBB944_12:
	s_endpgm
	.section	.rodata,"a",@progbits
	.p2align	6, 0x0
	.amdhsa_kernel _ZL37rocblas_syrkx_herkx_restricted_kernelIlfLi16ELi32ELi8ELin1ELi0ELb0ELc84ELc76EKffEviT_PT9_S1_lS3_S1_lPT10_S1_li
		.amdhsa_group_segment_fixed_size 2048
		.amdhsa_private_segment_fixed_size 0
		.amdhsa_kernarg_size 92
		.amdhsa_user_sgpr_count 6
		.amdhsa_user_sgpr_private_segment_buffer 1
		.amdhsa_user_sgpr_dispatch_ptr 0
		.amdhsa_user_sgpr_queue_ptr 0
		.amdhsa_user_sgpr_kernarg_segment_ptr 1
		.amdhsa_user_sgpr_dispatch_id 0
		.amdhsa_user_sgpr_flat_scratch_init 0
		.amdhsa_user_sgpr_private_segment_size 0
		.amdhsa_uses_dynamic_stack 0
		.amdhsa_system_sgpr_private_segment_wavefront_offset 0
		.amdhsa_system_sgpr_workgroup_id_x 1
		.amdhsa_system_sgpr_workgroup_id_y 1
		.amdhsa_system_sgpr_workgroup_id_z 1
		.amdhsa_system_sgpr_workgroup_info 0
		.amdhsa_system_vgpr_workitem_id 1
		.amdhsa_next_free_vgpr 34
		.amdhsa_next_free_sgpr 28
		.amdhsa_reserve_vcc 1
		.amdhsa_reserve_flat_scratch 0
		.amdhsa_float_round_mode_32 0
		.amdhsa_float_round_mode_16_64 0
		.amdhsa_float_denorm_mode_32 3
		.amdhsa_float_denorm_mode_16_64 3
		.amdhsa_dx10_clamp 1
		.amdhsa_ieee_mode 1
		.amdhsa_fp16_overflow 0
		.amdhsa_exception_fp_ieee_invalid_op 0
		.amdhsa_exception_fp_denorm_src 0
		.amdhsa_exception_fp_ieee_div_zero 0
		.amdhsa_exception_fp_ieee_overflow 0
		.amdhsa_exception_fp_ieee_underflow 0
		.amdhsa_exception_fp_ieee_inexact 0
		.amdhsa_exception_int_div_zero 0
	.end_amdhsa_kernel
	.section	.text._ZL37rocblas_syrkx_herkx_restricted_kernelIlfLi16ELi32ELi8ELin1ELi0ELb0ELc84ELc76EKffEviT_PT9_S1_lS3_S1_lPT10_S1_li,"axG",@progbits,_ZL37rocblas_syrkx_herkx_restricted_kernelIlfLi16ELi32ELi8ELin1ELi0ELb0ELc84ELc76EKffEviT_PT9_S1_lS3_S1_lPT10_S1_li,comdat
.Lfunc_end944:
	.size	_ZL37rocblas_syrkx_herkx_restricted_kernelIlfLi16ELi32ELi8ELin1ELi0ELb0ELc84ELc76EKffEviT_PT9_S1_lS3_S1_lPT10_S1_li, .Lfunc_end944-_ZL37rocblas_syrkx_herkx_restricted_kernelIlfLi16ELi32ELi8ELin1ELi0ELb0ELc84ELc76EKffEviT_PT9_S1_lS3_S1_lPT10_S1_li
                                        ; -- End function
	.set _ZL37rocblas_syrkx_herkx_restricted_kernelIlfLi16ELi32ELi8ELin1ELi0ELb0ELc84ELc76EKffEviT_PT9_S1_lS3_S1_lPT10_S1_li.num_vgpr, 34
	.set _ZL37rocblas_syrkx_herkx_restricted_kernelIlfLi16ELi32ELi8ELin1ELi0ELb0ELc84ELc76EKffEviT_PT9_S1_lS3_S1_lPT10_S1_li.num_agpr, 0
	.set _ZL37rocblas_syrkx_herkx_restricted_kernelIlfLi16ELi32ELi8ELin1ELi0ELb0ELc84ELc76EKffEviT_PT9_S1_lS3_S1_lPT10_S1_li.numbered_sgpr, 28
	.set _ZL37rocblas_syrkx_herkx_restricted_kernelIlfLi16ELi32ELi8ELin1ELi0ELb0ELc84ELc76EKffEviT_PT9_S1_lS3_S1_lPT10_S1_li.num_named_barrier, 0
	.set _ZL37rocblas_syrkx_herkx_restricted_kernelIlfLi16ELi32ELi8ELin1ELi0ELb0ELc84ELc76EKffEviT_PT9_S1_lS3_S1_lPT10_S1_li.private_seg_size, 0
	.set _ZL37rocblas_syrkx_herkx_restricted_kernelIlfLi16ELi32ELi8ELin1ELi0ELb0ELc84ELc76EKffEviT_PT9_S1_lS3_S1_lPT10_S1_li.uses_vcc, 1
	.set _ZL37rocblas_syrkx_herkx_restricted_kernelIlfLi16ELi32ELi8ELin1ELi0ELb0ELc84ELc76EKffEviT_PT9_S1_lS3_S1_lPT10_S1_li.uses_flat_scratch, 0
	.set _ZL37rocblas_syrkx_herkx_restricted_kernelIlfLi16ELi32ELi8ELin1ELi0ELb0ELc84ELc76EKffEviT_PT9_S1_lS3_S1_lPT10_S1_li.has_dyn_sized_stack, 0
	.set _ZL37rocblas_syrkx_herkx_restricted_kernelIlfLi16ELi32ELi8ELin1ELi0ELb0ELc84ELc76EKffEviT_PT9_S1_lS3_S1_lPT10_S1_li.has_recursion, 0
	.set _ZL37rocblas_syrkx_herkx_restricted_kernelIlfLi16ELi32ELi8ELin1ELi0ELb0ELc84ELc76EKffEviT_PT9_S1_lS3_S1_lPT10_S1_li.has_indirect_call, 0
	.section	.AMDGPU.csdata,"",@progbits
; Kernel info:
; codeLenInByte = 1152
; TotalNumSgprs: 32
; NumVgprs: 34
; ScratchSize: 0
; MemoryBound: 0
; FloatMode: 240
; IeeeMode: 1
; LDSByteSize: 2048 bytes/workgroup (compile time only)
; SGPRBlocks: 3
; VGPRBlocks: 8
; NumSGPRsForWavesPerEU: 32
; NumVGPRsForWavesPerEU: 34
; Occupancy: 7
; WaveLimiterHint : 1
; COMPUTE_PGM_RSRC2:SCRATCH_EN: 0
; COMPUTE_PGM_RSRC2:USER_SGPR: 6
; COMPUTE_PGM_RSRC2:TRAP_HANDLER: 0
; COMPUTE_PGM_RSRC2:TGID_X_EN: 1
; COMPUTE_PGM_RSRC2:TGID_Y_EN: 1
; COMPUTE_PGM_RSRC2:TGID_Z_EN: 1
; COMPUTE_PGM_RSRC2:TIDIG_COMP_CNT: 1
	.section	.text._ZL37rocblas_syrkx_herkx_restricted_kernelIlfLi16ELi32ELi8ELin1ELi0ELb0ELc67ELc76EKffEviT_PT9_S1_lS3_S1_lPT10_S1_li,"axG",@progbits,_ZL37rocblas_syrkx_herkx_restricted_kernelIlfLi16ELi32ELi8ELin1ELi0ELb0ELc67ELc76EKffEviT_PT9_S1_lS3_S1_lPT10_S1_li,comdat
	.globl	_ZL37rocblas_syrkx_herkx_restricted_kernelIlfLi16ELi32ELi8ELin1ELi0ELb0ELc67ELc76EKffEviT_PT9_S1_lS3_S1_lPT10_S1_li ; -- Begin function _ZL37rocblas_syrkx_herkx_restricted_kernelIlfLi16ELi32ELi8ELin1ELi0ELb0ELc67ELc76EKffEviT_PT9_S1_lS3_S1_lPT10_S1_li
	.p2align	8
	.type	_ZL37rocblas_syrkx_herkx_restricted_kernelIlfLi16ELi32ELi8ELin1ELi0ELb0ELc67ELc76EKffEviT_PT9_S1_lS3_S1_lPT10_S1_li,@function
_ZL37rocblas_syrkx_herkx_restricted_kernelIlfLi16ELi32ELi8ELin1ELi0ELb0ELc67ELc76EKffEviT_PT9_S1_lS3_S1_lPT10_S1_li: ; @_ZL37rocblas_syrkx_herkx_restricted_kernelIlfLi16ELi32ELi8ELin1ELi0ELb0ELc67ELc76EKffEviT_PT9_S1_lS3_S1_lPT10_S1_li
; %bb.0:
	s_load_dwordx16 s[12:27], s[4:5], 0x8
	s_lshl_b32 s6, s6, 5
	s_lshl_b32 s7, s7, 5
	s_waitcnt lgkmcnt(0)
	v_cmp_lt_i64_e64 s[0:1], s[12:13], 1
	s_and_b64 vcc, exec, s[0:1]
	s_cbranch_vccnz .LBB945_3
; %bb.1:
	v_lshl_add_u32 v4, v1, 4, v0
	v_lshrrev_b32_e32 v8, 3, v4
	v_add_u32_e32 v5, s7, v8
	v_ashrrev_i32_e32 v6, 31, v5
	v_and_b32_e32 v2, 7, v0
	v_mov_b32_e32 v3, 0
	v_mul_lo_u32 v9, s22, v6
	v_mul_lo_u32 v10, s23, v5
	v_mad_u64_u32 v[6:7], s[0:1], s22, v5, v[2:3]
	v_lshlrev_b32_e32 v2, 2, v2
	v_lshl_or_b32 v2, v8, 5, v2
	v_add3_u32 v7, v10, v7, v9
	v_and_b32_e32 v9, 31, v4
	v_add_u32_e32 v11, 0x400, v2
	v_mov_b32_e32 v2, 0x400
	v_lshl_add_u32 v13, v1, 5, v2
	v_add_u32_e32 v2, s6, v9
	v_lshrrev_b32_e32 v4, 5, v4
	v_mov_b32_e32 v5, v3
	v_lshlrev_b32_e32 v10, 2, v9
	v_ashrrev_i32_e32 v8, 31, v2
	v_lshl_or_b32 v10, v4, 7, v10
	v_mul_lo_u32 v8, s16, v8
	v_mad_u64_u32 v[4:5], s[0:1], s16, v2, v[4:5]
	v_mul_lo_u32 v2, s17, v2
	s_mul_i32 s2, s19, s8
	s_mul_hi_u32 s3, s18, s8
	s_add_i32 s1, s3, s2
	s_mul_i32 s0, s18, s8
	s_lshl_b64 s[0:1], s[0:1], 2
	v_add3_u32 v5, v2, v5, v8
	v_lshlrev_b64 v[4:5], 2, v[4:5]
	s_add_u32 s0, s14, s0
	s_addc_u32 s1, s15, s1
	v_mov_b32_e32 v2, s1
	v_add_co_u32_e32 v4, vcc, s0, v4
	s_mul_i32 s0, s25, s8
	s_mul_hi_u32 s1, s24, s8
	s_add_i32 s1, s1, s0
	s_mul_i32 s0, s24, s8
	s_lshl_b64 s[0:1], s[0:1], 2
	v_lshlrev_b64 v[6:7], 2, v[6:7]
	s_add_u32 s0, s20, s0
	v_addc_co_u32_e32 v5, vcc, v2, v5, vcc
	s_addc_u32 s1, s21, s1
	v_mov_b32_e32 v2, s1
	v_add_co_u32_e32 v6, vcc, s0, v6
	v_lshlrev_b32_e32 v12, 2, v0
	v_addc_co_u32_e32 v7, vcc, v2, v7, vcc
	s_mov_b64 s[2:3], 0
	v_mov_b32_e32 v2, v3
	v_mov_b32_e32 v8, v3
	;; [unrolled: 1-line block ×3, first 2 shown]
.LBB945_2:                              ; =>This Inner Loop Header: Depth=1
	global_load_dword v14, v[4:5], off
	global_load_dword v15, v[6:7], off
	s_add_u32 s2, s2, 8
	s_addc_u32 s3, s3, 0
	v_add_co_u32_e64 v4, s[0:1], 32, v4
	v_addc_co_u32_e64 v5, s[0:1], 0, v5, s[0:1]
	v_add_co_u32_e64 v6, s[0:1], 32, v6
	v_addc_co_u32_e64 v7, s[0:1], 0, v7, s[0:1]
	s_waitcnt vmcnt(1)
	ds_write_b32 v10, v14
	s_waitcnt vmcnt(0)
	ds_write_b32 v11, v15
	s_waitcnt lgkmcnt(0)
	s_barrier
	ds_read2_b32 v[26:27], v12 offset1:16
	ds_read_b128 v[14:17], v13
	ds_read2_b32 v[28:29], v12 offset0:32 offset1:48
	ds_read2_b32 v[30:31], v12 offset0:64 offset1:80
	ds_read_b128 v[18:21], v13 offset:16
	ds_read2_b32 v[32:33], v12 offset0:96 offset1:112
	s_waitcnt lgkmcnt(4)
	v_fmac_f32_e32 v9, v26, v14
	v_fmac_f32_e32 v8, v27, v14
	s_waitcnt lgkmcnt(3)
	v_fmac_f32_e32 v9, v28, v15
	v_fmac_f32_e32 v8, v29, v15
	v_mov_b32_e32 v15, s3
	s_waitcnt lgkmcnt(2)
	v_fmac_f32_e32 v9, v30, v16
	v_fmac_f32_e32 v8, v31, v16
	v_mov_b32_e32 v14, s2
	s_waitcnt lgkmcnt(0)
	v_fmac_f32_e32 v9, v32, v17
	v_fmac_f32_e32 v8, v33, v17
	v_cmp_le_u64_e32 vcc, s[12:13], v[14:15]
	ds_read_b128 v[14:17], v13 offset:512
	ds_read_b128 v[22:25], v13 offset:528
	s_and_b64 vcc, exec, vcc
	s_waitcnt lgkmcnt(1)
	v_fmac_f32_e32 v2, v26, v14
	v_fmac_f32_e32 v3, v27, v14
	v_fmac_f32_e32 v2, v28, v15
	v_fmac_f32_e32 v3, v29, v15
	v_fmac_f32_e32 v2, v30, v16
	v_fmac_f32_e32 v3, v31, v16
	v_fmac_f32_e32 v2, v32, v17
	v_fmac_f32_e32 v3, v33, v17
	ds_read2_b32 v[14:15], v12 offset0:128 offset1:144
	ds_read2_b32 v[16:17], v12 offset0:160 offset1:176
	;; [unrolled: 1-line block ×3, first 2 shown]
	s_waitcnt lgkmcnt(2)
	v_fmac_f32_e32 v9, v14, v18
	v_fmac_f32_e32 v8, v15, v18
	v_fmac_f32_e32 v2, v14, v22
	v_fmac_f32_e32 v3, v15, v22
	ds_read2_b32 v[14:15], v12 offset0:224 offset1:240
	s_waitcnt lgkmcnt(2)
	v_fmac_f32_e32 v9, v16, v19
	v_fmac_f32_e32 v8, v17, v19
	v_fmac_f32_e32 v2, v16, v23
	v_fmac_f32_e32 v3, v17, v23
	s_waitcnt lgkmcnt(1)
	v_fmac_f32_e32 v9, v26, v20
	v_fmac_f32_e32 v8, v27, v20
	v_fmac_f32_e32 v2, v26, v24
	v_fmac_f32_e32 v3, v27, v24
	;; [unrolled: 5-line block ×3, first 2 shown]
	s_barrier
	s_cbranch_vccz .LBB945_2
	s_branch .LBB945_4
.LBB945_3:
	v_mov_b32_e32 v9, 0
	v_mov_b32_e32 v8, 0
	;; [unrolled: 1-line block ×4, first 2 shown]
.LBB945_4:
	s_load_dwordx4 s[12:15], s[4:5], 0x48
	s_load_dword s9, s[4:5], 0x0
	v_add_u32_e32 v6, s7, v1
	v_ashrrev_i32_e32 v1, 31, v6
	v_add_u32_e32 v0, s6, v0
	s_waitcnt lgkmcnt(0)
	s_mul_i32 s1, s15, s8
	s_mul_hi_u32 s2, s14, s8
	s_add_i32 s1, s2, s1
	v_mul_lo_u32 v1, s12, v1
	v_mul_lo_u32 v7, s13, v6
	v_mad_u64_u32 v[4:5], s[2:3], s12, v6, 0
	s_mul_i32 s0, s14, s8
	s_lshl_b64 s[0:1], s[0:1], 2
	v_add3_u32 v5, v5, v1, v7
	s_add_u32 s7, s26, s0
	v_lshlrev_b64 v[4:5], 2, v[4:5]
	s_addc_u32 s8, s27, s1
	v_mov_b32_e32 v1, s8
	v_add_co_u32_e32 v7, vcc, s7, v4
	v_addc_co_u32_e32 v10, vcc, v1, v5, vcc
	v_cmp_le_i32_e64 s[0:1], v6, v0
	v_cmp_gt_i32_e32 vcc, s9, v0
	s_and_b64 s[0:1], s[0:1], vcc
	s_and_saveexec_b64 s[2:3], s[0:1]
	s_cbranch_execz .LBB945_6
; %bb.5:
	v_ashrrev_i32_e32 v1, 31, v0
	v_lshlrev_b64 v[4:5], 2, v[0:1]
	v_xor_b32_e32 v9, 0x80000000, v9
	v_add_co_u32_e64 v4, s[0:1], v7, v4
	v_addc_co_u32_e64 v5, s[0:1], v10, v5, s[0:1]
	global_store_dword v[4:5], v9, off
.LBB945_6:
	s_or_b64 exec, exec, s[2:3]
	v_add_u32_e32 v4, 16, v0
	v_cmp_le_i32_e64 s[2:3], v6, v4
	v_cmp_gt_i32_e64 s[0:1], s9, v4
	s_and_b64 s[2:3], s[2:3], s[0:1]
	s_and_saveexec_b64 s[4:5], s[2:3]
	s_cbranch_execz .LBB945_8
; %bb.7:
	v_ashrrev_i32_e32 v5, 31, v4
	v_xor_b32_e32 v1, 0x80000000, v8
	v_lshlrev_b64 v[8:9], 2, v[4:5]
	v_add_co_u32_e64 v7, s[2:3], v7, v8
	v_addc_co_u32_e64 v8, s[2:3], v10, v9, s[2:3]
	global_store_dword v[7:8], v1, off
.LBB945_8:
	s_or_b64 exec, exec, s[4:5]
	v_add_u32_e32 v5, 16, v6
	v_ashrrev_i32_e32 v1, 31, v5
	v_mul_lo_u32 v8, s13, v5
	v_mad_u64_u32 v[6:7], s[2:3], s12, v5, 0
	v_mul_lo_u32 v1, s12, v1
	v_add3_u32 v7, v7, v1, v8
	v_lshlrev_b64 v[6:7], 2, v[6:7]
	v_mov_b32_e32 v1, s8
	v_add_co_u32_e64 v6, s[2:3], s7, v6
	v_addc_co_u32_e64 v7, s[2:3], v1, v7, s[2:3]
	v_cmp_le_i32_e64 s[2:3], v5, v0
	s_and_b64 s[4:5], s[2:3], vcc
	s_and_saveexec_b64 s[2:3], s[4:5]
	s_cbranch_execz .LBB945_10
; %bb.9:
	v_ashrrev_i32_e32 v1, 31, v0
	v_lshlrev_b64 v[0:1], 2, v[0:1]
	v_xor_b32_e32 v2, 0x80000000, v2
	v_add_co_u32_e32 v0, vcc, v6, v0
	v_addc_co_u32_e32 v1, vcc, v7, v1, vcc
	global_store_dword v[0:1], v2, off
.LBB945_10:
	s_or_b64 exec, exec, s[2:3]
	v_cmp_le_i32_e32 vcc, v5, v4
	s_and_b64 s[0:1], vcc, s[0:1]
	s_and_saveexec_b64 s[2:3], s[0:1]
	s_cbranch_execz .LBB945_12
; %bb.11:
	v_ashrrev_i32_e32 v5, 31, v4
	v_lshlrev_b64 v[0:1], 2, v[4:5]
	v_xor_b32_e32 v2, 0x80000000, v3
	v_add_co_u32_e32 v0, vcc, v6, v0
	v_addc_co_u32_e32 v1, vcc, v7, v1, vcc
	global_store_dword v[0:1], v2, off
.LBB945_12:
	s_endpgm
	.section	.rodata,"a",@progbits
	.p2align	6, 0x0
	.amdhsa_kernel _ZL37rocblas_syrkx_herkx_restricted_kernelIlfLi16ELi32ELi8ELin1ELi0ELb0ELc67ELc76EKffEviT_PT9_S1_lS3_S1_lPT10_S1_li
		.amdhsa_group_segment_fixed_size 2048
		.amdhsa_private_segment_fixed_size 0
		.amdhsa_kernarg_size 92
		.amdhsa_user_sgpr_count 6
		.amdhsa_user_sgpr_private_segment_buffer 1
		.amdhsa_user_sgpr_dispatch_ptr 0
		.amdhsa_user_sgpr_queue_ptr 0
		.amdhsa_user_sgpr_kernarg_segment_ptr 1
		.amdhsa_user_sgpr_dispatch_id 0
		.amdhsa_user_sgpr_flat_scratch_init 0
		.amdhsa_user_sgpr_private_segment_size 0
		.amdhsa_uses_dynamic_stack 0
		.amdhsa_system_sgpr_private_segment_wavefront_offset 0
		.amdhsa_system_sgpr_workgroup_id_x 1
		.amdhsa_system_sgpr_workgroup_id_y 1
		.amdhsa_system_sgpr_workgroup_id_z 1
		.amdhsa_system_sgpr_workgroup_info 0
		.amdhsa_system_vgpr_workitem_id 1
		.amdhsa_next_free_vgpr 34
		.amdhsa_next_free_sgpr 28
		.amdhsa_reserve_vcc 1
		.amdhsa_reserve_flat_scratch 0
		.amdhsa_float_round_mode_32 0
		.amdhsa_float_round_mode_16_64 0
		.amdhsa_float_denorm_mode_32 3
		.amdhsa_float_denorm_mode_16_64 3
		.amdhsa_dx10_clamp 1
		.amdhsa_ieee_mode 1
		.amdhsa_fp16_overflow 0
		.amdhsa_exception_fp_ieee_invalid_op 0
		.amdhsa_exception_fp_denorm_src 0
		.amdhsa_exception_fp_ieee_div_zero 0
		.amdhsa_exception_fp_ieee_overflow 0
		.amdhsa_exception_fp_ieee_underflow 0
		.amdhsa_exception_fp_ieee_inexact 0
		.amdhsa_exception_int_div_zero 0
	.end_amdhsa_kernel
	.section	.text._ZL37rocblas_syrkx_herkx_restricted_kernelIlfLi16ELi32ELi8ELin1ELi0ELb0ELc67ELc76EKffEviT_PT9_S1_lS3_S1_lPT10_S1_li,"axG",@progbits,_ZL37rocblas_syrkx_herkx_restricted_kernelIlfLi16ELi32ELi8ELin1ELi0ELb0ELc67ELc76EKffEviT_PT9_S1_lS3_S1_lPT10_S1_li,comdat
.Lfunc_end945:
	.size	_ZL37rocblas_syrkx_herkx_restricted_kernelIlfLi16ELi32ELi8ELin1ELi0ELb0ELc67ELc76EKffEviT_PT9_S1_lS3_S1_lPT10_S1_li, .Lfunc_end945-_ZL37rocblas_syrkx_herkx_restricted_kernelIlfLi16ELi32ELi8ELin1ELi0ELb0ELc67ELc76EKffEviT_PT9_S1_lS3_S1_lPT10_S1_li
                                        ; -- End function
	.set _ZL37rocblas_syrkx_herkx_restricted_kernelIlfLi16ELi32ELi8ELin1ELi0ELb0ELc67ELc76EKffEviT_PT9_S1_lS3_S1_lPT10_S1_li.num_vgpr, 34
	.set _ZL37rocblas_syrkx_herkx_restricted_kernelIlfLi16ELi32ELi8ELin1ELi0ELb0ELc67ELc76EKffEviT_PT9_S1_lS3_S1_lPT10_S1_li.num_agpr, 0
	.set _ZL37rocblas_syrkx_herkx_restricted_kernelIlfLi16ELi32ELi8ELin1ELi0ELb0ELc67ELc76EKffEviT_PT9_S1_lS3_S1_lPT10_S1_li.numbered_sgpr, 28
	.set _ZL37rocblas_syrkx_herkx_restricted_kernelIlfLi16ELi32ELi8ELin1ELi0ELb0ELc67ELc76EKffEviT_PT9_S1_lS3_S1_lPT10_S1_li.num_named_barrier, 0
	.set _ZL37rocblas_syrkx_herkx_restricted_kernelIlfLi16ELi32ELi8ELin1ELi0ELb0ELc67ELc76EKffEviT_PT9_S1_lS3_S1_lPT10_S1_li.private_seg_size, 0
	.set _ZL37rocblas_syrkx_herkx_restricted_kernelIlfLi16ELi32ELi8ELin1ELi0ELb0ELc67ELc76EKffEviT_PT9_S1_lS3_S1_lPT10_S1_li.uses_vcc, 1
	.set _ZL37rocblas_syrkx_herkx_restricted_kernelIlfLi16ELi32ELi8ELin1ELi0ELb0ELc67ELc76EKffEviT_PT9_S1_lS3_S1_lPT10_S1_li.uses_flat_scratch, 0
	.set _ZL37rocblas_syrkx_herkx_restricted_kernelIlfLi16ELi32ELi8ELin1ELi0ELb0ELc67ELc76EKffEviT_PT9_S1_lS3_S1_lPT10_S1_li.has_dyn_sized_stack, 0
	.set _ZL37rocblas_syrkx_herkx_restricted_kernelIlfLi16ELi32ELi8ELin1ELi0ELb0ELc67ELc76EKffEviT_PT9_S1_lS3_S1_lPT10_S1_li.has_recursion, 0
	.set _ZL37rocblas_syrkx_herkx_restricted_kernelIlfLi16ELi32ELi8ELin1ELi0ELb0ELc67ELc76EKffEviT_PT9_S1_lS3_S1_lPT10_S1_li.has_indirect_call, 0
	.section	.AMDGPU.csdata,"",@progbits
; Kernel info:
; codeLenInByte = 1152
; TotalNumSgprs: 32
; NumVgprs: 34
; ScratchSize: 0
; MemoryBound: 0
; FloatMode: 240
; IeeeMode: 1
; LDSByteSize: 2048 bytes/workgroup (compile time only)
; SGPRBlocks: 3
; VGPRBlocks: 8
; NumSGPRsForWavesPerEU: 32
; NumVGPRsForWavesPerEU: 34
; Occupancy: 7
; WaveLimiterHint : 1
; COMPUTE_PGM_RSRC2:SCRATCH_EN: 0
; COMPUTE_PGM_RSRC2:USER_SGPR: 6
; COMPUTE_PGM_RSRC2:TRAP_HANDLER: 0
; COMPUTE_PGM_RSRC2:TGID_X_EN: 1
; COMPUTE_PGM_RSRC2:TGID_Y_EN: 1
; COMPUTE_PGM_RSRC2:TGID_Z_EN: 1
; COMPUTE_PGM_RSRC2:TIDIG_COMP_CNT: 1
	.section	.text._ZL37rocblas_syrkx_herkx_restricted_kernelIlfLi16ELi32ELi8ELin1ELi0ELb0ELc78ELc76EKffEviT_PT9_S1_lS3_S1_lPT10_S1_li,"axG",@progbits,_ZL37rocblas_syrkx_herkx_restricted_kernelIlfLi16ELi32ELi8ELin1ELi0ELb0ELc78ELc76EKffEviT_PT9_S1_lS3_S1_lPT10_S1_li,comdat
	.globl	_ZL37rocblas_syrkx_herkx_restricted_kernelIlfLi16ELi32ELi8ELin1ELi0ELb0ELc78ELc76EKffEviT_PT9_S1_lS3_S1_lPT10_S1_li ; -- Begin function _ZL37rocblas_syrkx_herkx_restricted_kernelIlfLi16ELi32ELi8ELin1ELi0ELb0ELc78ELc76EKffEviT_PT9_S1_lS3_S1_lPT10_S1_li
	.p2align	8
	.type	_ZL37rocblas_syrkx_herkx_restricted_kernelIlfLi16ELi32ELi8ELin1ELi0ELb0ELc78ELc76EKffEviT_PT9_S1_lS3_S1_lPT10_S1_li,@function
_ZL37rocblas_syrkx_herkx_restricted_kernelIlfLi16ELi32ELi8ELin1ELi0ELb0ELc78ELc76EKffEviT_PT9_S1_lS3_S1_lPT10_S1_li: ; @_ZL37rocblas_syrkx_herkx_restricted_kernelIlfLi16ELi32ELi8ELin1ELi0ELb0ELc78ELc76EKffEviT_PT9_S1_lS3_S1_lPT10_S1_li
; %bb.0:
	s_load_dwordx16 s[12:27], s[4:5], 0x8
	s_lshl_b32 s9, s6, 5
	s_lshl_b32 s28, s7, 5
	s_waitcnt lgkmcnt(0)
	v_cmp_lt_i64_e64 s[0:1], s[12:13], 1
	s_and_b64 vcc, exec, s[0:1]
	s_cbranch_vccnz .LBB946_3
; %bb.1:
	v_lshl_add_u32 v7, v1, 4, v0
	v_lshrrev_b32_e32 v8, 3, v7
	v_add_u32_e32 v2, s28, v8
	v_and_b32_e32 v6, 7, v0
	v_ashrrev_i32_e32 v3, 31, v2
	v_mad_u64_u32 v[4:5], s[0:1], s22, v6, v[2:3]
	v_lshrrev_b32_e32 v10, 5, v7
	s_mul_i32 s2, s19, s8
	v_mov_b32_e32 v2, v5
	v_mad_u64_u32 v[2:3], s[0:1], s23, v6, v[2:3]
	v_and_b32_e32 v3, 31, v7
	v_lshlrev_b32_e32 v7, 2, v3
	v_mov_b32_e32 v5, v2
	v_lshlrev_b32_e32 v2, 2, v6
	v_lshl_or_b32 v2, v8, 5, v2
	v_add_u32_e32 v11, 0x400, v2
	v_add_u32_e32 v2, s9, v3
	v_ashrrev_i32_e32 v3, 31, v2
	v_mad_u64_u32 v[2:3], s[0:1], s16, v10, v[2:3]
	v_mov_b32_e32 v6, 0x400
	v_lshl_or_b32 v9, v10, 7, v7
	v_lshl_add_u32 v13, v1, 5, v6
	v_mad_u64_u32 v[6:7], s[0:1], s17, v10, v[3:4]
	s_mul_hi_u32 s3, s18, s8
	s_add_i32 s1, s3, s2
	s_mul_i32 s0, s18, s8
	s_lshl_b64 s[0:1], s[0:1], 2
	v_mov_b32_e32 v3, v6
	v_lshlrev_b64 v[2:3], 2, v[2:3]
	s_add_u32 s0, s14, s0
	s_addc_u32 s1, s15, s1
	v_mov_b32_e32 v6, s1
	v_add_co_u32_e32 v2, vcc, s0, v2
	s_mul_i32 s0, s25, s8
	s_mul_hi_u32 s1, s24, s8
	s_add_i32 s1, s1, s0
	s_mul_i32 s0, s24, s8
	s_lshl_b64 s[2:3], s[16:17], 5
	s_lshl_b64 s[0:1], s[0:1], 2
	v_lshlrev_b64 v[4:5], 2, v[4:5]
	s_add_u32 s0, s20, s0
	v_addc_co_u32_e32 v3, vcc, v6, v3, vcc
	s_addc_u32 s1, s21, s1
	v_mov_b32_e32 v6, s1
	v_add_co_u32_e32 v4, vcc, s0, v4
	v_lshlrev_b32_e32 v12, 2, v0
	v_addc_co_u32_e32 v5, vcc, v6, v5, vcc
	s_lshl_b64 s[6:7], s[22:23], 5
	v_mov_b32_e32 v6, 0
	s_mov_b64 s[10:11], 0
	v_mov_b32_e32 v7, 0
	v_mov_b32_e32 v8, 0
	;; [unrolled: 1-line block ×3, first 2 shown]
.LBB946_2:                              ; =>This Inner Loop Header: Depth=1
	global_load_dword v16, v[2:3], off
	global_load_dword v17, v[4:5], off
	s_add_u32 s10, s10, 8
	s_addc_u32 s11, s11, 0
	v_mov_b32_e32 v15, s11
	v_mov_b32_e32 v14, s10
	v_cmp_le_u64_e32 vcc, s[12:13], v[14:15]
	v_add_co_u32_e64 v2, s[0:1], s2, v2
	s_and_b64 vcc, exec, vcc
	s_waitcnt vmcnt(1)
	ds_write_b32 v9, v16
	s_waitcnt vmcnt(0)
	ds_write_b32 v11, v17
	s_waitcnt lgkmcnt(0)
	s_barrier
	ds_read2_b32 v[26:27], v12 offset1:16
	ds_read_b128 v[14:17], v13
	ds_read2_b32 v[28:29], v12 offset0:32 offset1:48
	ds_read2_b32 v[30:31], v12 offset0:64 offset1:80
	;; [unrolled: 1-line block ×3, first 2 shown]
	ds_read_b128 v[18:21], v13 offset:16
	s_waitcnt lgkmcnt(4)
	v_fmac_f32_e32 v10, v26, v14
	v_fmac_f32_e32 v8, v27, v14
	s_waitcnt lgkmcnt(3)
	v_fmac_f32_e32 v10, v28, v15
	v_fmac_f32_e32 v8, v29, v15
	;; [unrolled: 3-line block ×4, first 2 shown]
	ds_read_b128 v[14:17], v13 offset:512
	ds_read_b128 v[22:25], v13 offset:528
	s_waitcnt lgkmcnt(1)
	v_fmac_f32_e32 v7, v26, v14
	v_fmac_f32_e32 v6, v27, v14
	v_mov_b32_e32 v14, s3
	v_addc_co_u32_e64 v3, s[0:1], v3, v14, s[0:1]
	v_mov_b32_e32 v14, s7
	v_add_co_u32_e64 v4, s[0:1], s6, v4
	v_fmac_f32_e32 v7, v28, v15
	v_fmac_f32_e32 v6, v29, v15
	v_addc_co_u32_e64 v5, s[0:1], v5, v14, s[0:1]
	ds_read2_b32 v[14:15], v12 offset0:128 offset1:144
	v_fmac_f32_e32 v7, v30, v16
	v_fmac_f32_e32 v6, v31, v16
	;; [unrolled: 1-line block ×4, first 2 shown]
	ds_read2_b32 v[16:17], v12 offset0:160 offset1:176
	ds_read2_b32 v[26:27], v12 offset0:192 offset1:208
	ds_read2_b32 v[28:29], v12 offset0:224 offset1:240
	s_waitcnt lgkmcnt(3)
	v_fmac_f32_e32 v10, v14, v18
	v_fmac_f32_e32 v8, v15, v18
	v_fmac_f32_e32 v7, v14, v22
	v_fmac_f32_e32 v6, v15, v22
	s_waitcnt lgkmcnt(2)
	v_fmac_f32_e32 v10, v16, v19
	v_fmac_f32_e32 v8, v17, v19
	v_fmac_f32_e32 v7, v16, v23
	v_fmac_f32_e32 v6, v17, v23
	;; [unrolled: 5-line block ×4, first 2 shown]
	s_barrier
	s_cbranch_vccz .LBB946_2
	s_branch .LBB946_4
.LBB946_3:
	v_mov_b32_e32 v10, 0
	v_mov_b32_e32 v8, 0
	;; [unrolled: 1-line block ×4, first 2 shown]
.LBB946_4:
	s_load_dwordx4 s[12:15], s[4:5], 0x48
	s_load_dword s10, s[4:5], 0x0
	v_add_u32_e32 v4, s28, v1
	v_ashrrev_i32_e32 v1, 31, v4
	v_add_u32_e32 v0, s9, v0
	s_waitcnt lgkmcnt(0)
	s_mul_i32 s1, s15, s8
	s_mul_hi_u32 s2, s14, s8
	s_add_i32 s1, s2, s1
	v_mul_lo_u32 v3, s12, v1
	v_mul_lo_u32 v5, s13, v4
	v_mad_u64_u32 v[1:2], s[2:3], s12, v4, 0
	s_mul_i32 s0, s14, s8
	s_lshl_b64 s[0:1], s[0:1], 2
	v_add3_u32 v2, v2, v3, v5
	s_add_u32 s6, s26, s0
	v_lshlrev_b64 v[1:2], 2, v[1:2]
	s_addc_u32 s7, s27, s1
	v_mov_b32_e32 v3, s7
	v_add_co_u32_e32 v5, vcc, s6, v1
	v_addc_co_u32_e32 v9, vcc, v3, v2, vcc
	v_cmp_le_i32_e64 s[0:1], v4, v0
	v_cmp_gt_i32_e32 vcc, s10, v0
	s_and_b64 s[0:1], s[0:1], vcc
	s_and_saveexec_b64 s[2:3], s[0:1]
	s_cbranch_execz .LBB946_6
; %bb.5:
	v_ashrrev_i32_e32 v1, 31, v0
	v_lshlrev_b64 v[1:2], 2, v[0:1]
	v_xor_b32_e32 v3, 0x80000000, v10
	v_add_co_u32_e64 v1, s[0:1], v5, v1
	v_addc_co_u32_e64 v2, s[0:1], v9, v2, s[0:1]
	global_store_dword v[1:2], v3, off
.LBB946_6:
	s_or_b64 exec, exec, s[2:3]
	v_add_u32_e32 v2, 16, v0
	v_cmp_le_i32_e64 s[2:3], v4, v2
	v_cmp_gt_i32_e64 s[0:1], s10, v2
	s_and_b64 s[2:3], s[2:3], s[0:1]
	s_and_saveexec_b64 s[4:5], s[2:3]
	s_cbranch_execz .LBB946_8
; %bb.7:
	v_ashrrev_i32_e32 v3, 31, v2
	v_lshlrev_b64 v[10:11], 2, v[2:3]
	v_xor_b32_e32 v1, 0x80000000, v8
	v_add_co_u32_e64 v8, s[2:3], v5, v10
	v_addc_co_u32_e64 v9, s[2:3], v9, v11, s[2:3]
	global_store_dword v[8:9], v1, off
.LBB946_8:
	s_or_b64 exec, exec, s[4:5]
	v_add_u32_e32 v3, 16, v4
	v_ashrrev_i32_e32 v1, 31, v3
	v_mul_lo_u32 v8, s13, v3
	v_mad_u64_u32 v[4:5], s[2:3], s12, v3, 0
	v_mul_lo_u32 v1, s12, v1
	v_add3_u32 v5, v5, v1, v8
	v_lshlrev_b64 v[4:5], 2, v[4:5]
	v_mov_b32_e32 v1, s7
	v_add_co_u32_e64 v4, s[2:3], s6, v4
	v_addc_co_u32_e64 v5, s[2:3], v1, v5, s[2:3]
	v_cmp_le_i32_e64 s[2:3], v3, v0
	s_and_b64 s[4:5], s[2:3], vcc
	s_and_saveexec_b64 s[2:3], s[4:5]
	s_cbranch_execz .LBB946_10
; %bb.9:
	v_ashrrev_i32_e32 v1, 31, v0
	v_lshlrev_b64 v[0:1], 2, v[0:1]
	v_xor_b32_e32 v7, 0x80000000, v7
	v_add_co_u32_e32 v0, vcc, v4, v0
	v_addc_co_u32_e32 v1, vcc, v5, v1, vcc
	global_store_dword v[0:1], v7, off
.LBB946_10:
	s_or_b64 exec, exec, s[2:3]
	v_cmp_le_i32_e32 vcc, v3, v2
	s_and_b64 s[0:1], vcc, s[0:1]
	s_and_saveexec_b64 s[2:3], s[0:1]
	s_cbranch_execz .LBB946_12
; %bb.11:
	v_ashrrev_i32_e32 v3, 31, v2
	v_lshlrev_b64 v[0:1], 2, v[2:3]
	v_xor_b32_e32 v6, 0x80000000, v6
	v_add_co_u32_e32 v0, vcc, v4, v0
	v_addc_co_u32_e32 v1, vcc, v5, v1, vcc
	global_store_dword v[0:1], v6, off
.LBB946_12:
	s_endpgm
	.section	.rodata,"a",@progbits
	.p2align	6, 0x0
	.amdhsa_kernel _ZL37rocblas_syrkx_herkx_restricted_kernelIlfLi16ELi32ELi8ELin1ELi0ELb0ELc78ELc76EKffEviT_PT9_S1_lS3_S1_lPT10_S1_li
		.amdhsa_group_segment_fixed_size 2048
		.amdhsa_private_segment_fixed_size 0
		.amdhsa_kernarg_size 92
		.amdhsa_user_sgpr_count 6
		.amdhsa_user_sgpr_private_segment_buffer 1
		.amdhsa_user_sgpr_dispatch_ptr 0
		.amdhsa_user_sgpr_queue_ptr 0
		.amdhsa_user_sgpr_kernarg_segment_ptr 1
		.amdhsa_user_sgpr_dispatch_id 0
		.amdhsa_user_sgpr_flat_scratch_init 0
		.amdhsa_user_sgpr_private_segment_size 0
		.amdhsa_uses_dynamic_stack 0
		.amdhsa_system_sgpr_private_segment_wavefront_offset 0
		.amdhsa_system_sgpr_workgroup_id_x 1
		.amdhsa_system_sgpr_workgroup_id_y 1
		.amdhsa_system_sgpr_workgroup_id_z 1
		.amdhsa_system_sgpr_workgroup_info 0
		.amdhsa_system_vgpr_workitem_id 1
		.amdhsa_next_free_vgpr 34
		.amdhsa_next_free_sgpr 29
		.amdhsa_reserve_vcc 1
		.amdhsa_reserve_flat_scratch 0
		.amdhsa_float_round_mode_32 0
		.amdhsa_float_round_mode_16_64 0
		.amdhsa_float_denorm_mode_32 3
		.amdhsa_float_denorm_mode_16_64 3
		.amdhsa_dx10_clamp 1
		.amdhsa_ieee_mode 1
		.amdhsa_fp16_overflow 0
		.amdhsa_exception_fp_ieee_invalid_op 0
		.amdhsa_exception_fp_denorm_src 0
		.amdhsa_exception_fp_ieee_div_zero 0
		.amdhsa_exception_fp_ieee_overflow 0
		.amdhsa_exception_fp_ieee_underflow 0
		.amdhsa_exception_fp_ieee_inexact 0
		.amdhsa_exception_int_div_zero 0
	.end_amdhsa_kernel
	.section	.text._ZL37rocblas_syrkx_herkx_restricted_kernelIlfLi16ELi32ELi8ELin1ELi0ELb0ELc78ELc76EKffEviT_PT9_S1_lS3_S1_lPT10_S1_li,"axG",@progbits,_ZL37rocblas_syrkx_herkx_restricted_kernelIlfLi16ELi32ELi8ELin1ELi0ELb0ELc78ELc76EKffEviT_PT9_S1_lS3_S1_lPT10_S1_li,comdat
.Lfunc_end946:
	.size	_ZL37rocblas_syrkx_herkx_restricted_kernelIlfLi16ELi32ELi8ELin1ELi0ELb0ELc78ELc76EKffEviT_PT9_S1_lS3_S1_lPT10_S1_li, .Lfunc_end946-_ZL37rocblas_syrkx_herkx_restricted_kernelIlfLi16ELi32ELi8ELin1ELi0ELb0ELc78ELc76EKffEviT_PT9_S1_lS3_S1_lPT10_S1_li
                                        ; -- End function
	.set _ZL37rocblas_syrkx_herkx_restricted_kernelIlfLi16ELi32ELi8ELin1ELi0ELb0ELc78ELc76EKffEviT_PT9_S1_lS3_S1_lPT10_S1_li.num_vgpr, 34
	.set _ZL37rocblas_syrkx_herkx_restricted_kernelIlfLi16ELi32ELi8ELin1ELi0ELb0ELc78ELc76EKffEviT_PT9_S1_lS3_S1_lPT10_S1_li.num_agpr, 0
	.set _ZL37rocblas_syrkx_herkx_restricted_kernelIlfLi16ELi32ELi8ELin1ELi0ELb0ELc78ELc76EKffEviT_PT9_S1_lS3_S1_lPT10_S1_li.numbered_sgpr, 29
	.set _ZL37rocblas_syrkx_herkx_restricted_kernelIlfLi16ELi32ELi8ELin1ELi0ELb0ELc78ELc76EKffEviT_PT9_S1_lS3_S1_lPT10_S1_li.num_named_barrier, 0
	.set _ZL37rocblas_syrkx_herkx_restricted_kernelIlfLi16ELi32ELi8ELin1ELi0ELb0ELc78ELc76EKffEviT_PT9_S1_lS3_S1_lPT10_S1_li.private_seg_size, 0
	.set _ZL37rocblas_syrkx_herkx_restricted_kernelIlfLi16ELi32ELi8ELin1ELi0ELb0ELc78ELc76EKffEviT_PT9_S1_lS3_S1_lPT10_S1_li.uses_vcc, 1
	.set _ZL37rocblas_syrkx_herkx_restricted_kernelIlfLi16ELi32ELi8ELin1ELi0ELb0ELc78ELc76EKffEviT_PT9_S1_lS3_S1_lPT10_S1_li.uses_flat_scratch, 0
	.set _ZL37rocblas_syrkx_herkx_restricted_kernelIlfLi16ELi32ELi8ELin1ELi0ELb0ELc78ELc76EKffEviT_PT9_S1_lS3_S1_lPT10_S1_li.has_dyn_sized_stack, 0
	.set _ZL37rocblas_syrkx_herkx_restricted_kernelIlfLi16ELi32ELi8ELin1ELi0ELb0ELc78ELc76EKffEviT_PT9_S1_lS3_S1_lPT10_S1_li.has_recursion, 0
	.set _ZL37rocblas_syrkx_herkx_restricted_kernelIlfLi16ELi32ELi8ELin1ELi0ELb0ELc78ELc76EKffEviT_PT9_S1_lS3_S1_lPT10_S1_li.has_indirect_call, 0
	.section	.AMDGPU.csdata,"",@progbits
; Kernel info:
; codeLenInByte = 1144
; TotalNumSgprs: 33
; NumVgprs: 34
; ScratchSize: 0
; MemoryBound: 0
; FloatMode: 240
; IeeeMode: 1
; LDSByteSize: 2048 bytes/workgroup (compile time only)
; SGPRBlocks: 4
; VGPRBlocks: 8
; NumSGPRsForWavesPerEU: 33
; NumVGPRsForWavesPerEU: 34
; Occupancy: 7
; WaveLimiterHint : 1
; COMPUTE_PGM_RSRC2:SCRATCH_EN: 0
; COMPUTE_PGM_RSRC2:USER_SGPR: 6
; COMPUTE_PGM_RSRC2:TRAP_HANDLER: 0
; COMPUTE_PGM_RSRC2:TGID_X_EN: 1
; COMPUTE_PGM_RSRC2:TGID_Y_EN: 1
; COMPUTE_PGM_RSRC2:TGID_Z_EN: 1
; COMPUTE_PGM_RSRC2:TIDIG_COMP_CNT: 1
	.section	.text._ZL37rocblas_syrkx_herkx_restricted_kernelIlfLi16ELi32ELi8ELin1ELi0ELb0ELc84ELc85EKffEviT_PT9_S1_lS3_S1_lPT10_S1_li,"axG",@progbits,_ZL37rocblas_syrkx_herkx_restricted_kernelIlfLi16ELi32ELi8ELin1ELi0ELb0ELc84ELc85EKffEviT_PT9_S1_lS3_S1_lPT10_S1_li,comdat
	.globl	_ZL37rocblas_syrkx_herkx_restricted_kernelIlfLi16ELi32ELi8ELin1ELi0ELb0ELc84ELc85EKffEviT_PT9_S1_lS3_S1_lPT10_S1_li ; -- Begin function _ZL37rocblas_syrkx_herkx_restricted_kernelIlfLi16ELi32ELi8ELin1ELi0ELb0ELc84ELc85EKffEviT_PT9_S1_lS3_S1_lPT10_S1_li
	.p2align	8
	.type	_ZL37rocblas_syrkx_herkx_restricted_kernelIlfLi16ELi32ELi8ELin1ELi0ELb0ELc84ELc85EKffEviT_PT9_S1_lS3_S1_lPT10_S1_li,@function
_ZL37rocblas_syrkx_herkx_restricted_kernelIlfLi16ELi32ELi8ELin1ELi0ELb0ELc84ELc85EKffEviT_PT9_S1_lS3_S1_lPT10_S1_li: ; @_ZL37rocblas_syrkx_herkx_restricted_kernelIlfLi16ELi32ELi8ELin1ELi0ELb0ELc84ELc85EKffEviT_PT9_S1_lS3_S1_lPT10_S1_li
; %bb.0:
	s_load_dwordx16 s[12:27], s[4:5], 0x8
	s_lshl_b32 s6, s6, 5
	s_lshl_b32 s7, s7, 5
	s_waitcnt lgkmcnt(0)
	v_cmp_lt_i64_e64 s[0:1], s[12:13], 1
	s_and_b64 vcc, exec, s[0:1]
	s_cbranch_vccnz .LBB947_3
; %bb.1:
	v_lshl_add_u32 v4, v1, 4, v0
	v_lshrrev_b32_e32 v8, 3, v4
	v_add_u32_e32 v5, s7, v8
	v_ashrrev_i32_e32 v6, 31, v5
	v_and_b32_e32 v2, 7, v0
	v_mov_b32_e32 v3, 0
	v_mul_lo_u32 v9, s22, v6
	v_mul_lo_u32 v10, s23, v5
	v_mad_u64_u32 v[6:7], s[0:1], s22, v5, v[2:3]
	v_lshlrev_b32_e32 v2, 2, v2
	v_lshl_or_b32 v2, v8, 5, v2
	v_add3_u32 v7, v10, v7, v9
	v_and_b32_e32 v9, 31, v4
	v_add_u32_e32 v11, 0x400, v2
	v_mov_b32_e32 v2, 0x400
	v_lshl_add_u32 v13, v1, 5, v2
	v_add_u32_e32 v2, s6, v9
	v_lshrrev_b32_e32 v4, 5, v4
	v_mov_b32_e32 v5, v3
	v_lshlrev_b32_e32 v10, 2, v9
	v_ashrrev_i32_e32 v8, 31, v2
	v_lshl_or_b32 v10, v4, 7, v10
	v_mul_lo_u32 v8, s16, v8
	v_mad_u64_u32 v[4:5], s[0:1], s16, v2, v[4:5]
	v_mul_lo_u32 v2, s17, v2
	s_mul_i32 s2, s19, s8
	s_mul_hi_u32 s3, s18, s8
	s_add_i32 s1, s3, s2
	s_mul_i32 s0, s18, s8
	s_lshl_b64 s[0:1], s[0:1], 2
	v_add3_u32 v5, v2, v5, v8
	v_lshlrev_b64 v[4:5], 2, v[4:5]
	s_add_u32 s0, s14, s0
	s_addc_u32 s1, s15, s1
	v_mov_b32_e32 v2, s1
	v_add_co_u32_e32 v4, vcc, s0, v4
	s_mul_i32 s0, s25, s8
	s_mul_hi_u32 s1, s24, s8
	s_add_i32 s1, s1, s0
	s_mul_i32 s0, s24, s8
	s_lshl_b64 s[0:1], s[0:1], 2
	v_lshlrev_b64 v[6:7], 2, v[6:7]
	s_add_u32 s0, s20, s0
	v_addc_co_u32_e32 v5, vcc, v2, v5, vcc
	s_addc_u32 s1, s21, s1
	v_mov_b32_e32 v2, s1
	v_add_co_u32_e32 v6, vcc, s0, v6
	v_lshlrev_b32_e32 v12, 2, v0
	v_addc_co_u32_e32 v7, vcc, v2, v7, vcc
	s_mov_b64 s[2:3], 0
	v_mov_b32_e32 v2, v3
	v_mov_b32_e32 v8, v3
	;; [unrolled: 1-line block ×3, first 2 shown]
.LBB947_2:                              ; =>This Inner Loop Header: Depth=1
	global_load_dword v14, v[4:5], off
	global_load_dword v15, v[6:7], off
	s_add_u32 s2, s2, 8
	s_addc_u32 s3, s3, 0
	v_add_co_u32_e64 v4, s[0:1], 32, v4
	v_addc_co_u32_e64 v5, s[0:1], 0, v5, s[0:1]
	v_add_co_u32_e64 v6, s[0:1], 32, v6
	v_addc_co_u32_e64 v7, s[0:1], 0, v7, s[0:1]
	s_waitcnt vmcnt(1)
	ds_write_b32 v10, v14
	s_waitcnt vmcnt(0)
	ds_write_b32 v11, v15
	s_waitcnt lgkmcnt(0)
	s_barrier
	ds_read2_b32 v[26:27], v12 offset1:16
	ds_read_b128 v[14:17], v13
	ds_read2_b32 v[28:29], v12 offset0:32 offset1:48
	ds_read2_b32 v[30:31], v12 offset0:64 offset1:80
	ds_read_b128 v[18:21], v13 offset:16
	ds_read2_b32 v[32:33], v12 offset0:96 offset1:112
	s_waitcnt lgkmcnt(4)
	v_fmac_f32_e32 v9, v26, v14
	v_fmac_f32_e32 v8, v27, v14
	s_waitcnt lgkmcnt(3)
	v_fmac_f32_e32 v9, v28, v15
	v_fmac_f32_e32 v8, v29, v15
	v_mov_b32_e32 v15, s3
	s_waitcnt lgkmcnt(2)
	v_fmac_f32_e32 v9, v30, v16
	v_fmac_f32_e32 v8, v31, v16
	v_mov_b32_e32 v14, s2
	s_waitcnt lgkmcnt(0)
	v_fmac_f32_e32 v9, v32, v17
	v_fmac_f32_e32 v8, v33, v17
	v_cmp_le_u64_e32 vcc, s[12:13], v[14:15]
	ds_read_b128 v[14:17], v13 offset:512
	ds_read_b128 v[22:25], v13 offset:528
	s_and_b64 vcc, exec, vcc
	s_waitcnt lgkmcnt(1)
	v_fmac_f32_e32 v2, v26, v14
	v_fmac_f32_e32 v3, v27, v14
	;; [unrolled: 1-line block ×8, first 2 shown]
	ds_read2_b32 v[14:15], v12 offset0:128 offset1:144
	ds_read2_b32 v[16:17], v12 offset0:160 offset1:176
	;; [unrolled: 1-line block ×3, first 2 shown]
	s_waitcnt lgkmcnt(2)
	v_fmac_f32_e32 v9, v14, v18
	v_fmac_f32_e32 v8, v15, v18
	;; [unrolled: 1-line block ×4, first 2 shown]
	ds_read2_b32 v[14:15], v12 offset0:224 offset1:240
	s_waitcnt lgkmcnt(2)
	v_fmac_f32_e32 v9, v16, v19
	v_fmac_f32_e32 v8, v17, v19
	v_fmac_f32_e32 v2, v16, v23
	v_fmac_f32_e32 v3, v17, v23
	s_waitcnt lgkmcnt(1)
	v_fmac_f32_e32 v9, v26, v20
	v_fmac_f32_e32 v8, v27, v20
	v_fmac_f32_e32 v2, v26, v24
	v_fmac_f32_e32 v3, v27, v24
	;; [unrolled: 5-line block ×3, first 2 shown]
	s_barrier
	s_cbranch_vccz .LBB947_2
	s_branch .LBB947_4
.LBB947_3:
	v_mov_b32_e32 v9, 0
	v_mov_b32_e32 v8, 0
	;; [unrolled: 1-line block ×4, first 2 shown]
.LBB947_4:
	s_load_dwordx4 s[12:15], s[4:5], 0x48
	s_load_dword s9, s[4:5], 0x0
	v_add_u32_e32 v6, s7, v1
	v_ashrrev_i32_e32 v1, 31, v6
	v_add_u32_e32 v0, s6, v0
	s_waitcnt lgkmcnt(0)
	s_mul_i32 s1, s15, s8
	s_mul_hi_u32 s2, s14, s8
	s_add_i32 s1, s2, s1
	v_mul_lo_u32 v1, s12, v1
	v_mul_lo_u32 v7, s13, v6
	v_mad_u64_u32 v[4:5], s[2:3], s12, v6, 0
	s_mul_i32 s0, s14, s8
	s_lshl_b64 s[0:1], s[0:1], 2
	v_add3_u32 v5, v5, v1, v7
	s_add_u32 s4, s26, s0
	v_lshlrev_b64 v[4:5], 2, v[4:5]
	s_addc_u32 s5, s27, s1
	v_mov_b32_e32 v1, s5
	v_add_co_u32_e64 v7, s[0:1], s4, v4
	v_addc_co_u32_e64 v10, s[0:1], v1, v5, s[0:1]
	v_cmp_gt_i32_e32 vcc, s9, v6
	v_cmp_le_i32_e64 s[0:1], v0, v6
	s_and_b64 s[0:1], vcc, s[0:1]
	s_and_saveexec_b64 s[2:3], s[0:1]
	s_cbranch_execz .LBB947_6
; %bb.5:
	v_ashrrev_i32_e32 v1, 31, v0
	v_lshlrev_b64 v[4:5], 2, v[0:1]
	v_xor_b32_e32 v9, 0x80000000, v9
	v_add_co_u32_e64 v4, s[0:1], v7, v4
	v_addc_co_u32_e64 v5, s[0:1], v10, v5, s[0:1]
	global_store_dword v[4:5], v9, off
.LBB947_6:
	s_or_b64 exec, exec, s[2:3]
	v_add_u32_e32 v4, 16, v0
	v_cmp_le_i32_e64 s[0:1], v4, v6
	s_and_b64 s[2:3], vcc, s[0:1]
	s_and_saveexec_b64 s[0:1], s[2:3]
	s_cbranch_execz .LBB947_8
; %bb.7:
	v_ashrrev_i32_e32 v5, 31, v4
	v_xor_b32_e32 v1, 0x80000000, v8
	v_lshlrev_b64 v[8:9], 2, v[4:5]
	v_add_co_u32_e32 v7, vcc, v7, v8
	v_addc_co_u32_e32 v8, vcc, v10, v9, vcc
	global_store_dword v[7:8], v1, off
.LBB947_8:
	s_or_b64 exec, exec, s[0:1]
	v_add_u32_e32 v5, 16, v6
	v_ashrrev_i32_e32 v1, 31, v5
	v_mul_lo_u32 v1, s12, v1
	v_mul_lo_u32 v8, s13, v5
	v_mad_u64_u32 v[6:7], s[0:1], s12, v5, 0
	v_cmp_gt_i32_e32 vcc, s9, v5
	v_add3_u32 v7, v7, v1, v8
	v_lshlrev_b64 v[6:7], 2, v[6:7]
	v_mov_b32_e32 v1, s5
	v_add_co_u32_e64 v6, s[0:1], s4, v6
	v_addc_co_u32_e64 v7, s[0:1], v1, v7, s[0:1]
	v_cmp_le_i32_e64 s[0:1], v0, v5
	s_and_b64 s[0:1], vcc, s[0:1]
	s_and_saveexec_b64 s[2:3], s[0:1]
	s_cbranch_execz .LBB947_10
; %bb.9:
	v_ashrrev_i32_e32 v1, 31, v0
	v_lshlrev_b64 v[0:1], 2, v[0:1]
	v_xor_b32_e32 v2, 0x80000000, v2
	v_add_co_u32_e64 v0, s[0:1], v6, v0
	v_addc_co_u32_e64 v1, s[0:1], v7, v1, s[0:1]
	global_store_dword v[0:1], v2, off
.LBB947_10:
	s_or_b64 exec, exec, s[2:3]
	v_cmp_le_i32_e64 s[0:1], v4, v5
	s_and_b64 s[0:1], vcc, s[0:1]
	s_and_saveexec_b64 s[2:3], s[0:1]
	s_cbranch_execz .LBB947_12
; %bb.11:
	v_ashrrev_i32_e32 v5, 31, v4
	v_lshlrev_b64 v[0:1], 2, v[4:5]
	v_xor_b32_e32 v2, 0x80000000, v3
	v_add_co_u32_e32 v0, vcc, v6, v0
	v_addc_co_u32_e32 v1, vcc, v7, v1, vcc
	global_store_dword v[0:1], v2, off
.LBB947_12:
	s_endpgm
	.section	.rodata,"a",@progbits
	.p2align	6, 0x0
	.amdhsa_kernel _ZL37rocblas_syrkx_herkx_restricted_kernelIlfLi16ELi32ELi8ELin1ELi0ELb0ELc84ELc85EKffEviT_PT9_S1_lS3_S1_lPT10_S1_li
		.amdhsa_group_segment_fixed_size 2048
		.amdhsa_private_segment_fixed_size 0
		.amdhsa_kernarg_size 92
		.amdhsa_user_sgpr_count 6
		.amdhsa_user_sgpr_private_segment_buffer 1
		.amdhsa_user_sgpr_dispatch_ptr 0
		.amdhsa_user_sgpr_queue_ptr 0
		.amdhsa_user_sgpr_kernarg_segment_ptr 1
		.amdhsa_user_sgpr_dispatch_id 0
		.amdhsa_user_sgpr_flat_scratch_init 0
		.amdhsa_user_sgpr_private_segment_size 0
		.amdhsa_uses_dynamic_stack 0
		.amdhsa_system_sgpr_private_segment_wavefront_offset 0
		.amdhsa_system_sgpr_workgroup_id_x 1
		.amdhsa_system_sgpr_workgroup_id_y 1
		.amdhsa_system_sgpr_workgroup_id_z 1
		.amdhsa_system_sgpr_workgroup_info 0
		.amdhsa_system_vgpr_workitem_id 1
		.amdhsa_next_free_vgpr 34
		.amdhsa_next_free_sgpr 28
		.amdhsa_reserve_vcc 1
		.amdhsa_reserve_flat_scratch 0
		.amdhsa_float_round_mode_32 0
		.amdhsa_float_round_mode_16_64 0
		.amdhsa_float_denorm_mode_32 3
		.amdhsa_float_denorm_mode_16_64 3
		.amdhsa_dx10_clamp 1
		.amdhsa_ieee_mode 1
		.amdhsa_fp16_overflow 0
		.amdhsa_exception_fp_ieee_invalid_op 0
		.amdhsa_exception_fp_denorm_src 0
		.amdhsa_exception_fp_ieee_div_zero 0
		.amdhsa_exception_fp_ieee_overflow 0
		.amdhsa_exception_fp_ieee_underflow 0
		.amdhsa_exception_fp_ieee_inexact 0
		.amdhsa_exception_int_div_zero 0
	.end_amdhsa_kernel
	.section	.text._ZL37rocblas_syrkx_herkx_restricted_kernelIlfLi16ELi32ELi8ELin1ELi0ELb0ELc84ELc85EKffEviT_PT9_S1_lS3_S1_lPT10_S1_li,"axG",@progbits,_ZL37rocblas_syrkx_herkx_restricted_kernelIlfLi16ELi32ELi8ELin1ELi0ELb0ELc84ELc85EKffEviT_PT9_S1_lS3_S1_lPT10_S1_li,comdat
.Lfunc_end947:
	.size	_ZL37rocblas_syrkx_herkx_restricted_kernelIlfLi16ELi32ELi8ELin1ELi0ELb0ELc84ELc85EKffEviT_PT9_S1_lS3_S1_lPT10_S1_li, .Lfunc_end947-_ZL37rocblas_syrkx_herkx_restricted_kernelIlfLi16ELi32ELi8ELin1ELi0ELb0ELc84ELc85EKffEviT_PT9_S1_lS3_S1_lPT10_S1_li
                                        ; -- End function
	.set _ZL37rocblas_syrkx_herkx_restricted_kernelIlfLi16ELi32ELi8ELin1ELi0ELb0ELc84ELc85EKffEviT_PT9_S1_lS3_S1_lPT10_S1_li.num_vgpr, 34
	.set _ZL37rocblas_syrkx_herkx_restricted_kernelIlfLi16ELi32ELi8ELin1ELi0ELb0ELc84ELc85EKffEviT_PT9_S1_lS3_S1_lPT10_S1_li.num_agpr, 0
	.set _ZL37rocblas_syrkx_herkx_restricted_kernelIlfLi16ELi32ELi8ELin1ELi0ELb0ELc84ELc85EKffEviT_PT9_S1_lS3_S1_lPT10_S1_li.numbered_sgpr, 28
	.set _ZL37rocblas_syrkx_herkx_restricted_kernelIlfLi16ELi32ELi8ELin1ELi0ELb0ELc84ELc85EKffEviT_PT9_S1_lS3_S1_lPT10_S1_li.num_named_barrier, 0
	.set _ZL37rocblas_syrkx_herkx_restricted_kernelIlfLi16ELi32ELi8ELin1ELi0ELb0ELc84ELc85EKffEviT_PT9_S1_lS3_S1_lPT10_S1_li.private_seg_size, 0
	.set _ZL37rocblas_syrkx_herkx_restricted_kernelIlfLi16ELi32ELi8ELin1ELi0ELb0ELc84ELc85EKffEviT_PT9_S1_lS3_S1_lPT10_S1_li.uses_vcc, 1
	.set _ZL37rocblas_syrkx_herkx_restricted_kernelIlfLi16ELi32ELi8ELin1ELi0ELb0ELc84ELc85EKffEviT_PT9_S1_lS3_S1_lPT10_S1_li.uses_flat_scratch, 0
	.set _ZL37rocblas_syrkx_herkx_restricted_kernelIlfLi16ELi32ELi8ELin1ELi0ELb0ELc84ELc85EKffEviT_PT9_S1_lS3_S1_lPT10_S1_li.has_dyn_sized_stack, 0
	.set _ZL37rocblas_syrkx_herkx_restricted_kernelIlfLi16ELi32ELi8ELin1ELi0ELb0ELc84ELc85EKffEviT_PT9_S1_lS3_S1_lPT10_S1_li.has_recursion, 0
	.set _ZL37rocblas_syrkx_herkx_restricted_kernelIlfLi16ELi32ELi8ELin1ELi0ELb0ELc84ELc85EKffEviT_PT9_S1_lS3_S1_lPT10_S1_li.has_indirect_call, 0
	.section	.AMDGPU.csdata,"",@progbits
; Kernel info:
; codeLenInByte = 1160
; TotalNumSgprs: 32
; NumVgprs: 34
; ScratchSize: 0
; MemoryBound: 0
; FloatMode: 240
; IeeeMode: 1
; LDSByteSize: 2048 bytes/workgroup (compile time only)
; SGPRBlocks: 3
; VGPRBlocks: 8
; NumSGPRsForWavesPerEU: 32
; NumVGPRsForWavesPerEU: 34
; Occupancy: 7
; WaveLimiterHint : 1
; COMPUTE_PGM_RSRC2:SCRATCH_EN: 0
; COMPUTE_PGM_RSRC2:USER_SGPR: 6
; COMPUTE_PGM_RSRC2:TRAP_HANDLER: 0
; COMPUTE_PGM_RSRC2:TGID_X_EN: 1
; COMPUTE_PGM_RSRC2:TGID_Y_EN: 1
; COMPUTE_PGM_RSRC2:TGID_Z_EN: 1
; COMPUTE_PGM_RSRC2:TIDIG_COMP_CNT: 1
	.section	.text._ZL37rocblas_syrkx_herkx_restricted_kernelIlfLi16ELi32ELi8ELin1ELi0ELb0ELc67ELc85EKffEviT_PT9_S1_lS3_S1_lPT10_S1_li,"axG",@progbits,_ZL37rocblas_syrkx_herkx_restricted_kernelIlfLi16ELi32ELi8ELin1ELi0ELb0ELc67ELc85EKffEviT_PT9_S1_lS3_S1_lPT10_S1_li,comdat
	.globl	_ZL37rocblas_syrkx_herkx_restricted_kernelIlfLi16ELi32ELi8ELin1ELi0ELb0ELc67ELc85EKffEviT_PT9_S1_lS3_S1_lPT10_S1_li ; -- Begin function _ZL37rocblas_syrkx_herkx_restricted_kernelIlfLi16ELi32ELi8ELin1ELi0ELb0ELc67ELc85EKffEviT_PT9_S1_lS3_S1_lPT10_S1_li
	.p2align	8
	.type	_ZL37rocblas_syrkx_herkx_restricted_kernelIlfLi16ELi32ELi8ELin1ELi0ELb0ELc67ELc85EKffEviT_PT9_S1_lS3_S1_lPT10_S1_li,@function
_ZL37rocblas_syrkx_herkx_restricted_kernelIlfLi16ELi32ELi8ELin1ELi0ELb0ELc67ELc85EKffEviT_PT9_S1_lS3_S1_lPT10_S1_li: ; @_ZL37rocblas_syrkx_herkx_restricted_kernelIlfLi16ELi32ELi8ELin1ELi0ELb0ELc67ELc85EKffEviT_PT9_S1_lS3_S1_lPT10_S1_li
; %bb.0:
	s_load_dwordx16 s[12:27], s[4:5], 0x8
	s_lshl_b32 s6, s6, 5
	s_lshl_b32 s7, s7, 5
	s_waitcnt lgkmcnt(0)
	v_cmp_lt_i64_e64 s[0:1], s[12:13], 1
	s_and_b64 vcc, exec, s[0:1]
	s_cbranch_vccnz .LBB948_3
; %bb.1:
	v_lshl_add_u32 v4, v1, 4, v0
	v_lshrrev_b32_e32 v8, 3, v4
	v_add_u32_e32 v5, s7, v8
	v_ashrrev_i32_e32 v6, 31, v5
	v_and_b32_e32 v2, 7, v0
	v_mov_b32_e32 v3, 0
	v_mul_lo_u32 v9, s22, v6
	v_mul_lo_u32 v10, s23, v5
	v_mad_u64_u32 v[6:7], s[0:1], s22, v5, v[2:3]
	v_lshlrev_b32_e32 v2, 2, v2
	v_lshl_or_b32 v2, v8, 5, v2
	v_add3_u32 v7, v10, v7, v9
	v_and_b32_e32 v9, 31, v4
	v_add_u32_e32 v11, 0x400, v2
	v_mov_b32_e32 v2, 0x400
	v_lshl_add_u32 v13, v1, 5, v2
	v_add_u32_e32 v2, s6, v9
	v_lshrrev_b32_e32 v4, 5, v4
	v_mov_b32_e32 v5, v3
	v_lshlrev_b32_e32 v10, 2, v9
	v_ashrrev_i32_e32 v8, 31, v2
	v_lshl_or_b32 v10, v4, 7, v10
	v_mul_lo_u32 v8, s16, v8
	v_mad_u64_u32 v[4:5], s[0:1], s16, v2, v[4:5]
	v_mul_lo_u32 v2, s17, v2
	s_mul_i32 s2, s19, s8
	s_mul_hi_u32 s3, s18, s8
	s_add_i32 s1, s3, s2
	s_mul_i32 s0, s18, s8
	s_lshl_b64 s[0:1], s[0:1], 2
	v_add3_u32 v5, v2, v5, v8
	v_lshlrev_b64 v[4:5], 2, v[4:5]
	s_add_u32 s0, s14, s0
	s_addc_u32 s1, s15, s1
	v_mov_b32_e32 v2, s1
	v_add_co_u32_e32 v4, vcc, s0, v4
	s_mul_i32 s0, s25, s8
	s_mul_hi_u32 s1, s24, s8
	s_add_i32 s1, s1, s0
	s_mul_i32 s0, s24, s8
	s_lshl_b64 s[0:1], s[0:1], 2
	v_lshlrev_b64 v[6:7], 2, v[6:7]
	s_add_u32 s0, s20, s0
	v_addc_co_u32_e32 v5, vcc, v2, v5, vcc
	s_addc_u32 s1, s21, s1
	v_mov_b32_e32 v2, s1
	v_add_co_u32_e32 v6, vcc, s0, v6
	v_lshlrev_b32_e32 v12, 2, v0
	v_addc_co_u32_e32 v7, vcc, v2, v7, vcc
	s_mov_b64 s[2:3], 0
	v_mov_b32_e32 v2, v3
	v_mov_b32_e32 v8, v3
	;; [unrolled: 1-line block ×3, first 2 shown]
.LBB948_2:                              ; =>This Inner Loop Header: Depth=1
	global_load_dword v14, v[4:5], off
	global_load_dword v15, v[6:7], off
	s_add_u32 s2, s2, 8
	s_addc_u32 s3, s3, 0
	v_add_co_u32_e64 v4, s[0:1], 32, v4
	v_addc_co_u32_e64 v5, s[0:1], 0, v5, s[0:1]
	v_add_co_u32_e64 v6, s[0:1], 32, v6
	v_addc_co_u32_e64 v7, s[0:1], 0, v7, s[0:1]
	s_waitcnt vmcnt(1)
	ds_write_b32 v10, v14
	s_waitcnt vmcnt(0)
	ds_write_b32 v11, v15
	s_waitcnt lgkmcnt(0)
	s_barrier
	ds_read2_b32 v[26:27], v12 offset1:16
	ds_read_b128 v[14:17], v13
	ds_read2_b32 v[28:29], v12 offset0:32 offset1:48
	ds_read2_b32 v[30:31], v12 offset0:64 offset1:80
	ds_read_b128 v[18:21], v13 offset:16
	ds_read2_b32 v[32:33], v12 offset0:96 offset1:112
	s_waitcnt lgkmcnt(4)
	v_fmac_f32_e32 v9, v26, v14
	v_fmac_f32_e32 v8, v27, v14
	s_waitcnt lgkmcnt(3)
	v_fmac_f32_e32 v9, v28, v15
	v_fmac_f32_e32 v8, v29, v15
	v_mov_b32_e32 v15, s3
	s_waitcnt lgkmcnt(2)
	v_fmac_f32_e32 v9, v30, v16
	v_fmac_f32_e32 v8, v31, v16
	v_mov_b32_e32 v14, s2
	s_waitcnt lgkmcnt(0)
	v_fmac_f32_e32 v9, v32, v17
	v_fmac_f32_e32 v8, v33, v17
	v_cmp_le_u64_e32 vcc, s[12:13], v[14:15]
	ds_read_b128 v[14:17], v13 offset:512
	ds_read_b128 v[22:25], v13 offset:528
	s_and_b64 vcc, exec, vcc
	s_waitcnt lgkmcnt(1)
	v_fmac_f32_e32 v2, v26, v14
	v_fmac_f32_e32 v3, v27, v14
	;; [unrolled: 1-line block ×8, first 2 shown]
	ds_read2_b32 v[14:15], v12 offset0:128 offset1:144
	ds_read2_b32 v[16:17], v12 offset0:160 offset1:176
	;; [unrolled: 1-line block ×3, first 2 shown]
	s_waitcnt lgkmcnt(2)
	v_fmac_f32_e32 v9, v14, v18
	v_fmac_f32_e32 v8, v15, v18
	;; [unrolled: 1-line block ×4, first 2 shown]
	ds_read2_b32 v[14:15], v12 offset0:224 offset1:240
	s_waitcnt lgkmcnt(2)
	v_fmac_f32_e32 v9, v16, v19
	v_fmac_f32_e32 v8, v17, v19
	v_fmac_f32_e32 v2, v16, v23
	v_fmac_f32_e32 v3, v17, v23
	s_waitcnt lgkmcnt(1)
	v_fmac_f32_e32 v9, v26, v20
	v_fmac_f32_e32 v8, v27, v20
	v_fmac_f32_e32 v2, v26, v24
	v_fmac_f32_e32 v3, v27, v24
	;; [unrolled: 5-line block ×3, first 2 shown]
	s_barrier
	s_cbranch_vccz .LBB948_2
	s_branch .LBB948_4
.LBB948_3:
	v_mov_b32_e32 v9, 0
	v_mov_b32_e32 v8, 0
	;; [unrolled: 1-line block ×4, first 2 shown]
.LBB948_4:
	s_load_dwordx4 s[12:15], s[4:5], 0x48
	s_load_dword s9, s[4:5], 0x0
	v_add_u32_e32 v6, s7, v1
	v_ashrrev_i32_e32 v1, 31, v6
	v_add_u32_e32 v0, s6, v0
	s_waitcnt lgkmcnt(0)
	s_mul_i32 s1, s15, s8
	s_mul_hi_u32 s2, s14, s8
	s_add_i32 s1, s2, s1
	v_mul_lo_u32 v1, s12, v1
	v_mul_lo_u32 v7, s13, v6
	v_mad_u64_u32 v[4:5], s[2:3], s12, v6, 0
	s_mul_i32 s0, s14, s8
	s_lshl_b64 s[0:1], s[0:1], 2
	v_add3_u32 v5, v5, v1, v7
	s_add_u32 s4, s26, s0
	v_lshlrev_b64 v[4:5], 2, v[4:5]
	s_addc_u32 s5, s27, s1
	v_mov_b32_e32 v1, s5
	v_add_co_u32_e64 v7, s[0:1], s4, v4
	v_addc_co_u32_e64 v10, s[0:1], v1, v5, s[0:1]
	v_cmp_gt_i32_e32 vcc, s9, v6
	v_cmp_le_i32_e64 s[0:1], v0, v6
	s_and_b64 s[0:1], vcc, s[0:1]
	s_and_saveexec_b64 s[2:3], s[0:1]
	s_cbranch_execz .LBB948_6
; %bb.5:
	v_ashrrev_i32_e32 v1, 31, v0
	v_lshlrev_b64 v[4:5], 2, v[0:1]
	v_xor_b32_e32 v9, 0x80000000, v9
	v_add_co_u32_e64 v4, s[0:1], v7, v4
	v_addc_co_u32_e64 v5, s[0:1], v10, v5, s[0:1]
	global_store_dword v[4:5], v9, off
.LBB948_6:
	s_or_b64 exec, exec, s[2:3]
	v_add_u32_e32 v4, 16, v0
	v_cmp_le_i32_e64 s[0:1], v4, v6
	s_and_b64 s[2:3], vcc, s[0:1]
	s_and_saveexec_b64 s[0:1], s[2:3]
	s_cbranch_execz .LBB948_8
; %bb.7:
	v_ashrrev_i32_e32 v5, 31, v4
	v_xor_b32_e32 v1, 0x80000000, v8
	v_lshlrev_b64 v[8:9], 2, v[4:5]
	v_add_co_u32_e32 v7, vcc, v7, v8
	v_addc_co_u32_e32 v8, vcc, v10, v9, vcc
	global_store_dword v[7:8], v1, off
.LBB948_8:
	s_or_b64 exec, exec, s[0:1]
	v_add_u32_e32 v5, 16, v6
	v_ashrrev_i32_e32 v1, 31, v5
	v_mul_lo_u32 v1, s12, v1
	v_mul_lo_u32 v8, s13, v5
	v_mad_u64_u32 v[6:7], s[0:1], s12, v5, 0
	v_cmp_gt_i32_e32 vcc, s9, v5
	v_add3_u32 v7, v7, v1, v8
	v_lshlrev_b64 v[6:7], 2, v[6:7]
	v_mov_b32_e32 v1, s5
	v_add_co_u32_e64 v6, s[0:1], s4, v6
	v_addc_co_u32_e64 v7, s[0:1], v1, v7, s[0:1]
	v_cmp_le_i32_e64 s[0:1], v0, v5
	s_and_b64 s[0:1], vcc, s[0:1]
	s_and_saveexec_b64 s[2:3], s[0:1]
	s_cbranch_execz .LBB948_10
; %bb.9:
	v_ashrrev_i32_e32 v1, 31, v0
	v_lshlrev_b64 v[0:1], 2, v[0:1]
	v_xor_b32_e32 v2, 0x80000000, v2
	v_add_co_u32_e64 v0, s[0:1], v6, v0
	v_addc_co_u32_e64 v1, s[0:1], v7, v1, s[0:1]
	global_store_dword v[0:1], v2, off
.LBB948_10:
	s_or_b64 exec, exec, s[2:3]
	v_cmp_le_i32_e64 s[0:1], v4, v5
	s_and_b64 s[0:1], vcc, s[0:1]
	s_and_saveexec_b64 s[2:3], s[0:1]
	s_cbranch_execz .LBB948_12
; %bb.11:
	v_ashrrev_i32_e32 v5, 31, v4
	v_lshlrev_b64 v[0:1], 2, v[4:5]
	v_xor_b32_e32 v2, 0x80000000, v3
	v_add_co_u32_e32 v0, vcc, v6, v0
	v_addc_co_u32_e32 v1, vcc, v7, v1, vcc
	global_store_dword v[0:1], v2, off
.LBB948_12:
	s_endpgm
	.section	.rodata,"a",@progbits
	.p2align	6, 0x0
	.amdhsa_kernel _ZL37rocblas_syrkx_herkx_restricted_kernelIlfLi16ELi32ELi8ELin1ELi0ELb0ELc67ELc85EKffEviT_PT9_S1_lS3_S1_lPT10_S1_li
		.amdhsa_group_segment_fixed_size 2048
		.amdhsa_private_segment_fixed_size 0
		.amdhsa_kernarg_size 92
		.amdhsa_user_sgpr_count 6
		.amdhsa_user_sgpr_private_segment_buffer 1
		.amdhsa_user_sgpr_dispatch_ptr 0
		.amdhsa_user_sgpr_queue_ptr 0
		.amdhsa_user_sgpr_kernarg_segment_ptr 1
		.amdhsa_user_sgpr_dispatch_id 0
		.amdhsa_user_sgpr_flat_scratch_init 0
		.amdhsa_user_sgpr_private_segment_size 0
		.amdhsa_uses_dynamic_stack 0
		.amdhsa_system_sgpr_private_segment_wavefront_offset 0
		.amdhsa_system_sgpr_workgroup_id_x 1
		.amdhsa_system_sgpr_workgroup_id_y 1
		.amdhsa_system_sgpr_workgroup_id_z 1
		.amdhsa_system_sgpr_workgroup_info 0
		.amdhsa_system_vgpr_workitem_id 1
		.amdhsa_next_free_vgpr 34
		.amdhsa_next_free_sgpr 28
		.amdhsa_reserve_vcc 1
		.amdhsa_reserve_flat_scratch 0
		.amdhsa_float_round_mode_32 0
		.amdhsa_float_round_mode_16_64 0
		.amdhsa_float_denorm_mode_32 3
		.amdhsa_float_denorm_mode_16_64 3
		.amdhsa_dx10_clamp 1
		.amdhsa_ieee_mode 1
		.amdhsa_fp16_overflow 0
		.amdhsa_exception_fp_ieee_invalid_op 0
		.amdhsa_exception_fp_denorm_src 0
		.amdhsa_exception_fp_ieee_div_zero 0
		.amdhsa_exception_fp_ieee_overflow 0
		.amdhsa_exception_fp_ieee_underflow 0
		.amdhsa_exception_fp_ieee_inexact 0
		.amdhsa_exception_int_div_zero 0
	.end_amdhsa_kernel
	.section	.text._ZL37rocblas_syrkx_herkx_restricted_kernelIlfLi16ELi32ELi8ELin1ELi0ELb0ELc67ELc85EKffEviT_PT9_S1_lS3_S1_lPT10_S1_li,"axG",@progbits,_ZL37rocblas_syrkx_herkx_restricted_kernelIlfLi16ELi32ELi8ELin1ELi0ELb0ELc67ELc85EKffEviT_PT9_S1_lS3_S1_lPT10_S1_li,comdat
.Lfunc_end948:
	.size	_ZL37rocblas_syrkx_herkx_restricted_kernelIlfLi16ELi32ELi8ELin1ELi0ELb0ELc67ELc85EKffEviT_PT9_S1_lS3_S1_lPT10_S1_li, .Lfunc_end948-_ZL37rocblas_syrkx_herkx_restricted_kernelIlfLi16ELi32ELi8ELin1ELi0ELb0ELc67ELc85EKffEviT_PT9_S1_lS3_S1_lPT10_S1_li
                                        ; -- End function
	.set _ZL37rocblas_syrkx_herkx_restricted_kernelIlfLi16ELi32ELi8ELin1ELi0ELb0ELc67ELc85EKffEviT_PT9_S1_lS3_S1_lPT10_S1_li.num_vgpr, 34
	.set _ZL37rocblas_syrkx_herkx_restricted_kernelIlfLi16ELi32ELi8ELin1ELi0ELb0ELc67ELc85EKffEviT_PT9_S1_lS3_S1_lPT10_S1_li.num_agpr, 0
	.set _ZL37rocblas_syrkx_herkx_restricted_kernelIlfLi16ELi32ELi8ELin1ELi0ELb0ELc67ELc85EKffEviT_PT9_S1_lS3_S1_lPT10_S1_li.numbered_sgpr, 28
	.set _ZL37rocblas_syrkx_herkx_restricted_kernelIlfLi16ELi32ELi8ELin1ELi0ELb0ELc67ELc85EKffEviT_PT9_S1_lS3_S1_lPT10_S1_li.num_named_barrier, 0
	.set _ZL37rocblas_syrkx_herkx_restricted_kernelIlfLi16ELi32ELi8ELin1ELi0ELb0ELc67ELc85EKffEviT_PT9_S1_lS3_S1_lPT10_S1_li.private_seg_size, 0
	.set _ZL37rocblas_syrkx_herkx_restricted_kernelIlfLi16ELi32ELi8ELin1ELi0ELb0ELc67ELc85EKffEviT_PT9_S1_lS3_S1_lPT10_S1_li.uses_vcc, 1
	.set _ZL37rocblas_syrkx_herkx_restricted_kernelIlfLi16ELi32ELi8ELin1ELi0ELb0ELc67ELc85EKffEviT_PT9_S1_lS3_S1_lPT10_S1_li.uses_flat_scratch, 0
	.set _ZL37rocblas_syrkx_herkx_restricted_kernelIlfLi16ELi32ELi8ELin1ELi0ELb0ELc67ELc85EKffEviT_PT9_S1_lS3_S1_lPT10_S1_li.has_dyn_sized_stack, 0
	.set _ZL37rocblas_syrkx_herkx_restricted_kernelIlfLi16ELi32ELi8ELin1ELi0ELb0ELc67ELc85EKffEviT_PT9_S1_lS3_S1_lPT10_S1_li.has_recursion, 0
	.set _ZL37rocblas_syrkx_herkx_restricted_kernelIlfLi16ELi32ELi8ELin1ELi0ELb0ELc67ELc85EKffEviT_PT9_S1_lS3_S1_lPT10_S1_li.has_indirect_call, 0
	.section	.AMDGPU.csdata,"",@progbits
; Kernel info:
; codeLenInByte = 1160
; TotalNumSgprs: 32
; NumVgprs: 34
; ScratchSize: 0
; MemoryBound: 0
; FloatMode: 240
; IeeeMode: 1
; LDSByteSize: 2048 bytes/workgroup (compile time only)
; SGPRBlocks: 3
; VGPRBlocks: 8
; NumSGPRsForWavesPerEU: 32
; NumVGPRsForWavesPerEU: 34
; Occupancy: 7
; WaveLimiterHint : 1
; COMPUTE_PGM_RSRC2:SCRATCH_EN: 0
; COMPUTE_PGM_RSRC2:USER_SGPR: 6
; COMPUTE_PGM_RSRC2:TRAP_HANDLER: 0
; COMPUTE_PGM_RSRC2:TGID_X_EN: 1
; COMPUTE_PGM_RSRC2:TGID_Y_EN: 1
; COMPUTE_PGM_RSRC2:TGID_Z_EN: 1
; COMPUTE_PGM_RSRC2:TIDIG_COMP_CNT: 1
	.section	.text._ZL37rocblas_syrkx_herkx_restricted_kernelIlfLi16ELi32ELi8ELin1ELi0ELb0ELc78ELc85EKffEviT_PT9_S1_lS3_S1_lPT10_S1_li,"axG",@progbits,_ZL37rocblas_syrkx_herkx_restricted_kernelIlfLi16ELi32ELi8ELin1ELi0ELb0ELc78ELc85EKffEviT_PT9_S1_lS3_S1_lPT10_S1_li,comdat
	.globl	_ZL37rocblas_syrkx_herkx_restricted_kernelIlfLi16ELi32ELi8ELin1ELi0ELb0ELc78ELc85EKffEviT_PT9_S1_lS3_S1_lPT10_S1_li ; -- Begin function _ZL37rocblas_syrkx_herkx_restricted_kernelIlfLi16ELi32ELi8ELin1ELi0ELb0ELc78ELc85EKffEviT_PT9_S1_lS3_S1_lPT10_S1_li
	.p2align	8
	.type	_ZL37rocblas_syrkx_herkx_restricted_kernelIlfLi16ELi32ELi8ELin1ELi0ELb0ELc78ELc85EKffEviT_PT9_S1_lS3_S1_lPT10_S1_li,@function
_ZL37rocblas_syrkx_herkx_restricted_kernelIlfLi16ELi32ELi8ELin1ELi0ELb0ELc78ELc85EKffEviT_PT9_S1_lS3_S1_lPT10_S1_li: ; @_ZL37rocblas_syrkx_herkx_restricted_kernelIlfLi16ELi32ELi8ELin1ELi0ELb0ELc78ELc85EKffEviT_PT9_S1_lS3_S1_lPT10_S1_li
; %bb.0:
	s_load_dwordx16 s[12:27], s[4:5], 0x8
	s_lshl_b32 s9, s6, 5
	s_lshl_b32 s28, s7, 5
	s_waitcnt lgkmcnt(0)
	v_cmp_lt_i64_e64 s[0:1], s[12:13], 1
	s_and_b64 vcc, exec, s[0:1]
	s_cbranch_vccnz .LBB949_3
; %bb.1:
	v_lshl_add_u32 v7, v1, 4, v0
	v_lshrrev_b32_e32 v8, 3, v7
	v_add_u32_e32 v2, s28, v8
	v_and_b32_e32 v6, 7, v0
	v_ashrrev_i32_e32 v3, 31, v2
	v_mad_u64_u32 v[4:5], s[0:1], s22, v6, v[2:3]
	v_lshrrev_b32_e32 v10, 5, v7
	s_mul_i32 s2, s19, s8
	v_mov_b32_e32 v2, v5
	v_mad_u64_u32 v[2:3], s[0:1], s23, v6, v[2:3]
	v_and_b32_e32 v3, 31, v7
	v_lshlrev_b32_e32 v7, 2, v3
	v_mov_b32_e32 v5, v2
	v_lshlrev_b32_e32 v2, 2, v6
	v_lshl_or_b32 v2, v8, 5, v2
	v_add_u32_e32 v11, 0x400, v2
	v_add_u32_e32 v2, s9, v3
	v_ashrrev_i32_e32 v3, 31, v2
	v_mad_u64_u32 v[2:3], s[0:1], s16, v10, v[2:3]
	v_mov_b32_e32 v6, 0x400
	v_lshl_or_b32 v9, v10, 7, v7
	v_lshl_add_u32 v13, v1, 5, v6
	v_mad_u64_u32 v[6:7], s[0:1], s17, v10, v[3:4]
	s_mul_hi_u32 s3, s18, s8
	s_add_i32 s1, s3, s2
	s_mul_i32 s0, s18, s8
	s_lshl_b64 s[0:1], s[0:1], 2
	v_mov_b32_e32 v3, v6
	v_lshlrev_b64 v[2:3], 2, v[2:3]
	s_add_u32 s0, s14, s0
	s_addc_u32 s1, s15, s1
	v_mov_b32_e32 v6, s1
	v_add_co_u32_e32 v2, vcc, s0, v2
	s_mul_i32 s0, s25, s8
	s_mul_hi_u32 s1, s24, s8
	s_add_i32 s1, s1, s0
	s_mul_i32 s0, s24, s8
	s_lshl_b64 s[2:3], s[16:17], 5
	s_lshl_b64 s[0:1], s[0:1], 2
	v_lshlrev_b64 v[4:5], 2, v[4:5]
	s_add_u32 s0, s20, s0
	v_addc_co_u32_e32 v3, vcc, v6, v3, vcc
	s_addc_u32 s1, s21, s1
	v_mov_b32_e32 v6, s1
	v_add_co_u32_e32 v4, vcc, s0, v4
	v_lshlrev_b32_e32 v12, 2, v0
	v_addc_co_u32_e32 v5, vcc, v6, v5, vcc
	s_lshl_b64 s[6:7], s[22:23], 5
	v_mov_b32_e32 v6, 0
	s_mov_b64 s[10:11], 0
	v_mov_b32_e32 v7, 0
	v_mov_b32_e32 v8, 0
	;; [unrolled: 1-line block ×3, first 2 shown]
.LBB949_2:                              ; =>This Inner Loop Header: Depth=1
	global_load_dword v16, v[2:3], off
	global_load_dword v17, v[4:5], off
	s_add_u32 s10, s10, 8
	s_addc_u32 s11, s11, 0
	v_mov_b32_e32 v15, s11
	v_mov_b32_e32 v14, s10
	v_cmp_le_u64_e32 vcc, s[12:13], v[14:15]
	v_add_co_u32_e64 v2, s[0:1], s2, v2
	s_and_b64 vcc, exec, vcc
	s_waitcnt vmcnt(1)
	ds_write_b32 v9, v16
	s_waitcnt vmcnt(0)
	ds_write_b32 v11, v17
	s_waitcnt lgkmcnt(0)
	s_barrier
	ds_read2_b32 v[26:27], v12 offset1:16
	ds_read_b128 v[14:17], v13
	ds_read2_b32 v[28:29], v12 offset0:32 offset1:48
	ds_read2_b32 v[30:31], v12 offset0:64 offset1:80
	;; [unrolled: 1-line block ×3, first 2 shown]
	ds_read_b128 v[18:21], v13 offset:16
	s_waitcnt lgkmcnt(4)
	v_fmac_f32_e32 v10, v26, v14
	v_fmac_f32_e32 v8, v27, v14
	s_waitcnt lgkmcnt(3)
	v_fmac_f32_e32 v10, v28, v15
	v_fmac_f32_e32 v8, v29, v15
	;; [unrolled: 3-line block ×4, first 2 shown]
	ds_read_b128 v[14:17], v13 offset:512
	ds_read_b128 v[22:25], v13 offset:528
	s_waitcnt lgkmcnt(1)
	v_fmac_f32_e32 v7, v26, v14
	v_fmac_f32_e32 v6, v27, v14
	v_mov_b32_e32 v14, s3
	v_addc_co_u32_e64 v3, s[0:1], v3, v14, s[0:1]
	v_mov_b32_e32 v14, s7
	v_add_co_u32_e64 v4, s[0:1], s6, v4
	v_fmac_f32_e32 v7, v28, v15
	v_fmac_f32_e32 v6, v29, v15
	v_addc_co_u32_e64 v5, s[0:1], v5, v14, s[0:1]
	ds_read2_b32 v[14:15], v12 offset0:128 offset1:144
	v_fmac_f32_e32 v7, v30, v16
	v_fmac_f32_e32 v6, v31, v16
	;; [unrolled: 1-line block ×4, first 2 shown]
	ds_read2_b32 v[16:17], v12 offset0:160 offset1:176
	ds_read2_b32 v[26:27], v12 offset0:192 offset1:208
	;; [unrolled: 1-line block ×3, first 2 shown]
	s_waitcnt lgkmcnt(3)
	v_fmac_f32_e32 v10, v14, v18
	v_fmac_f32_e32 v8, v15, v18
	v_fmac_f32_e32 v7, v14, v22
	v_fmac_f32_e32 v6, v15, v22
	s_waitcnt lgkmcnt(2)
	v_fmac_f32_e32 v10, v16, v19
	v_fmac_f32_e32 v8, v17, v19
	v_fmac_f32_e32 v7, v16, v23
	v_fmac_f32_e32 v6, v17, v23
	;; [unrolled: 5-line block ×4, first 2 shown]
	s_barrier
	s_cbranch_vccz .LBB949_2
	s_branch .LBB949_4
.LBB949_3:
	v_mov_b32_e32 v10, 0
	v_mov_b32_e32 v8, 0
	;; [unrolled: 1-line block ×4, first 2 shown]
.LBB949_4:
	s_load_dwordx4 s[12:15], s[4:5], 0x48
	s_load_dword s6, s[4:5], 0x0
	v_add_u32_e32 v4, s28, v1
	v_ashrrev_i32_e32 v1, 31, v4
	v_add_u32_e32 v0, s9, v0
	s_waitcnt lgkmcnt(0)
	s_mul_i32 s1, s15, s8
	s_mul_hi_u32 s2, s14, s8
	s_add_i32 s1, s2, s1
	v_mul_lo_u32 v3, s12, v1
	v_mul_lo_u32 v5, s13, v4
	v_mad_u64_u32 v[1:2], s[2:3], s12, v4, 0
	s_mul_i32 s0, s14, s8
	s_lshl_b64 s[0:1], s[0:1], 2
	v_add3_u32 v2, v2, v3, v5
	s_add_u32 s4, s26, s0
	v_lshlrev_b64 v[1:2], 2, v[1:2]
	s_addc_u32 s5, s27, s1
	v_mov_b32_e32 v3, s5
	v_add_co_u32_e64 v5, s[0:1], s4, v1
	v_addc_co_u32_e64 v9, s[0:1], v3, v2, s[0:1]
	v_cmp_gt_i32_e32 vcc, s6, v4
	v_cmp_le_i32_e64 s[0:1], v0, v4
	s_and_b64 s[0:1], vcc, s[0:1]
	s_and_saveexec_b64 s[2:3], s[0:1]
	s_cbranch_execz .LBB949_6
; %bb.5:
	v_ashrrev_i32_e32 v1, 31, v0
	v_lshlrev_b64 v[1:2], 2, v[0:1]
	v_xor_b32_e32 v3, 0x80000000, v10
	v_add_co_u32_e64 v1, s[0:1], v5, v1
	v_addc_co_u32_e64 v2, s[0:1], v9, v2, s[0:1]
	global_store_dword v[1:2], v3, off
.LBB949_6:
	s_or_b64 exec, exec, s[2:3]
	v_add_u32_e32 v2, 16, v0
	v_cmp_le_i32_e64 s[0:1], v2, v4
	s_and_b64 s[2:3], vcc, s[0:1]
	s_and_saveexec_b64 s[0:1], s[2:3]
	s_cbranch_execz .LBB949_8
; %bb.7:
	v_ashrrev_i32_e32 v3, 31, v2
	v_lshlrev_b64 v[10:11], 2, v[2:3]
	v_xor_b32_e32 v1, 0x80000000, v8
	v_add_co_u32_e32 v8, vcc, v5, v10
	v_addc_co_u32_e32 v9, vcc, v9, v11, vcc
	global_store_dword v[8:9], v1, off
.LBB949_8:
	s_or_b64 exec, exec, s[0:1]
	v_add_u32_e32 v3, 16, v4
	v_ashrrev_i32_e32 v1, 31, v3
	v_mul_lo_u32 v1, s12, v1
	v_mul_lo_u32 v8, s13, v3
	v_mad_u64_u32 v[4:5], s[0:1], s12, v3, 0
	v_cmp_gt_i32_e32 vcc, s6, v3
	v_add3_u32 v5, v5, v1, v8
	v_lshlrev_b64 v[4:5], 2, v[4:5]
	v_mov_b32_e32 v1, s5
	v_add_co_u32_e64 v4, s[0:1], s4, v4
	v_addc_co_u32_e64 v5, s[0:1], v1, v5, s[0:1]
	v_cmp_le_i32_e64 s[0:1], v0, v3
	s_and_b64 s[0:1], vcc, s[0:1]
	s_and_saveexec_b64 s[2:3], s[0:1]
	s_cbranch_execz .LBB949_10
; %bb.9:
	v_ashrrev_i32_e32 v1, 31, v0
	v_lshlrev_b64 v[0:1], 2, v[0:1]
	v_xor_b32_e32 v7, 0x80000000, v7
	v_add_co_u32_e64 v0, s[0:1], v4, v0
	v_addc_co_u32_e64 v1, s[0:1], v5, v1, s[0:1]
	global_store_dword v[0:1], v7, off
.LBB949_10:
	s_or_b64 exec, exec, s[2:3]
	v_cmp_le_i32_e64 s[0:1], v2, v3
	s_and_b64 s[0:1], vcc, s[0:1]
	s_and_saveexec_b64 s[2:3], s[0:1]
	s_cbranch_execz .LBB949_12
; %bb.11:
	v_ashrrev_i32_e32 v3, 31, v2
	v_lshlrev_b64 v[0:1], 2, v[2:3]
	v_xor_b32_e32 v6, 0x80000000, v6
	v_add_co_u32_e32 v0, vcc, v4, v0
	v_addc_co_u32_e32 v1, vcc, v5, v1, vcc
	global_store_dword v[0:1], v6, off
.LBB949_12:
	s_endpgm
	.section	.rodata,"a",@progbits
	.p2align	6, 0x0
	.amdhsa_kernel _ZL37rocblas_syrkx_herkx_restricted_kernelIlfLi16ELi32ELi8ELin1ELi0ELb0ELc78ELc85EKffEviT_PT9_S1_lS3_S1_lPT10_S1_li
		.amdhsa_group_segment_fixed_size 2048
		.amdhsa_private_segment_fixed_size 0
		.amdhsa_kernarg_size 92
		.amdhsa_user_sgpr_count 6
		.amdhsa_user_sgpr_private_segment_buffer 1
		.amdhsa_user_sgpr_dispatch_ptr 0
		.amdhsa_user_sgpr_queue_ptr 0
		.amdhsa_user_sgpr_kernarg_segment_ptr 1
		.amdhsa_user_sgpr_dispatch_id 0
		.amdhsa_user_sgpr_flat_scratch_init 0
		.amdhsa_user_sgpr_private_segment_size 0
		.amdhsa_uses_dynamic_stack 0
		.amdhsa_system_sgpr_private_segment_wavefront_offset 0
		.amdhsa_system_sgpr_workgroup_id_x 1
		.amdhsa_system_sgpr_workgroup_id_y 1
		.amdhsa_system_sgpr_workgroup_id_z 1
		.amdhsa_system_sgpr_workgroup_info 0
		.amdhsa_system_vgpr_workitem_id 1
		.amdhsa_next_free_vgpr 34
		.amdhsa_next_free_sgpr 29
		.amdhsa_reserve_vcc 1
		.amdhsa_reserve_flat_scratch 0
		.amdhsa_float_round_mode_32 0
		.amdhsa_float_round_mode_16_64 0
		.amdhsa_float_denorm_mode_32 3
		.amdhsa_float_denorm_mode_16_64 3
		.amdhsa_dx10_clamp 1
		.amdhsa_ieee_mode 1
		.amdhsa_fp16_overflow 0
		.amdhsa_exception_fp_ieee_invalid_op 0
		.amdhsa_exception_fp_denorm_src 0
		.amdhsa_exception_fp_ieee_div_zero 0
		.amdhsa_exception_fp_ieee_overflow 0
		.amdhsa_exception_fp_ieee_underflow 0
		.amdhsa_exception_fp_ieee_inexact 0
		.amdhsa_exception_int_div_zero 0
	.end_amdhsa_kernel
	.section	.text._ZL37rocblas_syrkx_herkx_restricted_kernelIlfLi16ELi32ELi8ELin1ELi0ELb0ELc78ELc85EKffEviT_PT9_S1_lS3_S1_lPT10_S1_li,"axG",@progbits,_ZL37rocblas_syrkx_herkx_restricted_kernelIlfLi16ELi32ELi8ELin1ELi0ELb0ELc78ELc85EKffEviT_PT9_S1_lS3_S1_lPT10_S1_li,comdat
.Lfunc_end949:
	.size	_ZL37rocblas_syrkx_herkx_restricted_kernelIlfLi16ELi32ELi8ELin1ELi0ELb0ELc78ELc85EKffEviT_PT9_S1_lS3_S1_lPT10_S1_li, .Lfunc_end949-_ZL37rocblas_syrkx_herkx_restricted_kernelIlfLi16ELi32ELi8ELin1ELi0ELb0ELc78ELc85EKffEviT_PT9_S1_lS3_S1_lPT10_S1_li
                                        ; -- End function
	.set _ZL37rocblas_syrkx_herkx_restricted_kernelIlfLi16ELi32ELi8ELin1ELi0ELb0ELc78ELc85EKffEviT_PT9_S1_lS3_S1_lPT10_S1_li.num_vgpr, 34
	.set _ZL37rocblas_syrkx_herkx_restricted_kernelIlfLi16ELi32ELi8ELin1ELi0ELb0ELc78ELc85EKffEviT_PT9_S1_lS3_S1_lPT10_S1_li.num_agpr, 0
	.set _ZL37rocblas_syrkx_herkx_restricted_kernelIlfLi16ELi32ELi8ELin1ELi0ELb0ELc78ELc85EKffEviT_PT9_S1_lS3_S1_lPT10_S1_li.numbered_sgpr, 29
	.set _ZL37rocblas_syrkx_herkx_restricted_kernelIlfLi16ELi32ELi8ELin1ELi0ELb0ELc78ELc85EKffEviT_PT9_S1_lS3_S1_lPT10_S1_li.num_named_barrier, 0
	.set _ZL37rocblas_syrkx_herkx_restricted_kernelIlfLi16ELi32ELi8ELin1ELi0ELb0ELc78ELc85EKffEviT_PT9_S1_lS3_S1_lPT10_S1_li.private_seg_size, 0
	.set _ZL37rocblas_syrkx_herkx_restricted_kernelIlfLi16ELi32ELi8ELin1ELi0ELb0ELc78ELc85EKffEviT_PT9_S1_lS3_S1_lPT10_S1_li.uses_vcc, 1
	.set _ZL37rocblas_syrkx_herkx_restricted_kernelIlfLi16ELi32ELi8ELin1ELi0ELb0ELc78ELc85EKffEviT_PT9_S1_lS3_S1_lPT10_S1_li.uses_flat_scratch, 0
	.set _ZL37rocblas_syrkx_herkx_restricted_kernelIlfLi16ELi32ELi8ELin1ELi0ELb0ELc78ELc85EKffEviT_PT9_S1_lS3_S1_lPT10_S1_li.has_dyn_sized_stack, 0
	.set _ZL37rocblas_syrkx_herkx_restricted_kernelIlfLi16ELi32ELi8ELin1ELi0ELb0ELc78ELc85EKffEviT_PT9_S1_lS3_S1_lPT10_S1_li.has_recursion, 0
	.set _ZL37rocblas_syrkx_herkx_restricted_kernelIlfLi16ELi32ELi8ELin1ELi0ELb0ELc78ELc85EKffEviT_PT9_S1_lS3_S1_lPT10_S1_li.has_indirect_call, 0
	.section	.AMDGPU.csdata,"",@progbits
; Kernel info:
; codeLenInByte = 1152
; TotalNumSgprs: 33
; NumVgprs: 34
; ScratchSize: 0
; MemoryBound: 0
; FloatMode: 240
; IeeeMode: 1
; LDSByteSize: 2048 bytes/workgroup (compile time only)
; SGPRBlocks: 4
; VGPRBlocks: 8
; NumSGPRsForWavesPerEU: 33
; NumVGPRsForWavesPerEU: 34
; Occupancy: 7
; WaveLimiterHint : 1
; COMPUTE_PGM_RSRC2:SCRATCH_EN: 0
; COMPUTE_PGM_RSRC2:USER_SGPR: 6
; COMPUTE_PGM_RSRC2:TRAP_HANDLER: 0
; COMPUTE_PGM_RSRC2:TGID_X_EN: 1
; COMPUTE_PGM_RSRC2:TGID_Y_EN: 1
; COMPUTE_PGM_RSRC2:TGID_Z_EN: 1
; COMPUTE_PGM_RSRC2:TIDIG_COMP_CNT: 1
	.section	.text._ZL37rocblas_syrkx_herkx_restricted_kernelIlfLi16ELi32ELi8ELb1ELb0ELc84ELc76EKffEviT_T0_PT8_S1_lS4_S1_lS2_PT9_S1_li,"axG",@progbits,_ZL37rocblas_syrkx_herkx_restricted_kernelIlfLi16ELi32ELi8ELb1ELb0ELc84ELc76EKffEviT_T0_PT8_S1_lS4_S1_lS2_PT9_S1_li,comdat
	.globl	_ZL37rocblas_syrkx_herkx_restricted_kernelIlfLi16ELi32ELi8ELb1ELb0ELc84ELc76EKffEviT_T0_PT8_S1_lS4_S1_lS2_PT9_S1_li ; -- Begin function _ZL37rocblas_syrkx_herkx_restricted_kernelIlfLi16ELi32ELi8ELb1ELb0ELc84ELc76EKffEviT_T0_PT8_S1_lS4_S1_lS2_PT9_S1_li
	.p2align	8
	.type	_ZL37rocblas_syrkx_herkx_restricted_kernelIlfLi16ELi32ELi8ELb1ELb0ELc84ELc76EKffEviT_T0_PT8_S1_lS4_S1_lS2_PT9_S1_li,@function
_ZL37rocblas_syrkx_herkx_restricted_kernelIlfLi16ELi32ELi8ELb1ELb0ELc84ELc76EKffEviT_T0_PT8_S1_lS4_S1_lS2_PT9_S1_li: ; @_ZL37rocblas_syrkx_herkx_restricted_kernelIlfLi16ELi32ELi8ELb1ELb0ELc84ELc76EKffEviT_T0_PT8_S1_lS4_S1_lS2_PT9_S1_li
; %bb.0:
	s_load_dwordx2 s[10:11], s[4:5], 0x8
	s_lshl_b32 s9, s6, 5
	s_lshl_b32 s20, s7, 5
	s_waitcnt lgkmcnt(0)
	v_cmp_lt_i64_e64 s[0:1], s[10:11], 1
	s_and_b64 vcc, exec, s[0:1]
	s_cbranch_vccnz .LBB950_3
; %bb.1:
	s_load_dwordx8 s[12:19], s[4:5], 0x18
	s_load_dwordx4 s[0:3], s[4:5], 0x38
	v_lshl_add_u32 v3, v1, 4, v0
	v_and_b32_e32 v2, 7, v0
	v_lshrrev_b32_e32 v4, 3, v3
	v_lshlrev_b32_e32 v10, 2, v2
	v_add_u32_e32 v5, s20, v4
	v_lshl_or_b32 v4, v4, 5, v10
	v_lshrrev_b32_e32 v6, 5, v3
	v_and_b32_e32 v8, 31, v3
	v_ashrrev_i32_e32 v12, 31, v5
	v_mov_b32_e32 v3, 0
	v_add_u32_e32 v10, 0x400, v4
	v_mov_b32_e32 v4, 0x400
	v_lshl_add_u32 v13, v1, 5, v4
	s_waitcnt lgkmcnt(0)
	v_mul_lo_u32 v12, s0, v12
	v_mul_lo_u32 v14, s1, v5
	v_mad_u64_u32 v[4:5], s[0:1], s0, v5, v[2:3]
	s_mul_i32 s3, s3, s8
	s_mul_hi_u32 s6, s2, s8
	s_add_i32 s1, s6, s3
	s_mul_i32 s0, s2, s8
	s_lshl_b64 s[0:1], s[0:1], 2
	v_add3_u32 v5, v14, v5, v12
	v_lshlrev_b64 v[4:5], 2, v[4:5]
	s_add_u32 s0, s18, s0
	s_addc_u32 s1, s19, s1
	v_mov_b32_e32 v2, s1
	v_add_co_u32_e32 v4, vcc, s0, v4
	v_addc_co_u32_e32 v5, vcc, v2, v5, vcc
	v_add_u32_e32 v2, s9, v8
	v_mov_b32_e32 v7, v3
	v_lshlrev_b32_e32 v9, 2, v8
	v_ashrrev_i32_e32 v8, 31, v2
	v_lshl_or_b32 v9, v6, 7, v9
	v_mul_lo_u32 v8, s14, v8
	v_mad_u64_u32 v[6:7], s[0:1], s14, v2, v[6:7]
	v_mul_lo_u32 v2, s15, v2
	s_mul_i32 s2, s17, s8
	s_mul_hi_u32 s3, s16, s8
	s_add_i32 s1, s3, s2
	s_mul_i32 s0, s16, s8
	s_lshl_b64 s[0:1], s[0:1], 2
	v_add3_u32 v7, v2, v7, v8
	v_lshlrev_b64 v[6:7], 2, v[6:7]
	s_add_u32 s0, s12, s0
	s_addc_u32 s1, s13, s1
	v_mov_b32_e32 v2, s1
	v_add_co_u32_e32 v6, vcc, s0, v6
	v_lshlrev_b32_e32 v11, 2, v0
	v_addc_co_u32_e32 v7, vcc, v2, v7, vcc
	s_mov_b64 s[6:7], 0
	v_mov_b32_e32 v2, v3
	v_mov_b32_e32 v8, v3
	;; [unrolled: 1-line block ×3, first 2 shown]
.LBB950_2:                              ; =>This Inner Loop Header: Depth=1
	global_load_dword v14, v[6:7], off
	s_add_u32 s6, s6, 8
	s_addc_u32 s7, s7, 0
	v_add_co_u32_e64 v6, s[2:3], 32, v6
	s_waitcnt vmcnt(0)
	ds_write_b32 v9, v14
	global_load_dword v14, v[4:5], off
	v_add_co_u32_e64 v4, s[0:1], 32, v4
	v_addc_co_u32_e64 v5, s[0:1], 0, v5, s[0:1]
	v_addc_co_u32_e64 v7, s[0:1], 0, v7, s[2:3]
	s_waitcnt vmcnt(0)
	ds_write_b32 v10, v14
	s_waitcnt lgkmcnt(0)
	s_barrier
	ds_read2_b32 v[18:19], v11 offset1:16
	ds_read_b128 v[14:17], v13
	ds_read2_b32 v[20:21], v11 offset0:32 offset1:48
	ds_read2_b32 v[22:23], v11 offset0:64 offset1:80
	;; [unrolled: 1-line block ×3, first 2 shown]
	s_waitcnt lgkmcnt(3)
	v_fmac_f32_e32 v12, v18, v14
	v_fmac_f32_e32 v8, v19, v14
	s_waitcnt lgkmcnt(2)
	v_fmac_f32_e32 v12, v20, v15
	v_fmac_f32_e32 v8, v21, v15
	;; [unrolled: 3-line block ×4, first 2 shown]
	ds_read_b128 v[14:17], v13 offset:512
	s_waitcnt lgkmcnt(0)
	v_fmac_f32_e32 v2, v18, v14
	v_fmac_f32_e32 v3, v19, v14
	;; [unrolled: 1-line block ×8, first 2 shown]
	ds_read2_b32 v[18:19], v11 offset0:128 offset1:144
	ds_read_b128 v[14:17], v13 offset:16
	ds_read2_b32 v[20:21], v11 offset0:160 offset1:176
	ds_read2_b32 v[22:23], v11 offset0:192 offset1:208
	;; [unrolled: 1-line block ×3, first 2 shown]
	s_waitcnt lgkmcnt(3)
	v_fmac_f32_e32 v12, v18, v14
	v_fmac_f32_e32 v8, v19, v14
	s_waitcnt lgkmcnt(2)
	v_fmac_f32_e32 v12, v20, v15
	v_fmac_f32_e32 v8, v21, v15
	;; [unrolled: 3-line block ×4, first 2 shown]
	ds_read_b128 v[14:17], v13 offset:528
	s_waitcnt lgkmcnt(0)
	s_barrier
	v_fmac_f32_e32 v2, v18, v14
	v_fmac_f32_e32 v3, v19, v14
	v_fmac_f32_e32 v2, v20, v15
	v_fmac_f32_e32 v3, v21, v15
	v_mov_b32_e32 v15, s7
	v_mov_b32_e32 v14, s6
	v_cmp_le_u64_e32 vcc, s[10:11], v[14:15]
	v_fmac_f32_e32 v2, v22, v16
	v_fmac_f32_e32 v3, v23, v16
	;; [unrolled: 1-line block ×4, first 2 shown]
	s_cbranch_vccz .LBB950_2
	s_branch .LBB950_4
.LBB950_3:
	v_mov_b32_e32 v12, 0
	v_mov_b32_e32 v8, 0
	;; [unrolled: 1-line block ×4, first 2 shown]
.LBB950_4:
	s_load_dwordx2 s[0:1], s[4:5], 0x60
	s_load_dword s10, s[4:5], 0x0
	s_load_dword s6, s[4:5], 0x10
	s_load_dwordx4 s[12:15], s[4:5], 0x50
	v_add_u32_e32 v6, s20, v1
	s_waitcnt lgkmcnt(0)
	s_mul_i32 s1, s1, s8
	s_mul_hi_u32 s2, s0, s8
	v_ashrrev_i32_e32 v1, 31, v6
	s_add_i32 s1, s2, s1
	v_mul_lo_u32 v1, s14, v1
	v_mul_lo_u32 v7, s15, v6
	v_mad_u64_u32 v[4:5], s[2:3], s14, v6, 0
	s_mul_i32 s0, s0, s8
	s_lshl_b64 s[0:1], s[0:1], 2
	v_add3_u32 v5, v5, v1, v7
	s_add_u32 s7, s12, s0
	v_lshlrev_b64 v[4:5], 2, v[4:5]
	s_addc_u32 s8, s13, s1
	v_mov_b32_e32 v1, s8
	v_add_co_u32_e32 v7, vcc, s7, v4
	v_add_u32_e32 v0, s9, v0
	v_addc_co_u32_e32 v9, vcc, v1, v5, vcc
	v_cmp_le_i32_e64 s[0:1], v6, v0
	v_cmp_gt_i32_e32 vcc, s10, v0
	s_and_b64 s[0:1], s[0:1], vcc
	s_and_saveexec_b64 s[2:3], s[0:1]
	s_cbranch_execz .LBB950_6
; %bb.5:
	v_ashrrev_i32_e32 v1, 31, v0
	v_lshlrev_b64 v[4:5], 2, v[0:1]
	v_mul_f32_e32 v10, s6, v12
	v_add_co_u32_e64 v4, s[0:1], v7, v4
	v_addc_co_u32_e64 v5, s[0:1], v9, v5, s[0:1]
	global_store_dword v[4:5], v10, off
.LBB950_6:
	s_or_b64 exec, exec, s[2:3]
	v_add_u32_e32 v4, 16, v0
	v_cmp_le_i32_e64 s[2:3], v6, v4
	v_cmp_gt_i32_e64 s[0:1], s10, v4
	s_and_b64 s[2:3], s[2:3], s[0:1]
	s_and_saveexec_b64 s[4:5], s[2:3]
	s_cbranch_execz .LBB950_8
; %bb.7:
	v_ashrrev_i32_e32 v5, 31, v4
	v_lshlrev_b64 v[10:11], 2, v[4:5]
	v_mul_f32_e32 v1, s6, v8
	v_add_co_u32_e64 v7, s[2:3], v7, v10
	v_addc_co_u32_e64 v8, s[2:3], v9, v11, s[2:3]
	global_store_dword v[7:8], v1, off
.LBB950_8:
	s_or_b64 exec, exec, s[4:5]
	v_add_u32_e32 v5, 16, v6
	v_ashrrev_i32_e32 v1, 31, v5
	v_mul_lo_u32 v8, s15, v5
	v_mad_u64_u32 v[6:7], s[2:3], s14, v5, 0
	v_mul_lo_u32 v1, s14, v1
	v_add3_u32 v7, v7, v1, v8
	v_lshlrev_b64 v[6:7], 2, v[6:7]
	v_mov_b32_e32 v1, s8
	v_add_co_u32_e64 v6, s[2:3], s7, v6
	v_addc_co_u32_e64 v7, s[2:3], v1, v7, s[2:3]
	v_cmp_le_i32_e64 s[2:3], v5, v0
	s_and_b64 s[4:5], s[2:3], vcc
	s_and_saveexec_b64 s[2:3], s[4:5]
	s_cbranch_execz .LBB950_10
; %bb.9:
	v_ashrrev_i32_e32 v1, 31, v0
	v_lshlrev_b64 v[0:1], 2, v[0:1]
	v_mul_f32_e32 v2, s6, v2
	v_add_co_u32_e32 v0, vcc, v6, v0
	v_addc_co_u32_e32 v1, vcc, v7, v1, vcc
	global_store_dword v[0:1], v2, off
.LBB950_10:
	s_or_b64 exec, exec, s[2:3]
	v_cmp_le_i32_e32 vcc, v5, v4
	s_and_b64 s[0:1], vcc, s[0:1]
	s_and_saveexec_b64 s[2:3], s[0:1]
	s_cbranch_execz .LBB950_12
; %bb.11:
	v_ashrrev_i32_e32 v5, 31, v4
	v_lshlrev_b64 v[0:1], 2, v[4:5]
	v_mul_f32_e32 v2, s6, v3
	v_add_co_u32_e32 v0, vcc, v6, v0
	v_addc_co_u32_e32 v1, vcc, v7, v1, vcc
	global_store_dword v[0:1], v2, off
.LBB950_12:
	s_endpgm
	.section	.rodata,"a",@progbits
	.p2align	6, 0x0
	.amdhsa_kernel _ZL37rocblas_syrkx_herkx_restricted_kernelIlfLi16ELi32ELi8ELb1ELb0ELc84ELc76EKffEviT_T0_PT8_S1_lS4_S1_lS2_PT9_S1_li
		.amdhsa_group_segment_fixed_size 2048
		.amdhsa_private_segment_fixed_size 0
		.amdhsa_kernarg_size 108
		.amdhsa_user_sgpr_count 6
		.amdhsa_user_sgpr_private_segment_buffer 1
		.amdhsa_user_sgpr_dispatch_ptr 0
		.amdhsa_user_sgpr_queue_ptr 0
		.amdhsa_user_sgpr_kernarg_segment_ptr 1
		.amdhsa_user_sgpr_dispatch_id 0
		.amdhsa_user_sgpr_flat_scratch_init 0
		.amdhsa_user_sgpr_private_segment_size 0
		.amdhsa_uses_dynamic_stack 0
		.amdhsa_system_sgpr_private_segment_wavefront_offset 0
		.amdhsa_system_sgpr_workgroup_id_x 1
		.amdhsa_system_sgpr_workgroup_id_y 1
		.amdhsa_system_sgpr_workgroup_id_z 1
		.amdhsa_system_sgpr_workgroup_info 0
		.amdhsa_system_vgpr_workitem_id 1
		.amdhsa_next_free_vgpr 26
		.amdhsa_next_free_sgpr 21
		.amdhsa_reserve_vcc 1
		.amdhsa_reserve_flat_scratch 0
		.amdhsa_float_round_mode_32 0
		.amdhsa_float_round_mode_16_64 0
		.amdhsa_float_denorm_mode_32 3
		.amdhsa_float_denorm_mode_16_64 3
		.amdhsa_dx10_clamp 1
		.amdhsa_ieee_mode 1
		.amdhsa_fp16_overflow 0
		.amdhsa_exception_fp_ieee_invalid_op 0
		.amdhsa_exception_fp_denorm_src 0
		.amdhsa_exception_fp_ieee_div_zero 0
		.amdhsa_exception_fp_ieee_overflow 0
		.amdhsa_exception_fp_ieee_underflow 0
		.amdhsa_exception_fp_ieee_inexact 0
		.amdhsa_exception_int_div_zero 0
	.end_amdhsa_kernel
	.section	.text._ZL37rocblas_syrkx_herkx_restricted_kernelIlfLi16ELi32ELi8ELb1ELb0ELc84ELc76EKffEviT_T0_PT8_S1_lS4_S1_lS2_PT9_S1_li,"axG",@progbits,_ZL37rocblas_syrkx_herkx_restricted_kernelIlfLi16ELi32ELi8ELb1ELb0ELc84ELc76EKffEviT_T0_PT8_S1_lS4_S1_lS2_PT9_S1_li,comdat
.Lfunc_end950:
	.size	_ZL37rocblas_syrkx_herkx_restricted_kernelIlfLi16ELi32ELi8ELb1ELb0ELc84ELc76EKffEviT_T0_PT8_S1_lS4_S1_lS2_PT9_S1_li, .Lfunc_end950-_ZL37rocblas_syrkx_herkx_restricted_kernelIlfLi16ELi32ELi8ELb1ELb0ELc84ELc76EKffEviT_T0_PT8_S1_lS4_S1_lS2_PT9_S1_li
                                        ; -- End function
	.set _ZL37rocblas_syrkx_herkx_restricted_kernelIlfLi16ELi32ELi8ELb1ELb0ELc84ELc76EKffEviT_T0_PT8_S1_lS4_S1_lS2_PT9_S1_li.num_vgpr, 26
	.set _ZL37rocblas_syrkx_herkx_restricted_kernelIlfLi16ELi32ELi8ELb1ELb0ELc84ELc76EKffEviT_T0_PT8_S1_lS4_S1_lS2_PT9_S1_li.num_agpr, 0
	.set _ZL37rocblas_syrkx_herkx_restricted_kernelIlfLi16ELi32ELi8ELb1ELb0ELc84ELc76EKffEviT_T0_PT8_S1_lS4_S1_lS2_PT9_S1_li.numbered_sgpr, 21
	.set _ZL37rocblas_syrkx_herkx_restricted_kernelIlfLi16ELi32ELi8ELb1ELb0ELc84ELc76EKffEviT_T0_PT8_S1_lS4_S1_lS2_PT9_S1_li.num_named_barrier, 0
	.set _ZL37rocblas_syrkx_herkx_restricted_kernelIlfLi16ELi32ELi8ELb1ELb0ELc84ELc76EKffEviT_T0_PT8_S1_lS4_S1_lS2_PT9_S1_li.private_seg_size, 0
	.set _ZL37rocblas_syrkx_herkx_restricted_kernelIlfLi16ELi32ELi8ELb1ELb0ELc84ELc76EKffEviT_T0_PT8_S1_lS4_S1_lS2_PT9_S1_li.uses_vcc, 1
	.set _ZL37rocblas_syrkx_herkx_restricted_kernelIlfLi16ELi32ELi8ELb1ELb0ELc84ELc76EKffEviT_T0_PT8_S1_lS4_S1_lS2_PT9_S1_li.uses_flat_scratch, 0
	.set _ZL37rocblas_syrkx_herkx_restricted_kernelIlfLi16ELi32ELi8ELb1ELb0ELc84ELc76EKffEviT_T0_PT8_S1_lS4_S1_lS2_PT9_S1_li.has_dyn_sized_stack, 0
	.set _ZL37rocblas_syrkx_herkx_restricted_kernelIlfLi16ELi32ELi8ELb1ELb0ELc84ELc76EKffEviT_T0_PT8_S1_lS4_S1_lS2_PT9_S1_li.has_recursion, 0
	.set _ZL37rocblas_syrkx_herkx_restricted_kernelIlfLi16ELi32ELi8ELb1ELb0ELc84ELc76EKffEviT_T0_PT8_S1_lS4_S1_lS2_PT9_S1_li.has_indirect_call, 0
	.section	.AMDGPU.csdata,"",@progbits
; Kernel info:
; codeLenInByte = 1172
; TotalNumSgprs: 25
; NumVgprs: 26
; ScratchSize: 0
; MemoryBound: 0
; FloatMode: 240
; IeeeMode: 1
; LDSByteSize: 2048 bytes/workgroup (compile time only)
; SGPRBlocks: 3
; VGPRBlocks: 6
; NumSGPRsForWavesPerEU: 25
; NumVGPRsForWavesPerEU: 26
; Occupancy: 9
; WaveLimiterHint : 0
; COMPUTE_PGM_RSRC2:SCRATCH_EN: 0
; COMPUTE_PGM_RSRC2:USER_SGPR: 6
; COMPUTE_PGM_RSRC2:TRAP_HANDLER: 0
; COMPUTE_PGM_RSRC2:TGID_X_EN: 1
; COMPUTE_PGM_RSRC2:TGID_Y_EN: 1
; COMPUTE_PGM_RSRC2:TGID_Z_EN: 1
; COMPUTE_PGM_RSRC2:TIDIG_COMP_CNT: 1
	.section	.text._ZL37rocblas_syrkx_herkx_restricted_kernelIlfLi16ELi32ELi8ELb1ELb0ELc67ELc76EKffEviT_T0_PT8_S1_lS4_S1_lS2_PT9_S1_li,"axG",@progbits,_ZL37rocblas_syrkx_herkx_restricted_kernelIlfLi16ELi32ELi8ELb1ELb0ELc67ELc76EKffEviT_T0_PT8_S1_lS4_S1_lS2_PT9_S1_li,comdat
	.globl	_ZL37rocblas_syrkx_herkx_restricted_kernelIlfLi16ELi32ELi8ELb1ELb0ELc67ELc76EKffEviT_T0_PT8_S1_lS4_S1_lS2_PT9_S1_li ; -- Begin function _ZL37rocblas_syrkx_herkx_restricted_kernelIlfLi16ELi32ELi8ELb1ELb0ELc67ELc76EKffEviT_T0_PT8_S1_lS4_S1_lS2_PT9_S1_li
	.p2align	8
	.type	_ZL37rocblas_syrkx_herkx_restricted_kernelIlfLi16ELi32ELi8ELb1ELb0ELc67ELc76EKffEviT_T0_PT8_S1_lS4_S1_lS2_PT9_S1_li,@function
_ZL37rocblas_syrkx_herkx_restricted_kernelIlfLi16ELi32ELi8ELb1ELb0ELc67ELc76EKffEviT_T0_PT8_S1_lS4_S1_lS2_PT9_S1_li: ; @_ZL37rocblas_syrkx_herkx_restricted_kernelIlfLi16ELi32ELi8ELb1ELb0ELc67ELc76EKffEviT_T0_PT8_S1_lS4_S1_lS2_PT9_S1_li
; %bb.0:
	s_load_dwordx2 s[10:11], s[4:5], 0x8
	s_lshl_b32 s9, s6, 5
	s_lshl_b32 s20, s7, 5
	s_waitcnt lgkmcnt(0)
	v_cmp_lt_i64_e64 s[0:1], s[10:11], 1
	s_and_b64 vcc, exec, s[0:1]
	s_cbranch_vccnz .LBB951_3
; %bb.1:
	s_load_dwordx8 s[12:19], s[4:5], 0x18
	s_load_dwordx4 s[0:3], s[4:5], 0x38
	v_lshl_add_u32 v3, v1, 4, v0
	v_and_b32_e32 v2, 7, v0
	v_lshrrev_b32_e32 v4, 3, v3
	v_lshlrev_b32_e32 v10, 2, v2
	v_add_u32_e32 v5, s20, v4
	v_lshl_or_b32 v4, v4, 5, v10
	v_lshrrev_b32_e32 v6, 5, v3
	v_and_b32_e32 v8, 31, v3
	v_ashrrev_i32_e32 v12, 31, v5
	v_mov_b32_e32 v3, 0
	v_add_u32_e32 v10, 0x400, v4
	v_mov_b32_e32 v4, 0x400
	v_lshl_add_u32 v13, v1, 5, v4
	s_waitcnt lgkmcnt(0)
	v_mul_lo_u32 v12, s0, v12
	v_mul_lo_u32 v14, s1, v5
	v_mad_u64_u32 v[4:5], s[0:1], s0, v5, v[2:3]
	s_mul_i32 s3, s3, s8
	s_mul_hi_u32 s6, s2, s8
	s_add_i32 s1, s6, s3
	s_mul_i32 s0, s2, s8
	s_lshl_b64 s[0:1], s[0:1], 2
	v_add3_u32 v5, v14, v5, v12
	v_lshlrev_b64 v[4:5], 2, v[4:5]
	s_add_u32 s0, s18, s0
	s_addc_u32 s1, s19, s1
	v_mov_b32_e32 v2, s1
	v_add_co_u32_e32 v4, vcc, s0, v4
	v_addc_co_u32_e32 v5, vcc, v2, v5, vcc
	v_add_u32_e32 v2, s9, v8
	v_mov_b32_e32 v7, v3
	v_lshlrev_b32_e32 v9, 2, v8
	v_ashrrev_i32_e32 v8, 31, v2
	v_lshl_or_b32 v9, v6, 7, v9
	v_mul_lo_u32 v8, s14, v8
	v_mad_u64_u32 v[6:7], s[0:1], s14, v2, v[6:7]
	v_mul_lo_u32 v2, s15, v2
	s_mul_i32 s2, s17, s8
	s_mul_hi_u32 s3, s16, s8
	s_add_i32 s1, s3, s2
	s_mul_i32 s0, s16, s8
	s_lshl_b64 s[0:1], s[0:1], 2
	v_add3_u32 v7, v2, v7, v8
	v_lshlrev_b64 v[6:7], 2, v[6:7]
	s_add_u32 s0, s12, s0
	s_addc_u32 s1, s13, s1
	v_mov_b32_e32 v2, s1
	v_add_co_u32_e32 v6, vcc, s0, v6
	v_lshlrev_b32_e32 v11, 2, v0
	v_addc_co_u32_e32 v7, vcc, v2, v7, vcc
	s_mov_b64 s[6:7], 0
	v_mov_b32_e32 v2, v3
	v_mov_b32_e32 v8, v3
	v_mov_b32_e32 v12, v3
.LBB951_2:                              ; =>This Inner Loop Header: Depth=1
	global_load_dword v14, v[6:7], off
	s_add_u32 s6, s6, 8
	s_addc_u32 s7, s7, 0
	v_add_co_u32_e64 v6, s[2:3], 32, v6
	s_waitcnt vmcnt(0)
	ds_write_b32 v9, v14
	global_load_dword v14, v[4:5], off
	v_add_co_u32_e64 v4, s[0:1], 32, v4
	v_addc_co_u32_e64 v5, s[0:1], 0, v5, s[0:1]
	v_addc_co_u32_e64 v7, s[0:1], 0, v7, s[2:3]
	s_waitcnt vmcnt(0)
	ds_write_b32 v10, v14
	s_waitcnt lgkmcnt(0)
	s_barrier
	ds_read2_b32 v[18:19], v11 offset1:16
	ds_read_b128 v[14:17], v13
	ds_read2_b32 v[20:21], v11 offset0:32 offset1:48
	ds_read2_b32 v[22:23], v11 offset0:64 offset1:80
	;; [unrolled: 1-line block ×3, first 2 shown]
	s_waitcnt lgkmcnt(3)
	v_fmac_f32_e32 v12, v18, v14
	v_fmac_f32_e32 v8, v19, v14
	s_waitcnt lgkmcnt(2)
	v_fmac_f32_e32 v12, v20, v15
	v_fmac_f32_e32 v8, v21, v15
	;; [unrolled: 3-line block ×4, first 2 shown]
	ds_read_b128 v[14:17], v13 offset:512
	s_waitcnt lgkmcnt(0)
	v_fmac_f32_e32 v2, v18, v14
	v_fmac_f32_e32 v3, v19, v14
	v_fmac_f32_e32 v2, v20, v15
	v_fmac_f32_e32 v3, v21, v15
	v_fmac_f32_e32 v2, v22, v16
	v_fmac_f32_e32 v3, v23, v16
	v_fmac_f32_e32 v2, v24, v17
	v_fmac_f32_e32 v3, v25, v17
	ds_read2_b32 v[18:19], v11 offset0:128 offset1:144
	ds_read_b128 v[14:17], v13 offset:16
	ds_read2_b32 v[20:21], v11 offset0:160 offset1:176
	ds_read2_b32 v[22:23], v11 offset0:192 offset1:208
	;; [unrolled: 1-line block ×3, first 2 shown]
	s_waitcnt lgkmcnt(3)
	v_fmac_f32_e32 v12, v18, v14
	v_fmac_f32_e32 v8, v19, v14
	s_waitcnt lgkmcnt(2)
	v_fmac_f32_e32 v12, v20, v15
	v_fmac_f32_e32 v8, v21, v15
	;; [unrolled: 3-line block ×4, first 2 shown]
	ds_read_b128 v[14:17], v13 offset:528
	s_waitcnt lgkmcnt(0)
	s_barrier
	v_fmac_f32_e32 v2, v18, v14
	v_fmac_f32_e32 v3, v19, v14
	;; [unrolled: 1-line block ×4, first 2 shown]
	v_mov_b32_e32 v15, s7
	v_mov_b32_e32 v14, s6
	v_cmp_le_u64_e32 vcc, s[10:11], v[14:15]
	v_fmac_f32_e32 v2, v22, v16
	v_fmac_f32_e32 v3, v23, v16
	;; [unrolled: 1-line block ×4, first 2 shown]
	s_cbranch_vccz .LBB951_2
	s_branch .LBB951_4
.LBB951_3:
	v_mov_b32_e32 v12, 0
	v_mov_b32_e32 v8, 0
	;; [unrolled: 1-line block ×4, first 2 shown]
.LBB951_4:
	s_load_dwordx2 s[0:1], s[4:5], 0x60
	s_load_dword s10, s[4:5], 0x0
	s_load_dword s6, s[4:5], 0x10
	s_load_dwordx4 s[12:15], s[4:5], 0x50
	v_add_u32_e32 v6, s20, v1
	s_waitcnt lgkmcnt(0)
	s_mul_i32 s1, s1, s8
	s_mul_hi_u32 s2, s0, s8
	v_ashrrev_i32_e32 v1, 31, v6
	s_add_i32 s1, s2, s1
	v_mul_lo_u32 v1, s14, v1
	v_mul_lo_u32 v7, s15, v6
	v_mad_u64_u32 v[4:5], s[2:3], s14, v6, 0
	s_mul_i32 s0, s0, s8
	s_lshl_b64 s[0:1], s[0:1], 2
	v_add3_u32 v5, v5, v1, v7
	s_add_u32 s7, s12, s0
	v_lshlrev_b64 v[4:5], 2, v[4:5]
	s_addc_u32 s8, s13, s1
	v_mov_b32_e32 v1, s8
	v_add_co_u32_e32 v7, vcc, s7, v4
	v_add_u32_e32 v0, s9, v0
	v_addc_co_u32_e32 v9, vcc, v1, v5, vcc
	v_cmp_le_i32_e64 s[0:1], v6, v0
	v_cmp_gt_i32_e32 vcc, s10, v0
	s_and_b64 s[0:1], s[0:1], vcc
	s_and_saveexec_b64 s[2:3], s[0:1]
	s_cbranch_execz .LBB951_6
; %bb.5:
	v_ashrrev_i32_e32 v1, 31, v0
	v_lshlrev_b64 v[4:5], 2, v[0:1]
	v_mul_f32_e32 v10, s6, v12
	v_add_co_u32_e64 v4, s[0:1], v7, v4
	v_addc_co_u32_e64 v5, s[0:1], v9, v5, s[0:1]
	global_store_dword v[4:5], v10, off
.LBB951_6:
	s_or_b64 exec, exec, s[2:3]
	v_add_u32_e32 v4, 16, v0
	v_cmp_le_i32_e64 s[2:3], v6, v4
	v_cmp_gt_i32_e64 s[0:1], s10, v4
	s_and_b64 s[2:3], s[2:3], s[0:1]
	s_and_saveexec_b64 s[4:5], s[2:3]
	s_cbranch_execz .LBB951_8
; %bb.7:
	v_ashrrev_i32_e32 v5, 31, v4
	v_lshlrev_b64 v[10:11], 2, v[4:5]
	v_mul_f32_e32 v1, s6, v8
	v_add_co_u32_e64 v7, s[2:3], v7, v10
	v_addc_co_u32_e64 v8, s[2:3], v9, v11, s[2:3]
	global_store_dword v[7:8], v1, off
.LBB951_8:
	s_or_b64 exec, exec, s[4:5]
	v_add_u32_e32 v5, 16, v6
	v_ashrrev_i32_e32 v1, 31, v5
	v_mul_lo_u32 v8, s15, v5
	v_mad_u64_u32 v[6:7], s[2:3], s14, v5, 0
	v_mul_lo_u32 v1, s14, v1
	v_add3_u32 v7, v7, v1, v8
	v_lshlrev_b64 v[6:7], 2, v[6:7]
	v_mov_b32_e32 v1, s8
	v_add_co_u32_e64 v6, s[2:3], s7, v6
	v_addc_co_u32_e64 v7, s[2:3], v1, v7, s[2:3]
	v_cmp_le_i32_e64 s[2:3], v5, v0
	s_and_b64 s[4:5], s[2:3], vcc
	s_and_saveexec_b64 s[2:3], s[4:5]
	s_cbranch_execz .LBB951_10
; %bb.9:
	v_ashrrev_i32_e32 v1, 31, v0
	v_lshlrev_b64 v[0:1], 2, v[0:1]
	v_mul_f32_e32 v2, s6, v2
	v_add_co_u32_e32 v0, vcc, v6, v0
	v_addc_co_u32_e32 v1, vcc, v7, v1, vcc
	global_store_dword v[0:1], v2, off
.LBB951_10:
	s_or_b64 exec, exec, s[2:3]
	v_cmp_le_i32_e32 vcc, v5, v4
	s_and_b64 s[0:1], vcc, s[0:1]
	s_and_saveexec_b64 s[2:3], s[0:1]
	s_cbranch_execz .LBB951_12
; %bb.11:
	v_ashrrev_i32_e32 v5, 31, v4
	v_lshlrev_b64 v[0:1], 2, v[4:5]
	v_mul_f32_e32 v2, s6, v3
	v_add_co_u32_e32 v0, vcc, v6, v0
	v_addc_co_u32_e32 v1, vcc, v7, v1, vcc
	global_store_dword v[0:1], v2, off
.LBB951_12:
	s_endpgm
	.section	.rodata,"a",@progbits
	.p2align	6, 0x0
	.amdhsa_kernel _ZL37rocblas_syrkx_herkx_restricted_kernelIlfLi16ELi32ELi8ELb1ELb0ELc67ELc76EKffEviT_T0_PT8_S1_lS4_S1_lS2_PT9_S1_li
		.amdhsa_group_segment_fixed_size 2048
		.amdhsa_private_segment_fixed_size 0
		.amdhsa_kernarg_size 108
		.amdhsa_user_sgpr_count 6
		.amdhsa_user_sgpr_private_segment_buffer 1
		.amdhsa_user_sgpr_dispatch_ptr 0
		.amdhsa_user_sgpr_queue_ptr 0
		.amdhsa_user_sgpr_kernarg_segment_ptr 1
		.amdhsa_user_sgpr_dispatch_id 0
		.amdhsa_user_sgpr_flat_scratch_init 0
		.amdhsa_user_sgpr_private_segment_size 0
		.amdhsa_uses_dynamic_stack 0
		.amdhsa_system_sgpr_private_segment_wavefront_offset 0
		.amdhsa_system_sgpr_workgroup_id_x 1
		.amdhsa_system_sgpr_workgroup_id_y 1
		.amdhsa_system_sgpr_workgroup_id_z 1
		.amdhsa_system_sgpr_workgroup_info 0
		.amdhsa_system_vgpr_workitem_id 1
		.amdhsa_next_free_vgpr 26
		.amdhsa_next_free_sgpr 21
		.amdhsa_reserve_vcc 1
		.amdhsa_reserve_flat_scratch 0
		.amdhsa_float_round_mode_32 0
		.amdhsa_float_round_mode_16_64 0
		.amdhsa_float_denorm_mode_32 3
		.amdhsa_float_denorm_mode_16_64 3
		.amdhsa_dx10_clamp 1
		.amdhsa_ieee_mode 1
		.amdhsa_fp16_overflow 0
		.amdhsa_exception_fp_ieee_invalid_op 0
		.amdhsa_exception_fp_denorm_src 0
		.amdhsa_exception_fp_ieee_div_zero 0
		.amdhsa_exception_fp_ieee_overflow 0
		.amdhsa_exception_fp_ieee_underflow 0
		.amdhsa_exception_fp_ieee_inexact 0
		.amdhsa_exception_int_div_zero 0
	.end_amdhsa_kernel
	.section	.text._ZL37rocblas_syrkx_herkx_restricted_kernelIlfLi16ELi32ELi8ELb1ELb0ELc67ELc76EKffEviT_T0_PT8_S1_lS4_S1_lS2_PT9_S1_li,"axG",@progbits,_ZL37rocblas_syrkx_herkx_restricted_kernelIlfLi16ELi32ELi8ELb1ELb0ELc67ELc76EKffEviT_T0_PT8_S1_lS4_S1_lS2_PT9_S1_li,comdat
.Lfunc_end951:
	.size	_ZL37rocblas_syrkx_herkx_restricted_kernelIlfLi16ELi32ELi8ELb1ELb0ELc67ELc76EKffEviT_T0_PT8_S1_lS4_S1_lS2_PT9_S1_li, .Lfunc_end951-_ZL37rocblas_syrkx_herkx_restricted_kernelIlfLi16ELi32ELi8ELb1ELb0ELc67ELc76EKffEviT_T0_PT8_S1_lS4_S1_lS2_PT9_S1_li
                                        ; -- End function
	.set _ZL37rocblas_syrkx_herkx_restricted_kernelIlfLi16ELi32ELi8ELb1ELb0ELc67ELc76EKffEviT_T0_PT8_S1_lS4_S1_lS2_PT9_S1_li.num_vgpr, 26
	.set _ZL37rocblas_syrkx_herkx_restricted_kernelIlfLi16ELi32ELi8ELb1ELb0ELc67ELc76EKffEviT_T0_PT8_S1_lS4_S1_lS2_PT9_S1_li.num_agpr, 0
	.set _ZL37rocblas_syrkx_herkx_restricted_kernelIlfLi16ELi32ELi8ELb1ELb0ELc67ELc76EKffEviT_T0_PT8_S1_lS4_S1_lS2_PT9_S1_li.numbered_sgpr, 21
	.set _ZL37rocblas_syrkx_herkx_restricted_kernelIlfLi16ELi32ELi8ELb1ELb0ELc67ELc76EKffEviT_T0_PT8_S1_lS4_S1_lS2_PT9_S1_li.num_named_barrier, 0
	.set _ZL37rocblas_syrkx_herkx_restricted_kernelIlfLi16ELi32ELi8ELb1ELb0ELc67ELc76EKffEviT_T0_PT8_S1_lS4_S1_lS2_PT9_S1_li.private_seg_size, 0
	.set _ZL37rocblas_syrkx_herkx_restricted_kernelIlfLi16ELi32ELi8ELb1ELb0ELc67ELc76EKffEviT_T0_PT8_S1_lS4_S1_lS2_PT9_S1_li.uses_vcc, 1
	.set _ZL37rocblas_syrkx_herkx_restricted_kernelIlfLi16ELi32ELi8ELb1ELb0ELc67ELc76EKffEviT_T0_PT8_S1_lS4_S1_lS2_PT9_S1_li.uses_flat_scratch, 0
	.set _ZL37rocblas_syrkx_herkx_restricted_kernelIlfLi16ELi32ELi8ELb1ELb0ELc67ELc76EKffEviT_T0_PT8_S1_lS4_S1_lS2_PT9_S1_li.has_dyn_sized_stack, 0
	.set _ZL37rocblas_syrkx_herkx_restricted_kernelIlfLi16ELi32ELi8ELb1ELb0ELc67ELc76EKffEviT_T0_PT8_S1_lS4_S1_lS2_PT9_S1_li.has_recursion, 0
	.set _ZL37rocblas_syrkx_herkx_restricted_kernelIlfLi16ELi32ELi8ELb1ELb0ELc67ELc76EKffEviT_T0_PT8_S1_lS4_S1_lS2_PT9_S1_li.has_indirect_call, 0
	.section	.AMDGPU.csdata,"",@progbits
; Kernel info:
; codeLenInByte = 1172
; TotalNumSgprs: 25
; NumVgprs: 26
; ScratchSize: 0
; MemoryBound: 0
; FloatMode: 240
; IeeeMode: 1
; LDSByteSize: 2048 bytes/workgroup (compile time only)
; SGPRBlocks: 3
; VGPRBlocks: 6
; NumSGPRsForWavesPerEU: 25
; NumVGPRsForWavesPerEU: 26
; Occupancy: 9
; WaveLimiterHint : 0
; COMPUTE_PGM_RSRC2:SCRATCH_EN: 0
; COMPUTE_PGM_RSRC2:USER_SGPR: 6
; COMPUTE_PGM_RSRC2:TRAP_HANDLER: 0
; COMPUTE_PGM_RSRC2:TGID_X_EN: 1
; COMPUTE_PGM_RSRC2:TGID_Y_EN: 1
; COMPUTE_PGM_RSRC2:TGID_Z_EN: 1
; COMPUTE_PGM_RSRC2:TIDIG_COMP_CNT: 1
	.section	.text._ZL37rocblas_syrkx_herkx_restricted_kernelIlfLi16ELi32ELi8ELb1ELb0ELc78ELc76EKffEviT_T0_PT8_S1_lS4_S1_lS2_PT9_S1_li,"axG",@progbits,_ZL37rocblas_syrkx_herkx_restricted_kernelIlfLi16ELi32ELi8ELb1ELb0ELc78ELc76EKffEviT_T0_PT8_S1_lS4_S1_lS2_PT9_S1_li,comdat
	.globl	_ZL37rocblas_syrkx_herkx_restricted_kernelIlfLi16ELi32ELi8ELb1ELb0ELc78ELc76EKffEviT_T0_PT8_S1_lS4_S1_lS2_PT9_S1_li ; -- Begin function _ZL37rocblas_syrkx_herkx_restricted_kernelIlfLi16ELi32ELi8ELb1ELb0ELc78ELc76EKffEviT_T0_PT8_S1_lS4_S1_lS2_PT9_S1_li
	.p2align	8
	.type	_ZL37rocblas_syrkx_herkx_restricted_kernelIlfLi16ELi32ELi8ELb1ELb0ELc78ELc76EKffEviT_T0_PT8_S1_lS4_S1_lS2_PT9_S1_li,@function
_ZL37rocblas_syrkx_herkx_restricted_kernelIlfLi16ELi32ELi8ELb1ELb0ELc78ELc76EKffEviT_T0_PT8_S1_lS4_S1_lS2_PT9_S1_li: ; @_ZL37rocblas_syrkx_herkx_restricted_kernelIlfLi16ELi32ELi8ELb1ELb0ELc78ELc76EKffEviT_T0_PT8_S1_lS4_S1_lS2_PT9_S1_li
; %bb.0:
	s_load_dwordx2 s[10:11], s[4:5], 0x8
	s_lshl_b32 s9, s6, 5
	s_lshl_b32 s20, s7, 5
	s_waitcnt lgkmcnt(0)
	v_cmp_lt_i64_e64 s[0:1], s[10:11], 1
	s_and_b64 vcc, exec, s[0:1]
	s_cbranch_vccnz .LBB952_3
; %bb.1:
	s_load_dwordx8 s[12:19], s[4:5], 0x18
	s_load_dwordx4 s[0:3], s[4:5], 0x38
	v_lshl_add_u32 v2, v1, 4, v0
	v_lshrrev_b32_e32 v4, 3, v2
	v_lshrrev_b32_e32 v6, 5, v2
	v_and_b32_e32 v7, 31, v2
	v_add_u32_e32 v2, s20, v4
	v_and_b32_e32 v5, 7, v0
	v_ashrrev_i32_e32 v3, 31, v2
	v_lshlrev_b32_e32 v8, 2, v7
	s_waitcnt lgkmcnt(0)
	v_mad_u64_u32 v[2:3], s[6:7], s0, v5, v[2:3]
	v_lshl_or_b32 v9, v6, 7, v8
	v_lshlrev_b32_e32 v8, 2, v5
	v_lshl_or_b32 v4, v4, 5, v8
	v_add_u32_e32 v10, 0x400, v4
	v_mov_b32_e32 v4, 0x400
	v_lshl_add_u32 v13, v1, 5, v4
	v_mad_u64_u32 v[3:4], s[6:7], s1, v5, v[3:4]
	s_mul_i32 s3, s3, s8
	s_mul_hi_u32 s21, s2, s8
	s_add_i32 s3, s21, s3
	s_mul_i32 s2, s2, s8
	s_lshl_b64 s[2:3], s[2:3], 2
	v_lshlrev_b64 v[2:3], 2, v[2:3]
	s_add_u32 s2, s18, s2
	s_addc_u32 s3, s19, s3
	v_mov_b32_e32 v4, s3
	v_add_co_u32_e32 v2, vcc, s2, v2
	v_addc_co_u32_e32 v3, vcc, v4, v3, vcc
	v_add_u32_e32 v4, s9, v7
	v_ashrrev_i32_e32 v5, 31, v4
	v_mad_u64_u32 v[4:5], s[2:3], s14, v6, v[4:5]
	s_lshl_b64 s[6:7], s[0:1], 5
	s_mul_i32 s2, s17, s8
	v_mad_u64_u32 v[5:6], s[0:1], s15, v6, v[5:6]
	s_mul_hi_u32 s3, s16, s8
	s_add_i32 s1, s3, s2
	s_mul_i32 s0, s16, s8
	s_lshl_b64 s[0:1], s[0:1], 2
	v_lshlrev_b64 v[4:5], 2, v[4:5]
	s_add_u32 s0, s12, s0
	s_addc_u32 s1, s13, s1
	v_mov_b32_e32 v6, s1
	v_add_co_u32_e32 v4, vcc, s0, v4
	v_lshlrev_b32_e32 v11, 2, v0
	v_addc_co_u32_e32 v5, vcc, v6, v5, vcc
	s_lshl_b64 s[12:13], s[14:15], 5
	v_mov_b32_e32 v6, 0
	s_mov_b64 s[14:15], 0
	v_mov_b32_e32 v7, 0
	v_mov_b32_e32 v8, 0
	;; [unrolled: 1-line block ×3, first 2 shown]
.LBB952_2:                              ; =>This Inner Loop Header: Depth=1
	global_load_dword v14, v[4:5], off
	s_add_u32 s14, s14, 8
	s_addc_u32 s15, s15, 0
	v_add_co_u32_e64 v4, s[2:3], s12, v4
	s_waitcnt vmcnt(0)
	ds_write_b32 v9, v14
	global_load_dword v14, v[2:3], off
	v_add_co_u32_e64 v2, s[0:1], s6, v2
	s_waitcnt vmcnt(0)
	ds_write_b32 v10, v14
	s_waitcnt lgkmcnt(0)
	s_barrier
	ds_read2_b32 v[18:19], v11 offset1:16
	ds_read_b128 v[14:17], v13
	ds_read2_b32 v[20:21], v11 offset0:32 offset1:48
	ds_read2_b32 v[22:23], v11 offset0:64 offset1:80
	;; [unrolled: 1-line block ×3, first 2 shown]
	s_waitcnt lgkmcnt(3)
	v_fmac_f32_e32 v12, v18, v14
	v_fmac_f32_e32 v8, v19, v14
	s_waitcnt lgkmcnt(2)
	v_fmac_f32_e32 v12, v20, v15
	v_fmac_f32_e32 v8, v21, v15
	;; [unrolled: 3-line block ×4, first 2 shown]
	ds_read_b128 v[14:17], v13 offset:512
	s_waitcnt lgkmcnt(0)
	v_fmac_f32_e32 v7, v18, v14
	v_fmac_f32_e32 v6, v19, v14
	;; [unrolled: 1-line block ×8, first 2 shown]
	ds_read2_b32 v[18:19], v11 offset0:128 offset1:144
	ds_read_b128 v[14:17], v13 offset:16
	ds_read2_b32 v[20:21], v11 offset0:160 offset1:176
	ds_read2_b32 v[22:23], v11 offset0:192 offset1:208
	;; [unrolled: 1-line block ×3, first 2 shown]
	s_waitcnt lgkmcnt(3)
	v_fmac_f32_e32 v12, v18, v14
	v_fmac_f32_e32 v8, v19, v14
	s_waitcnt lgkmcnt(2)
	v_fmac_f32_e32 v12, v20, v15
	v_fmac_f32_e32 v8, v21, v15
	;; [unrolled: 3-line block ×4, first 2 shown]
	ds_read_b128 v[14:17], v13 offset:528
	s_waitcnt lgkmcnt(0)
	s_barrier
	v_fmac_f32_e32 v7, v18, v14
	v_fmac_f32_e32 v6, v19, v14
	v_fmac_f32_e32 v7, v20, v15
	v_fmac_f32_e32 v6, v21, v15
	v_mov_b32_e32 v14, s14
	v_mov_b32_e32 v15, s15
	v_cmp_le_u64_e32 vcc, s[10:11], v[14:15]
	v_mov_b32_e32 v14, s7
	v_fmac_f32_e32 v7, v22, v16
	v_fmac_f32_e32 v6, v23, v16
	v_addc_co_u32_e64 v3, s[0:1], v3, v14, s[0:1]
	v_mov_b32_e32 v14, s13
	v_fmac_f32_e32 v7, v24, v17
	v_fmac_f32_e32 v6, v25, v17
	v_addc_co_u32_e64 v5, s[0:1], v5, v14, s[2:3]
	s_cbranch_vccz .LBB952_2
	s_branch .LBB952_4
.LBB952_3:
	v_mov_b32_e32 v12, 0
	v_mov_b32_e32 v8, 0
	;; [unrolled: 1-line block ×4, first 2 shown]
.LBB952_4:
	s_load_dwordx2 s[0:1], s[4:5], 0x60
	s_load_dword s10, s[4:5], 0x0
	s_load_dword s6, s[4:5], 0x10
	s_load_dwordx4 s[12:15], s[4:5], 0x50
	v_add_u32_e32 v4, s20, v1
	s_waitcnt lgkmcnt(0)
	s_mul_i32 s1, s1, s8
	s_mul_hi_u32 s2, s0, s8
	v_ashrrev_i32_e32 v1, 31, v4
	s_add_i32 s1, s2, s1
	v_mul_lo_u32 v3, s14, v1
	v_mul_lo_u32 v5, s15, v4
	v_mad_u64_u32 v[1:2], s[2:3], s14, v4, 0
	s_mul_i32 s0, s0, s8
	s_lshl_b64 s[0:1], s[0:1], 2
	v_add3_u32 v2, v2, v3, v5
	s_add_u32 s7, s12, s0
	v_lshlrev_b64 v[1:2], 2, v[1:2]
	s_addc_u32 s8, s13, s1
	v_mov_b32_e32 v3, s8
	v_add_co_u32_e32 v5, vcc, s7, v1
	v_add_u32_e32 v0, s9, v0
	v_addc_co_u32_e32 v9, vcc, v3, v2, vcc
	v_cmp_le_i32_e64 s[0:1], v4, v0
	v_cmp_gt_i32_e32 vcc, s10, v0
	s_and_b64 s[0:1], s[0:1], vcc
	s_and_saveexec_b64 s[2:3], s[0:1]
	s_cbranch_execz .LBB952_6
; %bb.5:
	v_ashrrev_i32_e32 v1, 31, v0
	v_lshlrev_b64 v[1:2], 2, v[0:1]
	v_mul_f32_e32 v3, s6, v12
	v_add_co_u32_e64 v1, s[0:1], v5, v1
	v_addc_co_u32_e64 v2, s[0:1], v9, v2, s[0:1]
	global_store_dword v[1:2], v3, off
.LBB952_6:
	s_or_b64 exec, exec, s[2:3]
	v_add_u32_e32 v2, 16, v0
	v_cmp_le_i32_e64 s[2:3], v4, v2
	v_cmp_gt_i32_e64 s[0:1], s10, v2
	s_and_b64 s[2:3], s[2:3], s[0:1]
	s_and_saveexec_b64 s[4:5], s[2:3]
	s_cbranch_execz .LBB952_8
; %bb.7:
	v_ashrrev_i32_e32 v3, 31, v2
	v_lshlrev_b64 v[10:11], 2, v[2:3]
	v_mul_f32_e32 v1, s6, v8
	v_add_co_u32_e64 v8, s[2:3], v5, v10
	v_addc_co_u32_e64 v9, s[2:3], v9, v11, s[2:3]
	global_store_dword v[8:9], v1, off
.LBB952_8:
	s_or_b64 exec, exec, s[4:5]
	v_add_u32_e32 v3, 16, v4
	v_ashrrev_i32_e32 v1, 31, v3
	v_mul_lo_u32 v8, s15, v3
	v_mad_u64_u32 v[4:5], s[2:3], s14, v3, 0
	v_mul_lo_u32 v1, s14, v1
	v_add3_u32 v5, v5, v1, v8
	v_lshlrev_b64 v[4:5], 2, v[4:5]
	v_mov_b32_e32 v1, s8
	v_add_co_u32_e64 v4, s[2:3], s7, v4
	v_addc_co_u32_e64 v5, s[2:3], v1, v5, s[2:3]
	v_cmp_le_i32_e64 s[2:3], v3, v0
	s_and_b64 s[4:5], s[2:3], vcc
	s_and_saveexec_b64 s[2:3], s[4:5]
	s_cbranch_execz .LBB952_10
; %bb.9:
	v_ashrrev_i32_e32 v1, 31, v0
	v_lshlrev_b64 v[0:1], 2, v[0:1]
	v_mul_f32_e32 v7, s6, v7
	v_add_co_u32_e32 v0, vcc, v4, v0
	v_addc_co_u32_e32 v1, vcc, v5, v1, vcc
	global_store_dword v[0:1], v7, off
.LBB952_10:
	s_or_b64 exec, exec, s[2:3]
	v_cmp_le_i32_e32 vcc, v3, v2
	s_and_b64 s[0:1], vcc, s[0:1]
	s_and_saveexec_b64 s[2:3], s[0:1]
	s_cbranch_execz .LBB952_12
; %bb.11:
	v_ashrrev_i32_e32 v3, 31, v2
	v_lshlrev_b64 v[0:1], 2, v[2:3]
	v_mul_f32_e32 v6, s6, v6
	v_add_co_u32_e32 v0, vcc, v4, v0
	v_addc_co_u32_e32 v1, vcc, v5, v1, vcc
	global_store_dword v[0:1], v6, off
.LBB952_12:
	s_endpgm
	.section	.rodata,"a",@progbits
	.p2align	6, 0x0
	.amdhsa_kernel _ZL37rocblas_syrkx_herkx_restricted_kernelIlfLi16ELi32ELi8ELb1ELb0ELc78ELc76EKffEviT_T0_PT8_S1_lS4_S1_lS2_PT9_S1_li
		.amdhsa_group_segment_fixed_size 2048
		.amdhsa_private_segment_fixed_size 0
		.amdhsa_kernarg_size 108
		.amdhsa_user_sgpr_count 6
		.amdhsa_user_sgpr_private_segment_buffer 1
		.amdhsa_user_sgpr_dispatch_ptr 0
		.amdhsa_user_sgpr_queue_ptr 0
		.amdhsa_user_sgpr_kernarg_segment_ptr 1
		.amdhsa_user_sgpr_dispatch_id 0
		.amdhsa_user_sgpr_flat_scratch_init 0
		.amdhsa_user_sgpr_private_segment_size 0
		.amdhsa_uses_dynamic_stack 0
		.amdhsa_system_sgpr_private_segment_wavefront_offset 0
		.amdhsa_system_sgpr_workgroup_id_x 1
		.amdhsa_system_sgpr_workgroup_id_y 1
		.amdhsa_system_sgpr_workgroup_id_z 1
		.amdhsa_system_sgpr_workgroup_info 0
		.amdhsa_system_vgpr_workitem_id 1
		.amdhsa_next_free_vgpr 26
		.amdhsa_next_free_sgpr 22
		.amdhsa_reserve_vcc 1
		.amdhsa_reserve_flat_scratch 0
		.amdhsa_float_round_mode_32 0
		.amdhsa_float_round_mode_16_64 0
		.amdhsa_float_denorm_mode_32 3
		.amdhsa_float_denorm_mode_16_64 3
		.amdhsa_dx10_clamp 1
		.amdhsa_ieee_mode 1
		.amdhsa_fp16_overflow 0
		.amdhsa_exception_fp_ieee_invalid_op 0
		.amdhsa_exception_fp_denorm_src 0
		.amdhsa_exception_fp_ieee_div_zero 0
		.amdhsa_exception_fp_ieee_overflow 0
		.amdhsa_exception_fp_ieee_underflow 0
		.amdhsa_exception_fp_ieee_inexact 0
		.amdhsa_exception_int_div_zero 0
	.end_amdhsa_kernel
	.section	.text._ZL37rocblas_syrkx_herkx_restricted_kernelIlfLi16ELi32ELi8ELb1ELb0ELc78ELc76EKffEviT_T0_PT8_S1_lS4_S1_lS2_PT9_S1_li,"axG",@progbits,_ZL37rocblas_syrkx_herkx_restricted_kernelIlfLi16ELi32ELi8ELb1ELb0ELc78ELc76EKffEviT_T0_PT8_S1_lS4_S1_lS2_PT9_S1_li,comdat
.Lfunc_end952:
	.size	_ZL37rocblas_syrkx_herkx_restricted_kernelIlfLi16ELi32ELi8ELb1ELb0ELc78ELc76EKffEviT_T0_PT8_S1_lS4_S1_lS2_PT9_S1_li, .Lfunc_end952-_ZL37rocblas_syrkx_herkx_restricted_kernelIlfLi16ELi32ELi8ELb1ELb0ELc78ELc76EKffEviT_T0_PT8_S1_lS4_S1_lS2_PT9_S1_li
                                        ; -- End function
	.set _ZL37rocblas_syrkx_herkx_restricted_kernelIlfLi16ELi32ELi8ELb1ELb0ELc78ELc76EKffEviT_T0_PT8_S1_lS4_S1_lS2_PT9_S1_li.num_vgpr, 26
	.set _ZL37rocblas_syrkx_herkx_restricted_kernelIlfLi16ELi32ELi8ELb1ELb0ELc78ELc76EKffEviT_T0_PT8_S1_lS4_S1_lS2_PT9_S1_li.num_agpr, 0
	.set _ZL37rocblas_syrkx_herkx_restricted_kernelIlfLi16ELi32ELi8ELb1ELb0ELc78ELc76EKffEviT_T0_PT8_S1_lS4_S1_lS2_PT9_S1_li.numbered_sgpr, 22
	.set _ZL37rocblas_syrkx_herkx_restricted_kernelIlfLi16ELi32ELi8ELb1ELb0ELc78ELc76EKffEviT_T0_PT8_S1_lS4_S1_lS2_PT9_S1_li.num_named_barrier, 0
	.set _ZL37rocblas_syrkx_herkx_restricted_kernelIlfLi16ELi32ELi8ELb1ELb0ELc78ELc76EKffEviT_T0_PT8_S1_lS4_S1_lS2_PT9_S1_li.private_seg_size, 0
	.set _ZL37rocblas_syrkx_herkx_restricted_kernelIlfLi16ELi32ELi8ELb1ELb0ELc78ELc76EKffEviT_T0_PT8_S1_lS4_S1_lS2_PT9_S1_li.uses_vcc, 1
	.set _ZL37rocblas_syrkx_herkx_restricted_kernelIlfLi16ELi32ELi8ELb1ELb0ELc78ELc76EKffEviT_T0_PT8_S1_lS4_S1_lS2_PT9_S1_li.uses_flat_scratch, 0
	.set _ZL37rocblas_syrkx_herkx_restricted_kernelIlfLi16ELi32ELi8ELb1ELb0ELc78ELc76EKffEviT_T0_PT8_S1_lS4_S1_lS2_PT9_S1_li.has_dyn_sized_stack, 0
	.set _ZL37rocblas_syrkx_herkx_restricted_kernelIlfLi16ELi32ELi8ELb1ELb0ELc78ELc76EKffEviT_T0_PT8_S1_lS4_S1_lS2_PT9_S1_li.has_recursion, 0
	.set _ZL37rocblas_syrkx_herkx_restricted_kernelIlfLi16ELi32ELi8ELb1ELb0ELc78ELc76EKffEviT_T0_PT8_S1_lS4_S1_lS2_PT9_S1_li.has_indirect_call, 0
	.section	.AMDGPU.csdata,"",@progbits
; Kernel info:
; codeLenInByte = 1152
; TotalNumSgprs: 26
; NumVgprs: 26
; ScratchSize: 0
; MemoryBound: 0
; FloatMode: 240
; IeeeMode: 1
; LDSByteSize: 2048 bytes/workgroup (compile time only)
; SGPRBlocks: 3
; VGPRBlocks: 6
; NumSGPRsForWavesPerEU: 26
; NumVGPRsForWavesPerEU: 26
; Occupancy: 9
; WaveLimiterHint : 0
; COMPUTE_PGM_RSRC2:SCRATCH_EN: 0
; COMPUTE_PGM_RSRC2:USER_SGPR: 6
; COMPUTE_PGM_RSRC2:TRAP_HANDLER: 0
; COMPUTE_PGM_RSRC2:TGID_X_EN: 1
; COMPUTE_PGM_RSRC2:TGID_Y_EN: 1
; COMPUTE_PGM_RSRC2:TGID_Z_EN: 1
; COMPUTE_PGM_RSRC2:TIDIG_COMP_CNT: 1
	.section	.text._ZL37rocblas_syrkx_herkx_restricted_kernelIlfLi16ELi32ELi8ELb1ELb0ELc84ELc85EKffEviT_T0_PT8_S1_lS4_S1_lS2_PT9_S1_li,"axG",@progbits,_ZL37rocblas_syrkx_herkx_restricted_kernelIlfLi16ELi32ELi8ELb1ELb0ELc84ELc85EKffEviT_T0_PT8_S1_lS4_S1_lS2_PT9_S1_li,comdat
	.globl	_ZL37rocblas_syrkx_herkx_restricted_kernelIlfLi16ELi32ELi8ELb1ELb0ELc84ELc85EKffEviT_T0_PT8_S1_lS4_S1_lS2_PT9_S1_li ; -- Begin function _ZL37rocblas_syrkx_herkx_restricted_kernelIlfLi16ELi32ELi8ELb1ELb0ELc84ELc85EKffEviT_T0_PT8_S1_lS4_S1_lS2_PT9_S1_li
	.p2align	8
	.type	_ZL37rocblas_syrkx_herkx_restricted_kernelIlfLi16ELi32ELi8ELb1ELb0ELc84ELc85EKffEviT_T0_PT8_S1_lS4_S1_lS2_PT9_S1_li,@function
_ZL37rocblas_syrkx_herkx_restricted_kernelIlfLi16ELi32ELi8ELb1ELb0ELc84ELc85EKffEviT_T0_PT8_S1_lS4_S1_lS2_PT9_S1_li: ; @_ZL37rocblas_syrkx_herkx_restricted_kernelIlfLi16ELi32ELi8ELb1ELb0ELc84ELc85EKffEviT_T0_PT8_S1_lS4_S1_lS2_PT9_S1_li
; %bb.0:
	s_load_dwordx2 s[10:11], s[4:5], 0x8
	s_lshl_b32 s9, s6, 5
	s_lshl_b32 s20, s7, 5
	s_waitcnt lgkmcnt(0)
	v_cmp_lt_i64_e64 s[0:1], s[10:11], 1
	s_and_b64 vcc, exec, s[0:1]
	s_cbranch_vccnz .LBB953_3
; %bb.1:
	s_load_dwordx8 s[12:19], s[4:5], 0x18
	s_load_dwordx4 s[0:3], s[4:5], 0x38
	v_lshl_add_u32 v3, v1, 4, v0
	v_and_b32_e32 v2, 7, v0
	v_lshrrev_b32_e32 v4, 3, v3
	v_lshlrev_b32_e32 v10, 2, v2
	v_add_u32_e32 v5, s20, v4
	v_lshl_or_b32 v4, v4, 5, v10
	v_lshrrev_b32_e32 v6, 5, v3
	v_and_b32_e32 v8, 31, v3
	v_ashrrev_i32_e32 v12, 31, v5
	v_mov_b32_e32 v3, 0
	v_add_u32_e32 v10, 0x400, v4
	v_mov_b32_e32 v4, 0x400
	v_lshl_add_u32 v13, v1, 5, v4
	s_waitcnt lgkmcnt(0)
	v_mul_lo_u32 v12, s0, v12
	v_mul_lo_u32 v14, s1, v5
	v_mad_u64_u32 v[4:5], s[0:1], s0, v5, v[2:3]
	s_mul_i32 s3, s3, s8
	s_mul_hi_u32 s6, s2, s8
	s_add_i32 s1, s6, s3
	s_mul_i32 s0, s2, s8
	s_lshl_b64 s[0:1], s[0:1], 2
	v_add3_u32 v5, v14, v5, v12
	v_lshlrev_b64 v[4:5], 2, v[4:5]
	s_add_u32 s0, s18, s0
	s_addc_u32 s1, s19, s1
	v_mov_b32_e32 v2, s1
	v_add_co_u32_e32 v4, vcc, s0, v4
	v_addc_co_u32_e32 v5, vcc, v2, v5, vcc
	v_add_u32_e32 v2, s9, v8
	v_mov_b32_e32 v7, v3
	v_lshlrev_b32_e32 v9, 2, v8
	v_ashrrev_i32_e32 v8, 31, v2
	v_lshl_or_b32 v9, v6, 7, v9
	v_mul_lo_u32 v8, s14, v8
	v_mad_u64_u32 v[6:7], s[0:1], s14, v2, v[6:7]
	v_mul_lo_u32 v2, s15, v2
	s_mul_i32 s2, s17, s8
	s_mul_hi_u32 s3, s16, s8
	s_add_i32 s1, s3, s2
	s_mul_i32 s0, s16, s8
	s_lshl_b64 s[0:1], s[0:1], 2
	v_add3_u32 v7, v2, v7, v8
	v_lshlrev_b64 v[6:7], 2, v[6:7]
	s_add_u32 s0, s12, s0
	s_addc_u32 s1, s13, s1
	v_mov_b32_e32 v2, s1
	v_add_co_u32_e32 v6, vcc, s0, v6
	v_lshlrev_b32_e32 v11, 2, v0
	v_addc_co_u32_e32 v7, vcc, v2, v7, vcc
	s_mov_b64 s[6:7], 0
	v_mov_b32_e32 v2, v3
	v_mov_b32_e32 v8, v3
	;; [unrolled: 1-line block ×3, first 2 shown]
.LBB953_2:                              ; =>This Inner Loop Header: Depth=1
	global_load_dword v14, v[6:7], off
	s_add_u32 s6, s6, 8
	s_addc_u32 s7, s7, 0
	v_add_co_u32_e64 v6, s[2:3], 32, v6
	s_waitcnt vmcnt(0)
	ds_write_b32 v9, v14
	global_load_dword v14, v[4:5], off
	v_add_co_u32_e64 v4, s[0:1], 32, v4
	v_addc_co_u32_e64 v5, s[0:1], 0, v5, s[0:1]
	v_addc_co_u32_e64 v7, s[0:1], 0, v7, s[2:3]
	s_waitcnt vmcnt(0)
	ds_write_b32 v10, v14
	s_waitcnt lgkmcnt(0)
	s_barrier
	ds_read2_b32 v[18:19], v11 offset1:16
	ds_read_b128 v[14:17], v13
	ds_read2_b32 v[20:21], v11 offset0:32 offset1:48
	ds_read2_b32 v[22:23], v11 offset0:64 offset1:80
	;; [unrolled: 1-line block ×3, first 2 shown]
	s_waitcnt lgkmcnt(3)
	v_fmac_f32_e32 v12, v18, v14
	v_fmac_f32_e32 v8, v19, v14
	s_waitcnt lgkmcnt(2)
	v_fmac_f32_e32 v12, v20, v15
	v_fmac_f32_e32 v8, v21, v15
	;; [unrolled: 3-line block ×4, first 2 shown]
	ds_read_b128 v[14:17], v13 offset:512
	s_waitcnt lgkmcnt(0)
	v_fmac_f32_e32 v2, v18, v14
	v_fmac_f32_e32 v3, v19, v14
	;; [unrolled: 1-line block ×8, first 2 shown]
	ds_read2_b32 v[18:19], v11 offset0:128 offset1:144
	ds_read_b128 v[14:17], v13 offset:16
	ds_read2_b32 v[20:21], v11 offset0:160 offset1:176
	ds_read2_b32 v[22:23], v11 offset0:192 offset1:208
	;; [unrolled: 1-line block ×3, first 2 shown]
	s_waitcnt lgkmcnt(3)
	v_fmac_f32_e32 v12, v18, v14
	v_fmac_f32_e32 v8, v19, v14
	s_waitcnt lgkmcnt(2)
	v_fmac_f32_e32 v12, v20, v15
	v_fmac_f32_e32 v8, v21, v15
	;; [unrolled: 3-line block ×4, first 2 shown]
	ds_read_b128 v[14:17], v13 offset:528
	s_waitcnt lgkmcnt(0)
	s_barrier
	v_fmac_f32_e32 v2, v18, v14
	v_fmac_f32_e32 v3, v19, v14
	;; [unrolled: 1-line block ×4, first 2 shown]
	v_mov_b32_e32 v15, s7
	v_mov_b32_e32 v14, s6
	v_cmp_le_u64_e32 vcc, s[10:11], v[14:15]
	v_fmac_f32_e32 v2, v22, v16
	v_fmac_f32_e32 v3, v23, v16
	;; [unrolled: 1-line block ×4, first 2 shown]
	s_cbranch_vccz .LBB953_2
	s_branch .LBB953_4
.LBB953_3:
	v_mov_b32_e32 v12, 0
	v_mov_b32_e32 v8, 0
	v_mov_b32_e32 v2, 0
	v_mov_b32_e32 v3, 0
.LBB953_4:
	s_load_dwordx2 s[10:11], s[4:5], 0x60
	s_load_dword s7, s[4:5], 0x0
	s_load_dword s6, s[4:5], 0x10
	s_load_dwordx4 s[0:3], s[4:5], 0x50
	v_add_u32_e32 v6, s20, v1
	s_waitcnt lgkmcnt(0)
	s_mul_i32 s4, s11, s8
	s_mul_hi_u32 s5, s10, s8
	v_ashrrev_i32_e32 v1, 31, v6
	s_add_i32 s5, s5, s4
	s_mul_i32 s4, s10, s8
	v_mul_lo_u32 v1, s2, v1
	v_mul_lo_u32 v7, s3, v6
	v_mad_u64_u32 v[4:5], s[10:11], s2, v6, 0
	s_lshl_b64 s[4:5], s[4:5], 2
	s_add_u32 s8, s0, s4
	v_add3_u32 v5, v5, v1, v7
	v_lshlrev_b64 v[4:5], 2, v[4:5]
	s_addc_u32 s10, s1, s5
	v_mov_b32_e32 v1, s10
	v_add_co_u32_e64 v7, s[0:1], s8, v4
	v_add_u32_e32 v0, s9, v0
	v_addc_co_u32_e64 v9, s[0:1], v1, v5, s[0:1]
	v_cmp_gt_i32_e32 vcc, s7, v6
	v_cmp_le_i32_e64 s[0:1], v0, v6
	s_and_b64 s[0:1], vcc, s[0:1]
	s_and_saveexec_b64 s[4:5], s[0:1]
	s_cbranch_execz .LBB953_6
; %bb.5:
	v_ashrrev_i32_e32 v1, 31, v0
	v_lshlrev_b64 v[4:5], 2, v[0:1]
	v_mul_f32_e32 v10, s6, v12
	v_add_co_u32_e64 v4, s[0:1], v7, v4
	v_addc_co_u32_e64 v5, s[0:1], v9, v5, s[0:1]
	global_store_dword v[4:5], v10, off
.LBB953_6:
	s_or_b64 exec, exec, s[4:5]
	v_add_u32_e32 v4, 16, v0
	v_cmp_le_i32_e64 s[0:1], v4, v6
	s_and_b64 s[4:5], vcc, s[0:1]
	s_and_saveexec_b64 s[0:1], s[4:5]
	s_cbranch_execz .LBB953_8
; %bb.7:
	v_ashrrev_i32_e32 v5, 31, v4
	v_lshlrev_b64 v[10:11], 2, v[4:5]
	v_mul_f32_e32 v1, s6, v8
	v_add_co_u32_e32 v7, vcc, v7, v10
	v_addc_co_u32_e32 v8, vcc, v9, v11, vcc
	global_store_dword v[7:8], v1, off
.LBB953_8:
	s_or_b64 exec, exec, s[0:1]
	v_add_u32_e32 v5, 16, v6
	v_ashrrev_i32_e32 v1, 31, v5
	v_mul_lo_u32 v1, s2, v1
	v_mul_lo_u32 v8, s3, v5
	v_mad_u64_u32 v[6:7], s[0:1], s2, v5, 0
	v_cmp_gt_i32_e32 vcc, s7, v5
	v_add3_u32 v7, v7, v1, v8
	v_lshlrev_b64 v[6:7], 2, v[6:7]
	v_mov_b32_e32 v1, s10
	v_add_co_u32_e64 v6, s[0:1], s8, v6
	v_addc_co_u32_e64 v7, s[0:1], v1, v7, s[0:1]
	v_cmp_le_i32_e64 s[0:1], v0, v5
	s_and_b64 s[0:1], vcc, s[0:1]
	s_and_saveexec_b64 s[2:3], s[0:1]
	s_cbranch_execz .LBB953_10
; %bb.9:
	v_ashrrev_i32_e32 v1, 31, v0
	v_lshlrev_b64 v[0:1], 2, v[0:1]
	v_mul_f32_e32 v2, s6, v2
	v_add_co_u32_e64 v0, s[0:1], v6, v0
	v_addc_co_u32_e64 v1, s[0:1], v7, v1, s[0:1]
	global_store_dword v[0:1], v2, off
.LBB953_10:
	s_or_b64 exec, exec, s[2:3]
	v_cmp_le_i32_e64 s[0:1], v4, v5
	s_and_b64 s[0:1], vcc, s[0:1]
	s_and_saveexec_b64 s[2:3], s[0:1]
	s_cbranch_execz .LBB953_12
; %bb.11:
	v_ashrrev_i32_e32 v5, 31, v4
	v_lshlrev_b64 v[0:1], 2, v[4:5]
	v_mul_f32_e32 v2, s6, v3
	v_add_co_u32_e32 v0, vcc, v6, v0
	v_addc_co_u32_e32 v1, vcc, v7, v1, vcc
	global_store_dword v[0:1], v2, off
.LBB953_12:
	s_endpgm
	.section	.rodata,"a",@progbits
	.p2align	6, 0x0
	.amdhsa_kernel _ZL37rocblas_syrkx_herkx_restricted_kernelIlfLi16ELi32ELi8ELb1ELb0ELc84ELc85EKffEviT_T0_PT8_S1_lS4_S1_lS2_PT9_S1_li
		.amdhsa_group_segment_fixed_size 2048
		.amdhsa_private_segment_fixed_size 0
		.amdhsa_kernarg_size 108
		.amdhsa_user_sgpr_count 6
		.amdhsa_user_sgpr_private_segment_buffer 1
		.amdhsa_user_sgpr_dispatch_ptr 0
		.amdhsa_user_sgpr_queue_ptr 0
		.amdhsa_user_sgpr_kernarg_segment_ptr 1
		.amdhsa_user_sgpr_dispatch_id 0
		.amdhsa_user_sgpr_flat_scratch_init 0
		.amdhsa_user_sgpr_private_segment_size 0
		.amdhsa_uses_dynamic_stack 0
		.amdhsa_system_sgpr_private_segment_wavefront_offset 0
		.amdhsa_system_sgpr_workgroup_id_x 1
		.amdhsa_system_sgpr_workgroup_id_y 1
		.amdhsa_system_sgpr_workgroup_id_z 1
		.amdhsa_system_sgpr_workgroup_info 0
		.amdhsa_system_vgpr_workitem_id 1
		.amdhsa_next_free_vgpr 26
		.amdhsa_next_free_sgpr 21
		.amdhsa_reserve_vcc 1
		.amdhsa_reserve_flat_scratch 0
		.amdhsa_float_round_mode_32 0
		.amdhsa_float_round_mode_16_64 0
		.amdhsa_float_denorm_mode_32 3
		.amdhsa_float_denorm_mode_16_64 3
		.amdhsa_dx10_clamp 1
		.amdhsa_ieee_mode 1
		.amdhsa_fp16_overflow 0
		.amdhsa_exception_fp_ieee_invalid_op 0
		.amdhsa_exception_fp_denorm_src 0
		.amdhsa_exception_fp_ieee_div_zero 0
		.amdhsa_exception_fp_ieee_overflow 0
		.amdhsa_exception_fp_ieee_underflow 0
		.amdhsa_exception_fp_ieee_inexact 0
		.amdhsa_exception_int_div_zero 0
	.end_amdhsa_kernel
	.section	.text._ZL37rocblas_syrkx_herkx_restricted_kernelIlfLi16ELi32ELi8ELb1ELb0ELc84ELc85EKffEviT_T0_PT8_S1_lS4_S1_lS2_PT9_S1_li,"axG",@progbits,_ZL37rocblas_syrkx_herkx_restricted_kernelIlfLi16ELi32ELi8ELb1ELb0ELc84ELc85EKffEviT_T0_PT8_S1_lS4_S1_lS2_PT9_S1_li,comdat
.Lfunc_end953:
	.size	_ZL37rocblas_syrkx_herkx_restricted_kernelIlfLi16ELi32ELi8ELb1ELb0ELc84ELc85EKffEviT_T0_PT8_S1_lS4_S1_lS2_PT9_S1_li, .Lfunc_end953-_ZL37rocblas_syrkx_herkx_restricted_kernelIlfLi16ELi32ELi8ELb1ELb0ELc84ELc85EKffEviT_T0_PT8_S1_lS4_S1_lS2_PT9_S1_li
                                        ; -- End function
	.set _ZL37rocblas_syrkx_herkx_restricted_kernelIlfLi16ELi32ELi8ELb1ELb0ELc84ELc85EKffEviT_T0_PT8_S1_lS4_S1_lS2_PT9_S1_li.num_vgpr, 26
	.set _ZL37rocblas_syrkx_herkx_restricted_kernelIlfLi16ELi32ELi8ELb1ELb0ELc84ELc85EKffEviT_T0_PT8_S1_lS4_S1_lS2_PT9_S1_li.num_agpr, 0
	.set _ZL37rocblas_syrkx_herkx_restricted_kernelIlfLi16ELi32ELi8ELb1ELb0ELc84ELc85EKffEviT_T0_PT8_S1_lS4_S1_lS2_PT9_S1_li.numbered_sgpr, 21
	.set _ZL37rocblas_syrkx_herkx_restricted_kernelIlfLi16ELi32ELi8ELb1ELb0ELc84ELc85EKffEviT_T0_PT8_S1_lS4_S1_lS2_PT9_S1_li.num_named_barrier, 0
	.set _ZL37rocblas_syrkx_herkx_restricted_kernelIlfLi16ELi32ELi8ELb1ELb0ELc84ELc85EKffEviT_T0_PT8_S1_lS4_S1_lS2_PT9_S1_li.private_seg_size, 0
	.set _ZL37rocblas_syrkx_herkx_restricted_kernelIlfLi16ELi32ELi8ELb1ELb0ELc84ELc85EKffEviT_T0_PT8_S1_lS4_S1_lS2_PT9_S1_li.uses_vcc, 1
	.set _ZL37rocblas_syrkx_herkx_restricted_kernelIlfLi16ELi32ELi8ELb1ELb0ELc84ELc85EKffEviT_T0_PT8_S1_lS4_S1_lS2_PT9_S1_li.uses_flat_scratch, 0
	.set _ZL37rocblas_syrkx_herkx_restricted_kernelIlfLi16ELi32ELi8ELb1ELb0ELc84ELc85EKffEviT_T0_PT8_S1_lS4_S1_lS2_PT9_S1_li.has_dyn_sized_stack, 0
	.set _ZL37rocblas_syrkx_herkx_restricted_kernelIlfLi16ELi32ELi8ELb1ELb0ELc84ELc85EKffEviT_T0_PT8_S1_lS4_S1_lS2_PT9_S1_li.has_recursion, 0
	.set _ZL37rocblas_syrkx_herkx_restricted_kernelIlfLi16ELi32ELi8ELb1ELb0ELc84ELc85EKffEviT_T0_PT8_S1_lS4_S1_lS2_PT9_S1_li.has_indirect_call, 0
	.section	.AMDGPU.csdata,"",@progbits
; Kernel info:
; codeLenInByte = 1180
; TotalNumSgprs: 25
; NumVgprs: 26
; ScratchSize: 0
; MemoryBound: 0
; FloatMode: 240
; IeeeMode: 1
; LDSByteSize: 2048 bytes/workgroup (compile time only)
; SGPRBlocks: 3
; VGPRBlocks: 6
; NumSGPRsForWavesPerEU: 25
; NumVGPRsForWavesPerEU: 26
; Occupancy: 9
; WaveLimiterHint : 0
; COMPUTE_PGM_RSRC2:SCRATCH_EN: 0
; COMPUTE_PGM_RSRC2:USER_SGPR: 6
; COMPUTE_PGM_RSRC2:TRAP_HANDLER: 0
; COMPUTE_PGM_RSRC2:TGID_X_EN: 1
; COMPUTE_PGM_RSRC2:TGID_Y_EN: 1
; COMPUTE_PGM_RSRC2:TGID_Z_EN: 1
; COMPUTE_PGM_RSRC2:TIDIG_COMP_CNT: 1
	.section	.text._ZL37rocblas_syrkx_herkx_restricted_kernelIlfLi16ELi32ELi8ELb1ELb0ELc67ELc85EKffEviT_T0_PT8_S1_lS4_S1_lS2_PT9_S1_li,"axG",@progbits,_ZL37rocblas_syrkx_herkx_restricted_kernelIlfLi16ELi32ELi8ELb1ELb0ELc67ELc85EKffEviT_T0_PT8_S1_lS4_S1_lS2_PT9_S1_li,comdat
	.globl	_ZL37rocblas_syrkx_herkx_restricted_kernelIlfLi16ELi32ELi8ELb1ELb0ELc67ELc85EKffEviT_T0_PT8_S1_lS4_S1_lS2_PT9_S1_li ; -- Begin function _ZL37rocblas_syrkx_herkx_restricted_kernelIlfLi16ELi32ELi8ELb1ELb0ELc67ELc85EKffEviT_T0_PT8_S1_lS4_S1_lS2_PT9_S1_li
	.p2align	8
	.type	_ZL37rocblas_syrkx_herkx_restricted_kernelIlfLi16ELi32ELi8ELb1ELb0ELc67ELc85EKffEviT_T0_PT8_S1_lS4_S1_lS2_PT9_S1_li,@function
_ZL37rocblas_syrkx_herkx_restricted_kernelIlfLi16ELi32ELi8ELb1ELb0ELc67ELc85EKffEviT_T0_PT8_S1_lS4_S1_lS2_PT9_S1_li: ; @_ZL37rocblas_syrkx_herkx_restricted_kernelIlfLi16ELi32ELi8ELb1ELb0ELc67ELc85EKffEviT_T0_PT8_S1_lS4_S1_lS2_PT9_S1_li
; %bb.0:
	s_load_dwordx2 s[10:11], s[4:5], 0x8
	s_lshl_b32 s9, s6, 5
	s_lshl_b32 s20, s7, 5
	s_waitcnt lgkmcnt(0)
	v_cmp_lt_i64_e64 s[0:1], s[10:11], 1
	s_and_b64 vcc, exec, s[0:1]
	s_cbranch_vccnz .LBB954_3
; %bb.1:
	s_load_dwordx8 s[12:19], s[4:5], 0x18
	s_load_dwordx4 s[0:3], s[4:5], 0x38
	v_lshl_add_u32 v3, v1, 4, v0
	v_and_b32_e32 v2, 7, v0
	v_lshrrev_b32_e32 v4, 3, v3
	v_lshlrev_b32_e32 v10, 2, v2
	v_add_u32_e32 v5, s20, v4
	v_lshl_or_b32 v4, v4, 5, v10
	v_lshrrev_b32_e32 v6, 5, v3
	v_and_b32_e32 v8, 31, v3
	v_ashrrev_i32_e32 v12, 31, v5
	v_mov_b32_e32 v3, 0
	v_add_u32_e32 v10, 0x400, v4
	v_mov_b32_e32 v4, 0x400
	v_lshl_add_u32 v13, v1, 5, v4
	s_waitcnt lgkmcnt(0)
	v_mul_lo_u32 v12, s0, v12
	v_mul_lo_u32 v14, s1, v5
	v_mad_u64_u32 v[4:5], s[0:1], s0, v5, v[2:3]
	s_mul_i32 s3, s3, s8
	s_mul_hi_u32 s6, s2, s8
	s_add_i32 s1, s6, s3
	s_mul_i32 s0, s2, s8
	s_lshl_b64 s[0:1], s[0:1], 2
	v_add3_u32 v5, v14, v5, v12
	v_lshlrev_b64 v[4:5], 2, v[4:5]
	s_add_u32 s0, s18, s0
	s_addc_u32 s1, s19, s1
	v_mov_b32_e32 v2, s1
	v_add_co_u32_e32 v4, vcc, s0, v4
	v_addc_co_u32_e32 v5, vcc, v2, v5, vcc
	v_add_u32_e32 v2, s9, v8
	v_mov_b32_e32 v7, v3
	v_lshlrev_b32_e32 v9, 2, v8
	v_ashrrev_i32_e32 v8, 31, v2
	v_lshl_or_b32 v9, v6, 7, v9
	v_mul_lo_u32 v8, s14, v8
	v_mad_u64_u32 v[6:7], s[0:1], s14, v2, v[6:7]
	v_mul_lo_u32 v2, s15, v2
	s_mul_i32 s2, s17, s8
	s_mul_hi_u32 s3, s16, s8
	s_add_i32 s1, s3, s2
	s_mul_i32 s0, s16, s8
	s_lshl_b64 s[0:1], s[0:1], 2
	v_add3_u32 v7, v2, v7, v8
	v_lshlrev_b64 v[6:7], 2, v[6:7]
	s_add_u32 s0, s12, s0
	s_addc_u32 s1, s13, s1
	v_mov_b32_e32 v2, s1
	v_add_co_u32_e32 v6, vcc, s0, v6
	v_lshlrev_b32_e32 v11, 2, v0
	v_addc_co_u32_e32 v7, vcc, v2, v7, vcc
	s_mov_b64 s[6:7], 0
	v_mov_b32_e32 v2, v3
	v_mov_b32_e32 v8, v3
	;; [unrolled: 1-line block ×3, first 2 shown]
.LBB954_2:                              ; =>This Inner Loop Header: Depth=1
	global_load_dword v14, v[6:7], off
	s_add_u32 s6, s6, 8
	s_addc_u32 s7, s7, 0
	v_add_co_u32_e64 v6, s[2:3], 32, v6
	s_waitcnt vmcnt(0)
	ds_write_b32 v9, v14
	global_load_dword v14, v[4:5], off
	v_add_co_u32_e64 v4, s[0:1], 32, v4
	v_addc_co_u32_e64 v5, s[0:1], 0, v5, s[0:1]
	v_addc_co_u32_e64 v7, s[0:1], 0, v7, s[2:3]
	s_waitcnt vmcnt(0)
	ds_write_b32 v10, v14
	s_waitcnt lgkmcnt(0)
	s_barrier
	ds_read2_b32 v[18:19], v11 offset1:16
	ds_read_b128 v[14:17], v13
	ds_read2_b32 v[20:21], v11 offset0:32 offset1:48
	ds_read2_b32 v[22:23], v11 offset0:64 offset1:80
	;; [unrolled: 1-line block ×3, first 2 shown]
	s_waitcnt lgkmcnt(3)
	v_fmac_f32_e32 v12, v18, v14
	v_fmac_f32_e32 v8, v19, v14
	s_waitcnt lgkmcnt(2)
	v_fmac_f32_e32 v12, v20, v15
	v_fmac_f32_e32 v8, v21, v15
	;; [unrolled: 3-line block ×4, first 2 shown]
	ds_read_b128 v[14:17], v13 offset:512
	s_waitcnt lgkmcnt(0)
	v_fmac_f32_e32 v2, v18, v14
	v_fmac_f32_e32 v3, v19, v14
	;; [unrolled: 1-line block ×8, first 2 shown]
	ds_read2_b32 v[18:19], v11 offset0:128 offset1:144
	ds_read_b128 v[14:17], v13 offset:16
	ds_read2_b32 v[20:21], v11 offset0:160 offset1:176
	ds_read2_b32 v[22:23], v11 offset0:192 offset1:208
	;; [unrolled: 1-line block ×3, first 2 shown]
	s_waitcnt lgkmcnt(3)
	v_fmac_f32_e32 v12, v18, v14
	v_fmac_f32_e32 v8, v19, v14
	s_waitcnt lgkmcnt(2)
	v_fmac_f32_e32 v12, v20, v15
	v_fmac_f32_e32 v8, v21, v15
	;; [unrolled: 3-line block ×4, first 2 shown]
	ds_read_b128 v[14:17], v13 offset:528
	s_waitcnt lgkmcnt(0)
	s_barrier
	v_fmac_f32_e32 v2, v18, v14
	v_fmac_f32_e32 v3, v19, v14
	;; [unrolled: 1-line block ×4, first 2 shown]
	v_mov_b32_e32 v15, s7
	v_mov_b32_e32 v14, s6
	v_cmp_le_u64_e32 vcc, s[10:11], v[14:15]
	v_fmac_f32_e32 v2, v22, v16
	v_fmac_f32_e32 v3, v23, v16
	;; [unrolled: 1-line block ×4, first 2 shown]
	s_cbranch_vccz .LBB954_2
	s_branch .LBB954_4
.LBB954_3:
	v_mov_b32_e32 v12, 0
	v_mov_b32_e32 v8, 0
	;; [unrolled: 1-line block ×4, first 2 shown]
.LBB954_4:
	s_load_dwordx2 s[10:11], s[4:5], 0x60
	s_load_dword s7, s[4:5], 0x0
	s_load_dword s6, s[4:5], 0x10
	s_load_dwordx4 s[0:3], s[4:5], 0x50
	v_add_u32_e32 v6, s20, v1
	s_waitcnt lgkmcnt(0)
	s_mul_i32 s4, s11, s8
	s_mul_hi_u32 s5, s10, s8
	v_ashrrev_i32_e32 v1, 31, v6
	s_add_i32 s5, s5, s4
	s_mul_i32 s4, s10, s8
	v_mul_lo_u32 v1, s2, v1
	v_mul_lo_u32 v7, s3, v6
	v_mad_u64_u32 v[4:5], s[10:11], s2, v6, 0
	s_lshl_b64 s[4:5], s[4:5], 2
	s_add_u32 s8, s0, s4
	v_add3_u32 v5, v5, v1, v7
	v_lshlrev_b64 v[4:5], 2, v[4:5]
	s_addc_u32 s10, s1, s5
	v_mov_b32_e32 v1, s10
	v_add_co_u32_e64 v7, s[0:1], s8, v4
	v_add_u32_e32 v0, s9, v0
	v_addc_co_u32_e64 v9, s[0:1], v1, v5, s[0:1]
	v_cmp_gt_i32_e32 vcc, s7, v6
	v_cmp_le_i32_e64 s[0:1], v0, v6
	s_and_b64 s[0:1], vcc, s[0:1]
	s_and_saveexec_b64 s[4:5], s[0:1]
	s_cbranch_execz .LBB954_6
; %bb.5:
	v_ashrrev_i32_e32 v1, 31, v0
	v_lshlrev_b64 v[4:5], 2, v[0:1]
	v_mul_f32_e32 v10, s6, v12
	v_add_co_u32_e64 v4, s[0:1], v7, v4
	v_addc_co_u32_e64 v5, s[0:1], v9, v5, s[0:1]
	global_store_dword v[4:5], v10, off
.LBB954_6:
	s_or_b64 exec, exec, s[4:5]
	v_add_u32_e32 v4, 16, v0
	v_cmp_le_i32_e64 s[0:1], v4, v6
	s_and_b64 s[4:5], vcc, s[0:1]
	s_and_saveexec_b64 s[0:1], s[4:5]
	s_cbranch_execz .LBB954_8
; %bb.7:
	v_ashrrev_i32_e32 v5, 31, v4
	v_lshlrev_b64 v[10:11], 2, v[4:5]
	v_mul_f32_e32 v1, s6, v8
	v_add_co_u32_e32 v7, vcc, v7, v10
	v_addc_co_u32_e32 v8, vcc, v9, v11, vcc
	global_store_dword v[7:8], v1, off
.LBB954_8:
	s_or_b64 exec, exec, s[0:1]
	v_add_u32_e32 v5, 16, v6
	v_ashrrev_i32_e32 v1, 31, v5
	v_mul_lo_u32 v1, s2, v1
	v_mul_lo_u32 v8, s3, v5
	v_mad_u64_u32 v[6:7], s[0:1], s2, v5, 0
	v_cmp_gt_i32_e32 vcc, s7, v5
	v_add3_u32 v7, v7, v1, v8
	v_lshlrev_b64 v[6:7], 2, v[6:7]
	v_mov_b32_e32 v1, s10
	v_add_co_u32_e64 v6, s[0:1], s8, v6
	v_addc_co_u32_e64 v7, s[0:1], v1, v7, s[0:1]
	v_cmp_le_i32_e64 s[0:1], v0, v5
	s_and_b64 s[0:1], vcc, s[0:1]
	s_and_saveexec_b64 s[2:3], s[0:1]
	s_cbranch_execz .LBB954_10
; %bb.9:
	v_ashrrev_i32_e32 v1, 31, v0
	v_lshlrev_b64 v[0:1], 2, v[0:1]
	v_mul_f32_e32 v2, s6, v2
	v_add_co_u32_e64 v0, s[0:1], v6, v0
	v_addc_co_u32_e64 v1, s[0:1], v7, v1, s[0:1]
	global_store_dword v[0:1], v2, off
.LBB954_10:
	s_or_b64 exec, exec, s[2:3]
	v_cmp_le_i32_e64 s[0:1], v4, v5
	s_and_b64 s[0:1], vcc, s[0:1]
	s_and_saveexec_b64 s[2:3], s[0:1]
	s_cbranch_execz .LBB954_12
; %bb.11:
	v_ashrrev_i32_e32 v5, 31, v4
	v_lshlrev_b64 v[0:1], 2, v[4:5]
	v_mul_f32_e32 v2, s6, v3
	v_add_co_u32_e32 v0, vcc, v6, v0
	v_addc_co_u32_e32 v1, vcc, v7, v1, vcc
	global_store_dword v[0:1], v2, off
.LBB954_12:
	s_endpgm
	.section	.rodata,"a",@progbits
	.p2align	6, 0x0
	.amdhsa_kernel _ZL37rocblas_syrkx_herkx_restricted_kernelIlfLi16ELi32ELi8ELb1ELb0ELc67ELc85EKffEviT_T0_PT8_S1_lS4_S1_lS2_PT9_S1_li
		.amdhsa_group_segment_fixed_size 2048
		.amdhsa_private_segment_fixed_size 0
		.amdhsa_kernarg_size 108
		.amdhsa_user_sgpr_count 6
		.amdhsa_user_sgpr_private_segment_buffer 1
		.amdhsa_user_sgpr_dispatch_ptr 0
		.amdhsa_user_sgpr_queue_ptr 0
		.amdhsa_user_sgpr_kernarg_segment_ptr 1
		.amdhsa_user_sgpr_dispatch_id 0
		.amdhsa_user_sgpr_flat_scratch_init 0
		.amdhsa_user_sgpr_private_segment_size 0
		.amdhsa_uses_dynamic_stack 0
		.amdhsa_system_sgpr_private_segment_wavefront_offset 0
		.amdhsa_system_sgpr_workgroup_id_x 1
		.amdhsa_system_sgpr_workgroup_id_y 1
		.amdhsa_system_sgpr_workgroup_id_z 1
		.amdhsa_system_sgpr_workgroup_info 0
		.amdhsa_system_vgpr_workitem_id 1
		.amdhsa_next_free_vgpr 26
		.amdhsa_next_free_sgpr 21
		.amdhsa_reserve_vcc 1
		.amdhsa_reserve_flat_scratch 0
		.amdhsa_float_round_mode_32 0
		.amdhsa_float_round_mode_16_64 0
		.amdhsa_float_denorm_mode_32 3
		.amdhsa_float_denorm_mode_16_64 3
		.amdhsa_dx10_clamp 1
		.amdhsa_ieee_mode 1
		.amdhsa_fp16_overflow 0
		.amdhsa_exception_fp_ieee_invalid_op 0
		.amdhsa_exception_fp_denorm_src 0
		.amdhsa_exception_fp_ieee_div_zero 0
		.amdhsa_exception_fp_ieee_overflow 0
		.amdhsa_exception_fp_ieee_underflow 0
		.amdhsa_exception_fp_ieee_inexact 0
		.amdhsa_exception_int_div_zero 0
	.end_amdhsa_kernel
	.section	.text._ZL37rocblas_syrkx_herkx_restricted_kernelIlfLi16ELi32ELi8ELb1ELb0ELc67ELc85EKffEviT_T0_PT8_S1_lS4_S1_lS2_PT9_S1_li,"axG",@progbits,_ZL37rocblas_syrkx_herkx_restricted_kernelIlfLi16ELi32ELi8ELb1ELb0ELc67ELc85EKffEviT_T0_PT8_S1_lS4_S1_lS2_PT9_S1_li,comdat
.Lfunc_end954:
	.size	_ZL37rocblas_syrkx_herkx_restricted_kernelIlfLi16ELi32ELi8ELb1ELb0ELc67ELc85EKffEviT_T0_PT8_S1_lS4_S1_lS2_PT9_S1_li, .Lfunc_end954-_ZL37rocblas_syrkx_herkx_restricted_kernelIlfLi16ELi32ELi8ELb1ELb0ELc67ELc85EKffEviT_T0_PT8_S1_lS4_S1_lS2_PT9_S1_li
                                        ; -- End function
	.set _ZL37rocblas_syrkx_herkx_restricted_kernelIlfLi16ELi32ELi8ELb1ELb0ELc67ELc85EKffEviT_T0_PT8_S1_lS4_S1_lS2_PT9_S1_li.num_vgpr, 26
	.set _ZL37rocblas_syrkx_herkx_restricted_kernelIlfLi16ELi32ELi8ELb1ELb0ELc67ELc85EKffEviT_T0_PT8_S1_lS4_S1_lS2_PT9_S1_li.num_agpr, 0
	.set _ZL37rocblas_syrkx_herkx_restricted_kernelIlfLi16ELi32ELi8ELb1ELb0ELc67ELc85EKffEviT_T0_PT8_S1_lS4_S1_lS2_PT9_S1_li.numbered_sgpr, 21
	.set _ZL37rocblas_syrkx_herkx_restricted_kernelIlfLi16ELi32ELi8ELb1ELb0ELc67ELc85EKffEviT_T0_PT8_S1_lS4_S1_lS2_PT9_S1_li.num_named_barrier, 0
	.set _ZL37rocblas_syrkx_herkx_restricted_kernelIlfLi16ELi32ELi8ELb1ELb0ELc67ELc85EKffEviT_T0_PT8_S1_lS4_S1_lS2_PT9_S1_li.private_seg_size, 0
	.set _ZL37rocblas_syrkx_herkx_restricted_kernelIlfLi16ELi32ELi8ELb1ELb0ELc67ELc85EKffEviT_T0_PT8_S1_lS4_S1_lS2_PT9_S1_li.uses_vcc, 1
	.set _ZL37rocblas_syrkx_herkx_restricted_kernelIlfLi16ELi32ELi8ELb1ELb0ELc67ELc85EKffEviT_T0_PT8_S1_lS4_S1_lS2_PT9_S1_li.uses_flat_scratch, 0
	.set _ZL37rocblas_syrkx_herkx_restricted_kernelIlfLi16ELi32ELi8ELb1ELb0ELc67ELc85EKffEviT_T0_PT8_S1_lS4_S1_lS2_PT9_S1_li.has_dyn_sized_stack, 0
	.set _ZL37rocblas_syrkx_herkx_restricted_kernelIlfLi16ELi32ELi8ELb1ELb0ELc67ELc85EKffEviT_T0_PT8_S1_lS4_S1_lS2_PT9_S1_li.has_recursion, 0
	.set _ZL37rocblas_syrkx_herkx_restricted_kernelIlfLi16ELi32ELi8ELb1ELb0ELc67ELc85EKffEviT_T0_PT8_S1_lS4_S1_lS2_PT9_S1_li.has_indirect_call, 0
	.section	.AMDGPU.csdata,"",@progbits
; Kernel info:
; codeLenInByte = 1180
; TotalNumSgprs: 25
; NumVgprs: 26
; ScratchSize: 0
; MemoryBound: 0
; FloatMode: 240
; IeeeMode: 1
; LDSByteSize: 2048 bytes/workgroup (compile time only)
; SGPRBlocks: 3
; VGPRBlocks: 6
; NumSGPRsForWavesPerEU: 25
; NumVGPRsForWavesPerEU: 26
; Occupancy: 9
; WaveLimiterHint : 0
; COMPUTE_PGM_RSRC2:SCRATCH_EN: 0
; COMPUTE_PGM_RSRC2:USER_SGPR: 6
; COMPUTE_PGM_RSRC2:TRAP_HANDLER: 0
; COMPUTE_PGM_RSRC2:TGID_X_EN: 1
; COMPUTE_PGM_RSRC2:TGID_Y_EN: 1
; COMPUTE_PGM_RSRC2:TGID_Z_EN: 1
; COMPUTE_PGM_RSRC2:TIDIG_COMP_CNT: 1
	.section	.text._ZL37rocblas_syrkx_herkx_restricted_kernelIlfLi16ELi32ELi8ELb1ELb0ELc78ELc85EKffEviT_T0_PT8_S1_lS4_S1_lS2_PT9_S1_li,"axG",@progbits,_ZL37rocblas_syrkx_herkx_restricted_kernelIlfLi16ELi32ELi8ELb1ELb0ELc78ELc85EKffEviT_T0_PT8_S1_lS4_S1_lS2_PT9_S1_li,comdat
	.globl	_ZL37rocblas_syrkx_herkx_restricted_kernelIlfLi16ELi32ELi8ELb1ELb0ELc78ELc85EKffEviT_T0_PT8_S1_lS4_S1_lS2_PT9_S1_li ; -- Begin function _ZL37rocblas_syrkx_herkx_restricted_kernelIlfLi16ELi32ELi8ELb1ELb0ELc78ELc85EKffEviT_T0_PT8_S1_lS4_S1_lS2_PT9_S1_li
	.p2align	8
	.type	_ZL37rocblas_syrkx_herkx_restricted_kernelIlfLi16ELi32ELi8ELb1ELb0ELc78ELc85EKffEviT_T0_PT8_S1_lS4_S1_lS2_PT9_S1_li,@function
_ZL37rocblas_syrkx_herkx_restricted_kernelIlfLi16ELi32ELi8ELb1ELb0ELc78ELc85EKffEviT_T0_PT8_S1_lS4_S1_lS2_PT9_S1_li: ; @_ZL37rocblas_syrkx_herkx_restricted_kernelIlfLi16ELi32ELi8ELb1ELb0ELc78ELc85EKffEviT_T0_PT8_S1_lS4_S1_lS2_PT9_S1_li
; %bb.0:
	s_load_dwordx2 s[10:11], s[4:5], 0x8
	s_lshl_b32 s9, s6, 5
	s_lshl_b32 s20, s7, 5
	s_waitcnt lgkmcnt(0)
	v_cmp_lt_i64_e64 s[0:1], s[10:11], 1
	s_and_b64 vcc, exec, s[0:1]
	s_cbranch_vccnz .LBB955_3
; %bb.1:
	s_load_dwordx8 s[12:19], s[4:5], 0x18
	s_load_dwordx4 s[0:3], s[4:5], 0x38
	v_lshl_add_u32 v2, v1, 4, v0
	v_lshrrev_b32_e32 v4, 3, v2
	v_lshrrev_b32_e32 v6, 5, v2
	v_and_b32_e32 v7, 31, v2
	v_add_u32_e32 v2, s20, v4
	v_and_b32_e32 v5, 7, v0
	v_ashrrev_i32_e32 v3, 31, v2
	v_lshlrev_b32_e32 v8, 2, v7
	s_waitcnt lgkmcnt(0)
	v_mad_u64_u32 v[2:3], s[6:7], s0, v5, v[2:3]
	v_lshl_or_b32 v9, v6, 7, v8
	v_lshlrev_b32_e32 v8, 2, v5
	v_lshl_or_b32 v4, v4, 5, v8
	v_add_u32_e32 v10, 0x400, v4
	v_mov_b32_e32 v4, 0x400
	v_lshl_add_u32 v13, v1, 5, v4
	v_mad_u64_u32 v[3:4], s[6:7], s1, v5, v[3:4]
	s_mul_i32 s3, s3, s8
	s_mul_hi_u32 s21, s2, s8
	s_add_i32 s3, s21, s3
	s_mul_i32 s2, s2, s8
	s_lshl_b64 s[2:3], s[2:3], 2
	v_lshlrev_b64 v[2:3], 2, v[2:3]
	s_add_u32 s2, s18, s2
	s_addc_u32 s3, s19, s3
	v_mov_b32_e32 v4, s3
	v_add_co_u32_e32 v2, vcc, s2, v2
	v_addc_co_u32_e32 v3, vcc, v4, v3, vcc
	v_add_u32_e32 v4, s9, v7
	v_ashrrev_i32_e32 v5, 31, v4
	v_mad_u64_u32 v[4:5], s[2:3], s14, v6, v[4:5]
	s_lshl_b64 s[6:7], s[0:1], 5
	s_mul_i32 s2, s17, s8
	v_mad_u64_u32 v[5:6], s[0:1], s15, v6, v[5:6]
	s_mul_hi_u32 s3, s16, s8
	s_add_i32 s1, s3, s2
	s_mul_i32 s0, s16, s8
	s_lshl_b64 s[0:1], s[0:1], 2
	v_lshlrev_b64 v[4:5], 2, v[4:5]
	s_add_u32 s0, s12, s0
	s_addc_u32 s1, s13, s1
	v_mov_b32_e32 v6, s1
	v_add_co_u32_e32 v4, vcc, s0, v4
	v_lshlrev_b32_e32 v11, 2, v0
	v_addc_co_u32_e32 v5, vcc, v6, v5, vcc
	s_lshl_b64 s[12:13], s[14:15], 5
	v_mov_b32_e32 v6, 0
	s_mov_b64 s[14:15], 0
	v_mov_b32_e32 v7, 0
	v_mov_b32_e32 v8, 0
	;; [unrolled: 1-line block ×3, first 2 shown]
.LBB955_2:                              ; =>This Inner Loop Header: Depth=1
	global_load_dword v14, v[4:5], off
	s_add_u32 s14, s14, 8
	s_addc_u32 s15, s15, 0
	v_add_co_u32_e64 v4, s[2:3], s12, v4
	s_waitcnt vmcnt(0)
	ds_write_b32 v9, v14
	global_load_dword v14, v[2:3], off
	v_add_co_u32_e64 v2, s[0:1], s6, v2
	s_waitcnt vmcnt(0)
	ds_write_b32 v10, v14
	s_waitcnt lgkmcnt(0)
	s_barrier
	ds_read2_b32 v[18:19], v11 offset1:16
	ds_read_b128 v[14:17], v13
	ds_read2_b32 v[20:21], v11 offset0:32 offset1:48
	ds_read2_b32 v[22:23], v11 offset0:64 offset1:80
	;; [unrolled: 1-line block ×3, first 2 shown]
	s_waitcnt lgkmcnt(3)
	v_fmac_f32_e32 v12, v18, v14
	v_fmac_f32_e32 v8, v19, v14
	s_waitcnt lgkmcnt(2)
	v_fmac_f32_e32 v12, v20, v15
	v_fmac_f32_e32 v8, v21, v15
	;; [unrolled: 3-line block ×4, first 2 shown]
	ds_read_b128 v[14:17], v13 offset:512
	s_waitcnt lgkmcnt(0)
	v_fmac_f32_e32 v7, v18, v14
	v_fmac_f32_e32 v6, v19, v14
	;; [unrolled: 1-line block ×8, first 2 shown]
	ds_read2_b32 v[18:19], v11 offset0:128 offset1:144
	ds_read_b128 v[14:17], v13 offset:16
	ds_read2_b32 v[20:21], v11 offset0:160 offset1:176
	ds_read2_b32 v[22:23], v11 offset0:192 offset1:208
	;; [unrolled: 1-line block ×3, first 2 shown]
	s_waitcnt lgkmcnt(3)
	v_fmac_f32_e32 v12, v18, v14
	v_fmac_f32_e32 v8, v19, v14
	s_waitcnt lgkmcnt(2)
	v_fmac_f32_e32 v12, v20, v15
	v_fmac_f32_e32 v8, v21, v15
	;; [unrolled: 3-line block ×4, first 2 shown]
	ds_read_b128 v[14:17], v13 offset:528
	s_waitcnt lgkmcnt(0)
	s_barrier
	v_fmac_f32_e32 v7, v18, v14
	v_fmac_f32_e32 v6, v19, v14
	;; [unrolled: 1-line block ×4, first 2 shown]
	v_mov_b32_e32 v14, s14
	v_mov_b32_e32 v15, s15
	v_cmp_le_u64_e32 vcc, s[10:11], v[14:15]
	v_mov_b32_e32 v14, s7
	v_fmac_f32_e32 v7, v22, v16
	v_fmac_f32_e32 v6, v23, v16
	v_addc_co_u32_e64 v3, s[0:1], v3, v14, s[0:1]
	v_mov_b32_e32 v14, s13
	v_fmac_f32_e32 v7, v24, v17
	v_fmac_f32_e32 v6, v25, v17
	v_addc_co_u32_e64 v5, s[0:1], v5, v14, s[2:3]
	s_cbranch_vccz .LBB955_2
	s_branch .LBB955_4
.LBB955_3:
	v_mov_b32_e32 v12, 0
	v_mov_b32_e32 v8, 0
	;; [unrolled: 1-line block ×4, first 2 shown]
.LBB955_4:
	s_load_dwordx2 s[10:11], s[4:5], 0x60
	s_load_dword s7, s[4:5], 0x0
	s_load_dword s6, s[4:5], 0x10
	s_load_dwordx4 s[0:3], s[4:5], 0x50
	v_add_u32_e32 v4, s20, v1
	s_waitcnt lgkmcnt(0)
	s_mul_i32 s4, s11, s8
	s_mul_hi_u32 s5, s10, s8
	v_ashrrev_i32_e32 v1, 31, v4
	s_add_i32 s5, s5, s4
	s_mul_i32 s4, s10, s8
	v_mul_lo_u32 v3, s2, v1
	v_mul_lo_u32 v5, s3, v4
	v_mad_u64_u32 v[1:2], s[10:11], s2, v4, 0
	s_lshl_b64 s[4:5], s[4:5], 2
	s_add_u32 s8, s0, s4
	v_add3_u32 v2, v2, v3, v5
	v_lshlrev_b64 v[1:2], 2, v[1:2]
	s_addc_u32 s10, s1, s5
	v_mov_b32_e32 v3, s10
	v_add_co_u32_e64 v5, s[0:1], s8, v1
	v_add_u32_e32 v0, s9, v0
	v_addc_co_u32_e64 v9, s[0:1], v3, v2, s[0:1]
	v_cmp_gt_i32_e32 vcc, s7, v4
	v_cmp_le_i32_e64 s[0:1], v0, v4
	s_and_b64 s[0:1], vcc, s[0:1]
	s_and_saveexec_b64 s[4:5], s[0:1]
	s_cbranch_execz .LBB955_6
; %bb.5:
	v_ashrrev_i32_e32 v1, 31, v0
	v_lshlrev_b64 v[1:2], 2, v[0:1]
	v_mul_f32_e32 v3, s6, v12
	v_add_co_u32_e64 v1, s[0:1], v5, v1
	v_addc_co_u32_e64 v2, s[0:1], v9, v2, s[0:1]
	global_store_dword v[1:2], v3, off
.LBB955_6:
	s_or_b64 exec, exec, s[4:5]
	v_add_u32_e32 v2, 16, v0
	v_cmp_le_i32_e64 s[0:1], v2, v4
	s_and_b64 s[4:5], vcc, s[0:1]
	s_and_saveexec_b64 s[0:1], s[4:5]
	s_cbranch_execz .LBB955_8
; %bb.7:
	v_ashrrev_i32_e32 v3, 31, v2
	v_lshlrev_b64 v[10:11], 2, v[2:3]
	v_mul_f32_e32 v1, s6, v8
	v_add_co_u32_e32 v8, vcc, v5, v10
	v_addc_co_u32_e32 v9, vcc, v9, v11, vcc
	global_store_dword v[8:9], v1, off
.LBB955_8:
	s_or_b64 exec, exec, s[0:1]
	v_add_u32_e32 v3, 16, v4
	v_ashrrev_i32_e32 v1, 31, v3
	v_mul_lo_u32 v1, s2, v1
	v_mul_lo_u32 v8, s3, v3
	v_mad_u64_u32 v[4:5], s[0:1], s2, v3, 0
	v_cmp_gt_i32_e32 vcc, s7, v3
	v_add3_u32 v5, v5, v1, v8
	v_lshlrev_b64 v[4:5], 2, v[4:5]
	v_mov_b32_e32 v1, s10
	v_add_co_u32_e64 v4, s[0:1], s8, v4
	v_addc_co_u32_e64 v5, s[0:1], v1, v5, s[0:1]
	v_cmp_le_i32_e64 s[0:1], v0, v3
	s_and_b64 s[0:1], vcc, s[0:1]
	s_and_saveexec_b64 s[2:3], s[0:1]
	s_cbranch_execz .LBB955_10
; %bb.9:
	v_ashrrev_i32_e32 v1, 31, v0
	v_lshlrev_b64 v[0:1], 2, v[0:1]
	v_mul_f32_e32 v7, s6, v7
	v_add_co_u32_e64 v0, s[0:1], v4, v0
	v_addc_co_u32_e64 v1, s[0:1], v5, v1, s[0:1]
	global_store_dword v[0:1], v7, off
.LBB955_10:
	s_or_b64 exec, exec, s[2:3]
	v_cmp_le_i32_e64 s[0:1], v2, v3
	s_and_b64 s[0:1], vcc, s[0:1]
	s_and_saveexec_b64 s[2:3], s[0:1]
	s_cbranch_execz .LBB955_12
; %bb.11:
	v_ashrrev_i32_e32 v3, 31, v2
	v_lshlrev_b64 v[0:1], 2, v[2:3]
	v_mul_f32_e32 v6, s6, v6
	v_add_co_u32_e32 v0, vcc, v4, v0
	v_addc_co_u32_e32 v1, vcc, v5, v1, vcc
	global_store_dword v[0:1], v6, off
.LBB955_12:
	s_endpgm
	.section	.rodata,"a",@progbits
	.p2align	6, 0x0
	.amdhsa_kernel _ZL37rocblas_syrkx_herkx_restricted_kernelIlfLi16ELi32ELi8ELb1ELb0ELc78ELc85EKffEviT_T0_PT8_S1_lS4_S1_lS2_PT9_S1_li
		.amdhsa_group_segment_fixed_size 2048
		.amdhsa_private_segment_fixed_size 0
		.amdhsa_kernarg_size 108
		.amdhsa_user_sgpr_count 6
		.amdhsa_user_sgpr_private_segment_buffer 1
		.amdhsa_user_sgpr_dispatch_ptr 0
		.amdhsa_user_sgpr_queue_ptr 0
		.amdhsa_user_sgpr_kernarg_segment_ptr 1
		.amdhsa_user_sgpr_dispatch_id 0
		.amdhsa_user_sgpr_flat_scratch_init 0
		.amdhsa_user_sgpr_private_segment_size 0
		.amdhsa_uses_dynamic_stack 0
		.amdhsa_system_sgpr_private_segment_wavefront_offset 0
		.amdhsa_system_sgpr_workgroup_id_x 1
		.amdhsa_system_sgpr_workgroup_id_y 1
		.amdhsa_system_sgpr_workgroup_id_z 1
		.amdhsa_system_sgpr_workgroup_info 0
		.amdhsa_system_vgpr_workitem_id 1
		.amdhsa_next_free_vgpr 26
		.amdhsa_next_free_sgpr 22
		.amdhsa_reserve_vcc 1
		.amdhsa_reserve_flat_scratch 0
		.amdhsa_float_round_mode_32 0
		.amdhsa_float_round_mode_16_64 0
		.amdhsa_float_denorm_mode_32 3
		.amdhsa_float_denorm_mode_16_64 3
		.amdhsa_dx10_clamp 1
		.amdhsa_ieee_mode 1
		.amdhsa_fp16_overflow 0
		.amdhsa_exception_fp_ieee_invalid_op 0
		.amdhsa_exception_fp_denorm_src 0
		.amdhsa_exception_fp_ieee_div_zero 0
		.amdhsa_exception_fp_ieee_overflow 0
		.amdhsa_exception_fp_ieee_underflow 0
		.amdhsa_exception_fp_ieee_inexact 0
		.amdhsa_exception_int_div_zero 0
	.end_amdhsa_kernel
	.section	.text._ZL37rocblas_syrkx_herkx_restricted_kernelIlfLi16ELi32ELi8ELb1ELb0ELc78ELc85EKffEviT_T0_PT8_S1_lS4_S1_lS2_PT9_S1_li,"axG",@progbits,_ZL37rocblas_syrkx_herkx_restricted_kernelIlfLi16ELi32ELi8ELb1ELb0ELc78ELc85EKffEviT_T0_PT8_S1_lS4_S1_lS2_PT9_S1_li,comdat
.Lfunc_end955:
	.size	_ZL37rocblas_syrkx_herkx_restricted_kernelIlfLi16ELi32ELi8ELb1ELb0ELc78ELc85EKffEviT_T0_PT8_S1_lS4_S1_lS2_PT9_S1_li, .Lfunc_end955-_ZL37rocblas_syrkx_herkx_restricted_kernelIlfLi16ELi32ELi8ELb1ELb0ELc78ELc85EKffEviT_T0_PT8_S1_lS4_S1_lS2_PT9_S1_li
                                        ; -- End function
	.set _ZL37rocblas_syrkx_herkx_restricted_kernelIlfLi16ELi32ELi8ELb1ELb0ELc78ELc85EKffEviT_T0_PT8_S1_lS4_S1_lS2_PT9_S1_li.num_vgpr, 26
	.set _ZL37rocblas_syrkx_herkx_restricted_kernelIlfLi16ELi32ELi8ELb1ELb0ELc78ELc85EKffEviT_T0_PT8_S1_lS4_S1_lS2_PT9_S1_li.num_agpr, 0
	.set _ZL37rocblas_syrkx_herkx_restricted_kernelIlfLi16ELi32ELi8ELb1ELb0ELc78ELc85EKffEviT_T0_PT8_S1_lS4_S1_lS2_PT9_S1_li.numbered_sgpr, 22
	.set _ZL37rocblas_syrkx_herkx_restricted_kernelIlfLi16ELi32ELi8ELb1ELb0ELc78ELc85EKffEviT_T0_PT8_S1_lS4_S1_lS2_PT9_S1_li.num_named_barrier, 0
	.set _ZL37rocblas_syrkx_herkx_restricted_kernelIlfLi16ELi32ELi8ELb1ELb0ELc78ELc85EKffEviT_T0_PT8_S1_lS4_S1_lS2_PT9_S1_li.private_seg_size, 0
	.set _ZL37rocblas_syrkx_herkx_restricted_kernelIlfLi16ELi32ELi8ELb1ELb0ELc78ELc85EKffEviT_T0_PT8_S1_lS4_S1_lS2_PT9_S1_li.uses_vcc, 1
	.set _ZL37rocblas_syrkx_herkx_restricted_kernelIlfLi16ELi32ELi8ELb1ELb0ELc78ELc85EKffEviT_T0_PT8_S1_lS4_S1_lS2_PT9_S1_li.uses_flat_scratch, 0
	.set _ZL37rocblas_syrkx_herkx_restricted_kernelIlfLi16ELi32ELi8ELb1ELb0ELc78ELc85EKffEviT_T0_PT8_S1_lS4_S1_lS2_PT9_S1_li.has_dyn_sized_stack, 0
	.set _ZL37rocblas_syrkx_herkx_restricted_kernelIlfLi16ELi32ELi8ELb1ELb0ELc78ELc85EKffEviT_T0_PT8_S1_lS4_S1_lS2_PT9_S1_li.has_recursion, 0
	.set _ZL37rocblas_syrkx_herkx_restricted_kernelIlfLi16ELi32ELi8ELb1ELb0ELc78ELc85EKffEviT_T0_PT8_S1_lS4_S1_lS2_PT9_S1_li.has_indirect_call, 0
	.section	.AMDGPU.csdata,"",@progbits
; Kernel info:
; codeLenInByte = 1160
; TotalNumSgprs: 26
; NumVgprs: 26
; ScratchSize: 0
; MemoryBound: 0
; FloatMode: 240
; IeeeMode: 1
; LDSByteSize: 2048 bytes/workgroup (compile time only)
; SGPRBlocks: 3
; VGPRBlocks: 6
; NumSGPRsForWavesPerEU: 26
; NumVGPRsForWavesPerEU: 26
; Occupancy: 9
; WaveLimiterHint : 0
; COMPUTE_PGM_RSRC2:SCRATCH_EN: 0
; COMPUTE_PGM_RSRC2:USER_SGPR: 6
; COMPUTE_PGM_RSRC2:TRAP_HANDLER: 0
; COMPUTE_PGM_RSRC2:TGID_X_EN: 1
; COMPUTE_PGM_RSRC2:TGID_Y_EN: 1
; COMPUTE_PGM_RSRC2:TGID_Z_EN: 1
; COMPUTE_PGM_RSRC2:TIDIG_COMP_CNT: 1
	.section	.text._ZL37rocblas_syrkx_herkx_restricted_kernelIlfLi16ELi32ELi8ELb0ELb0ELc84ELc76EKffEviT_T0_PT8_S1_lS4_S1_lS2_PT9_S1_li,"axG",@progbits,_ZL37rocblas_syrkx_herkx_restricted_kernelIlfLi16ELi32ELi8ELb0ELb0ELc84ELc76EKffEviT_T0_PT8_S1_lS4_S1_lS2_PT9_S1_li,comdat
	.globl	_ZL37rocblas_syrkx_herkx_restricted_kernelIlfLi16ELi32ELi8ELb0ELb0ELc84ELc76EKffEviT_T0_PT8_S1_lS4_S1_lS2_PT9_S1_li ; -- Begin function _ZL37rocblas_syrkx_herkx_restricted_kernelIlfLi16ELi32ELi8ELb0ELb0ELc84ELc76EKffEviT_T0_PT8_S1_lS4_S1_lS2_PT9_S1_li
	.p2align	8
	.type	_ZL37rocblas_syrkx_herkx_restricted_kernelIlfLi16ELi32ELi8ELb0ELb0ELc84ELc76EKffEviT_T0_PT8_S1_lS4_S1_lS2_PT9_S1_li,@function
_ZL37rocblas_syrkx_herkx_restricted_kernelIlfLi16ELi32ELi8ELb0ELb0ELc84ELc76EKffEviT_T0_PT8_S1_lS4_S1_lS2_PT9_S1_li: ; @_ZL37rocblas_syrkx_herkx_restricted_kernelIlfLi16ELi32ELi8ELb0ELb0ELc84ELc76EKffEviT_T0_PT8_S1_lS4_S1_lS2_PT9_S1_li
; %bb.0:
	s_load_dwordx2 s[10:11], s[4:5], 0x8
	s_lshl_b32 s9, s6, 5
	s_lshl_b32 s20, s7, 5
	s_waitcnt lgkmcnt(0)
	v_cmp_lt_i64_e64 s[0:1], s[10:11], 1
	s_and_b64 vcc, exec, s[0:1]
	s_cbranch_vccnz .LBB956_3
; %bb.1:
	s_load_dwordx8 s[12:19], s[4:5], 0x18
	s_load_dwordx4 s[0:3], s[4:5], 0x38
	v_lshl_add_u32 v3, v1, 4, v0
	v_and_b32_e32 v2, 7, v0
	v_lshrrev_b32_e32 v4, 3, v3
	v_lshlrev_b32_e32 v11, 2, v2
	v_add_u32_e32 v5, s20, v4
	v_lshl_or_b32 v4, v4, 5, v11
	v_lshrrev_b32_e32 v6, 5, v3
	v_and_b32_e32 v8, 31, v3
	v_ashrrev_i32_e32 v9, 31, v5
	v_mov_b32_e32 v3, 0
	v_add_u32_e32 v11, 0x400, v4
	v_mov_b32_e32 v4, 0x400
	v_lshl_add_u32 v13, v1, 5, v4
	s_waitcnt lgkmcnt(0)
	v_mul_lo_u32 v9, s0, v9
	v_mul_lo_u32 v14, s1, v5
	v_mad_u64_u32 v[4:5], s[0:1], s0, v5, v[2:3]
	s_mul_i32 s3, s3, s8
	s_mul_hi_u32 s6, s2, s8
	s_add_i32 s1, s6, s3
	s_mul_i32 s0, s2, s8
	s_lshl_b64 s[0:1], s[0:1], 2
	v_add3_u32 v5, v14, v5, v9
	v_lshlrev_b64 v[4:5], 2, v[4:5]
	s_add_u32 s0, s18, s0
	s_addc_u32 s1, s19, s1
	v_mov_b32_e32 v2, s1
	v_add_co_u32_e32 v4, vcc, s0, v4
	v_addc_co_u32_e32 v5, vcc, v2, v5, vcc
	v_add_u32_e32 v2, s9, v8
	v_mov_b32_e32 v7, v3
	v_lshlrev_b32_e32 v10, 2, v8
	v_ashrrev_i32_e32 v8, 31, v2
	v_lshl_or_b32 v10, v6, 7, v10
	v_mul_lo_u32 v8, s14, v8
	v_mad_u64_u32 v[6:7], s[0:1], s14, v2, v[6:7]
	v_mul_lo_u32 v2, s15, v2
	s_mul_i32 s2, s17, s8
	s_mul_hi_u32 s3, s16, s8
	s_add_i32 s1, s3, s2
	s_mul_i32 s0, s16, s8
	s_lshl_b64 s[0:1], s[0:1], 2
	v_add3_u32 v7, v2, v7, v8
	v_lshlrev_b64 v[6:7], 2, v[6:7]
	s_add_u32 s0, s12, s0
	s_addc_u32 s1, s13, s1
	v_mov_b32_e32 v2, s1
	v_add_co_u32_e32 v6, vcc, s0, v6
	v_lshlrev_b32_e32 v12, 2, v0
	v_addc_co_u32_e32 v7, vcc, v2, v7, vcc
	s_mov_b64 s[6:7], 0
	v_mov_b32_e32 v2, v3
	v_mov_b32_e32 v8, v3
	;; [unrolled: 1-line block ×3, first 2 shown]
.LBB956_2:                              ; =>This Inner Loop Header: Depth=1
	global_load_dword v14, v[6:7], off
	s_add_u32 s6, s6, 8
	s_addc_u32 s7, s7, 0
	v_add_co_u32_e64 v6, s[2:3], 32, v6
	s_waitcnt vmcnt(0)
	ds_write_b32 v10, v14
	global_load_dword v14, v[4:5], off
	v_add_co_u32_e64 v4, s[0:1], 32, v4
	v_addc_co_u32_e64 v5, s[0:1], 0, v5, s[0:1]
	v_addc_co_u32_e64 v7, s[0:1], 0, v7, s[2:3]
	s_waitcnt vmcnt(0)
	ds_write_b32 v11, v14
	s_waitcnt lgkmcnt(0)
	s_barrier
	ds_read2_b32 v[18:19], v12 offset1:16
	ds_read_b128 v[14:17], v13
	ds_read2_b32 v[20:21], v12 offset0:32 offset1:48
	ds_read2_b32 v[22:23], v12 offset0:64 offset1:80
	;; [unrolled: 1-line block ×3, first 2 shown]
	s_waitcnt lgkmcnt(3)
	v_fmac_f32_e32 v9, v18, v14
	v_fmac_f32_e32 v8, v19, v14
	s_waitcnt lgkmcnt(2)
	v_fmac_f32_e32 v9, v20, v15
	v_fmac_f32_e32 v8, v21, v15
	;; [unrolled: 3-line block ×4, first 2 shown]
	ds_read_b128 v[14:17], v13 offset:512
	s_waitcnt lgkmcnt(0)
	v_fmac_f32_e32 v2, v18, v14
	v_fmac_f32_e32 v3, v19, v14
	;; [unrolled: 1-line block ×8, first 2 shown]
	ds_read2_b32 v[18:19], v12 offset0:128 offset1:144
	ds_read_b128 v[14:17], v13 offset:16
	ds_read2_b32 v[20:21], v12 offset0:160 offset1:176
	ds_read2_b32 v[22:23], v12 offset0:192 offset1:208
	;; [unrolled: 1-line block ×3, first 2 shown]
	s_waitcnt lgkmcnt(3)
	v_fmac_f32_e32 v9, v18, v14
	v_fmac_f32_e32 v8, v19, v14
	s_waitcnt lgkmcnt(2)
	v_fmac_f32_e32 v9, v20, v15
	v_fmac_f32_e32 v8, v21, v15
	s_waitcnt lgkmcnt(1)
	v_fmac_f32_e32 v9, v22, v16
	v_fmac_f32_e32 v8, v23, v16
	s_waitcnt lgkmcnt(0)
	v_fmac_f32_e32 v9, v24, v17
	v_fmac_f32_e32 v8, v25, v17
	ds_read_b128 v[14:17], v13 offset:528
	s_waitcnt lgkmcnt(0)
	s_barrier
	v_fmac_f32_e32 v2, v18, v14
	v_fmac_f32_e32 v3, v19, v14
	;; [unrolled: 1-line block ×4, first 2 shown]
	v_mov_b32_e32 v15, s7
	v_mov_b32_e32 v14, s6
	v_cmp_le_u64_e32 vcc, s[10:11], v[14:15]
	v_fmac_f32_e32 v2, v22, v16
	v_fmac_f32_e32 v3, v23, v16
	;; [unrolled: 1-line block ×4, first 2 shown]
	s_cbranch_vccz .LBB956_2
	s_branch .LBB956_4
.LBB956_3:
	v_mov_b32_e32 v9, 0
	v_mov_b32_e32 v8, 0
	;; [unrolled: 1-line block ×4, first 2 shown]
.LBB956_4:
	s_load_dwordx2 s[0:1], s[4:5], 0x60
	s_load_dword s11, s[4:5], 0x0
	s_load_dword s6, s[4:5], 0x10
	;; [unrolled: 1-line block ×3, first 2 shown]
	s_load_dwordx4 s[12:15], s[4:5], 0x50
	v_add_u32_e32 v6, s20, v1
	s_waitcnt lgkmcnt(0)
	s_mul_i32 s1, s1, s8
	s_mul_hi_u32 s2, s0, s8
	v_ashrrev_i32_e32 v1, 31, v6
	s_add_i32 s1, s2, s1
	v_mul_lo_u32 v1, s14, v1
	v_mul_lo_u32 v7, s15, v6
	v_mad_u64_u32 v[4:5], s[2:3], s14, v6, 0
	s_mul_i32 s0, s0, s8
	s_lshl_b64 s[0:1], s[0:1], 2
	v_add3_u32 v5, v5, v1, v7
	s_add_u32 s8, s12, s0
	v_lshlrev_b64 v[4:5], 2, v[4:5]
	s_addc_u32 s10, s13, s1
	v_mov_b32_e32 v1, s10
	v_add_co_u32_e32 v7, vcc, s8, v4
	v_add_u32_e32 v0, s9, v0
	v_addc_co_u32_e32 v10, vcc, v1, v5, vcc
	v_cmp_le_i32_e64 s[0:1], v6, v0
	v_cmp_gt_i32_e32 vcc, s11, v0
	s_and_b64 s[0:1], s[0:1], vcc
	s_and_saveexec_b64 s[2:3], s[0:1]
	s_cbranch_execz .LBB956_6
; %bb.5:
	v_ashrrev_i32_e32 v1, 31, v0
	v_lshlrev_b64 v[4:5], 2, v[0:1]
	v_add_co_u32_e64 v4, s[0:1], v7, v4
	v_addc_co_u32_e64 v5, s[0:1], v10, v5, s[0:1]
	global_load_dword v1, v[4:5], off
	s_waitcnt vmcnt(0)
	v_mul_f32_e32 v1, s7, v1
	v_fmac_f32_e32 v1, s6, v9
	global_store_dword v[4:5], v1, off
.LBB956_6:
	s_or_b64 exec, exec, s[2:3]
	v_add_u32_e32 v4, 16, v0
	v_cmp_le_i32_e64 s[2:3], v6, v4
	v_cmp_gt_i32_e64 s[0:1], s11, v4
	s_and_b64 s[2:3], s[2:3], s[0:1]
	s_and_saveexec_b64 s[4:5], s[2:3]
	s_cbranch_execz .LBB956_8
; %bb.7:
	v_ashrrev_i32_e32 v5, 31, v4
	v_lshlrev_b64 v[11:12], 2, v[4:5]
	v_add_co_u32_e64 v9, s[2:3], v7, v11
	v_addc_co_u32_e64 v10, s[2:3], v10, v12, s[2:3]
	global_load_dword v1, v[9:10], off
	s_waitcnt vmcnt(0)
	v_mul_f32_e32 v1, s7, v1
	v_fmac_f32_e32 v1, s6, v8
	global_store_dword v[9:10], v1, off
.LBB956_8:
	s_or_b64 exec, exec, s[4:5]
	v_add_u32_e32 v5, 16, v6
	v_ashrrev_i32_e32 v1, 31, v5
	v_mul_lo_u32 v8, s15, v5
	v_mad_u64_u32 v[6:7], s[2:3], s14, v5, 0
	v_mul_lo_u32 v1, s14, v1
	v_add3_u32 v7, v7, v1, v8
	v_lshlrev_b64 v[6:7], 2, v[6:7]
	v_mov_b32_e32 v1, s10
	v_add_co_u32_e64 v6, s[2:3], s8, v6
	v_addc_co_u32_e64 v7, s[2:3], v1, v7, s[2:3]
	v_cmp_le_i32_e64 s[2:3], v5, v0
	s_and_b64 s[4:5], s[2:3], vcc
	s_and_saveexec_b64 s[2:3], s[4:5]
	s_cbranch_execz .LBB956_10
; %bb.9:
	v_ashrrev_i32_e32 v1, 31, v0
	v_lshlrev_b64 v[0:1], 2, v[0:1]
	v_add_co_u32_e32 v0, vcc, v6, v0
	v_addc_co_u32_e32 v1, vcc, v7, v1, vcc
	global_load_dword v8, v[0:1], off
	s_waitcnt vmcnt(0)
	v_mul_f32_e32 v8, s7, v8
	v_fmac_f32_e32 v8, s6, v2
	global_store_dword v[0:1], v8, off
.LBB956_10:
	s_or_b64 exec, exec, s[2:3]
	v_cmp_le_i32_e32 vcc, v5, v4
	s_and_b64 s[0:1], vcc, s[0:1]
	s_and_saveexec_b64 s[2:3], s[0:1]
	s_cbranch_execz .LBB956_12
; %bb.11:
	v_ashrrev_i32_e32 v5, 31, v4
	v_lshlrev_b64 v[0:1], 2, v[4:5]
	v_add_co_u32_e32 v0, vcc, v6, v0
	v_addc_co_u32_e32 v1, vcc, v7, v1, vcc
	global_load_dword v2, v[0:1], off
	s_waitcnt vmcnt(0)
	v_mul_f32_e32 v2, s7, v2
	v_fmac_f32_e32 v2, s6, v3
	global_store_dword v[0:1], v2, off
.LBB956_12:
	s_endpgm
	.section	.rodata,"a",@progbits
	.p2align	6, 0x0
	.amdhsa_kernel _ZL37rocblas_syrkx_herkx_restricted_kernelIlfLi16ELi32ELi8ELb0ELb0ELc84ELc76EKffEviT_T0_PT8_S1_lS4_S1_lS2_PT9_S1_li
		.amdhsa_group_segment_fixed_size 2048
		.amdhsa_private_segment_fixed_size 0
		.amdhsa_kernarg_size 108
		.amdhsa_user_sgpr_count 6
		.amdhsa_user_sgpr_private_segment_buffer 1
		.amdhsa_user_sgpr_dispatch_ptr 0
		.amdhsa_user_sgpr_queue_ptr 0
		.amdhsa_user_sgpr_kernarg_segment_ptr 1
		.amdhsa_user_sgpr_dispatch_id 0
		.amdhsa_user_sgpr_flat_scratch_init 0
		.amdhsa_user_sgpr_private_segment_size 0
		.amdhsa_uses_dynamic_stack 0
		.amdhsa_system_sgpr_private_segment_wavefront_offset 0
		.amdhsa_system_sgpr_workgroup_id_x 1
		.amdhsa_system_sgpr_workgroup_id_y 1
		.amdhsa_system_sgpr_workgroup_id_z 1
		.amdhsa_system_sgpr_workgroup_info 0
		.amdhsa_system_vgpr_workitem_id 1
		.amdhsa_next_free_vgpr 26
		.amdhsa_next_free_sgpr 21
		.amdhsa_reserve_vcc 1
		.amdhsa_reserve_flat_scratch 0
		.amdhsa_float_round_mode_32 0
		.amdhsa_float_round_mode_16_64 0
		.amdhsa_float_denorm_mode_32 3
		.amdhsa_float_denorm_mode_16_64 3
		.amdhsa_dx10_clamp 1
		.amdhsa_ieee_mode 1
		.amdhsa_fp16_overflow 0
		.amdhsa_exception_fp_ieee_invalid_op 0
		.amdhsa_exception_fp_denorm_src 0
		.amdhsa_exception_fp_ieee_div_zero 0
		.amdhsa_exception_fp_ieee_overflow 0
		.amdhsa_exception_fp_ieee_underflow 0
		.amdhsa_exception_fp_ieee_inexact 0
		.amdhsa_exception_int_div_zero 0
	.end_amdhsa_kernel
	.section	.text._ZL37rocblas_syrkx_herkx_restricted_kernelIlfLi16ELi32ELi8ELb0ELb0ELc84ELc76EKffEviT_T0_PT8_S1_lS4_S1_lS2_PT9_S1_li,"axG",@progbits,_ZL37rocblas_syrkx_herkx_restricted_kernelIlfLi16ELi32ELi8ELb0ELb0ELc84ELc76EKffEviT_T0_PT8_S1_lS4_S1_lS2_PT9_S1_li,comdat
.Lfunc_end956:
	.size	_ZL37rocblas_syrkx_herkx_restricted_kernelIlfLi16ELi32ELi8ELb0ELb0ELc84ELc76EKffEviT_T0_PT8_S1_lS4_S1_lS2_PT9_S1_li, .Lfunc_end956-_ZL37rocblas_syrkx_herkx_restricted_kernelIlfLi16ELi32ELi8ELb0ELb0ELc84ELc76EKffEviT_T0_PT8_S1_lS4_S1_lS2_PT9_S1_li
                                        ; -- End function
	.set _ZL37rocblas_syrkx_herkx_restricted_kernelIlfLi16ELi32ELi8ELb0ELb0ELc84ELc76EKffEviT_T0_PT8_S1_lS4_S1_lS2_PT9_S1_li.num_vgpr, 26
	.set _ZL37rocblas_syrkx_herkx_restricted_kernelIlfLi16ELi32ELi8ELb0ELb0ELc84ELc76EKffEviT_T0_PT8_S1_lS4_S1_lS2_PT9_S1_li.num_agpr, 0
	.set _ZL37rocblas_syrkx_herkx_restricted_kernelIlfLi16ELi32ELi8ELb0ELb0ELc84ELc76EKffEviT_T0_PT8_S1_lS4_S1_lS2_PT9_S1_li.numbered_sgpr, 21
	.set _ZL37rocblas_syrkx_herkx_restricted_kernelIlfLi16ELi32ELi8ELb0ELb0ELc84ELc76EKffEviT_T0_PT8_S1_lS4_S1_lS2_PT9_S1_li.num_named_barrier, 0
	.set _ZL37rocblas_syrkx_herkx_restricted_kernelIlfLi16ELi32ELi8ELb0ELb0ELc84ELc76EKffEviT_T0_PT8_S1_lS4_S1_lS2_PT9_S1_li.private_seg_size, 0
	.set _ZL37rocblas_syrkx_herkx_restricted_kernelIlfLi16ELi32ELi8ELb0ELb0ELc84ELc76EKffEviT_T0_PT8_S1_lS4_S1_lS2_PT9_S1_li.uses_vcc, 1
	.set _ZL37rocblas_syrkx_herkx_restricted_kernelIlfLi16ELi32ELi8ELb0ELb0ELc84ELc76EKffEviT_T0_PT8_S1_lS4_S1_lS2_PT9_S1_li.uses_flat_scratch, 0
	.set _ZL37rocblas_syrkx_herkx_restricted_kernelIlfLi16ELi32ELi8ELb0ELb0ELc84ELc76EKffEviT_T0_PT8_S1_lS4_S1_lS2_PT9_S1_li.has_dyn_sized_stack, 0
	.set _ZL37rocblas_syrkx_herkx_restricted_kernelIlfLi16ELi32ELi8ELb0ELb0ELc84ELc76EKffEviT_T0_PT8_S1_lS4_S1_lS2_PT9_S1_li.has_recursion, 0
	.set _ZL37rocblas_syrkx_herkx_restricted_kernelIlfLi16ELi32ELi8ELb0ELb0ELc84ELc76EKffEviT_T0_PT8_S1_lS4_S1_lS2_PT9_S1_li.has_indirect_call, 0
	.section	.AMDGPU.csdata,"",@progbits
; Kernel info:
; codeLenInByte = 1244
; TotalNumSgprs: 25
; NumVgprs: 26
; ScratchSize: 0
; MemoryBound: 0
; FloatMode: 240
; IeeeMode: 1
; LDSByteSize: 2048 bytes/workgroup (compile time only)
; SGPRBlocks: 3
; VGPRBlocks: 6
; NumSGPRsForWavesPerEU: 25
; NumVGPRsForWavesPerEU: 26
; Occupancy: 9
; WaveLimiterHint : 0
; COMPUTE_PGM_RSRC2:SCRATCH_EN: 0
; COMPUTE_PGM_RSRC2:USER_SGPR: 6
; COMPUTE_PGM_RSRC2:TRAP_HANDLER: 0
; COMPUTE_PGM_RSRC2:TGID_X_EN: 1
; COMPUTE_PGM_RSRC2:TGID_Y_EN: 1
; COMPUTE_PGM_RSRC2:TGID_Z_EN: 1
; COMPUTE_PGM_RSRC2:TIDIG_COMP_CNT: 1
	.section	.text._ZL37rocblas_syrkx_herkx_restricted_kernelIlfLi16ELi32ELi8ELb0ELb0ELc67ELc76EKffEviT_T0_PT8_S1_lS4_S1_lS2_PT9_S1_li,"axG",@progbits,_ZL37rocblas_syrkx_herkx_restricted_kernelIlfLi16ELi32ELi8ELb0ELb0ELc67ELc76EKffEviT_T0_PT8_S1_lS4_S1_lS2_PT9_S1_li,comdat
	.globl	_ZL37rocblas_syrkx_herkx_restricted_kernelIlfLi16ELi32ELi8ELb0ELb0ELc67ELc76EKffEviT_T0_PT8_S1_lS4_S1_lS2_PT9_S1_li ; -- Begin function _ZL37rocblas_syrkx_herkx_restricted_kernelIlfLi16ELi32ELi8ELb0ELb0ELc67ELc76EKffEviT_T0_PT8_S1_lS4_S1_lS2_PT9_S1_li
	.p2align	8
	.type	_ZL37rocblas_syrkx_herkx_restricted_kernelIlfLi16ELi32ELi8ELb0ELb0ELc67ELc76EKffEviT_T0_PT8_S1_lS4_S1_lS2_PT9_S1_li,@function
_ZL37rocblas_syrkx_herkx_restricted_kernelIlfLi16ELi32ELi8ELb0ELb0ELc67ELc76EKffEviT_T0_PT8_S1_lS4_S1_lS2_PT9_S1_li: ; @_ZL37rocblas_syrkx_herkx_restricted_kernelIlfLi16ELi32ELi8ELb0ELb0ELc67ELc76EKffEviT_T0_PT8_S1_lS4_S1_lS2_PT9_S1_li
; %bb.0:
	s_load_dwordx2 s[10:11], s[4:5], 0x8
	s_lshl_b32 s9, s6, 5
	s_lshl_b32 s20, s7, 5
	s_waitcnt lgkmcnt(0)
	v_cmp_lt_i64_e64 s[0:1], s[10:11], 1
	s_and_b64 vcc, exec, s[0:1]
	s_cbranch_vccnz .LBB957_3
; %bb.1:
	s_load_dwordx8 s[12:19], s[4:5], 0x18
	s_load_dwordx4 s[0:3], s[4:5], 0x38
	v_lshl_add_u32 v3, v1, 4, v0
	v_and_b32_e32 v2, 7, v0
	v_lshrrev_b32_e32 v4, 3, v3
	v_lshlrev_b32_e32 v11, 2, v2
	v_add_u32_e32 v5, s20, v4
	v_lshl_or_b32 v4, v4, 5, v11
	v_lshrrev_b32_e32 v6, 5, v3
	v_and_b32_e32 v8, 31, v3
	v_ashrrev_i32_e32 v9, 31, v5
	v_mov_b32_e32 v3, 0
	v_add_u32_e32 v11, 0x400, v4
	v_mov_b32_e32 v4, 0x400
	v_lshl_add_u32 v13, v1, 5, v4
	s_waitcnt lgkmcnt(0)
	v_mul_lo_u32 v9, s0, v9
	v_mul_lo_u32 v14, s1, v5
	v_mad_u64_u32 v[4:5], s[0:1], s0, v5, v[2:3]
	s_mul_i32 s3, s3, s8
	s_mul_hi_u32 s6, s2, s8
	s_add_i32 s1, s6, s3
	s_mul_i32 s0, s2, s8
	s_lshl_b64 s[0:1], s[0:1], 2
	v_add3_u32 v5, v14, v5, v9
	v_lshlrev_b64 v[4:5], 2, v[4:5]
	s_add_u32 s0, s18, s0
	s_addc_u32 s1, s19, s1
	v_mov_b32_e32 v2, s1
	v_add_co_u32_e32 v4, vcc, s0, v4
	v_addc_co_u32_e32 v5, vcc, v2, v5, vcc
	v_add_u32_e32 v2, s9, v8
	v_mov_b32_e32 v7, v3
	v_lshlrev_b32_e32 v10, 2, v8
	v_ashrrev_i32_e32 v8, 31, v2
	v_lshl_or_b32 v10, v6, 7, v10
	v_mul_lo_u32 v8, s14, v8
	v_mad_u64_u32 v[6:7], s[0:1], s14, v2, v[6:7]
	v_mul_lo_u32 v2, s15, v2
	s_mul_i32 s2, s17, s8
	s_mul_hi_u32 s3, s16, s8
	s_add_i32 s1, s3, s2
	s_mul_i32 s0, s16, s8
	s_lshl_b64 s[0:1], s[0:1], 2
	v_add3_u32 v7, v2, v7, v8
	v_lshlrev_b64 v[6:7], 2, v[6:7]
	s_add_u32 s0, s12, s0
	s_addc_u32 s1, s13, s1
	v_mov_b32_e32 v2, s1
	v_add_co_u32_e32 v6, vcc, s0, v6
	v_lshlrev_b32_e32 v12, 2, v0
	v_addc_co_u32_e32 v7, vcc, v2, v7, vcc
	s_mov_b64 s[6:7], 0
	v_mov_b32_e32 v2, v3
	v_mov_b32_e32 v8, v3
	;; [unrolled: 1-line block ×3, first 2 shown]
.LBB957_2:                              ; =>This Inner Loop Header: Depth=1
	global_load_dword v14, v[6:7], off
	s_add_u32 s6, s6, 8
	s_addc_u32 s7, s7, 0
	v_add_co_u32_e64 v6, s[2:3], 32, v6
	s_waitcnt vmcnt(0)
	ds_write_b32 v10, v14
	global_load_dword v14, v[4:5], off
	v_add_co_u32_e64 v4, s[0:1], 32, v4
	v_addc_co_u32_e64 v5, s[0:1], 0, v5, s[0:1]
	v_addc_co_u32_e64 v7, s[0:1], 0, v7, s[2:3]
	s_waitcnt vmcnt(0)
	ds_write_b32 v11, v14
	s_waitcnt lgkmcnt(0)
	s_barrier
	ds_read2_b32 v[18:19], v12 offset1:16
	ds_read_b128 v[14:17], v13
	ds_read2_b32 v[20:21], v12 offset0:32 offset1:48
	ds_read2_b32 v[22:23], v12 offset0:64 offset1:80
	;; [unrolled: 1-line block ×3, first 2 shown]
	s_waitcnt lgkmcnt(3)
	v_fmac_f32_e32 v9, v18, v14
	v_fmac_f32_e32 v8, v19, v14
	s_waitcnt lgkmcnt(2)
	v_fmac_f32_e32 v9, v20, v15
	v_fmac_f32_e32 v8, v21, v15
	;; [unrolled: 3-line block ×4, first 2 shown]
	ds_read_b128 v[14:17], v13 offset:512
	s_waitcnt lgkmcnt(0)
	v_fmac_f32_e32 v2, v18, v14
	v_fmac_f32_e32 v3, v19, v14
	;; [unrolled: 1-line block ×8, first 2 shown]
	ds_read2_b32 v[18:19], v12 offset0:128 offset1:144
	ds_read_b128 v[14:17], v13 offset:16
	ds_read2_b32 v[20:21], v12 offset0:160 offset1:176
	ds_read2_b32 v[22:23], v12 offset0:192 offset1:208
	ds_read2_b32 v[24:25], v12 offset0:224 offset1:240
	s_waitcnt lgkmcnt(3)
	v_fmac_f32_e32 v9, v18, v14
	v_fmac_f32_e32 v8, v19, v14
	s_waitcnt lgkmcnt(2)
	v_fmac_f32_e32 v9, v20, v15
	v_fmac_f32_e32 v8, v21, v15
	;; [unrolled: 3-line block ×4, first 2 shown]
	ds_read_b128 v[14:17], v13 offset:528
	s_waitcnt lgkmcnt(0)
	s_barrier
	v_fmac_f32_e32 v2, v18, v14
	v_fmac_f32_e32 v3, v19, v14
	v_fmac_f32_e32 v2, v20, v15
	v_fmac_f32_e32 v3, v21, v15
	v_mov_b32_e32 v15, s7
	v_mov_b32_e32 v14, s6
	v_cmp_le_u64_e32 vcc, s[10:11], v[14:15]
	v_fmac_f32_e32 v2, v22, v16
	v_fmac_f32_e32 v3, v23, v16
	;; [unrolled: 1-line block ×4, first 2 shown]
	s_cbranch_vccz .LBB957_2
	s_branch .LBB957_4
.LBB957_3:
	v_mov_b32_e32 v9, 0
	v_mov_b32_e32 v8, 0
	;; [unrolled: 1-line block ×4, first 2 shown]
.LBB957_4:
	s_load_dwordx2 s[0:1], s[4:5], 0x60
	s_load_dword s11, s[4:5], 0x0
	s_load_dword s6, s[4:5], 0x10
	;; [unrolled: 1-line block ×3, first 2 shown]
	s_load_dwordx4 s[12:15], s[4:5], 0x50
	v_add_u32_e32 v6, s20, v1
	s_waitcnt lgkmcnt(0)
	s_mul_i32 s1, s1, s8
	s_mul_hi_u32 s2, s0, s8
	v_ashrrev_i32_e32 v1, 31, v6
	s_add_i32 s1, s2, s1
	v_mul_lo_u32 v1, s14, v1
	v_mul_lo_u32 v7, s15, v6
	v_mad_u64_u32 v[4:5], s[2:3], s14, v6, 0
	s_mul_i32 s0, s0, s8
	s_lshl_b64 s[0:1], s[0:1], 2
	v_add3_u32 v5, v5, v1, v7
	s_add_u32 s8, s12, s0
	v_lshlrev_b64 v[4:5], 2, v[4:5]
	s_addc_u32 s10, s13, s1
	v_mov_b32_e32 v1, s10
	v_add_co_u32_e32 v7, vcc, s8, v4
	v_add_u32_e32 v0, s9, v0
	v_addc_co_u32_e32 v10, vcc, v1, v5, vcc
	v_cmp_le_i32_e64 s[0:1], v6, v0
	v_cmp_gt_i32_e32 vcc, s11, v0
	s_and_b64 s[0:1], s[0:1], vcc
	s_and_saveexec_b64 s[2:3], s[0:1]
	s_cbranch_execz .LBB957_6
; %bb.5:
	v_ashrrev_i32_e32 v1, 31, v0
	v_lshlrev_b64 v[4:5], 2, v[0:1]
	v_add_co_u32_e64 v4, s[0:1], v7, v4
	v_addc_co_u32_e64 v5, s[0:1], v10, v5, s[0:1]
	global_load_dword v1, v[4:5], off
	s_waitcnt vmcnt(0)
	v_mul_f32_e32 v1, s7, v1
	v_fmac_f32_e32 v1, s6, v9
	global_store_dword v[4:5], v1, off
.LBB957_6:
	s_or_b64 exec, exec, s[2:3]
	v_add_u32_e32 v4, 16, v0
	v_cmp_le_i32_e64 s[2:3], v6, v4
	v_cmp_gt_i32_e64 s[0:1], s11, v4
	s_and_b64 s[2:3], s[2:3], s[0:1]
	s_and_saveexec_b64 s[4:5], s[2:3]
	s_cbranch_execz .LBB957_8
; %bb.7:
	v_ashrrev_i32_e32 v5, 31, v4
	v_lshlrev_b64 v[11:12], 2, v[4:5]
	v_add_co_u32_e64 v9, s[2:3], v7, v11
	v_addc_co_u32_e64 v10, s[2:3], v10, v12, s[2:3]
	global_load_dword v1, v[9:10], off
	s_waitcnt vmcnt(0)
	v_mul_f32_e32 v1, s7, v1
	v_fmac_f32_e32 v1, s6, v8
	global_store_dword v[9:10], v1, off
.LBB957_8:
	s_or_b64 exec, exec, s[4:5]
	v_add_u32_e32 v5, 16, v6
	v_ashrrev_i32_e32 v1, 31, v5
	v_mul_lo_u32 v8, s15, v5
	v_mad_u64_u32 v[6:7], s[2:3], s14, v5, 0
	v_mul_lo_u32 v1, s14, v1
	v_add3_u32 v7, v7, v1, v8
	v_lshlrev_b64 v[6:7], 2, v[6:7]
	v_mov_b32_e32 v1, s10
	v_add_co_u32_e64 v6, s[2:3], s8, v6
	v_addc_co_u32_e64 v7, s[2:3], v1, v7, s[2:3]
	v_cmp_le_i32_e64 s[2:3], v5, v0
	s_and_b64 s[4:5], s[2:3], vcc
	s_and_saveexec_b64 s[2:3], s[4:5]
	s_cbranch_execz .LBB957_10
; %bb.9:
	v_ashrrev_i32_e32 v1, 31, v0
	v_lshlrev_b64 v[0:1], 2, v[0:1]
	v_add_co_u32_e32 v0, vcc, v6, v0
	v_addc_co_u32_e32 v1, vcc, v7, v1, vcc
	global_load_dword v8, v[0:1], off
	s_waitcnt vmcnt(0)
	v_mul_f32_e32 v8, s7, v8
	v_fmac_f32_e32 v8, s6, v2
	global_store_dword v[0:1], v8, off
.LBB957_10:
	s_or_b64 exec, exec, s[2:3]
	v_cmp_le_i32_e32 vcc, v5, v4
	s_and_b64 s[0:1], vcc, s[0:1]
	s_and_saveexec_b64 s[2:3], s[0:1]
	s_cbranch_execz .LBB957_12
; %bb.11:
	v_ashrrev_i32_e32 v5, 31, v4
	v_lshlrev_b64 v[0:1], 2, v[4:5]
	v_add_co_u32_e32 v0, vcc, v6, v0
	v_addc_co_u32_e32 v1, vcc, v7, v1, vcc
	global_load_dword v2, v[0:1], off
	s_waitcnt vmcnt(0)
	v_mul_f32_e32 v2, s7, v2
	v_fmac_f32_e32 v2, s6, v3
	global_store_dword v[0:1], v2, off
.LBB957_12:
	s_endpgm
	.section	.rodata,"a",@progbits
	.p2align	6, 0x0
	.amdhsa_kernel _ZL37rocblas_syrkx_herkx_restricted_kernelIlfLi16ELi32ELi8ELb0ELb0ELc67ELc76EKffEviT_T0_PT8_S1_lS4_S1_lS2_PT9_S1_li
		.amdhsa_group_segment_fixed_size 2048
		.amdhsa_private_segment_fixed_size 0
		.amdhsa_kernarg_size 108
		.amdhsa_user_sgpr_count 6
		.amdhsa_user_sgpr_private_segment_buffer 1
		.amdhsa_user_sgpr_dispatch_ptr 0
		.amdhsa_user_sgpr_queue_ptr 0
		.amdhsa_user_sgpr_kernarg_segment_ptr 1
		.amdhsa_user_sgpr_dispatch_id 0
		.amdhsa_user_sgpr_flat_scratch_init 0
		.amdhsa_user_sgpr_private_segment_size 0
		.amdhsa_uses_dynamic_stack 0
		.amdhsa_system_sgpr_private_segment_wavefront_offset 0
		.amdhsa_system_sgpr_workgroup_id_x 1
		.amdhsa_system_sgpr_workgroup_id_y 1
		.amdhsa_system_sgpr_workgroup_id_z 1
		.amdhsa_system_sgpr_workgroup_info 0
		.amdhsa_system_vgpr_workitem_id 1
		.amdhsa_next_free_vgpr 26
		.amdhsa_next_free_sgpr 21
		.amdhsa_reserve_vcc 1
		.amdhsa_reserve_flat_scratch 0
		.amdhsa_float_round_mode_32 0
		.amdhsa_float_round_mode_16_64 0
		.amdhsa_float_denorm_mode_32 3
		.amdhsa_float_denorm_mode_16_64 3
		.amdhsa_dx10_clamp 1
		.amdhsa_ieee_mode 1
		.amdhsa_fp16_overflow 0
		.amdhsa_exception_fp_ieee_invalid_op 0
		.amdhsa_exception_fp_denorm_src 0
		.amdhsa_exception_fp_ieee_div_zero 0
		.amdhsa_exception_fp_ieee_overflow 0
		.amdhsa_exception_fp_ieee_underflow 0
		.amdhsa_exception_fp_ieee_inexact 0
		.amdhsa_exception_int_div_zero 0
	.end_amdhsa_kernel
	.section	.text._ZL37rocblas_syrkx_herkx_restricted_kernelIlfLi16ELi32ELi8ELb0ELb0ELc67ELc76EKffEviT_T0_PT8_S1_lS4_S1_lS2_PT9_S1_li,"axG",@progbits,_ZL37rocblas_syrkx_herkx_restricted_kernelIlfLi16ELi32ELi8ELb0ELb0ELc67ELc76EKffEviT_T0_PT8_S1_lS4_S1_lS2_PT9_S1_li,comdat
.Lfunc_end957:
	.size	_ZL37rocblas_syrkx_herkx_restricted_kernelIlfLi16ELi32ELi8ELb0ELb0ELc67ELc76EKffEviT_T0_PT8_S1_lS4_S1_lS2_PT9_S1_li, .Lfunc_end957-_ZL37rocblas_syrkx_herkx_restricted_kernelIlfLi16ELi32ELi8ELb0ELb0ELc67ELc76EKffEviT_T0_PT8_S1_lS4_S1_lS2_PT9_S1_li
                                        ; -- End function
	.set _ZL37rocblas_syrkx_herkx_restricted_kernelIlfLi16ELi32ELi8ELb0ELb0ELc67ELc76EKffEviT_T0_PT8_S1_lS4_S1_lS2_PT9_S1_li.num_vgpr, 26
	.set _ZL37rocblas_syrkx_herkx_restricted_kernelIlfLi16ELi32ELi8ELb0ELb0ELc67ELc76EKffEviT_T0_PT8_S1_lS4_S1_lS2_PT9_S1_li.num_agpr, 0
	.set _ZL37rocblas_syrkx_herkx_restricted_kernelIlfLi16ELi32ELi8ELb0ELb0ELc67ELc76EKffEviT_T0_PT8_S1_lS4_S1_lS2_PT9_S1_li.numbered_sgpr, 21
	.set _ZL37rocblas_syrkx_herkx_restricted_kernelIlfLi16ELi32ELi8ELb0ELb0ELc67ELc76EKffEviT_T0_PT8_S1_lS4_S1_lS2_PT9_S1_li.num_named_barrier, 0
	.set _ZL37rocblas_syrkx_herkx_restricted_kernelIlfLi16ELi32ELi8ELb0ELb0ELc67ELc76EKffEviT_T0_PT8_S1_lS4_S1_lS2_PT9_S1_li.private_seg_size, 0
	.set _ZL37rocblas_syrkx_herkx_restricted_kernelIlfLi16ELi32ELi8ELb0ELb0ELc67ELc76EKffEviT_T0_PT8_S1_lS4_S1_lS2_PT9_S1_li.uses_vcc, 1
	.set _ZL37rocblas_syrkx_herkx_restricted_kernelIlfLi16ELi32ELi8ELb0ELb0ELc67ELc76EKffEviT_T0_PT8_S1_lS4_S1_lS2_PT9_S1_li.uses_flat_scratch, 0
	.set _ZL37rocblas_syrkx_herkx_restricted_kernelIlfLi16ELi32ELi8ELb0ELb0ELc67ELc76EKffEviT_T0_PT8_S1_lS4_S1_lS2_PT9_S1_li.has_dyn_sized_stack, 0
	.set _ZL37rocblas_syrkx_herkx_restricted_kernelIlfLi16ELi32ELi8ELb0ELb0ELc67ELc76EKffEviT_T0_PT8_S1_lS4_S1_lS2_PT9_S1_li.has_recursion, 0
	.set _ZL37rocblas_syrkx_herkx_restricted_kernelIlfLi16ELi32ELi8ELb0ELb0ELc67ELc76EKffEviT_T0_PT8_S1_lS4_S1_lS2_PT9_S1_li.has_indirect_call, 0
	.section	.AMDGPU.csdata,"",@progbits
; Kernel info:
; codeLenInByte = 1244
; TotalNumSgprs: 25
; NumVgprs: 26
; ScratchSize: 0
; MemoryBound: 0
; FloatMode: 240
; IeeeMode: 1
; LDSByteSize: 2048 bytes/workgroup (compile time only)
; SGPRBlocks: 3
; VGPRBlocks: 6
; NumSGPRsForWavesPerEU: 25
; NumVGPRsForWavesPerEU: 26
; Occupancy: 9
; WaveLimiterHint : 0
; COMPUTE_PGM_RSRC2:SCRATCH_EN: 0
; COMPUTE_PGM_RSRC2:USER_SGPR: 6
; COMPUTE_PGM_RSRC2:TRAP_HANDLER: 0
; COMPUTE_PGM_RSRC2:TGID_X_EN: 1
; COMPUTE_PGM_RSRC2:TGID_Y_EN: 1
; COMPUTE_PGM_RSRC2:TGID_Z_EN: 1
; COMPUTE_PGM_RSRC2:TIDIG_COMP_CNT: 1
	.section	.text._ZL37rocblas_syrkx_herkx_restricted_kernelIlfLi16ELi32ELi8ELb0ELb0ELc78ELc76EKffEviT_T0_PT8_S1_lS4_S1_lS2_PT9_S1_li,"axG",@progbits,_ZL37rocblas_syrkx_herkx_restricted_kernelIlfLi16ELi32ELi8ELb0ELb0ELc78ELc76EKffEviT_T0_PT8_S1_lS4_S1_lS2_PT9_S1_li,comdat
	.globl	_ZL37rocblas_syrkx_herkx_restricted_kernelIlfLi16ELi32ELi8ELb0ELb0ELc78ELc76EKffEviT_T0_PT8_S1_lS4_S1_lS2_PT9_S1_li ; -- Begin function _ZL37rocblas_syrkx_herkx_restricted_kernelIlfLi16ELi32ELi8ELb0ELb0ELc78ELc76EKffEviT_T0_PT8_S1_lS4_S1_lS2_PT9_S1_li
	.p2align	8
	.type	_ZL37rocblas_syrkx_herkx_restricted_kernelIlfLi16ELi32ELi8ELb0ELb0ELc78ELc76EKffEviT_T0_PT8_S1_lS4_S1_lS2_PT9_S1_li,@function
_ZL37rocblas_syrkx_herkx_restricted_kernelIlfLi16ELi32ELi8ELb0ELb0ELc78ELc76EKffEviT_T0_PT8_S1_lS4_S1_lS2_PT9_S1_li: ; @_ZL37rocblas_syrkx_herkx_restricted_kernelIlfLi16ELi32ELi8ELb0ELb0ELc78ELc76EKffEviT_T0_PT8_S1_lS4_S1_lS2_PT9_S1_li
; %bb.0:
	s_load_dwordx2 s[10:11], s[4:5], 0x8
	s_lshl_b32 s9, s6, 5
	s_lshl_b32 s20, s7, 5
	s_waitcnt lgkmcnt(0)
	v_cmp_lt_i64_e64 s[0:1], s[10:11], 1
	s_and_b64 vcc, exec, s[0:1]
	s_cbranch_vccnz .LBB958_3
; %bb.1:
	s_load_dwordx8 s[12:19], s[4:5], 0x18
	s_load_dwordx4 s[0:3], s[4:5], 0x38
	v_lshl_add_u32 v2, v1, 4, v0
	v_lshrrev_b32_e32 v4, 3, v2
	v_lshrrev_b32_e32 v6, 5, v2
	v_and_b32_e32 v7, 31, v2
	v_add_u32_e32 v2, s20, v4
	v_and_b32_e32 v5, 7, v0
	v_ashrrev_i32_e32 v3, 31, v2
	v_lshlrev_b32_e32 v8, 2, v7
	s_waitcnt lgkmcnt(0)
	v_mad_u64_u32 v[2:3], s[6:7], s0, v5, v[2:3]
	v_lshl_or_b32 v9, v6, 7, v8
	v_lshlrev_b32_e32 v8, 2, v5
	v_lshl_or_b32 v4, v4, 5, v8
	v_add_u32_e32 v11, 0x400, v4
	v_mov_b32_e32 v4, 0x400
	v_lshl_add_u32 v13, v1, 5, v4
	v_mad_u64_u32 v[3:4], s[6:7], s1, v5, v[3:4]
	s_mul_i32 s3, s3, s8
	s_mul_hi_u32 s21, s2, s8
	s_add_i32 s3, s21, s3
	s_mul_i32 s2, s2, s8
	s_lshl_b64 s[2:3], s[2:3], 2
	v_lshlrev_b64 v[2:3], 2, v[2:3]
	s_add_u32 s2, s18, s2
	s_addc_u32 s3, s19, s3
	v_mov_b32_e32 v4, s3
	v_add_co_u32_e32 v2, vcc, s2, v2
	v_addc_co_u32_e32 v3, vcc, v4, v3, vcc
	v_add_u32_e32 v4, s9, v7
	v_ashrrev_i32_e32 v5, 31, v4
	v_mad_u64_u32 v[4:5], s[2:3], s14, v6, v[4:5]
	s_lshl_b64 s[6:7], s[0:1], 5
	s_mul_i32 s2, s17, s8
	v_mad_u64_u32 v[5:6], s[0:1], s15, v6, v[5:6]
	s_mul_hi_u32 s3, s16, s8
	s_add_i32 s1, s3, s2
	s_mul_i32 s0, s16, s8
	s_lshl_b64 s[0:1], s[0:1], 2
	v_lshlrev_b64 v[4:5], 2, v[4:5]
	s_add_u32 s0, s12, s0
	s_addc_u32 s1, s13, s1
	v_mov_b32_e32 v6, s1
	v_add_co_u32_e32 v4, vcc, s0, v4
	v_lshlrev_b32_e32 v12, 2, v0
	v_addc_co_u32_e32 v5, vcc, v6, v5, vcc
	s_lshl_b64 s[12:13], s[14:15], 5
	v_mov_b32_e32 v6, 0
	s_mov_b64 s[14:15], 0
	v_mov_b32_e32 v7, 0
	v_mov_b32_e32 v8, 0
	;; [unrolled: 1-line block ×3, first 2 shown]
.LBB958_2:                              ; =>This Inner Loop Header: Depth=1
	global_load_dword v14, v[4:5], off
	s_add_u32 s14, s14, 8
	s_addc_u32 s15, s15, 0
	v_add_co_u32_e64 v4, s[2:3], s12, v4
	s_waitcnt vmcnt(0)
	ds_write_b32 v9, v14
	global_load_dword v14, v[2:3], off
	v_add_co_u32_e64 v2, s[0:1], s6, v2
	s_waitcnt vmcnt(0)
	ds_write_b32 v11, v14
	s_waitcnt lgkmcnt(0)
	s_barrier
	ds_read2_b32 v[18:19], v12 offset1:16
	ds_read_b128 v[14:17], v13
	ds_read2_b32 v[20:21], v12 offset0:32 offset1:48
	ds_read2_b32 v[22:23], v12 offset0:64 offset1:80
	;; [unrolled: 1-line block ×3, first 2 shown]
	s_waitcnt lgkmcnt(3)
	v_fmac_f32_e32 v10, v18, v14
	v_fmac_f32_e32 v8, v19, v14
	s_waitcnt lgkmcnt(2)
	v_fmac_f32_e32 v10, v20, v15
	v_fmac_f32_e32 v8, v21, v15
	;; [unrolled: 3-line block ×4, first 2 shown]
	ds_read_b128 v[14:17], v13 offset:512
	s_waitcnt lgkmcnt(0)
	v_fmac_f32_e32 v7, v18, v14
	v_fmac_f32_e32 v6, v19, v14
	;; [unrolled: 1-line block ×8, first 2 shown]
	ds_read2_b32 v[18:19], v12 offset0:128 offset1:144
	ds_read_b128 v[14:17], v13 offset:16
	ds_read2_b32 v[20:21], v12 offset0:160 offset1:176
	ds_read2_b32 v[22:23], v12 offset0:192 offset1:208
	;; [unrolled: 1-line block ×3, first 2 shown]
	s_waitcnt lgkmcnt(3)
	v_fmac_f32_e32 v10, v18, v14
	v_fmac_f32_e32 v8, v19, v14
	s_waitcnt lgkmcnt(2)
	v_fmac_f32_e32 v10, v20, v15
	v_fmac_f32_e32 v8, v21, v15
	;; [unrolled: 3-line block ×4, first 2 shown]
	ds_read_b128 v[14:17], v13 offset:528
	s_waitcnt lgkmcnt(0)
	s_barrier
	v_fmac_f32_e32 v7, v18, v14
	v_fmac_f32_e32 v6, v19, v14
	;; [unrolled: 1-line block ×4, first 2 shown]
	v_mov_b32_e32 v14, s14
	v_mov_b32_e32 v15, s15
	v_cmp_le_u64_e32 vcc, s[10:11], v[14:15]
	v_mov_b32_e32 v14, s7
	v_fmac_f32_e32 v7, v22, v16
	v_fmac_f32_e32 v6, v23, v16
	v_addc_co_u32_e64 v3, s[0:1], v3, v14, s[0:1]
	v_mov_b32_e32 v14, s13
	v_fmac_f32_e32 v7, v24, v17
	v_fmac_f32_e32 v6, v25, v17
	v_addc_co_u32_e64 v5, s[0:1], v5, v14, s[2:3]
	s_cbranch_vccz .LBB958_2
	s_branch .LBB958_4
.LBB958_3:
	v_mov_b32_e32 v10, 0
	v_mov_b32_e32 v8, 0
	;; [unrolled: 1-line block ×4, first 2 shown]
.LBB958_4:
	s_load_dwordx2 s[0:1], s[4:5], 0x60
	s_load_dword s11, s[4:5], 0x0
	s_load_dword s6, s[4:5], 0x10
	;; [unrolled: 1-line block ×3, first 2 shown]
	s_load_dwordx4 s[12:15], s[4:5], 0x50
	v_add_u32_e32 v4, s20, v1
	s_waitcnt lgkmcnt(0)
	s_mul_i32 s1, s1, s8
	s_mul_hi_u32 s2, s0, s8
	v_ashrrev_i32_e32 v1, 31, v4
	s_add_i32 s1, s2, s1
	v_mul_lo_u32 v3, s14, v1
	v_mul_lo_u32 v5, s15, v4
	v_mad_u64_u32 v[1:2], s[2:3], s14, v4, 0
	s_mul_i32 s0, s0, s8
	s_lshl_b64 s[0:1], s[0:1], 2
	v_add3_u32 v2, v2, v3, v5
	s_add_u32 s8, s12, s0
	v_lshlrev_b64 v[1:2], 2, v[1:2]
	s_addc_u32 s10, s13, s1
	v_mov_b32_e32 v3, s10
	v_add_co_u32_e32 v5, vcc, s8, v1
	v_add_u32_e32 v0, s9, v0
	v_addc_co_u32_e32 v9, vcc, v3, v2, vcc
	v_cmp_le_i32_e64 s[0:1], v4, v0
	v_cmp_gt_i32_e32 vcc, s11, v0
	s_and_b64 s[0:1], s[0:1], vcc
	s_and_saveexec_b64 s[2:3], s[0:1]
	s_cbranch_execz .LBB958_6
; %bb.5:
	v_ashrrev_i32_e32 v1, 31, v0
	v_lshlrev_b64 v[1:2], 2, v[0:1]
	v_add_co_u32_e64 v1, s[0:1], v5, v1
	v_addc_co_u32_e64 v2, s[0:1], v9, v2, s[0:1]
	global_load_dword v3, v[1:2], off
	s_waitcnt vmcnt(0)
	v_mul_f32_e32 v3, s7, v3
	v_fmac_f32_e32 v3, s6, v10
	global_store_dword v[1:2], v3, off
.LBB958_6:
	s_or_b64 exec, exec, s[2:3]
	v_add_u32_e32 v2, 16, v0
	v_cmp_le_i32_e64 s[2:3], v4, v2
	v_cmp_gt_i32_e64 s[0:1], s11, v2
	s_and_b64 s[2:3], s[2:3], s[0:1]
	s_and_saveexec_b64 s[4:5], s[2:3]
	s_cbranch_execz .LBB958_8
; %bb.7:
	v_ashrrev_i32_e32 v3, 31, v2
	v_lshlrev_b64 v[10:11], 2, v[2:3]
	v_add_co_u32_e64 v10, s[2:3], v5, v10
	v_addc_co_u32_e64 v11, s[2:3], v9, v11, s[2:3]
	global_load_dword v1, v[10:11], off
	s_waitcnt vmcnt(0)
	v_mul_f32_e32 v1, s7, v1
	v_fmac_f32_e32 v1, s6, v8
	global_store_dword v[10:11], v1, off
.LBB958_8:
	s_or_b64 exec, exec, s[4:5]
	v_add_u32_e32 v3, 16, v4
	v_ashrrev_i32_e32 v1, 31, v3
	v_mul_lo_u32 v8, s15, v3
	v_mad_u64_u32 v[4:5], s[2:3], s14, v3, 0
	v_mul_lo_u32 v1, s14, v1
	v_add3_u32 v5, v5, v1, v8
	v_lshlrev_b64 v[4:5], 2, v[4:5]
	v_mov_b32_e32 v1, s10
	v_add_co_u32_e64 v4, s[2:3], s8, v4
	v_addc_co_u32_e64 v5, s[2:3], v1, v5, s[2:3]
	v_cmp_le_i32_e64 s[2:3], v3, v0
	s_and_b64 s[4:5], s[2:3], vcc
	s_and_saveexec_b64 s[2:3], s[4:5]
	s_cbranch_execz .LBB958_10
; %bb.9:
	v_ashrrev_i32_e32 v1, 31, v0
	v_lshlrev_b64 v[0:1], 2, v[0:1]
	v_add_co_u32_e32 v0, vcc, v4, v0
	v_addc_co_u32_e32 v1, vcc, v5, v1, vcc
	global_load_dword v8, v[0:1], off
	s_waitcnt vmcnt(0)
	v_mul_f32_e32 v8, s7, v8
	v_fmac_f32_e32 v8, s6, v7
	global_store_dword v[0:1], v8, off
.LBB958_10:
	s_or_b64 exec, exec, s[2:3]
	v_cmp_le_i32_e32 vcc, v3, v2
	s_and_b64 s[0:1], vcc, s[0:1]
	s_and_saveexec_b64 s[2:3], s[0:1]
	s_cbranch_execz .LBB958_12
; %bb.11:
	v_ashrrev_i32_e32 v3, 31, v2
	v_lshlrev_b64 v[0:1], 2, v[2:3]
	v_add_co_u32_e32 v0, vcc, v4, v0
	v_addc_co_u32_e32 v1, vcc, v5, v1, vcc
	global_load_dword v2, v[0:1], off
	s_waitcnt vmcnt(0)
	v_mul_f32_e32 v2, s7, v2
	v_fmac_f32_e32 v2, s6, v6
	global_store_dword v[0:1], v2, off
.LBB958_12:
	s_endpgm
	.section	.rodata,"a",@progbits
	.p2align	6, 0x0
	.amdhsa_kernel _ZL37rocblas_syrkx_herkx_restricted_kernelIlfLi16ELi32ELi8ELb0ELb0ELc78ELc76EKffEviT_T0_PT8_S1_lS4_S1_lS2_PT9_S1_li
		.amdhsa_group_segment_fixed_size 2048
		.amdhsa_private_segment_fixed_size 0
		.amdhsa_kernarg_size 108
		.amdhsa_user_sgpr_count 6
		.amdhsa_user_sgpr_private_segment_buffer 1
		.amdhsa_user_sgpr_dispatch_ptr 0
		.amdhsa_user_sgpr_queue_ptr 0
		.amdhsa_user_sgpr_kernarg_segment_ptr 1
		.amdhsa_user_sgpr_dispatch_id 0
		.amdhsa_user_sgpr_flat_scratch_init 0
		.amdhsa_user_sgpr_private_segment_size 0
		.amdhsa_uses_dynamic_stack 0
		.amdhsa_system_sgpr_private_segment_wavefront_offset 0
		.amdhsa_system_sgpr_workgroup_id_x 1
		.amdhsa_system_sgpr_workgroup_id_y 1
		.amdhsa_system_sgpr_workgroup_id_z 1
		.amdhsa_system_sgpr_workgroup_info 0
		.amdhsa_system_vgpr_workitem_id 1
		.amdhsa_next_free_vgpr 26
		.amdhsa_next_free_sgpr 22
		.amdhsa_reserve_vcc 1
		.amdhsa_reserve_flat_scratch 0
		.amdhsa_float_round_mode_32 0
		.amdhsa_float_round_mode_16_64 0
		.amdhsa_float_denorm_mode_32 3
		.amdhsa_float_denorm_mode_16_64 3
		.amdhsa_dx10_clamp 1
		.amdhsa_ieee_mode 1
		.amdhsa_fp16_overflow 0
		.amdhsa_exception_fp_ieee_invalid_op 0
		.amdhsa_exception_fp_denorm_src 0
		.amdhsa_exception_fp_ieee_div_zero 0
		.amdhsa_exception_fp_ieee_overflow 0
		.amdhsa_exception_fp_ieee_underflow 0
		.amdhsa_exception_fp_ieee_inexact 0
		.amdhsa_exception_int_div_zero 0
	.end_amdhsa_kernel
	.section	.text._ZL37rocblas_syrkx_herkx_restricted_kernelIlfLi16ELi32ELi8ELb0ELb0ELc78ELc76EKffEviT_T0_PT8_S1_lS4_S1_lS2_PT9_S1_li,"axG",@progbits,_ZL37rocblas_syrkx_herkx_restricted_kernelIlfLi16ELi32ELi8ELb0ELb0ELc78ELc76EKffEviT_T0_PT8_S1_lS4_S1_lS2_PT9_S1_li,comdat
.Lfunc_end958:
	.size	_ZL37rocblas_syrkx_herkx_restricted_kernelIlfLi16ELi32ELi8ELb0ELb0ELc78ELc76EKffEviT_T0_PT8_S1_lS4_S1_lS2_PT9_S1_li, .Lfunc_end958-_ZL37rocblas_syrkx_herkx_restricted_kernelIlfLi16ELi32ELi8ELb0ELb0ELc78ELc76EKffEviT_T0_PT8_S1_lS4_S1_lS2_PT9_S1_li
                                        ; -- End function
	.set _ZL37rocblas_syrkx_herkx_restricted_kernelIlfLi16ELi32ELi8ELb0ELb0ELc78ELc76EKffEviT_T0_PT8_S1_lS4_S1_lS2_PT9_S1_li.num_vgpr, 26
	.set _ZL37rocblas_syrkx_herkx_restricted_kernelIlfLi16ELi32ELi8ELb0ELb0ELc78ELc76EKffEviT_T0_PT8_S1_lS4_S1_lS2_PT9_S1_li.num_agpr, 0
	.set _ZL37rocblas_syrkx_herkx_restricted_kernelIlfLi16ELi32ELi8ELb0ELb0ELc78ELc76EKffEviT_T0_PT8_S1_lS4_S1_lS2_PT9_S1_li.numbered_sgpr, 22
	.set _ZL37rocblas_syrkx_herkx_restricted_kernelIlfLi16ELi32ELi8ELb0ELb0ELc78ELc76EKffEviT_T0_PT8_S1_lS4_S1_lS2_PT9_S1_li.num_named_barrier, 0
	.set _ZL37rocblas_syrkx_herkx_restricted_kernelIlfLi16ELi32ELi8ELb0ELb0ELc78ELc76EKffEviT_T0_PT8_S1_lS4_S1_lS2_PT9_S1_li.private_seg_size, 0
	.set _ZL37rocblas_syrkx_herkx_restricted_kernelIlfLi16ELi32ELi8ELb0ELb0ELc78ELc76EKffEviT_T0_PT8_S1_lS4_S1_lS2_PT9_S1_li.uses_vcc, 1
	.set _ZL37rocblas_syrkx_herkx_restricted_kernelIlfLi16ELi32ELi8ELb0ELb0ELc78ELc76EKffEviT_T0_PT8_S1_lS4_S1_lS2_PT9_S1_li.uses_flat_scratch, 0
	.set _ZL37rocblas_syrkx_herkx_restricted_kernelIlfLi16ELi32ELi8ELb0ELb0ELc78ELc76EKffEviT_T0_PT8_S1_lS4_S1_lS2_PT9_S1_li.has_dyn_sized_stack, 0
	.set _ZL37rocblas_syrkx_herkx_restricted_kernelIlfLi16ELi32ELi8ELb0ELb0ELc78ELc76EKffEviT_T0_PT8_S1_lS4_S1_lS2_PT9_S1_li.has_recursion, 0
	.set _ZL37rocblas_syrkx_herkx_restricted_kernelIlfLi16ELi32ELi8ELb0ELb0ELc78ELc76EKffEviT_T0_PT8_S1_lS4_S1_lS2_PT9_S1_li.has_indirect_call, 0
	.section	.AMDGPU.csdata,"",@progbits
; Kernel info:
; codeLenInByte = 1224
; TotalNumSgprs: 26
; NumVgprs: 26
; ScratchSize: 0
; MemoryBound: 0
; FloatMode: 240
; IeeeMode: 1
; LDSByteSize: 2048 bytes/workgroup (compile time only)
; SGPRBlocks: 3
; VGPRBlocks: 6
; NumSGPRsForWavesPerEU: 26
; NumVGPRsForWavesPerEU: 26
; Occupancy: 9
; WaveLimiterHint : 0
; COMPUTE_PGM_RSRC2:SCRATCH_EN: 0
; COMPUTE_PGM_RSRC2:USER_SGPR: 6
; COMPUTE_PGM_RSRC2:TRAP_HANDLER: 0
; COMPUTE_PGM_RSRC2:TGID_X_EN: 1
; COMPUTE_PGM_RSRC2:TGID_Y_EN: 1
; COMPUTE_PGM_RSRC2:TGID_Z_EN: 1
; COMPUTE_PGM_RSRC2:TIDIG_COMP_CNT: 1
	.section	.text._ZL37rocblas_syrkx_herkx_restricted_kernelIlfLi16ELi32ELi8ELb0ELb0ELc84ELc85EKffEviT_T0_PT8_S1_lS4_S1_lS2_PT9_S1_li,"axG",@progbits,_ZL37rocblas_syrkx_herkx_restricted_kernelIlfLi16ELi32ELi8ELb0ELb0ELc84ELc85EKffEviT_T0_PT8_S1_lS4_S1_lS2_PT9_S1_li,comdat
	.globl	_ZL37rocblas_syrkx_herkx_restricted_kernelIlfLi16ELi32ELi8ELb0ELb0ELc84ELc85EKffEviT_T0_PT8_S1_lS4_S1_lS2_PT9_S1_li ; -- Begin function _ZL37rocblas_syrkx_herkx_restricted_kernelIlfLi16ELi32ELi8ELb0ELb0ELc84ELc85EKffEviT_T0_PT8_S1_lS4_S1_lS2_PT9_S1_li
	.p2align	8
	.type	_ZL37rocblas_syrkx_herkx_restricted_kernelIlfLi16ELi32ELi8ELb0ELb0ELc84ELc85EKffEviT_T0_PT8_S1_lS4_S1_lS2_PT9_S1_li,@function
_ZL37rocblas_syrkx_herkx_restricted_kernelIlfLi16ELi32ELi8ELb0ELb0ELc84ELc85EKffEviT_T0_PT8_S1_lS4_S1_lS2_PT9_S1_li: ; @_ZL37rocblas_syrkx_herkx_restricted_kernelIlfLi16ELi32ELi8ELb0ELb0ELc84ELc85EKffEviT_T0_PT8_S1_lS4_S1_lS2_PT9_S1_li
; %bb.0:
	s_load_dwordx2 s[10:11], s[4:5], 0x8
	s_lshl_b32 s9, s6, 5
	s_lshl_b32 s20, s7, 5
	s_waitcnt lgkmcnt(0)
	v_cmp_lt_i64_e64 s[0:1], s[10:11], 1
	s_and_b64 vcc, exec, s[0:1]
	s_cbranch_vccnz .LBB959_3
; %bb.1:
	s_load_dwordx8 s[12:19], s[4:5], 0x18
	s_load_dwordx4 s[0:3], s[4:5], 0x38
	v_lshl_add_u32 v3, v1, 4, v0
	v_and_b32_e32 v2, 7, v0
	v_lshrrev_b32_e32 v4, 3, v3
	v_lshlrev_b32_e32 v11, 2, v2
	v_add_u32_e32 v5, s20, v4
	v_lshl_or_b32 v4, v4, 5, v11
	v_lshrrev_b32_e32 v6, 5, v3
	v_and_b32_e32 v8, 31, v3
	v_ashrrev_i32_e32 v9, 31, v5
	v_mov_b32_e32 v3, 0
	v_add_u32_e32 v11, 0x400, v4
	v_mov_b32_e32 v4, 0x400
	v_lshl_add_u32 v13, v1, 5, v4
	s_waitcnt lgkmcnt(0)
	v_mul_lo_u32 v9, s0, v9
	v_mul_lo_u32 v14, s1, v5
	v_mad_u64_u32 v[4:5], s[0:1], s0, v5, v[2:3]
	s_mul_i32 s3, s3, s8
	s_mul_hi_u32 s6, s2, s8
	s_add_i32 s1, s6, s3
	s_mul_i32 s0, s2, s8
	s_lshl_b64 s[0:1], s[0:1], 2
	v_add3_u32 v5, v14, v5, v9
	v_lshlrev_b64 v[4:5], 2, v[4:5]
	s_add_u32 s0, s18, s0
	s_addc_u32 s1, s19, s1
	v_mov_b32_e32 v2, s1
	v_add_co_u32_e32 v4, vcc, s0, v4
	v_addc_co_u32_e32 v5, vcc, v2, v5, vcc
	v_add_u32_e32 v2, s9, v8
	v_mov_b32_e32 v7, v3
	v_lshlrev_b32_e32 v10, 2, v8
	v_ashrrev_i32_e32 v8, 31, v2
	v_lshl_or_b32 v10, v6, 7, v10
	v_mul_lo_u32 v8, s14, v8
	v_mad_u64_u32 v[6:7], s[0:1], s14, v2, v[6:7]
	v_mul_lo_u32 v2, s15, v2
	s_mul_i32 s2, s17, s8
	s_mul_hi_u32 s3, s16, s8
	s_add_i32 s1, s3, s2
	s_mul_i32 s0, s16, s8
	s_lshl_b64 s[0:1], s[0:1], 2
	v_add3_u32 v7, v2, v7, v8
	v_lshlrev_b64 v[6:7], 2, v[6:7]
	s_add_u32 s0, s12, s0
	s_addc_u32 s1, s13, s1
	v_mov_b32_e32 v2, s1
	v_add_co_u32_e32 v6, vcc, s0, v6
	v_lshlrev_b32_e32 v12, 2, v0
	v_addc_co_u32_e32 v7, vcc, v2, v7, vcc
	s_mov_b64 s[6:7], 0
	v_mov_b32_e32 v2, v3
	v_mov_b32_e32 v8, v3
	;; [unrolled: 1-line block ×3, first 2 shown]
.LBB959_2:                              ; =>This Inner Loop Header: Depth=1
	global_load_dword v14, v[6:7], off
	s_add_u32 s6, s6, 8
	s_addc_u32 s7, s7, 0
	v_add_co_u32_e64 v6, s[2:3], 32, v6
	s_waitcnt vmcnt(0)
	ds_write_b32 v10, v14
	global_load_dword v14, v[4:5], off
	v_add_co_u32_e64 v4, s[0:1], 32, v4
	v_addc_co_u32_e64 v5, s[0:1], 0, v5, s[0:1]
	v_addc_co_u32_e64 v7, s[0:1], 0, v7, s[2:3]
	s_waitcnt vmcnt(0)
	ds_write_b32 v11, v14
	s_waitcnt lgkmcnt(0)
	s_barrier
	ds_read2_b32 v[18:19], v12 offset1:16
	ds_read_b128 v[14:17], v13
	ds_read2_b32 v[20:21], v12 offset0:32 offset1:48
	ds_read2_b32 v[22:23], v12 offset0:64 offset1:80
	;; [unrolled: 1-line block ×3, first 2 shown]
	s_waitcnt lgkmcnt(3)
	v_fmac_f32_e32 v9, v18, v14
	v_fmac_f32_e32 v8, v19, v14
	s_waitcnt lgkmcnt(2)
	v_fmac_f32_e32 v9, v20, v15
	v_fmac_f32_e32 v8, v21, v15
	s_waitcnt lgkmcnt(1)
	v_fmac_f32_e32 v9, v22, v16
	v_fmac_f32_e32 v8, v23, v16
	s_waitcnt lgkmcnt(0)
	v_fmac_f32_e32 v9, v24, v17
	v_fmac_f32_e32 v8, v25, v17
	ds_read_b128 v[14:17], v13 offset:512
	s_waitcnt lgkmcnt(0)
	v_fmac_f32_e32 v2, v18, v14
	v_fmac_f32_e32 v3, v19, v14
	;; [unrolled: 1-line block ×8, first 2 shown]
	ds_read2_b32 v[18:19], v12 offset0:128 offset1:144
	ds_read_b128 v[14:17], v13 offset:16
	ds_read2_b32 v[20:21], v12 offset0:160 offset1:176
	ds_read2_b32 v[22:23], v12 offset0:192 offset1:208
	;; [unrolled: 1-line block ×3, first 2 shown]
	s_waitcnt lgkmcnt(3)
	v_fmac_f32_e32 v9, v18, v14
	v_fmac_f32_e32 v8, v19, v14
	s_waitcnt lgkmcnt(2)
	v_fmac_f32_e32 v9, v20, v15
	v_fmac_f32_e32 v8, v21, v15
	;; [unrolled: 3-line block ×4, first 2 shown]
	ds_read_b128 v[14:17], v13 offset:528
	s_waitcnt lgkmcnt(0)
	s_barrier
	v_fmac_f32_e32 v2, v18, v14
	v_fmac_f32_e32 v3, v19, v14
	;; [unrolled: 1-line block ×4, first 2 shown]
	v_mov_b32_e32 v15, s7
	v_mov_b32_e32 v14, s6
	v_cmp_le_u64_e32 vcc, s[10:11], v[14:15]
	v_fmac_f32_e32 v2, v22, v16
	v_fmac_f32_e32 v3, v23, v16
	;; [unrolled: 1-line block ×4, first 2 shown]
	s_cbranch_vccz .LBB959_2
	s_branch .LBB959_4
.LBB959_3:
	v_mov_b32_e32 v9, 0
	v_mov_b32_e32 v8, 0
	;; [unrolled: 1-line block ×4, first 2 shown]
.LBB959_4:
	s_load_dwordx2 s[12:13], s[4:5], 0x60
	s_load_dword s10, s[4:5], 0x0
	s_load_dword s6, s[4:5], 0x10
	;; [unrolled: 1-line block ×3, first 2 shown]
	s_load_dwordx4 s[0:3], s[4:5], 0x50
	v_add_u32_e32 v6, s20, v1
	s_waitcnt lgkmcnt(0)
	s_mul_i32 s4, s13, s8
	s_mul_hi_u32 s5, s12, s8
	v_ashrrev_i32_e32 v1, 31, v6
	s_add_i32 s5, s5, s4
	s_mul_i32 s4, s12, s8
	v_mul_lo_u32 v1, s2, v1
	v_mul_lo_u32 v7, s3, v6
	v_mad_u64_u32 v[4:5], s[12:13], s2, v6, 0
	s_lshl_b64 s[4:5], s[4:5], 2
	s_add_u32 s8, s0, s4
	v_add3_u32 v5, v5, v1, v7
	v_lshlrev_b64 v[4:5], 2, v[4:5]
	s_addc_u32 s11, s1, s5
	v_mov_b32_e32 v1, s11
	v_add_co_u32_e64 v7, s[0:1], s8, v4
	v_add_u32_e32 v0, s9, v0
	v_addc_co_u32_e64 v10, s[0:1], v1, v5, s[0:1]
	v_cmp_gt_i32_e32 vcc, s10, v6
	v_cmp_le_i32_e64 s[0:1], v0, v6
	s_and_b64 s[0:1], vcc, s[0:1]
	s_and_saveexec_b64 s[4:5], s[0:1]
	s_cbranch_execz .LBB959_6
; %bb.5:
	v_ashrrev_i32_e32 v1, 31, v0
	v_lshlrev_b64 v[4:5], 2, v[0:1]
	v_add_co_u32_e64 v4, s[0:1], v7, v4
	v_addc_co_u32_e64 v5, s[0:1], v10, v5, s[0:1]
	global_load_dword v1, v[4:5], off
	s_waitcnt vmcnt(0)
	v_mul_f32_e32 v1, s7, v1
	v_fmac_f32_e32 v1, s6, v9
	global_store_dword v[4:5], v1, off
.LBB959_6:
	s_or_b64 exec, exec, s[4:5]
	v_add_u32_e32 v4, 16, v0
	v_cmp_le_i32_e64 s[0:1], v4, v6
	s_and_b64 s[4:5], vcc, s[0:1]
	s_and_saveexec_b64 s[0:1], s[4:5]
	s_cbranch_execz .LBB959_8
; %bb.7:
	v_ashrrev_i32_e32 v5, 31, v4
	v_lshlrev_b64 v[11:12], 2, v[4:5]
	v_add_co_u32_e32 v9, vcc, v7, v11
	v_addc_co_u32_e32 v10, vcc, v10, v12, vcc
	global_load_dword v1, v[9:10], off
	s_waitcnt vmcnt(0)
	v_mul_f32_e32 v1, s7, v1
	v_fmac_f32_e32 v1, s6, v8
	global_store_dword v[9:10], v1, off
.LBB959_8:
	s_or_b64 exec, exec, s[0:1]
	v_add_u32_e32 v5, 16, v6
	v_ashrrev_i32_e32 v1, 31, v5
	v_mul_lo_u32 v1, s2, v1
	v_mul_lo_u32 v8, s3, v5
	v_mad_u64_u32 v[6:7], s[0:1], s2, v5, 0
	v_cmp_gt_i32_e32 vcc, s10, v5
	v_add3_u32 v7, v7, v1, v8
	v_lshlrev_b64 v[6:7], 2, v[6:7]
	v_mov_b32_e32 v1, s11
	v_add_co_u32_e64 v6, s[0:1], s8, v6
	v_addc_co_u32_e64 v7, s[0:1], v1, v7, s[0:1]
	v_cmp_le_i32_e64 s[0:1], v0, v5
	s_and_b64 s[0:1], vcc, s[0:1]
	s_and_saveexec_b64 s[2:3], s[0:1]
	s_cbranch_execz .LBB959_10
; %bb.9:
	v_ashrrev_i32_e32 v1, 31, v0
	v_lshlrev_b64 v[0:1], 2, v[0:1]
	v_add_co_u32_e64 v0, s[0:1], v6, v0
	v_addc_co_u32_e64 v1, s[0:1], v7, v1, s[0:1]
	global_load_dword v8, v[0:1], off
	s_waitcnt vmcnt(0)
	v_mul_f32_e32 v8, s7, v8
	v_fmac_f32_e32 v8, s6, v2
	global_store_dword v[0:1], v8, off
.LBB959_10:
	s_or_b64 exec, exec, s[2:3]
	v_cmp_le_i32_e64 s[0:1], v4, v5
	s_and_b64 s[0:1], vcc, s[0:1]
	s_and_saveexec_b64 s[2:3], s[0:1]
	s_cbranch_execz .LBB959_12
; %bb.11:
	v_ashrrev_i32_e32 v5, 31, v4
	v_lshlrev_b64 v[0:1], 2, v[4:5]
	v_add_co_u32_e32 v0, vcc, v6, v0
	v_addc_co_u32_e32 v1, vcc, v7, v1, vcc
	global_load_dword v2, v[0:1], off
	s_waitcnt vmcnt(0)
	v_mul_f32_e32 v2, s7, v2
	v_fmac_f32_e32 v2, s6, v3
	global_store_dword v[0:1], v2, off
.LBB959_12:
	s_endpgm
	.section	.rodata,"a",@progbits
	.p2align	6, 0x0
	.amdhsa_kernel _ZL37rocblas_syrkx_herkx_restricted_kernelIlfLi16ELi32ELi8ELb0ELb0ELc84ELc85EKffEviT_T0_PT8_S1_lS4_S1_lS2_PT9_S1_li
		.amdhsa_group_segment_fixed_size 2048
		.amdhsa_private_segment_fixed_size 0
		.amdhsa_kernarg_size 108
		.amdhsa_user_sgpr_count 6
		.amdhsa_user_sgpr_private_segment_buffer 1
		.amdhsa_user_sgpr_dispatch_ptr 0
		.amdhsa_user_sgpr_queue_ptr 0
		.amdhsa_user_sgpr_kernarg_segment_ptr 1
		.amdhsa_user_sgpr_dispatch_id 0
		.amdhsa_user_sgpr_flat_scratch_init 0
		.amdhsa_user_sgpr_private_segment_size 0
		.amdhsa_uses_dynamic_stack 0
		.amdhsa_system_sgpr_private_segment_wavefront_offset 0
		.amdhsa_system_sgpr_workgroup_id_x 1
		.amdhsa_system_sgpr_workgroup_id_y 1
		.amdhsa_system_sgpr_workgroup_id_z 1
		.amdhsa_system_sgpr_workgroup_info 0
		.amdhsa_system_vgpr_workitem_id 1
		.amdhsa_next_free_vgpr 26
		.amdhsa_next_free_sgpr 21
		.amdhsa_reserve_vcc 1
		.amdhsa_reserve_flat_scratch 0
		.amdhsa_float_round_mode_32 0
		.amdhsa_float_round_mode_16_64 0
		.amdhsa_float_denorm_mode_32 3
		.amdhsa_float_denorm_mode_16_64 3
		.amdhsa_dx10_clamp 1
		.amdhsa_ieee_mode 1
		.amdhsa_fp16_overflow 0
		.amdhsa_exception_fp_ieee_invalid_op 0
		.amdhsa_exception_fp_denorm_src 0
		.amdhsa_exception_fp_ieee_div_zero 0
		.amdhsa_exception_fp_ieee_overflow 0
		.amdhsa_exception_fp_ieee_underflow 0
		.amdhsa_exception_fp_ieee_inexact 0
		.amdhsa_exception_int_div_zero 0
	.end_amdhsa_kernel
	.section	.text._ZL37rocblas_syrkx_herkx_restricted_kernelIlfLi16ELi32ELi8ELb0ELb0ELc84ELc85EKffEviT_T0_PT8_S1_lS4_S1_lS2_PT9_S1_li,"axG",@progbits,_ZL37rocblas_syrkx_herkx_restricted_kernelIlfLi16ELi32ELi8ELb0ELb0ELc84ELc85EKffEviT_T0_PT8_S1_lS4_S1_lS2_PT9_S1_li,comdat
.Lfunc_end959:
	.size	_ZL37rocblas_syrkx_herkx_restricted_kernelIlfLi16ELi32ELi8ELb0ELb0ELc84ELc85EKffEviT_T0_PT8_S1_lS4_S1_lS2_PT9_S1_li, .Lfunc_end959-_ZL37rocblas_syrkx_herkx_restricted_kernelIlfLi16ELi32ELi8ELb0ELb0ELc84ELc85EKffEviT_T0_PT8_S1_lS4_S1_lS2_PT9_S1_li
                                        ; -- End function
	.set _ZL37rocblas_syrkx_herkx_restricted_kernelIlfLi16ELi32ELi8ELb0ELb0ELc84ELc85EKffEviT_T0_PT8_S1_lS4_S1_lS2_PT9_S1_li.num_vgpr, 26
	.set _ZL37rocblas_syrkx_herkx_restricted_kernelIlfLi16ELi32ELi8ELb0ELb0ELc84ELc85EKffEviT_T0_PT8_S1_lS4_S1_lS2_PT9_S1_li.num_agpr, 0
	.set _ZL37rocblas_syrkx_herkx_restricted_kernelIlfLi16ELi32ELi8ELb0ELb0ELc84ELc85EKffEviT_T0_PT8_S1_lS4_S1_lS2_PT9_S1_li.numbered_sgpr, 21
	.set _ZL37rocblas_syrkx_herkx_restricted_kernelIlfLi16ELi32ELi8ELb0ELb0ELc84ELc85EKffEviT_T0_PT8_S1_lS4_S1_lS2_PT9_S1_li.num_named_barrier, 0
	.set _ZL37rocblas_syrkx_herkx_restricted_kernelIlfLi16ELi32ELi8ELb0ELb0ELc84ELc85EKffEviT_T0_PT8_S1_lS4_S1_lS2_PT9_S1_li.private_seg_size, 0
	.set _ZL37rocblas_syrkx_herkx_restricted_kernelIlfLi16ELi32ELi8ELb0ELb0ELc84ELc85EKffEviT_T0_PT8_S1_lS4_S1_lS2_PT9_S1_li.uses_vcc, 1
	.set _ZL37rocblas_syrkx_herkx_restricted_kernelIlfLi16ELi32ELi8ELb0ELb0ELc84ELc85EKffEviT_T0_PT8_S1_lS4_S1_lS2_PT9_S1_li.uses_flat_scratch, 0
	.set _ZL37rocblas_syrkx_herkx_restricted_kernelIlfLi16ELi32ELi8ELb0ELb0ELc84ELc85EKffEviT_T0_PT8_S1_lS4_S1_lS2_PT9_S1_li.has_dyn_sized_stack, 0
	.set _ZL37rocblas_syrkx_herkx_restricted_kernelIlfLi16ELi32ELi8ELb0ELb0ELc84ELc85EKffEviT_T0_PT8_S1_lS4_S1_lS2_PT9_S1_li.has_recursion, 0
	.set _ZL37rocblas_syrkx_herkx_restricted_kernelIlfLi16ELi32ELi8ELb0ELb0ELc84ELc85EKffEviT_T0_PT8_S1_lS4_S1_lS2_PT9_S1_li.has_indirect_call, 0
	.section	.AMDGPU.csdata,"",@progbits
; Kernel info:
; codeLenInByte = 1252
; TotalNumSgprs: 25
; NumVgprs: 26
; ScratchSize: 0
; MemoryBound: 0
; FloatMode: 240
; IeeeMode: 1
; LDSByteSize: 2048 bytes/workgroup (compile time only)
; SGPRBlocks: 3
; VGPRBlocks: 6
; NumSGPRsForWavesPerEU: 25
; NumVGPRsForWavesPerEU: 26
; Occupancy: 9
; WaveLimiterHint : 0
; COMPUTE_PGM_RSRC2:SCRATCH_EN: 0
; COMPUTE_PGM_RSRC2:USER_SGPR: 6
; COMPUTE_PGM_RSRC2:TRAP_HANDLER: 0
; COMPUTE_PGM_RSRC2:TGID_X_EN: 1
; COMPUTE_PGM_RSRC2:TGID_Y_EN: 1
; COMPUTE_PGM_RSRC2:TGID_Z_EN: 1
; COMPUTE_PGM_RSRC2:TIDIG_COMP_CNT: 1
	.section	.text._ZL37rocblas_syrkx_herkx_restricted_kernelIlfLi16ELi32ELi8ELb0ELb0ELc67ELc85EKffEviT_T0_PT8_S1_lS4_S1_lS2_PT9_S1_li,"axG",@progbits,_ZL37rocblas_syrkx_herkx_restricted_kernelIlfLi16ELi32ELi8ELb0ELb0ELc67ELc85EKffEviT_T0_PT8_S1_lS4_S1_lS2_PT9_S1_li,comdat
	.globl	_ZL37rocblas_syrkx_herkx_restricted_kernelIlfLi16ELi32ELi8ELb0ELb0ELc67ELc85EKffEviT_T0_PT8_S1_lS4_S1_lS2_PT9_S1_li ; -- Begin function _ZL37rocblas_syrkx_herkx_restricted_kernelIlfLi16ELi32ELi8ELb0ELb0ELc67ELc85EKffEviT_T0_PT8_S1_lS4_S1_lS2_PT9_S1_li
	.p2align	8
	.type	_ZL37rocblas_syrkx_herkx_restricted_kernelIlfLi16ELi32ELi8ELb0ELb0ELc67ELc85EKffEviT_T0_PT8_S1_lS4_S1_lS2_PT9_S1_li,@function
_ZL37rocblas_syrkx_herkx_restricted_kernelIlfLi16ELi32ELi8ELb0ELb0ELc67ELc85EKffEviT_T0_PT8_S1_lS4_S1_lS2_PT9_S1_li: ; @_ZL37rocblas_syrkx_herkx_restricted_kernelIlfLi16ELi32ELi8ELb0ELb0ELc67ELc85EKffEviT_T0_PT8_S1_lS4_S1_lS2_PT9_S1_li
; %bb.0:
	s_load_dwordx2 s[10:11], s[4:5], 0x8
	s_lshl_b32 s9, s6, 5
	s_lshl_b32 s20, s7, 5
	s_waitcnt lgkmcnt(0)
	v_cmp_lt_i64_e64 s[0:1], s[10:11], 1
	s_and_b64 vcc, exec, s[0:1]
	s_cbranch_vccnz .LBB960_3
; %bb.1:
	s_load_dwordx8 s[12:19], s[4:5], 0x18
	s_load_dwordx4 s[0:3], s[4:5], 0x38
	v_lshl_add_u32 v3, v1, 4, v0
	v_and_b32_e32 v2, 7, v0
	v_lshrrev_b32_e32 v4, 3, v3
	v_lshlrev_b32_e32 v11, 2, v2
	v_add_u32_e32 v5, s20, v4
	v_lshl_or_b32 v4, v4, 5, v11
	v_lshrrev_b32_e32 v6, 5, v3
	v_and_b32_e32 v8, 31, v3
	v_ashrrev_i32_e32 v9, 31, v5
	v_mov_b32_e32 v3, 0
	v_add_u32_e32 v11, 0x400, v4
	v_mov_b32_e32 v4, 0x400
	v_lshl_add_u32 v13, v1, 5, v4
	s_waitcnt lgkmcnt(0)
	v_mul_lo_u32 v9, s0, v9
	v_mul_lo_u32 v14, s1, v5
	v_mad_u64_u32 v[4:5], s[0:1], s0, v5, v[2:3]
	s_mul_i32 s3, s3, s8
	s_mul_hi_u32 s6, s2, s8
	s_add_i32 s1, s6, s3
	s_mul_i32 s0, s2, s8
	s_lshl_b64 s[0:1], s[0:1], 2
	v_add3_u32 v5, v14, v5, v9
	v_lshlrev_b64 v[4:5], 2, v[4:5]
	s_add_u32 s0, s18, s0
	s_addc_u32 s1, s19, s1
	v_mov_b32_e32 v2, s1
	v_add_co_u32_e32 v4, vcc, s0, v4
	v_addc_co_u32_e32 v5, vcc, v2, v5, vcc
	v_add_u32_e32 v2, s9, v8
	v_mov_b32_e32 v7, v3
	v_lshlrev_b32_e32 v10, 2, v8
	v_ashrrev_i32_e32 v8, 31, v2
	v_lshl_or_b32 v10, v6, 7, v10
	v_mul_lo_u32 v8, s14, v8
	v_mad_u64_u32 v[6:7], s[0:1], s14, v2, v[6:7]
	v_mul_lo_u32 v2, s15, v2
	s_mul_i32 s2, s17, s8
	s_mul_hi_u32 s3, s16, s8
	s_add_i32 s1, s3, s2
	s_mul_i32 s0, s16, s8
	s_lshl_b64 s[0:1], s[0:1], 2
	v_add3_u32 v7, v2, v7, v8
	v_lshlrev_b64 v[6:7], 2, v[6:7]
	s_add_u32 s0, s12, s0
	s_addc_u32 s1, s13, s1
	v_mov_b32_e32 v2, s1
	v_add_co_u32_e32 v6, vcc, s0, v6
	v_lshlrev_b32_e32 v12, 2, v0
	v_addc_co_u32_e32 v7, vcc, v2, v7, vcc
	s_mov_b64 s[6:7], 0
	v_mov_b32_e32 v2, v3
	v_mov_b32_e32 v8, v3
	;; [unrolled: 1-line block ×3, first 2 shown]
.LBB960_2:                              ; =>This Inner Loop Header: Depth=1
	global_load_dword v14, v[6:7], off
	s_add_u32 s6, s6, 8
	s_addc_u32 s7, s7, 0
	v_add_co_u32_e64 v6, s[2:3], 32, v6
	s_waitcnt vmcnt(0)
	ds_write_b32 v10, v14
	global_load_dword v14, v[4:5], off
	v_add_co_u32_e64 v4, s[0:1], 32, v4
	v_addc_co_u32_e64 v5, s[0:1], 0, v5, s[0:1]
	v_addc_co_u32_e64 v7, s[0:1], 0, v7, s[2:3]
	s_waitcnt vmcnt(0)
	ds_write_b32 v11, v14
	s_waitcnt lgkmcnt(0)
	s_barrier
	ds_read2_b32 v[18:19], v12 offset1:16
	ds_read_b128 v[14:17], v13
	ds_read2_b32 v[20:21], v12 offset0:32 offset1:48
	ds_read2_b32 v[22:23], v12 offset0:64 offset1:80
	;; [unrolled: 1-line block ×3, first 2 shown]
	s_waitcnt lgkmcnt(3)
	v_fmac_f32_e32 v9, v18, v14
	v_fmac_f32_e32 v8, v19, v14
	s_waitcnt lgkmcnt(2)
	v_fmac_f32_e32 v9, v20, v15
	v_fmac_f32_e32 v8, v21, v15
	;; [unrolled: 3-line block ×4, first 2 shown]
	ds_read_b128 v[14:17], v13 offset:512
	s_waitcnt lgkmcnt(0)
	v_fmac_f32_e32 v2, v18, v14
	v_fmac_f32_e32 v3, v19, v14
	;; [unrolled: 1-line block ×8, first 2 shown]
	ds_read2_b32 v[18:19], v12 offset0:128 offset1:144
	ds_read_b128 v[14:17], v13 offset:16
	ds_read2_b32 v[20:21], v12 offset0:160 offset1:176
	ds_read2_b32 v[22:23], v12 offset0:192 offset1:208
	;; [unrolled: 1-line block ×3, first 2 shown]
	s_waitcnt lgkmcnt(3)
	v_fmac_f32_e32 v9, v18, v14
	v_fmac_f32_e32 v8, v19, v14
	s_waitcnt lgkmcnt(2)
	v_fmac_f32_e32 v9, v20, v15
	v_fmac_f32_e32 v8, v21, v15
	;; [unrolled: 3-line block ×4, first 2 shown]
	ds_read_b128 v[14:17], v13 offset:528
	s_waitcnt lgkmcnt(0)
	s_barrier
	v_fmac_f32_e32 v2, v18, v14
	v_fmac_f32_e32 v3, v19, v14
	v_fmac_f32_e32 v2, v20, v15
	v_fmac_f32_e32 v3, v21, v15
	v_mov_b32_e32 v15, s7
	v_mov_b32_e32 v14, s6
	v_cmp_le_u64_e32 vcc, s[10:11], v[14:15]
	v_fmac_f32_e32 v2, v22, v16
	v_fmac_f32_e32 v3, v23, v16
	;; [unrolled: 1-line block ×4, first 2 shown]
	s_cbranch_vccz .LBB960_2
	s_branch .LBB960_4
.LBB960_3:
	v_mov_b32_e32 v9, 0
	v_mov_b32_e32 v8, 0
	;; [unrolled: 1-line block ×4, first 2 shown]
.LBB960_4:
	s_load_dwordx2 s[12:13], s[4:5], 0x60
	s_load_dword s10, s[4:5], 0x0
	s_load_dword s6, s[4:5], 0x10
	;; [unrolled: 1-line block ×3, first 2 shown]
	s_load_dwordx4 s[0:3], s[4:5], 0x50
	v_add_u32_e32 v6, s20, v1
	s_waitcnt lgkmcnt(0)
	s_mul_i32 s4, s13, s8
	s_mul_hi_u32 s5, s12, s8
	v_ashrrev_i32_e32 v1, 31, v6
	s_add_i32 s5, s5, s4
	s_mul_i32 s4, s12, s8
	v_mul_lo_u32 v1, s2, v1
	v_mul_lo_u32 v7, s3, v6
	v_mad_u64_u32 v[4:5], s[12:13], s2, v6, 0
	s_lshl_b64 s[4:5], s[4:5], 2
	s_add_u32 s8, s0, s4
	v_add3_u32 v5, v5, v1, v7
	v_lshlrev_b64 v[4:5], 2, v[4:5]
	s_addc_u32 s11, s1, s5
	v_mov_b32_e32 v1, s11
	v_add_co_u32_e64 v7, s[0:1], s8, v4
	v_add_u32_e32 v0, s9, v0
	v_addc_co_u32_e64 v10, s[0:1], v1, v5, s[0:1]
	v_cmp_gt_i32_e32 vcc, s10, v6
	v_cmp_le_i32_e64 s[0:1], v0, v6
	s_and_b64 s[0:1], vcc, s[0:1]
	s_and_saveexec_b64 s[4:5], s[0:1]
	s_cbranch_execz .LBB960_6
; %bb.5:
	v_ashrrev_i32_e32 v1, 31, v0
	v_lshlrev_b64 v[4:5], 2, v[0:1]
	v_add_co_u32_e64 v4, s[0:1], v7, v4
	v_addc_co_u32_e64 v5, s[0:1], v10, v5, s[0:1]
	global_load_dword v1, v[4:5], off
	s_waitcnt vmcnt(0)
	v_mul_f32_e32 v1, s7, v1
	v_fmac_f32_e32 v1, s6, v9
	global_store_dword v[4:5], v1, off
.LBB960_6:
	s_or_b64 exec, exec, s[4:5]
	v_add_u32_e32 v4, 16, v0
	v_cmp_le_i32_e64 s[0:1], v4, v6
	s_and_b64 s[4:5], vcc, s[0:1]
	s_and_saveexec_b64 s[0:1], s[4:5]
	s_cbranch_execz .LBB960_8
; %bb.7:
	v_ashrrev_i32_e32 v5, 31, v4
	v_lshlrev_b64 v[11:12], 2, v[4:5]
	v_add_co_u32_e32 v9, vcc, v7, v11
	v_addc_co_u32_e32 v10, vcc, v10, v12, vcc
	global_load_dword v1, v[9:10], off
	s_waitcnt vmcnt(0)
	v_mul_f32_e32 v1, s7, v1
	v_fmac_f32_e32 v1, s6, v8
	global_store_dword v[9:10], v1, off
.LBB960_8:
	s_or_b64 exec, exec, s[0:1]
	v_add_u32_e32 v5, 16, v6
	v_ashrrev_i32_e32 v1, 31, v5
	v_mul_lo_u32 v1, s2, v1
	v_mul_lo_u32 v8, s3, v5
	v_mad_u64_u32 v[6:7], s[0:1], s2, v5, 0
	v_cmp_gt_i32_e32 vcc, s10, v5
	v_add3_u32 v7, v7, v1, v8
	v_lshlrev_b64 v[6:7], 2, v[6:7]
	v_mov_b32_e32 v1, s11
	v_add_co_u32_e64 v6, s[0:1], s8, v6
	v_addc_co_u32_e64 v7, s[0:1], v1, v7, s[0:1]
	v_cmp_le_i32_e64 s[0:1], v0, v5
	s_and_b64 s[0:1], vcc, s[0:1]
	s_and_saveexec_b64 s[2:3], s[0:1]
	s_cbranch_execz .LBB960_10
; %bb.9:
	v_ashrrev_i32_e32 v1, 31, v0
	v_lshlrev_b64 v[0:1], 2, v[0:1]
	v_add_co_u32_e64 v0, s[0:1], v6, v0
	v_addc_co_u32_e64 v1, s[0:1], v7, v1, s[0:1]
	global_load_dword v8, v[0:1], off
	s_waitcnt vmcnt(0)
	v_mul_f32_e32 v8, s7, v8
	v_fmac_f32_e32 v8, s6, v2
	global_store_dword v[0:1], v8, off
.LBB960_10:
	s_or_b64 exec, exec, s[2:3]
	v_cmp_le_i32_e64 s[0:1], v4, v5
	s_and_b64 s[0:1], vcc, s[0:1]
	s_and_saveexec_b64 s[2:3], s[0:1]
	s_cbranch_execz .LBB960_12
; %bb.11:
	v_ashrrev_i32_e32 v5, 31, v4
	v_lshlrev_b64 v[0:1], 2, v[4:5]
	v_add_co_u32_e32 v0, vcc, v6, v0
	v_addc_co_u32_e32 v1, vcc, v7, v1, vcc
	global_load_dword v2, v[0:1], off
	s_waitcnt vmcnt(0)
	v_mul_f32_e32 v2, s7, v2
	v_fmac_f32_e32 v2, s6, v3
	global_store_dword v[0:1], v2, off
.LBB960_12:
	s_endpgm
	.section	.rodata,"a",@progbits
	.p2align	6, 0x0
	.amdhsa_kernel _ZL37rocblas_syrkx_herkx_restricted_kernelIlfLi16ELi32ELi8ELb0ELb0ELc67ELc85EKffEviT_T0_PT8_S1_lS4_S1_lS2_PT9_S1_li
		.amdhsa_group_segment_fixed_size 2048
		.amdhsa_private_segment_fixed_size 0
		.amdhsa_kernarg_size 108
		.amdhsa_user_sgpr_count 6
		.amdhsa_user_sgpr_private_segment_buffer 1
		.amdhsa_user_sgpr_dispatch_ptr 0
		.amdhsa_user_sgpr_queue_ptr 0
		.amdhsa_user_sgpr_kernarg_segment_ptr 1
		.amdhsa_user_sgpr_dispatch_id 0
		.amdhsa_user_sgpr_flat_scratch_init 0
		.amdhsa_user_sgpr_private_segment_size 0
		.amdhsa_uses_dynamic_stack 0
		.amdhsa_system_sgpr_private_segment_wavefront_offset 0
		.amdhsa_system_sgpr_workgroup_id_x 1
		.amdhsa_system_sgpr_workgroup_id_y 1
		.amdhsa_system_sgpr_workgroup_id_z 1
		.amdhsa_system_sgpr_workgroup_info 0
		.amdhsa_system_vgpr_workitem_id 1
		.amdhsa_next_free_vgpr 26
		.amdhsa_next_free_sgpr 21
		.amdhsa_reserve_vcc 1
		.amdhsa_reserve_flat_scratch 0
		.amdhsa_float_round_mode_32 0
		.amdhsa_float_round_mode_16_64 0
		.amdhsa_float_denorm_mode_32 3
		.amdhsa_float_denorm_mode_16_64 3
		.amdhsa_dx10_clamp 1
		.amdhsa_ieee_mode 1
		.amdhsa_fp16_overflow 0
		.amdhsa_exception_fp_ieee_invalid_op 0
		.amdhsa_exception_fp_denorm_src 0
		.amdhsa_exception_fp_ieee_div_zero 0
		.amdhsa_exception_fp_ieee_overflow 0
		.amdhsa_exception_fp_ieee_underflow 0
		.amdhsa_exception_fp_ieee_inexact 0
		.amdhsa_exception_int_div_zero 0
	.end_amdhsa_kernel
	.section	.text._ZL37rocblas_syrkx_herkx_restricted_kernelIlfLi16ELi32ELi8ELb0ELb0ELc67ELc85EKffEviT_T0_PT8_S1_lS4_S1_lS2_PT9_S1_li,"axG",@progbits,_ZL37rocblas_syrkx_herkx_restricted_kernelIlfLi16ELi32ELi8ELb0ELb0ELc67ELc85EKffEviT_T0_PT8_S1_lS4_S1_lS2_PT9_S1_li,comdat
.Lfunc_end960:
	.size	_ZL37rocblas_syrkx_herkx_restricted_kernelIlfLi16ELi32ELi8ELb0ELb0ELc67ELc85EKffEviT_T0_PT8_S1_lS4_S1_lS2_PT9_S1_li, .Lfunc_end960-_ZL37rocblas_syrkx_herkx_restricted_kernelIlfLi16ELi32ELi8ELb0ELb0ELc67ELc85EKffEviT_T0_PT8_S1_lS4_S1_lS2_PT9_S1_li
                                        ; -- End function
	.set _ZL37rocblas_syrkx_herkx_restricted_kernelIlfLi16ELi32ELi8ELb0ELb0ELc67ELc85EKffEviT_T0_PT8_S1_lS4_S1_lS2_PT9_S1_li.num_vgpr, 26
	.set _ZL37rocblas_syrkx_herkx_restricted_kernelIlfLi16ELi32ELi8ELb0ELb0ELc67ELc85EKffEviT_T0_PT8_S1_lS4_S1_lS2_PT9_S1_li.num_agpr, 0
	.set _ZL37rocblas_syrkx_herkx_restricted_kernelIlfLi16ELi32ELi8ELb0ELb0ELc67ELc85EKffEviT_T0_PT8_S1_lS4_S1_lS2_PT9_S1_li.numbered_sgpr, 21
	.set _ZL37rocblas_syrkx_herkx_restricted_kernelIlfLi16ELi32ELi8ELb0ELb0ELc67ELc85EKffEviT_T0_PT8_S1_lS4_S1_lS2_PT9_S1_li.num_named_barrier, 0
	.set _ZL37rocblas_syrkx_herkx_restricted_kernelIlfLi16ELi32ELi8ELb0ELb0ELc67ELc85EKffEviT_T0_PT8_S1_lS4_S1_lS2_PT9_S1_li.private_seg_size, 0
	.set _ZL37rocblas_syrkx_herkx_restricted_kernelIlfLi16ELi32ELi8ELb0ELb0ELc67ELc85EKffEviT_T0_PT8_S1_lS4_S1_lS2_PT9_S1_li.uses_vcc, 1
	.set _ZL37rocblas_syrkx_herkx_restricted_kernelIlfLi16ELi32ELi8ELb0ELb0ELc67ELc85EKffEviT_T0_PT8_S1_lS4_S1_lS2_PT9_S1_li.uses_flat_scratch, 0
	.set _ZL37rocblas_syrkx_herkx_restricted_kernelIlfLi16ELi32ELi8ELb0ELb0ELc67ELc85EKffEviT_T0_PT8_S1_lS4_S1_lS2_PT9_S1_li.has_dyn_sized_stack, 0
	.set _ZL37rocblas_syrkx_herkx_restricted_kernelIlfLi16ELi32ELi8ELb0ELb0ELc67ELc85EKffEviT_T0_PT8_S1_lS4_S1_lS2_PT9_S1_li.has_recursion, 0
	.set _ZL37rocblas_syrkx_herkx_restricted_kernelIlfLi16ELi32ELi8ELb0ELb0ELc67ELc85EKffEviT_T0_PT8_S1_lS4_S1_lS2_PT9_S1_li.has_indirect_call, 0
	.section	.AMDGPU.csdata,"",@progbits
; Kernel info:
; codeLenInByte = 1252
; TotalNumSgprs: 25
; NumVgprs: 26
; ScratchSize: 0
; MemoryBound: 0
; FloatMode: 240
; IeeeMode: 1
; LDSByteSize: 2048 bytes/workgroup (compile time only)
; SGPRBlocks: 3
; VGPRBlocks: 6
; NumSGPRsForWavesPerEU: 25
; NumVGPRsForWavesPerEU: 26
; Occupancy: 9
; WaveLimiterHint : 0
; COMPUTE_PGM_RSRC2:SCRATCH_EN: 0
; COMPUTE_PGM_RSRC2:USER_SGPR: 6
; COMPUTE_PGM_RSRC2:TRAP_HANDLER: 0
; COMPUTE_PGM_RSRC2:TGID_X_EN: 1
; COMPUTE_PGM_RSRC2:TGID_Y_EN: 1
; COMPUTE_PGM_RSRC2:TGID_Z_EN: 1
; COMPUTE_PGM_RSRC2:TIDIG_COMP_CNT: 1
	.section	.text._ZL37rocblas_syrkx_herkx_restricted_kernelIlfLi16ELi32ELi8ELb0ELb0ELc78ELc85EKffEviT_T0_PT8_S1_lS4_S1_lS2_PT9_S1_li,"axG",@progbits,_ZL37rocblas_syrkx_herkx_restricted_kernelIlfLi16ELi32ELi8ELb0ELb0ELc78ELc85EKffEviT_T0_PT8_S1_lS4_S1_lS2_PT9_S1_li,comdat
	.globl	_ZL37rocblas_syrkx_herkx_restricted_kernelIlfLi16ELi32ELi8ELb0ELb0ELc78ELc85EKffEviT_T0_PT8_S1_lS4_S1_lS2_PT9_S1_li ; -- Begin function _ZL37rocblas_syrkx_herkx_restricted_kernelIlfLi16ELi32ELi8ELb0ELb0ELc78ELc85EKffEviT_T0_PT8_S1_lS4_S1_lS2_PT9_S1_li
	.p2align	8
	.type	_ZL37rocblas_syrkx_herkx_restricted_kernelIlfLi16ELi32ELi8ELb0ELb0ELc78ELc85EKffEviT_T0_PT8_S1_lS4_S1_lS2_PT9_S1_li,@function
_ZL37rocblas_syrkx_herkx_restricted_kernelIlfLi16ELi32ELi8ELb0ELb0ELc78ELc85EKffEviT_T0_PT8_S1_lS4_S1_lS2_PT9_S1_li: ; @_ZL37rocblas_syrkx_herkx_restricted_kernelIlfLi16ELi32ELi8ELb0ELb0ELc78ELc85EKffEviT_T0_PT8_S1_lS4_S1_lS2_PT9_S1_li
; %bb.0:
	s_load_dwordx2 s[10:11], s[4:5], 0x8
	s_lshl_b32 s9, s6, 5
	s_lshl_b32 s20, s7, 5
	s_waitcnt lgkmcnt(0)
	v_cmp_lt_i64_e64 s[0:1], s[10:11], 1
	s_and_b64 vcc, exec, s[0:1]
	s_cbranch_vccnz .LBB961_3
; %bb.1:
	s_load_dwordx8 s[12:19], s[4:5], 0x18
	s_load_dwordx4 s[0:3], s[4:5], 0x38
	v_lshl_add_u32 v2, v1, 4, v0
	v_lshrrev_b32_e32 v4, 3, v2
	v_lshrrev_b32_e32 v6, 5, v2
	v_and_b32_e32 v7, 31, v2
	v_add_u32_e32 v2, s20, v4
	v_and_b32_e32 v5, 7, v0
	v_ashrrev_i32_e32 v3, 31, v2
	v_lshlrev_b32_e32 v8, 2, v7
	s_waitcnt lgkmcnt(0)
	v_mad_u64_u32 v[2:3], s[6:7], s0, v5, v[2:3]
	v_lshl_or_b32 v9, v6, 7, v8
	v_lshlrev_b32_e32 v8, 2, v5
	v_lshl_or_b32 v4, v4, 5, v8
	v_add_u32_e32 v11, 0x400, v4
	v_mov_b32_e32 v4, 0x400
	v_lshl_add_u32 v13, v1, 5, v4
	v_mad_u64_u32 v[3:4], s[6:7], s1, v5, v[3:4]
	s_mul_i32 s3, s3, s8
	s_mul_hi_u32 s21, s2, s8
	s_add_i32 s3, s21, s3
	s_mul_i32 s2, s2, s8
	s_lshl_b64 s[2:3], s[2:3], 2
	v_lshlrev_b64 v[2:3], 2, v[2:3]
	s_add_u32 s2, s18, s2
	s_addc_u32 s3, s19, s3
	v_mov_b32_e32 v4, s3
	v_add_co_u32_e32 v2, vcc, s2, v2
	v_addc_co_u32_e32 v3, vcc, v4, v3, vcc
	v_add_u32_e32 v4, s9, v7
	v_ashrrev_i32_e32 v5, 31, v4
	v_mad_u64_u32 v[4:5], s[2:3], s14, v6, v[4:5]
	s_lshl_b64 s[6:7], s[0:1], 5
	s_mul_i32 s2, s17, s8
	v_mad_u64_u32 v[5:6], s[0:1], s15, v6, v[5:6]
	s_mul_hi_u32 s3, s16, s8
	s_add_i32 s1, s3, s2
	s_mul_i32 s0, s16, s8
	s_lshl_b64 s[0:1], s[0:1], 2
	v_lshlrev_b64 v[4:5], 2, v[4:5]
	s_add_u32 s0, s12, s0
	s_addc_u32 s1, s13, s1
	v_mov_b32_e32 v6, s1
	v_add_co_u32_e32 v4, vcc, s0, v4
	v_lshlrev_b32_e32 v12, 2, v0
	v_addc_co_u32_e32 v5, vcc, v6, v5, vcc
	s_lshl_b64 s[12:13], s[14:15], 5
	v_mov_b32_e32 v6, 0
	s_mov_b64 s[14:15], 0
	v_mov_b32_e32 v7, 0
	v_mov_b32_e32 v8, 0
	;; [unrolled: 1-line block ×3, first 2 shown]
.LBB961_2:                              ; =>This Inner Loop Header: Depth=1
	global_load_dword v14, v[4:5], off
	s_add_u32 s14, s14, 8
	s_addc_u32 s15, s15, 0
	v_add_co_u32_e64 v4, s[2:3], s12, v4
	s_waitcnt vmcnt(0)
	ds_write_b32 v9, v14
	global_load_dword v14, v[2:3], off
	v_add_co_u32_e64 v2, s[0:1], s6, v2
	s_waitcnt vmcnt(0)
	ds_write_b32 v11, v14
	s_waitcnt lgkmcnt(0)
	s_barrier
	ds_read2_b32 v[18:19], v12 offset1:16
	ds_read_b128 v[14:17], v13
	ds_read2_b32 v[20:21], v12 offset0:32 offset1:48
	ds_read2_b32 v[22:23], v12 offset0:64 offset1:80
	;; [unrolled: 1-line block ×3, first 2 shown]
	s_waitcnt lgkmcnt(3)
	v_fmac_f32_e32 v10, v18, v14
	v_fmac_f32_e32 v8, v19, v14
	s_waitcnt lgkmcnt(2)
	v_fmac_f32_e32 v10, v20, v15
	v_fmac_f32_e32 v8, v21, v15
	s_waitcnt lgkmcnt(1)
	v_fmac_f32_e32 v10, v22, v16
	v_fmac_f32_e32 v8, v23, v16
	s_waitcnt lgkmcnt(0)
	v_fmac_f32_e32 v10, v24, v17
	v_fmac_f32_e32 v8, v25, v17
	ds_read_b128 v[14:17], v13 offset:512
	s_waitcnt lgkmcnt(0)
	v_fmac_f32_e32 v7, v18, v14
	v_fmac_f32_e32 v6, v19, v14
	;; [unrolled: 1-line block ×8, first 2 shown]
	ds_read2_b32 v[18:19], v12 offset0:128 offset1:144
	ds_read_b128 v[14:17], v13 offset:16
	ds_read2_b32 v[20:21], v12 offset0:160 offset1:176
	ds_read2_b32 v[22:23], v12 offset0:192 offset1:208
	;; [unrolled: 1-line block ×3, first 2 shown]
	s_waitcnt lgkmcnt(3)
	v_fmac_f32_e32 v10, v18, v14
	v_fmac_f32_e32 v8, v19, v14
	s_waitcnt lgkmcnt(2)
	v_fmac_f32_e32 v10, v20, v15
	v_fmac_f32_e32 v8, v21, v15
	;; [unrolled: 3-line block ×4, first 2 shown]
	ds_read_b128 v[14:17], v13 offset:528
	s_waitcnt lgkmcnt(0)
	s_barrier
	v_fmac_f32_e32 v7, v18, v14
	v_fmac_f32_e32 v6, v19, v14
	;; [unrolled: 1-line block ×4, first 2 shown]
	v_mov_b32_e32 v14, s14
	v_mov_b32_e32 v15, s15
	v_cmp_le_u64_e32 vcc, s[10:11], v[14:15]
	v_mov_b32_e32 v14, s7
	v_fmac_f32_e32 v7, v22, v16
	v_fmac_f32_e32 v6, v23, v16
	v_addc_co_u32_e64 v3, s[0:1], v3, v14, s[0:1]
	v_mov_b32_e32 v14, s13
	v_fmac_f32_e32 v7, v24, v17
	v_fmac_f32_e32 v6, v25, v17
	v_addc_co_u32_e64 v5, s[0:1], v5, v14, s[2:3]
	s_cbranch_vccz .LBB961_2
	s_branch .LBB961_4
.LBB961_3:
	v_mov_b32_e32 v10, 0
	v_mov_b32_e32 v8, 0
	;; [unrolled: 1-line block ×4, first 2 shown]
.LBB961_4:
	s_load_dwordx2 s[12:13], s[4:5], 0x60
	s_load_dword s10, s[4:5], 0x0
	s_load_dword s6, s[4:5], 0x10
	;; [unrolled: 1-line block ×3, first 2 shown]
	s_load_dwordx4 s[0:3], s[4:5], 0x50
	v_add_u32_e32 v4, s20, v1
	s_waitcnt lgkmcnt(0)
	s_mul_i32 s4, s13, s8
	s_mul_hi_u32 s5, s12, s8
	v_ashrrev_i32_e32 v1, 31, v4
	s_add_i32 s5, s5, s4
	s_mul_i32 s4, s12, s8
	v_mul_lo_u32 v3, s2, v1
	v_mul_lo_u32 v5, s3, v4
	v_mad_u64_u32 v[1:2], s[12:13], s2, v4, 0
	s_lshl_b64 s[4:5], s[4:5], 2
	s_add_u32 s8, s0, s4
	v_add3_u32 v2, v2, v3, v5
	v_lshlrev_b64 v[1:2], 2, v[1:2]
	s_addc_u32 s11, s1, s5
	v_mov_b32_e32 v3, s11
	v_add_co_u32_e64 v5, s[0:1], s8, v1
	v_add_u32_e32 v0, s9, v0
	v_addc_co_u32_e64 v9, s[0:1], v3, v2, s[0:1]
	v_cmp_gt_i32_e32 vcc, s10, v4
	v_cmp_le_i32_e64 s[0:1], v0, v4
	s_and_b64 s[0:1], vcc, s[0:1]
	s_and_saveexec_b64 s[4:5], s[0:1]
	s_cbranch_execz .LBB961_6
; %bb.5:
	v_ashrrev_i32_e32 v1, 31, v0
	v_lshlrev_b64 v[1:2], 2, v[0:1]
	v_add_co_u32_e64 v1, s[0:1], v5, v1
	v_addc_co_u32_e64 v2, s[0:1], v9, v2, s[0:1]
	global_load_dword v3, v[1:2], off
	s_waitcnt vmcnt(0)
	v_mul_f32_e32 v3, s7, v3
	v_fmac_f32_e32 v3, s6, v10
	global_store_dword v[1:2], v3, off
.LBB961_6:
	s_or_b64 exec, exec, s[4:5]
	v_add_u32_e32 v2, 16, v0
	v_cmp_le_i32_e64 s[0:1], v2, v4
	s_and_b64 s[4:5], vcc, s[0:1]
	s_and_saveexec_b64 s[0:1], s[4:5]
	s_cbranch_execz .LBB961_8
; %bb.7:
	v_ashrrev_i32_e32 v3, 31, v2
	v_lshlrev_b64 v[10:11], 2, v[2:3]
	v_add_co_u32_e32 v10, vcc, v5, v10
	v_addc_co_u32_e32 v11, vcc, v9, v11, vcc
	global_load_dword v1, v[10:11], off
	s_waitcnt vmcnt(0)
	v_mul_f32_e32 v1, s7, v1
	v_fmac_f32_e32 v1, s6, v8
	global_store_dword v[10:11], v1, off
.LBB961_8:
	s_or_b64 exec, exec, s[0:1]
	v_add_u32_e32 v3, 16, v4
	v_ashrrev_i32_e32 v1, 31, v3
	v_mul_lo_u32 v1, s2, v1
	v_mul_lo_u32 v8, s3, v3
	v_mad_u64_u32 v[4:5], s[0:1], s2, v3, 0
	v_cmp_gt_i32_e32 vcc, s10, v3
	v_add3_u32 v5, v5, v1, v8
	v_lshlrev_b64 v[4:5], 2, v[4:5]
	v_mov_b32_e32 v1, s11
	v_add_co_u32_e64 v4, s[0:1], s8, v4
	v_addc_co_u32_e64 v5, s[0:1], v1, v5, s[0:1]
	v_cmp_le_i32_e64 s[0:1], v0, v3
	s_and_b64 s[0:1], vcc, s[0:1]
	s_and_saveexec_b64 s[2:3], s[0:1]
	s_cbranch_execz .LBB961_10
; %bb.9:
	v_ashrrev_i32_e32 v1, 31, v0
	v_lshlrev_b64 v[0:1], 2, v[0:1]
	v_add_co_u32_e64 v0, s[0:1], v4, v0
	v_addc_co_u32_e64 v1, s[0:1], v5, v1, s[0:1]
	global_load_dword v8, v[0:1], off
	s_waitcnt vmcnt(0)
	v_mul_f32_e32 v8, s7, v8
	v_fmac_f32_e32 v8, s6, v7
	global_store_dword v[0:1], v8, off
.LBB961_10:
	s_or_b64 exec, exec, s[2:3]
	v_cmp_le_i32_e64 s[0:1], v2, v3
	s_and_b64 s[0:1], vcc, s[0:1]
	s_and_saveexec_b64 s[2:3], s[0:1]
	s_cbranch_execz .LBB961_12
; %bb.11:
	v_ashrrev_i32_e32 v3, 31, v2
	v_lshlrev_b64 v[0:1], 2, v[2:3]
	v_add_co_u32_e32 v0, vcc, v4, v0
	v_addc_co_u32_e32 v1, vcc, v5, v1, vcc
	global_load_dword v2, v[0:1], off
	s_waitcnt vmcnt(0)
	v_mul_f32_e32 v2, s7, v2
	v_fmac_f32_e32 v2, s6, v6
	global_store_dword v[0:1], v2, off
.LBB961_12:
	s_endpgm
	.section	.rodata,"a",@progbits
	.p2align	6, 0x0
	.amdhsa_kernel _ZL37rocblas_syrkx_herkx_restricted_kernelIlfLi16ELi32ELi8ELb0ELb0ELc78ELc85EKffEviT_T0_PT8_S1_lS4_S1_lS2_PT9_S1_li
		.amdhsa_group_segment_fixed_size 2048
		.amdhsa_private_segment_fixed_size 0
		.amdhsa_kernarg_size 108
		.amdhsa_user_sgpr_count 6
		.amdhsa_user_sgpr_private_segment_buffer 1
		.amdhsa_user_sgpr_dispatch_ptr 0
		.amdhsa_user_sgpr_queue_ptr 0
		.amdhsa_user_sgpr_kernarg_segment_ptr 1
		.amdhsa_user_sgpr_dispatch_id 0
		.amdhsa_user_sgpr_flat_scratch_init 0
		.amdhsa_user_sgpr_private_segment_size 0
		.amdhsa_uses_dynamic_stack 0
		.amdhsa_system_sgpr_private_segment_wavefront_offset 0
		.amdhsa_system_sgpr_workgroup_id_x 1
		.amdhsa_system_sgpr_workgroup_id_y 1
		.amdhsa_system_sgpr_workgroup_id_z 1
		.amdhsa_system_sgpr_workgroup_info 0
		.amdhsa_system_vgpr_workitem_id 1
		.amdhsa_next_free_vgpr 26
		.amdhsa_next_free_sgpr 22
		.amdhsa_reserve_vcc 1
		.amdhsa_reserve_flat_scratch 0
		.amdhsa_float_round_mode_32 0
		.amdhsa_float_round_mode_16_64 0
		.amdhsa_float_denorm_mode_32 3
		.amdhsa_float_denorm_mode_16_64 3
		.amdhsa_dx10_clamp 1
		.amdhsa_ieee_mode 1
		.amdhsa_fp16_overflow 0
		.amdhsa_exception_fp_ieee_invalid_op 0
		.amdhsa_exception_fp_denorm_src 0
		.amdhsa_exception_fp_ieee_div_zero 0
		.amdhsa_exception_fp_ieee_overflow 0
		.amdhsa_exception_fp_ieee_underflow 0
		.amdhsa_exception_fp_ieee_inexact 0
		.amdhsa_exception_int_div_zero 0
	.end_amdhsa_kernel
	.section	.text._ZL37rocblas_syrkx_herkx_restricted_kernelIlfLi16ELi32ELi8ELb0ELb0ELc78ELc85EKffEviT_T0_PT8_S1_lS4_S1_lS2_PT9_S1_li,"axG",@progbits,_ZL37rocblas_syrkx_herkx_restricted_kernelIlfLi16ELi32ELi8ELb0ELb0ELc78ELc85EKffEviT_T0_PT8_S1_lS4_S1_lS2_PT9_S1_li,comdat
.Lfunc_end961:
	.size	_ZL37rocblas_syrkx_herkx_restricted_kernelIlfLi16ELi32ELi8ELb0ELb0ELc78ELc85EKffEviT_T0_PT8_S1_lS4_S1_lS2_PT9_S1_li, .Lfunc_end961-_ZL37rocblas_syrkx_herkx_restricted_kernelIlfLi16ELi32ELi8ELb0ELb0ELc78ELc85EKffEviT_T0_PT8_S1_lS4_S1_lS2_PT9_S1_li
                                        ; -- End function
	.set _ZL37rocblas_syrkx_herkx_restricted_kernelIlfLi16ELi32ELi8ELb0ELb0ELc78ELc85EKffEviT_T0_PT8_S1_lS4_S1_lS2_PT9_S1_li.num_vgpr, 26
	.set _ZL37rocblas_syrkx_herkx_restricted_kernelIlfLi16ELi32ELi8ELb0ELb0ELc78ELc85EKffEviT_T0_PT8_S1_lS4_S1_lS2_PT9_S1_li.num_agpr, 0
	.set _ZL37rocblas_syrkx_herkx_restricted_kernelIlfLi16ELi32ELi8ELb0ELb0ELc78ELc85EKffEviT_T0_PT8_S1_lS4_S1_lS2_PT9_S1_li.numbered_sgpr, 22
	.set _ZL37rocblas_syrkx_herkx_restricted_kernelIlfLi16ELi32ELi8ELb0ELb0ELc78ELc85EKffEviT_T0_PT8_S1_lS4_S1_lS2_PT9_S1_li.num_named_barrier, 0
	.set _ZL37rocblas_syrkx_herkx_restricted_kernelIlfLi16ELi32ELi8ELb0ELb0ELc78ELc85EKffEviT_T0_PT8_S1_lS4_S1_lS2_PT9_S1_li.private_seg_size, 0
	.set _ZL37rocblas_syrkx_herkx_restricted_kernelIlfLi16ELi32ELi8ELb0ELb0ELc78ELc85EKffEviT_T0_PT8_S1_lS4_S1_lS2_PT9_S1_li.uses_vcc, 1
	.set _ZL37rocblas_syrkx_herkx_restricted_kernelIlfLi16ELi32ELi8ELb0ELb0ELc78ELc85EKffEviT_T0_PT8_S1_lS4_S1_lS2_PT9_S1_li.uses_flat_scratch, 0
	.set _ZL37rocblas_syrkx_herkx_restricted_kernelIlfLi16ELi32ELi8ELb0ELb0ELc78ELc85EKffEviT_T0_PT8_S1_lS4_S1_lS2_PT9_S1_li.has_dyn_sized_stack, 0
	.set _ZL37rocblas_syrkx_herkx_restricted_kernelIlfLi16ELi32ELi8ELb0ELb0ELc78ELc85EKffEviT_T0_PT8_S1_lS4_S1_lS2_PT9_S1_li.has_recursion, 0
	.set _ZL37rocblas_syrkx_herkx_restricted_kernelIlfLi16ELi32ELi8ELb0ELb0ELc78ELc85EKffEviT_T0_PT8_S1_lS4_S1_lS2_PT9_S1_li.has_indirect_call, 0
	.section	.AMDGPU.csdata,"",@progbits
; Kernel info:
; codeLenInByte = 1232
; TotalNumSgprs: 26
; NumVgprs: 26
; ScratchSize: 0
; MemoryBound: 0
; FloatMode: 240
; IeeeMode: 1
; LDSByteSize: 2048 bytes/workgroup (compile time only)
; SGPRBlocks: 3
; VGPRBlocks: 6
; NumSGPRsForWavesPerEU: 26
; NumVGPRsForWavesPerEU: 26
; Occupancy: 9
; WaveLimiterHint : 0
; COMPUTE_PGM_RSRC2:SCRATCH_EN: 0
; COMPUTE_PGM_RSRC2:USER_SGPR: 6
; COMPUTE_PGM_RSRC2:TRAP_HANDLER: 0
; COMPUTE_PGM_RSRC2:TGID_X_EN: 1
; COMPUTE_PGM_RSRC2:TGID_Y_EN: 1
; COMPUTE_PGM_RSRC2:TGID_Z_EN: 1
; COMPUTE_PGM_RSRC2:TIDIG_COMP_CNT: 1
	.section	.text._ZL41rocblas_syrkx_herkx_small_restrict_kernelIlfLi16ELb1ELb0ELc84ELc76EKffEviT_T0_PT6_S1_lS4_S1_lS2_PT7_S1_li,"axG",@progbits,_ZL41rocblas_syrkx_herkx_small_restrict_kernelIlfLi16ELb1ELb0ELc84ELc76EKffEviT_T0_PT6_S1_lS4_S1_lS2_PT7_S1_li,comdat
	.globl	_ZL41rocblas_syrkx_herkx_small_restrict_kernelIlfLi16ELb1ELb0ELc84ELc76EKffEviT_T0_PT6_S1_lS4_S1_lS2_PT7_S1_li ; -- Begin function _ZL41rocblas_syrkx_herkx_small_restrict_kernelIlfLi16ELb1ELb0ELc84ELc76EKffEviT_T0_PT6_S1_lS4_S1_lS2_PT7_S1_li
	.p2align	8
	.type	_ZL41rocblas_syrkx_herkx_small_restrict_kernelIlfLi16ELb1ELb0ELc84ELc76EKffEviT_T0_PT6_S1_lS4_S1_lS2_PT7_S1_li,@function
_ZL41rocblas_syrkx_herkx_small_restrict_kernelIlfLi16ELb1ELb0ELc84ELc76EKffEviT_T0_PT6_S1_lS4_S1_lS2_PT7_S1_li: ; @_ZL41rocblas_syrkx_herkx_small_restrict_kernelIlfLi16ELb1ELb0ELc84ELc76EKffEviT_T0_PT6_S1_lS4_S1_lS2_PT7_S1_li
; %bb.0:
	s_load_dwordx2 s[0:1], s[4:5], 0x8
	v_lshl_add_u32 v2, s6, 4, v0
	v_lshl_add_u32 v8, s7, 4, v1
	v_ashrrev_i32_e32 v3, 31, v2
	v_ashrrev_i32_e32 v9, 31, v8
	s_waitcnt lgkmcnt(0)
	v_cmp_lt_i64_e64 s[2:3], s[0:1], 1
	s_and_b64 vcc, exec, s[2:3]
	s_cbranch_vccnz .LBB962_6
; %bb.1:
	s_load_dwordx4 s[20:23], s[4:5], 0x38
	s_load_dwordx8 s[12:19], s[4:5], 0x18
	v_lshlrev_b32_e32 v11, 2, v0
	v_lshlrev_b32_e32 v6, 6, v1
	v_add_u32_e32 v12, v11, v6
	s_waitcnt lgkmcnt(0)
	v_mul_lo_u32 v0, s21, v8
	v_mul_lo_u32 v7, s20, v9
	v_mad_u64_u32 v[4:5], s[2:3], s20, v8, 0
	s_mul_i32 s2, s23, s8
	s_mul_hi_u32 s3, s22, s8
	v_add3_u32 v5, v5, v7, v0
	v_lshlrev_b64 v[4:5], 2, v[4:5]
	s_add_i32 s3, s3, s2
	s_mul_i32 s2, s22, s8
	s_lshl_b64 s[2:3], s[2:3], 2
	v_add_u32_e32 v13, 0x400, v6
	v_mov_b32_e32 v0, s3
	v_add_co_u32_e32 v4, vcc, s2, v4
	v_mul_lo_u32 v15, s15, v2
	v_mul_lo_u32 v16, s14, v3
	v_mad_u64_u32 v[6:7], s[2:3], s14, v2, 0
	v_addc_co_u32_e32 v0, vcc, v5, v0, vcc
	v_add_co_u32_e32 v4, vcc, v4, v11
	v_addc_co_u32_e32 v0, vcc, 0, v0, vcc
	v_add3_u32 v7, v7, v16, v15
	s_mul_i32 s2, s17, s8
	s_mul_hi_u32 s3, s16, s8
	v_mov_b32_e32 v5, s19
	v_add_co_u32_e32 v4, vcc, s18, v4
	v_lshlrev_b64 v[6:7], 2, v[6:7]
	s_add_i32 s3, s3, s2
	s_mul_i32 s2, s16, s8
	v_addc_co_u32_e32 v5, vcc, v5, v0, vcc
	s_lshl_b64 s[2:3], s[2:3], 2
	v_mov_b32_e32 v0, s3
	v_add_co_u32_e32 v6, vcc, s2, v6
	v_addc_co_u32_e32 v0, vcc, v7, v0, vcc
	v_lshlrev_b32_e32 v1, 2, v1
	v_add_co_u32_e32 v1, vcc, v6, v1
	v_addc_co_u32_e32 v6, vcc, 0, v0, vcc
	v_mov_b32_e32 v7, s13
	v_add_co_u32_e32 v0, vcc, s12, v1
	v_addc_co_u32_e32 v1, vcc, v7, v6, vcc
	v_mov_b32_e32 v7, s1
	v_add_u32_e32 v14, v13, v11
	v_mov_b32_e32 v10, 0
	s_mov_b64 s[2:3], 0
	v_mov_b32_e32 v6, s0
.LBB962_2:                              ; =>This Inner Loop Header: Depth=1
	global_load_dword v15, v[0:1], off
	global_load_dword v16, v[4:5], off
	s_add_u32 s2, s2, 16
	v_add_co_u32_e32 v4, vcc, 64, v4
	v_add_co_u32_e64 v0, s[0:1], 64, v0
	v_addc_co_u32_e32 v5, vcc, 0, v5, vcc
	v_addc_co_u32_e64 v1, vcc, 0, v1, s[0:1]
	s_addc_u32 s3, s3, 0
	v_cmp_lt_i64_e32 vcc, s[2:3], v[6:7]
	s_waitcnt vmcnt(1)
	ds_write_b32 v12, v15
	s_waitcnt vmcnt(0)
	ds_write_b32 v14, v16
	s_waitcnt lgkmcnt(0)
	s_barrier
	ds_read2_b32 v[19:20], v11 offset1:16
	ds_read_b128 v[15:18], v13
	s_and_b64 vcc, exec, vcc
	s_waitcnt lgkmcnt(0)
	v_fmac_f32_e32 v10, v19, v15
	v_fmac_f32_e32 v10, v20, v16
	ds_read2_b32 v[15:16], v11 offset0:32 offset1:48
	s_waitcnt lgkmcnt(0)
	v_fmac_f32_e32 v10, v15, v17
	v_fmac_f32_e32 v10, v16, v18
	ds_read2_b32 v[19:20], v11 offset0:64 offset1:80
	ds_read_b128 v[15:18], v13 offset:16
	s_waitcnt lgkmcnt(0)
	v_fmac_f32_e32 v10, v19, v15
	v_fmac_f32_e32 v10, v20, v16
	ds_read2_b32 v[15:16], v11 offset0:96 offset1:112
	s_waitcnt lgkmcnt(0)
	v_fmac_f32_e32 v10, v15, v17
	v_fmac_f32_e32 v10, v16, v18
	ds_read2_b32 v[19:20], v11 offset0:128 offset1:144
	ds_read_b128 v[15:18], v13 offset:32
	s_waitcnt lgkmcnt(0)
	v_fmac_f32_e32 v10, v19, v15
	v_fmac_f32_e32 v10, v20, v16
	ds_read2_b32 v[15:16], v11 offset0:160 offset1:176
	s_waitcnt lgkmcnt(0)
	v_fmac_f32_e32 v10, v15, v17
	v_fmac_f32_e32 v10, v16, v18
	ds_read2_b32 v[19:20], v11 offset0:192 offset1:208
	ds_read_b128 v[15:18], v13 offset:48
	s_waitcnt lgkmcnt(0)
	v_fmac_f32_e32 v10, v19, v15
	v_fmac_f32_e32 v10, v20, v16
	ds_read2_b32 v[15:16], v11 offset0:224 offset1:240
	s_waitcnt lgkmcnt(0)
	s_barrier
	v_fmac_f32_e32 v10, v15, v17
	v_fmac_f32_e32 v10, v16, v18
	s_cbranch_vccnz .LBB962_2
; %bb.3:
	v_cmp_le_i32_e32 vcc, v8, v2
	s_and_saveexec_b64 s[0:1], vcc
	s_cbranch_execz .LBB962_5
.LBB962_4:
	s_load_dwordx2 s[6:7], s[4:5], 0x60
	s_load_dword s9, s[4:5], 0x10
	s_load_dwordx4 s[0:3], s[4:5], 0x50
	s_waitcnt lgkmcnt(0)
	s_mul_i32 s5, s7, s8
	s_mul_hi_u32 s7, s6, s8
	v_mul_lo_u32 v4, s3, v8
	v_mul_lo_u32 v5, s2, v9
	v_mad_u64_u32 v[0:1], s[2:3], s2, v8, 0
	s_mul_i32 s4, s6, s8
	s_add_i32 s5, s7, s5
	s_lshl_b64 s[4:5], s[4:5], 2
	v_add3_u32 v1, v1, v5, v4
	s_add_u32 s0, s0, s4
	v_lshlrev_b64 v[0:1], 2, v[0:1]
	s_addc_u32 s1, s1, s5
	v_mov_b32_e32 v4, s1
	v_add_co_u32_e32 v5, vcc, s0, v0
	v_addc_co_u32_e32 v4, vcc, v4, v1, vcc
	v_lshlrev_b64 v[0:1], 2, v[2:3]
	v_mul_f32_e32 v6, s9, v10
	v_add_co_u32_e32 v0, vcc, v5, v0
	v_addc_co_u32_e32 v1, vcc, v4, v1, vcc
	global_store_dword v[0:1], v6, off
.LBB962_5:
	s_endpgm
.LBB962_6:
	v_mov_b32_e32 v10, 0
	v_cmp_le_i32_e32 vcc, v8, v2
	s_and_saveexec_b64 s[0:1], vcc
	s_cbranch_execnz .LBB962_4
	s_branch .LBB962_5
	.section	.rodata,"a",@progbits
	.p2align	6, 0x0
	.amdhsa_kernel _ZL41rocblas_syrkx_herkx_small_restrict_kernelIlfLi16ELb1ELb0ELc84ELc76EKffEviT_T0_PT6_S1_lS4_S1_lS2_PT7_S1_li
		.amdhsa_group_segment_fixed_size 2048
		.amdhsa_private_segment_fixed_size 0
		.amdhsa_kernarg_size 108
		.amdhsa_user_sgpr_count 6
		.amdhsa_user_sgpr_private_segment_buffer 1
		.amdhsa_user_sgpr_dispatch_ptr 0
		.amdhsa_user_sgpr_queue_ptr 0
		.amdhsa_user_sgpr_kernarg_segment_ptr 1
		.amdhsa_user_sgpr_dispatch_id 0
		.amdhsa_user_sgpr_flat_scratch_init 0
		.amdhsa_user_sgpr_private_segment_size 0
		.amdhsa_uses_dynamic_stack 0
		.amdhsa_system_sgpr_private_segment_wavefront_offset 0
		.amdhsa_system_sgpr_workgroup_id_x 1
		.amdhsa_system_sgpr_workgroup_id_y 1
		.amdhsa_system_sgpr_workgroup_id_z 1
		.amdhsa_system_sgpr_workgroup_info 0
		.amdhsa_system_vgpr_workitem_id 1
		.amdhsa_next_free_vgpr 21
		.amdhsa_next_free_sgpr 24
		.amdhsa_reserve_vcc 1
		.amdhsa_reserve_flat_scratch 0
		.amdhsa_float_round_mode_32 0
		.amdhsa_float_round_mode_16_64 0
		.amdhsa_float_denorm_mode_32 3
		.amdhsa_float_denorm_mode_16_64 3
		.amdhsa_dx10_clamp 1
		.amdhsa_ieee_mode 1
		.amdhsa_fp16_overflow 0
		.amdhsa_exception_fp_ieee_invalid_op 0
		.amdhsa_exception_fp_denorm_src 0
		.amdhsa_exception_fp_ieee_div_zero 0
		.amdhsa_exception_fp_ieee_overflow 0
		.amdhsa_exception_fp_ieee_underflow 0
		.amdhsa_exception_fp_ieee_inexact 0
		.amdhsa_exception_int_div_zero 0
	.end_amdhsa_kernel
	.section	.text._ZL41rocblas_syrkx_herkx_small_restrict_kernelIlfLi16ELb1ELb0ELc84ELc76EKffEviT_T0_PT6_S1_lS4_S1_lS2_PT7_S1_li,"axG",@progbits,_ZL41rocblas_syrkx_herkx_small_restrict_kernelIlfLi16ELb1ELb0ELc84ELc76EKffEviT_T0_PT6_S1_lS4_S1_lS2_PT7_S1_li,comdat
.Lfunc_end962:
	.size	_ZL41rocblas_syrkx_herkx_small_restrict_kernelIlfLi16ELb1ELb0ELc84ELc76EKffEviT_T0_PT6_S1_lS4_S1_lS2_PT7_S1_li, .Lfunc_end962-_ZL41rocblas_syrkx_herkx_small_restrict_kernelIlfLi16ELb1ELb0ELc84ELc76EKffEviT_T0_PT6_S1_lS4_S1_lS2_PT7_S1_li
                                        ; -- End function
	.set _ZL41rocblas_syrkx_herkx_small_restrict_kernelIlfLi16ELb1ELb0ELc84ELc76EKffEviT_T0_PT6_S1_lS4_S1_lS2_PT7_S1_li.num_vgpr, 21
	.set _ZL41rocblas_syrkx_herkx_small_restrict_kernelIlfLi16ELb1ELb0ELc84ELc76EKffEviT_T0_PT6_S1_lS4_S1_lS2_PT7_S1_li.num_agpr, 0
	.set _ZL41rocblas_syrkx_herkx_small_restrict_kernelIlfLi16ELb1ELb0ELc84ELc76EKffEviT_T0_PT6_S1_lS4_S1_lS2_PT7_S1_li.numbered_sgpr, 24
	.set _ZL41rocblas_syrkx_herkx_small_restrict_kernelIlfLi16ELb1ELb0ELc84ELc76EKffEviT_T0_PT6_S1_lS4_S1_lS2_PT7_S1_li.num_named_barrier, 0
	.set _ZL41rocblas_syrkx_herkx_small_restrict_kernelIlfLi16ELb1ELb0ELc84ELc76EKffEviT_T0_PT6_S1_lS4_S1_lS2_PT7_S1_li.private_seg_size, 0
	.set _ZL41rocblas_syrkx_herkx_small_restrict_kernelIlfLi16ELb1ELb0ELc84ELc76EKffEviT_T0_PT6_S1_lS4_S1_lS2_PT7_S1_li.uses_vcc, 1
	.set _ZL41rocblas_syrkx_herkx_small_restrict_kernelIlfLi16ELb1ELb0ELc84ELc76EKffEviT_T0_PT6_S1_lS4_S1_lS2_PT7_S1_li.uses_flat_scratch, 0
	.set _ZL41rocblas_syrkx_herkx_small_restrict_kernelIlfLi16ELb1ELb0ELc84ELc76EKffEviT_T0_PT6_S1_lS4_S1_lS2_PT7_S1_li.has_dyn_sized_stack, 0
	.set _ZL41rocblas_syrkx_herkx_small_restrict_kernelIlfLi16ELb1ELb0ELc84ELc76EKffEviT_T0_PT6_S1_lS4_S1_lS2_PT7_S1_li.has_recursion, 0
	.set _ZL41rocblas_syrkx_herkx_small_restrict_kernelIlfLi16ELb1ELb0ELc84ELc76EKffEviT_T0_PT6_S1_lS4_S1_lS2_PT7_S1_li.has_indirect_call, 0
	.section	.AMDGPU.csdata,"",@progbits
; Kernel info:
; codeLenInByte = 760
; TotalNumSgprs: 28
; NumVgprs: 21
; ScratchSize: 0
; MemoryBound: 0
; FloatMode: 240
; IeeeMode: 1
; LDSByteSize: 2048 bytes/workgroup (compile time only)
; SGPRBlocks: 3
; VGPRBlocks: 5
; NumSGPRsForWavesPerEU: 28
; NumVGPRsForWavesPerEU: 21
; Occupancy: 10
; WaveLimiterHint : 0
; COMPUTE_PGM_RSRC2:SCRATCH_EN: 0
; COMPUTE_PGM_RSRC2:USER_SGPR: 6
; COMPUTE_PGM_RSRC2:TRAP_HANDLER: 0
; COMPUTE_PGM_RSRC2:TGID_X_EN: 1
; COMPUTE_PGM_RSRC2:TGID_Y_EN: 1
; COMPUTE_PGM_RSRC2:TGID_Z_EN: 1
; COMPUTE_PGM_RSRC2:TIDIG_COMP_CNT: 1
	.section	.text._ZL41rocblas_syrkx_herkx_small_restrict_kernelIlfLi16ELb1ELb0ELc67ELc76EKffEviT_T0_PT6_S1_lS4_S1_lS2_PT7_S1_li,"axG",@progbits,_ZL41rocblas_syrkx_herkx_small_restrict_kernelIlfLi16ELb1ELb0ELc67ELc76EKffEviT_T0_PT6_S1_lS4_S1_lS2_PT7_S1_li,comdat
	.globl	_ZL41rocblas_syrkx_herkx_small_restrict_kernelIlfLi16ELb1ELb0ELc67ELc76EKffEviT_T0_PT6_S1_lS4_S1_lS2_PT7_S1_li ; -- Begin function _ZL41rocblas_syrkx_herkx_small_restrict_kernelIlfLi16ELb1ELb0ELc67ELc76EKffEviT_T0_PT6_S1_lS4_S1_lS2_PT7_S1_li
	.p2align	8
	.type	_ZL41rocblas_syrkx_herkx_small_restrict_kernelIlfLi16ELb1ELb0ELc67ELc76EKffEviT_T0_PT6_S1_lS4_S1_lS2_PT7_S1_li,@function
_ZL41rocblas_syrkx_herkx_small_restrict_kernelIlfLi16ELb1ELb0ELc67ELc76EKffEviT_T0_PT6_S1_lS4_S1_lS2_PT7_S1_li: ; @_ZL41rocblas_syrkx_herkx_small_restrict_kernelIlfLi16ELb1ELb0ELc67ELc76EKffEviT_T0_PT6_S1_lS4_S1_lS2_PT7_S1_li
; %bb.0:
	s_load_dwordx2 s[0:1], s[4:5], 0x8
	v_lshl_add_u32 v2, s6, 4, v0
	v_lshl_add_u32 v8, s7, 4, v1
	v_ashrrev_i32_e32 v3, 31, v2
	v_ashrrev_i32_e32 v9, 31, v8
	s_waitcnt lgkmcnt(0)
	v_cmp_lt_i64_e64 s[2:3], s[0:1], 1
	s_and_b64 vcc, exec, s[2:3]
	s_cbranch_vccnz .LBB963_6
; %bb.1:
	s_load_dwordx4 s[20:23], s[4:5], 0x38
	s_load_dwordx8 s[12:19], s[4:5], 0x18
	v_lshlrev_b32_e32 v11, 2, v0
	v_lshlrev_b32_e32 v6, 6, v1
	v_add_u32_e32 v12, v11, v6
	s_waitcnt lgkmcnt(0)
	v_mul_lo_u32 v0, s21, v8
	v_mul_lo_u32 v7, s20, v9
	v_mad_u64_u32 v[4:5], s[2:3], s20, v8, 0
	s_mul_i32 s2, s23, s8
	s_mul_hi_u32 s3, s22, s8
	v_add3_u32 v5, v5, v7, v0
	v_lshlrev_b64 v[4:5], 2, v[4:5]
	s_add_i32 s3, s3, s2
	s_mul_i32 s2, s22, s8
	s_lshl_b64 s[2:3], s[2:3], 2
	v_add_u32_e32 v13, 0x400, v6
	v_mov_b32_e32 v0, s3
	v_add_co_u32_e32 v4, vcc, s2, v4
	v_mul_lo_u32 v15, s15, v2
	v_mul_lo_u32 v16, s14, v3
	v_mad_u64_u32 v[6:7], s[2:3], s14, v2, 0
	v_addc_co_u32_e32 v0, vcc, v5, v0, vcc
	v_add_co_u32_e32 v4, vcc, v4, v11
	v_addc_co_u32_e32 v0, vcc, 0, v0, vcc
	v_add3_u32 v7, v7, v16, v15
	s_mul_i32 s2, s17, s8
	s_mul_hi_u32 s3, s16, s8
	v_mov_b32_e32 v5, s19
	v_add_co_u32_e32 v4, vcc, s18, v4
	v_lshlrev_b64 v[6:7], 2, v[6:7]
	s_add_i32 s3, s3, s2
	s_mul_i32 s2, s16, s8
	v_addc_co_u32_e32 v5, vcc, v5, v0, vcc
	s_lshl_b64 s[2:3], s[2:3], 2
	v_mov_b32_e32 v0, s3
	v_add_co_u32_e32 v6, vcc, s2, v6
	v_addc_co_u32_e32 v0, vcc, v7, v0, vcc
	v_lshlrev_b32_e32 v1, 2, v1
	v_add_co_u32_e32 v1, vcc, v6, v1
	v_addc_co_u32_e32 v6, vcc, 0, v0, vcc
	v_mov_b32_e32 v7, s13
	v_add_co_u32_e32 v0, vcc, s12, v1
	v_addc_co_u32_e32 v1, vcc, v7, v6, vcc
	v_mov_b32_e32 v7, s1
	v_add_u32_e32 v14, v13, v11
	v_mov_b32_e32 v10, 0
	s_mov_b64 s[2:3], 0
	v_mov_b32_e32 v6, s0
.LBB963_2:                              ; =>This Inner Loop Header: Depth=1
	global_load_dword v15, v[0:1], off
	global_load_dword v16, v[4:5], off
	s_add_u32 s2, s2, 16
	v_add_co_u32_e32 v4, vcc, 64, v4
	v_add_co_u32_e64 v0, s[0:1], 64, v0
	v_addc_co_u32_e32 v5, vcc, 0, v5, vcc
	v_addc_co_u32_e64 v1, vcc, 0, v1, s[0:1]
	s_addc_u32 s3, s3, 0
	v_cmp_lt_i64_e32 vcc, s[2:3], v[6:7]
	s_waitcnt vmcnt(1)
	ds_write_b32 v12, v15
	s_waitcnt vmcnt(0)
	ds_write_b32 v14, v16
	s_waitcnt lgkmcnt(0)
	s_barrier
	ds_read2_b32 v[19:20], v11 offset1:16
	ds_read_b128 v[15:18], v13
	s_and_b64 vcc, exec, vcc
	s_waitcnt lgkmcnt(0)
	v_fmac_f32_e32 v10, v19, v15
	v_fmac_f32_e32 v10, v20, v16
	ds_read2_b32 v[15:16], v11 offset0:32 offset1:48
	s_waitcnt lgkmcnt(0)
	v_fmac_f32_e32 v10, v15, v17
	v_fmac_f32_e32 v10, v16, v18
	ds_read2_b32 v[19:20], v11 offset0:64 offset1:80
	ds_read_b128 v[15:18], v13 offset:16
	s_waitcnt lgkmcnt(0)
	v_fmac_f32_e32 v10, v19, v15
	v_fmac_f32_e32 v10, v20, v16
	ds_read2_b32 v[15:16], v11 offset0:96 offset1:112
	s_waitcnt lgkmcnt(0)
	v_fmac_f32_e32 v10, v15, v17
	v_fmac_f32_e32 v10, v16, v18
	ds_read2_b32 v[19:20], v11 offset0:128 offset1:144
	ds_read_b128 v[15:18], v13 offset:32
	;; [unrolled: 9-line block ×3, first 2 shown]
	s_waitcnt lgkmcnt(0)
	v_fmac_f32_e32 v10, v19, v15
	v_fmac_f32_e32 v10, v20, v16
	ds_read2_b32 v[15:16], v11 offset0:224 offset1:240
	s_waitcnt lgkmcnt(0)
	s_barrier
	v_fmac_f32_e32 v10, v15, v17
	v_fmac_f32_e32 v10, v16, v18
	s_cbranch_vccnz .LBB963_2
; %bb.3:
	v_cmp_le_i32_e32 vcc, v8, v2
	s_and_saveexec_b64 s[0:1], vcc
	s_cbranch_execz .LBB963_5
.LBB963_4:
	s_load_dwordx2 s[6:7], s[4:5], 0x60
	s_load_dword s9, s[4:5], 0x10
	s_load_dwordx4 s[0:3], s[4:5], 0x50
	s_waitcnt lgkmcnt(0)
	s_mul_i32 s5, s7, s8
	s_mul_hi_u32 s7, s6, s8
	v_mul_lo_u32 v4, s3, v8
	v_mul_lo_u32 v5, s2, v9
	v_mad_u64_u32 v[0:1], s[2:3], s2, v8, 0
	s_mul_i32 s4, s6, s8
	s_add_i32 s5, s7, s5
	s_lshl_b64 s[4:5], s[4:5], 2
	v_add3_u32 v1, v1, v5, v4
	s_add_u32 s0, s0, s4
	v_lshlrev_b64 v[0:1], 2, v[0:1]
	s_addc_u32 s1, s1, s5
	v_mov_b32_e32 v4, s1
	v_add_co_u32_e32 v5, vcc, s0, v0
	v_addc_co_u32_e32 v4, vcc, v4, v1, vcc
	v_lshlrev_b64 v[0:1], 2, v[2:3]
	v_mul_f32_e32 v6, s9, v10
	v_add_co_u32_e32 v0, vcc, v5, v0
	v_addc_co_u32_e32 v1, vcc, v4, v1, vcc
	global_store_dword v[0:1], v6, off
.LBB963_5:
	s_endpgm
.LBB963_6:
	v_mov_b32_e32 v10, 0
	v_cmp_le_i32_e32 vcc, v8, v2
	s_and_saveexec_b64 s[0:1], vcc
	s_cbranch_execnz .LBB963_4
	s_branch .LBB963_5
	.section	.rodata,"a",@progbits
	.p2align	6, 0x0
	.amdhsa_kernel _ZL41rocblas_syrkx_herkx_small_restrict_kernelIlfLi16ELb1ELb0ELc67ELc76EKffEviT_T0_PT6_S1_lS4_S1_lS2_PT7_S1_li
		.amdhsa_group_segment_fixed_size 2048
		.amdhsa_private_segment_fixed_size 0
		.amdhsa_kernarg_size 108
		.amdhsa_user_sgpr_count 6
		.amdhsa_user_sgpr_private_segment_buffer 1
		.amdhsa_user_sgpr_dispatch_ptr 0
		.amdhsa_user_sgpr_queue_ptr 0
		.amdhsa_user_sgpr_kernarg_segment_ptr 1
		.amdhsa_user_sgpr_dispatch_id 0
		.amdhsa_user_sgpr_flat_scratch_init 0
		.amdhsa_user_sgpr_private_segment_size 0
		.amdhsa_uses_dynamic_stack 0
		.amdhsa_system_sgpr_private_segment_wavefront_offset 0
		.amdhsa_system_sgpr_workgroup_id_x 1
		.amdhsa_system_sgpr_workgroup_id_y 1
		.amdhsa_system_sgpr_workgroup_id_z 1
		.amdhsa_system_sgpr_workgroup_info 0
		.amdhsa_system_vgpr_workitem_id 1
		.amdhsa_next_free_vgpr 21
		.amdhsa_next_free_sgpr 24
		.amdhsa_reserve_vcc 1
		.amdhsa_reserve_flat_scratch 0
		.amdhsa_float_round_mode_32 0
		.amdhsa_float_round_mode_16_64 0
		.amdhsa_float_denorm_mode_32 3
		.amdhsa_float_denorm_mode_16_64 3
		.amdhsa_dx10_clamp 1
		.amdhsa_ieee_mode 1
		.amdhsa_fp16_overflow 0
		.amdhsa_exception_fp_ieee_invalid_op 0
		.amdhsa_exception_fp_denorm_src 0
		.amdhsa_exception_fp_ieee_div_zero 0
		.amdhsa_exception_fp_ieee_overflow 0
		.amdhsa_exception_fp_ieee_underflow 0
		.amdhsa_exception_fp_ieee_inexact 0
		.amdhsa_exception_int_div_zero 0
	.end_amdhsa_kernel
	.section	.text._ZL41rocblas_syrkx_herkx_small_restrict_kernelIlfLi16ELb1ELb0ELc67ELc76EKffEviT_T0_PT6_S1_lS4_S1_lS2_PT7_S1_li,"axG",@progbits,_ZL41rocblas_syrkx_herkx_small_restrict_kernelIlfLi16ELb1ELb0ELc67ELc76EKffEviT_T0_PT6_S1_lS4_S1_lS2_PT7_S1_li,comdat
.Lfunc_end963:
	.size	_ZL41rocblas_syrkx_herkx_small_restrict_kernelIlfLi16ELb1ELb0ELc67ELc76EKffEviT_T0_PT6_S1_lS4_S1_lS2_PT7_S1_li, .Lfunc_end963-_ZL41rocblas_syrkx_herkx_small_restrict_kernelIlfLi16ELb1ELb0ELc67ELc76EKffEviT_T0_PT6_S1_lS4_S1_lS2_PT7_S1_li
                                        ; -- End function
	.set _ZL41rocblas_syrkx_herkx_small_restrict_kernelIlfLi16ELb1ELb0ELc67ELc76EKffEviT_T0_PT6_S1_lS4_S1_lS2_PT7_S1_li.num_vgpr, 21
	.set _ZL41rocblas_syrkx_herkx_small_restrict_kernelIlfLi16ELb1ELb0ELc67ELc76EKffEviT_T0_PT6_S1_lS4_S1_lS2_PT7_S1_li.num_agpr, 0
	.set _ZL41rocblas_syrkx_herkx_small_restrict_kernelIlfLi16ELb1ELb0ELc67ELc76EKffEviT_T0_PT6_S1_lS4_S1_lS2_PT7_S1_li.numbered_sgpr, 24
	.set _ZL41rocblas_syrkx_herkx_small_restrict_kernelIlfLi16ELb1ELb0ELc67ELc76EKffEviT_T0_PT6_S1_lS4_S1_lS2_PT7_S1_li.num_named_barrier, 0
	.set _ZL41rocblas_syrkx_herkx_small_restrict_kernelIlfLi16ELb1ELb0ELc67ELc76EKffEviT_T0_PT6_S1_lS4_S1_lS2_PT7_S1_li.private_seg_size, 0
	.set _ZL41rocblas_syrkx_herkx_small_restrict_kernelIlfLi16ELb1ELb0ELc67ELc76EKffEviT_T0_PT6_S1_lS4_S1_lS2_PT7_S1_li.uses_vcc, 1
	.set _ZL41rocblas_syrkx_herkx_small_restrict_kernelIlfLi16ELb1ELb0ELc67ELc76EKffEviT_T0_PT6_S1_lS4_S1_lS2_PT7_S1_li.uses_flat_scratch, 0
	.set _ZL41rocblas_syrkx_herkx_small_restrict_kernelIlfLi16ELb1ELb0ELc67ELc76EKffEviT_T0_PT6_S1_lS4_S1_lS2_PT7_S1_li.has_dyn_sized_stack, 0
	.set _ZL41rocblas_syrkx_herkx_small_restrict_kernelIlfLi16ELb1ELb0ELc67ELc76EKffEviT_T0_PT6_S1_lS4_S1_lS2_PT7_S1_li.has_recursion, 0
	.set _ZL41rocblas_syrkx_herkx_small_restrict_kernelIlfLi16ELb1ELb0ELc67ELc76EKffEviT_T0_PT6_S1_lS4_S1_lS2_PT7_S1_li.has_indirect_call, 0
	.section	.AMDGPU.csdata,"",@progbits
; Kernel info:
; codeLenInByte = 760
; TotalNumSgprs: 28
; NumVgprs: 21
; ScratchSize: 0
; MemoryBound: 0
; FloatMode: 240
; IeeeMode: 1
; LDSByteSize: 2048 bytes/workgroup (compile time only)
; SGPRBlocks: 3
; VGPRBlocks: 5
; NumSGPRsForWavesPerEU: 28
; NumVGPRsForWavesPerEU: 21
; Occupancy: 10
; WaveLimiterHint : 0
; COMPUTE_PGM_RSRC2:SCRATCH_EN: 0
; COMPUTE_PGM_RSRC2:USER_SGPR: 6
; COMPUTE_PGM_RSRC2:TRAP_HANDLER: 0
; COMPUTE_PGM_RSRC2:TGID_X_EN: 1
; COMPUTE_PGM_RSRC2:TGID_Y_EN: 1
; COMPUTE_PGM_RSRC2:TGID_Z_EN: 1
; COMPUTE_PGM_RSRC2:TIDIG_COMP_CNT: 1
	.section	.text._ZL41rocblas_syrkx_herkx_small_restrict_kernelIlfLi16ELb1ELb0ELc78ELc76EKffEviT_T0_PT6_S1_lS4_S1_lS2_PT7_S1_li,"axG",@progbits,_ZL41rocblas_syrkx_herkx_small_restrict_kernelIlfLi16ELb1ELb0ELc78ELc76EKffEviT_T0_PT6_S1_lS4_S1_lS2_PT7_S1_li,comdat
	.globl	_ZL41rocblas_syrkx_herkx_small_restrict_kernelIlfLi16ELb1ELb0ELc78ELc76EKffEviT_T0_PT6_S1_lS4_S1_lS2_PT7_S1_li ; -- Begin function _ZL41rocblas_syrkx_herkx_small_restrict_kernelIlfLi16ELb1ELb0ELc78ELc76EKffEviT_T0_PT6_S1_lS4_S1_lS2_PT7_S1_li
	.p2align	8
	.type	_ZL41rocblas_syrkx_herkx_small_restrict_kernelIlfLi16ELb1ELb0ELc78ELc76EKffEviT_T0_PT6_S1_lS4_S1_lS2_PT7_S1_li,@function
_ZL41rocblas_syrkx_herkx_small_restrict_kernelIlfLi16ELb1ELb0ELc78ELc76EKffEviT_T0_PT6_S1_lS4_S1_lS2_PT7_S1_li: ; @_ZL41rocblas_syrkx_herkx_small_restrict_kernelIlfLi16ELb1ELb0ELc78ELc76EKffEviT_T0_PT6_S1_lS4_S1_lS2_PT7_S1_li
; %bb.0:
	s_load_dwordx2 s[10:11], s[4:5], 0x8
	v_lshl_add_u32 v2, s6, 4, v0
	v_lshl_add_u32 v4, s7, 4, v1
	v_ashrrev_i32_e32 v3, 31, v2
	v_ashrrev_i32_e32 v5, 31, v4
	s_waitcnt lgkmcnt(0)
	v_cmp_lt_i64_e64 s[0:1], s[10:11], 1
	s_and_b64 vcc, exec, s[0:1]
	s_cbranch_vccnz .LBB964_6
; %bb.1:
	s_load_dwordx8 s[12:19], s[4:5], 0x18
	s_load_dwordx4 s[0:3], s[4:5], 0x38
	v_lshlrev_b32_e32 v6, 6, v1
	v_lshlrev_b32_e32 v8, 2, v0
	v_add_u32_e32 v9, v8, v6
	v_add_u32_e32 v10, 0x400, v6
	s_waitcnt lgkmcnt(0)
	v_mad_u64_u32 v[6:7], s[6:7], s0, v0, 0
	s_mul_i32 s3, s3, s8
	s_mul_hi_u32 s9, s2, s8
	v_mad_u64_u32 v[12:13], s[6:7], s1, v0, v[7:8]
	s_add_i32 s3, s9, s3
	s_mul_i32 s2, s2, s8
	v_mov_b32_e32 v7, v12
	v_lshlrev_b64 v[6:7], 2, v[6:7]
	s_lshl_b64 s[2:3], s[2:3], 2
	v_mov_b32_e32 v0, s3
	v_add_co_u32_e32 v12, vcc, s2, v6
	v_addc_co_u32_e32 v0, vcc, v0, v7, vcc
	v_lshlrev_b64 v[6:7], 2, v[4:5]
	s_mul_i32 s6, s17, s8
	v_add_co_u32_e32 v6, vcc, v12, v6
	v_mad_u64_u32 v[12:13], s[2:3], s14, v1, 0
	v_addc_co_u32_e32 v0, vcc, v0, v7, vcc
	v_mov_b32_e32 v7, s19
	v_add_co_u32_e32 v6, vcc, s18, v6
	v_addc_co_u32_e32 v7, vcc, v7, v0, vcc
	v_mov_b32_e32 v0, v13
	s_lshl_b64 s[2:3], s[0:1], 6
	v_mad_u64_u32 v[0:1], s[0:1], s15, v1, v[0:1]
	s_mul_hi_u32 s7, s16, s8
	s_add_i32 s1, s7, s6
	v_mov_b32_e32 v13, v0
	s_mul_i32 s0, s16, s8
	v_lshlrev_b64 v[0:1], 2, v[12:13]
	s_lshl_b64 s[0:1], s[0:1], 2
	v_mov_b32_e32 v12, s1
	v_add_co_u32_e32 v13, vcc, s0, v0
	v_addc_co_u32_e32 v12, vcc, v12, v1, vcc
	v_lshlrev_b64 v[0:1], 2, v[2:3]
	v_add_u32_e32 v11, v10, v8
	v_add_co_u32_e32 v0, vcc, v13, v0
	v_addc_co_u32_e32 v1, vcc, v12, v1, vcc
	v_mov_b32_e32 v12, s13
	v_add_co_u32_e32 v0, vcc, s12, v0
	v_addc_co_u32_e32 v1, vcc, v12, v1, vcc
	s_lshl_b64 s[6:7], s[14:15], 6
	v_mov_b32_e32 v12, 0
	s_mov_b64 s[12:13], 0
.LBB964_2:                              ; =>This Inner Loop Header: Depth=1
	global_load_dword v15, v[0:1], off
	global_load_dword v16, v[6:7], off
	s_add_u32 s12, s12, 16
	v_mov_b32_e32 v17, s3
	v_add_co_u32_e32 v6, vcc, s2, v6
	v_mov_b32_e32 v18, s7
	v_add_co_u32_e64 v0, s[0:1], s6, v0
	v_mov_b32_e32 v14, s11
	v_mov_b32_e32 v13, s10
	s_addc_u32 s13, s13, 0
	v_addc_co_u32_e32 v7, vcc, v7, v17, vcc
	v_addc_co_u32_e64 v1, vcc, v1, v18, s[0:1]
	v_cmp_lt_i64_e32 vcc, s[12:13], v[13:14]
	s_waitcnt vmcnt(1)
	ds_write_b32 v9, v15
	s_waitcnt vmcnt(0)
	ds_write_b32 v11, v16
	s_waitcnt lgkmcnt(0)
	s_barrier
	ds_read2_b32 v[21:22], v8 offset1:16
	ds_read_b128 v[13:16], v10
	ds_read_b128 v[17:20], v10 offset:16
	s_and_b64 vcc, exec, vcc
	s_waitcnt lgkmcnt(1)
	v_fmac_f32_e32 v12, v21, v13
	v_fmac_f32_e32 v12, v22, v14
	ds_read2_b32 v[13:14], v8 offset0:32 offset1:48
	s_waitcnt lgkmcnt(0)
	v_fmac_f32_e32 v12, v13, v15
	v_fmac_f32_e32 v12, v14, v16
	ds_read2_b32 v[13:14], v8 offset0:64 offset1:80
	ds_read2_b32 v[15:16], v8 offset0:96 offset1:112
	;; [unrolled: 1-line block ×3, first 2 shown]
	s_waitcnt lgkmcnt(2)
	v_fmac_f32_e32 v12, v13, v17
	v_fmac_f32_e32 v12, v14, v18
	s_waitcnt lgkmcnt(1)
	v_fmac_f32_e32 v12, v15, v19
	v_fmac_f32_e32 v12, v16, v20
	ds_read_b128 v[13:16], v10 offset:32
	ds_read_b128 v[17:20], v10 offset:48
	s_waitcnt lgkmcnt(1)
	v_fmac_f32_e32 v12, v21, v13
	v_fmac_f32_e32 v12, v22, v14
	ds_read2_b32 v[13:14], v8 offset0:160 offset1:176
	s_waitcnt lgkmcnt(0)
	v_fmac_f32_e32 v12, v13, v15
	v_fmac_f32_e32 v12, v14, v16
	ds_read2_b32 v[13:14], v8 offset0:192 offset1:208
	ds_read2_b32 v[15:16], v8 offset0:224 offset1:240
	s_waitcnt lgkmcnt(0)
	s_barrier
	v_fmac_f32_e32 v12, v13, v17
	v_fmac_f32_e32 v12, v14, v18
	;; [unrolled: 1-line block ×4, first 2 shown]
	s_cbranch_vccnz .LBB964_2
; %bb.3:
	v_cmp_le_i32_e32 vcc, v4, v2
	s_and_saveexec_b64 s[0:1], vcc
	s_cbranch_execz .LBB964_5
.LBB964_4:
	s_load_dwordx2 s[6:7], s[4:5], 0x60
	s_load_dword s9, s[4:5], 0x10
	s_load_dwordx4 s[0:3], s[4:5], 0x50
	s_waitcnt lgkmcnt(0)
	s_mul_i32 s5, s7, s8
	s_mul_hi_u32 s7, s6, s8
	v_mul_lo_u32 v6, s3, v4
	v_mul_lo_u32 v5, s2, v5
	v_mad_u64_u32 v[0:1], s[2:3], s2, v4, 0
	s_mul_i32 s4, s6, s8
	s_add_i32 s5, s7, s5
	s_lshl_b64 s[4:5], s[4:5], 2
	v_add3_u32 v1, v1, v5, v6
	s_add_u32 s0, s0, s4
	v_lshlrev_b64 v[0:1], 2, v[0:1]
	s_addc_u32 s1, s1, s5
	v_mov_b32_e32 v5, s1
	v_add_co_u32_e32 v6, vcc, s0, v0
	v_addc_co_u32_e32 v5, vcc, v5, v1, vcc
	v_lshlrev_b64 v[0:1], 2, v[2:3]
	v_mul_f32_e32 v4, s9, v12
	v_add_co_u32_e32 v0, vcc, v6, v0
	v_addc_co_u32_e32 v1, vcc, v5, v1, vcc
	global_store_dword v[0:1], v4, off
.LBB964_5:
	s_endpgm
.LBB964_6:
	v_mov_b32_e32 v12, 0
	v_cmp_le_i32_e32 vcc, v4, v2
	s_and_saveexec_b64 s[0:1], vcc
	s_cbranch_execnz .LBB964_4
	s_branch .LBB964_5
	.section	.rodata,"a",@progbits
	.p2align	6, 0x0
	.amdhsa_kernel _ZL41rocblas_syrkx_herkx_small_restrict_kernelIlfLi16ELb1ELb0ELc78ELc76EKffEviT_T0_PT6_S1_lS4_S1_lS2_PT7_S1_li
		.amdhsa_group_segment_fixed_size 2048
		.amdhsa_private_segment_fixed_size 0
		.amdhsa_kernarg_size 108
		.amdhsa_user_sgpr_count 6
		.amdhsa_user_sgpr_private_segment_buffer 1
		.amdhsa_user_sgpr_dispatch_ptr 0
		.amdhsa_user_sgpr_queue_ptr 0
		.amdhsa_user_sgpr_kernarg_segment_ptr 1
		.amdhsa_user_sgpr_dispatch_id 0
		.amdhsa_user_sgpr_flat_scratch_init 0
		.amdhsa_user_sgpr_private_segment_size 0
		.amdhsa_uses_dynamic_stack 0
		.amdhsa_system_sgpr_private_segment_wavefront_offset 0
		.amdhsa_system_sgpr_workgroup_id_x 1
		.amdhsa_system_sgpr_workgroup_id_y 1
		.amdhsa_system_sgpr_workgroup_id_z 1
		.amdhsa_system_sgpr_workgroup_info 0
		.amdhsa_system_vgpr_workitem_id 1
		.amdhsa_next_free_vgpr 23
		.amdhsa_next_free_sgpr 20
		.amdhsa_reserve_vcc 1
		.amdhsa_reserve_flat_scratch 0
		.amdhsa_float_round_mode_32 0
		.amdhsa_float_round_mode_16_64 0
		.amdhsa_float_denorm_mode_32 3
		.amdhsa_float_denorm_mode_16_64 3
		.amdhsa_dx10_clamp 1
		.amdhsa_ieee_mode 1
		.amdhsa_fp16_overflow 0
		.amdhsa_exception_fp_ieee_invalid_op 0
		.amdhsa_exception_fp_denorm_src 0
		.amdhsa_exception_fp_ieee_div_zero 0
		.amdhsa_exception_fp_ieee_overflow 0
		.amdhsa_exception_fp_ieee_underflow 0
		.amdhsa_exception_fp_ieee_inexact 0
		.amdhsa_exception_int_div_zero 0
	.end_amdhsa_kernel
	.section	.text._ZL41rocblas_syrkx_herkx_small_restrict_kernelIlfLi16ELb1ELb0ELc78ELc76EKffEviT_T0_PT6_S1_lS4_S1_lS2_PT7_S1_li,"axG",@progbits,_ZL41rocblas_syrkx_herkx_small_restrict_kernelIlfLi16ELb1ELb0ELc78ELc76EKffEviT_T0_PT6_S1_lS4_S1_lS2_PT7_S1_li,comdat
.Lfunc_end964:
	.size	_ZL41rocblas_syrkx_herkx_small_restrict_kernelIlfLi16ELb1ELb0ELc78ELc76EKffEviT_T0_PT6_S1_lS4_S1_lS2_PT7_S1_li, .Lfunc_end964-_ZL41rocblas_syrkx_herkx_small_restrict_kernelIlfLi16ELb1ELb0ELc78ELc76EKffEviT_T0_PT6_S1_lS4_S1_lS2_PT7_S1_li
                                        ; -- End function
	.set _ZL41rocblas_syrkx_herkx_small_restrict_kernelIlfLi16ELb1ELb0ELc78ELc76EKffEviT_T0_PT6_S1_lS4_S1_lS2_PT7_S1_li.num_vgpr, 23
	.set _ZL41rocblas_syrkx_herkx_small_restrict_kernelIlfLi16ELb1ELb0ELc78ELc76EKffEviT_T0_PT6_S1_lS4_S1_lS2_PT7_S1_li.num_agpr, 0
	.set _ZL41rocblas_syrkx_herkx_small_restrict_kernelIlfLi16ELb1ELb0ELc78ELc76EKffEviT_T0_PT6_S1_lS4_S1_lS2_PT7_S1_li.numbered_sgpr, 20
	.set _ZL41rocblas_syrkx_herkx_small_restrict_kernelIlfLi16ELb1ELb0ELc78ELc76EKffEviT_T0_PT6_S1_lS4_S1_lS2_PT7_S1_li.num_named_barrier, 0
	.set _ZL41rocblas_syrkx_herkx_small_restrict_kernelIlfLi16ELb1ELb0ELc78ELc76EKffEviT_T0_PT6_S1_lS4_S1_lS2_PT7_S1_li.private_seg_size, 0
	.set _ZL41rocblas_syrkx_herkx_small_restrict_kernelIlfLi16ELb1ELb0ELc78ELc76EKffEviT_T0_PT6_S1_lS4_S1_lS2_PT7_S1_li.uses_vcc, 1
	.set _ZL41rocblas_syrkx_herkx_small_restrict_kernelIlfLi16ELb1ELb0ELc78ELc76EKffEviT_T0_PT6_S1_lS4_S1_lS2_PT7_S1_li.uses_flat_scratch, 0
	.set _ZL41rocblas_syrkx_herkx_small_restrict_kernelIlfLi16ELb1ELb0ELc78ELc76EKffEviT_T0_PT6_S1_lS4_S1_lS2_PT7_S1_li.has_dyn_sized_stack, 0
	.set _ZL41rocblas_syrkx_herkx_small_restrict_kernelIlfLi16ELb1ELb0ELc78ELc76EKffEviT_T0_PT6_S1_lS4_S1_lS2_PT7_S1_li.has_recursion, 0
	.set _ZL41rocblas_syrkx_herkx_small_restrict_kernelIlfLi16ELb1ELb0ELc78ELc76EKffEviT_T0_PT6_S1_lS4_S1_lS2_PT7_S1_li.has_indirect_call, 0
	.section	.AMDGPU.csdata,"",@progbits
; Kernel info:
; codeLenInByte = 764
; TotalNumSgprs: 24
; NumVgprs: 23
; ScratchSize: 0
; MemoryBound: 0
; FloatMode: 240
; IeeeMode: 1
; LDSByteSize: 2048 bytes/workgroup (compile time only)
; SGPRBlocks: 2
; VGPRBlocks: 5
; NumSGPRsForWavesPerEU: 24
; NumVGPRsForWavesPerEU: 23
; Occupancy: 10
; WaveLimiterHint : 0
; COMPUTE_PGM_RSRC2:SCRATCH_EN: 0
; COMPUTE_PGM_RSRC2:USER_SGPR: 6
; COMPUTE_PGM_RSRC2:TRAP_HANDLER: 0
; COMPUTE_PGM_RSRC2:TGID_X_EN: 1
; COMPUTE_PGM_RSRC2:TGID_Y_EN: 1
; COMPUTE_PGM_RSRC2:TGID_Z_EN: 1
; COMPUTE_PGM_RSRC2:TIDIG_COMP_CNT: 1
	.section	.text._ZL41rocblas_syrkx_herkx_small_restrict_kernelIlfLi16ELb1ELb0ELc84ELc85EKffEviT_T0_PT6_S1_lS4_S1_lS2_PT7_S1_li,"axG",@progbits,_ZL41rocblas_syrkx_herkx_small_restrict_kernelIlfLi16ELb1ELb0ELc84ELc85EKffEviT_T0_PT6_S1_lS4_S1_lS2_PT7_S1_li,comdat
	.globl	_ZL41rocblas_syrkx_herkx_small_restrict_kernelIlfLi16ELb1ELb0ELc84ELc85EKffEviT_T0_PT6_S1_lS4_S1_lS2_PT7_S1_li ; -- Begin function _ZL41rocblas_syrkx_herkx_small_restrict_kernelIlfLi16ELb1ELb0ELc84ELc85EKffEviT_T0_PT6_S1_lS4_S1_lS2_PT7_S1_li
	.p2align	8
	.type	_ZL41rocblas_syrkx_herkx_small_restrict_kernelIlfLi16ELb1ELb0ELc84ELc85EKffEviT_T0_PT6_S1_lS4_S1_lS2_PT7_S1_li,@function
_ZL41rocblas_syrkx_herkx_small_restrict_kernelIlfLi16ELb1ELb0ELc84ELc85EKffEviT_T0_PT6_S1_lS4_S1_lS2_PT7_S1_li: ; @_ZL41rocblas_syrkx_herkx_small_restrict_kernelIlfLi16ELb1ELb0ELc84ELc85EKffEviT_T0_PT6_S1_lS4_S1_lS2_PT7_S1_li
; %bb.0:
	s_load_dwordx2 s[0:1], s[4:5], 0x8
	v_lshl_add_u32 v2, s6, 4, v0
	v_lshl_add_u32 v8, s7, 4, v1
	v_ashrrev_i32_e32 v3, 31, v2
	v_ashrrev_i32_e32 v9, 31, v8
	s_waitcnt lgkmcnt(0)
	v_cmp_lt_i64_e64 s[2:3], s[0:1], 1
	s_and_b64 vcc, exec, s[2:3]
	s_cbranch_vccnz .LBB965_6
; %bb.1:
	s_load_dwordx4 s[20:23], s[4:5], 0x38
	s_load_dwordx8 s[12:19], s[4:5], 0x18
	v_lshlrev_b32_e32 v11, 2, v0
	v_lshlrev_b32_e32 v6, 6, v1
	v_add_u32_e32 v12, v11, v6
	s_waitcnt lgkmcnt(0)
	v_mul_lo_u32 v0, s21, v8
	v_mul_lo_u32 v7, s20, v9
	v_mad_u64_u32 v[4:5], s[2:3], s20, v8, 0
	s_mul_i32 s2, s23, s8
	s_mul_hi_u32 s3, s22, s8
	v_add3_u32 v5, v5, v7, v0
	v_lshlrev_b64 v[4:5], 2, v[4:5]
	s_add_i32 s3, s3, s2
	s_mul_i32 s2, s22, s8
	s_lshl_b64 s[2:3], s[2:3], 2
	v_add_u32_e32 v13, 0x400, v6
	v_mov_b32_e32 v0, s3
	v_add_co_u32_e32 v4, vcc, s2, v4
	v_mul_lo_u32 v15, s15, v2
	v_mul_lo_u32 v16, s14, v3
	v_mad_u64_u32 v[6:7], s[2:3], s14, v2, 0
	v_addc_co_u32_e32 v0, vcc, v5, v0, vcc
	v_add_co_u32_e32 v4, vcc, v4, v11
	v_addc_co_u32_e32 v0, vcc, 0, v0, vcc
	v_add3_u32 v7, v7, v16, v15
	s_mul_i32 s2, s17, s8
	s_mul_hi_u32 s3, s16, s8
	v_mov_b32_e32 v5, s19
	v_add_co_u32_e32 v4, vcc, s18, v4
	v_lshlrev_b64 v[6:7], 2, v[6:7]
	s_add_i32 s3, s3, s2
	s_mul_i32 s2, s16, s8
	v_addc_co_u32_e32 v5, vcc, v5, v0, vcc
	s_lshl_b64 s[2:3], s[2:3], 2
	v_mov_b32_e32 v0, s3
	v_add_co_u32_e32 v6, vcc, s2, v6
	v_addc_co_u32_e32 v0, vcc, v7, v0, vcc
	v_lshlrev_b32_e32 v1, 2, v1
	v_add_co_u32_e32 v1, vcc, v6, v1
	v_addc_co_u32_e32 v6, vcc, 0, v0, vcc
	v_mov_b32_e32 v7, s13
	v_add_co_u32_e32 v0, vcc, s12, v1
	v_addc_co_u32_e32 v1, vcc, v7, v6, vcc
	v_mov_b32_e32 v7, s1
	v_add_u32_e32 v14, v13, v11
	v_mov_b32_e32 v10, 0
	s_mov_b64 s[2:3], 0
	v_mov_b32_e32 v6, s0
.LBB965_2:                              ; =>This Inner Loop Header: Depth=1
	global_load_dword v15, v[0:1], off
	global_load_dword v16, v[4:5], off
	s_add_u32 s2, s2, 16
	v_add_co_u32_e32 v4, vcc, 64, v4
	v_add_co_u32_e64 v0, s[0:1], 64, v0
	v_addc_co_u32_e32 v5, vcc, 0, v5, vcc
	v_addc_co_u32_e64 v1, vcc, 0, v1, s[0:1]
	s_addc_u32 s3, s3, 0
	v_cmp_lt_i64_e32 vcc, s[2:3], v[6:7]
	s_waitcnt vmcnt(1)
	ds_write_b32 v12, v15
	s_waitcnt vmcnt(0)
	ds_write_b32 v14, v16
	s_waitcnt lgkmcnt(0)
	s_barrier
	ds_read2_b32 v[19:20], v11 offset1:16
	ds_read_b128 v[15:18], v13
	s_and_b64 vcc, exec, vcc
	s_waitcnt lgkmcnt(0)
	v_fmac_f32_e32 v10, v19, v15
	v_fmac_f32_e32 v10, v20, v16
	ds_read2_b32 v[15:16], v11 offset0:32 offset1:48
	s_waitcnt lgkmcnt(0)
	v_fmac_f32_e32 v10, v15, v17
	v_fmac_f32_e32 v10, v16, v18
	ds_read2_b32 v[19:20], v11 offset0:64 offset1:80
	ds_read_b128 v[15:18], v13 offset:16
	s_waitcnt lgkmcnt(0)
	v_fmac_f32_e32 v10, v19, v15
	v_fmac_f32_e32 v10, v20, v16
	ds_read2_b32 v[15:16], v11 offset0:96 offset1:112
	s_waitcnt lgkmcnt(0)
	v_fmac_f32_e32 v10, v15, v17
	v_fmac_f32_e32 v10, v16, v18
	ds_read2_b32 v[19:20], v11 offset0:128 offset1:144
	ds_read_b128 v[15:18], v13 offset:32
	;; [unrolled: 9-line block ×3, first 2 shown]
	s_waitcnt lgkmcnt(0)
	v_fmac_f32_e32 v10, v19, v15
	v_fmac_f32_e32 v10, v20, v16
	ds_read2_b32 v[15:16], v11 offset0:224 offset1:240
	s_waitcnt lgkmcnt(0)
	s_barrier
	v_fmac_f32_e32 v10, v15, v17
	v_fmac_f32_e32 v10, v16, v18
	s_cbranch_vccnz .LBB965_2
; %bb.3:
	v_cmp_le_i32_e32 vcc, v2, v8
	s_and_saveexec_b64 s[0:1], vcc
	s_cbranch_execz .LBB965_5
.LBB965_4:
	s_load_dwordx2 s[6:7], s[4:5], 0x60
	s_load_dword s9, s[4:5], 0x10
	s_load_dwordx4 s[0:3], s[4:5], 0x50
	s_waitcnt lgkmcnt(0)
	s_mul_i32 s5, s7, s8
	s_mul_hi_u32 s7, s6, s8
	v_mul_lo_u32 v4, s3, v8
	v_mul_lo_u32 v5, s2, v9
	v_mad_u64_u32 v[0:1], s[2:3], s2, v8, 0
	s_mul_i32 s4, s6, s8
	s_add_i32 s5, s7, s5
	s_lshl_b64 s[4:5], s[4:5], 2
	v_add3_u32 v1, v1, v5, v4
	s_add_u32 s0, s0, s4
	v_lshlrev_b64 v[0:1], 2, v[0:1]
	s_addc_u32 s1, s1, s5
	v_mov_b32_e32 v4, s1
	v_add_co_u32_e32 v5, vcc, s0, v0
	v_addc_co_u32_e32 v4, vcc, v4, v1, vcc
	v_lshlrev_b64 v[0:1], 2, v[2:3]
	v_mul_f32_e32 v6, s9, v10
	v_add_co_u32_e32 v0, vcc, v5, v0
	v_addc_co_u32_e32 v1, vcc, v4, v1, vcc
	global_store_dword v[0:1], v6, off
.LBB965_5:
	s_endpgm
.LBB965_6:
	v_mov_b32_e32 v10, 0
	v_cmp_le_i32_e32 vcc, v2, v8
	s_and_saveexec_b64 s[0:1], vcc
	s_cbranch_execnz .LBB965_4
	s_branch .LBB965_5
	.section	.rodata,"a",@progbits
	.p2align	6, 0x0
	.amdhsa_kernel _ZL41rocblas_syrkx_herkx_small_restrict_kernelIlfLi16ELb1ELb0ELc84ELc85EKffEviT_T0_PT6_S1_lS4_S1_lS2_PT7_S1_li
		.amdhsa_group_segment_fixed_size 2048
		.amdhsa_private_segment_fixed_size 0
		.amdhsa_kernarg_size 108
		.amdhsa_user_sgpr_count 6
		.amdhsa_user_sgpr_private_segment_buffer 1
		.amdhsa_user_sgpr_dispatch_ptr 0
		.amdhsa_user_sgpr_queue_ptr 0
		.amdhsa_user_sgpr_kernarg_segment_ptr 1
		.amdhsa_user_sgpr_dispatch_id 0
		.amdhsa_user_sgpr_flat_scratch_init 0
		.amdhsa_user_sgpr_private_segment_size 0
		.amdhsa_uses_dynamic_stack 0
		.amdhsa_system_sgpr_private_segment_wavefront_offset 0
		.amdhsa_system_sgpr_workgroup_id_x 1
		.amdhsa_system_sgpr_workgroup_id_y 1
		.amdhsa_system_sgpr_workgroup_id_z 1
		.amdhsa_system_sgpr_workgroup_info 0
		.amdhsa_system_vgpr_workitem_id 1
		.amdhsa_next_free_vgpr 21
		.amdhsa_next_free_sgpr 24
		.amdhsa_reserve_vcc 1
		.amdhsa_reserve_flat_scratch 0
		.amdhsa_float_round_mode_32 0
		.amdhsa_float_round_mode_16_64 0
		.amdhsa_float_denorm_mode_32 3
		.amdhsa_float_denorm_mode_16_64 3
		.amdhsa_dx10_clamp 1
		.amdhsa_ieee_mode 1
		.amdhsa_fp16_overflow 0
		.amdhsa_exception_fp_ieee_invalid_op 0
		.amdhsa_exception_fp_denorm_src 0
		.amdhsa_exception_fp_ieee_div_zero 0
		.amdhsa_exception_fp_ieee_overflow 0
		.amdhsa_exception_fp_ieee_underflow 0
		.amdhsa_exception_fp_ieee_inexact 0
		.amdhsa_exception_int_div_zero 0
	.end_amdhsa_kernel
	.section	.text._ZL41rocblas_syrkx_herkx_small_restrict_kernelIlfLi16ELb1ELb0ELc84ELc85EKffEviT_T0_PT6_S1_lS4_S1_lS2_PT7_S1_li,"axG",@progbits,_ZL41rocblas_syrkx_herkx_small_restrict_kernelIlfLi16ELb1ELb0ELc84ELc85EKffEviT_T0_PT6_S1_lS4_S1_lS2_PT7_S1_li,comdat
.Lfunc_end965:
	.size	_ZL41rocblas_syrkx_herkx_small_restrict_kernelIlfLi16ELb1ELb0ELc84ELc85EKffEviT_T0_PT6_S1_lS4_S1_lS2_PT7_S1_li, .Lfunc_end965-_ZL41rocblas_syrkx_herkx_small_restrict_kernelIlfLi16ELb1ELb0ELc84ELc85EKffEviT_T0_PT6_S1_lS4_S1_lS2_PT7_S1_li
                                        ; -- End function
	.set _ZL41rocblas_syrkx_herkx_small_restrict_kernelIlfLi16ELb1ELb0ELc84ELc85EKffEviT_T0_PT6_S1_lS4_S1_lS2_PT7_S1_li.num_vgpr, 21
	.set _ZL41rocblas_syrkx_herkx_small_restrict_kernelIlfLi16ELb1ELb0ELc84ELc85EKffEviT_T0_PT6_S1_lS4_S1_lS2_PT7_S1_li.num_agpr, 0
	.set _ZL41rocblas_syrkx_herkx_small_restrict_kernelIlfLi16ELb1ELb0ELc84ELc85EKffEviT_T0_PT6_S1_lS4_S1_lS2_PT7_S1_li.numbered_sgpr, 24
	.set _ZL41rocblas_syrkx_herkx_small_restrict_kernelIlfLi16ELb1ELb0ELc84ELc85EKffEviT_T0_PT6_S1_lS4_S1_lS2_PT7_S1_li.num_named_barrier, 0
	.set _ZL41rocblas_syrkx_herkx_small_restrict_kernelIlfLi16ELb1ELb0ELc84ELc85EKffEviT_T0_PT6_S1_lS4_S1_lS2_PT7_S1_li.private_seg_size, 0
	.set _ZL41rocblas_syrkx_herkx_small_restrict_kernelIlfLi16ELb1ELb0ELc84ELc85EKffEviT_T0_PT6_S1_lS4_S1_lS2_PT7_S1_li.uses_vcc, 1
	.set _ZL41rocblas_syrkx_herkx_small_restrict_kernelIlfLi16ELb1ELb0ELc84ELc85EKffEviT_T0_PT6_S1_lS4_S1_lS2_PT7_S1_li.uses_flat_scratch, 0
	.set _ZL41rocblas_syrkx_herkx_small_restrict_kernelIlfLi16ELb1ELb0ELc84ELc85EKffEviT_T0_PT6_S1_lS4_S1_lS2_PT7_S1_li.has_dyn_sized_stack, 0
	.set _ZL41rocblas_syrkx_herkx_small_restrict_kernelIlfLi16ELb1ELb0ELc84ELc85EKffEviT_T0_PT6_S1_lS4_S1_lS2_PT7_S1_li.has_recursion, 0
	.set _ZL41rocblas_syrkx_herkx_small_restrict_kernelIlfLi16ELb1ELb0ELc84ELc85EKffEviT_T0_PT6_S1_lS4_S1_lS2_PT7_S1_li.has_indirect_call, 0
	.section	.AMDGPU.csdata,"",@progbits
; Kernel info:
; codeLenInByte = 760
; TotalNumSgprs: 28
; NumVgprs: 21
; ScratchSize: 0
; MemoryBound: 0
; FloatMode: 240
; IeeeMode: 1
; LDSByteSize: 2048 bytes/workgroup (compile time only)
; SGPRBlocks: 3
; VGPRBlocks: 5
; NumSGPRsForWavesPerEU: 28
; NumVGPRsForWavesPerEU: 21
; Occupancy: 10
; WaveLimiterHint : 0
; COMPUTE_PGM_RSRC2:SCRATCH_EN: 0
; COMPUTE_PGM_RSRC2:USER_SGPR: 6
; COMPUTE_PGM_RSRC2:TRAP_HANDLER: 0
; COMPUTE_PGM_RSRC2:TGID_X_EN: 1
; COMPUTE_PGM_RSRC2:TGID_Y_EN: 1
; COMPUTE_PGM_RSRC2:TGID_Z_EN: 1
; COMPUTE_PGM_RSRC2:TIDIG_COMP_CNT: 1
	.section	.text._ZL41rocblas_syrkx_herkx_small_restrict_kernelIlfLi16ELb1ELb0ELc67ELc85EKffEviT_T0_PT6_S1_lS4_S1_lS2_PT7_S1_li,"axG",@progbits,_ZL41rocblas_syrkx_herkx_small_restrict_kernelIlfLi16ELb1ELb0ELc67ELc85EKffEviT_T0_PT6_S1_lS4_S1_lS2_PT7_S1_li,comdat
	.globl	_ZL41rocblas_syrkx_herkx_small_restrict_kernelIlfLi16ELb1ELb0ELc67ELc85EKffEviT_T0_PT6_S1_lS4_S1_lS2_PT7_S1_li ; -- Begin function _ZL41rocblas_syrkx_herkx_small_restrict_kernelIlfLi16ELb1ELb0ELc67ELc85EKffEviT_T0_PT6_S1_lS4_S1_lS2_PT7_S1_li
	.p2align	8
	.type	_ZL41rocblas_syrkx_herkx_small_restrict_kernelIlfLi16ELb1ELb0ELc67ELc85EKffEviT_T0_PT6_S1_lS4_S1_lS2_PT7_S1_li,@function
_ZL41rocblas_syrkx_herkx_small_restrict_kernelIlfLi16ELb1ELb0ELc67ELc85EKffEviT_T0_PT6_S1_lS4_S1_lS2_PT7_S1_li: ; @_ZL41rocblas_syrkx_herkx_small_restrict_kernelIlfLi16ELb1ELb0ELc67ELc85EKffEviT_T0_PT6_S1_lS4_S1_lS2_PT7_S1_li
; %bb.0:
	s_load_dwordx2 s[0:1], s[4:5], 0x8
	v_lshl_add_u32 v2, s6, 4, v0
	v_lshl_add_u32 v8, s7, 4, v1
	v_ashrrev_i32_e32 v3, 31, v2
	v_ashrrev_i32_e32 v9, 31, v8
	s_waitcnt lgkmcnt(0)
	v_cmp_lt_i64_e64 s[2:3], s[0:1], 1
	s_and_b64 vcc, exec, s[2:3]
	s_cbranch_vccnz .LBB966_6
; %bb.1:
	s_load_dwordx4 s[20:23], s[4:5], 0x38
	s_load_dwordx8 s[12:19], s[4:5], 0x18
	v_lshlrev_b32_e32 v11, 2, v0
	v_lshlrev_b32_e32 v6, 6, v1
	v_add_u32_e32 v12, v11, v6
	s_waitcnt lgkmcnt(0)
	v_mul_lo_u32 v0, s21, v8
	v_mul_lo_u32 v7, s20, v9
	v_mad_u64_u32 v[4:5], s[2:3], s20, v8, 0
	s_mul_i32 s2, s23, s8
	s_mul_hi_u32 s3, s22, s8
	v_add3_u32 v5, v5, v7, v0
	v_lshlrev_b64 v[4:5], 2, v[4:5]
	s_add_i32 s3, s3, s2
	s_mul_i32 s2, s22, s8
	s_lshl_b64 s[2:3], s[2:3], 2
	v_add_u32_e32 v13, 0x400, v6
	v_mov_b32_e32 v0, s3
	v_add_co_u32_e32 v4, vcc, s2, v4
	v_mul_lo_u32 v15, s15, v2
	v_mul_lo_u32 v16, s14, v3
	v_mad_u64_u32 v[6:7], s[2:3], s14, v2, 0
	v_addc_co_u32_e32 v0, vcc, v5, v0, vcc
	v_add_co_u32_e32 v4, vcc, v4, v11
	v_addc_co_u32_e32 v0, vcc, 0, v0, vcc
	v_add3_u32 v7, v7, v16, v15
	s_mul_i32 s2, s17, s8
	s_mul_hi_u32 s3, s16, s8
	v_mov_b32_e32 v5, s19
	v_add_co_u32_e32 v4, vcc, s18, v4
	v_lshlrev_b64 v[6:7], 2, v[6:7]
	s_add_i32 s3, s3, s2
	s_mul_i32 s2, s16, s8
	v_addc_co_u32_e32 v5, vcc, v5, v0, vcc
	s_lshl_b64 s[2:3], s[2:3], 2
	v_mov_b32_e32 v0, s3
	v_add_co_u32_e32 v6, vcc, s2, v6
	v_addc_co_u32_e32 v0, vcc, v7, v0, vcc
	v_lshlrev_b32_e32 v1, 2, v1
	v_add_co_u32_e32 v1, vcc, v6, v1
	v_addc_co_u32_e32 v6, vcc, 0, v0, vcc
	v_mov_b32_e32 v7, s13
	v_add_co_u32_e32 v0, vcc, s12, v1
	v_addc_co_u32_e32 v1, vcc, v7, v6, vcc
	v_mov_b32_e32 v7, s1
	v_add_u32_e32 v14, v13, v11
	v_mov_b32_e32 v10, 0
	s_mov_b64 s[2:3], 0
	v_mov_b32_e32 v6, s0
.LBB966_2:                              ; =>This Inner Loop Header: Depth=1
	global_load_dword v15, v[0:1], off
	global_load_dword v16, v[4:5], off
	s_add_u32 s2, s2, 16
	v_add_co_u32_e32 v4, vcc, 64, v4
	v_add_co_u32_e64 v0, s[0:1], 64, v0
	v_addc_co_u32_e32 v5, vcc, 0, v5, vcc
	v_addc_co_u32_e64 v1, vcc, 0, v1, s[0:1]
	s_addc_u32 s3, s3, 0
	v_cmp_lt_i64_e32 vcc, s[2:3], v[6:7]
	s_waitcnt vmcnt(1)
	ds_write_b32 v12, v15
	s_waitcnt vmcnt(0)
	ds_write_b32 v14, v16
	s_waitcnt lgkmcnt(0)
	s_barrier
	ds_read2_b32 v[19:20], v11 offset1:16
	ds_read_b128 v[15:18], v13
	s_and_b64 vcc, exec, vcc
	s_waitcnt lgkmcnt(0)
	v_fmac_f32_e32 v10, v19, v15
	v_fmac_f32_e32 v10, v20, v16
	ds_read2_b32 v[15:16], v11 offset0:32 offset1:48
	s_waitcnt lgkmcnt(0)
	v_fmac_f32_e32 v10, v15, v17
	v_fmac_f32_e32 v10, v16, v18
	ds_read2_b32 v[19:20], v11 offset0:64 offset1:80
	ds_read_b128 v[15:18], v13 offset:16
	s_waitcnt lgkmcnt(0)
	v_fmac_f32_e32 v10, v19, v15
	v_fmac_f32_e32 v10, v20, v16
	ds_read2_b32 v[15:16], v11 offset0:96 offset1:112
	s_waitcnt lgkmcnt(0)
	v_fmac_f32_e32 v10, v15, v17
	v_fmac_f32_e32 v10, v16, v18
	ds_read2_b32 v[19:20], v11 offset0:128 offset1:144
	ds_read_b128 v[15:18], v13 offset:32
	;; [unrolled: 9-line block ×3, first 2 shown]
	s_waitcnt lgkmcnt(0)
	v_fmac_f32_e32 v10, v19, v15
	v_fmac_f32_e32 v10, v20, v16
	ds_read2_b32 v[15:16], v11 offset0:224 offset1:240
	s_waitcnt lgkmcnt(0)
	s_barrier
	v_fmac_f32_e32 v10, v15, v17
	v_fmac_f32_e32 v10, v16, v18
	s_cbranch_vccnz .LBB966_2
; %bb.3:
	v_cmp_le_i32_e32 vcc, v2, v8
	s_and_saveexec_b64 s[0:1], vcc
	s_cbranch_execz .LBB966_5
.LBB966_4:
	s_load_dwordx2 s[6:7], s[4:5], 0x60
	s_load_dword s9, s[4:5], 0x10
	s_load_dwordx4 s[0:3], s[4:5], 0x50
	s_waitcnt lgkmcnt(0)
	s_mul_i32 s5, s7, s8
	s_mul_hi_u32 s7, s6, s8
	v_mul_lo_u32 v4, s3, v8
	v_mul_lo_u32 v5, s2, v9
	v_mad_u64_u32 v[0:1], s[2:3], s2, v8, 0
	s_mul_i32 s4, s6, s8
	s_add_i32 s5, s7, s5
	s_lshl_b64 s[4:5], s[4:5], 2
	v_add3_u32 v1, v1, v5, v4
	s_add_u32 s0, s0, s4
	v_lshlrev_b64 v[0:1], 2, v[0:1]
	s_addc_u32 s1, s1, s5
	v_mov_b32_e32 v4, s1
	v_add_co_u32_e32 v5, vcc, s0, v0
	v_addc_co_u32_e32 v4, vcc, v4, v1, vcc
	v_lshlrev_b64 v[0:1], 2, v[2:3]
	v_mul_f32_e32 v6, s9, v10
	v_add_co_u32_e32 v0, vcc, v5, v0
	v_addc_co_u32_e32 v1, vcc, v4, v1, vcc
	global_store_dword v[0:1], v6, off
.LBB966_5:
	s_endpgm
.LBB966_6:
	v_mov_b32_e32 v10, 0
	v_cmp_le_i32_e32 vcc, v2, v8
	s_and_saveexec_b64 s[0:1], vcc
	s_cbranch_execnz .LBB966_4
	s_branch .LBB966_5
	.section	.rodata,"a",@progbits
	.p2align	6, 0x0
	.amdhsa_kernel _ZL41rocblas_syrkx_herkx_small_restrict_kernelIlfLi16ELb1ELb0ELc67ELc85EKffEviT_T0_PT6_S1_lS4_S1_lS2_PT7_S1_li
		.amdhsa_group_segment_fixed_size 2048
		.amdhsa_private_segment_fixed_size 0
		.amdhsa_kernarg_size 108
		.amdhsa_user_sgpr_count 6
		.amdhsa_user_sgpr_private_segment_buffer 1
		.amdhsa_user_sgpr_dispatch_ptr 0
		.amdhsa_user_sgpr_queue_ptr 0
		.amdhsa_user_sgpr_kernarg_segment_ptr 1
		.amdhsa_user_sgpr_dispatch_id 0
		.amdhsa_user_sgpr_flat_scratch_init 0
		.amdhsa_user_sgpr_private_segment_size 0
		.amdhsa_uses_dynamic_stack 0
		.amdhsa_system_sgpr_private_segment_wavefront_offset 0
		.amdhsa_system_sgpr_workgroup_id_x 1
		.amdhsa_system_sgpr_workgroup_id_y 1
		.amdhsa_system_sgpr_workgroup_id_z 1
		.amdhsa_system_sgpr_workgroup_info 0
		.amdhsa_system_vgpr_workitem_id 1
		.amdhsa_next_free_vgpr 21
		.amdhsa_next_free_sgpr 24
		.amdhsa_reserve_vcc 1
		.amdhsa_reserve_flat_scratch 0
		.amdhsa_float_round_mode_32 0
		.amdhsa_float_round_mode_16_64 0
		.amdhsa_float_denorm_mode_32 3
		.amdhsa_float_denorm_mode_16_64 3
		.amdhsa_dx10_clamp 1
		.amdhsa_ieee_mode 1
		.amdhsa_fp16_overflow 0
		.amdhsa_exception_fp_ieee_invalid_op 0
		.amdhsa_exception_fp_denorm_src 0
		.amdhsa_exception_fp_ieee_div_zero 0
		.amdhsa_exception_fp_ieee_overflow 0
		.amdhsa_exception_fp_ieee_underflow 0
		.amdhsa_exception_fp_ieee_inexact 0
		.amdhsa_exception_int_div_zero 0
	.end_amdhsa_kernel
	.section	.text._ZL41rocblas_syrkx_herkx_small_restrict_kernelIlfLi16ELb1ELb0ELc67ELc85EKffEviT_T0_PT6_S1_lS4_S1_lS2_PT7_S1_li,"axG",@progbits,_ZL41rocblas_syrkx_herkx_small_restrict_kernelIlfLi16ELb1ELb0ELc67ELc85EKffEviT_T0_PT6_S1_lS4_S1_lS2_PT7_S1_li,comdat
.Lfunc_end966:
	.size	_ZL41rocblas_syrkx_herkx_small_restrict_kernelIlfLi16ELb1ELb0ELc67ELc85EKffEviT_T0_PT6_S1_lS4_S1_lS2_PT7_S1_li, .Lfunc_end966-_ZL41rocblas_syrkx_herkx_small_restrict_kernelIlfLi16ELb1ELb0ELc67ELc85EKffEviT_T0_PT6_S1_lS4_S1_lS2_PT7_S1_li
                                        ; -- End function
	.set _ZL41rocblas_syrkx_herkx_small_restrict_kernelIlfLi16ELb1ELb0ELc67ELc85EKffEviT_T0_PT6_S1_lS4_S1_lS2_PT7_S1_li.num_vgpr, 21
	.set _ZL41rocblas_syrkx_herkx_small_restrict_kernelIlfLi16ELb1ELb0ELc67ELc85EKffEviT_T0_PT6_S1_lS4_S1_lS2_PT7_S1_li.num_agpr, 0
	.set _ZL41rocblas_syrkx_herkx_small_restrict_kernelIlfLi16ELb1ELb0ELc67ELc85EKffEviT_T0_PT6_S1_lS4_S1_lS2_PT7_S1_li.numbered_sgpr, 24
	.set _ZL41rocblas_syrkx_herkx_small_restrict_kernelIlfLi16ELb1ELb0ELc67ELc85EKffEviT_T0_PT6_S1_lS4_S1_lS2_PT7_S1_li.num_named_barrier, 0
	.set _ZL41rocblas_syrkx_herkx_small_restrict_kernelIlfLi16ELb1ELb0ELc67ELc85EKffEviT_T0_PT6_S1_lS4_S1_lS2_PT7_S1_li.private_seg_size, 0
	.set _ZL41rocblas_syrkx_herkx_small_restrict_kernelIlfLi16ELb1ELb0ELc67ELc85EKffEviT_T0_PT6_S1_lS4_S1_lS2_PT7_S1_li.uses_vcc, 1
	.set _ZL41rocblas_syrkx_herkx_small_restrict_kernelIlfLi16ELb1ELb0ELc67ELc85EKffEviT_T0_PT6_S1_lS4_S1_lS2_PT7_S1_li.uses_flat_scratch, 0
	.set _ZL41rocblas_syrkx_herkx_small_restrict_kernelIlfLi16ELb1ELb0ELc67ELc85EKffEviT_T0_PT6_S1_lS4_S1_lS2_PT7_S1_li.has_dyn_sized_stack, 0
	.set _ZL41rocblas_syrkx_herkx_small_restrict_kernelIlfLi16ELb1ELb0ELc67ELc85EKffEviT_T0_PT6_S1_lS4_S1_lS2_PT7_S1_li.has_recursion, 0
	.set _ZL41rocblas_syrkx_herkx_small_restrict_kernelIlfLi16ELb1ELb0ELc67ELc85EKffEviT_T0_PT6_S1_lS4_S1_lS2_PT7_S1_li.has_indirect_call, 0
	.section	.AMDGPU.csdata,"",@progbits
; Kernel info:
; codeLenInByte = 760
; TotalNumSgprs: 28
; NumVgprs: 21
; ScratchSize: 0
; MemoryBound: 0
; FloatMode: 240
; IeeeMode: 1
; LDSByteSize: 2048 bytes/workgroup (compile time only)
; SGPRBlocks: 3
; VGPRBlocks: 5
; NumSGPRsForWavesPerEU: 28
; NumVGPRsForWavesPerEU: 21
; Occupancy: 10
; WaveLimiterHint : 0
; COMPUTE_PGM_RSRC2:SCRATCH_EN: 0
; COMPUTE_PGM_RSRC2:USER_SGPR: 6
; COMPUTE_PGM_RSRC2:TRAP_HANDLER: 0
; COMPUTE_PGM_RSRC2:TGID_X_EN: 1
; COMPUTE_PGM_RSRC2:TGID_Y_EN: 1
; COMPUTE_PGM_RSRC2:TGID_Z_EN: 1
; COMPUTE_PGM_RSRC2:TIDIG_COMP_CNT: 1
	.section	.text._ZL41rocblas_syrkx_herkx_small_restrict_kernelIlfLi16ELb1ELb0ELc78ELc85EKffEviT_T0_PT6_S1_lS4_S1_lS2_PT7_S1_li,"axG",@progbits,_ZL41rocblas_syrkx_herkx_small_restrict_kernelIlfLi16ELb1ELb0ELc78ELc85EKffEviT_T0_PT6_S1_lS4_S1_lS2_PT7_S1_li,comdat
	.globl	_ZL41rocblas_syrkx_herkx_small_restrict_kernelIlfLi16ELb1ELb0ELc78ELc85EKffEviT_T0_PT6_S1_lS4_S1_lS2_PT7_S1_li ; -- Begin function _ZL41rocblas_syrkx_herkx_small_restrict_kernelIlfLi16ELb1ELb0ELc78ELc85EKffEviT_T0_PT6_S1_lS4_S1_lS2_PT7_S1_li
	.p2align	8
	.type	_ZL41rocblas_syrkx_herkx_small_restrict_kernelIlfLi16ELb1ELb0ELc78ELc85EKffEviT_T0_PT6_S1_lS4_S1_lS2_PT7_S1_li,@function
_ZL41rocblas_syrkx_herkx_small_restrict_kernelIlfLi16ELb1ELb0ELc78ELc85EKffEviT_T0_PT6_S1_lS4_S1_lS2_PT7_S1_li: ; @_ZL41rocblas_syrkx_herkx_small_restrict_kernelIlfLi16ELb1ELb0ELc78ELc85EKffEviT_T0_PT6_S1_lS4_S1_lS2_PT7_S1_li
; %bb.0:
	s_load_dwordx2 s[10:11], s[4:5], 0x8
	v_lshl_add_u32 v2, s6, 4, v0
	v_lshl_add_u32 v4, s7, 4, v1
	v_ashrrev_i32_e32 v3, 31, v2
	v_ashrrev_i32_e32 v5, 31, v4
	s_waitcnt lgkmcnt(0)
	v_cmp_lt_i64_e64 s[0:1], s[10:11], 1
	s_and_b64 vcc, exec, s[0:1]
	s_cbranch_vccnz .LBB967_6
; %bb.1:
	s_load_dwordx8 s[12:19], s[4:5], 0x18
	s_load_dwordx4 s[0:3], s[4:5], 0x38
	v_lshlrev_b32_e32 v6, 6, v1
	v_lshlrev_b32_e32 v8, 2, v0
	v_add_u32_e32 v9, v8, v6
	v_add_u32_e32 v10, 0x400, v6
	s_waitcnt lgkmcnt(0)
	v_mad_u64_u32 v[6:7], s[6:7], s0, v0, 0
	s_mul_i32 s3, s3, s8
	s_mul_hi_u32 s9, s2, s8
	v_mad_u64_u32 v[12:13], s[6:7], s1, v0, v[7:8]
	s_add_i32 s3, s9, s3
	s_mul_i32 s2, s2, s8
	v_mov_b32_e32 v7, v12
	v_lshlrev_b64 v[6:7], 2, v[6:7]
	s_lshl_b64 s[2:3], s[2:3], 2
	v_mov_b32_e32 v0, s3
	v_add_co_u32_e32 v12, vcc, s2, v6
	v_addc_co_u32_e32 v0, vcc, v0, v7, vcc
	v_lshlrev_b64 v[6:7], 2, v[4:5]
	s_mul_i32 s6, s17, s8
	v_add_co_u32_e32 v6, vcc, v12, v6
	v_mad_u64_u32 v[12:13], s[2:3], s14, v1, 0
	v_addc_co_u32_e32 v0, vcc, v0, v7, vcc
	v_mov_b32_e32 v7, s19
	v_add_co_u32_e32 v6, vcc, s18, v6
	v_addc_co_u32_e32 v7, vcc, v7, v0, vcc
	v_mov_b32_e32 v0, v13
	s_lshl_b64 s[2:3], s[0:1], 6
	v_mad_u64_u32 v[0:1], s[0:1], s15, v1, v[0:1]
	s_mul_hi_u32 s7, s16, s8
	s_add_i32 s1, s7, s6
	v_mov_b32_e32 v13, v0
	s_mul_i32 s0, s16, s8
	v_lshlrev_b64 v[0:1], 2, v[12:13]
	s_lshl_b64 s[0:1], s[0:1], 2
	v_mov_b32_e32 v12, s1
	v_add_co_u32_e32 v13, vcc, s0, v0
	v_addc_co_u32_e32 v12, vcc, v12, v1, vcc
	v_lshlrev_b64 v[0:1], 2, v[2:3]
	v_add_u32_e32 v11, v10, v8
	v_add_co_u32_e32 v0, vcc, v13, v0
	v_addc_co_u32_e32 v1, vcc, v12, v1, vcc
	v_mov_b32_e32 v12, s13
	v_add_co_u32_e32 v0, vcc, s12, v0
	v_addc_co_u32_e32 v1, vcc, v12, v1, vcc
	s_lshl_b64 s[6:7], s[14:15], 6
	v_mov_b32_e32 v12, 0
	s_mov_b64 s[12:13], 0
.LBB967_2:                              ; =>This Inner Loop Header: Depth=1
	global_load_dword v15, v[0:1], off
	global_load_dword v16, v[6:7], off
	s_add_u32 s12, s12, 16
	v_mov_b32_e32 v17, s3
	v_add_co_u32_e32 v6, vcc, s2, v6
	v_mov_b32_e32 v18, s7
	v_add_co_u32_e64 v0, s[0:1], s6, v0
	v_mov_b32_e32 v14, s11
	v_mov_b32_e32 v13, s10
	s_addc_u32 s13, s13, 0
	v_addc_co_u32_e32 v7, vcc, v7, v17, vcc
	v_addc_co_u32_e64 v1, vcc, v1, v18, s[0:1]
	v_cmp_lt_i64_e32 vcc, s[12:13], v[13:14]
	s_waitcnt vmcnt(1)
	ds_write_b32 v9, v15
	s_waitcnt vmcnt(0)
	ds_write_b32 v11, v16
	s_waitcnt lgkmcnt(0)
	s_barrier
	ds_read2_b32 v[21:22], v8 offset1:16
	ds_read_b128 v[13:16], v10
	ds_read_b128 v[17:20], v10 offset:16
	s_and_b64 vcc, exec, vcc
	s_waitcnt lgkmcnt(1)
	v_fmac_f32_e32 v12, v21, v13
	v_fmac_f32_e32 v12, v22, v14
	ds_read2_b32 v[13:14], v8 offset0:32 offset1:48
	s_waitcnt lgkmcnt(0)
	v_fmac_f32_e32 v12, v13, v15
	v_fmac_f32_e32 v12, v14, v16
	ds_read2_b32 v[13:14], v8 offset0:64 offset1:80
	ds_read2_b32 v[15:16], v8 offset0:96 offset1:112
	;; [unrolled: 1-line block ×3, first 2 shown]
	s_waitcnt lgkmcnt(2)
	v_fmac_f32_e32 v12, v13, v17
	v_fmac_f32_e32 v12, v14, v18
	s_waitcnt lgkmcnt(1)
	v_fmac_f32_e32 v12, v15, v19
	v_fmac_f32_e32 v12, v16, v20
	ds_read_b128 v[13:16], v10 offset:32
	ds_read_b128 v[17:20], v10 offset:48
	s_waitcnt lgkmcnt(1)
	v_fmac_f32_e32 v12, v21, v13
	v_fmac_f32_e32 v12, v22, v14
	ds_read2_b32 v[13:14], v8 offset0:160 offset1:176
	s_waitcnt lgkmcnt(0)
	v_fmac_f32_e32 v12, v13, v15
	v_fmac_f32_e32 v12, v14, v16
	ds_read2_b32 v[13:14], v8 offset0:192 offset1:208
	ds_read2_b32 v[15:16], v8 offset0:224 offset1:240
	s_waitcnt lgkmcnt(0)
	s_barrier
	v_fmac_f32_e32 v12, v13, v17
	v_fmac_f32_e32 v12, v14, v18
	;; [unrolled: 1-line block ×4, first 2 shown]
	s_cbranch_vccnz .LBB967_2
; %bb.3:
	v_cmp_le_i32_e32 vcc, v2, v4
	s_and_saveexec_b64 s[0:1], vcc
	s_cbranch_execz .LBB967_5
.LBB967_4:
	s_load_dwordx2 s[6:7], s[4:5], 0x60
	s_load_dword s9, s[4:5], 0x10
	s_load_dwordx4 s[0:3], s[4:5], 0x50
	s_waitcnt lgkmcnt(0)
	s_mul_i32 s5, s7, s8
	s_mul_hi_u32 s7, s6, s8
	v_mul_lo_u32 v6, s3, v4
	v_mul_lo_u32 v5, s2, v5
	v_mad_u64_u32 v[0:1], s[2:3], s2, v4, 0
	s_mul_i32 s4, s6, s8
	s_add_i32 s5, s7, s5
	s_lshl_b64 s[4:5], s[4:5], 2
	v_add3_u32 v1, v1, v5, v6
	s_add_u32 s0, s0, s4
	v_lshlrev_b64 v[0:1], 2, v[0:1]
	s_addc_u32 s1, s1, s5
	v_mov_b32_e32 v5, s1
	v_add_co_u32_e32 v6, vcc, s0, v0
	v_addc_co_u32_e32 v5, vcc, v5, v1, vcc
	v_lshlrev_b64 v[0:1], 2, v[2:3]
	v_mul_f32_e32 v4, s9, v12
	v_add_co_u32_e32 v0, vcc, v6, v0
	v_addc_co_u32_e32 v1, vcc, v5, v1, vcc
	global_store_dword v[0:1], v4, off
.LBB967_5:
	s_endpgm
.LBB967_6:
	v_mov_b32_e32 v12, 0
	v_cmp_le_i32_e32 vcc, v2, v4
	s_and_saveexec_b64 s[0:1], vcc
	s_cbranch_execnz .LBB967_4
	s_branch .LBB967_5
	.section	.rodata,"a",@progbits
	.p2align	6, 0x0
	.amdhsa_kernel _ZL41rocblas_syrkx_herkx_small_restrict_kernelIlfLi16ELb1ELb0ELc78ELc85EKffEviT_T0_PT6_S1_lS4_S1_lS2_PT7_S1_li
		.amdhsa_group_segment_fixed_size 2048
		.amdhsa_private_segment_fixed_size 0
		.amdhsa_kernarg_size 108
		.amdhsa_user_sgpr_count 6
		.amdhsa_user_sgpr_private_segment_buffer 1
		.amdhsa_user_sgpr_dispatch_ptr 0
		.amdhsa_user_sgpr_queue_ptr 0
		.amdhsa_user_sgpr_kernarg_segment_ptr 1
		.amdhsa_user_sgpr_dispatch_id 0
		.amdhsa_user_sgpr_flat_scratch_init 0
		.amdhsa_user_sgpr_private_segment_size 0
		.amdhsa_uses_dynamic_stack 0
		.amdhsa_system_sgpr_private_segment_wavefront_offset 0
		.amdhsa_system_sgpr_workgroup_id_x 1
		.amdhsa_system_sgpr_workgroup_id_y 1
		.amdhsa_system_sgpr_workgroup_id_z 1
		.amdhsa_system_sgpr_workgroup_info 0
		.amdhsa_system_vgpr_workitem_id 1
		.amdhsa_next_free_vgpr 23
		.amdhsa_next_free_sgpr 20
		.amdhsa_reserve_vcc 1
		.amdhsa_reserve_flat_scratch 0
		.amdhsa_float_round_mode_32 0
		.amdhsa_float_round_mode_16_64 0
		.amdhsa_float_denorm_mode_32 3
		.amdhsa_float_denorm_mode_16_64 3
		.amdhsa_dx10_clamp 1
		.amdhsa_ieee_mode 1
		.amdhsa_fp16_overflow 0
		.amdhsa_exception_fp_ieee_invalid_op 0
		.amdhsa_exception_fp_denorm_src 0
		.amdhsa_exception_fp_ieee_div_zero 0
		.amdhsa_exception_fp_ieee_overflow 0
		.amdhsa_exception_fp_ieee_underflow 0
		.amdhsa_exception_fp_ieee_inexact 0
		.amdhsa_exception_int_div_zero 0
	.end_amdhsa_kernel
	.section	.text._ZL41rocblas_syrkx_herkx_small_restrict_kernelIlfLi16ELb1ELb0ELc78ELc85EKffEviT_T0_PT6_S1_lS4_S1_lS2_PT7_S1_li,"axG",@progbits,_ZL41rocblas_syrkx_herkx_small_restrict_kernelIlfLi16ELb1ELb0ELc78ELc85EKffEviT_T0_PT6_S1_lS4_S1_lS2_PT7_S1_li,comdat
.Lfunc_end967:
	.size	_ZL41rocblas_syrkx_herkx_small_restrict_kernelIlfLi16ELb1ELb0ELc78ELc85EKffEviT_T0_PT6_S1_lS4_S1_lS2_PT7_S1_li, .Lfunc_end967-_ZL41rocblas_syrkx_herkx_small_restrict_kernelIlfLi16ELb1ELb0ELc78ELc85EKffEviT_T0_PT6_S1_lS4_S1_lS2_PT7_S1_li
                                        ; -- End function
	.set _ZL41rocblas_syrkx_herkx_small_restrict_kernelIlfLi16ELb1ELb0ELc78ELc85EKffEviT_T0_PT6_S1_lS4_S1_lS2_PT7_S1_li.num_vgpr, 23
	.set _ZL41rocblas_syrkx_herkx_small_restrict_kernelIlfLi16ELb1ELb0ELc78ELc85EKffEviT_T0_PT6_S1_lS4_S1_lS2_PT7_S1_li.num_agpr, 0
	.set _ZL41rocblas_syrkx_herkx_small_restrict_kernelIlfLi16ELb1ELb0ELc78ELc85EKffEviT_T0_PT6_S1_lS4_S1_lS2_PT7_S1_li.numbered_sgpr, 20
	.set _ZL41rocblas_syrkx_herkx_small_restrict_kernelIlfLi16ELb1ELb0ELc78ELc85EKffEviT_T0_PT6_S1_lS4_S1_lS2_PT7_S1_li.num_named_barrier, 0
	.set _ZL41rocblas_syrkx_herkx_small_restrict_kernelIlfLi16ELb1ELb0ELc78ELc85EKffEviT_T0_PT6_S1_lS4_S1_lS2_PT7_S1_li.private_seg_size, 0
	.set _ZL41rocblas_syrkx_herkx_small_restrict_kernelIlfLi16ELb1ELb0ELc78ELc85EKffEviT_T0_PT6_S1_lS4_S1_lS2_PT7_S1_li.uses_vcc, 1
	.set _ZL41rocblas_syrkx_herkx_small_restrict_kernelIlfLi16ELb1ELb0ELc78ELc85EKffEviT_T0_PT6_S1_lS4_S1_lS2_PT7_S1_li.uses_flat_scratch, 0
	.set _ZL41rocblas_syrkx_herkx_small_restrict_kernelIlfLi16ELb1ELb0ELc78ELc85EKffEviT_T0_PT6_S1_lS4_S1_lS2_PT7_S1_li.has_dyn_sized_stack, 0
	.set _ZL41rocblas_syrkx_herkx_small_restrict_kernelIlfLi16ELb1ELb0ELc78ELc85EKffEviT_T0_PT6_S1_lS4_S1_lS2_PT7_S1_li.has_recursion, 0
	.set _ZL41rocblas_syrkx_herkx_small_restrict_kernelIlfLi16ELb1ELb0ELc78ELc85EKffEviT_T0_PT6_S1_lS4_S1_lS2_PT7_S1_li.has_indirect_call, 0
	.section	.AMDGPU.csdata,"",@progbits
; Kernel info:
; codeLenInByte = 764
; TotalNumSgprs: 24
; NumVgprs: 23
; ScratchSize: 0
; MemoryBound: 0
; FloatMode: 240
; IeeeMode: 1
; LDSByteSize: 2048 bytes/workgroup (compile time only)
; SGPRBlocks: 2
; VGPRBlocks: 5
; NumSGPRsForWavesPerEU: 24
; NumVGPRsForWavesPerEU: 23
; Occupancy: 10
; WaveLimiterHint : 0
; COMPUTE_PGM_RSRC2:SCRATCH_EN: 0
; COMPUTE_PGM_RSRC2:USER_SGPR: 6
; COMPUTE_PGM_RSRC2:TRAP_HANDLER: 0
; COMPUTE_PGM_RSRC2:TGID_X_EN: 1
; COMPUTE_PGM_RSRC2:TGID_Y_EN: 1
; COMPUTE_PGM_RSRC2:TGID_Z_EN: 1
; COMPUTE_PGM_RSRC2:TIDIG_COMP_CNT: 1
	.section	.text._ZL41rocblas_syrkx_herkx_small_restrict_kernelIlfLi16ELb0ELb0ELc84ELc76EKffEviT_T0_PT6_S1_lS4_S1_lS2_PT7_S1_li,"axG",@progbits,_ZL41rocblas_syrkx_herkx_small_restrict_kernelIlfLi16ELb0ELb0ELc84ELc76EKffEviT_T0_PT6_S1_lS4_S1_lS2_PT7_S1_li,comdat
	.globl	_ZL41rocblas_syrkx_herkx_small_restrict_kernelIlfLi16ELb0ELb0ELc84ELc76EKffEviT_T0_PT6_S1_lS4_S1_lS2_PT7_S1_li ; -- Begin function _ZL41rocblas_syrkx_herkx_small_restrict_kernelIlfLi16ELb0ELb0ELc84ELc76EKffEviT_T0_PT6_S1_lS4_S1_lS2_PT7_S1_li
	.p2align	8
	.type	_ZL41rocblas_syrkx_herkx_small_restrict_kernelIlfLi16ELb0ELb0ELc84ELc76EKffEviT_T0_PT6_S1_lS4_S1_lS2_PT7_S1_li,@function
_ZL41rocblas_syrkx_herkx_small_restrict_kernelIlfLi16ELb0ELb0ELc84ELc76EKffEviT_T0_PT6_S1_lS4_S1_lS2_PT7_S1_li: ; @_ZL41rocblas_syrkx_herkx_small_restrict_kernelIlfLi16ELb0ELb0ELc84ELc76EKffEviT_T0_PT6_S1_lS4_S1_lS2_PT7_S1_li
; %bb.0:
	s_load_dwordx2 s[0:1], s[4:5], 0x8
	v_lshl_add_u32 v2, s6, 4, v0
	v_lshl_add_u32 v8, s7, 4, v1
	v_ashrrev_i32_e32 v3, 31, v2
	v_ashrrev_i32_e32 v9, 31, v8
	s_waitcnt lgkmcnt(0)
	v_cmp_lt_i64_e64 s[2:3], s[0:1], 1
	s_and_b64 vcc, exec, s[2:3]
	s_cbranch_vccnz .LBB968_6
; %bb.1:
	s_load_dwordx4 s[20:23], s[4:5], 0x38
	s_load_dwordx8 s[12:19], s[4:5], 0x18
	v_lshlrev_b32_e32 v11, 2, v0
	v_lshlrev_b32_e32 v6, 6, v1
	v_add_u32_e32 v12, v11, v6
	s_waitcnt lgkmcnt(0)
	v_mul_lo_u32 v0, s21, v8
	v_mul_lo_u32 v7, s20, v9
	v_mad_u64_u32 v[4:5], s[2:3], s20, v8, 0
	s_mul_i32 s2, s23, s8
	s_mul_hi_u32 s3, s22, s8
	v_add3_u32 v5, v5, v7, v0
	v_lshlrev_b64 v[4:5], 2, v[4:5]
	s_add_i32 s3, s3, s2
	s_mul_i32 s2, s22, s8
	s_lshl_b64 s[2:3], s[2:3], 2
	v_add_u32_e32 v13, 0x400, v6
	v_mov_b32_e32 v0, s3
	v_add_co_u32_e32 v4, vcc, s2, v4
	v_mul_lo_u32 v15, s15, v2
	v_mul_lo_u32 v16, s14, v3
	v_mad_u64_u32 v[6:7], s[2:3], s14, v2, 0
	v_addc_co_u32_e32 v0, vcc, v5, v0, vcc
	v_add_co_u32_e32 v4, vcc, v4, v11
	v_addc_co_u32_e32 v0, vcc, 0, v0, vcc
	v_add3_u32 v7, v7, v16, v15
	s_mul_i32 s2, s17, s8
	s_mul_hi_u32 s3, s16, s8
	v_mov_b32_e32 v5, s19
	v_add_co_u32_e32 v4, vcc, s18, v4
	v_lshlrev_b64 v[6:7], 2, v[6:7]
	s_add_i32 s3, s3, s2
	s_mul_i32 s2, s16, s8
	v_addc_co_u32_e32 v5, vcc, v5, v0, vcc
	s_lshl_b64 s[2:3], s[2:3], 2
	v_mov_b32_e32 v0, s3
	v_add_co_u32_e32 v6, vcc, s2, v6
	v_addc_co_u32_e32 v0, vcc, v7, v0, vcc
	v_lshlrev_b32_e32 v1, 2, v1
	v_add_co_u32_e32 v1, vcc, v6, v1
	v_addc_co_u32_e32 v6, vcc, 0, v0, vcc
	v_mov_b32_e32 v7, s13
	v_add_co_u32_e32 v0, vcc, s12, v1
	v_addc_co_u32_e32 v1, vcc, v7, v6, vcc
	v_mov_b32_e32 v7, s1
	v_add_u32_e32 v14, v13, v11
	v_mov_b32_e32 v10, 0
	s_mov_b64 s[2:3], 0
	v_mov_b32_e32 v6, s0
.LBB968_2:                              ; =>This Inner Loop Header: Depth=1
	global_load_dword v15, v[0:1], off
	global_load_dword v16, v[4:5], off
	s_add_u32 s2, s2, 16
	v_add_co_u32_e32 v4, vcc, 64, v4
	v_add_co_u32_e64 v0, s[0:1], 64, v0
	v_addc_co_u32_e32 v5, vcc, 0, v5, vcc
	v_addc_co_u32_e64 v1, vcc, 0, v1, s[0:1]
	s_addc_u32 s3, s3, 0
	v_cmp_lt_i64_e32 vcc, s[2:3], v[6:7]
	s_waitcnt vmcnt(1)
	ds_write_b32 v12, v15
	s_waitcnt vmcnt(0)
	ds_write_b32 v14, v16
	s_waitcnt lgkmcnt(0)
	s_barrier
	ds_read2_b32 v[19:20], v11 offset1:16
	ds_read_b128 v[15:18], v13
	s_and_b64 vcc, exec, vcc
	s_waitcnt lgkmcnt(0)
	v_fmac_f32_e32 v10, v19, v15
	v_fmac_f32_e32 v10, v20, v16
	ds_read2_b32 v[15:16], v11 offset0:32 offset1:48
	s_waitcnt lgkmcnt(0)
	v_fmac_f32_e32 v10, v15, v17
	v_fmac_f32_e32 v10, v16, v18
	ds_read2_b32 v[19:20], v11 offset0:64 offset1:80
	ds_read_b128 v[15:18], v13 offset:16
	s_waitcnt lgkmcnt(0)
	v_fmac_f32_e32 v10, v19, v15
	v_fmac_f32_e32 v10, v20, v16
	ds_read2_b32 v[15:16], v11 offset0:96 offset1:112
	s_waitcnt lgkmcnt(0)
	v_fmac_f32_e32 v10, v15, v17
	v_fmac_f32_e32 v10, v16, v18
	ds_read2_b32 v[19:20], v11 offset0:128 offset1:144
	ds_read_b128 v[15:18], v13 offset:32
	;; [unrolled: 9-line block ×3, first 2 shown]
	s_waitcnt lgkmcnt(0)
	v_fmac_f32_e32 v10, v19, v15
	v_fmac_f32_e32 v10, v20, v16
	ds_read2_b32 v[15:16], v11 offset0:224 offset1:240
	s_waitcnt lgkmcnt(0)
	s_barrier
	v_fmac_f32_e32 v10, v15, v17
	v_fmac_f32_e32 v10, v16, v18
	s_cbranch_vccnz .LBB968_2
; %bb.3:
	v_cmp_le_i32_e32 vcc, v8, v2
	s_and_saveexec_b64 s[0:1], vcc
	s_cbranch_execz .LBB968_5
.LBB968_4:
	s_load_dwordx2 s[6:7], s[4:5], 0x60
	s_load_dwordx4 s[0:3], s[4:5], 0x50
	s_waitcnt lgkmcnt(0)
	s_mul_i32 s7, s7, s8
	v_mul_lo_u32 v4, s3, v8
	v_mul_lo_u32 v5, s2, v9
	v_mad_u64_u32 v[0:1], s[2:3], s2, v8, 0
	s_mul_hi_u32 s9, s6, s8
	s_mul_i32 s6, s6, s8
	s_add_i32 s7, s9, s7
	s_lshl_b64 s[2:3], s[6:7], 2
	v_add3_u32 v1, v1, v5, v4
	s_add_u32 s0, s0, s2
	v_lshlrev_b64 v[0:1], 2, v[0:1]
	s_addc_u32 s1, s1, s3
	v_mov_b32_e32 v4, s1
	v_add_co_u32_e32 v5, vcc, s0, v0
	v_addc_co_u32_e32 v4, vcc, v4, v1, vcc
	v_lshlrev_b64 v[0:1], 2, v[2:3]
	v_add_co_u32_e32 v0, vcc, v5, v0
	v_addc_co_u32_e32 v1, vcc, v4, v1, vcc
	global_load_dword v2, v[0:1], off
	s_load_dword s0, s[4:5], 0x48
	s_load_dword s1, s[4:5], 0x10
	s_waitcnt vmcnt(0) lgkmcnt(0)
	v_mul_f32_e32 v2, s0, v2
	v_fmac_f32_e32 v2, s1, v10
	global_store_dword v[0:1], v2, off
.LBB968_5:
	s_endpgm
.LBB968_6:
	v_mov_b32_e32 v10, 0
	v_cmp_le_i32_e32 vcc, v8, v2
	s_and_saveexec_b64 s[0:1], vcc
	s_cbranch_execnz .LBB968_4
	s_branch .LBB968_5
	.section	.rodata,"a",@progbits
	.p2align	6, 0x0
	.amdhsa_kernel _ZL41rocblas_syrkx_herkx_small_restrict_kernelIlfLi16ELb0ELb0ELc84ELc76EKffEviT_T0_PT6_S1_lS4_S1_lS2_PT7_S1_li
		.amdhsa_group_segment_fixed_size 2048
		.amdhsa_private_segment_fixed_size 0
		.amdhsa_kernarg_size 108
		.amdhsa_user_sgpr_count 6
		.amdhsa_user_sgpr_private_segment_buffer 1
		.amdhsa_user_sgpr_dispatch_ptr 0
		.amdhsa_user_sgpr_queue_ptr 0
		.amdhsa_user_sgpr_kernarg_segment_ptr 1
		.amdhsa_user_sgpr_dispatch_id 0
		.amdhsa_user_sgpr_flat_scratch_init 0
		.amdhsa_user_sgpr_private_segment_size 0
		.amdhsa_uses_dynamic_stack 0
		.amdhsa_system_sgpr_private_segment_wavefront_offset 0
		.amdhsa_system_sgpr_workgroup_id_x 1
		.amdhsa_system_sgpr_workgroup_id_y 1
		.amdhsa_system_sgpr_workgroup_id_z 1
		.amdhsa_system_sgpr_workgroup_info 0
		.amdhsa_system_vgpr_workitem_id 1
		.amdhsa_next_free_vgpr 21
		.amdhsa_next_free_sgpr 24
		.amdhsa_reserve_vcc 1
		.amdhsa_reserve_flat_scratch 0
		.amdhsa_float_round_mode_32 0
		.amdhsa_float_round_mode_16_64 0
		.amdhsa_float_denorm_mode_32 3
		.amdhsa_float_denorm_mode_16_64 3
		.amdhsa_dx10_clamp 1
		.amdhsa_ieee_mode 1
		.amdhsa_fp16_overflow 0
		.amdhsa_exception_fp_ieee_invalid_op 0
		.amdhsa_exception_fp_denorm_src 0
		.amdhsa_exception_fp_ieee_div_zero 0
		.amdhsa_exception_fp_ieee_overflow 0
		.amdhsa_exception_fp_ieee_underflow 0
		.amdhsa_exception_fp_ieee_inexact 0
		.amdhsa_exception_int_div_zero 0
	.end_amdhsa_kernel
	.section	.text._ZL41rocblas_syrkx_herkx_small_restrict_kernelIlfLi16ELb0ELb0ELc84ELc76EKffEviT_T0_PT6_S1_lS4_S1_lS2_PT7_S1_li,"axG",@progbits,_ZL41rocblas_syrkx_herkx_small_restrict_kernelIlfLi16ELb0ELb0ELc84ELc76EKffEviT_T0_PT6_S1_lS4_S1_lS2_PT7_S1_li,comdat
.Lfunc_end968:
	.size	_ZL41rocblas_syrkx_herkx_small_restrict_kernelIlfLi16ELb0ELb0ELc84ELc76EKffEviT_T0_PT6_S1_lS4_S1_lS2_PT7_S1_li, .Lfunc_end968-_ZL41rocblas_syrkx_herkx_small_restrict_kernelIlfLi16ELb0ELb0ELc84ELc76EKffEviT_T0_PT6_S1_lS4_S1_lS2_PT7_S1_li
                                        ; -- End function
	.set _ZL41rocblas_syrkx_herkx_small_restrict_kernelIlfLi16ELb0ELb0ELc84ELc76EKffEviT_T0_PT6_S1_lS4_S1_lS2_PT7_S1_li.num_vgpr, 21
	.set _ZL41rocblas_syrkx_herkx_small_restrict_kernelIlfLi16ELb0ELb0ELc84ELc76EKffEviT_T0_PT6_S1_lS4_S1_lS2_PT7_S1_li.num_agpr, 0
	.set _ZL41rocblas_syrkx_herkx_small_restrict_kernelIlfLi16ELb0ELb0ELc84ELc76EKffEviT_T0_PT6_S1_lS4_S1_lS2_PT7_S1_li.numbered_sgpr, 24
	.set _ZL41rocblas_syrkx_herkx_small_restrict_kernelIlfLi16ELb0ELb0ELc84ELc76EKffEviT_T0_PT6_S1_lS4_S1_lS2_PT7_S1_li.num_named_barrier, 0
	.set _ZL41rocblas_syrkx_herkx_small_restrict_kernelIlfLi16ELb0ELb0ELc84ELc76EKffEviT_T0_PT6_S1_lS4_S1_lS2_PT7_S1_li.private_seg_size, 0
	.set _ZL41rocblas_syrkx_herkx_small_restrict_kernelIlfLi16ELb0ELb0ELc84ELc76EKffEviT_T0_PT6_S1_lS4_S1_lS2_PT7_S1_li.uses_vcc, 1
	.set _ZL41rocblas_syrkx_herkx_small_restrict_kernelIlfLi16ELb0ELb0ELc84ELc76EKffEviT_T0_PT6_S1_lS4_S1_lS2_PT7_S1_li.uses_flat_scratch, 0
	.set _ZL41rocblas_syrkx_herkx_small_restrict_kernelIlfLi16ELb0ELb0ELc84ELc76EKffEviT_T0_PT6_S1_lS4_S1_lS2_PT7_S1_li.has_dyn_sized_stack, 0
	.set _ZL41rocblas_syrkx_herkx_small_restrict_kernelIlfLi16ELb0ELb0ELc84ELc76EKffEviT_T0_PT6_S1_lS4_S1_lS2_PT7_S1_li.has_recursion, 0
	.set _ZL41rocblas_syrkx_herkx_small_restrict_kernelIlfLi16ELb0ELb0ELc84ELc76EKffEviT_T0_PT6_S1_lS4_S1_lS2_PT7_S1_li.has_indirect_call, 0
	.section	.AMDGPU.csdata,"",@progbits
; Kernel info:
; codeLenInByte = 784
; TotalNumSgprs: 28
; NumVgprs: 21
; ScratchSize: 0
; MemoryBound: 0
; FloatMode: 240
; IeeeMode: 1
; LDSByteSize: 2048 bytes/workgroup (compile time only)
; SGPRBlocks: 3
; VGPRBlocks: 5
; NumSGPRsForWavesPerEU: 28
; NumVGPRsForWavesPerEU: 21
; Occupancy: 10
; WaveLimiterHint : 0
; COMPUTE_PGM_RSRC2:SCRATCH_EN: 0
; COMPUTE_PGM_RSRC2:USER_SGPR: 6
; COMPUTE_PGM_RSRC2:TRAP_HANDLER: 0
; COMPUTE_PGM_RSRC2:TGID_X_EN: 1
; COMPUTE_PGM_RSRC2:TGID_Y_EN: 1
; COMPUTE_PGM_RSRC2:TGID_Z_EN: 1
; COMPUTE_PGM_RSRC2:TIDIG_COMP_CNT: 1
	.section	.text._ZL41rocblas_syrkx_herkx_small_restrict_kernelIlfLi16ELb0ELb0ELc67ELc76EKffEviT_T0_PT6_S1_lS4_S1_lS2_PT7_S1_li,"axG",@progbits,_ZL41rocblas_syrkx_herkx_small_restrict_kernelIlfLi16ELb0ELb0ELc67ELc76EKffEviT_T0_PT6_S1_lS4_S1_lS2_PT7_S1_li,comdat
	.globl	_ZL41rocblas_syrkx_herkx_small_restrict_kernelIlfLi16ELb0ELb0ELc67ELc76EKffEviT_T0_PT6_S1_lS4_S1_lS2_PT7_S1_li ; -- Begin function _ZL41rocblas_syrkx_herkx_small_restrict_kernelIlfLi16ELb0ELb0ELc67ELc76EKffEviT_T0_PT6_S1_lS4_S1_lS2_PT7_S1_li
	.p2align	8
	.type	_ZL41rocblas_syrkx_herkx_small_restrict_kernelIlfLi16ELb0ELb0ELc67ELc76EKffEviT_T0_PT6_S1_lS4_S1_lS2_PT7_S1_li,@function
_ZL41rocblas_syrkx_herkx_small_restrict_kernelIlfLi16ELb0ELb0ELc67ELc76EKffEviT_T0_PT6_S1_lS4_S1_lS2_PT7_S1_li: ; @_ZL41rocblas_syrkx_herkx_small_restrict_kernelIlfLi16ELb0ELb0ELc67ELc76EKffEviT_T0_PT6_S1_lS4_S1_lS2_PT7_S1_li
; %bb.0:
	s_load_dwordx2 s[0:1], s[4:5], 0x8
	v_lshl_add_u32 v2, s6, 4, v0
	v_lshl_add_u32 v8, s7, 4, v1
	v_ashrrev_i32_e32 v3, 31, v2
	v_ashrrev_i32_e32 v9, 31, v8
	s_waitcnt lgkmcnt(0)
	v_cmp_lt_i64_e64 s[2:3], s[0:1], 1
	s_and_b64 vcc, exec, s[2:3]
	s_cbranch_vccnz .LBB969_6
; %bb.1:
	s_load_dwordx4 s[20:23], s[4:5], 0x38
	s_load_dwordx8 s[12:19], s[4:5], 0x18
	v_lshlrev_b32_e32 v11, 2, v0
	v_lshlrev_b32_e32 v6, 6, v1
	v_add_u32_e32 v12, v11, v6
	s_waitcnt lgkmcnt(0)
	v_mul_lo_u32 v0, s21, v8
	v_mul_lo_u32 v7, s20, v9
	v_mad_u64_u32 v[4:5], s[2:3], s20, v8, 0
	s_mul_i32 s2, s23, s8
	s_mul_hi_u32 s3, s22, s8
	v_add3_u32 v5, v5, v7, v0
	v_lshlrev_b64 v[4:5], 2, v[4:5]
	s_add_i32 s3, s3, s2
	s_mul_i32 s2, s22, s8
	s_lshl_b64 s[2:3], s[2:3], 2
	v_add_u32_e32 v13, 0x400, v6
	v_mov_b32_e32 v0, s3
	v_add_co_u32_e32 v4, vcc, s2, v4
	v_mul_lo_u32 v15, s15, v2
	v_mul_lo_u32 v16, s14, v3
	v_mad_u64_u32 v[6:7], s[2:3], s14, v2, 0
	v_addc_co_u32_e32 v0, vcc, v5, v0, vcc
	v_add_co_u32_e32 v4, vcc, v4, v11
	v_addc_co_u32_e32 v0, vcc, 0, v0, vcc
	v_add3_u32 v7, v7, v16, v15
	s_mul_i32 s2, s17, s8
	s_mul_hi_u32 s3, s16, s8
	v_mov_b32_e32 v5, s19
	v_add_co_u32_e32 v4, vcc, s18, v4
	v_lshlrev_b64 v[6:7], 2, v[6:7]
	s_add_i32 s3, s3, s2
	s_mul_i32 s2, s16, s8
	v_addc_co_u32_e32 v5, vcc, v5, v0, vcc
	s_lshl_b64 s[2:3], s[2:3], 2
	v_mov_b32_e32 v0, s3
	v_add_co_u32_e32 v6, vcc, s2, v6
	v_addc_co_u32_e32 v0, vcc, v7, v0, vcc
	v_lshlrev_b32_e32 v1, 2, v1
	v_add_co_u32_e32 v1, vcc, v6, v1
	v_addc_co_u32_e32 v6, vcc, 0, v0, vcc
	v_mov_b32_e32 v7, s13
	v_add_co_u32_e32 v0, vcc, s12, v1
	v_addc_co_u32_e32 v1, vcc, v7, v6, vcc
	v_mov_b32_e32 v7, s1
	v_add_u32_e32 v14, v13, v11
	v_mov_b32_e32 v10, 0
	s_mov_b64 s[2:3], 0
	v_mov_b32_e32 v6, s0
.LBB969_2:                              ; =>This Inner Loop Header: Depth=1
	global_load_dword v15, v[0:1], off
	global_load_dword v16, v[4:5], off
	s_add_u32 s2, s2, 16
	v_add_co_u32_e32 v4, vcc, 64, v4
	v_add_co_u32_e64 v0, s[0:1], 64, v0
	v_addc_co_u32_e32 v5, vcc, 0, v5, vcc
	v_addc_co_u32_e64 v1, vcc, 0, v1, s[0:1]
	s_addc_u32 s3, s3, 0
	v_cmp_lt_i64_e32 vcc, s[2:3], v[6:7]
	s_waitcnt vmcnt(1)
	ds_write_b32 v12, v15
	s_waitcnt vmcnt(0)
	ds_write_b32 v14, v16
	s_waitcnt lgkmcnt(0)
	s_barrier
	ds_read2_b32 v[19:20], v11 offset1:16
	ds_read_b128 v[15:18], v13
	s_and_b64 vcc, exec, vcc
	s_waitcnt lgkmcnt(0)
	v_fmac_f32_e32 v10, v19, v15
	v_fmac_f32_e32 v10, v20, v16
	ds_read2_b32 v[15:16], v11 offset0:32 offset1:48
	s_waitcnt lgkmcnt(0)
	v_fmac_f32_e32 v10, v15, v17
	v_fmac_f32_e32 v10, v16, v18
	ds_read2_b32 v[19:20], v11 offset0:64 offset1:80
	ds_read_b128 v[15:18], v13 offset:16
	s_waitcnt lgkmcnt(0)
	v_fmac_f32_e32 v10, v19, v15
	v_fmac_f32_e32 v10, v20, v16
	ds_read2_b32 v[15:16], v11 offset0:96 offset1:112
	s_waitcnt lgkmcnt(0)
	v_fmac_f32_e32 v10, v15, v17
	v_fmac_f32_e32 v10, v16, v18
	ds_read2_b32 v[19:20], v11 offset0:128 offset1:144
	ds_read_b128 v[15:18], v13 offset:32
	;; [unrolled: 9-line block ×3, first 2 shown]
	s_waitcnt lgkmcnt(0)
	v_fmac_f32_e32 v10, v19, v15
	v_fmac_f32_e32 v10, v20, v16
	ds_read2_b32 v[15:16], v11 offset0:224 offset1:240
	s_waitcnt lgkmcnt(0)
	s_barrier
	v_fmac_f32_e32 v10, v15, v17
	v_fmac_f32_e32 v10, v16, v18
	s_cbranch_vccnz .LBB969_2
; %bb.3:
	v_cmp_le_i32_e32 vcc, v8, v2
	s_and_saveexec_b64 s[0:1], vcc
	s_cbranch_execz .LBB969_5
.LBB969_4:
	s_load_dwordx2 s[6:7], s[4:5], 0x60
	s_load_dwordx4 s[0:3], s[4:5], 0x50
	s_waitcnt lgkmcnt(0)
	s_mul_i32 s7, s7, s8
	v_mul_lo_u32 v4, s3, v8
	v_mul_lo_u32 v5, s2, v9
	v_mad_u64_u32 v[0:1], s[2:3], s2, v8, 0
	s_mul_hi_u32 s9, s6, s8
	s_mul_i32 s6, s6, s8
	s_add_i32 s7, s9, s7
	s_lshl_b64 s[2:3], s[6:7], 2
	v_add3_u32 v1, v1, v5, v4
	s_add_u32 s0, s0, s2
	v_lshlrev_b64 v[0:1], 2, v[0:1]
	s_addc_u32 s1, s1, s3
	v_mov_b32_e32 v4, s1
	v_add_co_u32_e32 v5, vcc, s0, v0
	v_addc_co_u32_e32 v4, vcc, v4, v1, vcc
	v_lshlrev_b64 v[0:1], 2, v[2:3]
	v_add_co_u32_e32 v0, vcc, v5, v0
	v_addc_co_u32_e32 v1, vcc, v4, v1, vcc
	global_load_dword v2, v[0:1], off
	s_load_dword s0, s[4:5], 0x48
	s_load_dword s1, s[4:5], 0x10
	s_waitcnt vmcnt(0) lgkmcnt(0)
	v_mul_f32_e32 v2, s0, v2
	v_fmac_f32_e32 v2, s1, v10
	global_store_dword v[0:1], v2, off
.LBB969_5:
	s_endpgm
.LBB969_6:
	v_mov_b32_e32 v10, 0
	v_cmp_le_i32_e32 vcc, v8, v2
	s_and_saveexec_b64 s[0:1], vcc
	s_cbranch_execnz .LBB969_4
	s_branch .LBB969_5
	.section	.rodata,"a",@progbits
	.p2align	6, 0x0
	.amdhsa_kernel _ZL41rocblas_syrkx_herkx_small_restrict_kernelIlfLi16ELb0ELb0ELc67ELc76EKffEviT_T0_PT6_S1_lS4_S1_lS2_PT7_S1_li
		.amdhsa_group_segment_fixed_size 2048
		.amdhsa_private_segment_fixed_size 0
		.amdhsa_kernarg_size 108
		.amdhsa_user_sgpr_count 6
		.amdhsa_user_sgpr_private_segment_buffer 1
		.amdhsa_user_sgpr_dispatch_ptr 0
		.amdhsa_user_sgpr_queue_ptr 0
		.amdhsa_user_sgpr_kernarg_segment_ptr 1
		.amdhsa_user_sgpr_dispatch_id 0
		.amdhsa_user_sgpr_flat_scratch_init 0
		.amdhsa_user_sgpr_private_segment_size 0
		.amdhsa_uses_dynamic_stack 0
		.amdhsa_system_sgpr_private_segment_wavefront_offset 0
		.amdhsa_system_sgpr_workgroup_id_x 1
		.amdhsa_system_sgpr_workgroup_id_y 1
		.amdhsa_system_sgpr_workgroup_id_z 1
		.amdhsa_system_sgpr_workgroup_info 0
		.amdhsa_system_vgpr_workitem_id 1
		.amdhsa_next_free_vgpr 21
		.amdhsa_next_free_sgpr 24
		.amdhsa_reserve_vcc 1
		.amdhsa_reserve_flat_scratch 0
		.amdhsa_float_round_mode_32 0
		.amdhsa_float_round_mode_16_64 0
		.amdhsa_float_denorm_mode_32 3
		.amdhsa_float_denorm_mode_16_64 3
		.amdhsa_dx10_clamp 1
		.amdhsa_ieee_mode 1
		.amdhsa_fp16_overflow 0
		.amdhsa_exception_fp_ieee_invalid_op 0
		.amdhsa_exception_fp_denorm_src 0
		.amdhsa_exception_fp_ieee_div_zero 0
		.amdhsa_exception_fp_ieee_overflow 0
		.amdhsa_exception_fp_ieee_underflow 0
		.amdhsa_exception_fp_ieee_inexact 0
		.amdhsa_exception_int_div_zero 0
	.end_amdhsa_kernel
	.section	.text._ZL41rocblas_syrkx_herkx_small_restrict_kernelIlfLi16ELb0ELb0ELc67ELc76EKffEviT_T0_PT6_S1_lS4_S1_lS2_PT7_S1_li,"axG",@progbits,_ZL41rocblas_syrkx_herkx_small_restrict_kernelIlfLi16ELb0ELb0ELc67ELc76EKffEviT_T0_PT6_S1_lS4_S1_lS2_PT7_S1_li,comdat
.Lfunc_end969:
	.size	_ZL41rocblas_syrkx_herkx_small_restrict_kernelIlfLi16ELb0ELb0ELc67ELc76EKffEviT_T0_PT6_S1_lS4_S1_lS2_PT7_S1_li, .Lfunc_end969-_ZL41rocblas_syrkx_herkx_small_restrict_kernelIlfLi16ELb0ELb0ELc67ELc76EKffEviT_T0_PT6_S1_lS4_S1_lS2_PT7_S1_li
                                        ; -- End function
	.set _ZL41rocblas_syrkx_herkx_small_restrict_kernelIlfLi16ELb0ELb0ELc67ELc76EKffEviT_T0_PT6_S1_lS4_S1_lS2_PT7_S1_li.num_vgpr, 21
	.set _ZL41rocblas_syrkx_herkx_small_restrict_kernelIlfLi16ELb0ELb0ELc67ELc76EKffEviT_T0_PT6_S1_lS4_S1_lS2_PT7_S1_li.num_agpr, 0
	.set _ZL41rocblas_syrkx_herkx_small_restrict_kernelIlfLi16ELb0ELb0ELc67ELc76EKffEviT_T0_PT6_S1_lS4_S1_lS2_PT7_S1_li.numbered_sgpr, 24
	.set _ZL41rocblas_syrkx_herkx_small_restrict_kernelIlfLi16ELb0ELb0ELc67ELc76EKffEviT_T0_PT6_S1_lS4_S1_lS2_PT7_S1_li.num_named_barrier, 0
	.set _ZL41rocblas_syrkx_herkx_small_restrict_kernelIlfLi16ELb0ELb0ELc67ELc76EKffEviT_T0_PT6_S1_lS4_S1_lS2_PT7_S1_li.private_seg_size, 0
	.set _ZL41rocblas_syrkx_herkx_small_restrict_kernelIlfLi16ELb0ELb0ELc67ELc76EKffEviT_T0_PT6_S1_lS4_S1_lS2_PT7_S1_li.uses_vcc, 1
	.set _ZL41rocblas_syrkx_herkx_small_restrict_kernelIlfLi16ELb0ELb0ELc67ELc76EKffEviT_T0_PT6_S1_lS4_S1_lS2_PT7_S1_li.uses_flat_scratch, 0
	.set _ZL41rocblas_syrkx_herkx_small_restrict_kernelIlfLi16ELb0ELb0ELc67ELc76EKffEviT_T0_PT6_S1_lS4_S1_lS2_PT7_S1_li.has_dyn_sized_stack, 0
	.set _ZL41rocblas_syrkx_herkx_small_restrict_kernelIlfLi16ELb0ELb0ELc67ELc76EKffEviT_T0_PT6_S1_lS4_S1_lS2_PT7_S1_li.has_recursion, 0
	.set _ZL41rocblas_syrkx_herkx_small_restrict_kernelIlfLi16ELb0ELb0ELc67ELc76EKffEviT_T0_PT6_S1_lS4_S1_lS2_PT7_S1_li.has_indirect_call, 0
	.section	.AMDGPU.csdata,"",@progbits
; Kernel info:
; codeLenInByte = 784
; TotalNumSgprs: 28
; NumVgprs: 21
; ScratchSize: 0
; MemoryBound: 0
; FloatMode: 240
; IeeeMode: 1
; LDSByteSize: 2048 bytes/workgroup (compile time only)
; SGPRBlocks: 3
; VGPRBlocks: 5
; NumSGPRsForWavesPerEU: 28
; NumVGPRsForWavesPerEU: 21
; Occupancy: 10
; WaveLimiterHint : 0
; COMPUTE_PGM_RSRC2:SCRATCH_EN: 0
; COMPUTE_PGM_RSRC2:USER_SGPR: 6
; COMPUTE_PGM_RSRC2:TRAP_HANDLER: 0
; COMPUTE_PGM_RSRC2:TGID_X_EN: 1
; COMPUTE_PGM_RSRC2:TGID_Y_EN: 1
; COMPUTE_PGM_RSRC2:TGID_Z_EN: 1
; COMPUTE_PGM_RSRC2:TIDIG_COMP_CNT: 1
	.section	.text._ZL41rocblas_syrkx_herkx_small_restrict_kernelIlfLi16ELb0ELb0ELc78ELc76EKffEviT_T0_PT6_S1_lS4_S1_lS2_PT7_S1_li,"axG",@progbits,_ZL41rocblas_syrkx_herkx_small_restrict_kernelIlfLi16ELb0ELb0ELc78ELc76EKffEviT_T0_PT6_S1_lS4_S1_lS2_PT7_S1_li,comdat
	.globl	_ZL41rocblas_syrkx_herkx_small_restrict_kernelIlfLi16ELb0ELb0ELc78ELc76EKffEviT_T0_PT6_S1_lS4_S1_lS2_PT7_S1_li ; -- Begin function _ZL41rocblas_syrkx_herkx_small_restrict_kernelIlfLi16ELb0ELb0ELc78ELc76EKffEviT_T0_PT6_S1_lS4_S1_lS2_PT7_S1_li
	.p2align	8
	.type	_ZL41rocblas_syrkx_herkx_small_restrict_kernelIlfLi16ELb0ELb0ELc78ELc76EKffEviT_T0_PT6_S1_lS4_S1_lS2_PT7_S1_li,@function
_ZL41rocblas_syrkx_herkx_small_restrict_kernelIlfLi16ELb0ELb0ELc78ELc76EKffEviT_T0_PT6_S1_lS4_S1_lS2_PT7_S1_li: ; @_ZL41rocblas_syrkx_herkx_small_restrict_kernelIlfLi16ELb0ELb0ELc78ELc76EKffEviT_T0_PT6_S1_lS4_S1_lS2_PT7_S1_li
; %bb.0:
	s_load_dwordx2 s[10:11], s[4:5], 0x8
	v_lshl_add_u32 v2, s6, 4, v0
	v_lshl_add_u32 v4, s7, 4, v1
	v_ashrrev_i32_e32 v3, 31, v2
	v_ashrrev_i32_e32 v5, 31, v4
	s_waitcnt lgkmcnt(0)
	v_cmp_lt_i64_e64 s[0:1], s[10:11], 1
	s_and_b64 vcc, exec, s[0:1]
	s_cbranch_vccnz .LBB970_6
; %bb.1:
	s_load_dwordx8 s[12:19], s[4:5], 0x18
	s_load_dwordx4 s[0:3], s[4:5], 0x38
	v_lshlrev_b32_e32 v6, 6, v1
	v_lshlrev_b32_e32 v8, 2, v0
	v_add_u32_e32 v9, v8, v6
	v_add_u32_e32 v10, 0x400, v6
	s_waitcnt lgkmcnt(0)
	v_mad_u64_u32 v[6:7], s[6:7], s0, v0, 0
	s_mul_i32 s3, s3, s8
	s_mul_hi_u32 s9, s2, s8
	v_mad_u64_u32 v[13:14], s[6:7], s1, v0, v[7:8]
	s_add_i32 s3, s9, s3
	s_mul_i32 s2, s2, s8
	v_mov_b32_e32 v7, v13
	v_lshlrev_b64 v[6:7], 2, v[6:7]
	s_lshl_b64 s[2:3], s[2:3], 2
	v_mov_b32_e32 v0, s3
	v_add_co_u32_e32 v11, vcc, s2, v6
	v_addc_co_u32_e32 v0, vcc, v0, v7, vcc
	v_lshlrev_b64 v[6:7], 2, v[4:5]
	v_mad_u64_u32 v[13:14], s[2:3], s14, v1, 0
	v_add_co_u32_e32 v6, vcc, v11, v6
	v_addc_co_u32_e32 v0, vcc, v0, v7, vcc
	v_mov_b32_e32 v7, s19
	v_add_co_u32_e32 v6, vcc, s18, v6
	v_addc_co_u32_e32 v7, vcc, v7, v0, vcc
	v_mov_b32_e32 v0, v14
	s_lshl_b64 s[2:3], s[0:1], 6
	v_mad_u64_u32 v[0:1], s[0:1], s15, v1, v[0:1]
	s_mul_i32 s6, s17, s8
	s_mul_hi_u32 s7, s16, s8
	v_mov_b32_e32 v14, v0
	s_add_i32 s1, s7, s6
	s_mul_i32 s0, s16, s8
	v_lshlrev_b64 v[0:1], 2, v[13:14]
	s_lshl_b64 s[0:1], s[0:1], 2
	v_mov_b32_e32 v11, s1
	v_add_co_u32_e32 v13, vcc, s0, v0
	v_addc_co_u32_e32 v11, vcc, v11, v1, vcc
	v_lshlrev_b64 v[0:1], 2, v[2:3]
	v_add_u32_e32 v12, v10, v8
	v_add_co_u32_e32 v0, vcc, v13, v0
	v_addc_co_u32_e32 v1, vcc, v11, v1, vcc
	v_mov_b32_e32 v11, s13
	v_add_co_u32_e32 v0, vcc, s12, v0
	v_addc_co_u32_e32 v1, vcc, v11, v1, vcc
	s_lshl_b64 s[6:7], s[14:15], 6
	v_mov_b32_e32 v11, 0
	s_mov_b64 s[12:13], 0
.LBB970_2:                              ; =>This Inner Loop Header: Depth=1
	global_load_dword v15, v[0:1], off
	global_load_dword v16, v[6:7], off
	s_add_u32 s12, s12, 16
	v_mov_b32_e32 v17, s3
	v_add_co_u32_e32 v6, vcc, s2, v6
	v_mov_b32_e32 v18, s7
	v_add_co_u32_e64 v0, s[0:1], s6, v0
	v_mov_b32_e32 v14, s11
	v_mov_b32_e32 v13, s10
	s_addc_u32 s13, s13, 0
	v_addc_co_u32_e32 v7, vcc, v7, v17, vcc
	v_addc_co_u32_e64 v1, vcc, v1, v18, s[0:1]
	v_cmp_lt_i64_e32 vcc, s[12:13], v[13:14]
	s_waitcnt vmcnt(1)
	ds_write_b32 v9, v15
	s_waitcnt vmcnt(0)
	ds_write_b32 v12, v16
	s_waitcnt lgkmcnt(0)
	s_barrier
	ds_read2_b32 v[21:22], v8 offset1:16
	ds_read_b128 v[13:16], v10
	ds_read_b128 v[17:20], v10 offset:16
	s_and_b64 vcc, exec, vcc
	s_waitcnt lgkmcnt(1)
	v_fmac_f32_e32 v11, v21, v13
	v_fmac_f32_e32 v11, v22, v14
	ds_read2_b32 v[13:14], v8 offset0:32 offset1:48
	s_waitcnt lgkmcnt(0)
	v_fmac_f32_e32 v11, v13, v15
	v_fmac_f32_e32 v11, v14, v16
	ds_read2_b32 v[13:14], v8 offset0:64 offset1:80
	ds_read2_b32 v[15:16], v8 offset0:96 offset1:112
	ds_read2_b32 v[21:22], v8 offset0:128 offset1:144
	s_waitcnt lgkmcnt(2)
	v_fmac_f32_e32 v11, v13, v17
	v_fmac_f32_e32 v11, v14, v18
	s_waitcnt lgkmcnt(1)
	v_fmac_f32_e32 v11, v15, v19
	v_fmac_f32_e32 v11, v16, v20
	ds_read_b128 v[13:16], v10 offset:32
	ds_read_b128 v[17:20], v10 offset:48
	s_waitcnt lgkmcnt(1)
	v_fmac_f32_e32 v11, v21, v13
	v_fmac_f32_e32 v11, v22, v14
	ds_read2_b32 v[13:14], v8 offset0:160 offset1:176
	s_waitcnt lgkmcnt(0)
	v_fmac_f32_e32 v11, v13, v15
	v_fmac_f32_e32 v11, v14, v16
	ds_read2_b32 v[13:14], v8 offset0:192 offset1:208
	ds_read2_b32 v[15:16], v8 offset0:224 offset1:240
	s_waitcnt lgkmcnt(0)
	s_barrier
	v_fmac_f32_e32 v11, v13, v17
	v_fmac_f32_e32 v11, v14, v18
	;; [unrolled: 1-line block ×4, first 2 shown]
	s_cbranch_vccnz .LBB970_2
; %bb.3:
	v_cmp_le_i32_e32 vcc, v4, v2
	s_and_saveexec_b64 s[0:1], vcc
	s_cbranch_execz .LBB970_5
.LBB970_4:
	s_load_dwordx2 s[6:7], s[4:5], 0x60
	s_load_dwordx4 s[0:3], s[4:5], 0x50
	s_waitcnt lgkmcnt(0)
	s_mul_i32 s7, s7, s8
	v_mul_lo_u32 v6, s3, v4
	v_mul_lo_u32 v5, s2, v5
	v_mad_u64_u32 v[0:1], s[2:3], s2, v4, 0
	s_mul_hi_u32 s9, s6, s8
	s_mul_i32 s6, s6, s8
	s_add_i32 s7, s9, s7
	s_lshl_b64 s[2:3], s[6:7], 2
	v_add3_u32 v1, v1, v5, v6
	s_add_u32 s0, s0, s2
	v_lshlrev_b64 v[0:1], 2, v[0:1]
	s_addc_u32 s1, s1, s3
	v_mov_b32_e32 v4, s1
	v_add_co_u32_e32 v5, vcc, s0, v0
	v_addc_co_u32_e32 v4, vcc, v4, v1, vcc
	v_lshlrev_b64 v[0:1], 2, v[2:3]
	v_add_co_u32_e32 v0, vcc, v5, v0
	v_addc_co_u32_e32 v1, vcc, v4, v1, vcc
	global_load_dword v2, v[0:1], off
	s_load_dword s0, s[4:5], 0x48
	s_load_dword s1, s[4:5], 0x10
	s_waitcnt vmcnt(0) lgkmcnt(0)
	v_mul_f32_e32 v2, s0, v2
	v_fmac_f32_e32 v2, s1, v11
	global_store_dword v[0:1], v2, off
.LBB970_5:
	s_endpgm
.LBB970_6:
	v_mov_b32_e32 v11, 0
	v_cmp_le_i32_e32 vcc, v4, v2
	s_and_saveexec_b64 s[0:1], vcc
	s_cbranch_execnz .LBB970_4
	s_branch .LBB970_5
	.section	.rodata,"a",@progbits
	.p2align	6, 0x0
	.amdhsa_kernel _ZL41rocblas_syrkx_herkx_small_restrict_kernelIlfLi16ELb0ELb0ELc78ELc76EKffEviT_T0_PT6_S1_lS4_S1_lS2_PT7_S1_li
		.amdhsa_group_segment_fixed_size 2048
		.amdhsa_private_segment_fixed_size 0
		.amdhsa_kernarg_size 108
		.amdhsa_user_sgpr_count 6
		.amdhsa_user_sgpr_private_segment_buffer 1
		.amdhsa_user_sgpr_dispatch_ptr 0
		.amdhsa_user_sgpr_queue_ptr 0
		.amdhsa_user_sgpr_kernarg_segment_ptr 1
		.amdhsa_user_sgpr_dispatch_id 0
		.amdhsa_user_sgpr_flat_scratch_init 0
		.amdhsa_user_sgpr_private_segment_size 0
		.amdhsa_uses_dynamic_stack 0
		.amdhsa_system_sgpr_private_segment_wavefront_offset 0
		.amdhsa_system_sgpr_workgroup_id_x 1
		.amdhsa_system_sgpr_workgroup_id_y 1
		.amdhsa_system_sgpr_workgroup_id_z 1
		.amdhsa_system_sgpr_workgroup_info 0
		.amdhsa_system_vgpr_workitem_id 1
		.amdhsa_next_free_vgpr 23
		.amdhsa_next_free_sgpr 20
		.amdhsa_reserve_vcc 1
		.amdhsa_reserve_flat_scratch 0
		.amdhsa_float_round_mode_32 0
		.amdhsa_float_round_mode_16_64 0
		.amdhsa_float_denorm_mode_32 3
		.amdhsa_float_denorm_mode_16_64 3
		.amdhsa_dx10_clamp 1
		.amdhsa_ieee_mode 1
		.amdhsa_fp16_overflow 0
		.amdhsa_exception_fp_ieee_invalid_op 0
		.amdhsa_exception_fp_denorm_src 0
		.amdhsa_exception_fp_ieee_div_zero 0
		.amdhsa_exception_fp_ieee_overflow 0
		.amdhsa_exception_fp_ieee_underflow 0
		.amdhsa_exception_fp_ieee_inexact 0
		.amdhsa_exception_int_div_zero 0
	.end_amdhsa_kernel
	.section	.text._ZL41rocblas_syrkx_herkx_small_restrict_kernelIlfLi16ELb0ELb0ELc78ELc76EKffEviT_T0_PT6_S1_lS4_S1_lS2_PT7_S1_li,"axG",@progbits,_ZL41rocblas_syrkx_herkx_small_restrict_kernelIlfLi16ELb0ELb0ELc78ELc76EKffEviT_T0_PT6_S1_lS4_S1_lS2_PT7_S1_li,comdat
.Lfunc_end970:
	.size	_ZL41rocblas_syrkx_herkx_small_restrict_kernelIlfLi16ELb0ELb0ELc78ELc76EKffEviT_T0_PT6_S1_lS4_S1_lS2_PT7_S1_li, .Lfunc_end970-_ZL41rocblas_syrkx_herkx_small_restrict_kernelIlfLi16ELb0ELb0ELc78ELc76EKffEviT_T0_PT6_S1_lS4_S1_lS2_PT7_S1_li
                                        ; -- End function
	.set _ZL41rocblas_syrkx_herkx_small_restrict_kernelIlfLi16ELb0ELb0ELc78ELc76EKffEviT_T0_PT6_S1_lS4_S1_lS2_PT7_S1_li.num_vgpr, 23
	.set _ZL41rocblas_syrkx_herkx_small_restrict_kernelIlfLi16ELb0ELb0ELc78ELc76EKffEviT_T0_PT6_S1_lS4_S1_lS2_PT7_S1_li.num_agpr, 0
	.set _ZL41rocblas_syrkx_herkx_small_restrict_kernelIlfLi16ELb0ELb0ELc78ELc76EKffEviT_T0_PT6_S1_lS4_S1_lS2_PT7_S1_li.numbered_sgpr, 20
	.set _ZL41rocblas_syrkx_herkx_small_restrict_kernelIlfLi16ELb0ELb0ELc78ELc76EKffEviT_T0_PT6_S1_lS4_S1_lS2_PT7_S1_li.num_named_barrier, 0
	.set _ZL41rocblas_syrkx_herkx_small_restrict_kernelIlfLi16ELb0ELb0ELc78ELc76EKffEviT_T0_PT6_S1_lS4_S1_lS2_PT7_S1_li.private_seg_size, 0
	.set _ZL41rocblas_syrkx_herkx_small_restrict_kernelIlfLi16ELb0ELb0ELc78ELc76EKffEviT_T0_PT6_S1_lS4_S1_lS2_PT7_S1_li.uses_vcc, 1
	.set _ZL41rocblas_syrkx_herkx_small_restrict_kernelIlfLi16ELb0ELb0ELc78ELc76EKffEviT_T0_PT6_S1_lS4_S1_lS2_PT7_S1_li.uses_flat_scratch, 0
	.set _ZL41rocblas_syrkx_herkx_small_restrict_kernelIlfLi16ELb0ELb0ELc78ELc76EKffEviT_T0_PT6_S1_lS4_S1_lS2_PT7_S1_li.has_dyn_sized_stack, 0
	.set _ZL41rocblas_syrkx_herkx_small_restrict_kernelIlfLi16ELb0ELb0ELc78ELc76EKffEviT_T0_PT6_S1_lS4_S1_lS2_PT7_S1_li.has_recursion, 0
	.set _ZL41rocblas_syrkx_herkx_small_restrict_kernelIlfLi16ELb0ELb0ELc78ELc76EKffEviT_T0_PT6_S1_lS4_S1_lS2_PT7_S1_li.has_indirect_call, 0
	.section	.AMDGPU.csdata,"",@progbits
; Kernel info:
; codeLenInByte = 788
; TotalNumSgprs: 24
; NumVgprs: 23
; ScratchSize: 0
; MemoryBound: 0
; FloatMode: 240
; IeeeMode: 1
; LDSByteSize: 2048 bytes/workgroup (compile time only)
; SGPRBlocks: 2
; VGPRBlocks: 5
; NumSGPRsForWavesPerEU: 24
; NumVGPRsForWavesPerEU: 23
; Occupancy: 10
; WaveLimiterHint : 0
; COMPUTE_PGM_RSRC2:SCRATCH_EN: 0
; COMPUTE_PGM_RSRC2:USER_SGPR: 6
; COMPUTE_PGM_RSRC2:TRAP_HANDLER: 0
; COMPUTE_PGM_RSRC2:TGID_X_EN: 1
; COMPUTE_PGM_RSRC2:TGID_Y_EN: 1
; COMPUTE_PGM_RSRC2:TGID_Z_EN: 1
; COMPUTE_PGM_RSRC2:TIDIG_COMP_CNT: 1
	.section	.text._ZL41rocblas_syrkx_herkx_small_restrict_kernelIlfLi16ELb0ELb0ELc84ELc85EKffEviT_T0_PT6_S1_lS4_S1_lS2_PT7_S1_li,"axG",@progbits,_ZL41rocblas_syrkx_herkx_small_restrict_kernelIlfLi16ELb0ELb0ELc84ELc85EKffEviT_T0_PT6_S1_lS4_S1_lS2_PT7_S1_li,comdat
	.globl	_ZL41rocblas_syrkx_herkx_small_restrict_kernelIlfLi16ELb0ELb0ELc84ELc85EKffEviT_T0_PT6_S1_lS4_S1_lS2_PT7_S1_li ; -- Begin function _ZL41rocblas_syrkx_herkx_small_restrict_kernelIlfLi16ELb0ELb0ELc84ELc85EKffEviT_T0_PT6_S1_lS4_S1_lS2_PT7_S1_li
	.p2align	8
	.type	_ZL41rocblas_syrkx_herkx_small_restrict_kernelIlfLi16ELb0ELb0ELc84ELc85EKffEviT_T0_PT6_S1_lS4_S1_lS2_PT7_S1_li,@function
_ZL41rocblas_syrkx_herkx_small_restrict_kernelIlfLi16ELb0ELb0ELc84ELc85EKffEviT_T0_PT6_S1_lS4_S1_lS2_PT7_S1_li: ; @_ZL41rocblas_syrkx_herkx_small_restrict_kernelIlfLi16ELb0ELb0ELc84ELc85EKffEviT_T0_PT6_S1_lS4_S1_lS2_PT7_S1_li
; %bb.0:
	s_load_dwordx2 s[0:1], s[4:5], 0x8
	v_lshl_add_u32 v2, s6, 4, v0
	v_lshl_add_u32 v8, s7, 4, v1
	v_ashrrev_i32_e32 v3, 31, v2
	v_ashrrev_i32_e32 v9, 31, v8
	s_waitcnt lgkmcnt(0)
	v_cmp_lt_i64_e64 s[2:3], s[0:1], 1
	s_and_b64 vcc, exec, s[2:3]
	s_cbranch_vccnz .LBB971_6
; %bb.1:
	s_load_dwordx4 s[20:23], s[4:5], 0x38
	s_load_dwordx8 s[12:19], s[4:5], 0x18
	v_lshlrev_b32_e32 v11, 2, v0
	v_lshlrev_b32_e32 v6, 6, v1
	v_add_u32_e32 v12, v11, v6
	s_waitcnt lgkmcnt(0)
	v_mul_lo_u32 v0, s21, v8
	v_mul_lo_u32 v7, s20, v9
	v_mad_u64_u32 v[4:5], s[2:3], s20, v8, 0
	s_mul_i32 s2, s23, s8
	s_mul_hi_u32 s3, s22, s8
	v_add3_u32 v5, v5, v7, v0
	v_lshlrev_b64 v[4:5], 2, v[4:5]
	s_add_i32 s3, s3, s2
	s_mul_i32 s2, s22, s8
	s_lshl_b64 s[2:3], s[2:3], 2
	v_add_u32_e32 v13, 0x400, v6
	v_mov_b32_e32 v0, s3
	v_add_co_u32_e32 v4, vcc, s2, v4
	v_mul_lo_u32 v15, s15, v2
	v_mul_lo_u32 v16, s14, v3
	v_mad_u64_u32 v[6:7], s[2:3], s14, v2, 0
	v_addc_co_u32_e32 v0, vcc, v5, v0, vcc
	v_add_co_u32_e32 v4, vcc, v4, v11
	v_addc_co_u32_e32 v0, vcc, 0, v0, vcc
	v_add3_u32 v7, v7, v16, v15
	s_mul_i32 s2, s17, s8
	s_mul_hi_u32 s3, s16, s8
	v_mov_b32_e32 v5, s19
	v_add_co_u32_e32 v4, vcc, s18, v4
	v_lshlrev_b64 v[6:7], 2, v[6:7]
	s_add_i32 s3, s3, s2
	s_mul_i32 s2, s16, s8
	v_addc_co_u32_e32 v5, vcc, v5, v0, vcc
	s_lshl_b64 s[2:3], s[2:3], 2
	v_mov_b32_e32 v0, s3
	v_add_co_u32_e32 v6, vcc, s2, v6
	v_addc_co_u32_e32 v0, vcc, v7, v0, vcc
	v_lshlrev_b32_e32 v1, 2, v1
	v_add_co_u32_e32 v1, vcc, v6, v1
	v_addc_co_u32_e32 v6, vcc, 0, v0, vcc
	v_mov_b32_e32 v7, s13
	v_add_co_u32_e32 v0, vcc, s12, v1
	v_addc_co_u32_e32 v1, vcc, v7, v6, vcc
	v_mov_b32_e32 v7, s1
	v_add_u32_e32 v14, v13, v11
	v_mov_b32_e32 v10, 0
	s_mov_b64 s[2:3], 0
	v_mov_b32_e32 v6, s0
.LBB971_2:                              ; =>This Inner Loop Header: Depth=1
	global_load_dword v15, v[0:1], off
	global_load_dword v16, v[4:5], off
	s_add_u32 s2, s2, 16
	v_add_co_u32_e32 v4, vcc, 64, v4
	v_add_co_u32_e64 v0, s[0:1], 64, v0
	v_addc_co_u32_e32 v5, vcc, 0, v5, vcc
	v_addc_co_u32_e64 v1, vcc, 0, v1, s[0:1]
	s_addc_u32 s3, s3, 0
	v_cmp_lt_i64_e32 vcc, s[2:3], v[6:7]
	s_waitcnt vmcnt(1)
	ds_write_b32 v12, v15
	s_waitcnt vmcnt(0)
	ds_write_b32 v14, v16
	s_waitcnt lgkmcnt(0)
	s_barrier
	ds_read2_b32 v[19:20], v11 offset1:16
	ds_read_b128 v[15:18], v13
	s_and_b64 vcc, exec, vcc
	s_waitcnt lgkmcnt(0)
	v_fmac_f32_e32 v10, v19, v15
	v_fmac_f32_e32 v10, v20, v16
	ds_read2_b32 v[15:16], v11 offset0:32 offset1:48
	s_waitcnt lgkmcnt(0)
	v_fmac_f32_e32 v10, v15, v17
	v_fmac_f32_e32 v10, v16, v18
	ds_read2_b32 v[19:20], v11 offset0:64 offset1:80
	ds_read_b128 v[15:18], v13 offset:16
	s_waitcnt lgkmcnt(0)
	v_fmac_f32_e32 v10, v19, v15
	v_fmac_f32_e32 v10, v20, v16
	ds_read2_b32 v[15:16], v11 offset0:96 offset1:112
	s_waitcnt lgkmcnt(0)
	v_fmac_f32_e32 v10, v15, v17
	v_fmac_f32_e32 v10, v16, v18
	ds_read2_b32 v[19:20], v11 offset0:128 offset1:144
	ds_read_b128 v[15:18], v13 offset:32
	;; [unrolled: 9-line block ×3, first 2 shown]
	s_waitcnt lgkmcnt(0)
	v_fmac_f32_e32 v10, v19, v15
	v_fmac_f32_e32 v10, v20, v16
	ds_read2_b32 v[15:16], v11 offset0:224 offset1:240
	s_waitcnt lgkmcnt(0)
	s_barrier
	v_fmac_f32_e32 v10, v15, v17
	v_fmac_f32_e32 v10, v16, v18
	s_cbranch_vccnz .LBB971_2
; %bb.3:
	v_cmp_le_i32_e32 vcc, v2, v8
	s_and_saveexec_b64 s[0:1], vcc
	s_cbranch_execz .LBB971_5
.LBB971_4:
	s_load_dwordx2 s[6:7], s[4:5], 0x60
	s_load_dwordx4 s[0:3], s[4:5], 0x50
	s_waitcnt lgkmcnt(0)
	s_mul_i32 s7, s7, s8
	v_mul_lo_u32 v4, s3, v8
	v_mul_lo_u32 v5, s2, v9
	v_mad_u64_u32 v[0:1], s[2:3], s2, v8, 0
	s_mul_hi_u32 s9, s6, s8
	s_mul_i32 s6, s6, s8
	s_add_i32 s7, s9, s7
	s_lshl_b64 s[2:3], s[6:7], 2
	v_add3_u32 v1, v1, v5, v4
	s_add_u32 s0, s0, s2
	v_lshlrev_b64 v[0:1], 2, v[0:1]
	s_addc_u32 s1, s1, s3
	v_mov_b32_e32 v4, s1
	v_add_co_u32_e32 v5, vcc, s0, v0
	v_addc_co_u32_e32 v4, vcc, v4, v1, vcc
	v_lshlrev_b64 v[0:1], 2, v[2:3]
	v_add_co_u32_e32 v0, vcc, v5, v0
	v_addc_co_u32_e32 v1, vcc, v4, v1, vcc
	global_load_dword v2, v[0:1], off
	s_load_dword s0, s[4:5], 0x48
	s_load_dword s1, s[4:5], 0x10
	s_waitcnt vmcnt(0) lgkmcnt(0)
	v_mul_f32_e32 v2, s0, v2
	v_fmac_f32_e32 v2, s1, v10
	global_store_dword v[0:1], v2, off
.LBB971_5:
	s_endpgm
.LBB971_6:
	v_mov_b32_e32 v10, 0
	v_cmp_le_i32_e32 vcc, v2, v8
	s_and_saveexec_b64 s[0:1], vcc
	s_cbranch_execnz .LBB971_4
	s_branch .LBB971_5
	.section	.rodata,"a",@progbits
	.p2align	6, 0x0
	.amdhsa_kernel _ZL41rocblas_syrkx_herkx_small_restrict_kernelIlfLi16ELb0ELb0ELc84ELc85EKffEviT_T0_PT6_S1_lS4_S1_lS2_PT7_S1_li
		.amdhsa_group_segment_fixed_size 2048
		.amdhsa_private_segment_fixed_size 0
		.amdhsa_kernarg_size 108
		.amdhsa_user_sgpr_count 6
		.amdhsa_user_sgpr_private_segment_buffer 1
		.amdhsa_user_sgpr_dispatch_ptr 0
		.amdhsa_user_sgpr_queue_ptr 0
		.amdhsa_user_sgpr_kernarg_segment_ptr 1
		.amdhsa_user_sgpr_dispatch_id 0
		.amdhsa_user_sgpr_flat_scratch_init 0
		.amdhsa_user_sgpr_private_segment_size 0
		.amdhsa_uses_dynamic_stack 0
		.amdhsa_system_sgpr_private_segment_wavefront_offset 0
		.amdhsa_system_sgpr_workgroup_id_x 1
		.amdhsa_system_sgpr_workgroup_id_y 1
		.amdhsa_system_sgpr_workgroup_id_z 1
		.amdhsa_system_sgpr_workgroup_info 0
		.amdhsa_system_vgpr_workitem_id 1
		.amdhsa_next_free_vgpr 21
		.amdhsa_next_free_sgpr 24
		.amdhsa_reserve_vcc 1
		.amdhsa_reserve_flat_scratch 0
		.amdhsa_float_round_mode_32 0
		.amdhsa_float_round_mode_16_64 0
		.amdhsa_float_denorm_mode_32 3
		.amdhsa_float_denorm_mode_16_64 3
		.amdhsa_dx10_clamp 1
		.amdhsa_ieee_mode 1
		.amdhsa_fp16_overflow 0
		.amdhsa_exception_fp_ieee_invalid_op 0
		.amdhsa_exception_fp_denorm_src 0
		.amdhsa_exception_fp_ieee_div_zero 0
		.amdhsa_exception_fp_ieee_overflow 0
		.amdhsa_exception_fp_ieee_underflow 0
		.amdhsa_exception_fp_ieee_inexact 0
		.amdhsa_exception_int_div_zero 0
	.end_amdhsa_kernel
	.section	.text._ZL41rocblas_syrkx_herkx_small_restrict_kernelIlfLi16ELb0ELb0ELc84ELc85EKffEviT_T0_PT6_S1_lS4_S1_lS2_PT7_S1_li,"axG",@progbits,_ZL41rocblas_syrkx_herkx_small_restrict_kernelIlfLi16ELb0ELb0ELc84ELc85EKffEviT_T0_PT6_S1_lS4_S1_lS2_PT7_S1_li,comdat
.Lfunc_end971:
	.size	_ZL41rocblas_syrkx_herkx_small_restrict_kernelIlfLi16ELb0ELb0ELc84ELc85EKffEviT_T0_PT6_S1_lS4_S1_lS2_PT7_S1_li, .Lfunc_end971-_ZL41rocblas_syrkx_herkx_small_restrict_kernelIlfLi16ELb0ELb0ELc84ELc85EKffEviT_T0_PT6_S1_lS4_S1_lS2_PT7_S1_li
                                        ; -- End function
	.set _ZL41rocblas_syrkx_herkx_small_restrict_kernelIlfLi16ELb0ELb0ELc84ELc85EKffEviT_T0_PT6_S1_lS4_S1_lS2_PT7_S1_li.num_vgpr, 21
	.set _ZL41rocblas_syrkx_herkx_small_restrict_kernelIlfLi16ELb0ELb0ELc84ELc85EKffEviT_T0_PT6_S1_lS4_S1_lS2_PT7_S1_li.num_agpr, 0
	.set _ZL41rocblas_syrkx_herkx_small_restrict_kernelIlfLi16ELb0ELb0ELc84ELc85EKffEviT_T0_PT6_S1_lS4_S1_lS2_PT7_S1_li.numbered_sgpr, 24
	.set _ZL41rocblas_syrkx_herkx_small_restrict_kernelIlfLi16ELb0ELb0ELc84ELc85EKffEviT_T0_PT6_S1_lS4_S1_lS2_PT7_S1_li.num_named_barrier, 0
	.set _ZL41rocblas_syrkx_herkx_small_restrict_kernelIlfLi16ELb0ELb0ELc84ELc85EKffEviT_T0_PT6_S1_lS4_S1_lS2_PT7_S1_li.private_seg_size, 0
	.set _ZL41rocblas_syrkx_herkx_small_restrict_kernelIlfLi16ELb0ELb0ELc84ELc85EKffEviT_T0_PT6_S1_lS4_S1_lS2_PT7_S1_li.uses_vcc, 1
	.set _ZL41rocblas_syrkx_herkx_small_restrict_kernelIlfLi16ELb0ELb0ELc84ELc85EKffEviT_T0_PT6_S1_lS4_S1_lS2_PT7_S1_li.uses_flat_scratch, 0
	.set _ZL41rocblas_syrkx_herkx_small_restrict_kernelIlfLi16ELb0ELb0ELc84ELc85EKffEviT_T0_PT6_S1_lS4_S1_lS2_PT7_S1_li.has_dyn_sized_stack, 0
	.set _ZL41rocblas_syrkx_herkx_small_restrict_kernelIlfLi16ELb0ELb0ELc84ELc85EKffEviT_T0_PT6_S1_lS4_S1_lS2_PT7_S1_li.has_recursion, 0
	.set _ZL41rocblas_syrkx_herkx_small_restrict_kernelIlfLi16ELb0ELb0ELc84ELc85EKffEviT_T0_PT6_S1_lS4_S1_lS2_PT7_S1_li.has_indirect_call, 0
	.section	.AMDGPU.csdata,"",@progbits
; Kernel info:
; codeLenInByte = 784
; TotalNumSgprs: 28
; NumVgprs: 21
; ScratchSize: 0
; MemoryBound: 0
; FloatMode: 240
; IeeeMode: 1
; LDSByteSize: 2048 bytes/workgroup (compile time only)
; SGPRBlocks: 3
; VGPRBlocks: 5
; NumSGPRsForWavesPerEU: 28
; NumVGPRsForWavesPerEU: 21
; Occupancy: 10
; WaveLimiterHint : 0
; COMPUTE_PGM_RSRC2:SCRATCH_EN: 0
; COMPUTE_PGM_RSRC2:USER_SGPR: 6
; COMPUTE_PGM_RSRC2:TRAP_HANDLER: 0
; COMPUTE_PGM_RSRC2:TGID_X_EN: 1
; COMPUTE_PGM_RSRC2:TGID_Y_EN: 1
; COMPUTE_PGM_RSRC2:TGID_Z_EN: 1
; COMPUTE_PGM_RSRC2:TIDIG_COMP_CNT: 1
	.section	.text._ZL41rocblas_syrkx_herkx_small_restrict_kernelIlfLi16ELb0ELb0ELc67ELc85EKffEviT_T0_PT6_S1_lS4_S1_lS2_PT7_S1_li,"axG",@progbits,_ZL41rocblas_syrkx_herkx_small_restrict_kernelIlfLi16ELb0ELb0ELc67ELc85EKffEviT_T0_PT6_S1_lS4_S1_lS2_PT7_S1_li,comdat
	.globl	_ZL41rocblas_syrkx_herkx_small_restrict_kernelIlfLi16ELb0ELb0ELc67ELc85EKffEviT_T0_PT6_S1_lS4_S1_lS2_PT7_S1_li ; -- Begin function _ZL41rocblas_syrkx_herkx_small_restrict_kernelIlfLi16ELb0ELb0ELc67ELc85EKffEviT_T0_PT6_S1_lS4_S1_lS2_PT7_S1_li
	.p2align	8
	.type	_ZL41rocblas_syrkx_herkx_small_restrict_kernelIlfLi16ELb0ELb0ELc67ELc85EKffEviT_T0_PT6_S1_lS4_S1_lS2_PT7_S1_li,@function
_ZL41rocblas_syrkx_herkx_small_restrict_kernelIlfLi16ELb0ELb0ELc67ELc85EKffEviT_T0_PT6_S1_lS4_S1_lS2_PT7_S1_li: ; @_ZL41rocblas_syrkx_herkx_small_restrict_kernelIlfLi16ELb0ELb0ELc67ELc85EKffEviT_T0_PT6_S1_lS4_S1_lS2_PT7_S1_li
; %bb.0:
	s_load_dwordx2 s[0:1], s[4:5], 0x8
	v_lshl_add_u32 v2, s6, 4, v0
	v_lshl_add_u32 v8, s7, 4, v1
	v_ashrrev_i32_e32 v3, 31, v2
	v_ashrrev_i32_e32 v9, 31, v8
	s_waitcnt lgkmcnt(0)
	v_cmp_lt_i64_e64 s[2:3], s[0:1], 1
	s_and_b64 vcc, exec, s[2:3]
	s_cbranch_vccnz .LBB972_6
; %bb.1:
	s_load_dwordx4 s[20:23], s[4:5], 0x38
	s_load_dwordx8 s[12:19], s[4:5], 0x18
	v_lshlrev_b32_e32 v11, 2, v0
	v_lshlrev_b32_e32 v6, 6, v1
	v_add_u32_e32 v12, v11, v6
	s_waitcnt lgkmcnt(0)
	v_mul_lo_u32 v0, s21, v8
	v_mul_lo_u32 v7, s20, v9
	v_mad_u64_u32 v[4:5], s[2:3], s20, v8, 0
	s_mul_i32 s2, s23, s8
	s_mul_hi_u32 s3, s22, s8
	v_add3_u32 v5, v5, v7, v0
	v_lshlrev_b64 v[4:5], 2, v[4:5]
	s_add_i32 s3, s3, s2
	s_mul_i32 s2, s22, s8
	s_lshl_b64 s[2:3], s[2:3], 2
	v_add_u32_e32 v13, 0x400, v6
	v_mov_b32_e32 v0, s3
	v_add_co_u32_e32 v4, vcc, s2, v4
	v_mul_lo_u32 v15, s15, v2
	v_mul_lo_u32 v16, s14, v3
	v_mad_u64_u32 v[6:7], s[2:3], s14, v2, 0
	v_addc_co_u32_e32 v0, vcc, v5, v0, vcc
	v_add_co_u32_e32 v4, vcc, v4, v11
	v_addc_co_u32_e32 v0, vcc, 0, v0, vcc
	v_add3_u32 v7, v7, v16, v15
	s_mul_i32 s2, s17, s8
	s_mul_hi_u32 s3, s16, s8
	v_mov_b32_e32 v5, s19
	v_add_co_u32_e32 v4, vcc, s18, v4
	v_lshlrev_b64 v[6:7], 2, v[6:7]
	s_add_i32 s3, s3, s2
	s_mul_i32 s2, s16, s8
	v_addc_co_u32_e32 v5, vcc, v5, v0, vcc
	s_lshl_b64 s[2:3], s[2:3], 2
	v_mov_b32_e32 v0, s3
	v_add_co_u32_e32 v6, vcc, s2, v6
	v_addc_co_u32_e32 v0, vcc, v7, v0, vcc
	v_lshlrev_b32_e32 v1, 2, v1
	v_add_co_u32_e32 v1, vcc, v6, v1
	v_addc_co_u32_e32 v6, vcc, 0, v0, vcc
	v_mov_b32_e32 v7, s13
	v_add_co_u32_e32 v0, vcc, s12, v1
	v_addc_co_u32_e32 v1, vcc, v7, v6, vcc
	v_mov_b32_e32 v7, s1
	v_add_u32_e32 v14, v13, v11
	v_mov_b32_e32 v10, 0
	s_mov_b64 s[2:3], 0
	v_mov_b32_e32 v6, s0
.LBB972_2:                              ; =>This Inner Loop Header: Depth=1
	global_load_dword v15, v[0:1], off
	global_load_dword v16, v[4:5], off
	s_add_u32 s2, s2, 16
	v_add_co_u32_e32 v4, vcc, 64, v4
	v_add_co_u32_e64 v0, s[0:1], 64, v0
	v_addc_co_u32_e32 v5, vcc, 0, v5, vcc
	v_addc_co_u32_e64 v1, vcc, 0, v1, s[0:1]
	s_addc_u32 s3, s3, 0
	v_cmp_lt_i64_e32 vcc, s[2:3], v[6:7]
	s_waitcnt vmcnt(1)
	ds_write_b32 v12, v15
	s_waitcnt vmcnt(0)
	ds_write_b32 v14, v16
	s_waitcnt lgkmcnt(0)
	s_barrier
	ds_read2_b32 v[19:20], v11 offset1:16
	ds_read_b128 v[15:18], v13
	s_and_b64 vcc, exec, vcc
	s_waitcnt lgkmcnt(0)
	v_fmac_f32_e32 v10, v19, v15
	v_fmac_f32_e32 v10, v20, v16
	ds_read2_b32 v[15:16], v11 offset0:32 offset1:48
	s_waitcnt lgkmcnt(0)
	v_fmac_f32_e32 v10, v15, v17
	v_fmac_f32_e32 v10, v16, v18
	ds_read2_b32 v[19:20], v11 offset0:64 offset1:80
	ds_read_b128 v[15:18], v13 offset:16
	s_waitcnt lgkmcnt(0)
	v_fmac_f32_e32 v10, v19, v15
	v_fmac_f32_e32 v10, v20, v16
	ds_read2_b32 v[15:16], v11 offset0:96 offset1:112
	s_waitcnt lgkmcnt(0)
	v_fmac_f32_e32 v10, v15, v17
	v_fmac_f32_e32 v10, v16, v18
	ds_read2_b32 v[19:20], v11 offset0:128 offset1:144
	ds_read_b128 v[15:18], v13 offset:32
	s_waitcnt lgkmcnt(0)
	v_fmac_f32_e32 v10, v19, v15
	v_fmac_f32_e32 v10, v20, v16
	ds_read2_b32 v[15:16], v11 offset0:160 offset1:176
	s_waitcnt lgkmcnt(0)
	v_fmac_f32_e32 v10, v15, v17
	v_fmac_f32_e32 v10, v16, v18
	ds_read2_b32 v[19:20], v11 offset0:192 offset1:208
	ds_read_b128 v[15:18], v13 offset:48
	s_waitcnt lgkmcnt(0)
	v_fmac_f32_e32 v10, v19, v15
	v_fmac_f32_e32 v10, v20, v16
	ds_read2_b32 v[15:16], v11 offset0:224 offset1:240
	s_waitcnt lgkmcnt(0)
	s_barrier
	v_fmac_f32_e32 v10, v15, v17
	v_fmac_f32_e32 v10, v16, v18
	s_cbranch_vccnz .LBB972_2
; %bb.3:
	v_cmp_le_i32_e32 vcc, v2, v8
	s_and_saveexec_b64 s[0:1], vcc
	s_cbranch_execz .LBB972_5
.LBB972_4:
	s_load_dwordx2 s[6:7], s[4:5], 0x60
	s_load_dwordx4 s[0:3], s[4:5], 0x50
	s_waitcnt lgkmcnt(0)
	s_mul_i32 s7, s7, s8
	v_mul_lo_u32 v4, s3, v8
	v_mul_lo_u32 v5, s2, v9
	v_mad_u64_u32 v[0:1], s[2:3], s2, v8, 0
	s_mul_hi_u32 s9, s6, s8
	s_mul_i32 s6, s6, s8
	s_add_i32 s7, s9, s7
	s_lshl_b64 s[2:3], s[6:7], 2
	v_add3_u32 v1, v1, v5, v4
	s_add_u32 s0, s0, s2
	v_lshlrev_b64 v[0:1], 2, v[0:1]
	s_addc_u32 s1, s1, s3
	v_mov_b32_e32 v4, s1
	v_add_co_u32_e32 v5, vcc, s0, v0
	v_addc_co_u32_e32 v4, vcc, v4, v1, vcc
	v_lshlrev_b64 v[0:1], 2, v[2:3]
	v_add_co_u32_e32 v0, vcc, v5, v0
	v_addc_co_u32_e32 v1, vcc, v4, v1, vcc
	global_load_dword v2, v[0:1], off
	s_load_dword s0, s[4:5], 0x48
	s_load_dword s1, s[4:5], 0x10
	s_waitcnt vmcnt(0) lgkmcnt(0)
	v_mul_f32_e32 v2, s0, v2
	v_fmac_f32_e32 v2, s1, v10
	global_store_dword v[0:1], v2, off
.LBB972_5:
	s_endpgm
.LBB972_6:
	v_mov_b32_e32 v10, 0
	v_cmp_le_i32_e32 vcc, v2, v8
	s_and_saveexec_b64 s[0:1], vcc
	s_cbranch_execnz .LBB972_4
	s_branch .LBB972_5
	.section	.rodata,"a",@progbits
	.p2align	6, 0x0
	.amdhsa_kernel _ZL41rocblas_syrkx_herkx_small_restrict_kernelIlfLi16ELb0ELb0ELc67ELc85EKffEviT_T0_PT6_S1_lS4_S1_lS2_PT7_S1_li
		.amdhsa_group_segment_fixed_size 2048
		.amdhsa_private_segment_fixed_size 0
		.amdhsa_kernarg_size 108
		.amdhsa_user_sgpr_count 6
		.amdhsa_user_sgpr_private_segment_buffer 1
		.amdhsa_user_sgpr_dispatch_ptr 0
		.amdhsa_user_sgpr_queue_ptr 0
		.amdhsa_user_sgpr_kernarg_segment_ptr 1
		.amdhsa_user_sgpr_dispatch_id 0
		.amdhsa_user_sgpr_flat_scratch_init 0
		.amdhsa_user_sgpr_private_segment_size 0
		.amdhsa_uses_dynamic_stack 0
		.amdhsa_system_sgpr_private_segment_wavefront_offset 0
		.amdhsa_system_sgpr_workgroup_id_x 1
		.amdhsa_system_sgpr_workgroup_id_y 1
		.amdhsa_system_sgpr_workgroup_id_z 1
		.amdhsa_system_sgpr_workgroup_info 0
		.amdhsa_system_vgpr_workitem_id 1
		.amdhsa_next_free_vgpr 21
		.amdhsa_next_free_sgpr 24
		.amdhsa_reserve_vcc 1
		.amdhsa_reserve_flat_scratch 0
		.amdhsa_float_round_mode_32 0
		.amdhsa_float_round_mode_16_64 0
		.amdhsa_float_denorm_mode_32 3
		.amdhsa_float_denorm_mode_16_64 3
		.amdhsa_dx10_clamp 1
		.amdhsa_ieee_mode 1
		.amdhsa_fp16_overflow 0
		.amdhsa_exception_fp_ieee_invalid_op 0
		.amdhsa_exception_fp_denorm_src 0
		.amdhsa_exception_fp_ieee_div_zero 0
		.amdhsa_exception_fp_ieee_overflow 0
		.amdhsa_exception_fp_ieee_underflow 0
		.amdhsa_exception_fp_ieee_inexact 0
		.amdhsa_exception_int_div_zero 0
	.end_amdhsa_kernel
	.section	.text._ZL41rocblas_syrkx_herkx_small_restrict_kernelIlfLi16ELb0ELb0ELc67ELc85EKffEviT_T0_PT6_S1_lS4_S1_lS2_PT7_S1_li,"axG",@progbits,_ZL41rocblas_syrkx_herkx_small_restrict_kernelIlfLi16ELb0ELb0ELc67ELc85EKffEviT_T0_PT6_S1_lS4_S1_lS2_PT7_S1_li,comdat
.Lfunc_end972:
	.size	_ZL41rocblas_syrkx_herkx_small_restrict_kernelIlfLi16ELb0ELb0ELc67ELc85EKffEviT_T0_PT6_S1_lS4_S1_lS2_PT7_S1_li, .Lfunc_end972-_ZL41rocblas_syrkx_herkx_small_restrict_kernelIlfLi16ELb0ELb0ELc67ELc85EKffEviT_T0_PT6_S1_lS4_S1_lS2_PT7_S1_li
                                        ; -- End function
	.set _ZL41rocblas_syrkx_herkx_small_restrict_kernelIlfLi16ELb0ELb0ELc67ELc85EKffEviT_T0_PT6_S1_lS4_S1_lS2_PT7_S1_li.num_vgpr, 21
	.set _ZL41rocblas_syrkx_herkx_small_restrict_kernelIlfLi16ELb0ELb0ELc67ELc85EKffEviT_T0_PT6_S1_lS4_S1_lS2_PT7_S1_li.num_agpr, 0
	.set _ZL41rocblas_syrkx_herkx_small_restrict_kernelIlfLi16ELb0ELb0ELc67ELc85EKffEviT_T0_PT6_S1_lS4_S1_lS2_PT7_S1_li.numbered_sgpr, 24
	.set _ZL41rocblas_syrkx_herkx_small_restrict_kernelIlfLi16ELb0ELb0ELc67ELc85EKffEviT_T0_PT6_S1_lS4_S1_lS2_PT7_S1_li.num_named_barrier, 0
	.set _ZL41rocblas_syrkx_herkx_small_restrict_kernelIlfLi16ELb0ELb0ELc67ELc85EKffEviT_T0_PT6_S1_lS4_S1_lS2_PT7_S1_li.private_seg_size, 0
	.set _ZL41rocblas_syrkx_herkx_small_restrict_kernelIlfLi16ELb0ELb0ELc67ELc85EKffEviT_T0_PT6_S1_lS4_S1_lS2_PT7_S1_li.uses_vcc, 1
	.set _ZL41rocblas_syrkx_herkx_small_restrict_kernelIlfLi16ELb0ELb0ELc67ELc85EKffEviT_T0_PT6_S1_lS4_S1_lS2_PT7_S1_li.uses_flat_scratch, 0
	.set _ZL41rocblas_syrkx_herkx_small_restrict_kernelIlfLi16ELb0ELb0ELc67ELc85EKffEviT_T0_PT6_S1_lS4_S1_lS2_PT7_S1_li.has_dyn_sized_stack, 0
	.set _ZL41rocblas_syrkx_herkx_small_restrict_kernelIlfLi16ELb0ELb0ELc67ELc85EKffEviT_T0_PT6_S1_lS4_S1_lS2_PT7_S1_li.has_recursion, 0
	.set _ZL41rocblas_syrkx_herkx_small_restrict_kernelIlfLi16ELb0ELb0ELc67ELc85EKffEviT_T0_PT6_S1_lS4_S1_lS2_PT7_S1_li.has_indirect_call, 0
	.section	.AMDGPU.csdata,"",@progbits
; Kernel info:
; codeLenInByte = 784
; TotalNumSgprs: 28
; NumVgprs: 21
; ScratchSize: 0
; MemoryBound: 0
; FloatMode: 240
; IeeeMode: 1
; LDSByteSize: 2048 bytes/workgroup (compile time only)
; SGPRBlocks: 3
; VGPRBlocks: 5
; NumSGPRsForWavesPerEU: 28
; NumVGPRsForWavesPerEU: 21
; Occupancy: 10
; WaveLimiterHint : 0
; COMPUTE_PGM_RSRC2:SCRATCH_EN: 0
; COMPUTE_PGM_RSRC2:USER_SGPR: 6
; COMPUTE_PGM_RSRC2:TRAP_HANDLER: 0
; COMPUTE_PGM_RSRC2:TGID_X_EN: 1
; COMPUTE_PGM_RSRC2:TGID_Y_EN: 1
; COMPUTE_PGM_RSRC2:TGID_Z_EN: 1
; COMPUTE_PGM_RSRC2:TIDIG_COMP_CNT: 1
	.section	.text._ZL41rocblas_syrkx_herkx_small_restrict_kernelIlfLi16ELb0ELb0ELc78ELc85EKffEviT_T0_PT6_S1_lS4_S1_lS2_PT7_S1_li,"axG",@progbits,_ZL41rocblas_syrkx_herkx_small_restrict_kernelIlfLi16ELb0ELb0ELc78ELc85EKffEviT_T0_PT6_S1_lS4_S1_lS2_PT7_S1_li,comdat
	.globl	_ZL41rocblas_syrkx_herkx_small_restrict_kernelIlfLi16ELb0ELb0ELc78ELc85EKffEviT_T0_PT6_S1_lS4_S1_lS2_PT7_S1_li ; -- Begin function _ZL41rocblas_syrkx_herkx_small_restrict_kernelIlfLi16ELb0ELb0ELc78ELc85EKffEviT_T0_PT6_S1_lS4_S1_lS2_PT7_S1_li
	.p2align	8
	.type	_ZL41rocblas_syrkx_herkx_small_restrict_kernelIlfLi16ELb0ELb0ELc78ELc85EKffEviT_T0_PT6_S1_lS4_S1_lS2_PT7_S1_li,@function
_ZL41rocblas_syrkx_herkx_small_restrict_kernelIlfLi16ELb0ELb0ELc78ELc85EKffEviT_T0_PT6_S1_lS4_S1_lS2_PT7_S1_li: ; @_ZL41rocblas_syrkx_herkx_small_restrict_kernelIlfLi16ELb0ELb0ELc78ELc85EKffEviT_T0_PT6_S1_lS4_S1_lS2_PT7_S1_li
; %bb.0:
	s_load_dwordx2 s[10:11], s[4:5], 0x8
	v_lshl_add_u32 v2, s6, 4, v0
	v_lshl_add_u32 v4, s7, 4, v1
	v_ashrrev_i32_e32 v3, 31, v2
	v_ashrrev_i32_e32 v5, 31, v4
	s_waitcnt lgkmcnt(0)
	v_cmp_lt_i64_e64 s[0:1], s[10:11], 1
	s_and_b64 vcc, exec, s[0:1]
	s_cbranch_vccnz .LBB973_6
; %bb.1:
	s_load_dwordx8 s[12:19], s[4:5], 0x18
	s_load_dwordx4 s[0:3], s[4:5], 0x38
	v_lshlrev_b32_e32 v6, 6, v1
	v_lshlrev_b32_e32 v8, 2, v0
	v_add_u32_e32 v9, v8, v6
	v_add_u32_e32 v10, 0x400, v6
	s_waitcnt lgkmcnt(0)
	v_mad_u64_u32 v[6:7], s[6:7], s0, v0, 0
	s_mul_i32 s3, s3, s8
	s_mul_hi_u32 s9, s2, s8
	v_mad_u64_u32 v[13:14], s[6:7], s1, v0, v[7:8]
	s_add_i32 s3, s9, s3
	s_mul_i32 s2, s2, s8
	v_mov_b32_e32 v7, v13
	v_lshlrev_b64 v[6:7], 2, v[6:7]
	s_lshl_b64 s[2:3], s[2:3], 2
	v_mov_b32_e32 v0, s3
	v_add_co_u32_e32 v11, vcc, s2, v6
	v_addc_co_u32_e32 v0, vcc, v0, v7, vcc
	v_lshlrev_b64 v[6:7], 2, v[4:5]
	v_mad_u64_u32 v[13:14], s[2:3], s14, v1, 0
	v_add_co_u32_e32 v6, vcc, v11, v6
	v_addc_co_u32_e32 v0, vcc, v0, v7, vcc
	v_mov_b32_e32 v7, s19
	v_add_co_u32_e32 v6, vcc, s18, v6
	v_addc_co_u32_e32 v7, vcc, v7, v0, vcc
	v_mov_b32_e32 v0, v14
	s_lshl_b64 s[2:3], s[0:1], 6
	v_mad_u64_u32 v[0:1], s[0:1], s15, v1, v[0:1]
	s_mul_i32 s6, s17, s8
	s_mul_hi_u32 s7, s16, s8
	v_mov_b32_e32 v14, v0
	s_add_i32 s1, s7, s6
	s_mul_i32 s0, s16, s8
	v_lshlrev_b64 v[0:1], 2, v[13:14]
	s_lshl_b64 s[0:1], s[0:1], 2
	v_mov_b32_e32 v11, s1
	v_add_co_u32_e32 v13, vcc, s0, v0
	v_addc_co_u32_e32 v11, vcc, v11, v1, vcc
	v_lshlrev_b64 v[0:1], 2, v[2:3]
	v_add_u32_e32 v12, v10, v8
	v_add_co_u32_e32 v0, vcc, v13, v0
	v_addc_co_u32_e32 v1, vcc, v11, v1, vcc
	v_mov_b32_e32 v11, s13
	v_add_co_u32_e32 v0, vcc, s12, v0
	v_addc_co_u32_e32 v1, vcc, v11, v1, vcc
	s_lshl_b64 s[6:7], s[14:15], 6
	v_mov_b32_e32 v11, 0
	s_mov_b64 s[12:13], 0
.LBB973_2:                              ; =>This Inner Loop Header: Depth=1
	global_load_dword v15, v[0:1], off
	global_load_dword v16, v[6:7], off
	s_add_u32 s12, s12, 16
	v_mov_b32_e32 v17, s3
	v_add_co_u32_e32 v6, vcc, s2, v6
	v_mov_b32_e32 v18, s7
	v_add_co_u32_e64 v0, s[0:1], s6, v0
	v_mov_b32_e32 v14, s11
	v_mov_b32_e32 v13, s10
	s_addc_u32 s13, s13, 0
	v_addc_co_u32_e32 v7, vcc, v7, v17, vcc
	v_addc_co_u32_e64 v1, vcc, v1, v18, s[0:1]
	v_cmp_lt_i64_e32 vcc, s[12:13], v[13:14]
	s_waitcnt vmcnt(1)
	ds_write_b32 v9, v15
	s_waitcnt vmcnt(0)
	ds_write_b32 v12, v16
	s_waitcnt lgkmcnt(0)
	s_barrier
	ds_read2_b32 v[21:22], v8 offset1:16
	ds_read_b128 v[13:16], v10
	ds_read_b128 v[17:20], v10 offset:16
	s_and_b64 vcc, exec, vcc
	s_waitcnt lgkmcnt(1)
	v_fmac_f32_e32 v11, v21, v13
	v_fmac_f32_e32 v11, v22, v14
	ds_read2_b32 v[13:14], v8 offset0:32 offset1:48
	s_waitcnt lgkmcnt(0)
	v_fmac_f32_e32 v11, v13, v15
	v_fmac_f32_e32 v11, v14, v16
	ds_read2_b32 v[13:14], v8 offset0:64 offset1:80
	ds_read2_b32 v[15:16], v8 offset0:96 offset1:112
	;; [unrolled: 1-line block ×3, first 2 shown]
	s_waitcnt lgkmcnt(2)
	v_fmac_f32_e32 v11, v13, v17
	v_fmac_f32_e32 v11, v14, v18
	s_waitcnt lgkmcnt(1)
	v_fmac_f32_e32 v11, v15, v19
	v_fmac_f32_e32 v11, v16, v20
	ds_read_b128 v[13:16], v10 offset:32
	ds_read_b128 v[17:20], v10 offset:48
	s_waitcnt lgkmcnt(1)
	v_fmac_f32_e32 v11, v21, v13
	v_fmac_f32_e32 v11, v22, v14
	ds_read2_b32 v[13:14], v8 offset0:160 offset1:176
	s_waitcnt lgkmcnt(0)
	v_fmac_f32_e32 v11, v13, v15
	v_fmac_f32_e32 v11, v14, v16
	ds_read2_b32 v[13:14], v8 offset0:192 offset1:208
	ds_read2_b32 v[15:16], v8 offset0:224 offset1:240
	s_waitcnt lgkmcnt(0)
	s_barrier
	v_fmac_f32_e32 v11, v13, v17
	v_fmac_f32_e32 v11, v14, v18
	;; [unrolled: 1-line block ×4, first 2 shown]
	s_cbranch_vccnz .LBB973_2
; %bb.3:
	v_cmp_le_i32_e32 vcc, v2, v4
	s_and_saveexec_b64 s[0:1], vcc
	s_cbranch_execz .LBB973_5
.LBB973_4:
	s_load_dwordx2 s[6:7], s[4:5], 0x60
	s_load_dwordx4 s[0:3], s[4:5], 0x50
	s_waitcnt lgkmcnt(0)
	s_mul_i32 s7, s7, s8
	v_mul_lo_u32 v6, s3, v4
	v_mul_lo_u32 v5, s2, v5
	v_mad_u64_u32 v[0:1], s[2:3], s2, v4, 0
	s_mul_hi_u32 s9, s6, s8
	s_mul_i32 s6, s6, s8
	s_add_i32 s7, s9, s7
	s_lshl_b64 s[2:3], s[6:7], 2
	v_add3_u32 v1, v1, v5, v6
	s_add_u32 s0, s0, s2
	v_lshlrev_b64 v[0:1], 2, v[0:1]
	s_addc_u32 s1, s1, s3
	v_mov_b32_e32 v4, s1
	v_add_co_u32_e32 v5, vcc, s0, v0
	v_addc_co_u32_e32 v4, vcc, v4, v1, vcc
	v_lshlrev_b64 v[0:1], 2, v[2:3]
	v_add_co_u32_e32 v0, vcc, v5, v0
	v_addc_co_u32_e32 v1, vcc, v4, v1, vcc
	global_load_dword v2, v[0:1], off
	s_load_dword s0, s[4:5], 0x48
	s_load_dword s1, s[4:5], 0x10
	s_waitcnt vmcnt(0) lgkmcnt(0)
	v_mul_f32_e32 v2, s0, v2
	v_fmac_f32_e32 v2, s1, v11
	global_store_dword v[0:1], v2, off
.LBB973_5:
	s_endpgm
.LBB973_6:
	v_mov_b32_e32 v11, 0
	v_cmp_le_i32_e32 vcc, v2, v4
	s_and_saveexec_b64 s[0:1], vcc
	s_cbranch_execnz .LBB973_4
	s_branch .LBB973_5
	.section	.rodata,"a",@progbits
	.p2align	6, 0x0
	.amdhsa_kernel _ZL41rocblas_syrkx_herkx_small_restrict_kernelIlfLi16ELb0ELb0ELc78ELc85EKffEviT_T0_PT6_S1_lS4_S1_lS2_PT7_S1_li
		.amdhsa_group_segment_fixed_size 2048
		.amdhsa_private_segment_fixed_size 0
		.amdhsa_kernarg_size 108
		.amdhsa_user_sgpr_count 6
		.amdhsa_user_sgpr_private_segment_buffer 1
		.amdhsa_user_sgpr_dispatch_ptr 0
		.amdhsa_user_sgpr_queue_ptr 0
		.amdhsa_user_sgpr_kernarg_segment_ptr 1
		.amdhsa_user_sgpr_dispatch_id 0
		.amdhsa_user_sgpr_flat_scratch_init 0
		.amdhsa_user_sgpr_private_segment_size 0
		.amdhsa_uses_dynamic_stack 0
		.amdhsa_system_sgpr_private_segment_wavefront_offset 0
		.amdhsa_system_sgpr_workgroup_id_x 1
		.amdhsa_system_sgpr_workgroup_id_y 1
		.amdhsa_system_sgpr_workgroup_id_z 1
		.amdhsa_system_sgpr_workgroup_info 0
		.amdhsa_system_vgpr_workitem_id 1
		.amdhsa_next_free_vgpr 23
		.amdhsa_next_free_sgpr 20
		.amdhsa_reserve_vcc 1
		.amdhsa_reserve_flat_scratch 0
		.amdhsa_float_round_mode_32 0
		.amdhsa_float_round_mode_16_64 0
		.amdhsa_float_denorm_mode_32 3
		.amdhsa_float_denorm_mode_16_64 3
		.amdhsa_dx10_clamp 1
		.amdhsa_ieee_mode 1
		.amdhsa_fp16_overflow 0
		.amdhsa_exception_fp_ieee_invalid_op 0
		.amdhsa_exception_fp_denorm_src 0
		.amdhsa_exception_fp_ieee_div_zero 0
		.amdhsa_exception_fp_ieee_overflow 0
		.amdhsa_exception_fp_ieee_underflow 0
		.amdhsa_exception_fp_ieee_inexact 0
		.amdhsa_exception_int_div_zero 0
	.end_amdhsa_kernel
	.section	.text._ZL41rocblas_syrkx_herkx_small_restrict_kernelIlfLi16ELb0ELb0ELc78ELc85EKffEviT_T0_PT6_S1_lS4_S1_lS2_PT7_S1_li,"axG",@progbits,_ZL41rocblas_syrkx_herkx_small_restrict_kernelIlfLi16ELb0ELb0ELc78ELc85EKffEviT_T0_PT6_S1_lS4_S1_lS2_PT7_S1_li,comdat
.Lfunc_end973:
	.size	_ZL41rocblas_syrkx_herkx_small_restrict_kernelIlfLi16ELb0ELb0ELc78ELc85EKffEviT_T0_PT6_S1_lS4_S1_lS2_PT7_S1_li, .Lfunc_end973-_ZL41rocblas_syrkx_herkx_small_restrict_kernelIlfLi16ELb0ELb0ELc78ELc85EKffEviT_T0_PT6_S1_lS4_S1_lS2_PT7_S1_li
                                        ; -- End function
	.set _ZL41rocblas_syrkx_herkx_small_restrict_kernelIlfLi16ELb0ELb0ELc78ELc85EKffEviT_T0_PT6_S1_lS4_S1_lS2_PT7_S1_li.num_vgpr, 23
	.set _ZL41rocblas_syrkx_herkx_small_restrict_kernelIlfLi16ELb0ELb0ELc78ELc85EKffEviT_T0_PT6_S1_lS4_S1_lS2_PT7_S1_li.num_agpr, 0
	.set _ZL41rocblas_syrkx_herkx_small_restrict_kernelIlfLi16ELb0ELb0ELc78ELc85EKffEviT_T0_PT6_S1_lS4_S1_lS2_PT7_S1_li.numbered_sgpr, 20
	.set _ZL41rocblas_syrkx_herkx_small_restrict_kernelIlfLi16ELb0ELb0ELc78ELc85EKffEviT_T0_PT6_S1_lS4_S1_lS2_PT7_S1_li.num_named_barrier, 0
	.set _ZL41rocblas_syrkx_herkx_small_restrict_kernelIlfLi16ELb0ELb0ELc78ELc85EKffEviT_T0_PT6_S1_lS4_S1_lS2_PT7_S1_li.private_seg_size, 0
	.set _ZL41rocblas_syrkx_herkx_small_restrict_kernelIlfLi16ELb0ELb0ELc78ELc85EKffEviT_T0_PT6_S1_lS4_S1_lS2_PT7_S1_li.uses_vcc, 1
	.set _ZL41rocblas_syrkx_herkx_small_restrict_kernelIlfLi16ELb0ELb0ELc78ELc85EKffEviT_T0_PT6_S1_lS4_S1_lS2_PT7_S1_li.uses_flat_scratch, 0
	.set _ZL41rocblas_syrkx_herkx_small_restrict_kernelIlfLi16ELb0ELb0ELc78ELc85EKffEviT_T0_PT6_S1_lS4_S1_lS2_PT7_S1_li.has_dyn_sized_stack, 0
	.set _ZL41rocblas_syrkx_herkx_small_restrict_kernelIlfLi16ELb0ELb0ELc78ELc85EKffEviT_T0_PT6_S1_lS4_S1_lS2_PT7_S1_li.has_recursion, 0
	.set _ZL41rocblas_syrkx_herkx_small_restrict_kernelIlfLi16ELb0ELb0ELc78ELc85EKffEviT_T0_PT6_S1_lS4_S1_lS2_PT7_S1_li.has_indirect_call, 0
	.section	.AMDGPU.csdata,"",@progbits
; Kernel info:
; codeLenInByte = 788
; TotalNumSgprs: 24
; NumVgprs: 23
; ScratchSize: 0
; MemoryBound: 0
; FloatMode: 240
; IeeeMode: 1
; LDSByteSize: 2048 bytes/workgroup (compile time only)
; SGPRBlocks: 2
; VGPRBlocks: 5
; NumSGPRsForWavesPerEU: 24
; NumVGPRsForWavesPerEU: 23
; Occupancy: 10
; WaveLimiterHint : 0
; COMPUTE_PGM_RSRC2:SCRATCH_EN: 0
; COMPUTE_PGM_RSRC2:USER_SGPR: 6
; COMPUTE_PGM_RSRC2:TRAP_HANDLER: 0
; COMPUTE_PGM_RSRC2:TGID_X_EN: 1
; COMPUTE_PGM_RSRC2:TGID_Y_EN: 1
; COMPUTE_PGM_RSRC2:TGID_Z_EN: 1
; COMPUTE_PGM_RSRC2:TIDIG_COMP_CNT: 1
	.section	.text._ZL32rocblas_syrkx_herkx_small_kernelIlfLi16ELb1ELb0ELc84ELc76EKffEviT_T0_PT6_S1_lS4_S1_lS2_PT7_S1_li,"axG",@progbits,_ZL32rocblas_syrkx_herkx_small_kernelIlfLi16ELb1ELb0ELc84ELc76EKffEviT_T0_PT6_S1_lS4_S1_lS2_PT7_S1_li,comdat
	.globl	_ZL32rocblas_syrkx_herkx_small_kernelIlfLi16ELb1ELb0ELc84ELc76EKffEviT_T0_PT6_S1_lS4_S1_lS2_PT7_S1_li ; -- Begin function _ZL32rocblas_syrkx_herkx_small_kernelIlfLi16ELb1ELb0ELc84ELc76EKffEviT_T0_PT6_S1_lS4_S1_lS2_PT7_S1_li
	.p2align	8
	.type	_ZL32rocblas_syrkx_herkx_small_kernelIlfLi16ELb1ELb0ELc84ELc76EKffEviT_T0_PT6_S1_lS4_S1_lS2_PT7_S1_li,@function
_ZL32rocblas_syrkx_herkx_small_kernelIlfLi16ELb1ELb0ELc84ELc76EKffEviT_T0_PT6_S1_lS4_S1_lS2_PT7_S1_li: ; @_ZL32rocblas_syrkx_herkx_small_kernelIlfLi16ELb1ELb0ELc84ELc76EKffEviT_T0_PT6_S1_lS4_S1_lS2_PT7_S1_li
; %bb.0:
	s_load_dwordx2 s[10:11], s[4:5], 0x8
	s_load_dword s9, s[4:5], 0x0
	v_lshl_add_u32 v2, s6, 4, v0
	v_lshl_add_u32 v8, s7, 4, v1
	v_ashrrev_i32_e32 v3, 31, v2
	s_waitcnt lgkmcnt(0)
	v_cmp_lt_i64_e64 s[0:1], s[10:11], 1
	v_ashrrev_i32_e32 v9, 31, v8
	s_and_b64 vcc, exec, s[0:1]
	v_cmp_gt_i32_e64 s[0:1], s9, v2
	s_cbranch_vccnz .LBB974_7
; %bb.1:
	s_load_dwordx8 s[12:19], s[4:5], 0x18
	s_load_dwordx4 s[20:23], s[4:5], 0x38
	v_lshlrev_b32_e32 v6, 6, v1
	v_lshlrev_b32_e32 v11, 2, v0
	v_add_u32_e32 v12, v11, v6
	v_add_u32_e32 v13, 0x400, v6
	s_waitcnt lgkmcnt(0)
	v_mul_lo_u32 v7, s21, v8
	v_mul_lo_u32 v15, s20, v9
	v_mad_u64_u32 v[4:5], s[2:3], s20, v8, 0
	s_mul_i32 s6, s23, s8
	s_mul_hi_u32 s7, s22, s8
	v_add3_u32 v5, v5, v15, v7
	v_lshlrev_b64 v[4:5], 2, v[4:5]
	s_add_i32 s7, s7, s6
	s_mul_i32 s6, s22, s8
	s_lshl_b64 s[6:7], s[6:7], 2
	v_mov_b32_e32 v6, s7
	v_add_co_u32_e32 v4, vcc, s6, v4
	v_addc_co_u32_e32 v5, vcc, v5, v6, vcc
	v_mul_lo_u32 v16, s15, v2
	v_mul_lo_u32 v17, s14, v3
	v_mad_u64_u32 v[6:7], s[6:7], s14, v2, 0
	v_add_co_u32_e32 v4, vcc, v4, v11
	v_addc_co_u32_e32 v5, vcc, 0, v5, vcc
	v_add3_u32 v7, v7, v17, v16
	s_mul_i32 s6, s17, s8
	s_mul_hi_u32 s7, s16, s8
	v_mov_b32_e32 v15, s19
	v_add_co_u32_e32 v4, vcc, s18, v4
	v_lshlrev_b64 v[6:7], 2, v[6:7]
	s_add_i32 s7, s7, s6
	s_mul_i32 s6, s16, s8
	v_addc_co_u32_e32 v5, vcc, v15, v5, vcc
	s_lshl_b64 s[6:7], s[6:7], 2
	v_mov_b32_e32 v15, s7
	v_add_co_u32_e32 v6, vcc, s6, v6
	v_addc_co_u32_e32 v7, vcc, v7, v15, vcc
	v_lshlrev_b32_e32 v15, 2, v1
	v_add_co_u32_e32 v6, vcc, v6, v15
	v_addc_co_u32_e32 v7, vcc, 0, v7, vcc
	v_mov_b32_e32 v15, s13
	v_add_co_u32_e32 v6, vcc, s12, v6
	v_mov_b32_e32 v10, 0
	v_cmp_gt_i32_e64 s[2:3], s9, v8
	v_add_u32_e32 v14, v13, v11
	v_addc_co_u32_e32 v7, vcc, v15, v7, vcc
	s_mov_b64 s[12:13], 0
	s_branch .LBB974_3
.LBB974_2:                              ;   in Loop: Header=BB974_3 Depth=1
	s_or_b64 exec, exec, s[6:7]
	s_waitcnt vmcnt(0)
	ds_write_b32 v14, v15
	s_waitcnt lgkmcnt(0)
	s_barrier
	ds_read2_b32 v[23:24], v11 offset1:16
	ds_read_b128 v[15:18], v13
	ds_read2_b32 v[25:26], v11 offset0:32 offset1:48
	ds_read_b128 v[19:22], v13 offset:16
	s_add_u32 s12, s12, 16
	v_add_co_u32_e32 v4, vcc, 64, v4
	s_waitcnt lgkmcnt(2)
	v_fmac_f32_e32 v10, v23, v15
	v_fmac_f32_e32 v10, v24, v16
	ds_read2_b32 v[23:24], v11 offset0:64 offset1:80
	s_waitcnt lgkmcnt(2)
	v_fmac_f32_e32 v10, v25, v17
	v_fmac_f32_e32 v10, v26, v18
	ds_read2_b32 v[25:26], v11 offset0:96 offset1:112
	ds_read_b128 v[15:18], v13 offset:32
	s_addc_u32 s13, s13, 0
	s_waitcnt lgkmcnt(2)
	v_fmac_f32_e32 v10, v23, v19
	v_fmac_f32_e32 v10, v24, v20
	ds_read2_b32 v[23:24], v11 offset0:128 offset1:144
	s_waitcnt lgkmcnt(2)
	v_fmac_f32_e32 v10, v25, v21
	v_fmac_f32_e32 v10, v26, v22
	ds_read2_b32 v[25:26], v11 offset0:160 offset1:176
	ds_read_b128 v[19:22], v13 offset:48
	v_addc_co_u32_e32 v5, vcc, 0, v5, vcc
	s_waitcnt lgkmcnt(2)
	v_fmac_f32_e32 v10, v23, v15
	v_fmac_f32_e32 v10, v24, v16
	ds_read2_b32 v[15:16], v11 offset0:192 offset1:208
	s_waitcnt lgkmcnt(2)
	v_fmac_f32_e32 v10, v25, v17
	v_fmac_f32_e32 v10, v26, v18
	ds_read2_b32 v[17:18], v11 offset0:224 offset1:240
	v_add_co_u32_e64 v6, s[6:7], 64, v6
	s_waitcnt lgkmcnt(1)
	v_fmac_f32_e32 v10, v15, v19
	v_fmac_f32_e32 v10, v16, v20
	v_mov_b32_e32 v16, s11
	v_mov_b32_e32 v15, s10
	v_cmp_ge_i64_e32 vcc, s[12:13], v[15:16]
	s_waitcnt lgkmcnt(0)
	v_fmac_f32_e32 v10, v17, v21
	v_fmac_f32_e32 v10, v18, v22
	v_addc_co_u32_e64 v7, s[6:7], 0, v7, s[6:7]
	s_barrier
	s_cbranch_vccnz .LBB974_8
.LBB974_3:                              ; =>This Inner Loop Header: Depth=1
	v_mov_b32_e32 v16, s13
	v_add_co_u32_e32 v15, vcc, s12, v1
	v_addc_co_u32_e32 v16, vcc, 0, v16, vcc
	v_cmp_gt_i64_e32 vcc, s[10:11], v[15:16]
	v_mov_b32_e32 v15, 0
	s_and_b64 s[14:15], s[0:1], vcc
	s_and_saveexec_b64 s[6:7], s[14:15]
	s_cbranch_execz .LBB974_5
; %bb.4:                                ;   in Loop: Header=BB974_3 Depth=1
	global_load_dword v15, v[6:7], off
.LBB974_5:                              ;   in Loop: Header=BB974_3 Depth=1
	s_or_b64 exec, exec, s[6:7]
	v_mov_b32_e32 v17, s13
	v_add_co_u32_e32 v16, vcc, s12, v0
	v_addc_co_u32_e32 v17, vcc, 0, v17, vcc
	v_cmp_gt_i64_e32 vcc, s[10:11], v[16:17]
	s_waitcnt vmcnt(0)
	ds_write_b32 v12, v15
	s_and_b64 s[14:15], s[2:3], vcc
	v_mov_b32_e32 v15, 0
	s_and_saveexec_b64 s[6:7], s[14:15]
	s_cbranch_execz .LBB974_2
; %bb.6:                                ;   in Loop: Header=BB974_3 Depth=1
	global_load_dword v15, v[4:5], off
	s_branch .LBB974_2
.LBB974_7:
	v_mov_b32_e32 v10, 0
.LBB974_8:
	v_cmp_le_i32_e32 vcc, v8, v2
	v_cmp_gt_i32_e64 s[0:1], s9, v2
	s_and_b64 s[0:1], vcc, s[0:1]
	s_and_saveexec_b64 s[2:3], s[0:1]
	s_cbranch_execz .LBB974_10
; %bb.9:
	s_load_dwordx2 s[6:7], s[4:5], 0x60
	s_load_dword s9, s[4:5], 0x10
	s_load_dwordx4 s[0:3], s[4:5], 0x50
	s_waitcnt lgkmcnt(0)
	s_mul_i32 s5, s7, s8
	s_mul_hi_u32 s7, s6, s8
	v_mul_lo_u32 v4, s3, v8
	v_mul_lo_u32 v5, s2, v9
	v_mad_u64_u32 v[0:1], s[2:3], s2, v8, 0
	s_mul_i32 s4, s6, s8
	s_add_i32 s5, s7, s5
	s_lshl_b64 s[4:5], s[4:5], 2
	v_add3_u32 v1, v1, v5, v4
	s_add_u32 s0, s0, s4
	v_lshlrev_b64 v[0:1], 2, v[0:1]
	s_addc_u32 s1, s1, s5
	v_mov_b32_e32 v4, s1
	v_add_co_u32_e32 v5, vcc, s0, v0
	v_addc_co_u32_e32 v4, vcc, v4, v1, vcc
	v_lshlrev_b64 v[0:1], 2, v[2:3]
	v_mul_f32_e32 v6, s9, v10
	v_add_co_u32_e32 v0, vcc, v5, v0
	v_addc_co_u32_e32 v1, vcc, v4, v1, vcc
	global_store_dword v[0:1], v6, off
.LBB974_10:
	s_endpgm
	.section	.rodata,"a",@progbits
	.p2align	6, 0x0
	.amdhsa_kernel _ZL32rocblas_syrkx_herkx_small_kernelIlfLi16ELb1ELb0ELc84ELc76EKffEviT_T0_PT6_S1_lS4_S1_lS2_PT7_S1_li
		.amdhsa_group_segment_fixed_size 2048
		.amdhsa_private_segment_fixed_size 0
		.amdhsa_kernarg_size 108
		.amdhsa_user_sgpr_count 6
		.amdhsa_user_sgpr_private_segment_buffer 1
		.amdhsa_user_sgpr_dispatch_ptr 0
		.amdhsa_user_sgpr_queue_ptr 0
		.amdhsa_user_sgpr_kernarg_segment_ptr 1
		.amdhsa_user_sgpr_dispatch_id 0
		.amdhsa_user_sgpr_flat_scratch_init 0
		.amdhsa_user_sgpr_private_segment_size 0
		.amdhsa_uses_dynamic_stack 0
		.amdhsa_system_sgpr_private_segment_wavefront_offset 0
		.amdhsa_system_sgpr_workgroup_id_x 1
		.amdhsa_system_sgpr_workgroup_id_y 1
		.amdhsa_system_sgpr_workgroup_id_z 1
		.amdhsa_system_sgpr_workgroup_info 0
		.amdhsa_system_vgpr_workitem_id 1
		.amdhsa_next_free_vgpr 27
		.amdhsa_next_free_sgpr 24
		.amdhsa_reserve_vcc 1
		.amdhsa_reserve_flat_scratch 0
		.amdhsa_float_round_mode_32 0
		.amdhsa_float_round_mode_16_64 0
		.amdhsa_float_denorm_mode_32 3
		.amdhsa_float_denorm_mode_16_64 3
		.amdhsa_dx10_clamp 1
		.amdhsa_ieee_mode 1
		.amdhsa_fp16_overflow 0
		.amdhsa_exception_fp_ieee_invalid_op 0
		.amdhsa_exception_fp_denorm_src 0
		.amdhsa_exception_fp_ieee_div_zero 0
		.amdhsa_exception_fp_ieee_overflow 0
		.amdhsa_exception_fp_ieee_underflow 0
		.amdhsa_exception_fp_ieee_inexact 0
		.amdhsa_exception_int_div_zero 0
	.end_amdhsa_kernel
	.section	.text._ZL32rocblas_syrkx_herkx_small_kernelIlfLi16ELb1ELb0ELc84ELc76EKffEviT_T0_PT6_S1_lS4_S1_lS2_PT7_S1_li,"axG",@progbits,_ZL32rocblas_syrkx_herkx_small_kernelIlfLi16ELb1ELb0ELc84ELc76EKffEviT_T0_PT6_S1_lS4_S1_lS2_PT7_S1_li,comdat
.Lfunc_end974:
	.size	_ZL32rocblas_syrkx_herkx_small_kernelIlfLi16ELb1ELb0ELc84ELc76EKffEviT_T0_PT6_S1_lS4_S1_lS2_PT7_S1_li, .Lfunc_end974-_ZL32rocblas_syrkx_herkx_small_kernelIlfLi16ELb1ELb0ELc84ELc76EKffEviT_T0_PT6_S1_lS4_S1_lS2_PT7_S1_li
                                        ; -- End function
	.set _ZL32rocblas_syrkx_herkx_small_kernelIlfLi16ELb1ELb0ELc84ELc76EKffEviT_T0_PT6_S1_lS4_S1_lS2_PT7_S1_li.num_vgpr, 27
	.set _ZL32rocblas_syrkx_herkx_small_kernelIlfLi16ELb1ELb0ELc84ELc76EKffEviT_T0_PT6_S1_lS4_S1_lS2_PT7_S1_li.num_agpr, 0
	.set _ZL32rocblas_syrkx_herkx_small_kernelIlfLi16ELb1ELb0ELc84ELc76EKffEviT_T0_PT6_S1_lS4_S1_lS2_PT7_S1_li.numbered_sgpr, 24
	.set _ZL32rocblas_syrkx_herkx_small_kernelIlfLi16ELb1ELb0ELc84ELc76EKffEviT_T0_PT6_S1_lS4_S1_lS2_PT7_S1_li.num_named_barrier, 0
	.set _ZL32rocblas_syrkx_herkx_small_kernelIlfLi16ELb1ELb0ELc84ELc76EKffEviT_T0_PT6_S1_lS4_S1_lS2_PT7_S1_li.private_seg_size, 0
	.set _ZL32rocblas_syrkx_herkx_small_kernelIlfLi16ELb1ELb0ELc84ELc76EKffEviT_T0_PT6_S1_lS4_S1_lS2_PT7_S1_li.uses_vcc, 1
	.set _ZL32rocblas_syrkx_herkx_small_kernelIlfLi16ELb1ELb0ELc84ELc76EKffEviT_T0_PT6_S1_lS4_S1_lS2_PT7_S1_li.uses_flat_scratch, 0
	.set _ZL32rocblas_syrkx_herkx_small_kernelIlfLi16ELb1ELb0ELc84ELc76EKffEviT_T0_PT6_S1_lS4_S1_lS2_PT7_S1_li.has_dyn_sized_stack, 0
	.set _ZL32rocblas_syrkx_herkx_small_kernelIlfLi16ELb1ELb0ELc84ELc76EKffEviT_T0_PT6_S1_lS4_S1_lS2_PT7_S1_li.has_recursion, 0
	.set _ZL32rocblas_syrkx_herkx_small_kernelIlfLi16ELb1ELb0ELc84ELc76EKffEviT_T0_PT6_S1_lS4_S1_lS2_PT7_S1_li.has_indirect_call, 0
	.section	.AMDGPU.csdata,"",@progbits
; Kernel info:
; codeLenInByte = 856
; TotalNumSgprs: 28
; NumVgprs: 27
; ScratchSize: 0
; MemoryBound: 0
; FloatMode: 240
; IeeeMode: 1
; LDSByteSize: 2048 bytes/workgroup (compile time only)
; SGPRBlocks: 3
; VGPRBlocks: 6
; NumSGPRsForWavesPerEU: 28
; NumVGPRsForWavesPerEU: 27
; Occupancy: 9
; WaveLimiterHint : 0
; COMPUTE_PGM_RSRC2:SCRATCH_EN: 0
; COMPUTE_PGM_RSRC2:USER_SGPR: 6
; COMPUTE_PGM_RSRC2:TRAP_HANDLER: 0
; COMPUTE_PGM_RSRC2:TGID_X_EN: 1
; COMPUTE_PGM_RSRC2:TGID_Y_EN: 1
; COMPUTE_PGM_RSRC2:TGID_Z_EN: 1
; COMPUTE_PGM_RSRC2:TIDIG_COMP_CNT: 1
	.section	.text._ZL32rocblas_syrkx_herkx_small_kernelIlfLi16ELb1ELb0ELc67ELc76EKffEviT_T0_PT6_S1_lS4_S1_lS2_PT7_S1_li,"axG",@progbits,_ZL32rocblas_syrkx_herkx_small_kernelIlfLi16ELb1ELb0ELc67ELc76EKffEviT_T0_PT6_S1_lS4_S1_lS2_PT7_S1_li,comdat
	.globl	_ZL32rocblas_syrkx_herkx_small_kernelIlfLi16ELb1ELb0ELc67ELc76EKffEviT_T0_PT6_S1_lS4_S1_lS2_PT7_S1_li ; -- Begin function _ZL32rocblas_syrkx_herkx_small_kernelIlfLi16ELb1ELb0ELc67ELc76EKffEviT_T0_PT6_S1_lS4_S1_lS2_PT7_S1_li
	.p2align	8
	.type	_ZL32rocblas_syrkx_herkx_small_kernelIlfLi16ELb1ELb0ELc67ELc76EKffEviT_T0_PT6_S1_lS4_S1_lS2_PT7_S1_li,@function
_ZL32rocblas_syrkx_herkx_small_kernelIlfLi16ELb1ELb0ELc67ELc76EKffEviT_T0_PT6_S1_lS4_S1_lS2_PT7_S1_li: ; @_ZL32rocblas_syrkx_herkx_small_kernelIlfLi16ELb1ELb0ELc67ELc76EKffEviT_T0_PT6_S1_lS4_S1_lS2_PT7_S1_li
; %bb.0:
	s_load_dwordx2 s[10:11], s[4:5], 0x8
	s_load_dword s9, s[4:5], 0x0
	v_lshl_add_u32 v2, s6, 4, v0
	v_lshl_add_u32 v8, s7, 4, v1
	v_ashrrev_i32_e32 v3, 31, v2
	s_waitcnt lgkmcnt(0)
	v_cmp_lt_i64_e64 s[0:1], s[10:11], 1
	v_ashrrev_i32_e32 v9, 31, v8
	s_and_b64 vcc, exec, s[0:1]
	v_cmp_gt_i32_e64 s[0:1], s9, v2
	s_cbranch_vccnz .LBB975_7
; %bb.1:
	s_load_dwordx8 s[12:19], s[4:5], 0x18
	s_load_dwordx4 s[20:23], s[4:5], 0x38
	v_lshlrev_b32_e32 v6, 6, v1
	v_lshlrev_b32_e32 v11, 2, v0
	v_add_u32_e32 v12, v11, v6
	v_add_u32_e32 v13, 0x400, v6
	s_waitcnt lgkmcnt(0)
	v_mul_lo_u32 v7, s21, v8
	v_mul_lo_u32 v15, s20, v9
	v_mad_u64_u32 v[4:5], s[2:3], s20, v8, 0
	s_mul_i32 s6, s23, s8
	s_mul_hi_u32 s7, s22, s8
	v_add3_u32 v5, v5, v15, v7
	v_lshlrev_b64 v[4:5], 2, v[4:5]
	s_add_i32 s7, s7, s6
	s_mul_i32 s6, s22, s8
	s_lshl_b64 s[6:7], s[6:7], 2
	v_mov_b32_e32 v6, s7
	v_add_co_u32_e32 v4, vcc, s6, v4
	v_addc_co_u32_e32 v5, vcc, v5, v6, vcc
	v_mul_lo_u32 v16, s15, v2
	v_mul_lo_u32 v17, s14, v3
	v_mad_u64_u32 v[6:7], s[6:7], s14, v2, 0
	v_add_co_u32_e32 v4, vcc, v4, v11
	v_addc_co_u32_e32 v5, vcc, 0, v5, vcc
	v_add3_u32 v7, v7, v17, v16
	s_mul_i32 s6, s17, s8
	s_mul_hi_u32 s7, s16, s8
	v_mov_b32_e32 v15, s19
	v_add_co_u32_e32 v4, vcc, s18, v4
	v_lshlrev_b64 v[6:7], 2, v[6:7]
	s_add_i32 s7, s7, s6
	s_mul_i32 s6, s16, s8
	v_addc_co_u32_e32 v5, vcc, v15, v5, vcc
	s_lshl_b64 s[6:7], s[6:7], 2
	v_mov_b32_e32 v15, s7
	v_add_co_u32_e32 v6, vcc, s6, v6
	v_addc_co_u32_e32 v7, vcc, v7, v15, vcc
	v_lshlrev_b32_e32 v15, 2, v1
	v_add_co_u32_e32 v6, vcc, v6, v15
	v_addc_co_u32_e32 v7, vcc, 0, v7, vcc
	v_mov_b32_e32 v15, s13
	v_add_co_u32_e32 v6, vcc, s12, v6
	v_mov_b32_e32 v10, 0
	v_cmp_gt_i32_e64 s[2:3], s9, v8
	v_add_u32_e32 v14, v13, v11
	v_addc_co_u32_e32 v7, vcc, v15, v7, vcc
	s_mov_b64 s[12:13], 0
	s_branch .LBB975_3
.LBB975_2:                              ;   in Loop: Header=BB975_3 Depth=1
	s_or_b64 exec, exec, s[6:7]
	s_waitcnt vmcnt(0)
	ds_write_b32 v14, v15
	s_waitcnt lgkmcnt(0)
	s_barrier
	ds_read2_b32 v[23:24], v11 offset1:16
	ds_read_b128 v[15:18], v13
	ds_read2_b32 v[25:26], v11 offset0:32 offset1:48
	ds_read_b128 v[19:22], v13 offset:16
	s_add_u32 s12, s12, 16
	v_add_co_u32_e32 v4, vcc, 64, v4
	s_waitcnt lgkmcnt(2)
	v_fmac_f32_e32 v10, v23, v15
	v_fmac_f32_e32 v10, v24, v16
	ds_read2_b32 v[23:24], v11 offset0:64 offset1:80
	s_waitcnt lgkmcnt(2)
	v_fmac_f32_e32 v10, v25, v17
	v_fmac_f32_e32 v10, v26, v18
	ds_read2_b32 v[25:26], v11 offset0:96 offset1:112
	ds_read_b128 v[15:18], v13 offset:32
	s_addc_u32 s13, s13, 0
	s_waitcnt lgkmcnt(2)
	v_fmac_f32_e32 v10, v23, v19
	v_fmac_f32_e32 v10, v24, v20
	ds_read2_b32 v[23:24], v11 offset0:128 offset1:144
	s_waitcnt lgkmcnt(2)
	v_fmac_f32_e32 v10, v25, v21
	v_fmac_f32_e32 v10, v26, v22
	ds_read2_b32 v[25:26], v11 offset0:160 offset1:176
	ds_read_b128 v[19:22], v13 offset:48
	v_addc_co_u32_e32 v5, vcc, 0, v5, vcc
	s_waitcnt lgkmcnt(2)
	v_fmac_f32_e32 v10, v23, v15
	v_fmac_f32_e32 v10, v24, v16
	ds_read2_b32 v[15:16], v11 offset0:192 offset1:208
	s_waitcnt lgkmcnt(2)
	v_fmac_f32_e32 v10, v25, v17
	v_fmac_f32_e32 v10, v26, v18
	ds_read2_b32 v[17:18], v11 offset0:224 offset1:240
	v_add_co_u32_e64 v6, s[6:7], 64, v6
	s_waitcnt lgkmcnt(1)
	v_fmac_f32_e32 v10, v15, v19
	v_fmac_f32_e32 v10, v16, v20
	v_mov_b32_e32 v16, s11
	v_mov_b32_e32 v15, s10
	v_cmp_ge_i64_e32 vcc, s[12:13], v[15:16]
	s_waitcnt lgkmcnt(0)
	v_fmac_f32_e32 v10, v17, v21
	v_fmac_f32_e32 v10, v18, v22
	v_addc_co_u32_e64 v7, s[6:7], 0, v7, s[6:7]
	s_barrier
	s_cbranch_vccnz .LBB975_8
.LBB975_3:                              ; =>This Inner Loop Header: Depth=1
	v_mov_b32_e32 v16, s13
	v_add_co_u32_e32 v15, vcc, s12, v1
	v_addc_co_u32_e32 v16, vcc, 0, v16, vcc
	v_cmp_gt_i64_e32 vcc, s[10:11], v[15:16]
	v_mov_b32_e32 v15, 0
	s_and_b64 s[14:15], s[0:1], vcc
	s_and_saveexec_b64 s[6:7], s[14:15]
	s_cbranch_execz .LBB975_5
; %bb.4:                                ;   in Loop: Header=BB975_3 Depth=1
	global_load_dword v15, v[6:7], off
.LBB975_5:                              ;   in Loop: Header=BB975_3 Depth=1
	s_or_b64 exec, exec, s[6:7]
	v_mov_b32_e32 v17, s13
	v_add_co_u32_e32 v16, vcc, s12, v0
	v_addc_co_u32_e32 v17, vcc, 0, v17, vcc
	v_cmp_gt_i64_e32 vcc, s[10:11], v[16:17]
	s_waitcnt vmcnt(0)
	ds_write_b32 v12, v15
	s_and_b64 s[14:15], s[2:3], vcc
	v_mov_b32_e32 v15, 0
	s_and_saveexec_b64 s[6:7], s[14:15]
	s_cbranch_execz .LBB975_2
; %bb.6:                                ;   in Loop: Header=BB975_3 Depth=1
	global_load_dword v15, v[4:5], off
	s_branch .LBB975_2
.LBB975_7:
	v_mov_b32_e32 v10, 0
.LBB975_8:
	v_cmp_le_i32_e32 vcc, v8, v2
	v_cmp_gt_i32_e64 s[0:1], s9, v2
	s_and_b64 s[0:1], vcc, s[0:1]
	s_and_saveexec_b64 s[2:3], s[0:1]
	s_cbranch_execz .LBB975_10
; %bb.9:
	s_load_dwordx2 s[6:7], s[4:5], 0x60
	s_load_dword s9, s[4:5], 0x10
	s_load_dwordx4 s[0:3], s[4:5], 0x50
	s_waitcnt lgkmcnt(0)
	s_mul_i32 s5, s7, s8
	s_mul_hi_u32 s7, s6, s8
	v_mul_lo_u32 v4, s3, v8
	v_mul_lo_u32 v5, s2, v9
	v_mad_u64_u32 v[0:1], s[2:3], s2, v8, 0
	s_mul_i32 s4, s6, s8
	s_add_i32 s5, s7, s5
	s_lshl_b64 s[4:5], s[4:5], 2
	v_add3_u32 v1, v1, v5, v4
	s_add_u32 s0, s0, s4
	v_lshlrev_b64 v[0:1], 2, v[0:1]
	s_addc_u32 s1, s1, s5
	v_mov_b32_e32 v4, s1
	v_add_co_u32_e32 v5, vcc, s0, v0
	v_addc_co_u32_e32 v4, vcc, v4, v1, vcc
	v_lshlrev_b64 v[0:1], 2, v[2:3]
	v_mul_f32_e32 v6, s9, v10
	v_add_co_u32_e32 v0, vcc, v5, v0
	v_addc_co_u32_e32 v1, vcc, v4, v1, vcc
	global_store_dword v[0:1], v6, off
.LBB975_10:
	s_endpgm
	.section	.rodata,"a",@progbits
	.p2align	6, 0x0
	.amdhsa_kernel _ZL32rocblas_syrkx_herkx_small_kernelIlfLi16ELb1ELb0ELc67ELc76EKffEviT_T0_PT6_S1_lS4_S1_lS2_PT7_S1_li
		.amdhsa_group_segment_fixed_size 2048
		.amdhsa_private_segment_fixed_size 0
		.amdhsa_kernarg_size 108
		.amdhsa_user_sgpr_count 6
		.amdhsa_user_sgpr_private_segment_buffer 1
		.amdhsa_user_sgpr_dispatch_ptr 0
		.amdhsa_user_sgpr_queue_ptr 0
		.amdhsa_user_sgpr_kernarg_segment_ptr 1
		.amdhsa_user_sgpr_dispatch_id 0
		.amdhsa_user_sgpr_flat_scratch_init 0
		.amdhsa_user_sgpr_private_segment_size 0
		.amdhsa_uses_dynamic_stack 0
		.amdhsa_system_sgpr_private_segment_wavefront_offset 0
		.amdhsa_system_sgpr_workgroup_id_x 1
		.amdhsa_system_sgpr_workgroup_id_y 1
		.amdhsa_system_sgpr_workgroup_id_z 1
		.amdhsa_system_sgpr_workgroup_info 0
		.amdhsa_system_vgpr_workitem_id 1
		.amdhsa_next_free_vgpr 27
		.amdhsa_next_free_sgpr 24
		.amdhsa_reserve_vcc 1
		.amdhsa_reserve_flat_scratch 0
		.amdhsa_float_round_mode_32 0
		.amdhsa_float_round_mode_16_64 0
		.amdhsa_float_denorm_mode_32 3
		.amdhsa_float_denorm_mode_16_64 3
		.amdhsa_dx10_clamp 1
		.amdhsa_ieee_mode 1
		.amdhsa_fp16_overflow 0
		.amdhsa_exception_fp_ieee_invalid_op 0
		.amdhsa_exception_fp_denorm_src 0
		.amdhsa_exception_fp_ieee_div_zero 0
		.amdhsa_exception_fp_ieee_overflow 0
		.amdhsa_exception_fp_ieee_underflow 0
		.amdhsa_exception_fp_ieee_inexact 0
		.amdhsa_exception_int_div_zero 0
	.end_amdhsa_kernel
	.section	.text._ZL32rocblas_syrkx_herkx_small_kernelIlfLi16ELb1ELb0ELc67ELc76EKffEviT_T0_PT6_S1_lS4_S1_lS2_PT7_S1_li,"axG",@progbits,_ZL32rocblas_syrkx_herkx_small_kernelIlfLi16ELb1ELb0ELc67ELc76EKffEviT_T0_PT6_S1_lS4_S1_lS2_PT7_S1_li,comdat
.Lfunc_end975:
	.size	_ZL32rocblas_syrkx_herkx_small_kernelIlfLi16ELb1ELb0ELc67ELc76EKffEviT_T0_PT6_S1_lS4_S1_lS2_PT7_S1_li, .Lfunc_end975-_ZL32rocblas_syrkx_herkx_small_kernelIlfLi16ELb1ELb0ELc67ELc76EKffEviT_T0_PT6_S1_lS4_S1_lS2_PT7_S1_li
                                        ; -- End function
	.set _ZL32rocblas_syrkx_herkx_small_kernelIlfLi16ELb1ELb0ELc67ELc76EKffEviT_T0_PT6_S1_lS4_S1_lS2_PT7_S1_li.num_vgpr, 27
	.set _ZL32rocblas_syrkx_herkx_small_kernelIlfLi16ELb1ELb0ELc67ELc76EKffEviT_T0_PT6_S1_lS4_S1_lS2_PT7_S1_li.num_agpr, 0
	.set _ZL32rocblas_syrkx_herkx_small_kernelIlfLi16ELb1ELb0ELc67ELc76EKffEviT_T0_PT6_S1_lS4_S1_lS2_PT7_S1_li.numbered_sgpr, 24
	.set _ZL32rocblas_syrkx_herkx_small_kernelIlfLi16ELb1ELb0ELc67ELc76EKffEviT_T0_PT6_S1_lS4_S1_lS2_PT7_S1_li.num_named_barrier, 0
	.set _ZL32rocblas_syrkx_herkx_small_kernelIlfLi16ELb1ELb0ELc67ELc76EKffEviT_T0_PT6_S1_lS4_S1_lS2_PT7_S1_li.private_seg_size, 0
	.set _ZL32rocblas_syrkx_herkx_small_kernelIlfLi16ELb1ELb0ELc67ELc76EKffEviT_T0_PT6_S1_lS4_S1_lS2_PT7_S1_li.uses_vcc, 1
	.set _ZL32rocblas_syrkx_herkx_small_kernelIlfLi16ELb1ELb0ELc67ELc76EKffEviT_T0_PT6_S1_lS4_S1_lS2_PT7_S1_li.uses_flat_scratch, 0
	.set _ZL32rocblas_syrkx_herkx_small_kernelIlfLi16ELb1ELb0ELc67ELc76EKffEviT_T0_PT6_S1_lS4_S1_lS2_PT7_S1_li.has_dyn_sized_stack, 0
	.set _ZL32rocblas_syrkx_herkx_small_kernelIlfLi16ELb1ELb0ELc67ELc76EKffEviT_T0_PT6_S1_lS4_S1_lS2_PT7_S1_li.has_recursion, 0
	.set _ZL32rocblas_syrkx_herkx_small_kernelIlfLi16ELb1ELb0ELc67ELc76EKffEviT_T0_PT6_S1_lS4_S1_lS2_PT7_S1_li.has_indirect_call, 0
	.section	.AMDGPU.csdata,"",@progbits
; Kernel info:
; codeLenInByte = 856
; TotalNumSgprs: 28
; NumVgprs: 27
; ScratchSize: 0
; MemoryBound: 0
; FloatMode: 240
; IeeeMode: 1
; LDSByteSize: 2048 bytes/workgroup (compile time only)
; SGPRBlocks: 3
; VGPRBlocks: 6
; NumSGPRsForWavesPerEU: 28
; NumVGPRsForWavesPerEU: 27
; Occupancy: 9
; WaveLimiterHint : 0
; COMPUTE_PGM_RSRC2:SCRATCH_EN: 0
; COMPUTE_PGM_RSRC2:USER_SGPR: 6
; COMPUTE_PGM_RSRC2:TRAP_HANDLER: 0
; COMPUTE_PGM_RSRC2:TGID_X_EN: 1
; COMPUTE_PGM_RSRC2:TGID_Y_EN: 1
; COMPUTE_PGM_RSRC2:TGID_Z_EN: 1
; COMPUTE_PGM_RSRC2:TIDIG_COMP_CNT: 1
	.section	.text._ZL32rocblas_syrkx_herkx_small_kernelIlfLi16ELb1ELb0ELc78ELc76EKffEviT_T0_PT6_S1_lS4_S1_lS2_PT7_S1_li,"axG",@progbits,_ZL32rocblas_syrkx_herkx_small_kernelIlfLi16ELb1ELb0ELc78ELc76EKffEviT_T0_PT6_S1_lS4_S1_lS2_PT7_S1_li,comdat
	.globl	_ZL32rocblas_syrkx_herkx_small_kernelIlfLi16ELb1ELb0ELc78ELc76EKffEviT_T0_PT6_S1_lS4_S1_lS2_PT7_S1_li ; -- Begin function _ZL32rocblas_syrkx_herkx_small_kernelIlfLi16ELb1ELb0ELc78ELc76EKffEviT_T0_PT6_S1_lS4_S1_lS2_PT7_S1_li
	.p2align	8
	.type	_ZL32rocblas_syrkx_herkx_small_kernelIlfLi16ELb1ELb0ELc78ELc76EKffEviT_T0_PT6_S1_lS4_S1_lS2_PT7_S1_li,@function
_ZL32rocblas_syrkx_herkx_small_kernelIlfLi16ELb1ELb0ELc78ELc76EKffEviT_T0_PT6_S1_lS4_S1_lS2_PT7_S1_li: ; @_ZL32rocblas_syrkx_herkx_small_kernelIlfLi16ELb1ELb0ELc78ELc76EKffEviT_T0_PT6_S1_lS4_S1_lS2_PT7_S1_li
; %bb.0:
	s_load_dwordx2 s[10:11], s[4:5], 0x8
	s_load_dword s9, s[4:5], 0x0
	v_lshl_add_u32 v2, s6, 4, v0
	v_lshl_add_u32 v4, s7, 4, v1
	v_ashrrev_i32_e32 v3, 31, v2
	s_waitcnt lgkmcnt(0)
	v_cmp_lt_i64_e64 s[0:1], s[10:11], 1
	v_ashrrev_i32_e32 v5, 31, v4
	s_and_b64 vcc, exec, s[0:1]
	v_cmp_gt_i32_e64 s[0:1], s9, v2
	s_cbranch_vccnz .LBB976_7
; %bb.1:
	s_load_dwordx8 s[12:19], s[4:5], 0x18
	s_load_dwordx4 s[20:23], s[4:5], 0x38
	v_lshlrev_b32_e32 v6, 6, v1
	v_lshlrev_b32_e32 v11, 2, v0
	v_add_u32_e32 v12, v11, v6
	v_add_u32_e32 v13, 0x400, v6
	s_waitcnt lgkmcnt(0)
	v_mad_u64_u32 v[6:7], s[6:7], s20, v0, 0
	s_mul_i32 s23, s23, s8
	s_mul_hi_u32 s24, s22, s8
	v_mad_u64_u32 v[7:8], s[6:7], s21, v0, v[7:8]
	s_add_i32 s7, s24, s23
	s_mul_i32 s6, s22, s8
	v_lshlrev_b64 v[6:7], 2, v[6:7]
	s_lshl_b64 s[6:7], s[6:7], 2
	v_mov_b32_e32 v8, s7
	v_add_co_u32_e32 v9, vcc, s6, v6
	v_addc_co_u32_e32 v8, vcc, v8, v7, vcc
	v_lshlrev_b64 v[6:7], 2, v[4:5]
	v_mov_b32_e32 v10, 0
	v_add_co_u32_e32 v6, vcc, v9, v6
	v_addc_co_u32_e32 v7, vcc, v8, v7, vcc
	v_mov_b32_e32 v8, s19
	v_add_co_u32_e32 v6, vcc, s18, v6
	v_addc_co_u32_e32 v7, vcc, v8, v7, vcc
	v_mad_u64_u32 v[8:9], s[6:7], s14, v1, 0
	s_lshl_b64 s[18:19], s[20:21], 6
	s_mul_i32 s17, s17, s8
	v_mad_u64_u32 v[15:16], s[6:7], s15, v1, v[9:10]
	s_mul_hi_u32 s20, s16, s8
	s_add_i32 s7, s20, s17
	v_mov_b32_e32 v9, v15
	s_mul_i32 s6, s16, s8
	v_lshlrev_b64 v[8:9], 2, v[8:9]
	s_lshl_b64 s[6:7], s[6:7], 2
	v_mov_b32_e32 v15, s7
	v_add_co_u32_e32 v16, vcc, s6, v8
	v_addc_co_u32_e32 v15, vcc, v15, v9, vcc
	v_lshlrev_b64 v[8:9], 2, v[2:3]
	v_cmp_gt_i32_e64 s[2:3], s9, v4
	v_add_co_u32_e32 v8, vcc, v16, v8
	v_addc_co_u32_e32 v9, vcc, v15, v9, vcc
	v_mov_b32_e32 v15, s13
	v_add_co_u32_e32 v8, vcc, s12, v8
	v_add_u32_e32 v14, v13, v11
	v_addc_co_u32_e32 v9, vcc, v15, v9, vcc
	s_lshl_b64 s[12:13], s[14:15], 6
	s_mov_b64 s[14:15], 0
	s_branch .LBB976_3
.LBB976_2:                              ;   in Loop: Header=BB976_3 Depth=1
	s_or_b64 exec, exec, s[6:7]
	s_waitcnt vmcnt(0)
	ds_write_b32 v14, v15
	s_waitcnt lgkmcnt(0)
	s_barrier
	ds_read2_b32 v[23:24], v11 offset1:16
	ds_read_b128 v[15:18], v13
	ds_read2_b32 v[25:26], v11 offset0:32 offset1:48
	ds_read_b128 v[19:22], v13 offset:16
	v_add_co_u32_e32 v6, vcc, s18, v6
	s_waitcnt lgkmcnt(2)
	v_fmac_f32_e32 v10, v23, v15
	v_fmac_f32_e32 v10, v24, v16
	ds_read2_b32 v[23:24], v11 offset0:64 offset1:80
	s_waitcnt lgkmcnt(2)
	v_fmac_f32_e32 v10, v25, v17
	v_fmac_f32_e32 v10, v26, v18
	ds_read2_b32 v[25:26], v11 offset0:96 offset1:112
	ds_read_b128 v[15:18], v13 offset:32
	s_add_u32 s14, s14, 16
	s_waitcnt lgkmcnt(2)
	v_fmac_f32_e32 v10, v23, v19
	v_fmac_f32_e32 v10, v24, v20
	ds_read2_b32 v[23:24], v11 offset0:128 offset1:144
	s_waitcnt lgkmcnt(2)
	v_fmac_f32_e32 v10, v25, v21
	v_fmac_f32_e32 v10, v26, v22
	ds_read2_b32 v[25:26], v11 offset0:160 offset1:176
	ds_read_b128 v[19:22], v13 offset:48
	s_addc_u32 s15, s15, 0
	s_waitcnt lgkmcnt(2)
	v_fmac_f32_e32 v10, v23, v15
	v_fmac_f32_e32 v10, v24, v16
	ds_read2_b32 v[15:16], v11 offset0:192 offset1:208
	s_waitcnt lgkmcnt(2)
	v_fmac_f32_e32 v10, v25, v17
	v_fmac_f32_e32 v10, v26, v18
	ds_read2_b32 v[17:18], v11 offset0:224 offset1:240
	v_add_co_u32_e64 v8, s[6:7], s12, v8
	s_waitcnt lgkmcnt(1)
	v_fmac_f32_e32 v10, v15, v19
	v_mov_b32_e32 v15, s19
	v_fmac_f32_e32 v10, v16, v20
	v_addc_co_u32_e32 v7, vcc, v7, v15, vcc
	v_mov_b32_e32 v16, s11
	v_mov_b32_e32 v15, s10
	v_cmp_ge_i64_e32 vcc, s[14:15], v[15:16]
	s_waitcnt lgkmcnt(0)
	v_fmac_f32_e32 v10, v17, v21
	v_mov_b32_e32 v17, s13
	v_fmac_f32_e32 v10, v18, v22
	v_addc_co_u32_e64 v9, s[6:7], v9, v17, s[6:7]
	s_barrier
	s_cbranch_vccnz .LBB976_8
.LBB976_3:                              ; =>This Inner Loop Header: Depth=1
	v_mov_b32_e32 v16, s15
	v_add_co_u32_e32 v15, vcc, s14, v1
	v_addc_co_u32_e32 v16, vcc, 0, v16, vcc
	v_cmp_gt_i64_e32 vcc, s[10:11], v[15:16]
	v_mov_b32_e32 v15, 0
	s_and_b64 s[16:17], s[0:1], vcc
	s_and_saveexec_b64 s[6:7], s[16:17]
	s_cbranch_execz .LBB976_5
; %bb.4:                                ;   in Loop: Header=BB976_3 Depth=1
	global_load_dword v15, v[8:9], off
.LBB976_5:                              ;   in Loop: Header=BB976_3 Depth=1
	s_or_b64 exec, exec, s[6:7]
	v_mov_b32_e32 v17, s15
	v_add_co_u32_e32 v16, vcc, s14, v0
	v_addc_co_u32_e32 v17, vcc, 0, v17, vcc
	v_cmp_gt_i64_e32 vcc, s[10:11], v[16:17]
	s_waitcnt vmcnt(0)
	ds_write_b32 v12, v15
	s_and_b64 s[16:17], s[2:3], vcc
	v_mov_b32_e32 v15, 0
	s_and_saveexec_b64 s[6:7], s[16:17]
	s_cbranch_execz .LBB976_2
; %bb.6:                                ;   in Loop: Header=BB976_3 Depth=1
	global_load_dword v15, v[6:7], off
	s_branch .LBB976_2
.LBB976_7:
	v_mov_b32_e32 v10, 0
.LBB976_8:
	v_cmp_le_i32_e32 vcc, v4, v2
	v_cmp_gt_i32_e64 s[0:1], s9, v2
	s_and_b64 s[0:1], vcc, s[0:1]
	s_and_saveexec_b64 s[2:3], s[0:1]
	s_cbranch_execz .LBB976_10
; %bb.9:
	s_load_dwordx2 s[6:7], s[4:5], 0x60
	s_load_dword s9, s[4:5], 0x10
	s_load_dwordx4 s[0:3], s[4:5], 0x50
	s_waitcnt lgkmcnt(0)
	s_mul_i32 s5, s7, s8
	s_mul_hi_u32 s7, s6, s8
	v_mul_lo_u32 v6, s3, v4
	v_mul_lo_u32 v5, s2, v5
	v_mad_u64_u32 v[0:1], s[2:3], s2, v4, 0
	s_mul_i32 s4, s6, s8
	s_add_i32 s5, s7, s5
	s_lshl_b64 s[4:5], s[4:5], 2
	v_add3_u32 v1, v1, v5, v6
	s_add_u32 s0, s0, s4
	v_lshlrev_b64 v[0:1], 2, v[0:1]
	s_addc_u32 s1, s1, s5
	v_mov_b32_e32 v5, s1
	v_add_co_u32_e32 v6, vcc, s0, v0
	v_addc_co_u32_e32 v5, vcc, v5, v1, vcc
	v_lshlrev_b64 v[0:1], 2, v[2:3]
	v_mul_f32_e32 v4, s9, v10
	v_add_co_u32_e32 v0, vcc, v6, v0
	v_addc_co_u32_e32 v1, vcc, v5, v1, vcc
	global_store_dword v[0:1], v4, off
.LBB976_10:
	s_endpgm
	.section	.rodata,"a",@progbits
	.p2align	6, 0x0
	.amdhsa_kernel _ZL32rocblas_syrkx_herkx_small_kernelIlfLi16ELb1ELb0ELc78ELc76EKffEviT_T0_PT6_S1_lS4_S1_lS2_PT7_S1_li
		.amdhsa_group_segment_fixed_size 2048
		.amdhsa_private_segment_fixed_size 0
		.amdhsa_kernarg_size 108
		.amdhsa_user_sgpr_count 6
		.amdhsa_user_sgpr_private_segment_buffer 1
		.amdhsa_user_sgpr_dispatch_ptr 0
		.amdhsa_user_sgpr_queue_ptr 0
		.amdhsa_user_sgpr_kernarg_segment_ptr 1
		.amdhsa_user_sgpr_dispatch_id 0
		.amdhsa_user_sgpr_flat_scratch_init 0
		.amdhsa_user_sgpr_private_segment_size 0
		.amdhsa_uses_dynamic_stack 0
		.amdhsa_system_sgpr_private_segment_wavefront_offset 0
		.amdhsa_system_sgpr_workgroup_id_x 1
		.amdhsa_system_sgpr_workgroup_id_y 1
		.amdhsa_system_sgpr_workgroup_id_z 1
		.amdhsa_system_sgpr_workgroup_info 0
		.amdhsa_system_vgpr_workitem_id 1
		.amdhsa_next_free_vgpr 27
		.amdhsa_next_free_sgpr 25
		.amdhsa_reserve_vcc 1
		.amdhsa_reserve_flat_scratch 0
		.amdhsa_float_round_mode_32 0
		.amdhsa_float_round_mode_16_64 0
		.amdhsa_float_denorm_mode_32 3
		.amdhsa_float_denorm_mode_16_64 3
		.amdhsa_dx10_clamp 1
		.amdhsa_ieee_mode 1
		.amdhsa_fp16_overflow 0
		.amdhsa_exception_fp_ieee_invalid_op 0
		.amdhsa_exception_fp_denorm_src 0
		.amdhsa_exception_fp_ieee_div_zero 0
		.amdhsa_exception_fp_ieee_overflow 0
		.amdhsa_exception_fp_ieee_underflow 0
		.amdhsa_exception_fp_ieee_inexact 0
		.amdhsa_exception_int_div_zero 0
	.end_amdhsa_kernel
	.section	.text._ZL32rocblas_syrkx_herkx_small_kernelIlfLi16ELb1ELb0ELc78ELc76EKffEviT_T0_PT6_S1_lS4_S1_lS2_PT7_S1_li,"axG",@progbits,_ZL32rocblas_syrkx_herkx_small_kernelIlfLi16ELb1ELb0ELc78ELc76EKffEviT_T0_PT6_S1_lS4_S1_lS2_PT7_S1_li,comdat
.Lfunc_end976:
	.size	_ZL32rocblas_syrkx_herkx_small_kernelIlfLi16ELb1ELb0ELc78ELc76EKffEviT_T0_PT6_S1_lS4_S1_lS2_PT7_S1_li, .Lfunc_end976-_ZL32rocblas_syrkx_herkx_small_kernelIlfLi16ELb1ELb0ELc78ELc76EKffEviT_T0_PT6_S1_lS4_S1_lS2_PT7_S1_li
                                        ; -- End function
	.set _ZL32rocblas_syrkx_herkx_small_kernelIlfLi16ELb1ELb0ELc78ELc76EKffEviT_T0_PT6_S1_lS4_S1_lS2_PT7_S1_li.num_vgpr, 27
	.set _ZL32rocblas_syrkx_herkx_small_kernelIlfLi16ELb1ELb0ELc78ELc76EKffEviT_T0_PT6_S1_lS4_S1_lS2_PT7_S1_li.num_agpr, 0
	.set _ZL32rocblas_syrkx_herkx_small_kernelIlfLi16ELb1ELb0ELc78ELc76EKffEviT_T0_PT6_S1_lS4_S1_lS2_PT7_S1_li.numbered_sgpr, 25
	.set _ZL32rocblas_syrkx_herkx_small_kernelIlfLi16ELb1ELb0ELc78ELc76EKffEviT_T0_PT6_S1_lS4_S1_lS2_PT7_S1_li.num_named_barrier, 0
	.set _ZL32rocblas_syrkx_herkx_small_kernelIlfLi16ELb1ELb0ELc78ELc76EKffEviT_T0_PT6_S1_lS4_S1_lS2_PT7_S1_li.private_seg_size, 0
	.set _ZL32rocblas_syrkx_herkx_small_kernelIlfLi16ELb1ELb0ELc78ELc76EKffEviT_T0_PT6_S1_lS4_S1_lS2_PT7_S1_li.uses_vcc, 1
	.set _ZL32rocblas_syrkx_herkx_small_kernelIlfLi16ELb1ELb0ELc78ELc76EKffEviT_T0_PT6_S1_lS4_S1_lS2_PT7_S1_li.uses_flat_scratch, 0
	.set _ZL32rocblas_syrkx_herkx_small_kernelIlfLi16ELb1ELb0ELc78ELc76EKffEviT_T0_PT6_S1_lS4_S1_lS2_PT7_S1_li.has_dyn_sized_stack, 0
	.set _ZL32rocblas_syrkx_herkx_small_kernelIlfLi16ELb1ELb0ELc78ELc76EKffEviT_T0_PT6_S1_lS4_S1_lS2_PT7_S1_li.has_recursion, 0
	.set _ZL32rocblas_syrkx_herkx_small_kernelIlfLi16ELb1ELb0ELc78ELc76EKffEviT_T0_PT6_S1_lS4_S1_lS2_PT7_S1_li.has_indirect_call, 0
	.section	.AMDGPU.csdata,"",@progbits
; Kernel info:
; codeLenInByte = 856
; TotalNumSgprs: 29
; NumVgprs: 27
; ScratchSize: 0
; MemoryBound: 0
; FloatMode: 240
; IeeeMode: 1
; LDSByteSize: 2048 bytes/workgroup (compile time only)
; SGPRBlocks: 3
; VGPRBlocks: 6
; NumSGPRsForWavesPerEU: 29
; NumVGPRsForWavesPerEU: 27
; Occupancy: 9
; WaveLimiterHint : 0
; COMPUTE_PGM_RSRC2:SCRATCH_EN: 0
; COMPUTE_PGM_RSRC2:USER_SGPR: 6
; COMPUTE_PGM_RSRC2:TRAP_HANDLER: 0
; COMPUTE_PGM_RSRC2:TGID_X_EN: 1
; COMPUTE_PGM_RSRC2:TGID_Y_EN: 1
; COMPUTE_PGM_RSRC2:TGID_Z_EN: 1
; COMPUTE_PGM_RSRC2:TIDIG_COMP_CNT: 1
	.section	.text._ZL32rocblas_syrkx_herkx_small_kernelIlfLi16ELb1ELb0ELc84ELc85EKffEviT_T0_PT6_S1_lS4_S1_lS2_PT7_S1_li,"axG",@progbits,_ZL32rocblas_syrkx_herkx_small_kernelIlfLi16ELb1ELb0ELc84ELc85EKffEviT_T0_PT6_S1_lS4_S1_lS2_PT7_S1_li,comdat
	.globl	_ZL32rocblas_syrkx_herkx_small_kernelIlfLi16ELb1ELb0ELc84ELc85EKffEviT_T0_PT6_S1_lS4_S1_lS2_PT7_S1_li ; -- Begin function _ZL32rocblas_syrkx_herkx_small_kernelIlfLi16ELb1ELb0ELc84ELc85EKffEviT_T0_PT6_S1_lS4_S1_lS2_PT7_S1_li
	.p2align	8
	.type	_ZL32rocblas_syrkx_herkx_small_kernelIlfLi16ELb1ELb0ELc84ELc85EKffEviT_T0_PT6_S1_lS4_S1_lS2_PT7_S1_li,@function
_ZL32rocblas_syrkx_herkx_small_kernelIlfLi16ELb1ELb0ELc84ELc85EKffEviT_T0_PT6_S1_lS4_S1_lS2_PT7_S1_li: ; @_ZL32rocblas_syrkx_herkx_small_kernelIlfLi16ELb1ELb0ELc84ELc85EKffEviT_T0_PT6_S1_lS4_S1_lS2_PT7_S1_li
; %bb.0:
	s_load_dwordx2 s[10:11], s[4:5], 0x8
	s_load_dword s9, s[4:5], 0x0
	v_lshl_add_u32 v2, s6, 4, v0
	v_lshl_add_u32 v8, s7, 4, v1
	v_ashrrev_i32_e32 v3, 31, v2
	s_waitcnt lgkmcnt(0)
	v_cmp_lt_i64_e64 s[0:1], s[10:11], 1
	v_ashrrev_i32_e32 v9, 31, v8
	s_and_b64 vcc, exec, s[0:1]
	v_cmp_gt_i32_e64 s[0:1], s9, v8
	s_cbranch_vccnz .LBB977_7
; %bb.1:
	s_load_dwordx8 s[12:19], s[4:5], 0x18
	s_load_dwordx4 s[20:23], s[4:5], 0x38
	v_lshlrev_b32_e32 v6, 6, v1
	v_lshlrev_b32_e32 v11, 2, v0
	v_add_u32_e32 v12, v11, v6
	v_add_u32_e32 v13, 0x400, v6
	s_waitcnt lgkmcnt(0)
	v_mul_lo_u32 v7, s21, v8
	v_mul_lo_u32 v15, s20, v9
	v_mad_u64_u32 v[4:5], s[6:7], s20, v8, 0
	s_mul_i32 s6, s23, s8
	s_mul_hi_u32 s7, s22, s8
	v_add3_u32 v5, v5, v15, v7
	v_lshlrev_b64 v[4:5], 2, v[4:5]
	s_add_i32 s7, s7, s6
	s_mul_i32 s6, s22, s8
	s_lshl_b64 s[6:7], s[6:7], 2
	v_mov_b32_e32 v6, s7
	v_add_co_u32_e32 v4, vcc, s6, v4
	v_addc_co_u32_e32 v5, vcc, v5, v6, vcc
	v_mul_lo_u32 v16, s15, v2
	v_mul_lo_u32 v17, s14, v3
	v_mad_u64_u32 v[6:7], s[6:7], s14, v2, 0
	v_add_co_u32_e32 v4, vcc, v4, v11
	v_addc_co_u32_e32 v5, vcc, 0, v5, vcc
	v_add3_u32 v7, v7, v17, v16
	s_mul_i32 s6, s17, s8
	s_mul_hi_u32 s7, s16, s8
	v_mov_b32_e32 v15, s19
	v_add_co_u32_e32 v4, vcc, s18, v4
	v_lshlrev_b64 v[6:7], 2, v[6:7]
	s_add_i32 s7, s7, s6
	s_mul_i32 s6, s16, s8
	v_addc_co_u32_e32 v5, vcc, v15, v5, vcc
	s_lshl_b64 s[6:7], s[6:7], 2
	v_mov_b32_e32 v15, s7
	v_add_co_u32_e32 v6, vcc, s6, v6
	v_addc_co_u32_e32 v7, vcc, v7, v15, vcc
	v_lshlrev_b32_e32 v15, 2, v1
	v_add_co_u32_e32 v6, vcc, v6, v15
	v_addc_co_u32_e32 v7, vcc, 0, v7, vcc
	v_mov_b32_e32 v15, s13
	v_add_co_u32_e32 v6, vcc, s12, v6
	v_mov_b32_e32 v10, 0
	v_cmp_gt_i32_e64 s[2:3], s9, v2
	v_add_u32_e32 v14, v13, v11
	v_addc_co_u32_e32 v7, vcc, v15, v7, vcc
	s_mov_b64 s[12:13], 0
	s_branch .LBB977_3
.LBB977_2:                              ;   in Loop: Header=BB977_3 Depth=1
	s_or_b64 exec, exec, s[6:7]
	s_waitcnt vmcnt(0)
	ds_write_b32 v14, v15
	s_waitcnt lgkmcnt(0)
	s_barrier
	ds_read2_b32 v[23:24], v11 offset1:16
	ds_read_b128 v[15:18], v13
	ds_read2_b32 v[25:26], v11 offset0:32 offset1:48
	ds_read_b128 v[19:22], v13 offset:16
	s_add_u32 s12, s12, 16
	v_add_co_u32_e32 v4, vcc, 64, v4
	s_waitcnt lgkmcnt(2)
	v_fmac_f32_e32 v10, v23, v15
	v_fmac_f32_e32 v10, v24, v16
	ds_read2_b32 v[23:24], v11 offset0:64 offset1:80
	s_waitcnt lgkmcnt(2)
	v_fmac_f32_e32 v10, v25, v17
	v_fmac_f32_e32 v10, v26, v18
	ds_read2_b32 v[25:26], v11 offset0:96 offset1:112
	ds_read_b128 v[15:18], v13 offset:32
	s_addc_u32 s13, s13, 0
	s_waitcnt lgkmcnt(2)
	v_fmac_f32_e32 v10, v23, v19
	v_fmac_f32_e32 v10, v24, v20
	ds_read2_b32 v[23:24], v11 offset0:128 offset1:144
	s_waitcnt lgkmcnt(2)
	v_fmac_f32_e32 v10, v25, v21
	v_fmac_f32_e32 v10, v26, v22
	ds_read2_b32 v[25:26], v11 offset0:160 offset1:176
	ds_read_b128 v[19:22], v13 offset:48
	v_addc_co_u32_e32 v5, vcc, 0, v5, vcc
	s_waitcnt lgkmcnt(2)
	v_fmac_f32_e32 v10, v23, v15
	v_fmac_f32_e32 v10, v24, v16
	ds_read2_b32 v[15:16], v11 offset0:192 offset1:208
	s_waitcnt lgkmcnt(2)
	v_fmac_f32_e32 v10, v25, v17
	v_fmac_f32_e32 v10, v26, v18
	ds_read2_b32 v[17:18], v11 offset0:224 offset1:240
	v_add_co_u32_e64 v6, s[6:7], 64, v6
	s_waitcnt lgkmcnt(1)
	v_fmac_f32_e32 v10, v15, v19
	v_fmac_f32_e32 v10, v16, v20
	v_mov_b32_e32 v16, s11
	v_mov_b32_e32 v15, s10
	v_cmp_ge_i64_e32 vcc, s[12:13], v[15:16]
	s_waitcnt lgkmcnt(0)
	v_fmac_f32_e32 v10, v17, v21
	v_fmac_f32_e32 v10, v18, v22
	v_addc_co_u32_e64 v7, s[6:7], 0, v7, s[6:7]
	s_barrier
	s_cbranch_vccnz .LBB977_8
.LBB977_3:                              ; =>This Inner Loop Header: Depth=1
	v_mov_b32_e32 v16, s13
	v_add_co_u32_e32 v15, vcc, s12, v1
	v_addc_co_u32_e32 v16, vcc, 0, v16, vcc
	v_cmp_gt_i64_e32 vcc, s[10:11], v[15:16]
	v_mov_b32_e32 v15, 0
	s_and_b64 s[14:15], s[2:3], vcc
	s_and_saveexec_b64 s[6:7], s[14:15]
	s_cbranch_execz .LBB977_5
; %bb.4:                                ;   in Loop: Header=BB977_3 Depth=1
	global_load_dword v15, v[6:7], off
.LBB977_5:                              ;   in Loop: Header=BB977_3 Depth=1
	s_or_b64 exec, exec, s[6:7]
	v_mov_b32_e32 v17, s13
	v_add_co_u32_e32 v16, vcc, s12, v0
	v_addc_co_u32_e32 v17, vcc, 0, v17, vcc
	v_cmp_gt_i64_e32 vcc, s[10:11], v[16:17]
	s_waitcnt vmcnt(0)
	ds_write_b32 v12, v15
	s_and_b64 s[14:15], s[0:1], vcc
	v_mov_b32_e32 v15, 0
	s_and_saveexec_b64 s[6:7], s[14:15]
	s_cbranch_execz .LBB977_2
; %bb.6:                                ;   in Loop: Header=BB977_3 Depth=1
	global_load_dword v15, v[4:5], off
	s_branch .LBB977_2
.LBB977_7:
	v_mov_b32_e32 v10, 0
.LBB977_8:
	v_cmp_le_i32_e32 vcc, v2, v8
	v_cmp_gt_i32_e64 s[0:1], s9, v8
	s_and_b64 s[0:1], vcc, s[0:1]
	s_and_saveexec_b64 s[2:3], s[0:1]
	s_cbranch_execz .LBB977_10
; %bb.9:
	s_load_dwordx2 s[6:7], s[4:5], 0x60
	s_load_dword s9, s[4:5], 0x10
	s_load_dwordx4 s[0:3], s[4:5], 0x50
	s_waitcnt lgkmcnt(0)
	s_mul_i32 s5, s7, s8
	s_mul_hi_u32 s7, s6, s8
	v_mul_lo_u32 v4, s3, v8
	v_mul_lo_u32 v5, s2, v9
	v_mad_u64_u32 v[0:1], s[2:3], s2, v8, 0
	s_mul_i32 s4, s6, s8
	s_add_i32 s5, s7, s5
	s_lshl_b64 s[4:5], s[4:5], 2
	v_add3_u32 v1, v1, v5, v4
	s_add_u32 s0, s0, s4
	v_lshlrev_b64 v[0:1], 2, v[0:1]
	s_addc_u32 s1, s1, s5
	v_mov_b32_e32 v4, s1
	v_add_co_u32_e32 v5, vcc, s0, v0
	v_addc_co_u32_e32 v4, vcc, v4, v1, vcc
	v_lshlrev_b64 v[0:1], 2, v[2:3]
	v_mul_f32_e32 v6, s9, v10
	v_add_co_u32_e32 v0, vcc, v5, v0
	v_addc_co_u32_e32 v1, vcc, v4, v1, vcc
	global_store_dword v[0:1], v6, off
.LBB977_10:
	s_endpgm
	.section	.rodata,"a",@progbits
	.p2align	6, 0x0
	.amdhsa_kernel _ZL32rocblas_syrkx_herkx_small_kernelIlfLi16ELb1ELb0ELc84ELc85EKffEviT_T0_PT6_S1_lS4_S1_lS2_PT7_S1_li
		.amdhsa_group_segment_fixed_size 2048
		.amdhsa_private_segment_fixed_size 0
		.amdhsa_kernarg_size 108
		.amdhsa_user_sgpr_count 6
		.amdhsa_user_sgpr_private_segment_buffer 1
		.amdhsa_user_sgpr_dispatch_ptr 0
		.amdhsa_user_sgpr_queue_ptr 0
		.amdhsa_user_sgpr_kernarg_segment_ptr 1
		.amdhsa_user_sgpr_dispatch_id 0
		.amdhsa_user_sgpr_flat_scratch_init 0
		.amdhsa_user_sgpr_private_segment_size 0
		.amdhsa_uses_dynamic_stack 0
		.amdhsa_system_sgpr_private_segment_wavefront_offset 0
		.amdhsa_system_sgpr_workgroup_id_x 1
		.amdhsa_system_sgpr_workgroup_id_y 1
		.amdhsa_system_sgpr_workgroup_id_z 1
		.amdhsa_system_sgpr_workgroup_info 0
		.amdhsa_system_vgpr_workitem_id 1
		.amdhsa_next_free_vgpr 27
		.amdhsa_next_free_sgpr 24
		.amdhsa_reserve_vcc 1
		.amdhsa_reserve_flat_scratch 0
		.amdhsa_float_round_mode_32 0
		.amdhsa_float_round_mode_16_64 0
		.amdhsa_float_denorm_mode_32 3
		.amdhsa_float_denorm_mode_16_64 3
		.amdhsa_dx10_clamp 1
		.amdhsa_ieee_mode 1
		.amdhsa_fp16_overflow 0
		.amdhsa_exception_fp_ieee_invalid_op 0
		.amdhsa_exception_fp_denorm_src 0
		.amdhsa_exception_fp_ieee_div_zero 0
		.amdhsa_exception_fp_ieee_overflow 0
		.amdhsa_exception_fp_ieee_underflow 0
		.amdhsa_exception_fp_ieee_inexact 0
		.amdhsa_exception_int_div_zero 0
	.end_amdhsa_kernel
	.section	.text._ZL32rocblas_syrkx_herkx_small_kernelIlfLi16ELb1ELb0ELc84ELc85EKffEviT_T0_PT6_S1_lS4_S1_lS2_PT7_S1_li,"axG",@progbits,_ZL32rocblas_syrkx_herkx_small_kernelIlfLi16ELb1ELb0ELc84ELc85EKffEviT_T0_PT6_S1_lS4_S1_lS2_PT7_S1_li,comdat
.Lfunc_end977:
	.size	_ZL32rocblas_syrkx_herkx_small_kernelIlfLi16ELb1ELb0ELc84ELc85EKffEviT_T0_PT6_S1_lS4_S1_lS2_PT7_S1_li, .Lfunc_end977-_ZL32rocblas_syrkx_herkx_small_kernelIlfLi16ELb1ELb0ELc84ELc85EKffEviT_T0_PT6_S1_lS4_S1_lS2_PT7_S1_li
                                        ; -- End function
	.set _ZL32rocblas_syrkx_herkx_small_kernelIlfLi16ELb1ELb0ELc84ELc85EKffEviT_T0_PT6_S1_lS4_S1_lS2_PT7_S1_li.num_vgpr, 27
	.set _ZL32rocblas_syrkx_herkx_small_kernelIlfLi16ELb1ELb0ELc84ELc85EKffEviT_T0_PT6_S1_lS4_S1_lS2_PT7_S1_li.num_agpr, 0
	.set _ZL32rocblas_syrkx_herkx_small_kernelIlfLi16ELb1ELb0ELc84ELc85EKffEviT_T0_PT6_S1_lS4_S1_lS2_PT7_S1_li.numbered_sgpr, 24
	.set _ZL32rocblas_syrkx_herkx_small_kernelIlfLi16ELb1ELb0ELc84ELc85EKffEviT_T0_PT6_S1_lS4_S1_lS2_PT7_S1_li.num_named_barrier, 0
	.set _ZL32rocblas_syrkx_herkx_small_kernelIlfLi16ELb1ELb0ELc84ELc85EKffEviT_T0_PT6_S1_lS4_S1_lS2_PT7_S1_li.private_seg_size, 0
	.set _ZL32rocblas_syrkx_herkx_small_kernelIlfLi16ELb1ELb0ELc84ELc85EKffEviT_T0_PT6_S1_lS4_S1_lS2_PT7_S1_li.uses_vcc, 1
	.set _ZL32rocblas_syrkx_herkx_small_kernelIlfLi16ELb1ELb0ELc84ELc85EKffEviT_T0_PT6_S1_lS4_S1_lS2_PT7_S1_li.uses_flat_scratch, 0
	.set _ZL32rocblas_syrkx_herkx_small_kernelIlfLi16ELb1ELb0ELc84ELc85EKffEviT_T0_PT6_S1_lS4_S1_lS2_PT7_S1_li.has_dyn_sized_stack, 0
	.set _ZL32rocblas_syrkx_herkx_small_kernelIlfLi16ELb1ELb0ELc84ELc85EKffEviT_T0_PT6_S1_lS4_S1_lS2_PT7_S1_li.has_recursion, 0
	.set _ZL32rocblas_syrkx_herkx_small_kernelIlfLi16ELb1ELb0ELc84ELc85EKffEviT_T0_PT6_S1_lS4_S1_lS2_PT7_S1_li.has_indirect_call, 0
	.section	.AMDGPU.csdata,"",@progbits
; Kernel info:
; codeLenInByte = 856
; TotalNumSgprs: 28
; NumVgprs: 27
; ScratchSize: 0
; MemoryBound: 0
; FloatMode: 240
; IeeeMode: 1
; LDSByteSize: 2048 bytes/workgroup (compile time only)
; SGPRBlocks: 3
; VGPRBlocks: 6
; NumSGPRsForWavesPerEU: 28
; NumVGPRsForWavesPerEU: 27
; Occupancy: 9
; WaveLimiterHint : 0
; COMPUTE_PGM_RSRC2:SCRATCH_EN: 0
; COMPUTE_PGM_RSRC2:USER_SGPR: 6
; COMPUTE_PGM_RSRC2:TRAP_HANDLER: 0
; COMPUTE_PGM_RSRC2:TGID_X_EN: 1
; COMPUTE_PGM_RSRC2:TGID_Y_EN: 1
; COMPUTE_PGM_RSRC2:TGID_Z_EN: 1
; COMPUTE_PGM_RSRC2:TIDIG_COMP_CNT: 1
	.section	.text._ZL32rocblas_syrkx_herkx_small_kernelIlfLi16ELb1ELb0ELc67ELc85EKffEviT_T0_PT6_S1_lS4_S1_lS2_PT7_S1_li,"axG",@progbits,_ZL32rocblas_syrkx_herkx_small_kernelIlfLi16ELb1ELb0ELc67ELc85EKffEviT_T0_PT6_S1_lS4_S1_lS2_PT7_S1_li,comdat
	.globl	_ZL32rocblas_syrkx_herkx_small_kernelIlfLi16ELb1ELb0ELc67ELc85EKffEviT_T0_PT6_S1_lS4_S1_lS2_PT7_S1_li ; -- Begin function _ZL32rocblas_syrkx_herkx_small_kernelIlfLi16ELb1ELb0ELc67ELc85EKffEviT_T0_PT6_S1_lS4_S1_lS2_PT7_S1_li
	.p2align	8
	.type	_ZL32rocblas_syrkx_herkx_small_kernelIlfLi16ELb1ELb0ELc67ELc85EKffEviT_T0_PT6_S1_lS4_S1_lS2_PT7_S1_li,@function
_ZL32rocblas_syrkx_herkx_small_kernelIlfLi16ELb1ELb0ELc67ELc85EKffEviT_T0_PT6_S1_lS4_S1_lS2_PT7_S1_li: ; @_ZL32rocblas_syrkx_herkx_small_kernelIlfLi16ELb1ELb0ELc67ELc85EKffEviT_T0_PT6_S1_lS4_S1_lS2_PT7_S1_li
; %bb.0:
	s_load_dwordx2 s[10:11], s[4:5], 0x8
	s_load_dword s9, s[4:5], 0x0
	v_lshl_add_u32 v2, s6, 4, v0
	v_lshl_add_u32 v8, s7, 4, v1
	v_ashrrev_i32_e32 v3, 31, v2
	s_waitcnt lgkmcnt(0)
	v_cmp_lt_i64_e64 s[0:1], s[10:11], 1
	v_ashrrev_i32_e32 v9, 31, v8
	s_and_b64 vcc, exec, s[0:1]
	v_cmp_gt_i32_e64 s[0:1], s9, v8
	s_cbranch_vccnz .LBB978_7
; %bb.1:
	s_load_dwordx8 s[12:19], s[4:5], 0x18
	s_load_dwordx4 s[20:23], s[4:5], 0x38
	v_lshlrev_b32_e32 v6, 6, v1
	v_lshlrev_b32_e32 v11, 2, v0
	v_add_u32_e32 v12, v11, v6
	v_add_u32_e32 v13, 0x400, v6
	s_waitcnt lgkmcnt(0)
	v_mul_lo_u32 v7, s21, v8
	v_mul_lo_u32 v15, s20, v9
	v_mad_u64_u32 v[4:5], s[6:7], s20, v8, 0
	s_mul_i32 s6, s23, s8
	s_mul_hi_u32 s7, s22, s8
	v_add3_u32 v5, v5, v15, v7
	v_lshlrev_b64 v[4:5], 2, v[4:5]
	s_add_i32 s7, s7, s6
	s_mul_i32 s6, s22, s8
	s_lshl_b64 s[6:7], s[6:7], 2
	v_mov_b32_e32 v6, s7
	v_add_co_u32_e32 v4, vcc, s6, v4
	v_addc_co_u32_e32 v5, vcc, v5, v6, vcc
	v_mul_lo_u32 v16, s15, v2
	v_mul_lo_u32 v17, s14, v3
	v_mad_u64_u32 v[6:7], s[6:7], s14, v2, 0
	v_add_co_u32_e32 v4, vcc, v4, v11
	v_addc_co_u32_e32 v5, vcc, 0, v5, vcc
	v_add3_u32 v7, v7, v17, v16
	s_mul_i32 s6, s17, s8
	s_mul_hi_u32 s7, s16, s8
	v_mov_b32_e32 v15, s19
	v_add_co_u32_e32 v4, vcc, s18, v4
	v_lshlrev_b64 v[6:7], 2, v[6:7]
	s_add_i32 s7, s7, s6
	s_mul_i32 s6, s16, s8
	v_addc_co_u32_e32 v5, vcc, v15, v5, vcc
	s_lshl_b64 s[6:7], s[6:7], 2
	v_mov_b32_e32 v15, s7
	v_add_co_u32_e32 v6, vcc, s6, v6
	v_addc_co_u32_e32 v7, vcc, v7, v15, vcc
	v_lshlrev_b32_e32 v15, 2, v1
	v_add_co_u32_e32 v6, vcc, v6, v15
	v_addc_co_u32_e32 v7, vcc, 0, v7, vcc
	v_mov_b32_e32 v15, s13
	v_add_co_u32_e32 v6, vcc, s12, v6
	v_mov_b32_e32 v10, 0
	v_cmp_gt_i32_e64 s[2:3], s9, v2
	v_add_u32_e32 v14, v13, v11
	v_addc_co_u32_e32 v7, vcc, v15, v7, vcc
	s_mov_b64 s[12:13], 0
	s_branch .LBB978_3
.LBB978_2:                              ;   in Loop: Header=BB978_3 Depth=1
	s_or_b64 exec, exec, s[6:7]
	s_waitcnt vmcnt(0)
	ds_write_b32 v14, v15
	s_waitcnt lgkmcnt(0)
	s_barrier
	ds_read2_b32 v[23:24], v11 offset1:16
	ds_read_b128 v[15:18], v13
	ds_read2_b32 v[25:26], v11 offset0:32 offset1:48
	ds_read_b128 v[19:22], v13 offset:16
	s_add_u32 s12, s12, 16
	v_add_co_u32_e32 v4, vcc, 64, v4
	s_waitcnt lgkmcnt(2)
	v_fmac_f32_e32 v10, v23, v15
	v_fmac_f32_e32 v10, v24, v16
	ds_read2_b32 v[23:24], v11 offset0:64 offset1:80
	s_waitcnt lgkmcnt(2)
	v_fmac_f32_e32 v10, v25, v17
	v_fmac_f32_e32 v10, v26, v18
	ds_read2_b32 v[25:26], v11 offset0:96 offset1:112
	ds_read_b128 v[15:18], v13 offset:32
	s_addc_u32 s13, s13, 0
	s_waitcnt lgkmcnt(2)
	v_fmac_f32_e32 v10, v23, v19
	v_fmac_f32_e32 v10, v24, v20
	ds_read2_b32 v[23:24], v11 offset0:128 offset1:144
	s_waitcnt lgkmcnt(2)
	v_fmac_f32_e32 v10, v25, v21
	v_fmac_f32_e32 v10, v26, v22
	ds_read2_b32 v[25:26], v11 offset0:160 offset1:176
	ds_read_b128 v[19:22], v13 offset:48
	v_addc_co_u32_e32 v5, vcc, 0, v5, vcc
	s_waitcnt lgkmcnt(2)
	v_fmac_f32_e32 v10, v23, v15
	v_fmac_f32_e32 v10, v24, v16
	ds_read2_b32 v[15:16], v11 offset0:192 offset1:208
	s_waitcnt lgkmcnt(2)
	v_fmac_f32_e32 v10, v25, v17
	v_fmac_f32_e32 v10, v26, v18
	ds_read2_b32 v[17:18], v11 offset0:224 offset1:240
	v_add_co_u32_e64 v6, s[6:7], 64, v6
	s_waitcnt lgkmcnt(1)
	v_fmac_f32_e32 v10, v15, v19
	v_fmac_f32_e32 v10, v16, v20
	v_mov_b32_e32 v16, s11
	v_mov_b32_e32 v15, s10
	v_cmp_ge_i64_e32 vcc, s[12:13], v[15:16]
	s_waitcnt lgkmcnt(0)
	v_fmac_f32_e32 v10, v17, v21
	v_fmac_f32_e32 v10, v18, v22
	v_addc_co_u32_e64 v7, s[6:7], 0, v7, s[6:7]
	s_barrier
	s_cbranch_vccnz .LBB978_8
.LBB978_3:                              ; =>This Inner Loop Header: Depth=1
	v_mov_b32_e32 v16, s13
	v_add_co_u32_e32 v15, vcc, s12, v1
	v_addc_co_u32_e32 v16, vcc, 0, v16, vcc
	v_cmp_gt_i64_e32 vcc, s[10:11], v[15:16]
	v_mov_b32_e32 v15, 0
	s_and_b64 s[14:15], s[2:3], vcc
	s_and_saveexec_b64 s[6:7], s[14:15]
	s_cbranch_execz .LBB978_5
; %bb.4:                                ;   in Loop: Header=BB978_3 Depth=1
	global_load_dword v15, v[6:7], off
.LBB978_5:                              ;   in Loop: Header=BB978_3 Depth=1
	s_or_b64 exec, exec, s[6:7]
	v_mov_b32_e32 v17, s13
	v_add_co_u32_e32 v16, vcc, s12, v0
	v_addc_co_u32_e32 v17, vcc, 0, v17, vcc
	v_cmp_gt_i64_e32 vcc, s[10:11], v[16:17]
	s_waitcnt vmcnt(0)
	ds_write_b32 v12, v15
	s_and_b64 s[14:15], s[0:1], vcc
	v_mov_b32_e32 v15, 0
	s_and_saveexec_b64 s[6:7], s[14:15]
	s_cbranch_execz .LBB978_2
; %bb.6:                                ;   in Loop: Header=BB978_3 Depth=1
	global_load_dword v15, v[4:5], off
	s_branch .LBB978_2
.LBB978_7:
	v_mov_b32_e32 v10, 0
.LBB978_8:
	v_cmp_le_i32_e32 vcc, v2, v8
	v_cmp_gt_i32_e64 s[0:1], s9, v8
	s_and_b64 s[0:1], vcc, s[0:1]
	s_and_saveexec_b64 s[2:3], s[0:1]
	s_cbranch_execz .LBB978_10
; %bb.9:
	s_load_dwordx2 s[6:7], s[4:5], 0x60
	s_load_dword s9, s[4:5], 0x10
	s_load_dwordx4 s[0:3], s[4:5], 0x50
	s_waitcnt lgkmcnt(0)
	s_mul_i32 s5, s7, s8
	s_mul_hi_u32 s7, s6, s8
	v_mul_lo_u32 v4, s3, v8
	v_mul_lo_u32 v5, s2, v9
	v_mad_u64_u32 v[0:1], s[2:3], s2, v8, 0
	s_mul_i32 s4, s6, s8
	s_add_i32 s5, s7, s5
	s_lshl_b64 s[4:5], s[4:5], 2
	v_add3_u32 v1, v1, v5, v4
	s_add_u32 s0, s0, s4
	v_lshlrev_b64 v[0:1], 2, v[0:1]
	s_addc_u32 s1, s1, s5
	v_mov_b32_e32 v4, s1
	v_add_co_u32_e32 v5, vcc, s0, v0
	v_addc_co_u32_e32 v4, vcc, v4, v1, vcc
	v_lshlrev_b64 v[0:1], 2, v[2:3]
	v_mul_f32_e32 v6, s9, v10
	v_add_co_u32_e32 v0, vcc, v5, v0
	v_addc_co_u32_e32 v1, vcc, v4, v1, vcc
	global_store_dword v[0:1], v6, off
.LBB978_10:
	s_endpgm
	.section	.rodata,"a",@progbits
	.p2align	6, 0x0
	.amdhsa_kernel _ZL32rocblas_syrkx_herkx_small_kernelIlfLi16ELb1ELb0ELc67ELc85EKffEviT_T0_PT6_S1_lS4_S1_lS2_PT7_S1_li
		.amdhsa_group_segment_fixed_size 2048
		.amdhsa_private_segment_fixed_size 0
		.amdhsa_kernarg_size 108
		.amdhsa_user_sgpr_count 6
		.amdhsa_user_sgpr_private_segment_buffer 1
		.amdhsa_user_sgpr_dispatch_ptr 0
		.amdhsa_user_sgpr_queue_ptr 0
		.amdhsa_user_sgpr_kernarg_segment_ptr 1
		.amdhsa_user_sgpr_dispatch_id 0
		.amdhsa_user_sgpr_flat_scratch_init 0
		.amdhsa_user_sgpr_private_segment_size 0
		.amdhsa_uses_dynamic_stack 0
		.amdhsa_system_sgpr_private_segment_wavefront_offset 0
		.amdhsa_system_sgpr_workgroup_id_x 1
		.amdhsa_system_sgpr_workgroup_id_y 1
		.amdhsa_system_sgpr_workgroup_id_z 1
		.amdhsa_system_sgpr_workgroup_info 0
		.amdhsa_system_vgpr_workitem_id 1
		.amdhsa_next_free_vgpr 27
		.amdhsa_next_free_sgpr 24
		.amdhsa_reserve_vcc 1
		.amdhsa_reserve_flat_scratch 0
		.amdhsa_float_round_mode_32 0
		.amdhsa_float_round_mode_16_64 0
		.amdhsa_float_denorm_mode_32 3
		.amdhsa_float_denorm_mode_16_64 3
		.amdhsa_dx10_clamp 1
		.amdhsa_ieee_mode 1
		.amdhsa_fp16_overflow 0
		.amdhsa_exception_fp_ieee_invalid_op 0
		.amdhsa_exception_fp_denorm_src 0
		.amdhsa_exception_fp_ieee_div_zero 0
		.amdhsa_exception_fp_ieee_overflow 0
		.amdhsa_exception_fp_ieee_underflow 0
		.amdhsa_exception_fp_ieee_inexact 0
		.amdhsa_exception_int_div_zero 0
	.end_amdhsa_kernel
	.section	.text._ZL32rocblas_syrkx_herkx_small_kernelIlfLi16ELb1ELb0ELc67ELc85EKffEviT_T0_PT6_S1_lS4_S1_lS2_PT7_S1_li,"axG",@progbits,_ZL32rocblas_syrkx_herkx_small_kernelIlfLi16ELb1ELb0ELc67ELc85EKffEviT_T0_PT6_S1_lS4_S1_lS2_PT7_S1_li,comdat
.Lfunc_end978:
	.size	_ZL32rocblas_syrkx_herkx_small_kernelIlfLi16ELb1ELb0ELc67ELc85EKffEviT_T0_PT6_S1_lS4_S1_lS2_PT7_S1_li, .Lfunc_end978-_ZL32rocblas_syrkx_herkx_small_kernelIlfLi16ELb1ELb0ELc67ELc85EKffEviT_T0_PT6_S1_lS4_S1_lS2_PT7_S1_li
                                        ; -- End function
	.set _ZL32rocblas_syrkx_herkx_small_kernelIlfLi16ELb1ELb0ELc67ELc85EKffEviT_T0_PT6_S1_lS4_S1_lS2_PT7_S1_li.num_vgpr, 27
	.set _ZL32rocblas_syrkx_herkx_small_kernelIlfLi16ELb1ELb0ELc67ELc85EKffEviT_T0_PT6_S1_lS4_S1_lS2_PT7_S1_li.num_agpr, 0
	.set _ZL32rocblas_syrkx_herkx_small_kernelIlfLi16ELb1ELb0ELc67ELc85EKffEviT_T0_PT6_S1_lS4_S1_lS2_PT7_S1_li.numbered_sgpr, 24
	.set _ZL32rocblas_syrkx_herkx_small_kernelIlfLi16ELb1ELb0ELc67ELc85EKffEviT_T0_PT6_S1_lS4_S1_lS2_PT7_S1_li.num_named_barrier, 0
	.set _ZL32rocblas_syrkx_herkx_small_kernelIlfLi16ELb1ELb0ELc67ELc85EKffEviT_T0_PT6_S1_lS4_S1_lS2_PT7_S1_li.private_seg_size, 0
	.set _ZL32rocblas_syrkx_herkx_small_kernelIlfLi16ELb1ELb0ELc67ELc85EKffEviT_T0_PT6_S1_lS4_S1_lS2_PT7_S1_li.uses_vcc, 1
	.set _ZL32rocblas_syrkx_herkx_small_kernelIlfLi16ELb1ELb0ELc67ELc85EKffEviT_T0_PT6_S1_lS4_S1_lS2_PT7_S1_li.uses_flat_scratch, 0
	.set _ZL32rocblas_syrkx_herkx_small_kernelIlfLi16ELb1ELb0ELc67ELc85EKffEviT_T0_PT6_S1_lS4_S1_lS2_PT7_S1_li.has_dyn_sized_stack, 0
	.set _ZL32rocblas_syrkx_herkx_small_kernelIlfLi16ELb1ELb0ELc67ELc85EKffEviT_T0_PT6_S1_lS4_S1_lS2_PT7_S1_li.has_recursion, 0
	.set _ZL32rocblas_syrkx_herkx_small_kernelIlfLi16ELb1ELb0ELc67ELc85EKffEviT_T0_PT6_S1_lS4_S1_lS2_PT7_S1_li.has_indirect_call, 0
	.section	.AMDGPU.csdata,"",@progbits
; Kernel info:
; codeLenInByte = 856
; TotalNumSgprs: 28
; NumVgprs: 27
; ScratchSize: 0
; MemoryBound: 0
; FloatMode: 240
; IeeeMode: 1
; LDSByteSize: 2048 bytes/workgroup (compile time only)
; SGPRBlocks: 3
; VGPRBlocks: 6
; NumSGPRsForWavesPerEU: 28
; NumVGPRsForWavesPerEU: 27
; Occupancy: 9
; WaveLimiterHint : 0
; COMPUTE_PGM_RSRC2:SCRATCH_EN: 0
; COMPUTE_PGM_RSRC2:USER_SGPR: 6
; COMPUTE_PGM_RSRC2:TRAP_HANDLER: 0
; COMPUTE_PGM_RSRC2:TGID_X_EN: 1
; COMPUTE_PGM_RSRC2:TGID_Y_EN: 1
; COMPUTE_PGM_RSRC2:TGID_Z_EN: 1
; COMPUTE_PGM_RSRC2:TIDIG_COMP_CNT: 1
	.section	.text._ZL32rocblas_syrkx_herkx_small_kernelIlfLi16ELb1ELb0ELc78ELc85EKffEviT_T0_PT6_S1_lS4_S1_lS2_PT7_S1_li,"axG",@progbits,_ZL32rocblas_syrkx_herkx_small_kernelIlfLi16ELb1ELb0ELc78ELc85EKffEviT_T0_PT6_S1_lS4_S1_lS2_PT7_S1_li,comdat
	.globl	_ZL32rocblas_syrkx_herkx_small_kernelIlfLi16ELb1ELb0ELc78ELc85EKffEviT_T0_PT6_S1_lS4_S1_lS2_PT7_S1_li ; -- Begin function _ZL32rocblas_syrkx_herkx_small_kernelIlfLi16ELb1ELb0ELc78ELc85EKffEviT_T0_PT6_S1_lS4_S1_lS2_PT7_S1_li
	.p2align	8
	.type	_ZL32rocblas_syrkx_herkx_small_kernelIlfLi16ELb1ELb0ELc78ELc85EKffEviT_T0_PT6_S1_lS4_S1_lS2_PT7_S1_li,@function
_ZL32rocblas_syrkx_herkx_small_kernelIlfLi16ELb1ELb0ELc78ELc85EKffEviT_T0_PT6_S1_lS4_S1_lS2_PT7_S1_li: ; @_ZL32rocblas_syrkx_herkx_small_kernelIlfLi16ELb1ELb0ELc78ELc85EKffEviT_T0_PT6_S1_lS4_S1_lS2_PT7_S1_li
; %bb.0:
	s_load_dwordx2 s[10:11], s[4:5], 0x8
	s_load_dword s9, s[4:5], 0x0
	v_lshl_add_u32 v2, s6, 4, v0
	v_lshl_add_u32 v4, s7, 4, v1
	v_ashrrev_i32_e32 v3, 31, v2
	s_waitcnt lgkmcnt(0)
	v_cmp_lt_i64_e64 s[0:1], s[10:11], 1
	v_ashrrev_i32_e32 v5, 31, v4
	s_and_b64 vcc, exec, s[0:1]
	v_cmp_gt_i32_e64 s[0:1], s9, v4
	s_cbranch_vccnz .LBB979_7
; %bb.1:
	s_load_dwordx8 s[12:19], s[4:5], 0x18
	s_load_dwordx4 s[20:23], s[4:5], 0x38
	v_lshlrev_b32_e32 v6, 6, v1
	v_lshlrev_b32_e32 v11, 2, v0
	v_add_u32_e32 v12, v11, v6
	v_add_u32_e32 v13, 0x400, v6
	s_waitcnt lgkmcnt(0)
	v_mad_u64_u32 v[6:7], s[6:7], s20, v0, 0
	s_mul_i32 s23, s23, s8
	s_mul_hi_u32 s24, s22, s8
	v_mad_u64_u32 v[7:8], s[6:7], s21, v0, v[7:8]
	s_add_i32 s7, s24, s23
	s_mul_i32 s6, s22, s8
	v_lshlrev_b64 v[6:7], 2, v[6:7]
	s_lshl_b64 s[6:7], s[6:7], 2
	v_mov_b32_e32 v8, s7
	v_add_co_u32_e32 v9, vcc, s6, v6
	v_addc_co_u32_e32 v8, vcc, v8, v7, vcc
	v_lshlrev_b64 v[6:7], 2, v[4:5]
	v_mov_b32_e32 v10, 0
	v_add_co_u32_e32 v6, vcc, v9, v6
	v_addc_co_u32_e32 v7, vcc, v8, v7, vcc
	v_mov_b32_e32 v8, s19
	v_add_co_u32_e32 v6, vcc, s18, v6
	v_addc_co_u32_e32 v7, vcc, v8, v7, vcc
	v_mad_u64_u32 v[8:9], s[6:7], s14, v1, 0
	s_lshl_b64 s[18:19], s[20:21], 6
	s_mul_i32 s17, s17, s8
	v_mad_u64_u32 v[15:16], s[6:7], s15, v1, v[9:10]
	s_mul_hi_u32 s20, s16, s8
	s_add_i32 s7, s20, s17
	v_mov_b32_e32 v9, v15
	s_mul_i32 s6, s16, s8
	v_lshlrev_b64 v[8:9], 2, v[8:9]
	s_lshl_b64 s[6:7], s[6:7], 2
	v_mov_b32_e32 v15, s7
	v_add_co_u32_e32 v16, vcc, s6, v8
	v_addc_co_u32_e32 v15, vcc, v15, v9, vcc
	v_lshlrev_b64 v[8:9], 2, v[2:3]
	v_cmp_gt_i32_e64 s[2:3], s9, v2
	v_add_co_u32_e32 v8, vcc, v16, v8
	v_addc_co_u32_e32 v9, vcc, v15, v9, vcc
	v_mov_b32_e32 v15, s13
	v_add_co_u32_e32 v8, vcc, s12, v8
	v_add_u32_e32 v14, v13, v11
	v_addc_co_u32_e32 v9, vcc, v15, v9, vcc
	s_lshl_b64 s[12:13], s[14:15], 6
	s_mov_b64 s[14:15], 0
	s_branch .LBB979_3
.LBB979_2:                              ;   in Loop: Header=BB979_3 Depth=1
	s_or_b64 exec, exec, s[6:7]
	s_waitcnt vmcnt(0)
	ds_write_b32 v14, v15
	s_waitcnt lgkmcnt(0)
	s_barrier
	ds_read2_b32 v[23:24], v11 offset1:16
	ds_read_b128 v[15:18], v13
	ds_read2_b32 v[25:26], v11 offset0:32 offset1:48
	ds_read_b128 v[19:22], v13 offset:16
	v_add_co_u32_e32 v6, vcc, s18, v6
	s_waitcnt lgkmcnt(2)
	v_fmac_f32_e32 v10, v23, v15
	v_fmac_f32_e32 v10, v24, v16
	ds_read2_b32 v[23:24], v11 offset0:64 offset1:80
	s_waitcnt lgkmcnt(2)
	v_fmac_f32_e32 v10, v25, v17
	v_fmac_f32_e32 v10, v26, v18
	ds_read2_b32 v[25:26], v11 offset0:96 offset1:112
	ds_read_b128 v[15:18], v13 offset:32
	s_add_u32 s14, s14, 16
	s_waitcnt lgkmcnt(2)
	v_fmac_f32_e32 v10, v23, v19
	v_fmac_f32_e32 v10, v24, v20
	ds_read2_b32 v[23:24], v11 offset0:128 offset1:144
	s_waitcnt lgkmcnt(2)
	v_fmac_f32_e32 v10, v25, v21
	v_fmac_f32_e32 v10, v26, v22
	ds_read2_b32 v[25:26], v11 offset0:160 offset1:176
	ds_read_b128 v[19:22], v13 offset:48
	s_addc_u32 s15, s15, 0
	s_waitcnt lgkmcnt(2)
	v_fmac_f32_e32 v10, v23, v15
	v_fmac_f32_e32 v10, v24, v16
	ds_read2_b32 v[15:16], v11 offset0:192 offset1:208
	s_waitcnt lgkmcnt(2)
	v_fmac_f32_e32 v10, v25, v17
	v_fmac_f32_e32 v10, v26, v18
	ds_read2_b32 v[17:18], v11 offset0:224 offset1:240
	v_add_co_u32_e64 v8, s[6:7], s12, v8
	s_waitcnt lgkmcnt(1)
	v_fmac_f32_e32 v10, v15, v19
	v_mov_b32_e32 v15, s19
	v_fmac_f32_e32 v10, v16, v20
	v_addc_co_u32_e32 v7, vcc, v7, v15, vcc
	v_mov_b32_e32 v16, s11
	v_mov_b32_e32 v15, s10
	v_cmp_ge_i64_e32 vcc, s[14:15], v[15:16]
	s_waitcnt lgkmcnt(0)
	v_fmac_f32_e32 v10, v17, v21
	v_mov_b32_e32 v17, s13
	v_fmac_f32_e32 v10, v18, v22
	v_addc_co_u32_e64 v9, s[6:7], v9, v17, s[6:7]
	s_barrier
	s_cbranch_vccnz .LBB979_8
.LBB979_3:                              ; =>This Inner Loop Header: Depth=1
	v_mov_b32_e32 v16, s15
	v_add_co_u32_e32 v15, vcc, s14, v1
	v_addc_co_u32_e32 v16, vcc, 0, v16, vcc
	v_cmp_gt_i64_e32 vcc, s[10:11], v[15:16]
	v_mov_b32_e32 v15, 0
	s_and_b64 s[16:17], s[2:3], vcc
	s_and_saveexec_b64 s[6:7], s[16:17]
	s_cbranch_execz .LBB979_5
; %bb.4:                                ;   in Loop: Header=BB979_3 Depth=1
	global_load_dword v15, v[8:9], off
.LBB979_5:                              ;   in Loop: Header=BB979_3 Depth=1
	s_or_b64 exec, exec, s[6:7]
	v_mov_b32_e32 v17, s15
	v_add_co_u32_e32 v16, vcc, s14, v0
	v_addc_co_u32_e32 v17, vcc, 0, v17, vcc
	v_cmp_gt_i64_e32 vcc, s[10:11], v[16:17]
	s_waitcnt vmcnt(0)
	ds_write_b32 v12, v15
	s_and_b64 s[16:17], s[0:1], vcc
	v_mov_b32_e32 v15, 0
	s_and_saveexec_b64 s[6:7], s[16:17]
	s_cbranch_execz .LBB979_2
; %bb.6:                                ;   in Loop: Header=BB979_3 Depth=1
	global_load_dword v15, v[6:7], off
	s_branch .LBB979_2
.LBB979_7:
	v_mov_b32_e32 v10, 0
.LBB979_8:
	v_cmp_le_i32_e32 vcc, v2, v4
	v_cmp_gt_i32_e64 s[0:1], s9, v4
	s_and_b64 s[0:1], vcc, s[0:1]
	s_and_saveexec_b64 s[2:3], s[0:1]
	s_cbranch_execz .LBB979_10
; %bb.9:
	s_load_dwordx2 s[6:7], s[4:5], 0x60
	s_load_dword s9, s[4:5], 0x10
	s_load_dwordx4 s[0:3], s[4:5], 0x50
	s_waitcnt lgkmcnt(0)
	s_mul_i32 s5, s7, s8
	s_mul_hi_u32 s7, s6, s8
	v_mul_lo_u32 v6, s3, v4
	v_mul_lo_u32 v5, s2, v5
	v_mad_u64_u32 v[0:1], s[2:3], s2, v4, 0
	s_mul_i32 s4, s6, s8
	s_add_i32 s5, s7, s5
	s_lshl_b64 s[4:5], s[4:5], 2
	v_add3_u32 v1, v1, v5, v6
	s_add_u32 s0, s0, s4
	v_lshlrev_b64 v[0:1], 2, v[0:1]
	s_addc_u32 s1, s1, s5
	v_mov_b32_e32 v5, s1
	v_add_co_u32_e32 v6, vcc, s0, v0
	v_addc_co_u32_e32 v5, vcc, v5, v1, vcc
	v_lshlrev_b64 v[0:1], 2, v[2:3]
	v_mul_f32_e32 v4, s9, v10
	v_add_co_u32_e32 v0, vcc, v6, v0
	v_addc_co_u32_e32 v1, vcc, v5, v1, vcc
	global_store_dword v[0:1], v4, off
.LBB979_10:
	s_endpgm
	.section	.rodata,"a",@progbits
	.p2align	6, 0x0
	.amdhsa_kernel _ZL32rocblas_syrkx_herkx_small_kernelIlfLi16ELb1ELb0ELc78ELc85EKffEviT_T0_PT6_S1_lS4_S1_lS2_PT7_S1_li
		.amdhsa_group_segment_fixed_size 2048
		.amdhsa_private_segment_fixed_size 0
		.amdhsa_kernarg_size 108
		.amdhsa_user_sgpr_count 6
		.amdhsa_user_sgpr_private_segment_buffer 1
		.amdhsa_user_sgpr_dispatch_ptr 0
		.amdhsa_user_sgpr_queue_ptr 0
		.amdhsa_user_sgpr_kernarg_segment_ptr 1
		.amdhsa_user_sgpr_dispatch_id 0
		.amdhsa_user_sgpr_flat_scratch_init 0
		.amdhsa_user_sgpr_private_segment_size 0
		.amdhsa_uses_dynamic_stack 0
		.amdhsa_system_sgpr_private_segment_wavefront_offset 0
		.amdhsa_system_sgpr_workgroup_id_x 1
		.amdhsa_system_sgpr_workgroup_id_y 1
		.amdhsa_system_sgpr_workgroup_id_z 1
		.amdhsa_system_sgpr_workgroup_info 0
		.amdhsa_system_vgpr_workitem_id 1
		.amdhsa_next_free_vgpr 27
		.amdhsa_next_free_sgpr 25
		.amdhsa_reserve_vcc 1
		.amdhsa_reserve_flat_scratch 0
		.amdhsa_float_round_mode_32 0
		.amdhsa_float_round_mode_16_64 0
		.amdhsa_float_denorm_mode_32 3
		.amdhsa_float_denorm_mode_16_64 3
		.amdhsa_dx10_clamp 1
		.amdhsa_ieee_mode 1
		.amdhsa_fp16_overflow 0
		.amdhsa_exception_fp_ieee_invalid_op 0
		.amdhsa_exception_fp_denorm_src 0
		.amdhsa_exception_fp_ieee_div_zero 0
		.amdhsa_exception_fp_ieee_overflow 0
		.amdhsa_exception_fp_ieee_underflow 0
		.amdhsa_exception_fp_ieee_inexact 0
		.amdhsa_exception_int_div_zero 0
	.end_amdhsa_kernel
	.section	.text._ZL32rocblas_syrkx_herkx_small_kernelIlfLi16ELb1ELb0ELc78ELc85EKffEviT_T0_PT6_S1_lS4_S1_lS2_PT7_S1_li,"axG",@progbits,_ZL32rocblas_syrkx_herkx_small_kernelIlfLi16ELb1ELb0ELc78ELc85EKffEviT_T0_PT6_S1_lS4_S1_lS2_PT7_S1_li,comdat
.Lfunc_end979:
	.size	_ZL32rocblas_syrkx_herkx_small_kernelIlfLi16ELb1ELb0ELc78ELc85EKffEviT_T0_PT6_S1_lS4_S1_lS2_PT7_S1_li, .Lfunc_end979-_ZL32rocblas_syrkx_herkx_small_kernelIlfLi16ELb1ELb0ELc78ELc85EKffEviT_T0_PT6_S1_lS4_S1_lS2_PT7_S1_li
                                        ; -- End function
	.set _ZL32rocblas_syrkx_herkx_small_kernelIlfLi16ELb1ELb0ELc78ELc85EKffEviT_T0_PT6_S1_lS4_S1_lS2_PT7_S1_li.num_vgpr, 27
	.set _ZL32rocblas_syrkx_herkx_small_kernelIlfLi16ELb1ELb0ELc78ELc85EKffEviT_T0_PT6_S1_lS4_S1_lS2_PT7_S1_li.num_agpr, 0
	.set _ZL32rocblas_syrkx_herkx_small_kernelIlfLi16ELb1ELb0ELc78ELc85EKffEviT_T0_PT6_S1_lS4_S1_lS2_PT7_S1_li.numbered_sgpr, 25
	.set _ZL32rocblas_syrkx_herkx_small_kernelIlfLi16ELb1ELb0ELc78ELc85EKffEviT_T0_PT6_S1_lS4_S1_lS2_PT7_S1_li.num_named_barrier, 0
	.set _ZL32rocblas_syrkx_herkx_small_kernelIlfLi16ELb1ELb0ELc78ELc85EKffEviT_T0_PT6_S1_lS4_S1_lS2_PT7_S1_li.private_seg_size, 0
	.set _ZL32rocblas_syrkx_herkx_small_kernelIlfLi16ELb1ELb0ELc78ELc85EKffEviT_T0_PT6_S1_lS4_S1_lS2_PT7_S1_li.uses_vcc, 1
	.set _ZL32rocblas_syrkx_herkx_small_kernelIlfLi16ELb1ELb0ELc78ELc85EKffEviT_T0_PT6_S1_lS4_S1_lS2_PT7_S1_li.uses_flat_scratch, 0
	.set _ZL32rocblas_syrkx_herkx_small_kernelIlfLi16ELb1ELb0ELc78ELc85EKffEviT_T0_PT6_S1_lS4_S1_lS2_PT7_S1_li.has_dyn_sized_stack, 0
	.set _ZL32rocblas_syrkx_herkx_small_kernelIlfLi16ELb1ELb0ELc78ELc85EKffEviT_T0_PT6_S1_lS4_S1_lS2_PT7_S1_li.has_recursion, 0
	.set _ZL32rocblas_syrkx_herkx_small_kernelIlfLi16ELb1ELb0ELc78ELc85EKffEviT_T0_PT6_S1_lS4_S1_lS2_PT7_S1_li.has_indirect_call, 0
	.section	.AMDGPU.csdata,"",@progbits
; Kernel info:
; codeLenInByte = 856
; TotalNumSgprs: 29
; NumVgprs: 27
; ScratchSize: 0
; MemoryBound: 0
; FloatMode: 240
; IeeeMode: 1
; LDSByteSize: 2048 bytes/workgroup (compile time only)
; SGPRBlocks: 3
; VGPRBlocks: 6
; NumSGPRsForWavesPerEU: 29
; NumVGPRsForWavesPerEU: 27
; Occupancy: 9
; WaveLimiterHint : 0
; COMPUTE_PGM_RSRC2:SCRATCH_EN: 0
; COMPUTE_PGM_RSRC2:USER_SGPR: 6
; COMPUTE_PGM_RSRC2:TRAP_HANDLER: 0
; COMPUTE_PGM_RSRC2:TGID_X_EN: 1
; COMPUTE_PGM_RSRC2:TGID_Y_EN: 1
; COMPUTE_PGM_RSRC2:TGID_Z_EN: 1
; COMPUTE_PGM_RSRC2:TIDIG_COMP_CNT: 1
	.section	.text._ZL32rocblas_syrkx_herkx_small_kernelIlfLi16ELb0ELb0ELc84ELc76EKffEviT_T0_PT6_S1_lS4_S1_lS2_PT7_S1_li,"axG",@progbits,_ZL32rocblas_syrkx_herkx_small_kernelIlfLi16ELb0ELb0ELc84ELc76EKffEviT_T0_PT6_S1_lS4_S1_lS2_PT7_S1_li,comdat
	.globl	_ZL32rocblas_syrkx_herkx_small_kernelIlfLi16ELb0ELb0ELc84ELc76EKffEviT_T0_PT6_S1_lS4_S1_lS2_PT7_S1_li ; -- Begin function _ZL32rocblas_syrkx_herkx_small_kernelIlfLi16ELb0ELb0ELc84ELc76EKffEviT_T0_PT6_S1_lS4_S1_lS2_PT7_S1_li
	.p2align	8
	.type	_ZL32rocblas_syrkx_herkx_small_kernelIlfLi16ELb0ELb0ELc84ELc76EKffEviT_T0_PT6_S1_lS4_S1_lS2_PT7_S1_li,@function
_ZL32rocblas_syrkx_herkx_small_kernelIlfLi16ELb0ELb0ELc84ELc76EKffEviT_T0_PT6_S1_lS4_S1_lS2_PT7_S1_li: ; @_ZL32rocblas_syrkx_herkx_small_kernelIlfLi16ELb0ELb0ELc84ELc76EKffEviT_T0_PT6_S1_lS4_S1_lS2_PT7_S1_li
; %bb.0:
	s_load_dwordx2 s[10:11], s[4:5], 0x8
	s_load_dword s9, s[4:5], 0x0
	v_lshl_add_u32 v2, s6, 4, v0
	v_lshl_add_u32 v9, s7, 4, v1
	v_ashrrev_i32_e32 v3, 31, v2
	s_waitcnt lgkmcnt(0)
	v_cmp_lt_i64_e64 s[0:1], s[10:11], 1
	v_ashrrev_i32_e32 v10, 31, v9
	s_and_b64 vcc, exec, s[0:1]
	v_cmp_gt_i32_e64 s[0:1], s9, v2
	s_cbranch_vccnz .LBB980_7
; %bb.1:
	s_load_dwordx8 s[12:19], s[4:5], 0x18
	s_load_dwordx4 s[20:23], s[4:5], 0x38
	v_lshlrev_b32_e32 v6, 6, v1
	v_lshlrev_b32_e32 v11, 2, v0
	v_add_u32_e32 v12, v11, v6
	v_add_u32_e32 v13, 0x400, v6
	s_waitcnt lgkmcnt(0)
	v_mul_lo_u32 v7, s21, v9
	v_mul_lo_u32 v15, s20, v10
	v_mad_u64_u32 v[4:5], s[2:3], s20, v9, 0
	s_mul_i32 s6, s23, s8
	s_mul_hi_u32 s7, s22, s8
	v_add3_u32 v5, v5, v15, v7
	v_lshlrev_b64 v[4:5], 2, v[4:5]
	s_add_i32 s7, s7, s6
	s_mul_i32 s6, s22, s8
	s_lshl_b64 s[6:7], s[6:7], 2
	v_mov_b32_e32 v6, s7
	v_add_co_u32_e32 v4, vcc, s6, v4
	v_addc_co_u32_e32 v5, vcc, v5, v6, vcc
	v_mul_lo_u32 v16, s15, v2
	v_mul_lo_u32 v17, s14, v3
	v_mad_u64_u32 v[6:7], s[6:7], s14, v2, 0
	v_add_co_u32_e32 v4, vcc, v4, v11
	v_addc_co_u32_e32 v5, vcc, 0, v5, vcc
	v_add3_u32 v7, v7, v17, v16
	s_mul_i32 s6, s17, s8
	s_mul_hi_u32 s7, s16, s8
	v_mov_b32_e32 v15, s19
	v_add_co_u32_e32 v4, vcc, s18, v4
	v_lshlrev_b64 v[6:7], 2, v[6:7]
	s_add_i32 s7, s7, s6
	s_mul_i32 s6, s16, s8
	v_addc_co_u32_e32 v5, vcc, v15, v5, vcc
	s_lshl_b64 s[6:7], s[6:7], 2
	v_mov_b32_e32 v15, s7
	v_add_co_u32_e32 v6, vcc, s6, v6
	v_addc_co_u32_e32 v7, vcc, v7, v15, vcc
	v_lshlrev_b32_e32 v15, 2, v1
	v_add_co_u32_e32 v6, vcc, v6, v15
	v_addc_co_u32_e32 v7, vcc, 0, v7, vcc
	v_mov_b32_e32 v15, s13
	v_add_co_u32_e32 v6, vcc, s12, v6
	v_mov_b32_e32 v8, 0
	v_cmp_gt_i32_e64 s[2:3], s9, v9
	v_add_u32_e32 v14, v13, v11
	v_addc_co_u32_e32 v7, vcc, v15, v7, vcc
	s_mov_b64 s[12:13], 0
	s_branch .LBB980_3
.LBB980_2:                              ;   in Loop: Header=BB980_3 Depth=1
	s_or_b64 exec, exec, s[6:7]
	s_waitcnt vmcnt(0)
	ds_write_b32 v14, v15
	s_waitcnt lgkmcnt(0)
	s_barrier
	ds_read2_b32 v[23:24], v11 offset1:16
	ds_read_b128 v[15:18], v13
	ds_read2_b32 v[25:26], v11 offset0:32 offset1:48
	ds_read_b128 v[19:22], v13 offset:16
	s_add_u32 s12, s12, 16
	v_add_co_u32_e32 v4, vcc, 64, v4
	s_waitcnt lgkmcnt(2)
	v_fmac_f32_e32 v8, v23, v15
	v_fmac_f32_e32 v8, v24, v16
	ds_read2_b32 v[23:24], v11 offset0:64 offset1:80
	s_waitcnt lgkmcnt(2)
	v_fmac_f32_e32 v8, v25, v17
	v_fmac_f32_e32 v8, v26, v18
	ds_read2_b32 v[25:26], v11 offset0:96 offset1:112
	ds_read_b128 v[15:18], v13 offset:32
	s_addc_u32 s13, s13, 0
	s_waitcnt lgkmcnt(2)
	v_fmac_f32_e32 v8, v23, v19
	v_fmac_f32_e32 v8, v24, v20
	ds_read2_b32 v[23:24], v11 offset0:128 offset1:144
	s_waitcnt lgkmcnt(2)
	v_fmac_f32_e32 v8, v25, v21
	v_fmac_f32_e32 v8, v26, v22
	ds_read2_b32 v[25:26], v11 offset0:160 offset1:176
	ds_read_b128 v[19:22], v13 offset:48
	v_addc_co_u32_e32 v5, vcc, 0, v5, vcc
	s_waitcnt lgkmcnt(2)
	v_fmac_f32_e32 v8, v23, v15
	v_fmac_f32_e32 v8, v24, v16
	ds_read2_b32 v[15:16], v11 offset0:192 offset1:208
	s_waitcnt lgkmcnt(2)
	v_fmac_f32_e32 v8, v25, v17
	v_fmac_f32_e32 v8, v26, v18
	ds_read2_b32 v[17:18], v11 offset0:224 offset1:240
	v_add_co_u32_e64 v6, s[6:7], 64, v6
	s_waitcnt lgkmcnt(1)
	v_fmac_f32_e32 v8, v15, v19
	v_fmac_f32_e32 v8, v16, v20
	v_mov_b32_e32 v16, s11
	v_mov_b32_e32 v15, s10
	v_cmp_ge_i64_e32 vcc, s[12:13], v[15:16]
	s_waitcnt lgkmcnt(0)
	v_fmac_f32_e32 v8, v17, v21
	v_fmac_f32_e32 v8, v18, v22
	v_addc_co_u32_e64 v7, s[6:7], 0, v7, s[6:7]
	s_barrier
	s_cbranch_vccnz .LBB980_8
.LBB980_3:                              ; =>This Inner Loop Header: Depth=1
	v_mov_b32_e32 v16, s13
	v_add_co_u32_e32 v15, vcc, s12, v1
	v_addc_co_u32_e32 v16, vcc, 0, v16, vcc
	v_cmp_gt_i64_e32 vcc, s[10:11], v[15:16]
	v_mov_b32_e32 v15, 0
	s_and_b64 s[14:15], s[0:1], vcc
	s_and_saveexec_b64 s[6:7], s[14:15]
	s_cbranch_execz .LBB980_5
; %bb.4:                                ;   in Loop: Header=BB980_3 Depth=1
	global_load_dword v15, v[6:7], off
.LBB980_5:                              ;   in Loop: Header=BB980_3 Depth=1
	s_or_b64 exec, exec, s[6:7]
	v_mov_b32_e32 v17, s13
	v_add_co_u32_e32 v16, vcc, s12, v0
	v_addc_co_u32_e32 v17, vcc, 0, v17, vcc
	v_cmp_gt_i64_e32 vcc, s[10:11], v[16:17]
	s_waitcnt vmcnt(0)
	ds_write_b32 v12, v15
	s_and_b64 s[14:15], s[2:3], vcc
	v_mov_b32_e32 v15, 0
	s_and_saveexec_b64 s[6:7], s[14:15]
	s_cbranch_execz .LBB980_2
; %bb.6:                                ;   in Loop: Header=BB980_3 Depth=1
	global_load_dword v15, v[4:5], off
	s_branch .LBB980_2
.LBB980_7:
	v_mov_b32_e32 v8, 0
.LBB980_8:
	v_cmp_le_i32_e32 vcc, v9, v2
	v_cmp_gt_i32_e64 s[0:1], s9, v2
	s_and_b64 s[0:1], vcc, s[0:1]
	s_and_saveexec_b64 s[2:3], s[0:1]
	s_cbranch_execz .LBB980_10
; %bb.9:
	s_load_dwordx2 s[6:7], s[4:5], 0x60
	s_load_dwordx4 s[0:3], s[4:5], 0x50
	s_waitcnt lgkmcnt(0)
	s_mul_i32 s7, s7, s8
	v_mul_lo_u32 v4, s3, v9
	v_mul_lo_u32 v5, s2, v10
	v_mad_u64_u32 v[0:1], s[2:3], s2, v9, 0
	s_mul_hi_u32 s9, s6, s8
	s_mul_i32 s6, s6, s8
	s_add_i32 s7, s9, s7
	s_lshl_b64 s[2:3], s[6:7], 2
	v_add3_u32 v1, v1, v5, v4
	s_add_u32 s0, s0, s2
	v_lshlrev_b64 v[0:1], 2, v[0:1]
	s_addc_u32 s1, s1, s3
	v_mov_b32_e32 v4, s1
	v_add_co_u32_e32 v5, vcc, s0, v0
	v_addc_co_u32_e32 v4, vcc, v4, v1, vcc
	v_lshlrev_b64 v[0:1], 2, v[2:3]
	v_add_co_u32_e32 v0, vcc, v5, v0
	v_addc_co_u32_e32 v1, vcc, v4, v1, vcc
	global_load_dword v2, v[0:1], off
	s_load_dword s0, s[4:5], 0x48
	s_load_dword s1, s[4:5], 0x10
	s_waitcnt vmcnt(0) lgkmcnt(0)
	v_mul_f32_e32 v2, s0, v2
	v_fmac_f32_e32 v2, s1, v8
	global_store_dword v[0:1], v2, off
.LBB980_10:
	s_endpgm
	.section	.rodata,"a",@progbits
	.p2align	6, 0x0
	.amdhsa_kernel _ZL32rocblas_syrkx_herkx_small_kernelIlfLi16ELb0ELb0ELc84ELc76EKffEviT_T0_PT6_S1_lS4_S1_lS2_PT7_S1_li
		.amdhsa_group_segment_fixed_size 2048
		.amdhsa_private_segment_fixed_size 0
		.amdhsa_kernarg_size 108
		.amdhsa_user_sgpr_count 6
		.amdhsa_user_sgpr_private_segment_buffer 1
		.amdhsa_user_sgpr_dispatch_ptr 0
		.amdhsa_user_sgpr_queue_ptr 0
		.amdhsa_user_sgpr_kernarg_segment_ptr 1
		.amdhsa_user_sgpr_dispatch_id 0
		.amdhsa_user_sgpr_flat_scratch_init 0
		.amdhsa_user_sgpr_private_segment_size 0
		.amdhsa_uses_dynamic_stack 0
		.amdhsa_system_sgpr_private_segment_wavefront_offset 0
		.amdhsa_system_sgpr_workgroup_id_x 1
		.amdhsa_system_sgpr_workgroup_id_y 1
		.amdhsa_system_sgpr_workgroup_id_z 1
		.amdhsa_system_sgpr_workgroup_info 0
		.amdhsa_system_vgpr_workitem_id 1
		.amdhsa_next_free_vgpr 27
		.amdhsa_next_free_sgpr 24
		.amdhsa_reserve_vcc 1
		.amdhsa_reserve_flat_scratch 0
		.amdhsa_float_round_mode_32 0
		.amdhsa_float_round_mode_16_64 0
		.amdhsa_float_denorm_mode_32 3
		.amdhsa_float_denorm_mode_16_64 3
		.amdhsa_dx10_clamp 1
		.amdhsa_ieee_mode 1
		.amdhsa_fp16_overflow 0
		.amdhsa_exception_fp_ieee_invalid_op 0
		.amdhsa_exception_fp_denorm_src 0
		.amdhsa_exception_fp_ieee_div_zero 0
		.amdhsa_exception_fp_ieee_overflow 0
		.amdhsa_exception_fp_ieee_underflow 0
		.amdhsa_exception_fp_ieee_inexact 0
		.amdhsa_exception_int_div_zero 0
	.end_amdhsa_kernel
	.section	.text._ZL32rocblas_syrkx_herkx_small_kernelIlfLi16ELb0ELb0ELc84ELc76EKffEviT_T0_PT6_S1_lS4_S1_lS2_PT7_S1_li,"axG",@progbits,_ZL32rocblas_syrkx_herkx_small_kernelIlfLi16ELb0ELb0ELc84ELc76EKffEviT_T0_PT6_S1_lS4_S1_lS2_PT7_S1_li,comdat
.Lfunc_end980:
	.size	_ZL32rocblas_syrkx_herkx_small_kernelIlfLi16ELb0ELb0ELc84ELc76EKffEviT_T0_PT6_S1_lS4_S1_lS2_PT7_S1_li, .Lfunc_end980-_ZL32rocblas_syrkx_herkx_small_kernelIlfLi16ELb0ELb0ELc84ELc76EKffEviT_T0_PT6_S1_lS4_S1_lS2_PT7_S1_li
                                        ; -- End function
	.set _ZL32rocblas_syrkx_herkx_small_kernelIlfLi16ELb0ELb0ELc84ELc76EKffEviT_T0_PT6_S1_lS4_S1_lS2_PT7_S1_li.num_vgpr, 27
	.set _ZL32rocblas_syrkx_herkx_small_kernelIlfLi16ELb0ELb0ELc84ELc76EKffEviT_T0_PT6_S1_lS4_S1_lS2_PT7_S1_li.num_agpr, 0
	.set _ZL32rocblas_syrkx_herkx_small_kernelIlfLi16ELb0ELb0ELc84ELc76EKffEviT_T0_PT6_S1_lS4_S1_lS2_PT7_S1_li.numbered_sgpr, 24
	.set _ZL32rocblas_syrkx_herkx_small_kernelIlfLi16ELb0ELb0ELc84ELc76EKffEviT_T0_PT6_S1_lS4_S1_lS2_PT7_S1_li.num_named_barrier, 0
	.set _ZL32rocblas_syrkx_herkx_small_kernelIlfLi16ELb0ELb0ELc84ELc76EKffEviT_T0_PT6_S1_lS4_S1_lS2_PT7_S1_li.private_seg_size, 0
	.set _ZL32rocblas_syrkx_herkx_small_kernelIlfLi16ELb0ELb0ELc84ELc76EKffEviT_T0_PT6_S1_lS4_S1_lS2_PT7_S1_li.uses_vcc, 1
	.set _ZL32rocblas_syrkx_herkx_small_kernelIlfLi16ELb0ELb0ELc84ELc76EKffEviT_T0_PT6_S1_lS4_S1_lS2_PT7_S1_li.uses_flat_scratch, 0
	.set _ZL32rocblas_syrkx_herkx_small_kernelIlfLi16ELb0ELb0ELc84ELc76EKffEviT_T0_PT6_S1_lS4_S1_lS2_PT7_S1_li.has_dyn_sized_stack, 0
	.set _ZL32rocblas_syrkx_herkx_small_kernelIlfLi16ELb0ELb0ELc84ELc76EKffEviT_T0_PT6_S1_lS4_S1_lS2_PT7_S1_li.has_recursion, 0
	.set _ZL32rocblas_syrkx_herkx_small_kernelIlfLi16ELb0ELb0ELc84ELc76EKffEviT_T0_PT6_S1_lS4_S1_lS2_PT7_S1_li.has_indirect_call, 0
	.section	.AMDGPU.csdata,"",@progbits
; Kernel info:
; codeLenInByte = 880
; TotalNumSgprs: 28
; NumVgprs: 27
; ScratchSize: 0
; MemoryBound: 0
; FloatMode: 240
; IeeeMode: 1
; LDSByteSize: 2048 bytes/workgroup (compile time only)
; SGPRBlocks: 3
; VGPRBlocks: 6
; NumSGPRsForWavesPerEU: 28
; NumVGPRsForWavesPerEU: 27
; Occupancy: 9
; WaveLimiterHint : 0
; COMPUTE_PGM_RSRC2:SCRATCH_EN: 0
; COMPUTE_PGM_RSRC2:USER_SGPR: 6
; COMPUTE_PGM_RSRC2:TRAP_HANDLER: 0
; COMPUTE_PGM_RSRC2:TGID_X_EN: 1
; COMPUTE_PGM_RSRC2:TGID_Y_EN: 1
; COMPUTE_PGM_RSRC2:TGID_Z_EN: 1
; COMPUTE_PGM_RSRC2:TIDIG_COMP_CNT: 1
	.section	.text._ZL32rocblas_syrkx_herkx_small_kernelIlfLi16ELb0ELb0ELc67ELc76EKffEviT_T0_PT6_S1_lS4_S1_lS2_PT7_S1_li,"axG",@progbits,_ZL32rocblas_syrkx_herkx_small_kernelIlfLi16ELb0ELb0ELc67ELc76EKffEviT_T0_PT6_S1_lS4_S1_lS2_PT7_S1_li,comdat
	.globl	_ZL32rocblas_syrkx_herkx_small_kernelIlfLi16ELb0ELb0ELc67ELc76EKffEviT_T0_PT6_S1_lS4_S1_lS2_PT7_S1_li ; -- Begin function _ZL32rocblas_syrkx_herkx_small_kernelIlfLi16ELb0ELb0ELc67ELc76EKffEviT_T0_PT6_S1_lS4_S1_lS2_PT7_S1_li
	.p2align	8
	.type	_ZL32rocblas_syrkx_herkx_small_kernelIlfLi16ELb0ELb0ELc67ELc76EKffEviT_T0_PT6_S1_lS4_S1_lS2_PT7_S1_li,@function
_ZL32rocblas_syrkx_herkx_small_kernelIlfLi16ELb0ELb0ELc67ELc76EKffEviT_T0_PT6_S1_lS4_S1_lS2_PT7_S1_li: ; @_ZL32rocblas_syrkx_herkx_small_kernelIlfLi16ELb0ELb0ELc67ELc76EKffEviT_T0_PT6_S1_lS4_S1_lS2_PT7_S1_li
; %bb.0:
	s_load_dwordx2 s[10:11], s[4:5], 0x8
	s_load_dword s9, s[4:5], 0x0
	v_lshl_add_u32 v2, s6, 4, v0
	v_lshl_add_u32 v9, s7, 4, v1
	v_ashrrev_i32_e32 v3, 31, v2
	s_waitcnt lgkmcnt(0)
	v_cmp_lt_i64_e64 s[0:1], s[10:11], 1
	v_ashrrev_i32_e32 v10, 31, v9
	s_and_b64 vcc, exec, s[0:1]
	v_cmp_gt_i32_e64 s[0:1], s9, v2
	s_cbranch_vccnz .LBB981_7
; %bb.1:
	s_load_dwordx8 s[12:19], s[4:5], 0x18
	s_load_dwordx4 s[20:23], s[4:5], 0x38
	v_lshlrev_b32_e32 v6, 6, v1
	v_lshlrev_b32_e32 v11, 2, v0
	v_add_u32_e32 v12, v11, v6
	v_add_u32_e32 v13, 0x400, v6
	s_waitcnt lgkmcnt(0)
	v_mul_lo_u32 v7, s21, v9
	v_mul_lo_u32 v15, s20, v10
	v_mad_u64_u32 v[4:5], s[2:3], s20, v9, 0
	s_mul_i32 s6, s23, s8
	s_mul_hi_u32 s7, s22, s8
	v_add3_u32 v5, v5, v15, v7
	v_lshlrev_b64 v[4:5], 2, v[4:5]
	s_add_i32 s7, s7, s6
	s_mul_i32 s6, s22, s8
	s_lshl_b64 s[6:7], s[6:7], 2
	v_mov_b32_e32 v6, s7
	v_add_co_u32_e32 v4, vcc, s6, v4
	v_addc_co_u32_e32 v5, vcc, v5, v6, vcc
	v_mul_lo_u32 v16, s15, v2
	v_mul_lo_u32 v17, s14, v3
	v_mad_u64_u32 v[6:7], s[6:7], s14, v2, 0
	v_add_co_u32_e32 v4, vcc, v4, v11
	v_addc_co_u32_e32 v5, vcc, 0, v5, vcc
	v_add3_u32 v7, v7, v17, v16
	s_mul_i32 s6, s17, s8
	s_mul_hi_u32 s7, s16, s8
	v_mov_b32_e32 v15, s19
	v_add_co_u32_e32 v4, vcc, s18, v4
	v_lshlrev_b64 v[6:7], 2, v[6:7]
	s_add_i32 s7, s7, s6
	s_mul_i32 s6, s16, s8
	v_addc_co_u32_e32 v5, vcc, v15, v5, vcc
	s_lshl_b64 s[6:7], s[6:7], 2
	v_mov_b32_e32 v15, s7
	v_add_co_u32_e32 v6, vcc, s6, v6
	v_addc_co_u32_e32 v7, vcc, v7, v15, vcc
	v_lshlrev_b32_e32 v15, 2, v1
	v_add_co_u32_e32 v6, vcc, v6, v15
	v_addc_co_u32_e32 v7, vcc, 0, v7, vcc
	v_mov_b32_e32 v15, s13
	v_add_co_u32_e32 v6, vcc, s12, v6
	v_mov_b32_e32 v8, 0
	v_cmp_gt_i32_e64 s[2:3], s9, v9
	v_add_u32_e32 v14, v13, v11
	v_addc_co_u32_e32 v7, vcc, v15, v7, vcc
	s_mov_b64 s[12:13], 0
	s_branch .LBB981_3
.LBB981_2:                              ;   in Loop: Header=BB981_3 Depth=1
	s_or_b64 exec, exec, s[6:7]
	s_waitcnt vmcnt(0)
	ds_write_b32 v14, v15
	s_waitcnt lgkmcnt(0)
	s_barrier
	ds_read2_b32 v[23:24], v11 offset1:16
	ds_read_b128 v[15:18], v13
	ds_read2_b32 v[25:26], v11 offset0:32 offset1:48
	ds_read_b128 v[19:22], v13 offset:16
	s_add_u32 s12, s12, 16
	v_add_co_u32_e32 v4, vcc, 64, v4
	s_waitcnt lgkmcnt(2)
	v_fmac_f32_e32 v8, v23, v15
	v_fmac_f32_e32 v8, v24, v16
	ds_read2_b32 v[23:24], v11 offset0:64 offset1:80
	s_waitcnt lgkmcnt(2)
	v_fmac_f32_e32 v8, v25, v17
	v_fmac_f32_e32 v8, v26, v18
	ds_read2_b32 v[25:26], v11 offset0:96 offset1:112
	ds_read_b128 v[15:18], v13 offset:32
	s_addc_u32 s13, s13, 0
	s_waitcnt lgkmcnt(2)
	v_fmac_f32_e32 v8, v23, v19
	v_fmac_f32_e32 v8, v24, v20
	ds_read2_b32 v[23:24], v11 offset0:128 offset1:144
	s_waitcnt lgkmcnt(2)
	v_fmac_f32_e32 v8, v25, v21
	v_fmac_f32_e32 v8, v26, v22
	ds_read2_b32 v[25:26], v11 offset0:160 offset1:176
	ds_read_b128 v[19:22], v13 offset:48
	v_addc_co_u32_e32 v5, vcc, 0, v5, vcc
	s_waitcnt lgkmcnt(2)
	v_fmac_f32_e32 v8, v23, v15
	v_fmac_f32_e32 v8, v24, v16
	ds_read2_b32 v[15:16], v11 offset0:192 offset1:208
	s_waitcnt lgkmcnt(2)
	v_fmac_f32_e32 v8, v25, v17
	v_fmac_f32_e32 v8, v26, v18
	ds_read2_b32 v[17:18], v11 offset0:224 offset1:240
	v_add_co_u32_e64 v6, s[6:7], 64, v6
	s_waitcnt lgkmcnt(1)
	v_fmac_f32_e32 v8, v15, v19
	v_fmac_f32_e32 v8, v16, v20
	v_mov_b32_e32 v16, s11
	v_mov_b32_e32 v15, s10
	v_cmp_ge_i64_e32 vcc, s[12:13], v[15:16]
	s_waitcnt lgkmcnt(0)
	v_fmac_f32_e32 v8, v17, v21
	v_fmac_f32_e32 v8, v18, v22
	v_addc_co_u32_e64 v7, s[6:7], 0, v7, s[6:7]
	s_barrier
	s_cbranch_vccnz .LBB981_8
.LBB981_3:                              ; =>This Inner Loop Header: Depth=1
	v_mov_b32_e32 v16, s13
	v_add_co_u32_e32 v15, vcc, s12, v1
	v_addc_co_u32_e32 v16, vcc, 0, v16, vcc
	v_cmp_gt_i64_e32 vcc, s[10:11], v[15:16]
	v_mov_b32_e32 v15, 0
	s_and_b64 s[14:15], s[0:1], vcc
	s_and_saveexec_b64 s[6:7], s[14:15]
	s_cbranch_execz .LBB981_5
; %bb.4:                                ;   in Loop: Header=BB981_3 Depth=1
	global_load_dword v15, v[6:7], off
.LBB981_5:                              ;   in Loop: Header=BB981_3 Depth=1
	s_or_b64 exec, exec, s[6:7]
	v_mov_b32_e32 v17, s13
	v_add_co_u32_e32 v16, vcc, s12, v0
	v_addc_co_u32_e32 v17, vcc, 0, v17, vcc
	v_cmp_gt_i64_e32 vcc, s[10:11], v[16:17]
	s_waitcnt vmcnt(0)
	ds_write_b32 v12, v15
	s_and_b64 s[14:15], s[2:3], vcc
	v_mov_b32_e32 v15, 0
	s_and_saveexec_b64 s[6:7], s[14:15]
	s_cbranch_execz .LBB981_2
; %bb.6:                                ;   in Loop: Header=BB981_3 Depth=1
	global_load_dword v15, v[4:5], off
	s_branch .LBB981_2
.LBB981_7:
	v_mov_b32_e32 v8, 0
.LBB981_8:
	v_cmp_le_i32_e32 vcc, v9, v2
	v_cmp_gt_i32_e64 s[0:1], s9, v2
	s_and_b64 s[0:1], vcc, s[0:1]
	s_and_saveexec_b64 s[2:3], s[0:1]
	s_cbranch_execz .LBB981_10
; %bb.9:
	s_load_dwordx2 s[6:7], s[4:5], 0x60
	s_load_dwordx4 s[0:3], s[4:5], 0x50
	s_waitcnt lgkmcnt(0)
	s_mul_i32 s7, s7, s8
	v_mul_lo_u32 v4, s3, v9
	v_mul_lo_u32 v5, s2, v10
	v_mad_u64_u32 v[0:1], s[2:3], s2, v9, 0
	s_mul_hi_u32 s9, s6, s8
	s_mul_i32 s6, s6, s8
	s_add_i32 s7, s9, s7
	s_lshl_b64 s[2:3], s[6:7], 2
	v_add3_u32 v1, v1, v5, v4
	s_add_u32 s0, s0, s2
	v_lshlrev_b64 v[0:1], 2, v[0:1]
	s_addc_u32 s1, s1, s3
	v_mov_b32_e32 v4, s1
	v_add_co_u32_e32 v5, vcc, s0, v0
	v_addc_co_u32_e32 v4, vcc, v4, v1, vcc
	v_lshlrev_b64 v[0:1], 2, v[2:3]
	v_add_co_u32_e32 v0, vcc, v5, v0
	v_addc_co_u32_e32 v1, vcc, v4, v1, vcc
	global_load_dword v2, v[0:1], off
	s_load_dword s0, s[4:5], 0x48
	s_load_dword s1, s[4:5], 0x10
	s_waitcnt vmcnt(0) lgkmcnt(0)
	v_mul_f32_e32 v2, s0, v2
	v_fmac_f32_e32 v2, s1, v8
	global_store_dword v[0:1], v2, off
.LBB981_10:
	s_endpgm
	.section	.rodata,"a",@progbits
	.p2align	6, 0x0
	.amdhsa_kernel _ZL32rocblas_syrkx_herkx_small_kernelIlfLi16ELb0ELb0ELc67ELc76EKffEviT_T0_PT6_S1_lS4_S1_lS2_PT7_S1_li
		.amdhsa_group_segment_fixed_size 2048
		.amdhsa_private_segment_fixed_size 0
		.amdhsa_kernarg_size 108
		.amdhsa_user_sgpr_count 6
		.amdhsa_user_sgpr_private_segment_buffer 1
		.amdhsa_user_sgpr_dispatch_ptr 0
		.amdhsa_user_sgpr_queue_ptr 0
		.amdhsa_user_sgpr_kernarg_segment_ptr 1
		.amdhsa_user_sgpr_dispatch_id 0
		.amdhsa_user_sgpr_flat_scratch_init 0
		.amdhsa_user_sgpr_private_segment_size 0
		.amdhsa_uses_dynamic_stack 0
		.amdhsa_system_sgpr_private_segment_wavefront_offset 0
		.amdhsa_system_sgpr_workgroup_id_x 1
		.amdhsa_system_sgpr_workgroup_id_y 1
		.amdhsa_system_sgpr_workgroup_id_z 1
		.amdhsa_system_sgpr_workgroup_info 0
		.amdhsa_system_vgpr_workitem_id 1
		.amdhsa_next_free_vgpr 27
		.amdhsa_next_free_sgpr 24
		.amdhsa_reserve_vcc 1
		.amdhsa_reserve_flat_scratch 0
		.amdhsa_float_round_mode_32 0
		.amdhsa_float_round_mode_16_64 0
		.amdhsa_float_denorm_mode_32 3
		.amdhsa_float_denorm_mode_16_64 3
		.amdhsa_dx10_clamp 1
		.amdhsa_ieee_mode 1
		.amdhsa_fp16_overflow 0
		.amdhsa_exception_fp_ieee_invalid_op 0
		.amdhsa_exception_fp_denorm_src 0
		.amdhsa_exception_fp_ieee_div_zero 0
		.amdhsa_exception_fp_ieee_overflow 0
		.amdhsa_exception_fp_ieee_underflow 0
		.amdhsa_exception_fp_ieee_inexact 0
		.amdhsa_exception_int_div_zero 0
	.end_amdhsa_kernel
	.section	.text._ZL32rocblas_syrkx_herkx_small_kernelIlfLi16ELb0ELb0ELc67ELc76EKffEviT_T0_PT6_S1_lS4_S1_lS2_PT7_S1_li,"axG",@progbits,_ZL32rocblas_syrkx_herkx_small_kernelIlfLi16ELb0ELb0ELc67ELc76EKffEviT_T0_PT6_S1_lS4_S1_lS2_PT7_S1_li,comdat
.Lfunc_end981:
	.size	_ZL32rocblas_syrkx_herkx_small_kernelIlfLi16ELb0ELb0ELc67ELc76EKffEviT_T0_PT6_S1_lS4_S1_lS2_PT7_S1_li, .Lfunc_end981-_ZL32rocblas_syrkx_herkx_small_kernelIlfLi16ELb0ELb0ELc67ELc76EKffEviT_T0_PT6_S1_lS4_S1_lS2_PT7_S1_li
                                        ; -- End function
	.set _ZL32rocblas_syrkx_herkx_small_kernelIlfLi16ELb0ELb0ELc67ELc76EKffEviT_T0_PT6_S1_lS4_S1_lS2_PT7_S1_li.num_vgpr, 27
	.set _ZL32rocblas_syrkx_herkx_small_kernelIlfLi16ELb0ELb0ELc67ELc76EKffEviT_T0_PT6_S1_lS4_S1_lS2_PT7_S1_li.num_agpr, 0
	.set _ZL32rocblas_syrkx_herkx_small_kernelIlfLi16ELb0ELb0ELc67ELc76EKffEviT_T0_PT6_S1_lS4_S1_lS2_PT7_S1_li.numbered_sgpr, 24
	.set _ZL32rocblas_syrkx_herkx_small_kernelIlfLi16ELb0ELb0ELc67ELc76EKffEviT_T0_PT6_S1_lS4_S1_lS2_PT7_S1_li.num_named_barrier, 0
	.set _ZL32rocblas_syrkx_herkx_small_kernelIlfLi16ELb0ELb0ELc67ELc76EKffEviT_T0_PT6_S1_lS4_S1_lS2_PT7_S1_li.private_seg_size, 0
	.set _ZL32rocblas_syrkx_herkx_small_kernelIlfLi16ELb0ELb0ELc67ELc76EKffEviT_T0_PT6_S1_lS4_S1_lS2_PT7_S1_li.uses_vcc, 1
	.set _ZL32rocblas_syrkx_herkx_small_kernelIlfLi16ELb0ELb0ELc67ELc76EKffEviT_T0_PT6_S1_lS4_S1_lS2_PT7_S1_li.uses_flat_scratch, 0
	.set _ZL32rocblas_syrkx_herkx_small_kernelIlfLi16ELb0ELb0ELc67ELc76EKffEviT_T0_PT6_S1_lS4_S1_lS2_PT7_S1_li.has_dyn_sized_stack, 0
	.set _ZL32rocblas_syrkx_herkx_small_kernelIlfLi16ELb0ELb0ELc67ELc76EKffEviT_T0_PT6_S1_lS4_S1_lS2_PT7_S1_li.has_recursion, 0
	.set _ZL32rocblas_syrkx_herkx_small_kernelIlfLi16ELb0ELb0ELc67ELc76EKffEviT_T0_PT6_S1_lS4_S1_lS2_PT7_S1_li.has_indirect_call, 0
	.section	.AMDGPU.csdata,"",@progbits
; Kernel info:
; codeLenInByte = 880
; TotalNumSgprs: 28
; NumVgprs: 27
; ScratchSize: 0
; MemoryBound: 0
; FloatMode: 240
; IeeeMode: 1
; LDSByteSize: 2048 bytes/workgroup (compile time only)
; SGPRBlocks: 3
; VGPRBlocks: 6
; NumSGPRsForWavesPerEU: 28
; NumVGPRsForWavesPerEU: 27
; Occupancy: 9
; WaveLimiterHint : 0
; COMPUTE_PGM_RSRC2:SCRATCH_EN: 0
; COMPUTE_PGM_RSRC2:USER_SGPR: 6
; COMPUTE_PGM_RSRC2:TRAP_HANDLER: 0
; COMPUTE_PGM_RSRC2:TGID_X_EN: 1
; COMPUTE_PGM_RSRC2:TGID_Y_EN: 1
; COMPUTE_PGM_RSRC2:TGID_Z_EN: 1
; COMPUTE_PGM_RSRC2:TIDIG_COMP_CNT: 1
	.section	.text._ZL32rocblas_syrkx_herkx_small_kernelIlfLi16ELb0ELb0ELc78ELc76EKffEviT_T0_PT6_S1_lS4_S1_lS2_PT7_S1_li,"axG",@progbits,_ZL32rocblas_syrkx_herkx_small_kernelIlfLi16ELb0ELb0ELc78ELc76EKffEviT_T0_PT6_S1_lS4_S1_lS2_PT7_S1_li,comdat
	.globl	_ZL32rocblas_syrkx_herkx_small_kernelIlfLi16ELb0ELb0ELc78ELc76EKffEviT_T0_PT6_S1_lS4_S1_lS2_PT7_S1_li ; -- Begin function _ZL32rocblas_syrkx_herkx_small_kernelIlfLi16ELb0ELb0ELc78ELc76EKffEviT_T0_PT6_S1_lS4_S1_lS2_PT7_S1_li
	.p2align	8
	.type	_ZL32rocblas_syrkx_herkx_small_kernelIlfLi16ELb0ELb0ELc78ELc76EKffEviT_T0_PT6_S1_lS4_S1_lS2_PT7_S1_li,@function
_ZL32rocblas_syrkx_herkx_small_kernelIlfLi16ELb0ELb0ELc78ELc76EKffEviT_T0_PT6_S1_lS4_S1_lS2_PT7_S1_li: ; @_ZL32rocblas_syrkx_herkx_small_kernelIlfLi16ELb0ELb0ELc78ELc76EKffEviT_T0_PT6_S1_lS4_S1_lS2_PT7_S1_li
; %bb.0:
	s_load_dwordx2 s[10:11], s[4:5], 0x8
	s_load_dword s9, s[4:5], 0x0
	v_lshl_add_u32 v2, s6, 4, v0
	v_lshl_add_u32 v4, s7, 4, v1
	v_ashrrev_i32_e32 v3, 31, v2
	s_waitcnt lgkmcnt(0)
	v_cmp_lt_i64_e64 s[0:1], s[10:11], 1
	v_ashrrev_i32_e32 v5, 31, v4
	s_and_b64 vcc, exec, s[0:1]
	v_cmp_gt_i32_e64 s[0:1], s9, v2
	s_cbranch_vccnz .LBB982_7
; %bb.1:
	s_load_dwordx8 s[12:19], s[4:5], 0x18
	s_load_dwordx4 s[20:23], s[4:5], 0x38
	v_lshlrev_b32_e32 v6, 6, v1
	v_lshlrev_b32_e32 v11, 2, v0
	v_add_u32_e32 v12, v11, v6
	v_add_u32_e32 v13, 0x400, v6
	s_waitcnt lgkmcnt(0)
	v_mad_u64_u32 v[6:7], s[6:7], s20, v0, 0
	s_mul_i32 s23, s23, s8
	s_mul_hi_u32 s24, s22, s8
	v_mad_u64_u32 v[7:8], s[6:7], s21, v0, v[7:8]
	s_add_i32 s7, s24, s23
	s_mul_i32 s6, s22, s8
	v_lshlrev_b64 v[6:7], 2, v[6:7]
	s_lshl_b64 s[6:7], s[6:7], 2
	v_mov_b32_e32 v8, s7
	v_add_co_u32_e32 v9, vcc, s6, v6
	v_addc_co_u32_e32 v8, vcc, v8, v7, vcc
	v_lshlrev_b64 v[6:7], 2, v[4:5]
	v_mov_b32_e32 v10, 0
	v_add_co_u32_e32 v6, vcc, v9, v6
	v_addc_co_u32_e32 v7, vcc, v8, v7, vcc
	v_mov_b32_e32 v8, s19
	v_add_co_u32_e32 v6, vcc, s18, v6
	v_addc_co_u32_e32 v7, vcc, v8, v7, vcc
	v_mad_u64_u32 v[8:9], s[6:7], s14, v1, 0
	s_lshl_b64 s[18:19], s[20:21], 6
	s_mul_i32 s17, s17, s8
	v_mad_u64_u32 v[15:16], s[6:7], s15, v1, v[9:10]
	s_mul_hi_u32 s20, s16, s8
	s_add_i32 s7, s20, s17
	v_mov_b32_e32 v9, v15
	s_mul_i32 s6, s16, s8
	v_lshlrev_b64 v[8:9], 2, v[8:9]
	s_lshl_b64 s[6:7], s[6:7], 2
	v_mov_b32_e32 v15, s7
	v_add_co_u32_e32 v16, vcc, s6, v8
	v_addc_co_u32_e32 v15, vcc, v15, v9, vcc
	v_lshlrev_b64 v[8:9], 2, v[2:3]
	v_cmp_gt_i32_e64 s[2:3], s9, v4
	v_add_co_u32_e32 v8, vcc, v16, v8
	v_addc_co_u32_e32 v9, vcc, v15, v9, vcc
	v_mov_b32_e32 v15, s13
	v_add_co_u32_e32 v8, vcc, s12, v8
	v_add_u32_e32 v14, v13, v11
	v_addc_co_u32_e32 v9, vcc, v15, v9, vcc
	s_lshl_b64 s[12:13], s[14:15], 6
	s_mov_b64 s[14:15], 0
	s_branch .LBB982_3
.LBB982_2:                              ;   in Loop: Header=BB982_3 Depth=1
	s_or_b64 exec, exec, s[6:7]
	s_waitcnt vmcnt(0)
	ds_write_b32 v14, v15
	s_waitcnt lgkmcnt(0)
	s_barrier
	ds_read2_b32 v[23:24], v11 offset1:16
	ds_read_b128 v[15:18], v13
	ds_read2_b32 v[25:26], v11 offset0:32 offset1:48
	ds_read_b128 v[19:22], v13 offset:16
	v_add_co_u32_e32 v6, vcc, s18, v6
	s_waitcnt lgkmcnt(2)
	v_fmac_f32_e32 v10, v23, v15
	v_fmac_f32_e32 v10, v24, v16
	ds_read2_b32 v[23:24], v11 offset0:64 offset1:80
	s_waitcnt lgkmcnt(2)
	v_fmac_f32_e32 v10, v25, v17
	v_fmac_f32_e32 v10, v26, v18
	ds_read2_b32 v[25:26], v11 offset0:96 offset1:112
	ds_read_b128 v[15:18], v13 offset:32
	s_add_u32 s14, s14, 16
	s_waitcnt lgkmcnt(2)
	v_fmac_f32_e32 v10, v23, v19
	v_fmac_f32_e32 v10, v24, v20
	ds_read2_b32 v[23:24], v11 offset0:128 offset1:144
	s_waitcnt lgkmcnt(2)
	v_fmac_f32_e32 v10, v25, v21
	v_fmac_f32_e32 v10, v26, v22
	ds_read2_b32 v[25:26], v11 offset0:160 offset1:176
	ds_read_b128 v[19:22], v13 offset:48
	s_addc_u32 s15, s15, 0
	s_waitcnt lgkmcnt(2)
	v_fmac_f32_e32 v10, v23, v15
	v_fmac_f32_e32 v10, v24, v16
	ds_read2_b32 v[15:16], v11 offset0:192 offset1:208
	s_waitcnt lgkmcnt(2)
	v_fmac_f32_e32 v10, v25, v17
	v_fmac_f32_e32 v10, v26, v18
	ds_read2_b32 v[17:18], v11 offset0:224 offset1:240
	v_add_co_u32_e64 v8, s[6:7], s12, v8
	s_waitcnt lgkmcnt(1)
	v_fmac_f32_e32 v10, v15, v19
	v_mov_b32_e32 v15, s19
	v_fmac_f32_e32 v10, v16, v20
	v_addc_co_u32_e32 v7, vcc, v7, v15, vcc
	v_mov_b32_e32 v16, s11
	v_mov_b32_e32 v15, s10
	v_cmp_ge_i64_e32 vcc, s[14:15], v[15:16]
	s_waitcnt lgkmcnt(0)
	v_fmac_f32_e32 v10, v17, v21
	v_mov_b32_e32 v17, s13
	v_fmac_f32_e32 v10, v18, v22
	v_addc_co_u32_e64 v9, s[6:7], v9, v17, s[6:7]
	s_barrier
	s_cbranch_vccnz .LBB982_8
.LBB982_3:                              ; =>This Inner Loop Header: Depth=1
	v_mov_b32_e32 v16, s15
	v_add_co_u32_e32 v15, vcc, s14, v1
	v_addc_co_u32_e32 v16, vcc, 0, v16, vcc
	v_cmp_gt_i64_e32 vcc, s[10:11], v[15:16]
	v_mov_b32_e32 v15, 0
	s_and_b64 s[16:17], s[0:1], vcc
	s_and_saveexec_b64 s[6:7], s[16:17]
	s_cbranch_execz .LBB982_5
; %bb.4:                                ;   in Loop: Header=BB982_3 Depth=1
	global_load_dword v15, v[8:9], off
.LBB982_5:                              ;   in Loop: Header=BB982_3 Depth=1
	s_or_b64 exec, exec, s[6:7]
	v_mov_b32_e32 v17, s15
	v_add_co_u32_e32 v16, vcc, s14, v0
	v_addc_co_u32_e32 v17, vcc, 0, v17, vcc
	v_cmp_gt_i64_e32 vcc, s[10:11], v[16:17]
	s_waitcnt vmcnt(0)
	ds_write_b32 v12, v15
	s_and_b64 s[16:17], s[2:3], vcc
	v_mov_b32_e32 v15, 0
	s_and_saveexec_b64 s[6:7], s[16:17]
	s_cbranch_execz .LBB982_2
; %bb.6:                                ;   in Loop: Header=BB982_3 Depth=1
	global_load_dword v15, v[6:7], off
	s_branch .LBB982_2
.LBB982_7:
	v_mov_b32_e32 v10, 0
.LBB982_8:
	v_cmp_le_i32_e32 vcc, v4, v2
	v_cmp_gt_i32_e64 s[0:1], s9, v2
	s_and_b64 s[0:1], vcc, s[0:1]
	s_and_saveexec_b64 s[2:3], s[0:1]
	s_cbranch_execz .LBB982_10
; %bb.9:
	s_load_dwordx2 s[6:7], s[4:5], 0x60
	s_load_dwordx4 s[0:3], s[4:5], 0x50
	s_waitcnt lgkmcnt(0)
	s_mul_i32 s7, s7, s8
	v_mul_lo_u32 v6, s3, v4
	v_mul_lo_u32 v5, s2, v5
	v_mad_u64_u32 v[0:1], s[2:3], s2, v4, 0
	s_mul_hi_u32 s9, s6, s8
	s_mul_i32 s6, s6, s8
	s_add_i32 s7, s9, s7
	s_lshl_b64 s[2:3], s[6:7], 2
	v_add3_u32 v1, v1, v5, v6
	s_add_u32 s0, s0, s2
	v_lshlrev_b64 v[0:1], 2, v[0:1]
	s_addc_u32 s1, s1, s3
	v_mov_b32_e32 v4, s1
	v_add_co_u32_e32 v5, vcc, s0, v0
	v_addc_co_u32_e32 v4, vcc, v4, v1, vcc
	v_lshlrev_b64 v[0:1], 2, v[2:3]
	v_add_co_u32_e32 v0, vcc, v5, v0
	v_addc_co_u32_e32 v1, vcc, v4, v1, vcc
	global_load_dword v2, v[0:1], off
	s_load_dword s0, s[4:5], 0x48
	s_load_dword s1, s[4:5], 0x10
	s_waitcnt vmcnt(0) lgkmcnt(0)
	v_mul_f32_e32 v2, s0, v2
	v_fmac_f32_e32 v2, s1, v10
	global_store_dword v[0:1], v2, off
.LBB982_10:
	s_endpgm
	.section	.rodata,"a",@progbits
	.p2align	6, 0x0
	.amdhsa_kernel _ZL32rocblas_syrkx_herkx_small_kernelIlfLi16ELb0ELb0ELc78ELc76EKffEviT_T0_PT6_S1_lS4_S1_lS2_PT7_S1_li
		.amdhsa_group_segment_fixed_size 2048
		.amdhsa_private_segment_fixed_size 0
		.amdhsa_kernarg_size 108
		.amdhsa_user_sgpr_count 6
		.amdhsa_user_sgpr_private_segment_buffer 1
		.amdhsa_user_sgpr_dispatch_ptr 0
		.amdhsa_user_sgpr_queue_ptr 0
		.amdhsa_user_sgpr_kernarg_segment_ptr 1
		.amdhsa_user_sgpr_dispatch_id 0
		.amdhsa_user_sgpr_flat_scratch_init 0
		.amdhsa_user_sgpr_private_segment_size 0
		.amdhsa_uses_dynamic_stack 0
		.amdhsa_system_sgpr_private_segment_wavefront_offset 0
		.amdhsa_system_sgpr_workgroup_id_x 1
		.amdhsa_system_sgpr_workgroup_id_y 1
		.amdhsa_system_sgpr_workgroup_id_z 1
		.amdhsa_system_sgpr_workgroup_info 0
		.amdhsa_system_vgpr_workitem_id 1
		.amdhsa_next_free_vgpr 27
		.amdhsa_next_free_sgpr 25
		.amdhsa_reserve_vcc 1
		.amdhsa_reserve_flat_scratch 0
		.amdhsa_float_round_mode_32 0
		.amdhsa_float_round_mode_16_64 0
		.amdhsa_float_denorm_mode_32 3
		.amdhsa_float_denorm_mode_16_64 3
		.amdhsa_dx10_clamp 1
		.amdhsa_ieee_mode 1
		.amdhsa_fp16_overflow 0
		.amdhsa_exception_fp_ieee_invalid_op 0
		.amdhsa_exception_fp_denorm_src 0
		.amdhsa_exception_fp_ieee_div_zero 0
		.amdhsa_exception_fp_ieee_overflow 0
		.amdhsa_exception_fp_ieee_underflow 0
		.amdhsa_exception_fp_ieee_inexact 0
		.amdhsa_exception_int_div_zero 0
	.end_amdhsa_kernel
	.section	.text._ZL32rocblas_syrkx_herkx_small_kernelIlfLi16ELb0ELb0ELc78ELc76EKffEviT_T0_PT6_S1_lS4_S1_lS2_PT7_S1_li,"axG",@progbits,_ZL32rocblas_syrkx_herkx_small_kernelIlfLi16ELb0ELb0ELc78ELc76EKffEviT_T0_PT6_S1_lS4_S1_lS2_PT7_S1_li,comdat
.Lfunc_end982:
	.size	_ZL32rocblas_syrkx_herkx_small_kernelIlfLi16ELb0ELb0ELc78ELc76EKffEviT_T0_PT6_S1_lS4_S1_lS2_PT7_S1_li, .Lfunc_end982-_ZL32rocblas_syrkx_herkx_small_kernelIlfLi16ELb0ELb0ELc78ELc76EKffEviT_T0_PT6_S1_lS4_S1_lS2_PT7_S1_li
                                        ; -- End function
	.set _ZL32rocblas_syrkx_herkx_small_kernelIlfLi16ELb0ELb0ELc78ELc76EKffEviT_T0_PT6_S1_lS4_S1_lS2_PT7_S1_li.num_vgpr, 27
	.set _ZL32rocblas_syrkx_herkx_small_kernelIlfLi16ELb0ELb0ELc78ELc76EKffEviT_T0_PT6_S1_lS4_S1_lS2_PT7_S1_li.num_agpr, 0
	.set _ZL32rocblas_syrkx_herkx_small_kernelIlfLi16ELb0ELb0ELc78ELc76EKffEviT_T0_PT6_S1_lS4_S1_lS2_PT7_S1_li.numbered_sgpr, 25
	.set _ZL32rocblas_syrkx_herkx_small_kernelIlfLi16ELb0ELb0ELc78ELc76EKffEviT_T0_PT6_S1_lS4_S1_lS2_PT7_S1_li.num_named_barrier, 0
	.set _ZL32rocblas_syrkx_herkx_small_kernelIlfLi16ELb0ELb0ELc78ELc76EKffEviT_T0_PT6_S1_lS4_S1_lS2_PT7_S1_li.private_seg_size, 0
	.set _ZL32rocblas_syrkx_herkx_small_kernelIlfLi16ELb0ELb0ELc78ELc76EKffEviT_T0_PT6_S1_lS4_S1_lS2_PT7_S1_li.uses_vcc, 1
	.set _ZL32rocblas_syrkx_herkx_small_kernelIlfLi16ELb0ELb0ELc78ELc76EKffEviT_T0_PT6_S1_lS4_S1_lS2_PT7_S1_li.uses_flat_scratch, 0
	.set _ZL32rocblas_syrkx_herkx_small_kernelIlfLi16ELb0ELb0ELc78ELc76EKffEviT_T0_PT6_S1_lS4_S1_lS2_PT7_S1_li.has_dyn_sized_stack, 0
	.set _ZL32rocblas_syrkx_herkx_small_kernelIlfLi16ELb0ELb0ELc78ELc76EKffEviT_T0_PT6_S1_lS4_S1_lS2_PT7_S1_li.has_recursion, 0
	.set _ZL32rocblas_syrkx_herkx_small_kernelIlfLi16ELb0ELb0ELc78ELc76EKffEviT_T0_PT6_S1_lS4_S1_lS2_PT7_S1_li.has_indirect_call, 0
	.section	.AMDGPU.csdata,"",@progbits
; Kernel info:
; codeLenInByte = 880
; TotalNumSgprs: 29
; NumVgprs: 27
; ScratchSize: 0
; MemoryBound: 0
; FloatMode: 240
; IeeeMode: 1
; LDSByteSize: 2048 bytes/workgroup (compile time only)
; SGPRBlocks: 3
; VGPRBlocks: 6
; NumSGPRsForWavesPerEU: 29
; NumVGPRsForWavesPerEU: 27
; Occupancy: 9
; WaveLimiterHint : 0
; COMPUTE_PGM_RSRC2:SCRATCH_EN: 0
; COMPUTE_PGM_RSRC2:USER_SGPR: 6
; COMPUTE_PGM_RSRC2:TRAP_HANDLER: 0
; COMPUTE_PGM_RSRC2:TGID_X_EN: 1
; COMPUTE_PGM_RSRC2:TGID_Y_EN: 1
; COMPUTE_PGM_RSRC2:TGID_Z_EN: 1
; COMPUTE_PGM_RSRC2:TIDIG_COMP_CNT: 1
	.section	.text._ZL32rocblas_syrkx_herkx_small_kernelIlfLi16ELb0ELb0ELc84ELc85EKffEviT_T0_PT6_S1_lS4_S1_lS2_PT7_S1_li,"axG",@progbits,_ZL32rocblas_syrkx_herkx_small_kernelIlfLi16ELb0ELb0ELc84ELc85EKffEviT_T0_PT6_S1_lS4_S1_lS2_PT7_S1_li,comdat
	.globl	_ZL32rocblas_syrkx_herkx_small_kernelIlfLi16ELb0ELb0ELc84ELc85EKffEviT_T0_PT6_S1_lS4_S1_lS2_PT7_S1_li ; -- Begin function _ZL32rocblas_syrkx_herkx_small_kernelIlfLi16ELb0ELb0ELc84ELc85EKffEviT_T0_PT6_S1_lS4_S1_lS2_PT7_S1_li
	.p2align	8
	.type	_ZL32rocblas_syrkx_herkx_small_kernelIlfLi16ELb0ELb0ELc84ELc85EKffEviT_T0_PT6_S1_lS4_S1_lS2_PT7_S1_li,@function
_ZL32rocblas_syrkx_herkx_small_kernelIlfLi16ELb0ELb0ELc84ELc85EKffEviT_T0_PT6_S1_lS4_S1_lS2_PT7_S1_li: ; @_ZL32rocblas_syrkx_herkx_small_kernelIlfLi16ELb0ELb0ELc84ELc85EKffEviT_T0_PT6_S1_lS4_S1_lS2_PT7_S1_li
; %bb.0:
	s_load_dwordx2 s[10:11], s[4:5], 0x8
	s_load_dword s9, s[4:5], 0x0
	v_lshl_add_u32 v2, s6, 4, v0
	v_lshl_add_u32 v9, s7, 4, v1
	v_ashrrev_i32_e32 v3, 31, v2
	s_waitcnt lgkmcnt(0)
	v_cmp_lt_i64_e64 s[0:1], s[10:11], 1
	v_ashrrev_i32_e32 v10, 31, v9
	s_and_b64 vcc, exec, s[0:1]
	v_cmp_gt_i32_e64 s[0:1], s9, v9
	s_cbranch_vccnz .LBB983_7
; %bb.1:
	s_load_dwordx8 s[12:19], s[4:5], 0x18
	s_load_dwordx4 s[20:23], s[4:5], 0x38
	v_lshlrev_b32_e32 v6, 6, v1
	v_lshlrev_b32_e32 v11, 2, v0
	v_add_u32_e32 v12, v11, v6
	v_add_u32_e32 v13, 0x400, v6
	s_waitcnt lgkmcnt(0)
	v_mul_lo_u32 v7, s21, v9
	v_mul_lo_u32 v15, s20, v10
	v_mad_u64_u32 v[4:5], s[6:7], s20, v9, 0
	s_mul_i32 s6, s23, s8
	s_mul_hi_u32 s7, s22, s8
	v_add3_u32 v5, v5, v15, v7
	v_lshlrev_b64 v[4:5], 2, v[4:5]
	s_add_i32 s7, s7, s6
	s_mul_i32 s6, s22, s8
	s_lshl_b64 s[6:7], s[6:7], 2
	v_mov_b32_e32 v6, s7
	v_add_co_u32_e32 v4, vcc, s6, v4
	v_addc_co_u32_e32 v5, vcc, v5, v6, vcc
	v_mul_lo_u32 v16, s15, v2
	v_mul_lo_u32 v17, s14, v3
	v_mad_u64_u32 v[6:7], s[6:7], s14, v2, 0
	v_add_co_u32_e32 v4, vcc, v4, v11
	v_addc_co_u32_e32 v5, vcc, 0, v5, vcc
	v_add3_u32 v7, v7, v17, v16
	s_mul_i32 s6, s17, s8
	s_mul_hi_u32 s7, s16, s8
	v_mov_b32_e32 v15, s19
	v_add_co_u32_e32 v4, vcc, s18, v4
	v_lshlrev_b64 v[6:7], 2, v[6:7]
	s_add_i32 s7, s7, s6
	s_mul_i32 s6, s16, s8
	v_addc_co_u32_e32 v5, vcc, v15, v5, vcc
	s_lshl_b64 s[6:7], s[6:7], 2
	v_mov_b32_e32 v15, s7
	v_add_co_u32_e32 v6, vcc, s6, v6
	v_addc_co_u32_e32 v7, vcc, v7, v15, vcc
	v_lshlrev_b32_e32 v15, 2, v1
	v_add_co_u32_e32 v6, vcc, v6, v15
	v_addc_co_u32_e32 v7, vcc, 0, v7, vcc
	v_mov_b32_e32 v15, s13
	v_add_co_u32_e32 v6, vcc, s12, v6
	v_mov_b32_e32 v8, 0
	v_cmp_gt_i32_e64 s[2:3], s9, v2
	v_add_u32_e32 v14, v13, v11
	v_addc_co_u32_e32 v7, vcc, v15, v7, vcc
	s_mov_b64 s[12:13], 0
	s_branch .LBB983_3
.LBB983_2:                              ;   in Loop: Header=BB983_3 Depth=1
	s_or_b64 exec, exec, s[6:7]
	s_waitcnt vmcnt(0)
	ds_write_b32 v14, v15
	s_waitcnt lgkmcnt(0)
	s_barrier
	ds_read2_b32 v[23:24], v11 offset1:16
	ds_read_b128 v[15:18], v13
	ds_read2_b32 v[25:26], v11 offset0:32 offset1:48
	ds_read_b128 v[19:22], v13 offset:16
	s_add_u32 s12, s12, 16
	v_add_co_u32_e32 v4, vcc, 64, v4
	s_waitcnt lgkmcnt(2)
	v_fmac_f32_e32 v8, v23, v15
	v_fmac_f32_e32 v8, v24, v16
	ds_read2_b32 v[23:24], v11 offset0:64 offset1:80
	s_waitcnt lgkmcnt(2)
	v_fmac_f32_e32 v8, v25, v17
	v_fmac_f32_e32 v8, v26, v18
	ds_read2_b32 v[25:26], v11 offset0:96 offset1:112
	ds_read_b128 v[15:18], v13 offset:32
	s_addc_u32 s13, s13, 0
	s_waitcnt lgkmcnt(2)
	v_fmac_f32_e32 v8, v23, v19
	v_fmac_f32_e32 v8, v24, v20
	ds_read2_b32 v[23:24], v11 offset0:128 offset1:144
	s_waitcnt lgkmcnt(2)
	v_fmac_f32_e32 v8, v25, v21
	v_fmac_f32_e32 v8, v26, v22
	ds_read2_b32 v[25:26], v11 offset0:160 offset1:176
	ds_read_b128 v[19:22], v13 offset:48
	v_addc_co_u32_e32 v5, vcc, 0, v5, vcc
	s_waitcnt lgkmcnt(2)
	v_fmac_f32_e32 v8, v23, v15
	v_fmac_f32_e32 v8, v24, v16
	ds_read2_b32 v[15:16], v11 offset0:192 offset1:208
	s_waitcnt lgkmcnt(2)
	v_fmac_f32_e32 v8, v25, v17
	v_fmac_f32_e32 v8, v26, v18
	ds_read2_b32 v[17:18], v11 offset0:224 offset1:240
	v_add_co_u32_e64 v6, s[6:7], 64, v6
	s_waitcnt lgkmcnt(1)
	v_fmac_f32_e32 v8, v15, v19
	v_fmac_f32_e32 v8, v16, v20
	v_mov_b32_e32 v16, s11
	v_mov_b32_e32 v15, s10
	v_cmp_ge_i64_e32 vcc, s[12:13], v[15:16]
	s_waitcnt lgkmcnt(0)
	v_fmac_f32_e32 v8, v17, v21
	v_fmac_f32_e32 v8, v18, v22
	v_addc_co_u32_e64 v7, s[6:7], 0, v7, s[6:7]
	s_barrier
	s_cbranch_vccnz .LBB983_8
.LBB983_3:                              ; =>This Inner Loop Header: Depth=1
	v_mov_b32_e32 v16, s13
	v_add_co_u32_e32 v15, vcc, s12, v1
	v_addc_co_u32_e32 v16, vcc, 0, v16, vcc
	v_cmp_gt_i64_e32 vcc, s[10:11], v[15:16]
	v_mov_b32_e32 v15, 0
	s_and_b64 s[14:15], s[2:3], vcc
	s_and_saveexec_b64 s[6:7], s[14:15]
	s_cbranch_execz .LBB983_5
; %bb.4:                                ;   in Loop: Header=BB983_3 Depth=1
	global_load_dword v15, v[6:7], off
.LBB983_5:                              ;   in Loop: Header=BB983_3 Depth=1
	s_or_b64 exec, exec, s[6:7]
	v_mov_b32_e32 v17, s13
	v_add_co_u32_e32 v16, vcc, s12, v0
	v_addc_co_u32_e32 v17, vcc, 0, v17, vcc
	v_cmp_gt_i64_e32 vcc, s[10:11], v[16:17]
	s_waitcnt vmcnt(0)
	ds_write_b32 v12, v15
	s_and_b64 s[14:15], s[0:1], vcc
	v_mov_b32_e32 v15, 0
	s_and_saveexec_b64 s[6:7], s[14:15]
	s_cbranch_execz .LBB983_2
; %bb.6:                                ;   in Loop: Header=BB983_3 Depth=1
	global_load_dword v15, v[4:5], off
	s_branch .LBB983_2
.LBB983_7:
	v_mov_b32_e32 v8, 0
.LBB983_8:
	v_cmp_le_i32_e32 vcc, v2, v9
	v_cmp_gt_i32_e64 s[0:1], s9, v9
	s_and_b64 s[0:1], vcc, s[0:1]
	s_and_saveexec_b64 s[2:3], s[0:1]
	s_cbranch_execz .LBB983_10
; %bb.9:
	s_load_dwordx2 s[6:7], s[4:5], 0x60
	s_load_dwordx4 s[0:3], s[4:5], 0x50
	s_waitcnt lgkmcnt(0)
	s_mul_i32 s7, s7, s8
	v_mul_lo_u32 v4, s3, v9
	v_mul_lo_u32 v5, s2, v10
	v_mad_u64_u32 v[0:1], s[2:3], s2, v9, 0
	s_mul_hi_u32 s9, s6, s8
	s_mul_i32 s6, s6, s8
	s_add_i32 s7, s9, s7
	s_lshl_b64 s[2:3], s[6:7], 2
	v_add3_u32 v1, v1, v5, v4
	s_add_u32 s0, s0, s2
	v_lshlrev_b64 v[0:1], 2, v[0:1]
	s_addc_u32 s1, s1, s3
	v_mov_b32_e32 v4, s1
	v_add_co_u32_e32 v5, vcc, s0, v0
	v_addc_co_u32_e32 v4, vcc, v4, v1, vcc
	v_lshlrev_b64 v[0:1], 2, v[2:3]
	v_add_co_u32_e32 v0, vcc, v5, v0
	v_addc_co_u32_e32 v1, vcc, v4, v1, vcc
	global_load_dword v2, v[0:1], off
	s_load_dword s0, s[4:5], 0x48
	s_load_dword s1, s[4:5], 0x10
	s_waitcnt vmcnt(0) lgkmcnt(0)
	v_mul_f32_e32 v2, s0, v2
	v_fmac_f32_e32 v2, s1, v8
	global_store_dword v[0:1], v2, off
.LBB983_10:
	s_endpgm
	.section	.rodata,"a",@progbits
	.p2align	6, 0x0
	.amdhsa_kernel _ZL32rocblas_syrkx_herkx_small_kernelIlfLi16ELb0ELb0ELc84ELc85EKffEviT_T0_PT6_S1_lS4_S1_lS2_PT7_S1_li
		.amdhsa_group_segment_fixed_size 2048
		.amdhsa_private_segment_fixed_size 0
		.amdhsa_kernarg_size 108
		.amdhsa_user_sgpr_count 6
		.amdhsa_user_sgpr_private_segment_buffer 1
		.amdhsa_user_sgpr_dispatch_ptr 0
		.amdhsa_user_sgpr_queue_ptr 0
		.amdhsa_user_sgpr_kernarg_segment_ptr 1
		.amdhsa_user_sgpr_dispatch_id 0
		.amdhsa_user_sgpr_flat_scratch_init 0
		.amdhsa_user_sgpr_private_segment_size 0
		.amdhsa_uses_dynamic_stack 0
		.amdhsa_system_sgpr_private_segment_wavefront_offset 0
		.amdhsa_system_sgpr_workgroup_id_x 1
		.amdhsa_system_sgpr_workgroup_id_y 1
		.amdhsa_system_sgpr_workgroup_id_z 1
		.amdhsa_system_sgpr_workgroup_info 0
		.amdhsa_system_vgpr_workitem_id 1
		.amdhsa_next_free_vgpr 27
		.amdhsa_next_free_sgpr 24
		.amdhsa_reserve_vcc 1
		.amdhsa_reserve_flat_scratch 0
		.amdhsa_float_round_mode_32 0
		.amdhsa_float_round_mode_16_64 0
		.amdhsa_float_denorm_mode_32 3
		.amdhsa_float_denorm_mode_16_64 3
		.amdhsa_dx10_clamp 1
		.amdhsa_ieee_mode 1
		.amdhsa_fp16_overflow 0
		.amdhsa_exception_fp_ieee_invalid_op 0
		.amdhsa_exception_fp_denorm_src 0
		.amdhsa_exception_fp_ieee_div_zero 0
		.amdhsa_exception_fp_ieee_overflow 0
		.amdhsa_exception_fp_ieee_underflow 0
		.amdhsa_exception_fp_ieee_inexact 0
		.amdhsa_exception_int_div_zero 0
	.end_amdhsa_kernel
	.section	.text._ZL32rocblas_syrkx_herkx_small_kernelIlfLi16ELb0ELb0ELc84ELc85EKffEviT_T0_PT6_S1_lS4_S1_lS2_PT7_S1_li,"axG",@progbits,_ZL32rocblas_syrkx_herkx_small_kernelIlfLi16ELb0ELb0ELc84ELc85EKffEviT_T0_PT6_S1_lS4_S1_lS2_PT7_S1_li,comdat
.Lfunc_end983:
	.size	_ZL32rocblas_syrkx_herkx_small_kernelIlfLi16ELb0ELb0ELc84ELc85EKffEviT_T0_PT6_S1_lS4_S1_lS2_PT7_S1_li, .Lfunc_end983-_ZL32rocblas_syrkx_herkx_small_kernelIlfLi16ELb0ELb0ELc84ELc85EKffEviT_T0_PT6_S1_lS4_S1_lS2_PT7_S1_li
                                        ; -- End function
	.set _ZL32rocblas_syrkx_herkx_small_kernelIlfLi16ELb0ELb0ELc84ELc85EKffEviT_T0_PT6_S1_lS4_S1_lS2_PT7_S1_li.num_vgpr, 27
	.set _ZL32rocblas_syrkx_herkx_small_kernelIlfLi16ELb0ELb0ELc84ELc85EKffEviT_T0_PT6_S1_lS4_S1_lS2_PT7_S1_li.num_agpr, 0
	.set _ZL32rocblas_syrkx_herkx_small_kernelIlfLi16ELb0ELb0ELc84ELc85EKffEviT_T0_PT6_S1_lS4_S1_lS2_PT7_S1_li.numbered_sgpr, 24
	.set _ZL32rocblas_syrkx_herkx_small_kernelIlfLi16ELb0ELb0ELc84ELc85EKffEviT_T0_PT6_S1_lS4_S1_lS2_PT7_S1_li.num_named_barrier, 0
	.set _ZL32rocblas_syrkx_herkx_small_kernelIlfLi16ELb0ELb0ELc84ELc85EKffEviT_T0_PT6_S1_lS4_S1_lS2_PT7_S1_li.private_seg_size, 0
	.set _ZL32rocblas_syrkx_herkx_small_kernelIlfLi16ELb0ELb0ELc84ELc85EKffEviT_T0_PT6_S1_lS4_S1_lS2_PT7_S1_li.uses_vcc, 1
	.set _ZL32rocblas_syrkx_herkx_small_kernelIlfLi16ELb0ELb0ELc84ELc85EKffEviT_T0_PT6_S1_lS4_S1_lS2_PT7_S1_li.uses_flat_scratch, 0
	.set _ZL32rocblas_syrkx_herkx_small_kernelIlfLi16ELb0ELb0ELc84ELc85EKffEviT_T0_PT6_S1_lS4_S1_lS2_PT7_S1_li.has_dyn_sized_stack, 0
	.set _ZL32rocblas_syrkx_herkx_small_kernelIlfLi16ELb0ELb0ELc84ELc85EKffEviT_T0_PT6_S1_lS4_S1_lS2_PT7_S1_li.has_recursion, 0
	.set _ZL32rocblas_syrkx_herkx_small_kernelIlfLi16ELb0ELb0ELc84ELc85EKffEviT_T0_PT6_S1_lS4_S1_lS2_PT7_S1_li.has_indirect_call, 0
	.section	.AMDGPU.csdata,"",@progbits
; Kernel info:
; codeLenInByte = 880
; TotalNumSgprs: 28
; NumVgprs: 27
; ScratchSize: 0
; MemoryBound: 0
; FloatMode: 240
; IeeeMode: 1
; LDSByteSize: 2048 bytes/workgroup (compile time only)
; SGPRBlocks: 3
; VGPRBlocks: 6
; NumSGPRsForWavesPerEU: 28
; NumVGPRsForWavesPerEU: 27
; Occupancy: 9
; WaveLimiterHint : 0
; COMPUTE_PGM_RSRC2:SCRATCH_EN: 0
; COMPUTE_PGM_RSRC2:USER_SGPR: 6
; COMPUTE_PGM_RSRC2:TRAP_HANDLER: 0
; COMPUTE_PGM_RSRC2:TGID_X_EN: 1
; COMPUTE_PGM_RSRC2:TGID_Y_EN: 1
; COMPUTE_PGM_RSRC2:TGID_Z_EN: 1
; COMPUTE_PGM_RSRC2:TIDIG_COMP_CNT: 1
	.section	.text._ZL32rocblas_syrkx_herkx_small_kernelIlfLi16ELb0ELb0ELc67ELc85EKffEviT_T0_PT6_S1_lS4_S1_lS2_PT7_S1_li,"axG",@progbits,_ZL32rocblas_syrkx_herkx_small_kernelIlfLi16ELb0ELb0ELc67ELc85EKffEviT_T0_PT6_S1_lS4_S1_lS2_PT7_S1_li,comdat
	.globl	_ZL32rocblas_syrkx_herkx_small_kernelIlfLi16ELb0ELb0ELc67ELc85EKffEviT_T0_PT6_S1_lS4_S1_lS2_PT7_S1_li ; -- Begin function _ZL32rocblas_syrkx_herkx_small_kernelIlfLi16ELb0ELb0ELc67ELc85EKffEviT_T0_PT6_S1_lS4_S1_lS2_PT7_S1_li
	.p2align	8
	.type	_ZL32rocblas_syrkx_herkx_small_kernelIlfLi16ELb0ELb0ELc67ELc85EKffEviT_T0_PT6_S1_lS4_S1_lS2_PT7_S1_li,@function
_ZL32rocblas_syrkx_herkx_small_kernelIlfLi16ELb0ELb0ELc67ELc85EKffEviT_T0_PT6_S1_lS4_S1_lS2_PT7_S1_li: ; @_ZL32rocblas_syrkx_herkx_small_kernelIlfLi16ELb0ELb0ELc67ELc85EKffEviT_T0_PT6_S1_lS4_S1_lS2_PT7_S1_li
; %bb.0:
	s_load_dwordx2 s[10:11], s[4:5], 0x8
	s_load_dword s9, s[4:5], 0x0
	v_lshl_add_u32 v2, s6, 4, v0
	v_lshl_add_u32 v9, s7, 4, v1
	v_ashrrev_i32_e32 v3, 31, v2
	s_waitcnt lgkmcnt(0)
	v_cmp_lt_i64_e64 s[0:1], s[10:11], 1
	v_ashrrev_i32_e32 v10, 31, v9
	s_and_b64 vcc, exec, s[0:1]
	v_cmp_gt_i32_e64 s[0:1], s9, v9
	s_cbranch_vccnz .LBB984_7
; %bb.1:
	s_load_dwordx8 s[12:19], s[4:5], 0x18
	s_load_dwordx4 s[20:23], s[4:5], 0x38
	v_lshlrev_b32_e32 v6, 6, v1
	v_lshlrev_b32_e32 v11, 2, v0
	v_add_u32_e32 v12, v11, v6
	v_add_u32_e32 v13, 0x400, v6
	s_waitcnt lgkmcnt(0)
	v_mul_lo_u32 v7, s21, v9
	v_mul_lo_u32 v15, s20, v10
	v_mad_u64_u32 v[4:5], s[6:7], s20, v9, 0
	s_mul_i32 s6, s23, s8
	s_mul_hi_u32 s7, s22, s8
	v_add3_u32 v5, v5, v15, v7
	v_lshlrev_b64 v[4:5], 2, v[4:5]
	s_add_i32 s7, s7, s6
	s_mul_i32 s6, s22, s8
	s_lshl_b64 s[6:7], s[6:7], 2
	v_mov_b32_e32 v6, s7
	v_add_co_u32_e32 v4, vcc, s6, v4
	v_addc_co_u32_e32 v5, vcc, v5, v6, vcc
	v_mul_lo_u32 v16, s15, v2
	v_mul_lo_u32 v17, s14, v3
	v_mad_u64_u32 v[6:7], s[6:7], s14, v2, 0
	v_add_co_u32_e32 v4, vcc, v4, v11
	v_addc_co_u32_e32 v5, vcc, 0, v5, vcc
	v_add3_u32 v7, v7, v17, v16
	s_mul_i32 s6, s17, s8
	s_mul_hi_u32 s7, s16, s8
	v_mov_b32_e32 v15, s19
	v_add_co_u32_e32 v4, vcc, s18, v4
	v_lshlrev_b64 v[6:7], 2, v[6:7]
	s_add_i32 s7, s7, s6
	s_mul_i32 s6, s16, s8
	v_addc_co_u32_e32 v5, vcc, v15, v5, vcc
	s_lshl_b64 s[6:7], s[6:7], 2
	v_mov_b32_e32 v15, s7
	v_add_co_u32_e32 v6, vcc, s6, v6
	v_addc_co_u32_e32 v7, vcc, v7, v15, vcc
	v_lshlrev_b32_e32 v15, 2, v1
	v_add_co_u32_e32 v6, vcc, v6, v15
	v_addc_co_u32_e32 v7, vcc, 0, v7, vcc
	v_mov_b32_e32 v15, s13
	v_add_co_u32_e32 v6, vcc, s12, v6
	v_mov_b32_e32 v8, 0
	v_cmp_gt_i32_e64 s[2:3], s9, v2
	v_add_u32_e32 v14, v13, v11
	v_addc_co_u32_e32 v7, vcc, v15, v7, vcc
	s_mov_b64 s[12:13], 0
	s_branch .LBB984_3
.LBB984_2:                              ;   in Loop: Header=BB984_3 Depth=1
	s_or_b64 exec, exec, s[6:7]
	s_waitcnt vmcnt(0)
	ds_write_b32 v14, v15
	s_waitcnt lgkmcnt(0)
	s_barrier
	ds_read2_b32 v[23:24], v11 offset1:16
	ds_read_b128 v[15:18], v13
	ds_read2_b32 v[25:26], v11 offset0:32 offset1:48
	ds_read_b128 v[19:22], v13 offset:16
	s_add_u32 s12, s12, 16
	v_add_co_u32_e32 v4, vcc, 64, v4
	s_waitcnt lgkmcnt(2)
	v_fmac_f32_e32 v8, v23, v15
	v_fmac_f32_e32 v8, v24, v16
	ds_read2_b32 v[23:24], v11 offset0:64 offset1:80
	s_waitcnt lgkmcnt(2)
	v_fmac_f32_e32 v8, v25, v17
	v_fmac_f32_e32 v8, v26, v18
	ds_read2_b32 v[25:26], v11 offset0:96 offset1:112
	ds_read_b128 v[15:18], v13 offset:32
	s_addc_u32 s13, s13, 0
	s_waitcnt lgkmcnt(2)
	v_fmac_f32_e32 v8, v23, v19
	v_fmac_f32_e32 v8, v24, v20
	ds_read2_b32 v[23:24], v11 offset0:128 offset1:144
	s_waitcnt lgkmcnt(2)
	v_fmac_f32_e32 v8, v25, v21
	v_fmac_f32_e32 v8, v26, v22
	ds_read2_b32 v[25:26], v11 offset0:160 offset1:176
	ds_read_b128 v[19:22], v13 offset:48
	v_addc_co_u32_e32 v5, vcc, 0, v5, vcc
	s_waitcnt lgkmcnt(2)
	v_fmac_f32_e32 v8, v23, v15
	v_fmac_f32_e32 v8, v24, v16
	ds_read2_b32 v[15:16], v11 offset0:192 offset1:208
	s_waitcnt lgkmcnt(2)
	v_fmac_f32_e32 v8, v25, v17
	v_fmac_f32_e32 v8, v26, v18
	ds_read2_b32 v[17:18], v11 offset0:224 offset1:240
	v_add_co_u32_e64 v6, s[6:7], 64, v6
	s_waitcnt lgkmcnt(1)
	v_fmac_f32_e32 v8, v15, v19
	v_fmac_f32_e32 v8, v16, v20
	v_mov_b32_e32 v16, s11
	v_mov_b32_e32 v15, s10
	v_cmp_ge_i64_e32 vcc, s[12:13], v[15:16]
	s_waitcnt lgkmcnt(0)
	v_fmac_f32_e32 v8, v17, v21
	v_fmac_f32_e32 v8, v18, v22
	v_addc_co_u32_e64 v7, s[6:7], 0, v7, s[6:7]
	s_barrier
	s_cbranch_vccnz .LBB984_8
.LBB984_3:                              ; =>This Inner Loop Header: Depth=1
	v_mov_b32_e32 v16, s13
	v_add_co_u32_e32 v15, vcc, s12, v1
	v_addc_co_u32_e32 v16, vcc, 0, v16, vcc
	v_cmp_gt_i64_e32 vcc, s[10:11], v[15:16]
	v_mov_b32_e32 v15, 0
	s_and_b64 s[14:15], s[2:3], vcc
	s_and_saveexec_b64 s[6:7], s[14:15]
	s_cbranch_execz .LBB984_5
; %bb.4:                                ;   in Loop: Header=BB984_3 Depth=1
	global_load_dword v15, v[6:7], off
.LBB984_5:                              ;   in Loop: Header=BB984_3 Depth=1
	s_or_b64 exec, exec, s[6:7]
	v_mov_b32_e32 v17, s13
	v_add_co_u32_e32 v16, vcc, s12, v0
	v_addc_co_u32_e32 v17, vcc, 0, v17, vcc
	v_cmp_gt_i64_e32 vcc, s[10:11], v[16:17]
	s_waitcnt vmcnt(0)
	ds_write_b32 v12, v15
	s_and_b64 s[14:15], s[0:1], vcc
	v_mov_b32_e32 v15, 0
	s_and_saveexec_b64 s[6:7], s[14:15]
	s_cbranch_execz .LBB984_2
; %bb.6:                                ;   in Loop: Header=BB984_3 Depth=1
	global_load_dword v15, v[4:5], off
	s_branch .LBB984_2
.LBB984_7:
	v_mov_b32_e32 v8, 0
.LBB984_8:
	v_cmp_le_i32_e32 vcc, v2, v9
	v_cmp_gt_i32_e64 s[0:1], s9, v9
	s_and_b64 s[0:1], vcc, s[0:1]
	s_and_saveexec_b64 s[2:3], s[0:1]
	s_cbranch_execz .LBB984_10
; %bb.9:
	s_load_dwordx2 s[6:7], s[4:5], 0x60
	s_load_dwordx4 s[0:3], s[4:5], 0x50
	s_waitcnt lgkmcnt(0)
	s_mul_i32 s7, s7, s8
	v_mul_lo_u32 v4, s3, v9
	v_mul_lo_u32 v5, s2, v10
	v_mad_u64_u32 v[0:1], s[2:3], s2, v9, 0
	s_mul_hi_u32 s9, s6, s8
	s_mul_i32 s6, s6, s8
	s_add_i32 s7, s9, s7
	s_lshl_b64 s[2:3], s[6:7], 2
	v_add3_u32 v1, v1, v5, v4
	s_add_u32 s0, s0, s2
	v_lshlrev_b64 v[0:1], 2, v[0:1]
	s_addc_u32 s1, s1, s3
	v_mov_b32_e32 v4, s1
	v_add_co_u32_e32 v5, vcc, s0, v0
	v_addc_co_u32_e32 v4, vcc, v4, v1, vcc
	v_lshlrev_b64 v[0:1], 2, v[2:3]
	v_add_co_u32_e32 v0, vcc, v5, v0
	v_addc_co_u32_e32 v1, vcc, v4, v1, vcc
	global_load_dword v2, v[0:1], off
	s_load_dword s0, s[4:5], 0x48
	s_load_dword s1, s[4:5], 0x10
	s_waitcnt vmcnt(0) lgkmcnt(0)
	v_mul_f32_e32 v2, s0, v2
	v_fmac_f32_e32 v2, s1, v8
	global_store_dword v[0:1], v2, off
.LBB984_10:
	s_endpgm
	.section	.rodata,"a",@progbits
	.p2align	6, 0x0
	.amdhsa_kernel _ZL32rocblas_syrkx_herkx_small_kernelIlfLi16ELb0ELb0ELc67ELc85EKffEviT_T0_PT6_S1_lS4_S1_lS2_PT7_S1_li
		.amdhsa_group_segment_fixed_size 2048
		.amdhsa_private_segment_fixed_size 0
		.amdhsa_kernarg_size 108
		.amdhsa_user_sgpr_count 6
		.amdhsa_user_sgpr_private_segment_buffer 1
		.amdhsa_user_sgpr_dispatch_ptr 0
		.amdhsa_user_sgpr_queue_ptr 0
		.amdhsa_user_sgpr_kernarg_segment_ptr 1
		.amdhsa_user_sgpr_dispatch_id 0
		.amdhsa_user_sgpr_flat_scratch_init 0
		.amdhsa_user_sgpr_private_segment_size 0
		.amdhsa_uses_dynamic_stack 0
		.amdhsa_system_sgpr_private_segment_wavefront_offset 0
		.amdhsa_system_sgpr_workgroup_id_x 1
		.amdhsa_system_sgpr_workgroup_id_y 1
		.amdhsa_system_sgpr_workgroup_id_z 1
		.amdhsa_system_sgpr_workgroup_info 0
		.amdhsa_system_vgpr_workitem_id 1
		.amdhsa_next_free_vgpr 27
		.amdhsa_next_free_sgpr 24
		.amdhsa_reserve_vcc 1
		.amdhsa_reserve_flat_scratch 0
		.amdhsa_float_round_mode_32 0
		.amdhsa_float_round_mode_16_64 0
		.amdhsa_float_denorm_mode_32 3
		.amdhsa_float_denorm_mode_16_64 3
		.amdhsa_dx10_clamp 1
		.amdhsa_ieee_mode 1
		.amdhsa_fp16_overflow 0
		.amdhsa_exception_fp_ieee_invalid_op 0
		.amdhsa_exception_fp_denorm_src 0
		.amdhsa_exception_fp_ieee_div_zero 0
		.amdhsa_exception_fp_ieee_overflow 0
		.amdhsa_exception_fp_ieee_underflow 0
		.amdhsa_exception_fp_ieee_inexact 0
		.amdhsa_exception_int_div_zero 0
	.end_amdhsa_kernel
	.section	.text._ZL32rocblas_syrkx_herkx_small_kernelIlfLi16ELb0ELb0ELc67ELc85EKffEviT_T0_PT6_S1_lS4_S1_lS2_PT7_S1_li,"axG",@progbits,_ZL32rocblas_syrkx_herkx_small_kernelIlfLi16ELb0ELb0ELc67ELc85EKffEviT_T0_PT6_S1_lS4_S1_lS2_PT7_S1_li,comdat
.Lfunc_end984:
	.size	_ZL32rocblas_syrkx_herkx_small_kernelIlfLi16ELb0ELb0ELc67ELc85EKffEviT_T0_PT6_S1_lS4_S1_lS2_PT7_S1_li, .Lfunc_end984-_ZL32rocblas_syrkx_herkx_small_kernelIlfLi16ELb0ELb0ELc67ELc85EKffEviT_T0_PT6_S1_lS4_S1_lS2_PT7_S1_li
                                        ; -- End function
	.set _ZL32rocblas_syrkx_herkx_small_kernelIlfLi16ELb0ELb0ELc67ELc85EKffEviT_T0_PT6_S1_lS4_S1_lS2_PT7_S1_li.num_vgpr, 27
	.set _ZL32rocblas_syrkx_herkx_small_kernelIlfLi16ELb0ELb0ELc67ELc85EKffEviT_T0_PT6_S1_lS4_S1_lS2_PT7_S1_li.num_agpr, 0
	.set _ZL32rocblas_syrkx_herkx_small_kernelIlfLi16ELb0ELb0ELc67ELc85EKffEviT_T0_PT6_S1_lS4_S1_lS2_PT7_S1_li.numbered_sgpr, 24
	.set _ZL32rocblas_syrkx_herkx_small_kernelIlfLi16ELb0ELb0ELc67ELc85EKffEviT_T0_PT6_S1_lS4_S1_lS2_PT7_S1_li.num_named_barrier, 0
	.set _ZL32rocblas_syrkx_herkx_small_kernelIlfLi16ELb0ELb0ELc67ELc85EKffEviT_T0_PT6_S1_lS4_S1_lS2_PT7_S1_li.private_seg_size, 0
	.set _ZL32rocblas_syrkx_herkx_small_kernelIlfLi16ELb0ELb0ELc67ELc85EKffEviT_T0_PT6_S1_lS4_S1_lS2_PT7_S1_li.uses_vcc, 1
	.set _ZL32rocblas_syrkx_herkx_small_kernelIlfLi16ELb0ELb0ELc67ELc85EKffEviT_T0_PT6_S1_lS4_S1_lS2_PT7_S1_li.uses_flat_scratch, 0
	.set _ZL32rocblas_syrkx_herkx_small_kernelIlfLi16ELb0ELb0ELc67ELc85EKffEviT_T0_PT6_S1_lS4_S1_lS2_PT7_S1_li.has_dyn_sized_stack, 0
	.set _ZL32rocblas_syrkx_herkx_small_kernelIlfLi16ELb0ELb0ELc67ELc85EKffEviT_T0_PT6_S1_lS4_S1_lS2_PT7_S1_li.has_recursion, 0
	.set _ZL32rocblas_syrkx_herkx_small_kernelIlfLi16ELb0ELb0ELc67ELc85EKffEviT_T0_PT6_S1_lS4_S1_lS2_PT7_S1_li.has_indirect_call, 0
	.section	.AMDGPU.csdata,"",@progbits
; Kernel info:
; codeLenInByte = 880
; TotalNumSgprs: 28
; NumVgprs: 27
; ScratchSize: 0
; MemoryBound: 0
; FloatMode: 240
; IeeeMode: 1
; LDSByteSize: 2048 bytes/workgroup (compile time only)
; SGPRBlocks: 3
; VGPRBlocks: 6
; NumSGPRsForWavesPerEU: 28
; NumVGPRsForWavesPerEU: 27
; Occupancy: 9
; WaveLimiterHint : 0
; COMPUTE_PGM_RSRC2:SCRATCH_EN: 0
; COMPUTE_PGM_RSRC2:USER_SGPR: 6
; COMPUTE_PGM_RSRC2:TRAP_HANDLER: 0
; COMPUTE_PGM_RSRC2:TGID_X_EN: 1
; COMPUTE_PGM_RSRC2:TGID_Y_EN: 1
; COMPUTE_PGM_RSRC2:TGID_Z_EN: 1
; COMPUTE_PGM_RSRC2:TIDIG_COMP_CNT: 1
	.section	.text._ZL32rocblas_syrkx_herkx_small_kernelIlfLi16ELb0ELb0ELc78ELc85EKffEviT_T0_PT6_S1_lS4_S1_lS2_PT7_S1_li,"axG",@progbits,_ZL32rocblas_syrkx_herkx_small_kernelIlfLi16ELb0ELb0ELc78ELc85EKffEviT_T0_PT6_S1_lS4_S1_lS2_PT7_S1_li,comdat
	.globl	_ZL32rocblas_syrkx_herkx_small_kernelIlfLi16ELb0ELb0ELc78ELc85EKffEviT_T0_PT6_S1_lS4_S1_lS2_PT7_S1_li ; -- Begin function _ZL32rocblas_syrkx_herkx_small_kernelIlfLi16ELb0ELb0ELc78ELc85EKffEviT_T0_PT6_S1_lS4_S1_lS2_PT7_S1_li
	.p2align	8
	.type	_ZL32rocblas_syrkx_herkx_small_kernelIlfLi16ELb0ELb0ELc78ELc85EKffEviT_T0_PT6_S1_lS4_S1_lS2_PT7_S1_li,@function
_ZL32rocblas_syrkx_herkx_small_kernelIlfLi16ELb0ELb0ELc78ELc85EKffEviT_T0_PT6_S1_lS4_S1_lS2_PT7_S1_li: ; @_ZL32rocblas_syrkx_herkx_small_kernelIlfLi16ELb0ELb0ELc78ELc85EKffEviT_T0_PT6_S1_lS4_S1_lS2_PT7_S1_li
; %bb.0:
	s_load_dwordx2 s[10:11], s[4:5], 0x8
	s_load_dword s9, s[4:5], 0x0
	v_lshl_add_u32 v2, s6, 4, v0
	v_lshl_add_u32 v4, s7, 4, v1
	v_ashrrev_i32_e32 v3, 31, v2
	s_waitcnt lgkmcnt(0)
	v_cmp_lt_i64_e64 s[0:1], s[10:11], 1
	v_ashrrev_i32_e32 v5, 31, v4
	s_and_b64 vcc, exec, s[0:1]
	v_cmp_gt_i32_e64 s[0:1], s9, v4
	s_cbranch_vccnz .LBB985_7
; %bb.1:
	s_load_dwordx8 s[12:19], s[4:5], 0x18
	s_load_dwordx4 s[20:23], s[4:5], 0x38
	v_lshlrev_b32_e32 v6, 6, v1
	v_lshlrev_b32_e32 v11, 2, v0
	v_add_u32_e32 v12, v11, v6
	v_add_u32_e32 v13, 0x400, v6
	s_waitcnt lgkmcnt(0)
	v_mad_u64_u32 v[6:7], s[6:7], s20, v0, 0
	s_mul_i32 s23, s23, s8
	s_mul_hi_u32 s24, s22, s8
	v_mad_u64_u32 v[7:8], s[6:7], s21, v0, v[7:8]
	s_add_i32 s7, s24, s23
	s_mul_i32 s6, s22, s8
	v_lshlrev_b64 v[6:7], 2, v[6:7]
	s_lshl_b64 s[6:7], s[6:7], 2
	v_mov_b32_e32 v8, s7
	v_add_co_u32_e32 v9, vcc, s6, v6
	v_addc_co_u32_e32 v8, vcc, v8, v7, vcc
	v_lshlrev_b64 v[6:7], 2, v[4:5]
	v_mov_b32_e32 v10, 0
	v_add_co_u32_e32 v6, vcc, v9, v6
	v_addc_co_u32_e32 v7, vcc, v8, v7, vcc
	v_mov_b32_e32 v8, s19
	v_add_co_u32_e32 v6, vcc, s18, v6
	v_addc_co_u32_e32 v7, vcc, v8, v7, vcc
	v_mad_u64_u32 v[8:9], s[6:7], s14, v1, 0
	s_lshl_b64 s[18:19], s[20:21], 6
	s_mul_i32 s17, s17, s8
	v_mad_u64_u32 v[15:16], s[6:7], s15, v1, v[9:10]
	s_mul_hi_u32 s20, s16, s8
	s_add_i32 s7, s20, s17
	v_mov_b32_e32 v9, v15
	s_mul_i32 s6, s16, s8
	v_lshlrev_b64 v[8:9], 2, v[8:9]
	s_lshl_b64 s[6:7], s[6:7], 2
	v_mov_b32_e32 v15, s7
	v_add_co_u32_e32 v16, vcc, s6, v8
	v_addc_co_u32_e32 v15, vcc, v15, v9, vcc
	v_lshlrev_b64 v[8:9], 2, v[2:3]
	v_cmp_gt_i32_e64 s[2:3], s9, v2
	v_add_co_u32_e32 v8, vcc, v16, v8
	v_addc_co_u32_e32 v9, vcc, v15, v9, vcc
	v_mov_b32_e32 v15, s13
	v_add_co_u32_e32 v8, vcc, s12, v8
	v_add_u32_e32 v14, v13, v11
	v_addc_co_u32_e32 v9, vcc, v15, v9, vcc
	s_lshl_b64 s[12:13], s[14:15], 6
	s_mov_b64 s[14:15], 0
	s_branch .LBB985_3
.LBB985_2:                              ;   in Loop: Header=BB985_3 Depth=1
	s_or_b64 exec, exec, s[6:7]
	s_waitcnt vmcnt(0)
	ds_write_b32 v14, v15
	s_waitcnt lgkmcnt(0)
	s_barrier
	ds_read2_b32 v[23:24], v11 offset1:16
	ds_read_b128 v[15:18], v13
	ds_read2_b32 v[25:26], v11 offset0:32 offset1:48
	ds_read_b128 v[19:22], v13 offset:16
	v_add_co_u32_e32 v6, vcc, s18, v6
	s_waitcnt lgkmcnt(2)
	v_fmac_f32_e32 v10, v23, v15
	v_fmac_f32_e32 v10, v24, v16
	ds_read2_b32 v[23:24], v11 offset0:64 offset1:80
	s_waitcnt lgkmcnt(2)
	v_fmac_f32_e32 v10, v25, v17
	v_fmac_f32_e32 v10, v26, v18
	ds_read2_b32 v[25:26], v11 offset0:96 offset1:112
	ds_read_b128 v[15:18], v13 offset:32
	s_add_u32 s14, s14, 16
	s_waitcnt lgkmcnt(2)
	v_fmac_f32_e32 v10, v23, v19
	v_fmac_f32_e32 v10, v24, v20
	ds_read2_b32 v[23:24], v11 offset0:128 offset1:144
	s_waitcnt lgkmcnt(2)
	v_fmac_f32_e32 v10, v25, v21
	v_fmac_f32_e32 v10, v26, v22
	ds_read2_b32 v[25:26], v11 offset0:160 offset1:176
	ds_read_b128 v[19:22], v13 offset:48
	s_addc_u32 s15, s15, 0
	s_waitcnt lgkmcnt(2)
	v_fmac_f32_e32 v10, v23, v15
	v_fmac_f32_e32 v10, v24, v16
	ds_read2_b32 v[15:16], v11 offset0:192 offset1:208
	s_waitcnt lgkmcnt(2)
	v_fmac_f32_e32 v10, v25, v17
	v_fmac_f32_e32 v10, v26, v18
	ds_read2_b32 v[17:18], v11 offset0:224 offset1:240
	v_add_co_u32_e64 v8, s[6:7], s12, v8
	s_waitcnt lgkmcnt(1)
	v_fmac_f32_e32 v10, v15, v19
	v_mov_b32_e32 v15, s19
	v_fmac_f32_e32 v10, v16, v20
	v_addc_co_u32_e32 v7, vcc, v7, v15, vcc
	v_mov_b32_e32 v16, s11
	v_mov_b32_e32 v15, s10
	v_cmp_ge_i64_e32 vcc, s[14:15], v[15:16]
	s_waitcnt lgkmcnt(0)
	v_fmac_f32_e32 v10, v17, v21
	v_mov_b32_e32 v17, s13
	v_fmac_f32_e32 v10, v18, v22
	v_addc_co_u32_e64 v9, s[6:7], v9, v17, s[6:7]
	s_barrier
	s_cbranch_vccnz .LBB985_8
.LBB985_3:                              ; =>This Inner Loop Header: Depth=1
	v_mov_b32_e32 v16, s15
	v_add_co_u32_e32 v15, vcc, s14, v1
	v_addc_co_u32_e32 v16, vcc, 0, v16, vcc
	v_cmp_gt_i64_e32 vcc, s[10:11], v[15:16]
	v_mov_b32_e32 v15, 0
	s_and_b64 s[16:17], s[2:3], vcc
	s_and_saveexec_b64 s[6:7], s[16:17]
	s_cbranch_execz .LBB985_5
; %bb.4:                                ;   in Loop: Header=BB985_3 Depth=1
	global_load_dword v15, v[8:9], off
.LBB985_5:                              ;   in Loop: Header=BB985_3 Depth=1
	s_or_b64 exec, exec, s[6:7]
	v_mov_b32_e32 v17, s15
	v_add_co_u32_e32 v16, vcc, s14, v0
	v_addc_co_u32_e32 v17, vcc, 0, v17, vcc
	v_cmp_gt_i64_e32 vcc, s[10:11], v[16:17]
	s_waitcnt vmcnt(0)
	ds_write_b32 v12, v15
	s_and_b64 s[16:17], s[0:1], vcc
	v_mov_b32_e32 v15, 0
	s_and_saveexec_b64 s[6:7], s[16:17]
	s_cbranch_execz .LBB985_2
; %bb.6:                                ;   in Loop: Header=BB985_3 Depth=1
	global_load_dword v15, v[6:7], off
	s_branch .LBB985_2
.LBB985_7:
	v_mov_b32_e32 v10, 0
.LBB985_8:
	v_cmp_le_i32_e32 vcc, v2, v4
	v_cmp_gt_i32_e64 s[0:1], s9, v4
	s_and_b64 s[0:1], vcc, s[0:1]
	s_and_saveexec_b64 s[2:3], s[0:1]
	s_cbranch_execz .LBB985_10
; %bb.9:
	s_load_dwordx2 s[6:7], s[4:5], 0x60
	s_load_dwordx4 s[0:3], s[4:5], 0x50
	s_waitcnt lgkmcnt(0)
	s_mul_i32 s7, s7, s8
	v_mul_lo_u32 v6, s3, v4
	v_mul_lo_u32 v5, s2, v5
	v_mad_u64_u32 v[0:1], s[2:3], s2, v4, 0
	s_mul_hi_u32 s9, s6, s8
	s_mul_i32 s6, s6, s8
	s_add_i32 s7, s9, s7
	s_lshl_b64 s[2:3], s[6:7], 2
	v_add3_u32 v1, v1, v5, v6
	s_add_u32 s0, s0, s2
	v_lshlrev_b64 v[0:1], 2, v[0:1]
	s_addc_u32 s1, s1, s3
	v_mov_b32_e32 v4, s1
	v_add_co_u32_e32 v5, vcc, s0, v0
	v_addc_co_u32_e32 v4, vcc, v4, v1, vcc
	v_lshlrev_b64 v[0:1], 2, v[2:3]
	v_add_co_u32_e32 v0, vcc, v5, v0
	v_addc_co_u32_e32 v1, vcc, v4, v1, vcc
	global_load_dword v2, v[0:1], off
	s_load_dword s0, s[4:5], 0x48
	s_load_dword s1, s[4:5], 0x10
	s_waitcnt vmcnt(0) lgkmcnt(0)
	v_mul_f32_e32 v2, s0, v2
	v_fmac_f32_e32 v2, s1, v10
	global_store_dword v[0:1], v2, off
.LBB985_10:
	s_endpgm
	.section	.rodata,"a",@progbits
	.p2align	6, 0x0
	.amdhsa_kernel _ZL32rocblas_syrkx_herkx_small_kernelIlfLi16ELb0ELb0ELc78ELc85EKffEviT_T0_PT6_S1_lS4_S1_lS2_PT7_S1_li
		.amdhsa_group_segment_fixed_size 2048
		.amdhsa_private_segment_fixed_size 0
		.amdhsa_kernarg_size 108
		.amdhsa_user_sgpr_count 6
		.amdhsa_user_sgpr_private_segment_buffer 1
		.amdhsa_user_sgpr_dispatch_ptr 0
		.amdhsa_user_sgpr_queue_ptr 0
		.amdhsa_user_sgpr_kernarg_segment_ptr 1
		.amdhsa_user_sgpr_dispatch_id 0
		.amdhsa_user_sgpr_flat_scratch_init 0
		.amdhsa_user_sgpr_private_segment_size 0
		.amdhsa_uses_dynamic_stack 0
		.amdhsa_system_sgpr_private_segment_wavefront_offset 0
		.amdhsa_system_sgpr_workgroup_id_x 1
		.amdhsa_system_sgpr_workgroup_id_y 1
		.amdhsa_system_sgpr_workgroup_id_z 1
		.amdhsa_system_sgpr_workgroup_info 0
		.amdhsa_system_vgpr_workitem_id 1
		.amdhsa_next_free_vgpr 27
		.amdhsa_next_free_sgpr 25
		.amdhsa_reserve_vcc 1
		.amdhsa_reserve_flat_scratch 0
		.amdhsa_float_round_mode_32 0
		.amdhsa_float_round_mode_16_64 0
		.amdhsa_float_denorm_mode_32 3
		.amdhsa_float_denorm_mode_16_64 3
		.amdhsa_dx10_clamp 1
		.amdhsa_ieee_mode 1
		.amdhsa_fp16_overflow 0
		.amdhsa_exception_fp_ieee_invalid_op 0
		.amdhsa_exception_fp_denorm_src 0
		.amdhsa_exception_fp_ieee_div_zero 0
		.amdhsa_exception_fp_ieee_overflow 0
		.amdhsa_exception_fp_ieee_underflow 0
		.amdhsa_exception_fp_ieee_inexact 0
		.amdhsa_exception_int_div_zero 0
	.end_amdhsa_kernel
	.section	.text._ZL32rocblas_syrkx_herkx_small_kernelIlfLi16ELb0ELb0ELc78ELc85EKffEviT_T0_PT6_S1_lS4_S1_lS2_PT7_S1_li,"axG",@progbits,_ZL32rocblas_syrkx_herkx_small_kernelIlfLi16ELb0ELb0ELc78ELc85EKffEviT_T0_PT6_S1_lS4_S1_lS2_PT7_S1_li,comdat
.Lfunc_end985:
	.size	_ZL32rocblas_syrkx_herkx_small_kernelIlfLi16ELb0ELb0ELc78ELc85EKffEviT_T0_PT6_S1_lS4_S1_lS2_PT7_S1_li, .Lfunc_end985-_ZL32rocblas_syrkx_herkx_small_kernelIlfLi16ELb0ELb0ELc78ELc85EKffEviT_T0_PT6_S1_lS4_S1_lS2_PT7_S1_li
                                        ; -- End function
	.set _ZL32rocblas_syrkx_herkx_small_kernelIlfLi16ELb0ELb0ELc78ELc85EKffEviT_T0_PT6_S1_lS4_S1_lS2_PT7_S1_li.num_vgpr, 27
	.set _ZL32rocblas_syrkx_herkx_small_kernelIlfLi16ELb0ELb0ELc78ELc85EKffEviT_T0_PT6_S1_lS4_S1_lS2_PT7_S1_li.num_agpr, 0
	.set _ZL32rocblas_syrkx_herkx_small_kernelIlfLi16ELb0ELb0ELc78ELc85EKffEviT_T0_PT6_S1_lS4_S1_lS2_PT7_S1_li.numbered_sgpr, 25
	.set _ZL32rocblas_syrkx_herkx_small_kernelIlfLi16ELb0ELb0ELc78ELc85EKffEviT_T0_PT6_S1_lS4_S1_lS2_PT7_S1_li.num_named_barrier, 0
	.set _ZL32rocblas_syrkx_herkx_small_kernelIlfLi16ELb0ELb0ELc78ELc85EKffEviT_T0_PT6_S1_lS4_S1_lS2_PT7_S1_li.private_seg_size, 0
	.set _ZL32rocblas_syrkx_herkx_small_kernelIlfLi16ELb0ELb0ELc78ELc85EKffEviT_T0_PT6_S1_lS4_S1_lS2_PT7_S1_li.uses_vcc, 1
	.set _ZL32rocblas_syrkx_herkx_small_kernelIlfLi16ELb0ELb0ELc78ELc85EKffEviT_T0_PT6_S1_lS4_S1_lS2_PT7_S1_li.uses_flat_scratch, 0
	.set _ZL32rocblas_syrkx_herkx_small_kernelIlfLi16ELb0ELb0ELc78ELc85EKffEviT_T0_PT6_S1_lS4_S1_lS2_PT7_S1_li.has_dyn_sized_stack, 0
	.set _ZL32rocblas_syrkx_herkx_small_kernelIlfLi16ELb0ELb0ELc78ELc85EKffEviT_T0_PT6_S1_lS4_S1_lS2_PT7_S1_li.has_recursion, 0
	.set _ZL32rocblas_syrkx_herkx_small_kernelIlfLi16ELb0ELb0ELc78ELc85EKffEviT_T0_PT6_S1_lS4_S1_lS2_PT7_S1_li.has_indirect_call, 0
	.section	.AMDGPU.csdata,"",@progbits
; Kernel info:
; codeLenInByte = 880
; TotalNumSgprs: 29
; NumVgprs: 27
; ScratchSize: 0
; MemoryBound: 0
; FloatMode: 240
; IeeeMode: 1
; LDSByteSize: 2048 bytes/workgroup (compile time only)
; SGPRBlocks: 3
; VGPRBlocks: 6
; NumSGPRsForWavesPerEU: 29
; NumVGPRsForWavesPerEU: 27
; Occupancy: 9
; WaveLimiterHint : 0
; COMPUTE_PGM_RSRC2:SCRATCH_EN: 0
; COMPUTE_PGM_RSRC2:USER_SGPR: 6
; COMPUTE_PGM_RSRC2:TRAP_HANDLER: 0
; COMPUTE_PGM_RSRC2:TGID_X_EN: 1
; COMPUTE_PGM_RSRC2:TGID_Y_EN: 1
; COMPUTE_PGM_RSRC2:TGID_Z_EN: 1
; COMPUTE_PGM_RSRC2:TIDIG_COMP_CNT: 1
	.section	.text._ZL34rocblas_syrkx_herkx_general_kernelIlfLi16ELi32ELi8ELb1ELb0ELc84ELc76EKffEviT_T0_PT8_S1_lS4_S1_lS2_PT9_S1_li,"axG",@progbits,_ZL34rocblas_syrkx_herkx_general_kernelIlfLi16ELi32ELi8ELb1ELb0ELc84ELc76EKffEviT_T0_PT8_S1_lS4_S1_lS2_PT9_S1_li,comdat
	.globl	_ZL34rocblas_syrkx_herkx_general_kernelIlfLi16ELi32ELi8ELb1ELb0ELc84ELc76EKffEviT_T0_PT8_S1_lS4_S1_lS2_PT9_S1_li ; -- Begin function _ZL34rocblas_syrkx_herkx_general_kernelIlfLi16ELi32ELi8ELb1ELb0ELc84ELc76EKffEviT_T0_PT8_S1_lS4_S1_lS2_PT9_S1_li
	.p2align	8
	.type	_ZL34rocblas_syrkx_herkx_general_kernelIlfLi16ELi32ELi8ELb1ELb0ELc84ELc76EKffEviT_T0_PT8_S1_lS4_S1_lS2_PT9_S1_li,@function
_ZL34rocblas_syrkx_herkx_general_kernelIlfLi16ELi32ELi8ELb1ELb0ELc84ELc76EKffEviT_T0_PT8_S1_lS4_S1_lS2_PT9_S1_li: ; @_ZL34rocblas_syrkx_herkx_general_kernelIlfLi16ELi32ELi8ELb1ELb0ELc84ELc76EKffEviT_T0_PT8_S1_lS4_S1_lS2_PT9_S1_li
; %bb.0:
	s_load_dwordx2 s[10:11], s[4:5], 0x8
	s_load_dword s9, s[4:5], 0x0
	s_lshl_b32 s24, s6, 5
	s_lshl_b32 s25, s7, 5
	s_waitcnt lgkmcnt(0)
	v_cmp_lt_i64_e64 s[0:1], s[10:11], 1
	s_and_b64 vcc, exec, s[0:1]
	s_cbranch_vccnz .LBB986_7
; %bb.1:
	v_lshl_add_u32 v2, v1, 4, v0
	v_and_b32_e32 v5, 31, v2
	v_or_b32_e32 v7, s24, v5
	v_and_b32_e32 v10, 7, v0
	s_load_dwordx8 s[12:19], s[4:5], 0x18
	s_load_dwordx4 s[20:23], s[4:5], 0x38
	v_lshrrev_b32_e32 v3, 3, v2
	v_lshrrev_b32_e32 v9, 5, v2
	v_cmp_gt_i32_e64 s[0:1], s9, v7
	v_lshlrev_b32_e32 v2, 2, v5
	v_lshlrev_b32_e32 v7, 2, v10
	v_lshl_or_b32 v11, v9, 7, v2
	v_lshl_or_b32 v2, v3, 5, v7
	v_add_u32_e32 v12, 0x400, v2
	v_add_u32_e32 v2, s24, v5
	;; [unrolled: 1-line block ×3, first 2 shown]
	v_ashrrev_i32_e32 v3, 31, v2
	s_waitcnt lgkmcnt(0)
	v_mul_lo_u32 v5, s14, v3
	v_mul_lo_u32 v14, s15, v2
	v_mad_u64_u32 v[2:3], s[6:7], s14, v2, 0
	s_mul_i32 s6, s17, s8
	s_mul_hi_u32 s7, s16, s8
	v_add3_u32 v3, v3, v5, v14
	v_lshlrev_b64 v[2:3], 2, v[2:3]
	s_add_i32 s7, s7, s6
	s_mul_i32 s6, s16, s8
	s_lshl_b64 s[6:7], s[6:7], 2
	v_mov_b32_e32 v5, s7
	v_add_co_u32_e32 v2, vcc, s6, v2
	v_ashrrev_i32_e32 v8, 31, v4
	v_addc_co_u32_e32 v3, vcc, v3, v5, vcc
	v_lshlrev_b32_e32 v5, 2, v9
	v_cmp_gt_i32_e64 s[2:3], s9, v4
	v_add_co_u32_e32 v2, vcc, v2, v5
	v_mul_lo_u32 v8, s20, v8
	v_mul_lo_u32 v16, s21, v4
	v_mad_u64_u32 v[4:5], s[6:7], s20, v4, 0
	v_addc_co_u32_e32 v3, vcc, 0, v3, vcc
	v_add3_u32 v5, v5, v8, v16
	s_mul_i32 s6, s23, s8
	s_mul_hi_u32 s7, s22, s8
	v_mov_b32_e32 v14, s13
	v_add_co_u32_e32 v2, vcc, s12, v2
	v_lshlrev_b64 v[4:5], 2, v[4:5]
	s_add_i32 s7, s7, s6
	s_mul_i32 s6, s22, s8
	v_addc_co_u32_e32 v3, vcc, v14, v3, vcc
	s_lshl_b64 s[6:7], s[6:7], 2
	v_mov_b32_e32 v8, s7
	v_add_co_u32_e32 v4, vcc, s6, v4
	v_addc_co_u32_e32 v5, vcc, v5, v8, vcc
	v_add_co_u32_e32 v4, vcc, v4, v7
	v_addc_co_u32_e32 v5, vcc, 0, v5, vcc
	v_mov_b32_e32 v15, 0x400
	v_mov_b32_e32 v7, s19
	v_add_co_u32_e32 v4, vcc, s18, v4
	v_mov_b32_e32 v6, 0
	v_lshlrev_b32_e32 v13, 2, v0
	v_lshl_add_u32 v15, v1, 5, v15
	v_addc_co_u32_e32 v5, vcc, v7, v5, vcc
	s_mov_b64 s[12:13], 0
	v_mov_b32_e32 v7, 0
	v_mov_b32_e32 v8, 0
	;; [unrolled: 1-line block ×3, first 2 shown]
	s_branch .LBB986_3
.LBB986_2:                              ;   in Loop: Header=BB986_3 Depth=1
	s_or_b64 exec, exec, s[6:7]
	s_waitcnt vmcnt(0)
	ds_write_b32 v12, v16
	s_waitcnt lgkmcnt(0)
	s_barrier
	ds_read_b128 v[16:19], v15
	ds_read2_b32 v[20:21], v13 offset1:16
	ds_read2_b32 v[22:23], v13 offset0:32 offset1:48
	ds_read2_b32 v[24:25], v13 offset0:64 offset1:80
	;; [unrolled: 1-line block ×3, first 2 shown]
	s_add_u32 s12, s12, 8
	s_waitcnt lgkmcnt(3)
	v_fmac_f32_e32 v14, v20, v16
	v_fmac_f32_e32 v8, v21, v16
	s_waitcnt lgkmcnt(2)
	v_fmac_f32_e32 v14, v22, v17
	v_fmac_f32_e32 v8, v23, v17
	;; [unrolled: 3-line block ×4, first 2 shown]
	ds_read_b128 v[16:19], v15 offset:512
	v_add_co_u32_e32 v2, vcc, 32, v2
	s_addc_u32 s13, s13, 0
	v_addc_co_u32_e32 v3, vcc, 0, v3, vcc
	s_waitcnt lgkmcnt(0)
	v_fmac_f32_e32 v7, v20, v16
	v_fmac_f32_e32 v6, v21, v16
	;; [unrolled: 1-line block ×8, first 2 shown]
	ds_read_b128 v[16:19], v15 offset:16
	ds_read2_b32 v[20:21], v13 offset0:128 offset1:144
	ds_read2_b32 v[22:23], v13 offset0:160 offset1:176
	ds_read2_b32 v[24:25], v13 offset0:192 offset1:208
	ds_read2_b32 v[26:27], v13 offset0:224 offset1:240
	v_add_co_u32_e32 v4, vcc, 32, v4
	s_waitcnt lgkmcnt(3)
	v_fmac_f32_e32 v14, v20, v16
	v_fmac_f32_e32 v8, v21, v16
	s_waitcnt lgkmcnt(2)
	v_fmac_f32_e32 v14, v22, v17
	v_fmac_f32_e32 v8, v23, v17
	;; [unrolled: 3-line block ×4, first 2 shown]
	ds_read_b128 v[16:19], v15 offset:528
	v_addc_co_u32_e32 v5, vcc, 0, v5, vcc
	s_waitcnt lgkmcnt(0)
	s_barrier
	v_fmac_f32_e32 v7, v20, v16
	v_fmac_f32_e32 v6, v21, v16
	;; [unrolled: 1-line block ×4, first 2 shown]
	v_mov_b32_e32 v17, s11
	v_mov_b32_e32 v16, s10
	v_cmp_ge_i64_e64 s[6:7], s[12:13], v[16:17]
	v_fmac_f32_e32 v7, v24, v18
	v_fmac_f32_e32 v6, v25, v18
	;; [unrolled: 1-line block ×4, first 2 shown]
	s_and_b64 vcc, exec, s[6:7]
	s_cbranch_vccnz .LBB986_8
.LBB986_3:                              ; =>This Inner Loop Header: Depth=1
	v_mov_b32_e32 v17, s13
	v_add_co_u32_e32 v16, vcc, s12, v9
	v_addc_co_u32_e32 v17, vcc, 0, v17, vcc
	v_cmp_gt_i64_e32 vcc, s[10:11], v[16:17]
	v_mov_b32_e32 v16, 0
	s_and_b64 s[14:15], s[0:1], vcc
	s_and_saveexec_b64 s[6:7], s[14:15]
	s_cbranch_execz .LBB986_5
; %bb.4:                                ;   in Loop: Header=BB986_3 Depth=1
	global_load_dword v16, v[2:3], off
.LBB986_5:                              ;   in Loop: Header=BB986_3 Depth=1
	s_or_b64 exec, exec, s[6:7]
	v_mov_b32_e32 v18, s13
	v_add_co_u32_e32 v17, vcc, s12, v10
	v_addc_co_u32_e32 v18, vcc, 0, v18, vcc
	v_cmp_gt_i64_e32 vcc, s[10:11], v[17:18]
	s_waitcnt vmcnt(0)
	ds_write_b32 v11, v16
	s_and_b64 s[14:15], vcc, s[2:3]
	v_mov_b32_e32 v16, 0
	s_and_saveexec_b64 s[6:7], s[14:15]
	s_cbranch_execz .LBB986_2
; %bb.6:                                ;   in Loop: Header=BB986_3 Depth=1
	global_load_dword v16, v[4:5], off
	s_branch .LBB986_2
.LBB986_7:
	v_mov_b32_e32 v14, 0
	v_mov_b32_e32 v8, 0
	;; [unrolled: 1-line block ×4, first 2 shown]
.LBB986_8:
	s_load_dwordx2 s[0:1], s[4:5], 0x60
	s_load_dword s6, s[4:5], 0x10
	s_load_dwordx4 s[12:15], s[4:5], 0x50
	v_add_u32_e32 v4, s25, v1
	v_ashrrev_i32_e32 v1, 31, v4
	s_waitcnt lgkmcnt(0)
	s_mul_i32 s1, s1, s8
	s_mul_hi_u32 s2, s0, s8
	s_add_i32 s1, s2, s1
	v_mul_lo_u32 v3, s14, v1
	v_mul_lo_u32 v5, s15, v4
	v_mad_u64_u32 v[1:2], s[2:3], s14, v4, 0
	s_mul_i32 s0, s0, s8
	s_lshl_b64 s[0:1], s[0:1], 2
	v_add3_u32 v2, v2, v3, v5
	s_add_u32 s7, s12, s0
	v_lshlrev_b64 v[1:2], 2, v[1:2]
	s_addc_u32 s8, s13, s1
	v_mov_b32_e32 v3, s8
	v_add_co_u32_e32 v5, vcc, s7, v1
	v_add_u32_e32 v0, s24, v0
	v_addc_co_u32_e32 v9, vcc, v3, v2, vcc
	v_cmp_le_i32_e64 s[0:1], v4, v0
	v_cmp_gt_i32_e32 vcc, s9, v0
	s_and_b64 s[0:1], s[0:1], vcc
	s_and_saveexec_b64 s[2:3], s[0:1]
	s_cbranch_execz .LBB986_10
; %bb.9:
	v_ashrrev_i32_e32 v1, 31, v0
	v_lshlrev_b64 v[1:2], 2, v[0:1]
	v_mul_f32_e32 v3, s6, v14
	v_add_co_u32_e64 v1, s[0:1], v5, v1
	v_addc_co_u32_e64 v2, s[0:1], v9, v2, s[0:1]
	global_store_dword v[1:2], v3, off
.LBB986_10:
	s_or_b64 exec, exec, s[2:3]
	v_add_u32_e32 v2, 16, v0
	v_cmp_le_i32_e64 s[2:3], v4, v2
	v_cmp_gt_i32_e64 s[0:1], s9, v2
	s_and_b64 s[2:3], s[2:3], s[0:1]
	s_and_saveexec_b64 s[4:5], s[2:3]
	s_cbranch_execz .LBB986_12
; %bb.11:
	v_ashrrev_i32_e32 v3, 31, v2
	v_lshlrev_b64 v[10:11], 2, v[2:3]
	v_mul_f32_e32 v1, s6, v8
	v_add_co_u32_e64 v8, s[2:3], v5, v10
	v_addc_co_u32_e64 v9, s[2:3], v9, v11, s[2:3]
	global_store_dword v[8:9], v1, off
.LBB986_12:
	s_or_b64 exec, exec, s[4:5]
	v_add_u32_e32 v3, 16, v4
	v_ashrrev_i32_e32 v1, 31, v3
	v_mul_lo_u32 v8, s15, v3
	v_mad_u64_u32 v[4:5], s[2:3], s14, v3, 0
	v_mul_lo_u32 v1, s14, v1
	v_add3_u32 v5, v5, v1, v8
	v_lshlrev_b64 v[4:5], 2, v[4:5]
	v_mov_b32_e32 v1, s8
	v_add_co_u32_e64 v4, s[2:3], s7, v4
	v_addc_co_u32_e64 v5, s[2:3], v1, v5, s[2:3]
	v_cmp_le_i32_e64 s[2:3], v3, v0
	s_and_b64 s[4:5], s[2:3], vcc
	s_and_saveexec_b64 s[2:3], s[4:5]
	s_cbranch_execz .LBB986_14
; %bb.13:
	v_ashrrev_i32_e32 v1, 31, v0
	v_lshlrev_b64 v[0:1], 2, v[0:1]
	v_mul_f32_e32 v7, s6, v7
	v_add_co_u32_e32 v0, vcc, v4, v0
	v_addc_co_u32_e32 v1, vcc, v5, v1, vcc
	global_store_dword v[0:1], v7, off
.LBB986_14:
	s_or_b64 exec, exec, s[2:3]
	v_cmp_le_i32_e32 vcc, v3, v2
	s_and_b64 s[0:1], vcc, s[0:1]
	s_and_saveexec_b64 s[2:3], s[0:1]
	s_cbranch_execz .LBB986_16
; %bb.15:
	v_ashrrev_i32_e32 v3, 31, v2
	v_lshlrev_b64 v[0:1], 2, v[2:3]
	v_mul_f32_e32 v6, s6, v6
	v_add_co_u32_e32 v0, vcc, v4, v0
	v_addc_co_u32_e32 v1, vcc, v5, v1, vcc
	global_store_dword v[0:1], v6, off
.LBB986_16:
	s_endpgm
	.section	.rodata,"a",@progbits
	.p2align	6, 0x0
	.amdhsa_kernel _ZL34rocblas_syrkx_herkx_general_kernelIlfLi16ELi32ELi8ELb1ELb0ELc84ELc76EKffEviT_T0_PT8_S1_lS4_S1_lS2_PT9_S1_li
		.amdhsa_group_segment_fixed_size 2048
		.amdhsa_private_segment_fixed_size 0
		.amdhsa_kernarg_size 108
		.amdhsa_user_sgpr_count 6
		.amdhsa_user_sgpr_private_segment_buffer 1
		.amdhsa_user_sgpr_dispatch_ptr 0
		.amdhsa_user_sgpr_queue_ptr 0
		.amdhsa_user_sgpr_kernarg_segment_ptr 1
		.amdhsa_user_sgpr_dispatch_id 0
		.amdhsa_user_sgpr_flat_scratch_init 0
		.amdhsa_user_sgpr_private_segment_size 0
		.amdhsa_uses_dynamic_stack 0
		.amdhsa_system_sgpr_private_segment_wavefront_offset 0
		.amdhsa_system_sgpr_workgroup_id_x 1
		.amdhsa_system_sgpr_workgroup_id_y 1
		.amdhsa_system_sgpr_workgroup_id_z 1
		.amdhsa_system_sgpr_workgroup_info 0
		.amdhsa_system_vgpr_workitem_id 1
		.amdhsa_next_free_vgpr 28
		.amdhsa_next_free_sgpr 26
		.amdhsa_reserve_vcc 1
		.amdhsa_reserve_flat_scratch 0
		.amdhsa_float_round_mode_32 0
		.amdhsa_float_round_mode_16_64 0
		.amdhsa_float_denorm_mode_32 3
		.amdhsa_float_denorm_mode_16_64 3
		.amdhsa_dx10_clamp 1
		.amdhsa_ieee_mode 1
		.amdhsa_fp16_overflow 0
		.amdhsa_exception_fp_ieee_invalid_op 0
		.amdhsa_exception_fp_denorm_src 0
		.amdhsa_exception_fp_ieee_div_zero 0
		.amdhsa_exception_fp_ieee_overflow 0
		.amdhsa_exception_fp_ieee_underflow 0
		.amdhsa_exception_fp_ieee_inexact 0
		.amdhsa_exception_int_div_zero 0
	.end_amdhsa_kernel
	.section	.text._ZL34rocblas_syrkx_herkx_general_kernelIlfLi16ELi32ELi8ELb1ELb0ELc84ELc76EKffEviT_T0_PT8_S1_lS4_S1_lS2_PT9_S1_li,"axG",@progbits,_ZL34rocblas_syrkx_herkx_general_kernelIlfLi16ELi32ELi8ELb1ELb0ELc84ELc76EKffEviT_T0_PT8_S1_lS4_S1_lS2_PT9_S1_li,comdat
.Lfunc_end986:
	.size	_ZL34rocblas_syrkx_herkx_general_kernelIlfLi16ELi32ELi8ELb1ELb0ELc84ELc76EKffEviT_T0_PT8_S1_lS4_S1_lS2_PT9_S1_li, .Lfunc_end986-_ZL34rocblas_syrkx_herkx_general_kernelIlfLi16ELi32ELi8ELb1ELb0ELc84ELc76EKffEviT_T0_PT8_S1_lS4_S1_lS2_PT9_S1_li
                                        ; -- End function
	.set _ZL34rocblas_syrkx_herkx_general_kernelIlfLi16ELi32ELi8ELb1ELb0ELc84ELc76EKffEviT_T0_PT8_S1_lS4_S1_lS2_PT9_S1_li.num_vgpr, 28
	.set _ZL34rocblas_syrkx_herkx_general_kernelIlfLi16ELi32ELi8ELb1ELb0ELc84ELc76EKffEviT_T0_PT8_S1_lS4_S1_lS2_PT9_S1_li.num_agpr, 0
	.set _ZL34rocblas_syrkx_herkx_general_kernelIlfLi16ELi32ELi8ELb1ELb0ELc84ELc76EKffEviT_T0_PT8_S1_lS4_S1_lS2_PT9_S1_li.numbered_sgpr, 26
	.set _ZL34rocblas_syrkx_herkx_general_kernelIlfLi16ELi32ELi8ELb1ELb0ELc84ELc76EKffEviT_T0_PT8_S1_lS4_S1_lS2_PT9_S1_li.num_named_barrier, 0
	.set _ZL34rocblas_syrkx_herkx_general_kernelIlfLi16ELi32ELi8ELb1ELb0ELc84ELc76EKffEviT_T0_PT8_S1_lS4_S1_lS2_PT9_S1_li.private_seg_size, 0
	.set _ZL34rocblas_syrkx_herkx_general_kernelIlfLi16ELi32ELi8ELb1ELb0ELc84ELc76EKffEviT_T0_PT8_S1_lS4_S1_lS2_PT9_S1_li.uses_vcc, 1
	.set _ZL34rocblas_syrkx_herkx_general_kernelIlfLi16ELi32ELi8ELb1ELb0ELc84ELc76EKffEviT_T0_PT8_S1_lS4_S1_lS2_PT9_S1_li.uses_flat_scratch, 0
	.set _ZL34rocblas_syrkx_herkx_general_kernelIlfLi16ELi32ELi8ELb1ELb0ELc84ELc76EKffEviT_T0_PT8_S1_lS4_S1_lS2_PT9_S1_li.has_dyn_sized_stack, 0
	.set _ZL34rocblas_syrkx_herkx_general_kernelIlfLi16ELi32ELi8ELb1ELb0ELc84ELc76EKffEviT_T0_PT8_S1_lS4_S1_lS2_PT9_S1_li.has_recursion, 0
	.set _ZL34rocblas_syrkx_herkx_general_kernelIlfLi16ELi32ELi8ELb1ELb0ELc84ELc76EKffEviT_T0_PT8_S1_lS4_S1_lS2_PT9_S1_li.has_indirect_call, 0
	.section	.AMDGPU.csdata,"",@progbits
; Kernel info:
; codeLenInByte = 1284
; TotalNumSgprs: 30
; NumVgprs: 28
; ScratchSize: 0
; MemoryBound: 0
; FloatMode: 240
; IeeeMode: 1
; LDSByteSize: 2048 bytes/workgroup (compile time only)
; SGPRBlocks: 3
; VGPRBlocks: 6
; NumSGPRsForWavesPerEU: 30
; NumVGPRsForWavesPerEU: 28
; Occupancy: 9
; WaveLimiterHint : 0
; COMPUTE_PGM_RSRC2:SCRATCH_EN: 0
; COMPUTE_PGM_RSRC2:USER_SGPR: 6
; COMPUTE_PGM_RSRC2:TRAP_HANDLER: 0
; COMPUTE_PGM_RSRC2:TGID_X_EN: 1
; COMPUTE_PGM_RSRC2:TGID_Y_EN: 1
; COMPUTE_PGM_RSRC2:TGID_Z_EN: 1
; COMPUTE_PGM_RSRC2:TIDIG_COMP_CNT: 1
	.section	.text._ZL34rocblas_syrkx_herkx_general_kernelIlfLi16ELi32ELi8ELb1ELb0ELc67ELc76EKffEviT_T0_PT8_S1_lS4_S1_lS2_PT9_S1_li,"axG",@progbits,_ZL34rocblas_syrkx_herkx_general_kernelIlfLi16ELi32ELi8ELb1ELb0ELc67ELc76EKffEviT_T0_PT8_S1_lS4_S1_lS2_PT9_S1_li,comdat
	.globl	_ZL34rocblas_syrkx_herkx_general_kernelIlfLi16ELi32ELi8ELb1ELb0ELc67ELc76EKffEviT_T0_PT8_S1_lS4_S1_lS2_PT9_S1_li ; -- Begin function _ZL34rocblas_syrkx_herkx_general_kernelIlfLi16ELi32ELi8ELb1ELb0ELc67ELc76EKffEviT_T0_PT8_S1_lS4_S1_lS2_PT9_S1_li
	.p2align	8
	.type	_ZL34rocblas_syrkx_herkx_general_kernelIlfLi16ELi32ELi8ELb1ELb0ELc67ELc76EKffEviT_T0_PT8_S1_lS4_S1_lS2_PT9_S1_li,@function
_ZL34rocblas_syrkx_herkx_general_kernelIlfLi16ELi32ELi8ELb1ELb0ELc67ELc76EKffEviT_T0_PT8_S1_lS4_S1_lS2_PT9_S1_li: ; @_ZL34rocblas_syrkx_herkx_general_kernelIlfLi16ELi32ELi8ELb1ELb0ELc67ELc76EKffEviT_T0_PT8_S1_lS4_S1_lS2_PT9_S1_li
; %bb.0:
	s_load_dwordx2 s[10:11], s[4:5], 0x8
	s_load_dword s9, s[4:5], 0x0
	s_lshl_b32 s24, s6, 5
	s_lshl_b32 s25, s7, 5
	s_waitcnt lgkmcnt(0)
	v_cmp_lt_i64_e64 s[0:1], s[10:11], 1
	s_and_b64 vcc, exec, s[0:1]
	s_cbranch_vccnz .LBB987_7
; %bb.1:
	v_lshl_add_u32 v2, v1, 4, v0
	v_and_b32_e32 v5, 31, v2
	v_or_b32_e32 v7, s24, v5
	v_and_b32_e32 v10, 7, v0
	s_load_dwordx8 s[12:19], s[4:5], 0x18
	s_load_dwordx4 s[20:23], s[4:5], 0x38
	v_lshrrev_b32_e32 v3, 3, v2
	v_lshrrev_b32_e32 v9, 5, v2
	v_cmp_gt_i32_e64 s[0:1], s9, v7
	v_lshlrev_b32_e32 v2, 2, v5
	v_lshlrev_b32_e32 v7, 2, v10
	v_lshl_or_b32 v11, v9, 7, v2
	v_lshl_or_b32 v2, v3, 5, v7
	v_add_u32_e32 v12, 0x400, v2
	v_add_u32_e32 v2, s24, v5
	;; [unrolled: 1-line block ×3, first 2 shown]
	v_ashrrev_i32_e32 v3, 31, v2
	s_waitcnt lgkmcnt(0)
	v_mul_lo_u32 v5, s14, v3
	v_mul_lo_u32 v14, s15, v2
	v_mad_u64_u32 v[2:3], s[6:7], s14, v2, 0
	s_mul_i32 s6, s17, s8
	s_mul_hi_u32 s7, s16, s8
	v_add3_u32 v3, v3, v5, v14
	v_lshlrev_b64 v[2:3], 2, v[2:3]
	s_add_i32 s7, s7, s6
	s_mul_i32 s6, s16, s8
	s_lshl_b64 s[6:7], s[6:7], 2
	v_mov_b32_e32 v5, s7
	v_add_co_u32_e32 v2, vcc, s6, v2
	v_ashrrev_i32_e32 v8, 31, v4
	v_addc_co_u32_e32 v3, vcc, v3, v5, vcc
	v_lshlrev_b32_e32 v5, 2, v9
	v_cmp_gt_i32_e64 s[2:3], s9, v4
	v_add_co_u32_e32 v2, vcc, v2, v5
	v_mul_lo_u32 v8, s20, v8
	v_mul_lo_u32 v16, s21, v4
	v_mad_u64_u32 v[4:5], s[6:7], s20, v4, 0
	v_addc_co_u32_e32 v3, vcc, 0, v3, vcc
	v_add3_u32 v5, v5, v8, v16
	s_mul_i32 s6, s23, s8
	s_mul_hi_u32 s7, s22, s8
	v_mov_b32_e32 v14, s13
	v_add_co_u32_e32 v2, vcc, s12, v2
	v_lshlrev_b64 v[4:5], 2, v[4:5]
	s_add_i32 s7, s7, s6
	s_mul_i32 s6, s22, s8
	v_addc_co_u32_e32 v3, vcc, v14, v3, vcc
	s_lshl_b64 s[6:7], s[6:7], 2
	v_mov_b32_e32 v8, s7
	v_add_co_u32_e32 v4, vcc, s6, v4
	v_addc_co_u32_e32 v5, vcc, v5, v8, vcc
	v_add_co_u32_e32 v4, vcc, v4, v7
	v_addc_co_u32_e32 v5, vcc, 0, v5, vcc
	v_mov_b32_e32 v15, 0x400
	v_mov_b32_e32 v7, s19
	v_add_co_u32_e32 v4, vcc, s18, v4
	v_mov_b32_e32 v6, 0
	v_lshlrev_b32_e32 v13, 2, v0
	v_lshl_add_u32 v15, v1, 5, v15
	v_addc_co_u32_e32 v5, vcc, v7, v5, vcc
	s_mov_b64 s[12:13], 0
	v_mov_b32_e32 v7, 0
	v_mov_b32_e32 v8, 0
	v_mov_b32_e32 v14, 0
	s_branch .LBB987_3
.LBB987_2:                              ;   in Loop: Header=BB987_3 Depth=1
	s_or_b64 exec, exec, s[6:7]
	s_waitcnt vmcnt(0)
	ds_write_b32 v12, v16
	s_waitcnt lgkmcnt(0)
	s_barrier
	ds_read_b128 v[16:19], v15
	ds_read2_b32 v[20:21], v13 offset1:16
	ds_read2_b32 v[22:23], v13 offset0:32 offset1:48
	ds_read2_b32 v[24:25], v13 offset0:64 offset1:80
	;; [unrolled: 1-line block ×3, first 2 shown]
	s_add_u32 s12, s12, 8
	s_waitcnt lgkmcnt(3)
	v_fmac_f32_e32 v14, v20, v16
	v_fmac_f32_e32 v8, v21, v16
	s_waitcnt lgkmcnt(2)
	v_fmac_f32_e32 v14, v22, v17
	v_fmac_f32_e32 v8, v23, v17
	;; [unrolled: 3-line block ×4, first 2 shown]
	ds_read_b128 v[16:19], v15 offset:512
	v_add_co_u32_e32 v2, vcc, 32, v2
	s_addc_u32 s13, s13, 0
	v_addc_co_u32_e32 v3, vcc, 0, v3, vcc
	s_waitcnt lgkmcnt(0)
	v_fmac_f32_e32 v7, v20, v16
	v_fmac_f32_e32 v6, v21, v16
	;; [unrolled: 1-line block ×8, first 2 shown]
	ds_read_b128 v[16:19], v15 offset:16
	ds_read2_b32 v[20:21], v13 offset0:128 offset1:144
	ds_read2_b32 v[22:23], v13 offset0:160 offset1:176
	;; [unrolled: 1-line block ×4, first 2 shown]
	v_add_co_u32_e32 v4, vcc, 32, v4
	s_waitcnt lgkmcnt(3)
	v_fmac_f32_e32 v14, v20, v16
	v_fmac_f32_e32 v8, v21, v16
	s_waitcnt lgkmcnt(2)
	v_fmac_f32_e32 v14, v22, v17
	v_fmac_f32_e32 v8, v23, v17
	;; [unrolled: 3-line block ×4, first 2 shown]
	ds_read_b128 v[16:19], v15 offset:528
	v_addc_co_u32_e32 v5, vcc, 0, v5, vcc
	s_waitcnt lgkmcnt(0)
	s_barrier
	v_fmac_f32_e32 v7, v20, v16
	v_fmac_f32_e32 v6, v21, v16
	;; [unrolled: 1-line block ×4, first 2 shown]
	v_mov_b32_e32 v17, s11
	v_mov_b32_e32 v16, s10
	v_cmp_ge_i64_e64 s[6:7], s[12:13], v[16:17]
	v_fmac_f32_e32 v7, v24, v18
	v_fmac_f32_e32 v6, v25, v18
	;; [unrolled: 1-line block ×4, first 2 shown]
	s_and_b64 vcc, exec, s[6:7]
	s_cbranch_vccnz .LBB987_8
.LBB987_3:                              ; =>This Inner Loop Header: Depth=1
	v_mov_b32_e32 v17, s13
	v_add_co_u32_e32 v16, vcc, s12, v9
	v_addc_co_u32_e32 v17, vcc, 0, v17, vcc
	v_cmp_gt_i64_e32 vcc, s[10:11], v[16:17]
	v_mov_b32_e32 v16, 0
	s_and_b64 s[14:15], s[0:1], vcc
	s_and_saveexec_b64 s[6:7], s[14:15]
	s_cbranch_execz .LBB987_5
; %bb.4:                                ;   in Loop: Header=BB987_3 Depth=1
	global_load_dword v16, v[2:3], off
.LBB987_5:                              ;   in Loop: Header=BB987_3 Depth=1
	s_or_b64 exec, exec, s[6:7]
	v_mov_b32_e32 v18, s13
	v_add_co_u32_e32 v17, vcc, s12, v10
	v_addc_co_u32_e32 v18, vcc, 0, v18, vcc
	v_cmp_gt_i64_e32 vcc, s[10:11], v[17:18]
	s_waitcnt vmcnt(0)
	ds_write_b32 v11, v16
	s_and_b64 s[14:15], vcc, s[2:3]
	v_mov_b32_e32 v16, 0
	s_and_saveexec_b64 s[6:7], s[14:15]
	s_cbranch_execz .LBB987_2
; %bb.6:                                ;   in Loop: Header=BB987_3 Depth=1
	global_load_dword v16, v[4:5], off
	s_branch .LBB987_2
.LBB987_7:
	v_mov_b32_e32 v14, 0
	v_mov_b32_e32 v8, 0
	v_mov_b32_e32 v7, 0
	v_mov_b32_e32 v6, 0
.LBB987_8:
	s_load_dwordx2 s[0:1], s[4:5], 0x60
	s_load_dword s6, s[4:5], 0x10
	s_load_dwordx4 s[12:15], s[4:5], 0x50
	v_add_u32_e32 v4, s25, v1
	v_ashrrev_i32_e32 v1, 31, v4
	s_waitcnt lgkmcnt(0)
	s_mul_i32 s1, s1, s8
	s_mul_hi_u32 s2, s0, s8
	s_add_i32 s1, s2, s1
	v_mul_lo_u32 v3, s14, v1
	v_mul_lo_u32 v5, s15, v4
	v_mad_u64_u32 v[1:2], s[2:3], s14, v4, 0
	s_mul_i32 s0, s0, s8
	s_lshl_b64 s[0:1], s[0:1], 2
	v_add3_u32 v2, v2, v3, v5
	s_add_u32 s7, s12, s0
	v_lshlrev_b64 v[1:2], 2, v[1:2]
	s_addc_u32 s8, s13, s1
	v_mov_b32_e32 v3, s8
	v_add_co_u32_e32 v5, vcc, s7, v1
	v_add_u32_e32 v0, s24, v0
	v_addc_co_u32_e32 v9, vcc, v3, v2, vcc
	v_cmp_le_i32_e64 s[0:1], v4, v0
	v_cmp_gt_i32_e32 vcc, s9, v0
	s_and_b64 s[0:1], s[0:1], vcc
	s_and_saveexec_b64 s[2:3], s[0:1]
	s_cbranch_execz .LBB987_10
; %bb.9:
	v_ashrrev_i32_e32 v1, 31, v0
	v_lshlrev_b64 v[1:2], 2, v[0:1]
	v_mul_f32_e32 v3, s6, v14
	v_add_co_u32_e64 v1, s[0:1], v5, v1
	v_addc_co_u32_e64 v2, s[0:1], v9, v2, s[0:1]
	global_store_dword v[1:2], v3, off
.LBB987_10:
	s_or_b64 exec, exec, s[2:3]
	v_add_u32_e32 v2, 16, v0
	v_cmp_le_i32_e64 s[2:3], v4, v2
	v_cmp_gt_i32_e64 s[0:1], s9, v2
	s_and_b64 s[2:3], s[2:3], s[0:1]
	s_and_saveexec_b64 s[4:5], s[2:3]
	s_cbranch_execz .LBB987_12
; %bb.11:
	v_ashrrev_i32_e32 v3, 31, v2
	v_lshlrev_b64 v[10:11], 2, v[2:3]
	v_mul_f32_e32 v1, s6, v8
	v_add_co_u32_e64 v8, s[2:3], v5, v10
	v_addc_co_u32_e64 v9, s[2:3], v9, v11, s[2:3]
	global_store_dword v[8:9], v1, off
.LBB987_12:
	s_or_b64 exec, exec, s[4:5]
	v_add_u32_e32 v3, 16, v4
	v_ashrrev_i32_e32 v1, 31, v3
	v_mul_lo_u32 v8, s15, v3
	v_mad_u64_u32 v[4:5], s[2:3], s14, v3, 0
	v_mul_lo_u32 v1, s14, v1
	v_add3_u32 v5, v5, v1, v8
	v_lshlrev_b64 v[4:5], 2, v[4:5]
	v_mov_b32_e32 v1, s8
	v_add_co_u32_e64 v4, s[2:3], s7, v4
	v_addc_co_u32_e64 v5, s[2:3], v1, v5, s[2:3]
	v_cmp_le_i32_e64 s[2:3], v3, v0
	s_and_b64 s[4:5], s[2:3], vcc
	s_and_saveexec_b64 s[2:3], s[4:5]
	s_cbranch_execz .LBB987_14
; %bb.13:
	v_ashrrev_i32_e32 v1, 31, v0
	v_lshlrev_b64 v[0:1], 2, v[0:1]
	v_mul_f32_e32 v7, s6, v7
	v_add_co_u32_e32 v0, vcc, v4, v0
	v_addc_co_u32_e32 v1, vcc, v5, v1, vcc
	global_store_dword v[0:1], v7, off
.LBB987_14:
	s_or_b64 exec, exec, s[2:3]
	v_cmp_le_i32_e32 vcc, v3, v2
	s_and_b64 s[0:1], vcc, s[0:1]
	s_and_saveexec_b64 s[2:3], s[0:1]
	s_cbranch_execz .LBB987_16
; %bb.15:
	v_ashrrev_i32_e32 v3, 31, v2
	v_lshlrev_b64 v[0:1], 2, v[2:3]
	v_mul_f32_e32 v6, s6, v6
	v_add_co_u32_e32 v0, vcc, v4, v0
	v_addc_co_u32_e32 v1, vcc, v5, v1, vcc
	global_store_dword v[0:1], v6, off
.LBB987_16:
	s_endpgm
	.section	.rodata,"a",@progbits
	.p2align	6, 0x0
	.amdhsa_kernel _ZL34rocblas_syrkx_herkx_general_kernelIlfLi16ELi32ELi8ELb1ELb0ELc67ELc76EKffEviT_T0_PT8_S1_lS4_S1_lS2_PT9_S1_li
		.amdhsa_group_segment_fixed_size 2048
		.amdhsa_private_segment_fixed_size 0
		.amdhsa_kernarg_size 108
		.amdhsa_user_sgpr_count 6
		.amdhsa_user_sgpr_private_segment_buffer 1
		.amdhsa_user_sgpr_dispatch_ptr 0
		.amdhsa_user_sgpr_queue_ptr 0
		.amdhsa_user_sgpr_kernarg_segment_ptr 1
		.amdhsa_user_sgpr_dispatch_id 0
		.amdhsa_user_sgpr_flat_scratch_init 0
		.amdhsa_user_sgpr_private_segment_size 0
		.amdhsa_uses_dynamic_stack 0
		.amdhsa_system_sgpr_private_segment_wavefront_offset 0
		.amdhsa_system_sgpr_workgroup_id_x 1
		.amdhsa_system_sgpr_workgroup_id_y 1
		.amdhsa_system_sgpr_workgroup_id_z 1
		.amdhsa_system_sgpr_workgroup_info 0
		.amdhsa_system_vgpr_workitem_id 1
		.amdhsa_next_free_vgpr 28
		.amdhsa_next_free_sgpr 26
		.amdhsa_reserve_vcc 1
		.amdhsa_reserve_flat_scratch 0
		.amdhsa_float_round_mode_32 0
		.amdhsa_float_round_mode_16_64 0
		.amdhsa_float_denorm_mode_32 3
		.amdhsa_float_denorm_mode_16_64 3
		.amdhsa_dx10_clamp 1
		.amdhsa_ieee_mode 1
		.amdhsa_fp16_overflow 0
		.amdhsa_exception_fp_ieee_invalid_op 0
		.amdhsa_exception_fp_denorm_src 0
		.amdhsa_exception_fp_ieee_div_zero 0
		.amdhsa_exception_fp_ieee_overflow 0
		.amdhsa_exception_fp_ieee_underflow 0
		.amdhsa_exception_fp_ieee_inexact 0
		.amdhsa_exception_int_div_zero 0
	.end_amdhsa_kernel
	.section	.text._ZL34rocblas_syrkx_herkx_general_kernelIlfLi16ELi32ELi8ELb1ELb0ELc67ELc76EKffEviT_T0_PT8_S1_lS4_S1_lS2_PT9_S1_li,"axG",@progbits,_ZL34rocblas_syrkx_herkx_general_kernelIlfLi16ELi32ELi8ELb1ELb0ELc67ELc76EKffEviT_T0_PT8_S1_lS4_S1_lS2_PT9_S1_li,comdat
.Lfunc_end987:
	.size	_ZL34rocblas_syrkx_herkx_general_kernelIlfLi16ELi32ELi8ELb1ELb0ELc67ELc76EKffEviT_T0_PT8_S1_lS4_S1_lS2_PT9_S1_li, .Lfunc_end987-_ZL34rocblas_syrkx_herkx_general_kernelIlfLi16ELi32ELi8ELb1ELb0ELc67ELc76EKffEviT_T0_PT8_S1_lS4_S1_lS2_PT9_S1_li
                                        ; -- End function
	.set _ZL34rocblas_syrkx_herkx_general_kernelIlfLi16ELi32ELi8ELb1ELb0ELc67ELc76EKffEviT_T0_PT8_S1_lS4_S1_lS2_PT9_S1_li.num_vgpr, 28
	.set _ZL34rocblas_syrkx_herkx_general_kernelIlfLi16ELi32ELi8ELb1ELb0ELc67ELc76EKffEviT_T0_PT8_S1_lS4_S1_lS2_PT9_S1_li.num_agpr, 0
	.set _ZL34rocblas_syrkx_herkx_general_kernelIlfLi16ELi32ELi8ELb1ELb0ELc67ELc76EKffEviT_T0_PT8_S1_lS4_S1_lS2_PT9_S1_li.numbered_sgpr, 26
	.set _ZL34rocblas_syrkx_herkx_general_kernelIlfLi16ELi32ELi8ELb1ELb0ELc67ELc76EKffEviT_T0_PT8_S1_lS4_S1_lS2_PT9_S1_li.num_named_barrier, 0
	.set _ZL34rocblas_syrkx_herkx_general_kernelIlfLi16ELi32ELi8ELb1ELb0ELc67ELc76EKffEviT_T0_PT8_S1_lS4_S1_lS2_PT9_S1_li.private_seg_size, 0
	.set _ZL34rocblas_syrkx_herkx_general_kernelIlfLi16ELi32ELi8ELb1ELb0ELc67ELc76EKffEviT_T0_PT8_S1_lS4_S1_lS2_PT9_S1_li.uses_vcc, 1
	.set _ZL34rocblas_syrkx_herkx_general_kernelIlfLi16ELi32ELi8ELb1ELb0ELc67ELc76EKffEviT_T0_PT8_S1_lS4_S1_lS2_PT9_S1_li.uses_flat_scratch, 0
	.set _ZL34rocblas_syrkx_herkx_general_kernelIlfLi16ELi32ELi8ELb1ELb0ELc67ELc76EKffEviT_T0_PT8_S1_lS4_S1_lS2_PT9_S1_li.has_dyn_sized_stack, 0
	.set _ZL34rocblas_syrkx_herkx_general_kernelIlfLi16ELi32ELi8ELb1ELb0ELc67ELc76EKffEviT_T0_PT8_S1_lS4_S1_lS2_PT9_S1_li.has_recursion, 0
	.set _ZL34rocblas_syrkx_herkx_general_kernelIlfLi16ELi32ELi8ELb1ELb0ELc67ELc76EKffEviT_T0_PT8_S1_lS4_S1_lS2_PT9_S1_li.has_indirect_call, 0
	.section	.AMDGPU.csdata,"",@progbits
; Kernel info:
; codeLenInByte = 1284
; TotalNumSgprs: 30
; NumVgprs: 28
; ScratchSize: 0
; MemoryBound: 0
; FloatMode: 240
; IeeeMode: 1
; LDSByteSize: 2048 bytes/workgroup (compile time only)
; SGPRBlocks: 3
; VGPRBlocks: 6
; NumSGPRsForWavesPerEU: 30
; NumVGPRsForWavesPerEU: 28
; Occupancy: 9
; WaveLimiterHint : 0
; COMPUTE_PGM_RSRC2:SCRATCH_EN: 0
; COMPUTE_PGM_RSRC2:USER_SGPR: 6
; COMPUTE_PGM_RSRC2:TRAP_HANDLER: 0
; COMPUTE_PGM_RSRC2:TGID_X_EN: 1
; COMPUTE_PGM_RSRC2:TGID_Y_EN: 1
; COMPUTE_PGM_RSRC2:TGID_Z_EN: 1
; COMPUTE_PGM_RSRC2:TIDIG_COMP_CNT: 1
	.section	.text._ZL34rocblas_syrkx_herkx_general_kernelIlfLi16ELi32ELi8ELb1ELb0ELc78ELc76EKffEviT_T0_PT8_S1_lS4_S1_lS2_PT9_S1_li,"axG",@progbits,_ZL34rocblas_syrkx_herkx_general_kernelIlfLi16ELi32ELi8ELb1ELb0ELc78ELc76EKffEviT_T0_PT8_S1_lS4_S1_lS2_PT9_S1_li,comdat
	.globl	_ZL34rocblas_syrkx_herkx_general_kernelIlfLi16ELi32ELi8ELb1ELb0ELc78ELc76EKffEviT_T0_PT8_S1_lS4_S1_lS2_PT9_S1_li ; -- Begin function _ZL34rocblas_syrkx_herkx_general_kernelIlfLi16ELi32ELi8ELb1ELb0ELc78ELc76EKffEviT_T0_PT8_S1_lS4_S1_lS2_PT9_S1_li
	.p2align	8
	.type	_ZL34rocblas_syrkx_herkx_general_kernelIlfLi16ELi32ELi8ELb1ELb0ELc78ELc76EKffEviT_T0_PT8_S1_lS4_S1_lS2_PT9_S1_li,@function
_ZL34rocblas_syrkx_herkx_general_kernelIlfLi16ELi32ELi8ELb1ELb0ELc78ELc76EKffEviT_T0_PT8_S1_lS4_S1_lS2_PT9_S1_li: ; @_ZL34rocblas_syrkx_herkx_general_kernelIlfLi16ELi32ELi8ELb1ELb0ELc78ELc76EKffEviT_T0_PT8_S1_lS4_S1_lS2_PT9_S1_li
; %bb.0:
	s_load_dwordx2 s[10:11], s[4:5], 0x8
	s_load_dword s9, s[4:5], 0x0
	s_lshl_b32 s24, s6, 5
	s_lshl_b32 s25, s7, 5
	s_waitcnt lgkmcnt(0)
	v_cmp_lt_i64_e64 s[0:1], s[10:11], 1
	s_and_b64 vcc, exec, s[0:1]
	s_cbranch_vccnz .LBB988_7
; %bb.1:
	s_load_dwordx8 s[12:19], s[4:5], 0x18
	s_load_dwordx4 s[20:23], s[4:5], 0x38
	v_lshl_add_u32 v2, v1, 4, v0
	v_and_b32_e32 v7, 31, v2
	v_lshrrev_b32_e32 v5, 3, v2
	v_or_b32_e32 v3, s24, v7
	v_lshrrev_b32_e32 v8, 5, v2
	v_lshlrev_b32_e32 v2, 2, v7
	v_cmp_gt_i32_e64 s[0:1], s9, v3
	v_lshl_or_b32 v10, v8, 7, v2
	s_waitcnt lgkmcnt(0)
	v_mad_u64_u32 v[2:3], s[6:7], s14, v8, 0
	v_add_u32_e32 v4, s25, v5
	v_and_b32_e32 v9, 7, v0
	v_mad_u64_u32 v[15:16], s[6:7], s15, v8, v[3:4]
	v_mov_b32_e32 v3, 0x400
	v_lshl_add_u32 v14, v1, 5, v3
	v_mov_b32_e32 v3, v15
	s_mul_i32 s6, s17, s8
	s_mul_hi_u32 s7, s16, s8
	v_lshlrev_b64 v[2:3], 2, v[2:3]
	s_add_i32 s7, s7, s6
	s_mul_i32 s6, s16, s8
	v_lshlrev_b32_e32 v11, 2, v9
	s_lshl_b64 s[6:7], s[6:7], 2
	v_lshl_or_b32 v5, v5, 5, v11
	v_mov_b32_e32 v11, s7
	v_add_co_u32_e32 v15, vcc, s6, v2
	v_add_u32_e32 v2, s24, v7
	v_addc_co_u32_e32 v11, vcc, v3, v11, vcc
	v_ashrrev_i32_e32 v3, 31, v2
	v_lshlrev_b64 v[2:3], 2, v[2:3]
	v_mov_b32_e32 v7, s13
	v_add_co_u32_e32 v2, vcc, v15, v2
	v_mad_u64_u32 v[15:16], s[6:7], s20, v9, 0
	v_addc_co_u32_e32 v3, vcc, v11, v3, vcc
	v_add_co_u32_e32 v2, vcc, s12, v2
	v_addc_co_u32_e32 v3, vcc, v7, v3, vcc
	v_mov_b32_e32 v7, v16
	v_mad_u64_u32 v[16:17], s[6:7], s21, v9, v[7:8]
	s_lshl_b64 s[12:13], s[14:15], 5
	s_mul_i32 s14, s23, s8
	s_mul_hi_u32 s15, s22, s8
	s_add_i32 s7, s15, s14
	s_mul_i32 s6, s22, s8
	v_lshlrev_b64 v[15:16], 2, v[15:16]
	v_add_u32_e32 v12, 0x400, v5
	v_ashrrev_i32_e32 v5, 31, v4
	s_lshl_b64 s[6:7], s[6:7], 2
	v_cmp_gt_i32_e64 s[2:3], s9, v4
	v_mov_b32_e32 v7, s7
	v_add_co_u32_e32 v11, vcc, s6, v15
	v_lshlrev_b64 v[4:5], 2, v[4:5]
	v_addc_co_u32_e32 v7, vcc, v7, v16, vcc
	v_add_co_u32_e32 v4, vcc, v11, v4
	v_addc_co_u32_e32 v5, vcc, v7, v5, vcc
	v_mov_b32_e32 v7, s19
	v_add_co_u32_e32 v4, vcc, s18, v4
	v_mov_b32_e32 v6, 0
	v_lshlrev_b32_e32 v13, 2, v0
	v_addc_co_u32_e32 v5, vcc, v7, v5, vcc
	s_lshl_b64 s[14:15], s[20:21], 5
	s_mov_b64 s[16:17], 0
	v_mov_b32_e32 v7, 0
	v_mov_b32_e32 v11, 0
	;; [unrolled: 1-line block ×3, first 2 shown]
	s_branch .LBB988_3
.LBB988_2:                              ;   in Loop: Header=BB988_3 Depth=1
	s_or_b64 exec, exec, s[6:7]
	s_waitcnt vmcnt(0)
	ds_write_b32 v12, v16
	s_waitcnt lgkmcnt(0)
	s_barrier
	ds_read_b128 v[16:19], v14
	ds_read2_b32 v[20:21], v13 offset1:16
	ds_read2_b32 v[22:23], v13 offset0:32 offset1:48
	ds_read2_b32 v[24:25], v13 offset0:64 offset1:80
	;; [unrolled: 1-line block ×3, first 2 shown]
	v_add_co_u32_e32 v2, vcc, s12, v2
	s_waitcnt lgkmcnt(3)
	v_fmac_f32_e32 v15, v20, v16
	v_fmac_f32_e32 v11, v21, v16
	s_waitcnt lgkmcnt(2)
	v_fmac_f32_e32 v15, v22, v17
	v_fmac_f32_e32 v11, v23, v17
	;; [unrolled: 3-line block ×4, first 2 shown]
	ds_read_b128 v[16:19], v14 offset:512
	s_add_u32 s16, s16, 8
	s_addc_u32 s17, s17, 0
	s_waitcnt lgkmcnt(0)
	v_fmac_f32_e32 v7, v20, v16
	v_fmac_f32_e32 v6, v21, v16
	;; [unrolled: 1-line block ×8, first 2 shown]
	ds_read_b128 v[16:19], v14 offset:16
	ds_read2_b32 v[20:21], v13 offset0:128 offset1:144
	ds_read2_b32 v[22:23], v13 offset0:160 offset1:176
	;; [unrolled: 1-line block ×4, first 2 shown]
	s_waitcnt lgkmcnt(3)
	v_fmac_f32_e32 v15, v20, v16
	v_fmac_f32_e32 v11, v21, v16
	s_waitcnt lgkmcnt(2)
	v_fmac_f32_e32 v15, v22, v17
	v_fmac_f32_e32 v11, v23, v17
	;; [unrolled: 3-line block ×4, first 2 shown]
	ds_read_b128 v[16:19], v14 offset:528
	s_waitcnt lgkmcnt(0)
	s_barrier
	v_fmac_f32_e32 v7, v20, v16
	v_fmac_f32_e32 v6, v21, v16
	v_mov_b32_e32 v16, s13
	v_fmac_f32_e32 v7, v22, v17
	v_fmac_f32_e32 v6, v23, v17
	v_addc_co_u32_e32 v3, vcc, v3, v16, vcc
	v_mov_b32_e32 v17, s11
	v_mov_b32_e32 v16, s10
	v_fmac_f32_e32 v7, v24, v18
	v_fmac_f32_e32 v6, v25, v18
	v_add_co_u32_e32 v4, vcc, s14, v4
	v_mov_b32_e32 v18, s15
	v_cmp_ge_i64_e64 s[6:7], s[16:17], v[16:17]
	v_addc_co_u32_e32 v5, vcc, v5, v18, vcc
	v_fmac_f32_e32 v7, v26, v19
	v_fmac_f32_e32 v6, v27, v19
	s_and_b64 vcc, exec, s[6:7]
	s_cbranch_vccnz .LBB988_8
.LBB988_3:                              ; =>This Inner Loop Header: Depth=1
	v_mov_b32_e32 v17, s17
	v_add_co_u32_e32 v16, vcc, s16, v8
	v_addc_co_u32_e32 v17, vcc, 0, v17, vcc
	v_cmp_gt_i64_e32 vcc, s[10:11], v[16:17]
	v_mov_b32_e32 v16, 0
	s_and_b64 s[18:19], s[0:1], vcc
	s_and_saveexec_b64 s[6:7], s[18:19]
	s_cbranch_execz .LBB988_5
; %bb.4:                                ;   in Loop: Header=BB988_3 Depth=1
	global_load_dword v16, v[2:3], off
.LBB988_5:                              ;   in Loop: Header=BB988_3 Depth=1
	s_or_b64 exec, exec, s[6:7]
	v_mov_b32_e32 v18, s17
	v_add_co_u32_e32 v17, vcc, s16, v9
	v_addc_co_u32_e32 v18, vcc, 0, v18, vcc
	v_cmp_gt_i64_e32 vcc, s[10:11], v[17:18]
	s_waitcnt vmcnt(0)
	ds_write_b32 v10, v16
	s_and_b64 s[18:19], vcc, s[2:3]
	v_mov_b32_e32 v16, 0
	s_and_saveexec_b64 s[6:7], s[18:19]
	s_cbranch_execz .LBB988_2
; %bb.6:                                ;   in Loop: Header=BB988_3 Depth=1
	global_load_dword v16, v[4:5], off
	s_branch .LBB988_2
.LBB988_7:
	v_mov_b32_e32 v15, 0
	v_mov_b32_e32 v11, 0
	;; [unrolled: 1-line block ×4, first 2 shown]
.LBB988_8:
	s_load_dwordx2 s[0:1], s[4:5], 0x60
	s_load_dword s6, s[4:5], 0x10
	s_load_dwordx4 s[12:15], s[4:5], 0x50
	v_add_u32_e32 v4, s25, v1
	v_ashrrev_i32_e32 v1, 31, v4
	s_waitcnt lgkmcnt(0)
	s_mul_i32 s1, s1, s8
	s_mul_hi_u32 s2, s0, s8
	s_add_i32 s1, s2, s1
	v_mul_lo_u32 v3, s14, v1
	v_mul_lo_u32 v5, s15, v4
	v_mad_u64_u32 v[1:2], s[2:3], s14, v4, 0
	s_mul_i32 s0, s0, s8
	s_lshl_b64 s[0:1], s[0:1], 2
	v_add3_u32 v2, v2, v3, v5
	s_add_u32 s7, s12, s0
	v_lshlrev_b64 v[1:2], 2, v[1:2]
	s_addc_u32 s8, s13, s1
	v_mov_b32_e32 v3, s8
	v_add_co_u32_e32 v5, vcc, s7, v1
	v_add_u32_e32 v0, s24, v0
	v_addc_co_u32_e32 v8, vcc, v3, v2, vcc
	v_cmp_le_i32_e64 s[0:1], v4, v0
	v_cmp_gt_i32_e32 vcc, s9, v0
	s_and_b64 s[0:1], s[0:1], vcc
	s_and_saveexec_b64 s[2:3], s[0:1]
	s_cbranch_execz .LBB988_10
; %bb.9:
	v_ashrrev_i32_e32 v1, 31, v0
	v_lshlrev_b64 v[1:2], 2, v[0:1]
	v_mul_f32_e32 v3, s6, v15
	v_add_co_u32_e64 v1, s[0:1], v5, v1
	v_addc_co_u32_e64 v2, s[0:1], v8, v2, s[0:1]
	global_store_dword v[1:2], v3, off
.LBB988_10:
	s_or_b64 exec, exec, s[2:3]
	v_add_u32_e32 v2, 16, v0
	v_cmp_le_i32_e64 s[2:3], v4, v2
	v_cmp_gt_i32_e64 s[0:1], s9, v2
	s_and_b64 s[2:3], s[2:3], s[0:1]
	s_and_saveexec_b64 s[4:5], s[2:3]
	s_cbranch_execz .LBB988_12
; %bb.11:
	v_ashrrev_i32_e32 v3, 31, v2
	v_lshlrev_b64 v[9:10], 2, v[2:3]
	v_mul_f32_e32 v1, s6, v11
	v_add_co_u32_e64 v9, s[2:3], v5, v9
	v_addc_co_u32_e64 v10, s[2:3], v8, v10, s[2:3]
	global_store_dword v[9:10], v1, off
.LBB988_12:
	s_or_b64 exec, exec, s[4:5]
	v_add_u32_e32 v3, 16, v4
	v_ashrrev_i32_e32 v1, 31, v3
	v_mul_lo_u32 v8, s15, v3
	v_mad_u64_u32 v[4:5], s[2:3], s14, v3, 0
	v_mul_lo_u32 v1, s14, v1
	v_add3_u32 v5, v5, v1, v8
	v_lshlrev_b64 v[4:5], 2, v[4:5]
	v_mov_b32_e32 v1, s8
	v_add_co_u32_e64 v4, s[2:3], s7, v4
	v_addc_co_u32_e64 v5, s[2:3], v1, v5, s[2:3]
	v_cmp_le_i32_e64 s[2:3], v3, v0
	s_and_b64 s[4:5], s[2:3], vcc
	s_and_saveexec_b64 s[2:3], s[4:5]
	s_cbranch_execz .LBB988_14
; %bb.13:
	v_ashrrev_i32_e32 v1, 31, v0
	v_lshlrev_b64 v[0:1], 2, v[0:1]
	v_mul_f32_e32 v7, s6, v7
	v_add_co_u32_e32 v0, vcc, v4, v0
	v_addc_co_u32_e32 v1, vcc, v5, v1, vcc
	global_store_dword v[0:1], v7, off
.LBB988_14:
	s_or_b64 exec, exec, s[2:3]
	v_cmp_le_i32_e32 vcc, v3, v2
	s_and_b64 s[0:1], vcc, s[0:1]
	s_and_saveexec_b64 s[2:3], s[0:1]
	s_cbranch_execz .LBB988_16
; %bb.15:
	v_ashrrev_i32_e32 v3, 31, v2
	v_lshlrev_b64 v[0:1], 2, v[2:3]
	v_mul_f32_e32 v6, s6, v6
	v_add_co_u32_e32 v0, vcc, v4, v0
	v_addc_co_u32_e32 v1, vcc, v5, v1, vcc
	global_store_dword v[0:1], v6, off
.LBB988_16:
	s_endpgm
	.section	.rodata,"a",@progbits
	.p2align	6, 0x0
	.amdhsa_kernel _ZL34rocblas_syrkx_herkx_general_kernelIlfLi16ELi32ELi8ELb1ELb0ELc78ELc76EKffEviT_T0_PT8_S1_lS4_S1_lS2_PT9_S1_li
		.amdhsa_group_segment_fixed_size 2048
		.amdhsa_private_segment_fixed_size 0
		.amdhsa_kernarg_size 108
		.amdhsa_user_sgpr_count 6
		.amdhsa_user_sgpr_private_segment_buffer 1
		.amdhsa_user_sgpr_dispatch_ptr 0
		.amdhsa_user_sgpr_queue_ptr 0
		.amdhsa_user_sgpr_kernarg_segment_ptr 1
		.amdhsa_user_sgpr_dispatch_id 0
		.amdhsa_user_sgpr_flat_scratch_init 0
		.amdhsa_user_sgpr_private_segment_size 0
		.amdhsa_uses_dynamic_stack 0
		.amdhsa_system_sgpr_private_segment_wavefront_offset 0
		.amdhsa_system_sgpr_workgroup_id_x 1
		.amdhsa_system_sgpr_workgroup_id_y 1
		.amdhsa_system_sgpr_workgroup_id_z 1
		.amdhsa_system_sgpr_workgroup_info 0
		.amdhsa_system_vgpr_workitem_id 1
		.amdhsa_next_free_vgpr 28
		.amdhsa_next_free_sgpr 26
		.amdhsa_reserve_vcc 1
		.amdhsa_reserve_flat_scratch 0
		.amdhsa_float_round_mode_32 0
		.amdhsa_float_round_mode_16_64 0
		.amdhsa_float_denorm_mode_32 3
		.amdhsa_float_denorm_mode_16_64 3
		.amdhsa_dx10_clamp 1
		.amdhsa_ieee_mode 1
		.amdhsa_fp16_overflow 0
		.amdhsa_exception_fp_ieee_invalid_op 0
		.amdhsa_exception_fp_denorm_src 0
		.amdhsa_exception_fp_ieee_div_zero 0
		.amdhsa_exception_fp_ieee_overflow 0
		.amdhsa_exception_fp_ieee_underflow 0
		.amdhsa_exception_fp_ieee_inexact 0
		.amdhsa_exception_int_div_zero 0
	.end_amdhsa_kernel
	.section	.text._ZL34rocblas_syrkx_herkx_general_kernelIlfLi16ELi32ELi8ELb1ELb0ELc78ELc76EKffEviT_T0_PT8_S1_lS4_S1_lS2_PT9_S1_li,"axG",@progbits,_ZL34rocblas_syrkx_herkx_general_kernelIlfLi16ELi32ELi8ELb1ELb0ELc78ELc76EKffEviT_T0_PT8_S1_lS4_S1_lS2_PT9_S1_li,comdat
.Lfunc_end988:
	.size	_ZL34rocblas_syrkx_herkx_general_kernelIlfLi16ELi32ELi8ELb1ELb0ELc78ELc76EKffEviT_T0_PT8_S1_lS4_S1_lS2_PT9_S1_li, .Lfunc_end988-_ZL34rocblas_syrkx_herkx_general_kernelIlfLi16ELi32ELi8ELb1ELb0ELc78ELc76EKffEviT_T0_PT8_S1_lS4_S1_lS2_PT9_S1_li
                                        ; -- End function
	.set _ZL34rocblas_syrkx_herkx_general_kernelIlfLi16ELi32ELi8ELb1ELb0ELc78ELc76EKffEviT_T0_PT8_S1_lS4_S1_lS2_PT9_S1_li.num_vgpr, 28
	.set _ZL34rocblas_syrkx_herkx_general_kernelIlfLi16ELi32ELi8ELb1ELb0ELc78ELc76EKffEviT_T0_PT8_S1_lS4_S1_lS2_PT9_S1_li.num_agpr, 0
	.set _ZL34rocblas_syrkx_herkx_general_kernelIlfLi16ELi32ELi8ELb1ELb0ELc78ELc76EKffEviT_T0_PT8_S1_lS4_S1_lS2_PT9_S1_li.numbered_sgpr, 26
	.set _ZL34rocblas_syrkx_herkx_general_kernelIlfLi16ELi32ELi8ELb1ELb0ELc78ELc76EKffEviT_T0_PT8_S1_lS4_S1_lS2_PT9_S1_li.num_named_barrier, 0
	.set _ZL34rocblas_syrkx_herkx_general_kernelIlfLi16ELi32ELi8ELb1ELb0ELc78ELc76EKffEviT_T0_PT8_S1_lS4_S1_lS2_PT9_S1_li.private_seg_size, 0
	.set _ZL34rocblas_syrkx_herkx_general_kernelIlfLi16ELi32ELi8ELb1ELb0ELc78ELc76EKffEviT_T0_PT8_S1_lS4_S1_lS2_PT9_S1_li.uses_vcc, 1
	.set _ZL34rocblas_syrkx_herkx_general_kernelIlfLi16ELi32ELi8ELb1ELb0ELc78ELc76EKffEviT_T0_PT8_S1_lS4_S1_lS2_PT9_S1_li.uses_flat_scratch, 0
	.set _ZL34rocblas_syrkx_herkx_general_kernelIlfLi16ELi32ELi8ELb1ELb0ELc78ELc76EKffEviT_T0_PT8_S1_lS4_S1_lS2_PT9_S1_li.has_dyn_sized_stack, 0
	.set _ZL34rocblas_syrkx_herkx_general_kernelIlfLi16ELi32ELi8ELb1ELb0ELc78ELc76EKffEviT_T0_PT8_S1_lS4_S1_lS2_PT9_S1_li.has_recursion, 0
	.set _ZL34rocblas_syrkx_herkx_general_kernelIlfLi16ELi32ELi8ELb1ELb0ELc78ELc76EKffEviT_T0_PT8_S1_lS4_S1_lS2_PT9_S1_li.has_indirect_call, 0
	.section	.AMDGPU.csdata,"",@progbits
; Kernel info:
; codeLenInByte = 1288
; TotalNumSgprs: 30
; NumVgprs: 28
; ScratchSize: 0
; MemoryBound: 0
; FloatMode: 240
; IeeeMode: 1
; LDSByteSize: 2048 bytes/workgroup (compile time only)
; SGPRBlocks: 3
; VGPRBlocks: 6
; NumSGPRsForWavesPerEU: 30
; NumVGPRsForWavesPerEU: 28
; Occupancy: 9
; WaveLimiterHint : 0
; COMPUTE_PGM_RSRC2:SCRATCH_EN: 0
; COMPUTE_PGM_RSRC2:USER_SGPR: 6
; COMPUTE_PGM_RSRC2:TRAP_HANDLER: 0
; COMPUTE_PGM_RSRC2:TGID_X_EN: 1
; COMPUTE_PGM_RSRC2:TGID_Y_EN: 1
; COMPUTE_PGM_RSRC2:TGID_Z_EN: 1
; COMPUTE_PGM_RSRC2:TIDIG_COMP_CNT: 1
	.section	.text._ZL34rocblas_syrkx_herkx_general_kernelIlfLi16ELi32ELi8ELb1ELb0ELc84ELc85EKffEviT_T0_PT8_S1_lS4_S1_lS2_PT9_S1_li,"axG",@progbits,_ZL34rocblas_syrkx_herkx_general_kernelIlfLi16ELi32ELi8ELb1ELb0ELc84ELc85EKffEviT_T0_PT8_S1_lS4_S1_lS2_PT9_S1_li,comdat
	.globl	_ZL34rocblas_syrkx_herkx_general_kernelIlfLi16ELi32ELi8ELb1ELb0ELc84ELc85EKffEviT_T0_PT8_S1_lS4_S1_lS2_PT9_S1_li ; -- Begin function _ZL34rocblas_syrkx_herkx_general_kernelIlfLi16ELi32ELi8ELb1ELb0ELc84ELc85EKffEviT_T0_PT8_S1_lS4_S1_lS2_PT9_S1_li
	.p2align	8
	.type	_ZL34rocblas_syrkx_herkx_general_kernelIlfLi16ELi32ELi8ELb1ELb0ELc84ELc85EKffEviT_T0_PT8_S1_lS4_S1_lS2_PT9_S1_li,@function
_ZL34rocblas_syrkx_herkx_general_kernelIlfLi16ELi32ELi8ELb1ELb0ELc84ELc85EKffEviT_T0_PT8_S1_lS4_S1_lS2_PT9_S1_li: ; @_ZL34rocblas_syrkx_herkx_general_kernelIlfLi16ELi32ELi8ELb1ELb0ELc84ELc85EKffEviT_T0_PT8_S1_lS4_S1_lS2_PT9_S1_li
; %bb.0:
	s_load_dwordx2 s[10:11], s[4:5], 0x8
	s_load_dword s9, s[4:5], 0x0
	s_lshl_b32 s24, s6, 5
	s_lshl_b32 s25, s7, 5
	s_waitcnt lgkmcnt(0)
	v_cmp_lt_i64_e64 s[0:1], s[10:11], 1
	s_and_b64 vcc, exec, s[0:1]
	s_cbranch_vccnz .LBB989_7
; %bb.1:
	v_lshl_add_u32 v2, v1, 4, v0
	v_and_b32_e32 v5, 31, v2
	v_or_b32_e32 v7, s24, v5
	v_and_b32_e32 v10, 7, v0
	s_load_dwordx8 s[12:19], s[4:5], 0x18
	s_load_dwordx4 s[20:23], s[4:5], 0x38
	v_lshrrev_b32_e32 v3, 3, v2
	v_lshrrev_b32_e32 v8, 5, v2
	v_cmp_gt_i32_e64 s[0:1], s9, v7
	v_lshlrev_b32_e32 v2, 2, v5
	v_lshlrev_b32_e32 v7, 2, v10
	v_lshl_or_b32 v11, v8, 7, v2
	v_lshl_or_b32 v2, v3, 5, v7
	v_add_u32_e32 v12, 0x400, v2
	v_add_u32_e32 v2, s24, v5
	;; [unrolled: 1-line block ×3, first 2 shown]
	v_ashrrev_i32_e32 v3, 31, v2
	s_waitcnt lgkmcnt(0)
	v_mul_lo_u32 v5, s14, v3
	v_mul_lo_u32 v14, s15, v2
	v_mad_u64_u32 v[2:3], s[6:7], s14, v2, 0
	s_mul_i32 s6, s17, s8
	s_mul_hi_u32 s7, s16, s8
	v_add3_u32 v3, v3, v5, v14
	v_lshlrev_b64 v[2:3], 2, v[2:3]
	s_add_i32 s7, s7, s6
	s_mul_i32 s6, s16, s8
	s_lshl_b64 s[6:7], s[6:7], 2
	v_mov_b32_e32 v5, s7
	v_add_co_u32_e32 v2, vcc, s6, v2
	v_ashrrev_i32_e32 v9, 31, v4
	v_addc_co_u32_e32 v3, vcc, v3, v5, vcc
	v_lshlrev_b32_e32 v5, 2, v8
	v_cmp_gt_i32_e64 s[2:3], s9, v4
	v_add_co_u32_e32 v2, vcc, v2, v5
	v_mul_lo_u32 v9, s20, v9
	v_mul_lo_u32 v16, s21, v4
	v_mad_u64_u32 v[4:5], s[6:7], s20, v4, 0
	v_addc_co_u32_e32 v3, vcc, 0, v3, vcc
	v_add3_u32 v5, v5, v9, v16
	s_mul_i32 s6, s23, s8
	s_mul_hi_u32 s7, s22, s8
	v_mov_b32_e32 v14, s13
	v_add_co_u32_e32 v2, vcc, s12, v2
	v_lshlrev_b64 v[4:5], 2, v[4:5]
	s_add_i32 s7, s7, s6
	s_mul_i32 s6, s22, s8
	v_addc_co_u32_e32 v3, vcc, v14, v3, vcc
	s_lshl_b64 s[6:7], s[6:7], 2
	v_mov_b32_e32 v9, s7
	v_add_co_u32_e32 v4, vcc, s6, v4
	v_addc_co_u32_e32 v5, vcc, v5, v9, vcc
	v_add_co_u32_e32 v4, vcc, v4, v7
	v_addc_co_u32_e32 v5, vcc, 0, v5, vcc
	v_mov_b32_e32 v15, 0x400
	v_mov_b32_e32 v7, s19
	v_add_co_u32_e32 v4, vcc, s18, v4
	v_mov_b32_e32 v6, 0
	v_lshlrev_b32_e32 v13, 2, v0
	v_lshl_add_u32 v15, v1, 5, v15
	v_addc_co_u32_e32 v5, vcc, v7, v5, vcc
	s_mov_b64 s[12:13], 0
	v_mov_b32_e32 v7, 0
	v_mov_b32_e32 v9, 0
	;; [unrolled: 1-line block ×3, first 2 shown]
	s_branch .LBB989_3
.LBB989_2:                              ;   in Loop: Header=BB989_3 Depth=1
	s_or_b64 exec, exec, s[6:7]
	s_waitcnt vmcnt(0)
	ds_write_b32 v12, v16
	s_waitcnt lgkmcnt(0)
	s_barrier
	ds_read_b128 v[16:19], v15
	ds_read2_b32 v[20:21], v13 offset1:16
	ds_read2_b32 v[22:23], v13 offset0:32 offset1:48
	ds_read2_b32 v[24:25], v13 offset0:64 offset1:80
	;; [unrolled: 1-line block ×3, first 2 shown]
	s_add_u32 s12, s12, 8
	s_waitcnt lgkmcnt(3)
	v_fmac_f32_e32 v14, v20, v16
	v_fmac_f32_e32 v9, v21, v16
	s_waitcnt lgkmcnt(2)
	v_fmac_f32_e32 v14, v22, v17
	v_fmac_f32_e32 v9, v23, v17
	;; [unrolled: 3-line block ×4, first 2 shown]
	ds_read_b128 v[16:19], v15 offset:512
	v_add_co_u32_e32 v2, vcc, 32, v2
	s_addc_u32 s13, s13, 0
	v_addc_co_u32_e32 v3, vcc, 0, v3, vcc
	s_waitcnt lgkmcnt(0)
	v_fmac_f32_e32 v7, v20, v16
	v_fmac_f32_e32 v6, v21, v16
	;; [unrolled: 1-line block ×8, first 2 shown]
	ds_read_b128 v[16:19], v15 offset:16
	ds_read2_b32 v[20:21], v13 offset0:128 offset1:144
	ds_read2_b32 v[22:23], v13 offset0:160 offset1:176
	;; [unrolled: 1-line block ×4, first 2 shown]
	v_add_co_u32_e32 v4, vcc, 32, v4
	s_waitcnt lgkmcnt(3)
	v_fmac_f32_e32 v14, v20, v16
	v_fmac_f32_e32 v9, v21, v16
	s_waitcnt lgkmcnt(2)
	v_fmac_f32_e32 v14, v22, v17
	v_fmac_f32_e32 v9, v23, v17
	;; [unrolled: 3-line block ×4, first 2 shown]
	ds_read_b128 v[16:19], v15 offset:528
	v_addc_co_u32_e32 v5, vcc, 0, v5, vcc
	s_waitcnt lgkmcnt(0)
	s_barrier
	v_fmac_f32_e32 v7, v20, v16
	v_fmac_f32_e32 v6, v21, v16
	;; [unrolled: 1-line block ×4, first 2 shown]
	v_mov_b32_e32 v17, s11
	v_mov_b32_e32 v16, s10
	v_cmp_ge_i64_e64 s[6:7], s[12:13], v[16:17]
	v_fmac_f32_e32 v7, v24, v18
	v_fmac_f32_e32 v6, v25, v18
	;; [unrolled: 1-line block ×4, first 2 shown]
	s_and_b64 vcc, exec, s[6:7]
	s_cbranch_vccnz .LBB989_8
.LBB989_3:                              ; =>This Inner Loop Header: Depth=1
	v_mov_b32_e32 v17, s13
	v_add_co_u32_e32 v16, vcc, s12, v8
	v_addc_co_u32_e32 v17, vcc, 0, v17, vcc
	v_cmp_gt_i64_e32 vcc, s[10:11], v[16:17]
	v_mov_b32_e32 v16, 0
	s_and_b64 s[14:15], s[0:1], vcc
	s_and_saveexec_b64 s[6:7], s[14:15]
	s_cbranch_execz .LBB989_5
; %bb.4:                                ;   in Loop: Header=BB989_3 Depth=1
	global_load_dword v16, v[2:3], off
.LBB989_5:                              ;   in Loop: Header=BB989_3 Depth=1
	s_or_b64 exec, exec, s[6:7]
	v_mov_b32_e32 v18, s13
	v_add_co_u32_e32 v17, vcc, s12, v10
	v_addc_co_u32_e32 v18, vcc, 0, v18, vcc
	v_cmp_gt_i64_e32 vcc, s[10:11], v[17:18]
	s_waitcnt vmcnt(0)
	ds_write_b32 v11, v16
	s_and_b64 s[14:15], vcc, s[2:3]
	v_mov_b32_e32 v16, 0
	s_and_saveexec_b64 s[6:7], s[14:15]
	s_cbranch_execz .LBB989_2
; %bb.6:                                ;   in Loop: Header=BB989_3 Depth=1
	global_load_dword v16, v[4:5], off
	s_branch .LBB989_2
.LBB989_7:
	v_mov_b32_e32 v14, 0
	v_mov_b32_e32 v9, 0
	;; [unrolled: 1-line block ×4, first 2 shown]
.LBB989_8:
	s_load_dwordx2 s[10:11], s[4:5], 0x60
	s_load_dword s6, s[4:5], 0x10
	s_load_dwordx4 s[0:3], s[4:5], 0x50
	v_add_u32_e32 v4, s25, v1
	v_ashrrev_i32_e32 v1, 31, v4
	s_waitcnt lgkmcnt(0)
	s_mul_i32 s5, s11, s8
	s_mul_hi_u32 s7, s10, s8
	s_mul_i32 s4, s10, s8
	v_mul_lo_u32 v3, s2, v1
	v_mul_lo_u32 v5, s3, v4
	v_mad_u64_u32 v[1:2], s[10:11], s2, v4, 0
	s_add_i32 s5, s7, s5
	s_lshl_b64 s[4:5], s[4:5], 2
	v_add3_u32 v2, v2, v3, v5
	s_add_u32 s7, s0, s4
	v_lshlrev_b64 v[1:2], 2, v[1:2]
	s_addc_u32 s8, s1, s5
	v_mov_b32_e32 v3, s8
	v_add_co_u32_e64 v5, s[0:1], s7, v1
	v_add_u32_e32 v0, s24, v0
	v_addc_co_u32_e64 v8, s[0:1], v3, v2, s[0:1]
	v_cmp_gt_i32_e32 vcc, s9, v4
	v_cmp_le_i32_e64 s[0:1], v0, v4
	s_and_b64 s[0:1], vcc, s[0:1]
	s_and_saveexec_b64 s[4:5], s[0:1]
	s_cbranch_execz .LBB989_10
; %bb.9:
	v_ashrrev_i32_e32 v1, 31, v0
	v_lshlrev_b64 v[1:2], 2, v[0:1]
	v_mul_f32_e32 v3, s6, v14
	v_add_co_u32_e64 v1, s[0:1], v5, v1
	v_addc_co_u32_e64 v2, s[0:1], v8, v2, s[0:1]
	global_store_dword v[1:2], v3, off
.LBB989_10:
	s_or_b64 exec, exec, s[4:5]
	v_add_u32_e32 v2, 16, v0
	v_cmp_le_i32_e64 s[0:1], v2, v4
	s_and_b64 s[4:5], vcc, s[0:1]
	s_and_saveexec_b64 s[0:1], s[4:5]
	s_cbranch_execz .LBB989_12
; %bb.11:
	v_ashrrev_i32_e32 v3, 31, v2
	v_mul_f32_e32 v1, s6, v9
	v_lshlrev_b64 v[9:10], 2, v[2:3]
	v_add_co_u32_e32 v9, vcc, v5, v9
	v_addc_co_u32_e32 v10, vcc, v8, v10, vcc
	global_store_dword v[9:10], v1, off
.LBB989_12:
	s_or_b64 exec, exec, s[0:1]
	v_add_u32_e32 v3, 16, v4
	v_ashrrev_i32_e32 v1, 31, v3
	v_mul_lo_u32 v1, s2, v1
	v_mul_lo_u32 v8, s3, v3
	v_mad_u64_u32 v[4:5], s[0:1], s2, v3, 0
	v_cmp_gt_i32_e32 vcc, s9, v3
	v_add3_u32 v5, v5, v1, v8
	v_lshlrev_b64 v[4:5], 2, v[4:5]
	v_mov_b32_e32 v1, s8
	v_add_co_u32_e64 v4, s[0:1], s7, v4
	v_addc_co_u32_e64 v5, s[0:1], v1, v5, s[0:1]
	v_cmp_le_i32_e64 s[0:1], v0, v3
	s_and_b64 s[0:1], vcc, s[0:1]
	s_and_saveexec_b64 s[2:3], s[0:1]
	s_cbranch_execz .LBB989_14
; %bb.13:
	v_ashrrev_i32_e32 v1, 31, v0
	v_lshlrev_b64 v[0:1], 2, v[0:1]
	v_mul_f32_e32 v7, s6, v7
	v_add_co_u32_e64 v0, s[0:1], v4, v0
	v_addc_co_u32_e64 v1, s[0:1], v5, v1, s[0:1]
	global_store_dword v[0:1], v7, off
.LBB989_14:
	s_or_b64 exec, exec, s[2:3]
	v_cmp_le_i32_e64 s[0:1], v2, v3
	s_and_b64 s[0:1], vcc, s[0:1]
	s_and_saveexec_b64 s[2:3], s[0:1]
	s_cbranch_execz .LBB989_16
; %bb.15:
	v_ashrrev_i32_e32 v3, 31, v2
	v_lshlrev_b64 v[0:1], 2, v[2:3]
	v_mul_f32_e32 v6, s6, v6
	v_add_co_u32_e32 v0, vcc, v4, v0
	v_addc_co_u32_e32 v1, vcc, v5, v1, vcc
	global_store_dword v[0:1], v6, off
.LBB989_16:
	s_endpgm
	.section	.rodata,"a",@progbits
	.p2align	6, 0x0
	.amdhsa_kernel _ZL34rocblas_syrkx_herkx_general_kernelIlfLi16ELi32ELi8ELb1ELb0ELc84ELc85EKffEviT_T0_PT8_S1_lS4_S1_lS2_PT9_S1_li
		.amdhsa_group_segment_fixed_size 2048
		.amdhsa_private_segment_fixed_size 0
		.amdhsa_kernarg_size 108
		.amdhsa_user_sgpr_count 6
		.amdhsa_user_sgpr_private_segment_buffer 1
		.amdhsa_user_sgpr_dispatch_ptr 0
		.amdhsa_user_sgpr_queue_ptr 0
		.amdhsa_user_sgpr_kernarg_segment_ptr 1
		.amdhsa_user_sgpr_dispatch_id 0
		.amdhsa_user_sgpr_flat_scratch_init 0
		.amdhsa_user_sgpr_private_segment_size 0
		.amdhsa_uses_dynamic_stack 0
		.amdhsa_system_sgpr_private_segment_wavefront_offset 0
		.amdhsa_system_sgpr_workgroup_id_x 1
		.amdhsa_system_sgpr_workgroup_id_y 1
		.amdhsa_system_sgpr_workgroup_id_z 1
		.amdhsa_system_sgpr_workgroup_info 0
		.amdhsa_system_vgpr_workitem_id 1
		.amdhsa_next_free_vgpr 28
		.amdhsa_next_free_sgpr 26
		.amdhsa_reserve_vcc 1
		.amdhsa_reserve_flat_scratch 0
		.amdhsa_float_round_mode_32 0
		.amdhsa_float_round_mode_16_64 0
		.amdhsa_float_denorm_mode_32 3
		.amdhsa_float_denorm_mode_16_64 3
		.amdhsa_dx10_clamp 1
		.amdhsa_ieee_mode 1
		.amdhsa_fp16_overflow 0
		.amdhsa_exception_fp_ieee_invalid_op 0
		.amdhsa_exception_fp_denorm_src 0
		.amdhsa_exception_fp_ieee_div_zero 0
		.amdhsa_exception_fp_ieee_overflow 0
		.amdhsa_exception_fp_ieee_underflow 0
		.amdhsa_exception_fp_ieee_inexact 0
		.amdhsa_exception_int_div_zero 0
	.end_amdhsa_kernel
	.section	.text._ZL34rocblas_syrkx_herkx_general_kernelIlfLi16ELi32ELi8ELb1ELb0ELc84ELc85EKffEviT_T0_PT8_S1_lS4_S1_lS2_PT9_S1_li,"axG",@progbits,_ZL34rocblas_syrkx_herkx_general_kernelIlfLi16ELi32ELi8ELb1ELb0ELc84ELc85EKffEviT_T0_PT8_S1_lS4_S1_lS2_PT9_S1_li,comdat
.Lfunc_end989:
	.size	_ZL34rocblas_syrkx_herkx_general_kernelIlfLi16ELi32ELi8ELb1ELb0ELc84ELc85EKffEviT_T0_PT8_S1_lS4_S1_lS2_PT9_S1_li, .Lfunc_end989-_ZL34rocblas_syrkx_herkx_general_kernelIlfLi16ELi32ELi8ELb1ELb0ELc84ELc85EKffEviT_T0_PT8_S1_lS4_S1_lS2_PT9_S1_li
                                        ; -- End function
	.set _ZL34rocblas_syrkx_herkx_general_kernelIlfLi16ELi32ELi8ELb1ELb0ELc84ELc85EKffEviT_T0_PT8_S1_lS4_S1_lS2_PT9_S1_li.num_vgpr, 28
	.set _ZL34rocblas_syrkx_herkx_general_kernelIlfLi16ELi32ELi8ELb1ELb0ELc84ELc85EKffEviT_T0_PT8_S1_lS4_S1_lS2_PT9_S1_li.num_agpr, 0
	.set _ZL34rocblas_syrkx_herkx_general_kernelIlfLi16ELi32ELi8ELb1ELb0ELc84ELc85EKffEviT_T0_PT8_S1_lS4_S1_lS2_PT9_S1_li.numbered_sgpr, 26
	.set _ZL34rocblas_syrkx_herkx_general_kernelIlfLi16ELi32ELi8ELb1ELb0ELc84ELc85EKffEviT_T0_PT8_S1_lS4_S1_lS2_PT9_S1_li.num_named_barrier, 0
	.set _ZL34rocblas_syrkx_herkx_general_kernelIlfLi16ELi32ELi8ELb1ELb0ELc84ELc85EKffEviT_T0_PT8_S1_lS4_S1_lS2_PT9_S1_li.private_seg_size, 0
	.set _ZL34rocblas_syrkx_herkx_general_kernelIlfLi16ELi32ELi8ELb1ELb0ELc84ELc85EKffEviT_T0_PT8_S1_lS4_S1_lS2_PT9_S1_li.uses_vcc, 1
	.set _ZL34rocblas_syrkx_herkx_general_kernelIlfLi16ELi32ELi8ELb1ELb0ELc84ELc85EKffEviT_T0_PT8_S1_lS4_S1_lS2_PT9_S1_li.uses_flat_scratch, 0
	.set _ZL34rocblas_syrkx_herkx_general_kernelIlfLi16ELi32ELi8ELb1ELb0ELc84ELc85EKffEviT_T0_PT8_S1_lS4_S1_lS2_PT9_S1_li.has_dyn_sized_stack, 0
	.set _ZL34rocblas_syrkx_herkx_general_kernelIlfLi16ELi32ELi8ELb1ELb0ELc84ELc85EKffEviT_T0_PT8_S1_lS4_S1_lS2_PT9_S1_li.has_recursion, 0
	.set _ZL34rocblas_syrkx_herkx_general_kernelIlfLi16ELi32ELi8ELb1ELb0ELc84ELc85EKffEviT_T0_PT8_S1_lS4_S1_lS2_PT9_S1_li.has_indirect_call, 0
	.section	.AMDGPU.csdata,"",@progbits
; Kernel info:
; codeLenInByte = 1292
; TotalNumSgprs: 30
; NumVgprs: 28
; ScratchSize: 0
; MemoryBound: 0
; FloatMode: 240
; IeeeMode: 1
; LDSByteSize: 2048 bytes/workgroup (compile time only)
; SGPRBlocks: 3
; VGPRBlocks: 6
; NumSGPRsForWavesPerEU: 30
; NumVGPRsForWavesPerEU: 28
; Occupancy: 9
; WaveLimiterHint : 0
; COMPUTE_PGM_RSRC2:SCRATCH_EN: 0
; COMPUTE_PGM_RSRC2:USER_SGPR: 6
; COMPUTE_PGM_RSRC2:TRAP_HANDLER: 0
; COMPUTE_PGM_RSRC2:TGID_X_EN: 1
; COMPUTE_PGM_RSRC2:TGID_Y_EN: 1
; COMPUTE_PGM_RSRC2:TGID_Z_EN: 1
; COMPUTE_PGM_RSRC2:TIDIG_COMP_CNT: 1
	.section	.text._ZL34rocblas_syrkx_herkx_general_kernelIlfLi16ELi32ELi8ELb1ELb0ELc67ELc85EKffEviT_T0_PT8_S1_lS4_S1_lS2_PT9_S1_li,"axG",@progbits,_ZL34rocblas_syrkx_herkx_general_kernelIlfLi16ELi32ELi8ELb1ELb0ELc67ELc85EKffEviT_T0_PT8_S1_lS4_S1_lS2_PT9_S1_li,comdat
	.globl	_ZL34rocblas_syrkx_herkx_general_kernelIlfLi16ELi32ELi8ELb1ELb0ELc67ELc85EKffEviT_T0_PT8_S1_lS4_S1_lS2_PT9_S1_li ; -- Begin function _ZL34rocblas_syrkx_herkx_general_kernelIlfLi16ELi32ELi8ELb1ELb0ELc67ELc85EKffEviT_T0_PT8_S1_lS4_S1_lS2_PT9_S1_li
	.p2align	8
	.type	_ZL34rocblas_syrkx_herkx_general_kernelIlfLi16ELi32ELi8ELb1ELb0ELc67ELc85EKffEviT_T0_PT8_S1_lS4_S1_lS2_PT9_S1_li,@function
_ZL34rocblas_syrkx_herkx_general_kernelIlfLi16ELi32ELi8ELb1ELb0ELc67ELc85EKffEviT_T0_PT8_S1_lS4_S1_lS2_PT9_S1_li: ; @_ZL34rocblas_syrkx_herkx_general_kernelIlfLi16ELi32ELi8ELb1ELb0ELc67ELc85EKffEviT_T0_PT8_S1_lS4_S1_lS2_PT9_S1_li
; %bb.0:
	s_load_dwordx2 s[10:11], s[4:5], 0x8
	s_load_dword s9, s[4:5], 0x0
	s_lshl_b32 s24, s6, 5
	s_lshl_b32 s25, s7, 5
	s_waitcnt lgkmcnt(0)
	v_cmp_lt_i64_e64 s[0:1], s[10:11], 1
	s_and_b64 vcc, exec, s[0:1]
	s_cbranch_vccnz .LBB990_7
; %bb.1:
	v_lshl_add_u32 v2, v1, 4, v0
	v_and_b32_e32 v5, 31, v2
	v_or_b32_e32 v7, s24, v5
	v_and_b32_e32 v10, 7, v0
	s_load_dwordx8 s[12:19], s[4:5], 0x18
	s_load_dwordx4 s[20:23], s[4:5], 0x38
	v_lshrrev_b32_e32 v3, 3, v2
	v_lshrrev_b32_e32 v8, 5, v2
	v_cmp_gt_i32_e64 s[0:1], s9, v7
	v_lshlrev_b32_e32 v2, 2, v5
	v_lshlrev_b32_e32 v7, 2, v10
	v_lshl_or_b32 v11, v8, 7, v2
	v_lshl_or_b32 v2, v3, 5, v7
	v_add_u32_e32 v12, 0x400, v2
	v_add_u32_e32 v2, s24, v5
	;; [unrolled: 1-line block ×3, first 2 shown]
	v_ashrrev_i32_e32 v3, 31, v2
	s_waitcnt lgkmcnt(0)
	v_mul_lo_u32 v5, s14, v3
	v_mul_lo_u32 v14, s15, v2
	v_mad_u64_u32 v[2:3], s[6:7], s14, v2, 0
	s_mul_i32 s6, s17, s8
	s_mul_hi_u32 s7, s16, s8
	v_add3_u32 v3, v3, v5, v14
	v_lshlrev_b64 v[2:3], 2, v[2:3]
	s_add_i32 s7, s7, s6
	s_mul_i32 s6, s16, s8
	s_lshl_b64 s[6:7], s[6:7], 2
	v_mov_b32_e32 v5, s7
	v_add_co_u32_e32 v2, vcc, s6, v2
	v_ashrrev_i32_e32 v9, 31, v4
	v_addc_co_u32_e32 v3, vcc, v3, v5, vcc
	v_lshlrev_b32_e32 v5, 2, v8
	v_cmp_gt_i32_e64 s[2:3], s9, v4
	v_add_co_u32_e32 v2, vcc, v2, v5
	v_mul_lo_u32 v9, s20, v9
	v_mul_lo_u32 v16, s21, v4
	v_mad_u64_u32 v[4:5], s[6:7], s20, v4, 0
	v_addc_co_u32_e32 v3, vcc, 0, v3, vcc
	v_add3_u32 v5, v5, v9, v16
	s_mul_i32 s6, s23, s8
	s_mul_hi_u32 s7, s22, s8
	v_mov_b32_e32 v14, s13
	v_add_co_u32_e32 v2, vcc, s12, v2
	v_lshlrev_b64 v[4:5], 2, v[4:5]
	s_add_i32 s7, s7, s6
	s_mul_i32 s6, s22, s8
	v_addc_co_u32_e32 v3, vcc, v14, v3, vcc
	s_lshl_b64 s[6:7], s[6:7], 2
	v_mov_b32_e32 v9, s7
	v_add_co_u32_e32 v4, vcc, s6, v4
	v_addc_co_u32_e32 v5, vcc, v5, v9, vcc
	v_add_co_u32_e32 v4, vcc, v4, v7
	v_addc_co_u32_e32 v5, vcc, 0, v5, vcc
	v_mov_b32_e32 v15, 0x400
	v_mov_b32_e32 v7, s19
	v_add_co_u32_e32 v4, vcc, s18, v4
	v_mov_b32_e32 v6, 0
	v_lshlrev_b32_e32 v13, 2, v0
	v_lshl_add_u32 v15, v1, 5, v15
	v_addc_co_u32_e32 v5, vcc, v7, v5, vcc
	s_mov_b64 s[12:13], 0
	v_mov_b32_e32 v7, 0
	v_mov_b32_e32 v9, 0
	;; [unrolled: 1-line block ×3, first 2 shown]
	s_branch .LBB990_3
.LBB990_2:                              ;   in Loop: Header=BB990_3 Depth=1
	s_or_b64 exec, exec, s[6:7]
	s_waitcnt vmcnt(0)
	ds_write_b32 v12, v16
	s_waitcnt lgkmcnt(0)
	s_barrier
	ds_read_b128 v[16:19], v15
	ds_read2_b32 v[20:21], v13 offset1:16
	ds_read2_b32 v[22:23], v13 offset0:32 offset1:48
	ds_read2_b32 v[24:25], v13 offset0:64 offset1:80
	ds_read2_b32 v[26:27], v13 offset0:96 offset1:112
	s_add_u32 s12, s12, 8
	s_waitcnt lgkmcnt(3)
	v_fmac_f32_e32 v14, v20, v16
	v_fmac_f32_e32 v9, v21, v16
	s_waitcnt lgkmcnt(2)
	v_fmac_f32_e32 v14, v22, v17
	v_fmac_f32_e32 v9, v23, v17
	;; [unrolled: 3-line block ×4, first 2 shown]
	ds_read_b128 v[16:19], v15 offset:512
	v_add_co_u32_e32 v2, vcc, 32, v2
	s_addc_u32 s13, s13, 0
	v_addc_co_u32_e32 v3, vcc, 0, v3, vcc
	s_waitcnt lgkmcnt(0)
	v_fmac_f32_e32 v7, v20, v16
	v_fmac_f32_e32 v6, v21, v16
	;; [unrolled: 1-line block ×8, first 2 shown]
	ds_read_b128 v[16:19], v15 offset:16
	ds_read2_b32 v[20:21], v13 offset0:128 offset1:144
	ds_read2_b32 v[22:23], v13 offset0:160 offset1:176
	;; [unrolled: 1-line block ×4, first 2 shown]
	v_add_co_u32_e32 v4, vcc, 32, v4
	s_waitcnt lgkmcnt(3)
	v_fmac_f32_e32 v14, v20, v16
	v_fmac_f32_e32 v9, v21, v16
	s_waitcnt lgkmcnt(2)
	v_fmac_f32_e32 v14, v22, v17
	v_fmac_f32_e32 v9, v23, v17
	;; [unrolled: 3-line block ×4, first 2 shown]
	ds_read_b128 v[16:19], v15 offset:528
	v_addc_co_u32_e32 v5, vcc, 0, v5, vcc
	s_waitcnt lgkmcnt(0)
	s_barrier
	v_fmac_f32_e32 v7, v20, v16
	v_fmac_f32_e32 v6, v21, v16
	;; [unrolled: 1-line block ×4, first 2 shown]
	v_mov_b32_e32 v17, s11
	v_mov_b32_e32 v16, s10
	v_cmp_ge_i64_e64 s[6:7], s[12:13], v[16:17]
	v_fmac_f32_e32 v7, v24, v18
	v_fmac_f32_e32 v6, v25, v18
	;; [unrolled: 1-line block ×4, first 2 shown]
	s_and_b64 vcc, exec, s[6:7]
	s_cbranch_vccnz .LBB990_8
.LBB990_3:                              ; =>This Inner Loop Header: Depth=1
	v_mov_b32_e32 v17, s13
	v_add_co_u32_e32 v16, vcc, s12, v8
	v_addc_co_u32_e32 v17, vcc, 0, v17, vcc
	v_cmp_gt_i64_e32 vcc, s[10:11], v[16:17]
	v_mov_b32_e32 v16, 0
	s_and_b64 s[14:15], s[0:1], vcc
	s_and_saveexec_b64 s[6:7], s[14:15]
	s_cbranch_execz .LBB990_5
; %bb.4:                                ;   in Loop: Header=BB990_3 Depth=1
	global_load_dword v16, v[2:3], off
.LBB990_5:                              ;   in Loop: Header=BB990_3 Depth=1
	s_or_b64 exec, exec, s[6:7]
	v_mov_b32_e32 v18, s13
	v_add_co_u32_e32 v17, vcc, s12, v10
	v_addc_co_u32_e32 v18, vcc, 0, v18, vcc
	v_cmp_gt_i64_e32 vcc, s[10:11], v[17:18]
	s_waitcnt vmcnt(0)
	ds_write_b32 v11, v16
	s_and_b64 s[14:15], vcc, s[2:3]
	v_mov_b32_e32 v16, 0
	s_and_saveexec_b64 s[6:7], s[14:15]
	s_cbranch_execz .LBB990_2
; %bb.6:                                ;   in Loop: Header=BB990_3 Depth=1
	global_load_dword v16, v[4:5], off
	s_branch .LBB990_2
.LBB990_7:
	v_mov_b32_e32 v14, 0
	v_mov_b32_e32 v9, 0
	;; [unrolled: 1-line block ×4, first 2 shown]
.LBB990_8:
	s_load_dwordx2 s[10:11], s[4:5], 0x60
	s_load_dword s6, s[4:5], 0x10
	s_load_dwordx4 s[0:3], s[4:5], 0x50
	v_add_u32_e32 v4, s25, v1
	v_ashrrev_i32_e32 v1, 31, v4
	s_waitcnt lgkmcnt(0)
	s_mul_i32 s5, s11, s8
	s_mul_hi_u32 s7, s10, s8
	s_mul_i32 s4, s10, s8
	v_mul_lo_u32 v3, s2, v1
	v_mul_lo_u32 v5, s3, v4
	v_mad_u64_u32 v[1:2], s[10:11], s2, v4, 0
	s_add_i32 s5, s7, s5
	s_lshl_b64 s[4:5], s[4:5], 2
	v_add3_u32 v2, v2, v3, v5
	s_add_u32 s7, s0, s4
	v_lshlrev_b64 v[1:2], 2, v[1:2]
	s_addc_u32 s8, s1, s5
	v_mov_b32_e32 v3, s8
	v_add_co_u32_e64 v5, s[0:1], s7, v1
	v_add_u32_e32 v0, s24, v0
	v_addc_co_u32_e64 v8, s[0:1], v3, v2, s[0:1]
	v_cmp_gt_i32_e32 vcc, s9, v4
	v_cmp_le_i32_e64 s[0:1], v0, v4
	s_and_b64 s[0:1], vcc, s[0:1]
	s_and_saveexec_b64 s[4:5], s[0:1]
	s_cbranch_execz .LBB990_10
; %bb.9:
	v_ashrrev_i32_e32 v1, 31, v0
	v_lshlrev_b64 v[1:2], 2, v[0:1]
	v_mul_f32_e32 v3, s6, v14
	v_add_co_u32_e64 v1, s[0:1], v5, v1
	v_addc_co_u32_e64 v2, s[0:1], v8, v2, s[0:1]
	global_store_dword v[1:2], v3, off
.LBB990_10:
	s_or_b64 exec, exec, s[4:5]
	v_add_u32_e32 v2, 16, v0
	v_cmp_le_i32_e64 s[0:1], v2, v4
	s_and_b64 s[4:5], vcc, s[0:1]
	s_and_saveexec_b64 s[0:1], s[4:5]
	s_cbranch_execz .LBB990_12
; %bb.11:
	v_ashrrev_i32_e32 v3, 31, v2
	v_mul_f32_e32 v1, s6, v9
	v_lshlrev_b64 v[9:10], 2, v[2:3]
	v_add_co_u32_e32 v9, vcc, v5, v9
	v_addc_co_u32_e32 v10, vcc, v8, v10, vcc
	global_store_dword v[9:10], v1, off
.LBB990_12:
	s_or_b64 exec, exec, s[0:1]
	v_add_u32_e32 v3, 16, v4
	v_ashrrev_i32_e32 v1, 31, v3
	v_mul_lo_u32 v1, s2, v1
	v_mul_lo_u32 v8, s3, v3
	v_mad_u64_u32 v[4:5], s[0:1], s2, v3, 0
	v_cmp_gt_i32_e32 vcc, s9, v3
	v_add3_u32 v5, v5, v1, v8
	v_lshlrev_b64 v[4:5], 2, v[4:5]
	v_mov_b32_e32 v1, s8
	v_add_co_u32_e64 v4, s[0:1], s7, v4
	v_addc_co_u32_e64 v5, s[0:1], v1, v5, s[0:1]
	v_cmp_le_i32_e64 s[0:1], v0, v3
	s_and_b64 s[0:1], vcc, s[0:1]
	s_and_saveexec_b64 s[2:3], s[0:1]
	s_cbranch_execz .LBB990_14
; %bb.13:
	v_ashrrev_i32_e32 v1, 31, v0
	v_lshlrev_b64 v[0:1], 2, v[0:1]
	v_mul_f32_e32 v7, s6, v7
	v_add_co_u32_e64 v0, s[0:1], v4, v0
	v_addc_co_u32_e64 v1, s[0:1], v5, v1, s[0:1]
	global_store_dword v[0:1], v7, off
.LBB990_14:
	s_or_b64 exec, exec, s[2:3]
	v_cmp_le_i32_e64 s[0:1], v2, v3
	s_and_b64 s[0:1], vcc, s[0:1]
	s_and_saveexec_b64 s[2:3], s[0:1]
	s_cbranch_execz .LBB990_16
; %bb.15:
	v_ashrrev_i32_e32 v3, 31, v2
	v_lshlrev_b64 v[0:1], 2, v[2:3]
	v_mul_f32_e32 v6, s6, v6
	v_add_co_u32_e32 v0, vcc, v4, v0
	v_addc_co_u32_e32 v1, vcc, v5, v1, vcc
	global_store_dword v[0:1], v6, off
.LBB990_16:
	s_endpgm
	.section	.rodata,"a",@progbits
	.p2align	6, 0x0
	.amdhsa_kernel _ZL34rocblas_syrkx_herkx_general_kernelIlfLi16ELi32ELi8ELb1ELb0ELc67ELc85EKffEviT_T0_PT8_S1_lS4_S1_lS2_PT9_S1_li
		.amdhsa_group_segment_fixed_size 2048
		.amdhsa_private_segment_fixed_size 0
		.amdhsa_kernarg_size 108
		.amdhsa_user_sgpr_count 6
		.amdhsa_user_sgpr_private_segment_buffer 1
		.amdhsa_user_sgpr_dispatch_ptr 0
		.amdhsa_user_sgpr_queue_ptr 0
		.amdhsa_user_sgpr_kernarg_segment_ptr 1
		.amdhsa_user_sgpr_dispatch_id 0
		.amdhsa_user_sgpr_flat_scratch_init 0
		.amdhsa_user_sgpr_private_segment_size 0
		.amdhsa_uses_dynamic_stack 0
		.amdhsa_system_sgpr_private_segment_wavefront_offset 0
		.amdhsa_system_sgpr_workgroup_id_x 1
		.amdhsa_system_sgpr_workgroup_id_y 1
		.amdhsa_system_sgpr_workgroup_id_z 1
		.amdhsa_system_sgpr_workgroup_info 0
		.amdhsa_system_vgpr_workitem_id 1
		.amdhsa_next_free_vgpr 28
		.amdhsa_next_free_sgpr 26
		.amdhsa_reserve_vcc 1
		.amdhsa_reserve_flat_scratch 0
		.amdhsa_float_round_mode_32 0
		.amdhsa_float_round_mode_16_64 0
		.amdhsa_float_denorm_mode_32 3
		.amdhsa_float_denorm_mode_16_64 3
		.amdhsa_dx10_clamp 1
		.amdhsa_ieee_mode 1
		.amdhsa_fp16_overflow 0
		.amdhsa_exception_fp_ieee_invalid_op 0
		.amdhsa_exception_fp_denorm_src 0
		.amdhsa_exception_fp_ieee_div_zero 0
		.amdhsa_exception_fp_ieee_overflow 0
		.amdhsa_exception_fp_ieee_underflow 0
		.amdhsa_exception_fp_ieee_inexact 0
		.amdhsa_exception_int_div_zero 0
	.end_amdhsa_kernel
	.section	.text._ZL34rocblas_syrkx_herkx_general_kernelIlfLi16ELi32ELi8ELb1ELb0ELc67ELc85EKffEviT_T0_PT8_S1_lS4_S1_lS2_PT9_S1_li,"axG",@progbits,_ZL34rocblas_syrkx_herkx_general_kernelIlfLi16ELi32ELi8ELb1ELb0ELc67ELc85EKffEviT_T0_PT8_S1_lS4_S1_lS2_PT9_S1_li,comdat
.Lfunc_end990:
	.size	_ZL34rocblas_syrkx_herkx_general_kernelIlfLi16ELi32ELi8ELb1ELb0ELc67ELc85EKffEviT_T0_PT8_S1_lS4_S1_lS2_PT9_S1_li, .Lfunc_end990-_ZL34rocblas_syrkx_herkx_general_kernelIlfLi16ELi32ELi8ELb1ELb0ELc67ELc85EKffEviT_T0_PT8_S1_lS4_S1_lS2_PT9_S1_li
                                        ; -- End function
	.set _ZL34rocblas_syrkx_herkx_general_kernelIlfLi16ELi32ELi8ELb1ELb0ELc67ELc85EKffEviT_T0_PT8_S1_lS4_S1_lS2_PT9_S1_li.num_vgpr, 28
	.set _ZL34rocblas_syrkx_herkx_general_kernelIlfLi16ELi32ELi8ELb1ELb0ELc67ELc85EKffEviT_T0_PT8_S1_lS4_S1_lS2_PT9_S1_li.num_agpr, 0
	.set _ZL34rocblas_syrkx_herkx_general_kernelIlfLi16ELi32ELi8ELb1ELb0ELc67ELc85EKffEviT_T0_PT8_S1_lS4_S1_lS2_PT9_S1_li.numbered_sgpr, 26
	.set _ZL34rocblas_syrkx_herkx_general_kernelIlfLi16ELi32ELi8ELb1ELb0ELc67ELc85EKffEviT_T0_PT8_S1_lS4_S1_lS2_PT9_S1_li.num_named_barrier, 0
	.set _ZL34rocblas_syrkx_herkx_general_kernelIlfLi16ELi32ELi8ELb1ELb0ELc67ELc85EKffEviT_T0_PT8_S1_lS4_S1_lS2_PT9_S1_li.private_seg_size, 0
	.set _ZL34rocblas_syrkx_herkx_general_kernelIlfLi16ELi32ELi8ELb1ELb0ELc67ELc85EKffEviT_T0_PT8_S1_lS4_S1_lS2_PT9_S1_li.uses_vcc, 1
	.set _ZL34rocblas_syrkx_herkx_general_kernelIlfLi16ELi32ELi8ELb1ELb0ELc67ELc85EKffEviT_T0_PT8_S1_lS4_S1_lS2_PT9_S1_li.uses_flat_scratch, 0
	.set _ZL34rocblas_syrkx_herkx_general_kernelIlfLi16ELi32ELi8ELb1ELb0ELc67ELc85EKffEviT_T0_PT8_S1_lS4_S1_lS2_PT9_S1_li.has_dyn_sized_stack, 0
	.set _ZL34rocblas_syrkx_herkx_general_kernelIlfLi16ELi32ELi8ELb1ELb0ELc67ELc85EKffEviT_T0_PT8_S1_lS4_S1_lS2_PT9_S1_li.has_recursion, 0
	.set _ZL34rocblas_syrkx_herkx_general_kernelIlfLi16ELi32ELi8ELb1ELb0ELc67ELc85EKffEviT_T0_PT8_S1_lS4_S1_lS2_PT9_S1_li.has_indirect_call, 0
	.section	.AMDGPU.csdata,"",@progbits
; Kernel info:
; codeLenInByte = 1292
; TotalNumSgprs: 30
; NumVgprs: 28
; ScratchSize: 0
; MemoryBound: 0
; FloatMode: 240
; IeeeMode: 1
; LDSByteSize: 2048 bytes/workgroup (compile time only)
; SGPRBlocks: 3
; VGPRBlocks: 6
; NumSGPRsForWavesPerEU: 30
; NumVGPRsForWavesPerEU: 28
; Occupancy: 9
; WaveLimiterHint : 0
; COMPUTE_PGM_RSRC2:SCRATCH_EN: 0
; COMPUTE_PGM_RSRC2:USER_SGPR: 6
; COMPUTE_PGM_RSRC2:TRAP_HANDLER: 0
; COMPUTE_PGM_RSRC2:TGID_X_EN: 1
; COMPUTE_PGM_RSRC2:TGID_Y_EN: 1
; COMPUTE_PGM_RSRC2:TGID_Z_EN: 1
; COMPUTE_PGM_RSRC2:TIDIG_COMP_CNT: 1
	.section	.text._ZL34rocblas_syrkx_herkx_general_kernelIlfLi16ELi32ELi8ELb1ELb0ELc78ELc85EKffEviT_T0_PT8_S1_lS4_S1_lS2_PT9_S1_li,"axG",@progbits,_ZL34rocblas_syrkx_herkx_general_kernelIlfLi16ELi32ELi8ELb1ELb0ELc78ELc85EKffEviT_T0_PT8_S1_lS4_S1_lS2_PT9_S1_li,comdat
	.globl	_ZL34rocblas_syrkx_herkx_general_kernelIlfLi16ELi32ELi8ELb1ELb0ELc78ELc85EKffEviT_T0_PT8_S1_lS4_S1_lS2_PT9_S1_li ; -- Begin function _ZL34rocblas_syrkx_herkx_general_kernelIlfLi16ELi32ELi8ELb1ELb0ELc78ELc85EKffEviT_T0_PT8_S1_lS4_S1_lS2_PT9_S1_li
	.p2align	8
	.type	_ZL34rocblas_syrkx_herkx_general_kernelIlfLi16ELi32ELi8ELb1ELb0ELc78ELc85EKffEviT_T0_PT8_S1_lS4_S1_lS2_PT9_S1_li,@function
_ZL34rocblas_syrkx_herkx_general_kernelIlfLi16ELi32ELi8ELb1ELb0ELc78ELc85EKffEviT_T0_PT8_S1_lS4_S1_lS2_PT9_S1_li: ; @_ZL34rocblas_syrkx_herkx_general_kernelIlfLi16ELi32ELi8ELb1ELb0ELc78ELc85EKffEviT_T0_PT8_S1_lS4_S1_lS2_PT9_S1_li
; %bb.0:
	s_load_dwordx2 s[10:11], s[4:5], 0x8
	s_load_dword s9, s[4:5], 0x0
	s_lshl_b32 s24, s6, 5
	s_lshl_b32 s25, s7, 5
	s_waitcnt lgkmcnt(0)
	v_cmp_lt_i64_e64 s[0:1], s[10:11], 1
	s_and_b64 vcc, exec, s[0:1]
	s_cbranch_vccnz .LBB991_7
; %bb.1:
	s_load_dwordx8 s[12:19], s[4:5], 0x18
	s_load_dwordx4 s[20:23], s[4:5], 0x38
	v_lshl_add_u32 v2, v1, 4, v0
	v_and_b32_e32 v7, 31, v2
	v_lshrrev_b32_e32 v5, 3, v2
	v_or_b32_e32 v3, s24, v7
	v_lshrrev_b32_e32 v8, 5, v2
	v_lshlrev_b32_e32 v2, 2, v7
	v_cmp_gt_i32_e64 s[0:1], s9, v3
	v_lshl_or_b32 v10, v8, 7, v2
	s_waitcnt lgkmcnt(0)
	v_mad_u64_u32 v[2:3], s[6:7], s14, v8, 0
	v_add_u32_e32 v4, s25, v5
	v_and_b32_e32 v9, 7, v0
	v_mad_u64_u32 v[15:16], s[6:7], s15, v8, v[3:4]
	v_mov_b32_e32 v3, 0x400
	v_lshl_add_u32 v14, v1, 5, v3
	v_mov_b32_e32 v3, v15
	s_mul_i32 s6, s17, s8
	s_mul_hi_u32 s7, s16, s8
	v_lshlrev_b64 v[2:3], 2, v[2:3]
	s_add_i32 s7, s7, s6
	s_mul_i32 s6, s16, s8
	v_lshlrev_b32_e32 v11, 2, v9
	s_lshl_b64 s[6:7], s[6:7], 2
	v_lshl_or_b32 v5, v5, 5, v11
	v_mov_b32_e32 v11, s7
	v_add_co_u32_e32 v15, vcc, s6, v2
	v_add_u32_e32 v2, s24, v7
	v_addc_co_u32_e32 v11, vcc, v3, v11, vcc
	v_ashrrev_i32_e32 v3, 31, v2
	v_lshlrev_b64 v[2:3], 2, v[2:3]
	v_mov_b32_e32 v7, s13
	v_add_co_u32_e32 v2, vcc, v15, v2
	v_mad_u64_u32 v[15:16], s[6:7], s20, v9, 0
	v_addc_co_u32_e32 v3, vcc, v11, v3, vcc
	v_add_co_u32_e32 v2, vcc, s12, v2
	v_addc_co_u32_e32 v3, vcc, v7, v3, vcc
	v_mov_b32_e32 v7, v16
	v_mad_u64_u32 v[16:17], s[6:7], s21, v9, v[7:8]
	s_lshl_b64 s[12:13], s[14:15], 5
	s_mul_i32 s14, s23, s8
	s_mul_hi_u32 s15, s22, s8
	s_add_i32 s7, s15, s14
	s_mul_i32 s6, s22, s8
	v_lshlrev_b64 v[15:16], 2, v[15:16]
	v_add_u32_e32 v12, 0x400, v5
	v_ashrrev_i32_e32 v5, 31, v4
	s_lshl_b64 s[6:7], s[6:7], 2
	v_cmp_gt_i32_e64 s[2:3], s9, v4
	v_mov_b32_e32 v7, s7
	v_add_co_u32_e32 v11, vcc, s6, v15
	v_lshlrev_b64 v[4:5], 2, v[4:5]
	v_addc_co_u32_e32 v7, vcc, v7, v16, vcc
	v_add_co_u32_e32 v4, vcc, v11, v4
	v_addc_co_u32_e32 v5, vcc, v7, v5, vcc
	v_mov_b32_e32 v7, s19
	v_add_co_u32_e32 v4, vcc, s18, v4
	v_mov_b32_e32 v6, 0
	v_lshlrev_b32_e32 v13, 2, v0
	v_addc_co_u32_e32 v5, vcc, v7, v5, vcc
	s_lshl_b64 s[14:15], s[20:21], 5
	s_mov_b64 s[16:17], 0
	v_mov_b32_e32 v7, 0
	v_mov_b32_e32 v11, 0
	;; [unrolled: 1-line block ×3, first 2 shown]
	s_branch .LBB991_3
.LBB991_2:                              ;   in Loop: Header=BB991_3 Depth=1
	s_or_b64 exec, exec, s[6:7]
	s_waitcnt vmcnt(0)
	ds_write_b32 v12, v16
	s_waitcnt lgkmcnt(0)
	s_barrier
	ds_read_b128 v[16:19], v14
	ds_read2_b32 v[20:21], v13 offset1:16
	ds_read2_b32 v[22:23], v13 offset0:32 offset1:48
	ds_read2_b32 v[24:25], v13 offset0:64 offset1:80
	;; [unrolled: 1-line block ×3, first 2 shown]
	v_add_co_u32_e32 v2, vcc, s12, v2
	s_waitcnt lgkmcnt(3)
	v_fmac_f32_e32 v15, v20, v16
	v_fmac_f32_e32 v11, v21, v16
	s_waitcnt lgkmcnt(2)
	v_fmac_f32_e32 v15, v22, v17
	v_fmac_f32_e32 v11, v23, v17
	;; [unrolled: 3-line block ×4, first 2 shown]
	ds_read_b128 v[16:19], v14 offset:512
	s_add_u32 s16, s16, 8
	s_addc_u32 s17, s17, 0
	s_waitcnt lgkmcnt(0)
	v_fmac_f32_e32 v7, v20, v16
	v_fmac_f32_e32 v6, v21, v16
	;; [unrolled: 1-line block ×8, first 2 shown]
	ds_read_b128 v[16:19], v14 offset:16
	ds_read2_b32 v[20:21], v13 offset0:128 offset1:144
	ds_read2_b32 v[22:23], v13 offset0:160 offset1:176
	;; [unrolled: 1-line block ×4, first 2 shown]
	s_waitcnt lgkmcnt(3)
	v_fmac_f32_e32 v15, v20, v16
	v_fmac_f32_e32 v11, v21, v16
	s_waitcnt lgkmcnt(2)
	v_fmac_f32_e32 v15, v22, v17
	v_fmac_f32_e32 v11, v23, v17
	;; [unrolled: 3-line block ×4, first 2 shown]
	ds_read_b128 v[16:19], v14 offset:528
	s_waitcnt lgkmcnt(0)
	s_barrier
	v_fmac_f32_e32 v7, v20, v16
	v_fmac_f32_e32 v6, v21, v16
	v_mov_b32_e32 v16, s13
	v_fmac_f32_e32 v7, v22, v17
	v_fmac_f32_e32 v6, v23, v17
	v_addc_co_u32_e32 v3, vcc, v3, v16, vcc
	v_mov_b32_e32 v17, s11
	v_mov_b32_e32 v16, s10
	v_fmac_f32_e32 v7, v24, v18
	v_fmac_f32_e32 v6, v25, v18
	v_add_co_u32_e32 v4, vcc, s14, v4
	v_mov_b32_e32 v18, s15
	v_cmp_ge_i64_e64 s[6:7], s[16:17], v[16:17]
	v_addc_co_u32_e32 v5, vcc, v5, v18, vcc
	v_fmac_f32_e32 v7, v26, v19
	v_fmac_f32_e32 v6, v27, v19
	s_and_b64 vcc, exec, s[6:7]
	s_cbranch_vccnz .LBB991_8
.LBB991_3:                              ; =>This Inner Loop Header: Depth=1
	v_mov_b32_e32 v17, s17
	v_add_co_u32_e32 v16, vcc, s16, v8
	v_addc_co_u32_e32 v17, vcc, 0, v17, vcc
	v_cmp_gt_i64_e32 vcc, s[10:11], v[16:17]
	v_mov_b32_e32 v16, 0
	s_and_b64 s[18:19], s[0:1], vcc
	s_and_saveexec_b64 s[6:7], s[18:19]
	s_cbranch_execz .LBB991_5
; %bb.4:                                ;   in Loop: Header=BB991_3 Depth=1
	global_load_dword v16, v[2:3], off
.LBB991_5:                              ;   in Loop: Header=BB991_3 Depth=1
	s_or_b64 exec, exec, s[6:7]
	v_mov_b32_e32 v18, s17
	v_add_co_u32_e32 v17, vcc, s16, v9
	v_addc_co_u32_e32 v18, vcc, 0, v18, vcc
	v_cmp_gt_i64_e32 vcc, s[10:11], v[17:18]
	s_waitcnt vmcnt(0)
	ds_write_b32 v10, v16
	s_and_b64 s[18:19], vcc, s[2:3]
	v_mov_b32_e32 v16, 0
	s_and_saveexec_b64 s[6:7], s[18:19]
	s_cbranch_execz .LBB991_2
; %bb.6:                                ;   in Loop: Header=BB991_3 Depth=1
	global_load_dword v16, v[4:5], off
	s_branch .LBB991_2
.LBB991_7:
	v_mov_b32_e32 v15, 0
	v_mov_b32_e32 v11, 0
	;; [unrolled: 1-line block ×4, first 2 shown]
.LBB991_8:
	s_load_dwordx2 s[10:11], s[4:5], 0x60
	s_load_dword s6, s[4:5], 0x10
	s_load_dwordx4 s[0:3], s[4:5], 0x50
	v_add_u32_e32 v4, s25, v1
	v_ashrrev_i32_e32 v1, 31, v4
	s_waitcnt lgkmcnt(0)
	s_mul_i32 s5, s11, s8
	s_mul_hi_u32 s7, s10, s8
	s_mul_i32 s4, s10, s8
	v_mul_lo_u32 v3, s2, v1
	v_mul_lo_u32 v5, s3, v4
	v_mad_u64_u32 v[1:2], s[10:11], s2, v4, 0
	s_add_i32 s5, s7, s5
	s_lshl_b64 s[4:5], s[4:5], 2
	v_add3_u32 v2, v2, v3, v5
	s_add_u32 s7, s0, s4
	v_lshlrev_b64 v[1:2], 2, v[1:2]
	s_addc_u32 s8, s1, s5
	v_mov_b32_e32 v3, s8
	v_add_co_u32_e64 v5, s[0:1], s7, v1
	v_add_u32_e32 v0, s24, v0
	v_addc_co_u32_e64 v8, s[0:1], v3, v2, s[0:1]
	v_cmp_gt_i32_e32 vcc, s9, v4
	v_cmp_le_i32_e64 s[0:1], v0, v4
	s_and_b64 s[0:1], vcc, s[0:1]
	s_and_saveexec_b64 s[4:5], s[0:1]
	s_cbranch_execz .LBB991_10
; %bb.9:
	v_ashrrev_i32_e32 v1, 31, v0
	v_lshlrev_b64 v[1:2], 2, v[0:1]
	v_mul_f32_e32 v3, s6, v15
	v_add_co_u32_e64 v1, s[0:1], v5, v1
	v_addc_co_u32_e64 v2, s[0:1], v8, v2, s[0:1]
	global_store_dword v[1:2], v3, off
.LBB991_10:
	s_or_b64 exec, exec, s[4:5]
	v_add_u32_e32 v2, 16, v0
	v_cmp_le_i32_e64 s[0:1], v2, v4
	s_and_b64 s[4:5], vcc, s[0:1]
	s_and_saveexec_b64 s[0:1], s[4:5]
	s_cbranch_execz .LBB991_12
; %bb.11:
	v_ashrrev_i32_e32 v3, 31, v2
	v_lshlrev_b64 v[9:10], 2, v[2:3]
	v_mul_f32_e32 v1, s6, v11
	v_add_co_u32_e32 v9, vcc, v5, v9
	v_addc_co_u32_e32 v10, vcc, v8, v10, vcc
	global_store_dword v[9:10], v1, off
.LBB991_12:
	s_or_b64 exec, exec, s[0:1]
	v_add_u32_e32 v3, 16, v4
	v_ashrrev_i32_e32 v1, 31, v3
	v_mul_lo_u32 v1, s2, v1
	v_mul_lo_u32 v8, s3, v3
	v_mad_u64_u32 v[4:5], s[0:1], s2, v3, 0
	v_cmp_gt_i32_e32 vcc, s9, v3
	v_add3_u32 v5, v5, v1, v8
	v_lshlrev_b64 v[4:5], 2, v[4:5]
	v_mov_b32_e32 v1, s8
	v_add_co_u32_e64 v4, s[0:1], s7, v4
	v_addc_co_u32_e64 v5, s[0:1], v1, v5, s[0:1]
	v_cmp_le_i32_e64 s[0:1], v0, v3
	s_and_b64 s[0:1], vcc, s[0:1]
	s_and_saveexec_b64 s[2:3], s[0:1]
	s_cbranch_execz .LBB991_14
; %bb.13:
	v_ashrrev_i32_e32 v1, 31, v0
	v_lshlrev_b64 v[0:1], 2, v[0:1]
	v_mul_f32_e32 v7, s6, v7
	v_add_co_u32_e64 v0, s[0:1], v4, v0
	v_addc_co_u32_e64 v1, s[0:1], v5, v1, s[0:1]
	global_store_dword v[0:1], v7, off
.LBB991_14:
	s_or_b64 exec, exec, s[2:3]
	v_cmp_le_i32_e64 s[0:1], v2, v3
	s_and_b64 s[0:1], vcc, s[0:1]
	s_and_saveexec_b64 s[2:3], s[0:1]
	s_cbranch_execz .LBB991_16
; %bb.15:
	v_ashrrev_i32_e32 v3, 31, v2
	v_lshlrev_b64 v[0:1], 2, v[2:3]
	v_mul_f32_e32 v6, s6, v6
	v_add_co_u32_e32 v0, vcc, v4, v0
	v_addc_co_u32_e32 v1, vcc, v5, v1, vcc
	global_store_dword v[0:1], v6, off
.LBB991_16:
	s_endpgm
	.section	.rodata,"a",@progbits
	.p2align	6, 0x0
	.amdhsa_kernel _ZL34rocblas_syrkx_herkx_general_kernelIlfLi16ELi32ELi8ELb1ELb0ELc78ELc85EKffEviT_T0_PT8_S1_lS4_S1_lS2_PT9_S1_li
		.amdhsa_group_segment_fixed_size 2048
		.amdhsa_private_segment_fixed_size 0
		.amdhsa_kernarg_size 108
		.amdhsa_user_sgpr_count 6
		.amdhsa_user_sgpr_private_segment_buffer 1
		.amdhsa_user_sgpr_dispatch_ptr 0
		.amdhsa_user_sgpr_queue_ptr 0
		.amdhsa_user_sgpr_kernarg_segment_ptr 1
		.amdhsa_user_sgpr_dispatch_id 0
		.amdhsa_user_sgpr_flat_scratch_init 0
		.amdhsa_user_sgpr_private_segment_size 0
		.amdhsa_uses_dynamic_stack 0
		.amdhsa_system_sgpr_private_segment_wavefront_offset 0
		.amdhsa_system_sgpr_workgroup_id_x 1
		.amdhsa_system_sgpr_workgroup_id_y 1
		.amdhsa_system_sgpr_workgroup_id_z 1
		.amdhsa_system_sgpr_workgroup_info 0
		.amdhsa_system_vgpr_workitem_id 1
		.amdhsa_next_free_vgpr 28
		.amdhsa_next_free_sgpr 26
		.amdhsa_reserve_vcc 1
		.amdhsa_reserve_flat_scratch 0
		.amdhsa_float_round_mode_32 0
		.amdhsa_float_round_mode_16_64 0
		.amdhsa_float_denorm_mode_32 3
		.amdhsa_float_denorm_mode_16_64 3
		.amdhsa_dx10_clamp 1
		.amdhsa_ieee_mode 1
		.amdhsa_fp16_overflow 0
		.amdhsa_exception_fp_ieee_invalid_op 0
		.amdhsa_exception_fp_denorm_src 0
		.amdhsa_exception_fp_ieee_div_zero 0
		.amdhsa_exception_fp_ieee_overflow 0
		.amdhsa_exception_fp_ieee_underflow 0
		.amdhsa_exception_fp_ieee_inexact 0
		.amdhsa_exception_int_div_zero 0
	.end_amdhsa_kernel
	.section	.text._ZL34rocblas_syrkx_herkx_general_kernelIlfLi16ELi32ELi8ELb1ELb0ELc78ELc85EKffEviT_T0_PT8_S1_lS4_S1_lS2_PT9_S1_li,"axG",@progbits,_ZL34rocblas_syrkx_herkx_general_kernelIlfLi16ELi32ELi8ELb1ELb0ELc78ELc85EKffEviT_T0_PT8_S1_lS4_S1_lS2_PT9_S1_li,comdat
.Lfunc_end991:
	.size	_ZL34rocblas_syrkx_herkx_general_kernelIlfLi16ELi32ELi8ELb1ELb0ELc78ELc85EKffEviT_T0_PT8_S1_lS4_S1_lS2_PT9_S1_li, .Lfunc_end991-_ZL34rocblas_syrkx_herkx_general_kernelIlfLi16ELi32ELi8ELb1ELb0ELc78ELc85EKffEviT_T0_PT8_S1_lS4_S1_lS2_PT9_S1_li
                                        ; -- End function
	.set _ZL34rocblas_syrkx_herkx_general_kernelIlfLi16ELi32ELi8ELb1ELb0ELc78ELc85EKffEviT_T0_PT8_S1_lS4_S1_lS2_PT9_S1_li.num_vgpr, 28
	.set _ZL34rocblas_syrkx_herkx_general_kernelIlfLi16ELi32ELi8ELb1ELb0ELc78ELc85EKffEviT_T0_PT8_S1_lS4_S1_lS2_PT9_S1_li.num_agpr, 0
	.set _ZL34rocblas_syrkx_herkx_general_kernelIlfLi16ELi32ELi8ELb1ELb0ELc78ELc85EKffEviT_T0_PT8_S1_lS4_S1_lS2_PT9_S1_li.numbered_sgpr, 26
	.set _ZL34rocblas_syrkx_herkx_general_kernelIlfLi16ELi32ELi8ELb1ELb0ELc78ELc85EKffEviT_T0_PT8_S1_lS4_S1_lS2_PT9_S1_li.num_named_barrier, 0
	.set _ZL34rocblas_syrkx_herkx_general_kernelIlfLi16ELi32ELi8ELb1ELb0ELc78ELc85EKffEviT_T0_PT8_S1_lS4_S1_lS2_PT9_S1_li.private_seg_size, 0
	.set _ZL34rocblas_syrkx_herkx_general_kernelIlfLi16ELi32ELi8ELb1ELb0ELc78ELc85EKffEviT_T0_PT8_S1_lS4_S1_lS2_PT9_S1_li.uses_vcc, 1
	.set _ZL34rocblas_syrkx_herkx_general_kernelIlfLi16ELi32ELi8ELb1ELb0ELc78ELc85EKffEviT_T0_PT8_S1_lS4_S1_lS2_PT9_S1_li.uses_flat_scratch, 0
	.set _ZL34rocblas_syrkx_herkx_general_kernelIlfLi16ELi32ELi8ELb1ELb0ELc78ELc85EKffEviT_T0_PT8_S1_lS4_S1_lS2_PT9_S1_li.has_dyn_sized_stack, 0
	.set _ZL34rocblas_syrkx_herkx_general_kernelIlfLi16ELi32ELi8ELb1ELb0ELc78ELc85EKffEviT_T0_PT8_S1_lS4_S1_lS2_PT9_S1_li.has_recursion, 0
	.set _ZL34rocblas_syrkx_herkx_general_kernelIlfLi16ELi32ELi8ELb1ELb0ELc78ELc85EKffEviT_T0_PT8_S1_lS4_S1_lS2_PT9_S1_li.has_indirect_call, 0
	.section	.AMDGPU.csdata,"",@progbits
; Kernel info:
; codeLenInByte = 1296
; TotalNumSgprs: 30
; NumVgprs: 28
; ScratchSize: 0
; MemoryBound: 0
; FloatMode: 240
; IeeeMode: 1
; LDSByteSize: 2048 bytes/workgroup (compile time only)
; SGPRBlocks: 3
; VGPRBlocks: 6
; NumSGPRsForWavesPerEU: 30
; NumVGPRsForWavesPerEU: 28
; Occupancy: 9
; WaveLimiterHint : 0
; COMPUTE_PGM_RSRC2:SCRATCH_EN: 0
; COMPUTE_PGM_RSRC2:USER_SGPR: 6
; COMPUTE_PGM_RSRC2:TRAP_HANDLER: 0
; COMPUTE_PGM_RSRC2:TGID_X_EN: 1
; COMPUTE_PGM_RSRC2:TGID_Y_EN: 1
; COMPUTE_PGM_RSRC2:TGID_Z_EN: 1
; COMPUTE_PGM_RSRC2:TIDIG_COMP_CNT: 1
	.section	.text._ZL34rocblas_syrkx_herkx_general_kernelIlfLi16ELi32ELi8ELb0ELb0ELc84ELc76EKffEviT_T0_PT8_S1_lS4_S1_lS2_PT9_S1_li,"axG",@progbits,_ZL34rocblas_syrkx_herkx_general_kernelIlfLi16ELi32ELi8ELb0ELb0ELc84ELc76EKffEviT_T0_PT8_S1_lS4_S1_lS2_PT9_S1_li,comdat
	.globl	_ZL34rocblas_syrkx_herkx_general_kernelIlfLi16ELi32ELi8ELb0ELb0ELc84ELc76EKffEviT_T0_PT8_S1_lS4_S1_lS2_PT9_S1_li ; -- Begin function _ZL34rocblas_syrkx_herkx_general_kernelIlfLi16ELi32ELi8ELb0ELb0ELc84ELc76EKffEviT_T0_PT8_S1_lS4_S1_lS2_PT9_S1_li
	.p2align	8
	.type	_ZL34rocblas_syrkx_herkx_general_kernelIlfLi16ELi32ELi8ELb0ELb0ELc84ELc76EKffEviT_T0_PT8_S1_lS4_S1_lS2_PT9_S1_li,@function
_ZL34rocblas_syrkx_herkx_general_kernelIlfLi16ELi32ELi8ELb0ELb0ELc84ELc76EKffEviT_T0_PT8_S1_lS4_S1_lS2_PT9_S1_li: ; @_ZL34rocblas_syrkx_herkx_general_kernelIlfLi16ELi32ELi8ELb0ELb0ELc84ELc76EKffEviT_T0_PT8_S1_lS4_S1_lS2_PT9_S1_li
; %bb.0:
	s_load_dwordx2 s[10:11], s[4:5], 0x8
	s_load_dword s9, s[4:5], 0x0
	s_lshl_b32 s24, s6, 5
	s_lshl_b32 s25, s7, 5
	s_waitcnt lgkmcnt(0)
	v_cmp_lt_i64_e64 s[0:1], s[10:11], 1
	s_and_b64 vcc, exec, s[0:1]
	s_cbranch_vccnz .LBB992_7
; %bb.1:
	v_lshl_add_u32 v2, v1, 4, v0
	v_and_b32_e32 v5, 31, v2
	v_or_b32_e32 v7, s24, v5
	v_and_b32_e32 v10, 7, v0
	s_load_dwordx8 s[12:19], s[4:5], 0x18
	s_load_dwordx4 s[20:23], s[4:5], 0x38
	v_lshrrev_b32_e32 v3, 3, v2
	v_lshrrev_b32_e32 v9, 5, v2
	v_cmp_gt_i32_e64 s[0:1], s9, v7
	v_lshlrev_b32_e32 v2, 2, v5
	v_lshlrev_b32_e32 v7, 2, v10
	v_lshl_or_b32 v11, v9, 7, v2
	v_lshl_or_b32 v2, v3, 5, v7
	v_add_u32_e32 v13, 0x400, v2
	v_add_u32_e32 v2, s24, v5
	;; [unrolled: 1-line block ×3, first 2 shown]
	v_ashrrev_i32_e32 v3, 31, v2
	s_waitcnt lgkmcnt(0)
	v_mul_lo_u32 v5, s14, v3
	v_mul_lo_u32 v12, s15, v2
	v_mad_u64_u32 v[2:3], s[6:7], s14, v2, 0
	s_mul_i32 s6, s17, s8
	s_mul_hi_u32 s7, s16, s8
	v_add3_u32 v3, v3, v5, v12
	v_lshlrev_b64 v[2:3], 2, v[2:3]
	s_add_i32 s7, s7, s6
	s_mul_i32 s6, s16, s8
	s_lshl_b64 s[6:7], s[6:7], 2
	v_mov_b32_e32 v5, s7
	v_add_co_u32_e32 v2, vcc, s6, v2
	v_ashrrev_i32_e32 v8, 31, v4
	v_addc_co_u32_e32 v3, vcc, v3, v5, vcc
	v_lshlrev_b32_e32 v5, 2, v9
	v_cmp_gt_i32_e64 s[2:3], s9, v4
	v_add_co_u32_e32 v2, vcc, v2, v5
	v_mul_lo_u32 v8, s20, v8
	v_mul_lo_u32 v16, s21, v4
	v_mad_u64_u32 v[4:5], s[6:7], s20, v4, 0
	v_addc_co_u32_e32 v3, vcc, 0, v3, vcc
	v_add3_u32 v5, v5, v8, v16
	s_mul_i32 s6, s23, s8
	s_mul_hi_u32 s7, s22, s8
	v_mov_b32_e32 v12, s13
	v_add_co_u32_e32 v2, vcc, s12, v2
	v_lshlrev_b64 v[4:5], 2, v[4:5]
	s_add_i32 s7, s7, s6
	s_mul_i32 s6, s22, s8
	v_addc_co_u32_e32 v3, vcc, v12, v3, vcc
	s_lshl_b64 s[6:7], s[6:7], 2
	v_mov_b32_e32 v8, s7
	v_add_co_u32_e32 v4, vcc, s6, v4
	v_addc_co_u32_e32 v5, vcc, v5, v8, vcc
	v_add_co_u32_e32 v4, vcc, v4, v7
	v_addc_co_u32_e32 v5, vcc, 0, v5, vcc
	v_mov_b32_e32 v15, 0x400
	v_mov_b32_e32 v7, s19
	v_add_co_u32_e32 v4, vcc, s18, v4
	v_mov_b32_e32 v6, 0
	v_lshlrev_b32_e32 v14, 2, v0
	v_lshl_add_u32 v15, v1, 5, v15
	v_addc_co_u32_e32 v5, vcc, v7, v5, vcc
	s_mov_b64 s[12:13], 0
	v_mov_b32_e32 v7, 0
	v_mov_b32_e32 v8, 0
	;; [unrolled: 1-line block ×3, first 2 shown]
	s_branch .LBB992_3
.LBB992_2:                              ;   in Loop: Header=BB992_3 Depth=1
	s_or_b64 exec, exec, s[6:7]
	s_waitcnt vmcnt(0)
	ds_write_b32 v13, v16
	s_waitcnt lgkmcnt(0)
	s_barrier
	ds_read_b128 v[16:19], v15
	ds_read2_b32 v[20:21], v14 offset1:16
	ds_read2_b32 v[22:23], v14 offset0:32 offset1:48
	ds_read2_b32 v[24:25], v14 offset0:64 offset1:80
	;; [unrolled: 1-line block ×3, first 2 shown]
	s_add_u32 s12, s12, 8
	s_waitcnt lgkmcnt(3)
	v_fmac_f32_e32 v12, v20, v16
	v_fmac_f32_e32 v8, v21, v16
	s_waitcnt lgkmcnt(2)
	v_fmac_f32_e32 v12, v22, v17
	v_fmac_f32_e32 v8, v23, v17
	;; [unrolled: 3-line block ×4, first 2 shown]
	ds_read_b128 v[16:19], v15 offset:512
	v_add_co_u32_e32 v2, vcc, 32, v2
	s_addc_u32 s13, s13, 0
	v_addc_co_u32_e32 v3, vcc, 0, v3, vcc
	s_waitcnt lgkmcnt(0)
	v_fmac_f32_e32 v7, v20, v16
	v_fmac_f32_e32 v6, v21, v16
	;; [unrolled: 1-line block ×8, first 2 shown]
	ds_read_b128 v[16:19], v15 offset:16
	ds_read2_b32 v[20:21], v14 offset0:128 offset1:144
	ds_read2_b32 v[22:23], v14 offset0:160 offset1:176
	;; [unrolled: 1-line block ×4, first 2 shown]
	v_add_co_u32_e32 v4, vcc, 32, v4
	s_waitcnt lgkmcnt(3)
	v_fmac_f32_e32 v12, v20, v16
	v_fmac_f32_e32 v8, v21, v16
	s_waitcnt lgkmcnt(2)
	v_fmac_f32_e32 v12, v22, v17
	v_fmac_f32_e32 v8, v23, v17
	s_waitcnt lgkmcnt(1)
	v_fmac_f32_e32 v12, v24, v18
	v_fmac_f32_e32 v8, v25, v18
	s_waitcnt lgkmcnt(0)
	v_fmac_f32_e32 v12, v26, v19
	v_fmac_f32_e32 v8, v27, v19
	ds_read_b128 v[16:19], v15 offset:528
	v_addc_co_u32_e32 v5, vcc, 0, v5, vcc
	s_waitcnt lgkmcnt(0)
	s_barrier
	v_fmac_f32_e32 v7, v20, v16
	v_fmac_f32_e32 v6, v21, v16
	;; [unrolled: 1-line block ×4, first 2 shown]
	v_mov_b32_e32 v17, s11
	v_mov_b32_e32 v16, s10
	v_cmp_ge_i64_e64 s[6:7], s[12:13], v[16:17]
	v_fmac_f32_e32 v7, v24, v18
	v_fmac_f32_e32 v6, v25, v18
	;; [unrolled: 1-line block ×4, first 2 shown]
	s_and_b64 vcc, exec, s[6:7]
	s_cbranch_vccnz .LBB992_8
.LBB992_3:                              ; =>This Inner Loop Header: Depth=1
	v_mov_b32_e32 v17, s13
	v_add_co_u32_e32 v16, vcc, s12, v9
	v_addc_co_u32_e32 v17, vcc, 0, v17, vcc
	v_cmp_gt_i64_e32 vcc, s[10:11], v[16:17]
	v_mov_b32_e32 v16, 0
	s_and_b64 s[14:15], s[0:1], vcc
	s_and_saveexec_b64 s[6:7], s[14:15]
	s_cbranch_execz .LBB992_5
; %bb.4:                                ;   in Loop: Header=BB992_3 Depth=1
	global_load_dword v16, v[2:3], off
.LBB992_5:                              ;   in Loop: Header=BB992_3 Depth=1
	s_or_b64 exec, exec, s[6:7]
	v_mov_b32_e32 v18, s13
	v_add_co_u32_e32 v17, vcc, s12, v10
	v_addc_co_u32_e32 v18, vcc, 0, v18, vcc
	v_cmp_gt_i64_e32 vcc, s[10:11], v[17:18]
	s_waitcnt vmcnt(0)
	ds_write_b32 v11, v16
	s_and_b64 s[14:15], vcc, s[2:3]
	v_mov_b32_e32 v16, 0
	s_and_saveexec_b64 s[6:7], s[14:15]
	s_cbranch_execz .LBB992_2
; %bb.6:                                ;   in Loop: Header=BB992_3 Depth=1
	global_load_dword v16, v[4:5], off
	s_branch .LBB992_2
.LBB992_7:
	v_mov_b32_e32 v12, 0
	v_mov_b32_e32 v8, 0
	;; [unrolled: 1-line block ×4, first 2 shown]
.LBB992_8:
	s_load_dwordx2 s[0:1], s[4:5], 0x60
	s_load_dword s6, s[4:5], 0x10
	s_load_dword s7, s[4:5], 0x48
	s_load_dwordx4 s[12:15], s[4:5], 0x50
	v_add_u32_e32 v4, s25, v1
	s_waitcnt lgkmcnt(0)
	s_mul_i32 s1, s1, s8
	s_mul_hi_u32 s2, s0, s8
	v_ashrrev_i32_e32 v1, 31, v4
	s_add_i32 s1, s2, s1
	v_mul_lo_u32 v3, s14, v1
	v_mul_lo_u32 v5, s15, v4
	v_mad_u64_u32 v[1:2], s[2:3], s14, v4, 0
	s_mul_i32 s0, s0, s8
	s_lshl_b64 s[0:1], s[0:1], 2
	v_add3_u32 v2, v2, v3, v5
	s_add_u32 s8, s12, s0
	v_lshlrev_b64 v[1:2], 2, v[1:2]
	s_addc_u32 s10, s13, s1
	v_mov_b32_e32 v3, s10
	v_add_co_u32_e32 v5, vcc, s8, v1
	v_add_u32_e32 v0, s24, v0
	v_addc_co_u32_e32 v9, vcc, v3, v2, vcc
	v_cmp_le_i32_e64 s[0:1], v4, v0
	v_cmp_gt_i32_e32 vcc, s9, v0
	s_and_b64 s[0:1], s[0:1], vcc
	s_and_saveexec_b64 s[2:3], s[0:1]
	s_cbranch_execz .LBB992_10
; %bb.9:
	v_ashrrev_i32_e32 v1, 31, v0
	v_lshlrev_b64 v[1:2], 2, v[0:1]
	v_add_co_u32_e64 v1, s[0:1], v5, v1
	v_addc_co_u32_e64 v2, s[0:1], v9, v2, s[0:1]
	global_load_dword v3, v[1:2], off
	s_waitcnt vmcnt(0)
	v_mul_f32_e32 v3, s7, v3
	v_fmac_f32_e32 v3, s6, v12
	global_store_dword v[1:2], v3, off
.LBB992_10:
	s_or_b64 exec, exec, s[2:3]
	v_add_u32_e32 v2, 16, v0
	v_cmp_le_i32_e64 s[2:3], v4, v2
	v_cmp_gt_i32_e64 s[0:1], s9, v2
	s_and_b64 s[2:3], s[2:3], s[0:1]
	s_and_saveexec_b64 s[4:5], s[2:3]
	s_cbranch_execz .LBB992_12
; %bb.11:
	v_ashrrev_i32_e32 v3, 31, v2
	v_lshlrev_b64 v[10:11], 2, v[2:3]
	v_add_co_u32_e64 v10, s[2:3], v5, v10
	v_addc_co_u32_e64 v11, s[2:3], v9, v11, s[2:3]
	global_load_dword v1, v[10:11], off
	s_waitcnt vmcnt(0)
	v_mul_f32_e32 v1, s7, v1
	v_fmac_f32_e32 v1, s6, v8
	global_store_dword v[10:11], v1, off
.LBB992_12:
	s_or_b64 exec, exec, s[4:5]
	v_add_u32_e32 v3, 16, v4
	v_ashrrev_i32_e32 v1, 31, v3
	v_mul_lo_u32 v8, s15, v3
	v_mad_u64_u32 v[4:5], s[2:3], s14, v3, 0
	v_mul_lo_u32 v1, s14, v1
	v_add3_u32 v5, v5, v1, v8
	v_lshlrev_b64 v[4:5], 2, v[4:5]
	v_mov_b32_e32 v1, s10
	v_add_co_u32_e64 v4, s[2:3], s8, v4
	v_addc_co_u32_e64 v5, s[2:3], v1, v5, s[2:3]
	v_cmp_le_i32_e64 s[2:3], v3, v0
	s_and_b64 s[4:5], s[2:3], vcc
	s_and_saveexec_b64 s[2:3], s[4:5]
	s_cbranch_execz .LBB992_14
; %bb.13:
	v_ashrrev_i32_e32 v1, 31, v0
	v_lshlrev_b64 v[0:1], 2, v[0:1]
	v_add_co_u32_e32 v0, vcc, v4, v0
	v_addc_co_u32_e32 v1, vcc, v5, v1, vcc
	global_load_dword v8, v[0:1], off
	s_waitcnt vmcnt(0)
	v_mul_f32_e32 v8, s7, v8
	v_fmac_f32_e32 v8, s6, v7
	global_store_dword v[0:1], v8, off
.LBB992_14:
	s_or_b64 exec, exec, s[2:3]
	v_cmp_le_i32_e32 vcc, v3, v2
	s_and_b64 s[0:1], vcc, s[0:1]
	s_and_saveexec_b64 s[2:3], s[0:1]
	s_cbranch_execz .LBB992_16
; %bb.15:
	v_ashrrev_i32_e32 v3, 31, v2
	v_lshlrev_b64 v[0:1], 2, v[2:3]
	v_add_co_u32_e32 v0, vcc, v4, v0
	v_addc_co_u32_e32 v1, vcc, v5, v1, vcc
	global_load_dword v2, v[0:1], off
	s_waitcnt vmcnt(0)
	v_mul_f32_e32 v2, s7, v2
	v_fmac_f32_e32 v2, s6, v6
	global_store_dword v[0:1], v2, off
.LBB992_16:
	s_endpgm
	.section	.rodata,"a",@progbits
	.p2align	6, 0x0
	.amdhsa_kernel _ZL34rocblas_syrkx_herkx_general_kernelIlfLi16ELi32ELi8ELb0ELb0ELc84ELc76EKffEviT_T0_PT8_S1_lS4_S1_lS2_PT9_S1_li
		.amdhsa_group_segment_fixed_size 2048
		.amdhsa_private_segment_fixed_size 0
		.amdhsa_kernarg_size 108
		.amdhsa_user_sgpr_count 6
		.amdhsa_user_sgpr_private_segment_buffer 1
		.amdhsa_user_sgpr_dispatch_ptr 0
		.amdhsa_user_sgpr_queue_ptr 0
		.amdhsa_user_sgpr_kernarg_segment_ptr 1
		.amdhsa_user_sgpr_dispatch_id 0
		.amdhsa_user_sgpr_flat_scratch_init 0
		.amdhsa_user_sgpr_private_segment_size 0
		.amdhsa_uses_dynamic_stack 0
		.amdhsa_system_sgpr_private_segment_wavefront_offset 0
		.amdhsa_system_sgpr_workgroup_id_x 1
		.amdhsa_system_sgpr_workgroup_id_y 1
		.amdhsa_system_sgpr_workgroup_id_z 1
		.amdhsa_system_sgpr_workgroup_info 0
		.amdhsa_system_vgpr_workitem_id 1
		.amdhsa_next_free_vgpr 28
		.amdhsa_next_free_sgpr 26
		.amdhsa_reserve_vcc 1
		.amdhsa_reserve_flat_scratch 0
		.amdhsa_float_round_mode_32 0
		.amdhsa_float_round_mode_16_64 0
		.amdhsa_float_denorm_mode_32 3
		.amdhsa_float_denorm_mode_16_64 3
		.amdhsa_dx10_clamp 1
		.amdhsa_ieee_mode 1
		.amdhsa_fp16_overflow 0
		.amdhsa_exception_fp_ieee_invalid_op 0
		.amdhsa_exception_fp_denorm_src 0
		.amdhsa_exception_fp_ieee_div_zero 0
		.amdhsa_exception_fp_ieee_overflow 0
		.amdhsa_exception_fp_ieee_underflow 0
		.amdhsa_exception_fp_ieee_inexact 0
		.amdhsa_exception_int_div_zero 0
	.end_amdhsa_kernel
	.section	.text._ZL34rocblas_syrkx_herkx_general_kernelIlfLi16ELi32ELi8ELb0ELb0ELc84ELc76EKffEviT_T0_PT8_S1_lS4_S1_lS2_PT9_S1_li,"axG",@progbits,_ZL34rocblas_syrkx_herkx_general_kernelIlfLi16ELi32ELi8ELb0ELb0ELc84ELc76EKffEviT_T0_PT8_S1_lS4_S1_lS2_PT9_S1_li,comdat
.Lfunc_end992:
	.size	_ZL34rocblas_syrkx_herkx_general_kernelIlfLi16ELi32ELi8ELb0ELb0ELc84ELc76EKffEviT_T0_PT8_S1_lS4_S1_lS2_PT9_S1_li, .Lfunc_end992-_ZL34rocblas_syrkx_herkx_general_kernelIlfLi16ELi32ELi8ELb0ELb0ELc84ELc76EKffEviT_T0_PT8_S1_lS4_S1_lS2_PT9_S1_li
                                        ; -- End function
	.set _ZL34rocblas_syrkx_herkx_general_kernelIlfLi16ELi32ELi8ELb0ELb0ELc84ELc76EKffEviT_T0_PT8_S1_lS4_S1_lS2_PT9_S1_li.num_vgpr, 28
	.set _ZL34rocblas_syrkx_herkx_general_kernelIlfLi16ELi32ELi8ELb0ELb0ELc84ELc76EKffEviT_T0_PT8_S1_lS4_S1_lS2_PT9_S1_li.num_agpr, 0
	.set _ZL34rocblas_syrkx_herkx_general_kernelIlfLi16ELi32ELi8ELb0ELb0ELc84ELc76EKffEviT_T0_PT8_S1_lS4_S1_lS2_PT9_S1_li.numbered_sgpr, 26
	.set _ZL34rocblas_syrkx_herkx_general_kernelIlfLi16ELi32ELi8ELb0ELb0ELc84ELc76EKffEviT_T0_PT8_S1_lS4_S1_lS2_PT9_S1_li.num_named_barrier, 0
	.set _ZL34rocblas_syrkx_herkx_general_kernelIlfLi16ELi32ELi8ELb0ELb0ELc84ELc76EKffEviT_T0_PT8_S1_lS4_S1_lS2_PT9_S1_li.private_seg_size, 0
	.set _ZL34rocblas_syrkx_herkx_general_kernelIlfLi16ELi32ELi8ELb0ELb0ELc84ELc76EKffEviT_T0_PT8_S1_lS4_S1_lS2_PT9_S1_li.uses_vcc, 1
	.set _ZL34rocblas_syrkx_herkx_general_kernelIlfLi16ELi32ELi8ELb0ELb0ELc84ELc76EKffEviT_T0_PT8_S1_lS4_S1_lS2_PT9_S1_li.uses_flat_scratch, 0
	.set _ZL34rocblas_syrkx_herkx_general_kernelIlfLi16ELi32ELi8ELb0ELb0ELc84ELc76EKffEviT_T0_PT8_S1_lS4_S1_lS2_PT9_S1_li.has_dyn_sized_stack, 0
	.set _ZL34rocblas_syrkx_herkx_general_kernelIlfLi16ELi32ELi8ELb0ELb0ELc84ELc76EKffEviT_T0_PT8_S1_lS4_S1_lS2_PT9_S1_li.has_recursion, 0
	.set _ZL34rocblas_syrkx_herkx_general_kernelIlfLi16ELi32ELi8ELb0ELb0ELc84ELc76EKffEviT_T0_PT8_S1_lS4_S1_lS2_PT9_S1_li.has_indirect_call, 0
	.section	.AMDGPU.csdata,"",@progbits
; Kernel info:
; codeLenInByte = 1356
; TotalNumSgprs: 30
; NumVgprs: 28
; ScratchSize: 0
; MemoryBound: 0
; FloatMode: 240
; IeeeMode: 1
; LDSByteSize: 2048 bytes/workgroup (compile time only)
; SGPRBlocks: 3
; VGPRBlocks: 6
; NumSGPRsForWavesPerEU: 30
; NumVGPRsForWavesPerEU: 28
; Occupancy: 9
; WaveLimiterHint : 0
; COMPUTE_PGM_RSRC2:SCRATCH_EN: 0
; COMPUTE_PGM_RSRC2:USER_SGPR: 6
; COMPUTE_PGM_RSRC2:TRAP_HANDLER: 0
; COMPUTE_PGM_RSRC2:TGID_X_EN: 1
; COMPUTE_PGM_RSRC2:TGID_Y_EN: 1
; COMPUTE_PGM_RSRC2:TGID_Z_EN: 1
; COMPUTE_PGM_RSRC2:TIDIG_COMP_CNT: 1
	.section	.text._ZL34rocblas_syrkx_herkx_general_kernelIlfLi16ELi32ELi8ELb0ELb0ELc67ELc76EKffEviT_T0_PT8_S1_lS4_S1_lS2_PT9_S1_li,"axG",@progbits,_ZL34rocblas_syrkx_herkx_general_kernelIlfLi16ELi32ELi8ELb0ELb0ELc67ELc76EKffEviT_T0_PT8_S1_lS4_S1_lS2_PT9_S1_li,comdat
	.globl	_ZL34rocblas_syrkx_herkx_general_kernelIlfLi16ELi32ELi8ELb0ELb0ELc67ELc76EKffEviT_T0_PT8_S1_lS4_S1_lS2_PT9_S1_li ; -- Begin function _ZL34rocblas_syrkx_herkx_general_kernelIlfLi16ELi32ELi8ELb0ELb0ELc67ELc76EKffEviT_T0_PT8_S1_lS4_S1_lS2_PT9_S1_li
	.p2align	8
	.type	_ZL34rocblas_syrkx_herkx_general_kernelIlfLi16ELi32ELi8ELb0ELb0ELc67ELc76EKffEviT_T0_PT8_S1_lS4_S1_lS2_PT9_S1_li,@function
_ZL34rocblas_syrkx_herkx_general_kernelIlfLi16ELi32ELi8ELb0ELb0ELc67ELc76EKffEviT_T0_PT8_S1_lS4_S1_lS2_PT9_S1_li: ; @_ZL34rocblas_syrkx_herkx_general_kernelIlfLi16ELi32ELi8ELb0ELb0ELc67ELc76EKffEviT_T0_PT8_S1_lS4_S1_lS2_PT9_S1_li
; %bb.0:
	s_load_dwordx2 s[10:11], s[4:5], 0x8
	s_load_dword s9, s[4:5], 0x0
	s_lshl_b32 s24, s6, 5
	s_lshl_b32 s25, s7, 5
	s_waitcnt lgkmcnt(0)
	v_cmp_lt_i64_e64 s[0:1], s[10:11], 1
	s_and_b64 vcc, exec, s[0:1]
	s_cbranch_vccnz .LBB993_7
; %bb.1:
	v_lshl_add_u32 v2, v1, 4, v0
	v_and_b32_e32 v5, 31, v2
	v_or_b32_e32 v7, s24, v5
	v_and_b32_e32 v10, 7, v0
	s_load_dwordx8 s[12:19], s[4:5], 0x18
	s_load_dwordx4 s[20:23], s[4:5], 0x38
	v_lshrrev_b32_e32 v3, 3, v2
	v_lshrrev_b32_e32 v9, 5, v2
	v_cmp_gt_i32_e64 s[0:1], s9, v7
	v_lshlrev_b32_e32 v2, 2, v5
	v_lshlrev_b32_e32 v7, 2, v10
	v_lshl_or_b32 v11, v9, 7, v2
	v_lshl_or_b32 v2, v3, 5, v7
	v_add_u32_e32 v13, 0x400, v2
	v_add_u32_e32 v2, s24, v5
	;; [unrolled: 1-line block ×3, first 2 shown]
	v_ashrrev_i32_e32 v3, 31, v2
	s_waitcnt lgkmcnt(0)
	v_mul_lo_u32 v5, s14, v3
	v_mul_lo_u32 v12, s15, v2
	v_mad_u64_u32 v[2:3], s[6:7], s14, v2, 0
	s_mul_i32 s6, s17, s8
	s_mul_hi_u32 s7, s16, s8
	v_add3_u32 v3, v3, v5, v12
	v_lshlrev_b64 v[2:3], 2, v[2:3]
	s_add_i32 s7, s7, s6
	s_mul_i32 s6, s16, s8
	s_lshl_b64 s[6:7], s[6:7], 2
	v_mov_b32_e32 v5, s7
	v_add_co_u32_e32 v2, vcc, s6, v2
	v_ashrrev_i32_e32 v8, 31, v4
	v_addc_co_u32_e32 v3, vcc, v3, v5, vcc
	v_lshlrev_b32_e32 v5, 2, v9
	v_cmp_gt_i32_e64 s[2:3], s9, v4
	v_add_co_u32_e32 v2, vcc, v2, v5
	v_mul_lo_u32 v8, s20, v8
	v_mul_lo_u32 v16, s21, v4
	v_mad_u64_u32 v[4:5], s[6:7], s20, v4, 0
	v_addc_co_u32_e32 v3, vcc, 0, v3, vcc
	v_add3_u32 v5, v5, v8, v16
	s_mul_i32 s6, s23, s8
	s_mul_hi_u32 s7, s22, s8
	v_mov_b32_e32 v12, s13
	v_add_co_u32_e32 v2, vcc, s12, v2
	v_lshlrev_b64 v[4:5], 2, v[4:5]
	s_add_i32 s7, s7, s6
	s_mul_i32 s6, s22, s8
	v_addc_co_u32_e32 v3, vcc, v12, v3, vcc
	s_lshl_b64 s[6:7], s[6:7], 2
	v_mov_b32_e32 v8, s7
	v_add_co_u32_e32 v4, vcc, s6, v4
	v_addc_co_u32_e32 v5, vcc, v5, v8, vcc
	v_add_co_u32_e32 v4, vcc, v4, v7
	v_addc_co_u32_e32 v5, vcc, 0, v5, vcc
	v_mov_b32_e32 v15, 0x400
	v_mov_b32_e32 v7, s19
	v_add_co_u32_e32 v4, vcc, s18, v4
	v_mov_b32_e32 v6, 0
	v_lshlrev_b32_e32 v14, 2, v0
	v_lshl_add_u32 v15, v1, 5, v15
	v_addc_co_u32_e32 v5, vcc, v7, v5, vcc
	s_mov_b64 s[12:13], 0
	v_mov_b32_e32 v7, 0
	v_mov_b32_e32 v8, 0
	;; [unrolled: 1-line block ×3, first 2 shown]
	s_branch .LBB993_3
.LBB993_2:                              ;   in Loop: Header=BB993_3 Depth=1
	s_or_b64 exec, exec, s[6:7]
	s_waitcnt vmcnt(0)
	ds_write_b32 v13, v16
	s_waitcnt lgkmcnt(0)
	s_barrier
	ds_read_b128 v[16:19], v15
	ds_read2_b32 v[20:21], v14 offset1:16
	ds_read2_b32 v[22:23], v14 offset0:32 offset1:48
	ds_read2_b32 v[24:25], v14 offset0:64 offset1:80
	;; [unrolled: 1-line block ×3, first 2 shown]
	s_add_u32 s12, s12, 8
	s_waitcnt lgkmcnt(3)
	v_fmac_f32_e32 v12, v20, v16
	v_fmac_f32_e32 v8, v21, v16
	s_waitcnt lgkmcnt(2)
	v_fmac_f32_e32 v12, v22, v17
	v_fmac_f32_e32 v8, v23, v17
	;; [unrolled: 3-line block ×4, first 2 shown]
	ds_read_b128 v[16:19], v15 offset:512
	v_add_co_u32_e32 v2, vcc, 32, v2
	s_addc_u32 s13, s13, 0
	v_addc_co_u32_e32 v3, vcc, 0, v3, vcc
	s_waitcnt lgkmcnt(0)
	v_fmac_f32_e32 v7, v20, v16
	v_fmac_f32_e32 v6, v21, v16
	;; [unrolled: 1-line block ×8, first 2 shown]
	ds_read_b128 v[16:19], v15 offset:16
	ds_read2_b32 v[20:21], v14 offset0:128 offset1:144
	ds_read2_b32 v[22:23], v14 offset0:160 offset1:176
	;; [unrolled: 1-line block ×4, first 2 shown]
	v_add_co_u32_e32 v4, vcc, 32, v4
	s_waitcnt lgkmcnt(3)
	v_fmac_f32_e32 v12, v20, v16
	v_fmac_f32_e32 v8, v21, v16
	s_waitcnt lgkmcnt(2)
	v_fmac_f32_e32 v12, v22, v17
	v_fmac_f32_e32 v8, v23, v17
	;; [unrolled: 3-line block ×4, first 2 shown]
	ds_read_b128 v[16:19], v15 offset:528
	v_addc_co_u32_e32 v5, vcc, 0, v5, vcc
	s_waitcnt lgkmcnt(0)
	s_barrier
	v_fmac_f32_e32 v7, v20, v16
	v_fmac_f32_e32 v6, v21, v16
	;; [unrolled: 1-line block ×4, first 2 shown]
	v_mov_b32_e32 v17, s11
	v_mov_b32_e32 v16, s10
	v_cmp_ge_i64_e64 s[6:7], s[12:13], v[16:17]
	v_fmac_f32_e32 v7, v24, v18
	v_fmac_f32_e32 v6, v25, v18
	;; [unrolled: 1-line block ×4, first 2 shown]
	s_and_b64 vcc, exec, s[6:7]
	s_cbranch_vccnz .LBB993_8
.LBB993_3:                              ; =>This Inner Loop Header: Depth=1
	v_mov_b32_e32 v17, s13
	v_add_co_u32_e32 v16, vcc, s12, v9
	v_addc_co_u32_e32 v17, vcc, 0, v17, vcc
	v_cmp_gt_i64_e32 vcc, s[10:11], v[16:17]
	v_mov_b32_e32 v16, 0
	s_and_b64 s[14:15], s[0:1], vcc
	s_and_saveexec_b64 s[6:7], s[14:15]
	s_cbranch_execz .LBB993_5
; %bb.4:                                ;   in Loop: Header=BB993_3 Depth=1
	global_load_dword v16, v[2:3], off
.LBB993_5:                              ;   in Loop: Header=BB993_3 Depth=1
	s_or_b64 exec, exec, s[6:7]
	v_mov_b32_e32 v18, s13
	v_add_co_u32_e32 v17, vcc, s12, v10
	v_addc_co_u32_e32 v18, vcc, 0, v18, vcc
	v_cmp_gt_i64_e32 vcc, s[10:11], v[17:18]
	s_waitcnt vmcnt(0)
	ds_write_b32 v11, v16
	s_and_b64 s[14:15], vcc, s[2:3]
	v_mov_b32_e32 v16, 0
	s_and_saveexec_b64 s[6:7], s[14:15]
	s_cbranch_execz .LBB993_2
; %bb.6:                                ;   in Loop: Header=BB993_3 Depth=1
	global_load_dword v16, v[4:5], off
	s_branch .LBB993_2
.LBB993_7:
	v_mov_b32_e32 v12, 0
	v_mov_b32_e32 v8, 0
	;; [unrolled: 1-line block ×4, first 2 shown]
.LBB993_8:
	s_load_dwordx2 s[0:1], s[4:5], 0x60
	s_load_dword s6, s[4:5], 0x10
	s_load_dword s7, s[4:5], 0x48
	s_load_dwordx4 s[12:15], s[4:5], 0x50
	v_add_u32_e32 v4, s25, v1
	s_waitcnt lgkmcnt(0)
	s_mul_i32 s1, s1, s8
	s_mul_hi_u32 s2, s0, s8
	v_ashrrev_i32_e32 v1, 31, v4
	s_add_i32 s1, s2, s1
	v_mul_lo_u32 v3, s14, v1
	v_mul_lo_u32 v5, s15, v4
	v_mad_u64_u32 v[1:2], s[2:3], s14, v4, 0
	s_mul_i32 s0, s0, s8
	s_lshl_b64 s[0:1], s[0:1], 2
	v_add3_u32 v2, v2, v3, v5
	s_add_u32 s8, s12, s0
	v_lshlrev_b64 v[1:2], 2, v[1:2]
	s_addc_u32 s10, s13, s1
	v_mov_b32_e32 v3, s10
	v_add_co_u32_e32 v5, vcc, s8, v1
	v_add_u32_e32 v0, s24, v0
	v_addc_co_u32_e32 v9, vcc, v3, v2, vcc
	v_cmp_le_i32_e64 s[0:1], v4, v0
	v_cmp_gt_i32_e32 vcc, s9, v0
	s_and_b64 s[0:1], s[0:1], vcc
	s_and_saveexec_b64 s[2:3], s[0:1]
	s_cbranch_execz .LBB993_10
; %bb.9:
	v_ashrrev_i32_e32 v1, 31, v0
	v_lshlrev_b64 v[1:2], 2, v[0:1]
	v_add_co_u32_e64 v1, s[0:1], v5, v1
	v_addc_co_u32_e64 v2, s[0:1], v9, v2, s[0:1]
	global_load_dword v3, v[1:2], off
	s_waitcnt vmcnt(0)
	v_mul_f32_e32 v3, s7, v3
	v_fmac_f32_e32 v3, s6, v12
	global_store_dword v[1:2], v3, off
.LBB993_10:
	s_or_b64 exec, exec, s[2:3]
	v_add_u32_e32 v2, 16, v0
	v_cmp_le_i32_e64 s[2:3], v4, v2
	v_cmp_gt_i32_e64 s[0:1], s9, v2
	s_and_b64 s[2:3], s[2:3], s[0:1]
	s_and_saveexec_b64 s[4:5], s[2:3]
	s_cbranch_execz .LBB993_12
; %bb.11:
	v_ashrrev_i32_e32 v3, 31, v2
	v_lshlrev_b64 v[10:11], 2, v[2:3]
	v_add_co_u32_e64 v10, s[2:3], v5, v10
	v_addc_co_u32_e64 v11, s[2:3], v9, v11, s[2:3]
	global_load_dword v1, v[10:11], off
	s_waitcnt vmcnt(0)
	v_mul_f32_e32 v1, s7, v1
	v_fmac_f32_e32 v1, s6, v8
	global_store_dword v[10:11], v1, off
.LBB993_12:
	s_or_b64 exec, exec, s[4:5]
	v_add_u32_e32 v3, 16, v4
	v_ashrrev_i32_e32 v1, 31, v3
	v_mul_lo_u32 v8, s15, v3
	v_mad_u64_u32 v[4:5], s[2:3], s14, v3, 0
	v_mul_lo_u32 v1, s14, v1
	v_add3_u32 v5, v5, v1, v8
	v_lshlrev_b64 v[4:5], 2, v[4:5]
	v_mov_b32_e32 v1, s10
	v_add_co_u32_e64 v4, s[2:3], s8, v4
	v_addc_co_u32_e64 v5, s[2:3], v1, v5, s[2:3]
	v_cmp_le_i32_e64 s[2:3], v3, v0
	s_and_b64 s[4:5], s[2:3], vcc
	s_and_saveexec_b64 s[2:3], s[4:5]
	s_cbranch_execz .LBB993_14
; %bb.13:
	v_ashrrev_i32_e32 v1, 31, v0
	v_lshlrev_b64 v[0:1], 2, v[0:1]
	v_add_co_u32_e32 v0, vcc, v4, v0
	v_addc_co_u32_e32 v1, vcc, v5, v1, vcc
	global_load_dword v8, v[0:1], off
	s_waitcnt vmcnt(0)
	v_mul_f32_e32 v8, s7, v8
	v_fmac_f32_e32 v8, s6, v7
	global_store_dword v[0:1], v8, off
.LBB993_14:
	s_or_b64 exec, exec, s[2:3]
	v_cmp_le_i32_e32 vcc, v3, v2
	s_and_b64 s[0:1], vcc, s[0:1]
	s_and_saveexec_b64 s[2:3], s[0:1]
	s_cbranch_execz .LBB993_16
; %bb.15:
	v_ashrrev_i32_e32 v3, 31, v2
	v_lshlrev_b64 v[0:1], 2, v[2:3]
	v_add_co_u32_e32 v0, vcc, v4, v0
	v_addc_co_u32_e32 v1, vcc, v5, v1, vcc
	global_load_dword v2, v[0:1], off
	s_waitcnt vmcnt(0)
	v_mul_f32_e32 v2, s7, v2
	v_fmac_f32_e32 v2, s6, v6
	global_store_dword v[0:1], v2, off
.LBB993_16:
	s_endpgm
	.section	.rodata,"a",@progbits
	.p2align	6, 0x0
	.amdhsa_kernel _ZL34rocblas_syrkx_herkx_general_kernelIlfLi16ELi32ELi8ELb0ELb0ELc67ELc76EKffEviT_T0_PT8_S1_lS4_S1_lS2_PT9_S1_li
		.amdhsa_group_segment_fixed_size 2048
		.amdhsa_private_segment_fixed_size 0
		.amdhsa_kernarg_size 108
		.amdhsa_user_sgpr_count 6
		.amdhsa_user_sgpr_private_segment_buffer 1
		.amdhsa_user_sgpr_dispatch_ptr 0
		.amdhsa_user_sgpr_queue_ptr 0
		.amdhsa_user_sgpr_kernarg_segment_ptr 1
		.amdhsa_user_sgpr_dispatch_id 0
		.amdhsa_user_sgpr_flat_scratch_init 0
		.amdhsa_user_sgpr_private_segment_size 0
		.amdhsa_uses_dynamic_stack 0
		.amdhsa_system_sgpr_private_segment_wavefront_offset 0
		.amdhsa_system_sgpr_workgroup_id_x 1
		.amdhsa_system_sgpr_workgroup_id_y 1
		.amdhsa_system_sgpr_workgroup_id_z 1
		.amdhsa_system_sgpr_workgroup_info 0
		.amdhsa_system_vgpr_workitem_id 1
		.amdhsa_next_free_vgpr 28
		.amdhsa_next_free_sgpr 26
		.amdhsa_reserve_vcc 1
		.amdhsa_reserve_flat_scratch 0
		.amdhsa_float_round_mode_32 0
		.amdhsa_float_round_mode_16_64 0
		.amdhsa_float_denorm_mode_32 3
		.amdhsa_float_denorm_mode_16_64 3
		.amdhsa_dx10_clamp 1
		.amdhsa_ieee_mode 1
		.amdhsa_fp16_overflow 0
		.amdhsa_exception_fp_ieee_invalid_op 0
		.amdhsa_exception_fp_denorm_src 0
		.amdhsa_exception_fp_ieee_div_zero 0
		.amdhsa_exception_fp_ieee_overflow 0
		.amdhsa_exception_fp_ieee_underflow 0
		.amdhsa_exception_fp_ieee_inexact 0
		.amdhsa_exception_int_div_zero 0
	.end_amdhsa_kernel
	.section	.text._ZL34rocblas_syrkx_herkx_general_kernelIlfLi16ELi32ELi8ELb0ELb0ELc67ELc76EKffEviT_T0_PT8_S1_lS4_S1_lS2_PT9_S1_li,"axG",@progbits,_ZL34rocblas_syrkx_herkx_general_kernelIlfLi16ELi32ELi8ELb0ELb0ELc67ELc76EKffEviT_T0_PT8_S1_lS4_S1_lS2_PT9_S1_li,comdat
.Lfunc_end993:
	.size	_ZL34rocblas_syrkx_herkx_general_kernelIlfLi16ELi32ELi8ELb0ELb0ELc67ELc76EKffEviT_T0_PT8_S1_lS4_S1_lS2_PT9_S1_li, .Lfunc_end993-_ZL34rocblas_syrkx_herkx_general_kernelIlfLi16ELi32ELi8ELb0ELb0ELc67ELc76EKffEviT_T0_PT8_S1_lS4_S1_lS2_PT9_S1_li
                                        ; -- End function
	.set _ZL34rocblas_syrkx_herkx_general_kernelIlfLi16ELi32ELi8ELb0ELb0ELc67ELc76EKffEviT_T0_PT8_S1_lS4_S1_lS2_PT9_S1_li.num_vgpr, 28
	.set _ZL34rocblas_syrkx_herkx_general_kernelIlfLi16ELi32ELi8ELb0ELb0ELc67ELc76EKffEviT_T0_PT8_S1_lS4_S1_lS2_PT9_S1_li.num_agpr, 0
	.set _ZL34rocblas_syrkx_herkx_general_kernelIlfLi16ELi32ELi8ELb0ELb0ELc67ELc76EKffEviT_T0_PT8_S1_lS4_S1_lS2_PT9_S1_li.numbered_sgpr, 26
	.set _ZL34rocblas_syrkx_herkx_general_kernelIlfLi16ELi32ELi8ELb0ELb0ELc67ELc76EKffEviT_T0_PT8_S1_lS4_S1_lS2_PT9_S1_li.num_named_barrier, 0
	.set _ZL34rocblas_syrkx_herkx_general_kernelIlfLi16ELi32ELi8ELb0ELb0ELc67ELc76EKffEviT_T0_PT8_S1_lS4_S1_lS2_PT9_S1_li.private_seg_size, 0
	.set _ZL34rocblas_syrkx_herkx_general_kernelIlfLi16ELi32ELi8ELb0ELb0ELc67ELc76EKffEviT_T0_PT8_S1_lS4_S1_lS2_PT9_S1_li.uses_vcc, 1
	.set _ZL34rocblas_syrkx_herkx_general_kernelIlfLi16ELi32ELi8ELb0ELb0ELc67ELc76EKffEviT_T0_PT8_S1_lS4_S1_lS2_PT9_S1_li.uses_flat_scratch, 0
	.set _ZL34rocblas_syrkx_herkx_general_kernelIlfLi16ELi32ELi8ELb0ELb0ELc67ELc76EKffEviT_T0_PT8_S1_lS4_S1_lS2_PT9_S1_li.has_dyn_sized_stack, 0
	.set _ZL34rocblas_syrkx_herkx_general_kernelIlfLi16ELi32ELi8ELb0ELb0ELc67ELc76EKffEviT_T0_PT8_S1_lS4_S1_lS2_PT9_S1_li.has_recursion, 0
	.set _ZL34rocblas_syrkx_herkx_general_kernelIlfLi16ELi32ELi8ELb0ELb0ELc67ELc76EKffEviT_T0_PT8_S1_lS4_S1_lS2_PT9_S1_li.has_indirect_call, 0
	.section	.AMDGPU.csdata,"",@progbits
; Kernel info:
; codeLenInByte = 1356
; TotalNumSgprs: 30
; NumVgprs: 28
; ScratchSize: 0
; MemoryBound: 0
; FloatMode: 240
; IeeeMode: 1
; LDSByteSize: 2048 bytes/workgroup (compile time only)
; SGPRBlocks: 3
; VGPRBlocks: 6
; NumSGPRsForWavesPerEU: 30
; NumVGPRsForWavesPerEU: 28
; Occupancy: 9
; WaveLimiterHint : 0
; COMPUTE_PGM_RSRC2:SCRATCH_EN: 0
; COMPUTE_PGM_RSRC2:USER_SGPR: 6
; COMPUTE_PGM_RSRC2:TRAP_HANDLER: 0
; COMPUTE_PGM_RSRC2:TGID_X_EN: 1
; COMPUTE_PGM_RSRC2:TGID_Y_EN: 1
; COMPUTE_PGM_RSRC2:TGID_Z_EN: 1
; COMPUTE_PGM_RSRC2:TIDIG_COMP_CNT: 1
	.section	.text._ZL34rocblas_syrkx_herkx_general_kernelIlfLi16ELi32ELi8ELb0ELb0ELc78ELc76EKffEviT_T0_PT8_S1_lS4_S1_lS2_PT9_S1_li,"axG",@progbits,_ZL34rocblas_syrkx_herkx_general_kernelIlfLi16ELi32ELi8ELb0ELb0ELc78ELc76EKffEviT_T0_PT8_S1_lS4_S1_lS2_PT9_S1_li,comdat
	.globl	_ZL34rocblas_syrkx_herkx_general_kernelIlfLi16ELi32ELi8ELb0ELb0ELc78ELc76EKffEviT_T0_PT8_S1_lS4_S1_lS2_PT9_S1_li ; -- Begin function _ZL34rocblas_syrkx_herkx_general_kernelIlfLi16ELi32ELi8ELb0ELb0ELc78ELc76EKffEviT_T0_PT8_S1_lS4_S1_lS2_PT9_S1_li
	.p2align	8
	.type	_ZL34rocblas_syrkx_herkx_general_kernelIlfLi16ELi32ELi8ELb0ELb0ELc78ELc76EKffEviT_T0_PT8_S1_lS4_S1_lS2_PT9_S1_li,@function
_ZL34rocblas_syrkx_herkx_general_kernelIlfLi16ELi32ELi8ELb0ELb0ELc78ELc76EKffEviT_T0_PT8_S1_lS4_S1_lS2_PT9_S1_li: ; @_ZL34rocblas_syrkx_herkx_general_kernelIlfLi16ELi32ELi8ELb0ELb0ELc78ELc76EKffEviT_T0_PT8_S1_lS4_S1_lS2_PT9_S1_li
; %bb.0:
	s_load_dwordx2 s[10:11], s[4:5], 0x8
	s_load_dword s9, s[4:5], 0x0
	s_lshl_b32 s24, s6, 5
	s_lshl_b32 s25, s7, 5
	s_waitcnt lgkmcnt(0)
	v_cmp_lt_i64_e64 s[0:1], s[10:11], 1
	s_and_b64 vcc, exec, s[0:1]
	s_cbranch_vccnz .LBB994_7
; %bb.1:
	s_load_dwordx8 s[12:19], s[4:5], 0x18
	s_load_dwordx4 s[20:23], s[4:5], 0x38
	v_lshl_add_u32 v2, v1, 4, v0
	v_and_b32_e32 v13, 31, v2
	v_lshrrev_b32_e32 v5, 3, v2
	v_or_b32_e32 v3, s24, v13
	v_lshrrev_b32_e32 v9, 5, v2
	v_lshlrev_b32_e32 v2, 2, v13
	v_cmp_gt_i32_e64 s[0:1], s9, v3
	v_lshl_or_b32 v11, v9, 7, v2
	s_waitcnt lgkmcnt(0)
	v_mad_u64_u32 v[2:3], s[6:7], s14, v9, 0
	v_and_b32_e32 v10, 7, v0
	v_add_u32_e32 v4, s25, v5
	v_lshlrev_b32_e32 v7, 2, v10
	v_lshl_or_b32 v5, v5, 5, v7
	v_mad_u64_u32 v[7:8], s[6:7], s15, v9, v[3:4]
	v_mov_b32_e32 v3, 0x400
	v_lshl_add_u32 v15, v1, 5, v3
	v_mov_b32_e32 v3, v7
	s_mul_i32 s6, s17, s8
	s_mul_hi_u32 s7, s16, s8
	v_lshlrev_b64 v[2:3], 2, v[2:3]
	s_add_i32 s7, s7, s6
	s_mul_i32 s6, s16, s8
	s_lshl_b64 s[6:7], s[6:7], 2
	v_mov_b32_e32 v7, s7
	v_add_co_u32_e32 v8, vcc, s6, v2
	v_add_u32_e32 v2, s24, v13
	v_addc_co_u32_e32 v7, vcc, v3, v7, vcc
	v_ashrrev_i32_e32 v3, 31, v2
	v_lshlrev_b64 v[2:3], 2, v[2:3]
	v_add_u32_e32 v12, 0x400, v5
	v_add_co_u32_e32 v2, vcc, v8, v2
	v_addc_co_u32_e32 v3, vcc, v7, v3, vcc
	v_mov_b32_e32 v7, s13
	v_add_co_u32_e32 v2, vcc, s12, v2
	v_addc_co_u32_e32 v3, vcc, v7, v3, vcc
	v_mad_u64_u32 v[7:8], s[6:7], s20, v10, 0
	s_lshl_b64 s[12:13], s[14:15], 5
	s_mul_i32 s14, s23, s8
	v_mad_u64_u32 v[16:17], s[6:7], s21, v10, v[8:9]
	s_mul_hi_u32 s15, s22, s8
	s_add_i32 s7, s15, s14
	v_mov_b32_e32 v8, v16
	s_mul_i32 s6, s22, s8
	v_lshlrev_b64 v[7:8], 2, v[7:8]
	v_ashrrev_i32_e32 v5, 31, v4
	s_lshl_b64 s[6:7], s[6:7], 2
	v_cmp_gt_i32_e64 s[2:3], s9, v4
	v_mov_b32_e32 v13, s7
	v_add_co_u32_e32 v7, vcc, s6, v7
	v_lshlrev_b64 v[4:5], 2, v[4:5]
	v_addc_co_u32_e32 v8, vcc, v13, v8, vcc
	v_add_co_u32_e32 v4, vcc, v7, v4
	v_addc_co_u32_e32 v5, vcc, v8, v5, vcc
	v_mov_b32_e32 v7, s19
	v_add_co_u32_e32 v4, vcc, s18, v4
	v_mov_b32_e32 v6, 0
	v_lshlrev_b32_e32 v14, 2, v0
	v_addc_co_u32_e32 v5, vcc, v7, v5, vcc
	s_lshl_b64 s[14:15], s[20:21], 5
	s_mov_b64 s[16:17], 0
	v_mov_b32_e32 v7, 0
	v_mov_b32_e32 v8, 0
	;; [unrolled: 1-line block ×3, first 2 shown]
	s_branch .LBB994_3
.LBB994_2:                              ;   in Loop: Header=BB994_3 Depth=1
	s_or_b64 exec, exec, s[6:7]
	s_waitcnt vmcnt(0)
	ds_write_b32 v12, v16
	s_waitcnt lgkmcnt(0)
	s_barrier
	ds_read_b128 v[16:19], v15
	ds_read2_b32 v[20:21], v14 offset1:16
	ds_read2_b32 v[22:23], v14 offset0:32 offset1:48
	ds_read2_b32 v[24:25], v14 offset0:64 offset1:80
	;; [unrolled: 1-line block ×3, first 2 shown]
	v_add_co_u32_e32 v2, vcc, s12, v2
	s_waitcnt lgkmcnt(3)
	v_fmac_f32_e32 v13, v20, v16
	v_fmac_f32_e32 v8, v21, v16
	s_waitcnt lgkmcnt(2)
	v_fmac_f32_e32 v13, v22, v17
	v_fmac_f32_e32 v8, v23, v17
	;; [unrolled: 3-line block ×4, first 2 shown]
	ds_read_b128 v[16:19], v15 offset:512
	s_add_u32 s16, s16, 8
	s_addc_u32 s17, s17, 0
	s_waitcnt lgkmcnt(0)
	v_fmac_f32_e32 v7, v20, v16
	v_fmac_f32_e32 v6, v21, v16
	;; [unrolled: 1-line block ×8, first 2 shown]
	ds_read_b128 v[16:19], v15 offset:16
	ds_read2_b32 v[20:21], v14 offset0:128 offset1:144
	ds_read2_b32 v[22:23], v14 offset0:160 offset1:176
	;; [unrolled: 1-line block ×4, first 2 shown]
	s_waitcnt lgkmcnt(3)
	v_fmac_f32_e32 v13, v20, v16
	v_fmac_f32_e32 v8, v21, v16
	s_waitcnt lgkmcnt(2)
	v_fmac_f32_e32 v13, v22, v17
	v_fmac_f32_e32 v8, v23, v17
	;; [unrolled: 3-line block ×4, first 2 shown]
	ds_read_b128 v[16:19], v15 offset:528
	s_waitcnt lgkmcnt(0)
	s_barrier
	v_fmac_f32_e32 v7, v20, v16
	v_fmac_f32_e32 v6, v21, v16
	v_mov_b32_e32 v16, s13
	v_fmac_f32_e32 v7, v22, v17
	v_fmac_f32_e32 v6, v23, v17
	v_addc_co_u32_e32 v3, vcc, v3, v16, vcc
	v_mov_b32_e32 v17, s11
	v_mov_b32_e32 v16, s10
	v_fmac_f32_e32 v7, v24, v18
	v_fmac_f32_e32 v6, v25, v18
	v_add_co_u32_e32 v4, vcc, s14, v4
	v_mov_b32_e32 v18, s15
	v_cmp_ge_i64_e64 s[6:7], s[16:17], v[16:17]
	v_addc_co_u32_e32 v5, vcc, v5, v18, vcc
	v_fmac_f32_e32 v7, v26, v19
	v_fmac_f32_e32 v6, v27, v19
	s_and_b64 vcc, exec, s[6:7]
	s_cbranch_vccnz .LBB994_8
.LBB994_3:                              ; =>This Inner Loop Header: Depth=1
	v_mov_b32_e32 v17, s17
	v_add_co_u32_e32 v16, vcc, s16, v9
	v_addc_co_u32_e32 v17, vcc, 0, v17, vcc
	v_cmp_gt_i64_e32 vcc, s[10:11], v[16:17]
	v_mov_b32_e32 v16, 0
	s_and_b64 s[18:19], s[0:1], vcc
	s_and_saveexec_b64 s[6:7], s[18:19]
	s_cbranch_execz .LBB994_5
; %bb.4:                                ;   in Loop: Header=BB994_3 Depth=1
	global_load_dword v16, v[2:3], off
.LBB994_5:                              ;   in Loop: Header=BB994_3 Depth=1
	s_or_b64 exec, exec, s[6:7]
	v_mov_b32_e32 v18, s17
	v_add_co_u32_e32 v17, vcc, s16, v10
	v_addc_co_u32_e32 v18, vcc, 0, v18, vcc
	v_cmp_gt_i64_e32 vcc, s[10:11], v[17:18]
	s_waitcnt vmcnt(0)
	ds_write_b32 v11, v16
	s_and_b64 s[18:19], vcc, s[2:3]
	v_mov_b32_e32 v16, 0
	s_and_saveexec_b64 s[6:7], s[18:19]
	s_cbranch_execz .LBB994_2
; %bb.6:                                ;   in Loop: Header=BB994_3 Depth=1
	global_load_dword v16, v[4:5], off
	s_branch .LBB994_2
.LBB994_7:
	v_mov_b32_e32 v13, 0
	v_mov_b32_e32 v8, 0
	;; [unrolled: 1-line block ×4, first 2 shown]
.LBB994_8:
	s_load_dwordx2 s[0:1], s[4:5], 0x60
	s_load_dword s6, s[4:5], 0x10
	s_load_dword s7, s[4:5], 0x48
	s_load_dwordx4 s[12:15], s[4:5], 0x50
	v_add_u32_e32 v4, s25, v1
	s_waitcnt lgkmcnt(0)
	s_mul_i32 s1, s1, s8
	s_mul_hi_u32 s2, s0, s8
	v_ashrrev_i32_e32 v1, 31, v4
	s_add_i32 s1, s2, s1
	v_mul_lo_u32 v3, s14, v1
	v_mul_lo_u32 v5, s15, v4
	v_mad_u64_u32 v[1:2], s[2:3], s14, v4, 0
	s_mul_i32 s0, s0, s8
	s_lshl_b64 s[0:1], s[0:1], 2
	v_add3_u32 v2, v2, v3, v5
	s_add_u32 s8, s12, s0
	v_lshlrev_b64 v[1:2], 2, v[1:2]
	s_addc_u32 s10, s13, s1
	v_mov_b32_e32 v3, s10
	v_add_co_u32_e32 v5, vcc, s8, v1
	v_add_u32_e32 v0, s24, v0
	v_addc_co_u32_e32 v9, vcc, v3, v2, vcc
	v_cmp_le_i32_e64 s[0:1], v4, v0
	v_cmp_gt_i32_e32 vcc, s9, v0
	s_and_b64 s[0:1], s[0:1], vcc
	s_and_saveexec_b64 s[2:3], s[0:1]
	s_cbranch_execz .LBB994_10
; %bb.9:
	v_ashrrev_i32_e32 v1, 31, v0
	v_lshlrev_b64 v[1:2], 2, v[0:1]
	v_add_co_u32_e64 v1, s[0:1], v5, v1
	v_addc_co_u32_e64 v2, s[0:1], v9, v2, s[0:1]
	global_load_dword v3, v[1:2], off
	s_waitcnt vmcnt(0)
	v_mul_f32_e32 v3, s7, v3
	v_fmac_f32_e32 v3, s6, v13
	global_store_dword v[1:2], v3, off
.LBB994_10:
	s_or_b64 exec, exec, s[2:3]
	v_add_u32_e32 v2, 16, v0
	v_cmp_le_i32_e64 s[2:3], v4, v2
	v_cmp_gt_i32_e64 s[0:1], s9, v2
	s_and_b64 s[2:3], s[2:3], s[0:1]
	s_and_saveexec_b64 s[4:5], s[2:3]
	s_cbranch_execz .LBB994_12
; %bb.11:
	v_ashrrev_i32_e32 v3, 31, v2
	v_lshlrev_b64 v[10:11], 2, v[2:3]
	v_add_co_u32_e64 v10, s[2:3], v5, v10
	v_addc_co_u32_e64 v11, s[2:3], v9, v11, s[2:3]
	global_load_dword v1, v[10:11], off
	s_waitcnt vmcnt(0)
	v_mul_f32_e32 v1, s7, v1
	v_fmac_f32_e32 v1, s6, v8
	global_store_dword v[10:11], v1, off
.LBB994_12:
	s_or_b64 exec, exec, s[4:5]
	v_add_u32_e32 v3, 16, v4
	v_ashrrev_i32_e32 v1, 31, v3
	v_mul_lo_u32 v8, s15, v3
	v_mad_u64_u32 v[4:5], s[2:3], s14, v3, 0
	v_mul_lo_u32 v1, s14, v1
	v_add3_u32 v5, v5, v1, v8
	v_lshlrev_b64 v[4:5], 2, v[4:5]
	v_mov_b32_e32 v1, s10
	v_add_co_u32_e64 v4, s[2:3], s8, v4
	v_addc_co_u32_e64 v5, s[2:3], v1, v5, s[2:3]
	v_cmp_le_i32_e64 s[2:3], v3, v0
	s_and_b64 s[4:5], s[2:3], vcc
	s_and_saveexec_b64 s[2:3], s[4:5]
	s_cbranch_execz .LBB994_14
; %bb.13:
	v_ashrrev_i32_e32 v1, 31, v0
	v_lshlrev_b64 v[0:1], 2, v[0:1]
	v_add_co_u32_e32 v0, vcc, v4, v0
	v_addc_co_u32_e32 v1, vcc, v5, v1, vcc
	global_load_dword v8, v[0:1], off
	s_waitcnt vmcnt(0)
	v_mul_f32_e32 v8, s7, v8
	v_fmac_f32_e32 v8, s6, v7
	global_store_dword v[0:1], v8, off
.LBB994_14:
	s_or_b64 exec, exec, s[2:3]
	v_cmp_le_i32_e32 vcc, v3, v2
	s_and_b64 s[0:1], vcc, s[0:1]
	s_and_saveexec_b64 s[2:3], s[0:1]
	s_cbranch_execz .LBB994_16
; %bb.15:
	v_ashrrev_i32_e32 v3, 31, v2
	v_lshlrev_b64 v[0:1], 2, v[2:3]
	v_add_co_u32_e32 v0, vcc, v4, v0
	v_addc_co_u32_e32 v1, vcc, v5, v1, vcc
	global_load_dword v2, v[0:1], off
	s_waitcnt vmcnt(0)
	v_mul_f32_e32 v2, s7, v2
	v_fmac_f32_e32 v2, s6, v6
	global_store_dword v[0:1], v2, off
.LBB994_16:
	s_endpgm
	.section	.rodata,"a",@progbits
	.p2align	6, 0x0
	.amdhsa_kernel _ZL34rocblas_syrkx_herkx_general_kernelIlfLi16ELi32ELi8ELb0ELb0ELc78ELc76EKffEviT_T0_PT8_S1_lS4_S1_lS2_PT9_S1_li
		.amdhsa_group_segment_fixed_size 2048
		.amdhsa_private_segment_fixed_size 0
		.amdhsa_kernarg_size 108
		.amdhsa_user_sgpr_count 6
		.amdhsa_user_sgpr_private_segment_buffer 1
		.amdhsa_user_sgpr_dispatch_ptr 0
		.amdhsa_user_sgpr_queue_ptr 0
		.amdhsa_user_sgpr_kernarg_segment_ptr 1
		.amdhsa_user_sgpr_dispatch_id 0
		.amdhsa_user_sgpr_flat_scratch_init 0
		.amdhsa_user_sgpr_private_segment_size 0
		.amdhsa_uses_dynamic_stack 0
		.amdhsa_system_sgpr_private_segment_wavefront_offset 0
		.amdhsa_system_sgpr_workgroup_id_x 1
		.amdhsa_system_sgpr_workgroup_id_y 1
		.amdhsa_system_sgpr_workgroup_id_z 1
		.amdhsa_system_sgpr_workgroup_info 0
		.amdhsa_system_vgpr_workitem_id 1
		.amdhsa_next_free_vgpr 28
		.amdhsa_next_free_sgpr 26
		.amdhsa_reserve_vcc 1
		.amdhsa_reserve_flat_scratch 0
		.amdhsa_float_round_mode_32 0
		.amdhsa_float_round_mode_16_64 0
		.amdhsa_float_denorm_mode_32 3
		.amdhsa_float_denorm_mode_16_64 3
		.amdhsa_dx10_clamp 1
		.amdhsa_ieee_mode 1
		.amdhsa_fp16_overflow 0
		.amdhsa_exception_fp_ieee_invalid_op 0
		.amdhsa_exception_fp_denorm_src 0
		.amdhsa_exception_fp_ieee_div_zero 0
		.amdhsa_exception_fp_ieee_overflow 0
		.amdhsa_exception_fp_ieee_underflow 0
		.amdhsa_exception_fp_ieee_inexact 0
		.amdhsa_exception_int_div_zero 0
	.end_amdhsa_kernel
	.section	.text._ZL34rocblas_syrkx_herkx_general_kernelIlfLi16ELi32ELi8ELb0ELb0ELc78ELc76EKffEviT_T0_PT8_S1_lS4_S1_lS2_PT9_S1_li,"axG",@progbits,_ZL34rocblas_syrkx_herkx_general_kernelIlfLi16ELi32ELi8ELb0ELb0ELc78ELc76EKffEviT_T0_PT8_S1_lS4_S1_lS2_PT9_S1_li,comdat
.Lfunc_end994:
	.size	_ZL34rocblas_syrkx_herkx_general_kernelIlfLi16ELi32ELi8ELb0ELb0ELc78ELc76EKffEviT_T0_PT8_S1_lS4_S1_lS2_PT9_S1_li, .Lfunc_end994-_ZL34rocblas_syrkx_herkx_general_kernelIlfLi16ELi32ELi8ELb0ELb0ELc78ELc76EKffEviT_T0_PT8_S1_lS4_S1_lS2_PT9_S1_li
                                        ; -- End function
	.set _ZL34rocblas_syrkx_herkx_general_kernelIlfLi16ELi32ELi8ELb0ELb0ELc78ELc76EKffEviT_T0_PT8_S1_lS4_S1_lS2_PT9_S1_li.num_vgpr, 28
	.set _ZL34rocblas_syrkx_herkx_general_kernelIlfLi16ELi32ELi8ELb0ELb0ELc78ELc76EKffEviT_T0_PT8_S1_lS4_S1_lS2_PT9_S1_li.num_agpr, 0
	.set _ZL34rocblas_syrkx_herkx_general_kernelIlfLi16ELi32ELi8ELb0ELb0ELc78ELc76EKffEviT_T0_PT8_S1_lS4_S1_lS2_PT9_S1_li.numbered_sgpr, 26
	.set _ZL34rocblas_syrkx_herkx_general_kernelIlfLi16ELi32ELi8ELb0ELb0ELc78ELc76EKffEviT_T0_PT8_S1_lS4_S1_lS2_PT9_S1_li.num_named_barrier, 0
	.set _ZL34rocblas_syrkx_herkx_general_kernelIlfLi16ELi32ELi8ELb0ELb0ELc78ELc76EKffEviT_T0_PT8_S1_lS4_S1_lS2_PT9_S1_li.private_seg_size, 0
	.set _ZL34rocblas_syrkx_herkx_general_kernelIlfLi16ELi32ELi8ELb0ELb0ELc78ELc76EKffEviT_T0_PT8_S1_lS4_S1_lS2_PT9_S1_li.uses_vcc, 1
	.set _ZL34rocblas_syrkx_herkx_general_kernelIlfLi16ELi32ELi8ELb0ELb0ELc78ELc76EKffEviT_T0_PT8_S1_lS4_S1_lS2_PT9_S1_li.uses_flat_scratch, 0
	.set _ZL34rocblas_syrkx_herkx_general_kernelIlfLi16ELi32ELi8ELb0ELb0ELc78ELc76EKffEviT_T0_PT8_S1_lS4_S1_lS2_PT9_S1_li.has_dyn_sized_stack, 0
	.set _ZL34rocblas_syrkx_herkx_general_kernelIlfLi16ELi32ELi8ELb0ELb0ELc78ELc76EKffEviT_T0_PT8_S1_lS4_S1_lS2_PT9_S1_li.has_recursion, 0
	.set _ZL34rocblas_syrkx_herkx_general_kernelIlfLi16ELi32ELi8ELb0ELb0ELc78ELc76EKffEviT_T0_PT8_S1_lS4_S1_lS2_PT9_S1_li.has_indirect_call, 0
	.section	.AMDGPU.csdata,"",@progbits
; Kernel info:
; codeLenInByte = 1360
; TotalNumSgprs: 30
; NumVgprs: 28
; ScratchSize: 0
; MemoryBound: 0
; FloatMode: 240
; IeeeMode: 1
; LDSByteSize: 2048 bytes/workgroup (compile time only)
; SGPRBlocks: 3
; VGPRBlocks: 6
; NumSGPRsForWavesPerEU: 30
; NumVGPRsForWavesPerEU: 28
; Occupancy: 9
; WaveLimiterHint : 0
; COMPUTE_PGM_RSRC2:SCRATCH_EN: 0
; COMPUTE_PGM_RSRC2:USER_SGPR: 6
; COMPUTE_PGM_RSRC2:TRAP_HANDLER: 0
; COMPUTE_PGM_RSRC2:TGID_X_EN: 1
; COMPUTE_PGM_RSRC2:TGID_Y_EN: 1
; COMPUTE_PGM_RSRC2:TGID_Z_EN: 1
; COMPUTE_PGM_RSRC2:TIDIG_COMP_CNT: 1
	.section	.text._ZL34rocblas_syrkx_herkx_general_kernelIlfLi16ELi32ELi8ELb0ELb0ELc84ELc85EKffEviT_T0_PT8_S1_lS4_S1_lS2_PT9_S1_li,"axG",@progbits,_ZL34rocblas_syrkx_herkx_general_kernelIlfLi16ELi32ELi8ELb0ELb0ELc84ELc85EKffEviT_T0_PT8_S1_lS4_S1_lS2_PT9_S1_li,comdat
	.globl	_ZL34rocblas_syrkx_herkx_general_kernelIlfLi16ELi32ELi8ELb0ELb0ELc84ELc85EKffEviT_T0_PT8_S1_lS4_S1_lS2_PT9_S1_li ; -- Begin function _ZL34rocblas_syrkx_herkx_general_kernelIlfLi16ELi32ELi8ELb0ELb0ELc84ELc85EKffEviT_T0_PT8_S1_lS4_S1_lS2_PT9_S1_li
	.p2align	8
	.type	_ZL34rocblas_syrkx_herkx_general_kernelIlfLi16ELi32ELi8ELb0ELb0ELc84ELc85EKffEviT_T0_PT8_S1_lS4_S1_lS2_PT9_S1_li,@function
_ZL34rocblas_syrkx_herkx_general_kernelIlfLi16ELi32ELi8ELb0ELb0ELc84ELc85EKffEviT_T0_PT8_S1_lS4_S1_lS2_PT9_S1_li: ; @_ZL34rocblas_syrkx_herkx_general_kernelIlfLi16ELi32ELi8ELb0ELb0ELc84ELc85EKffEviT_T0_PT8_S1_lS4_S1_lS2_PT9_S1_li
; %bb.0:
	s_load_dwordx2 s[10:11], s[4:5], 0x8
	s_load_dword s9, s[4:5], 0x0
	s_lshl_b32 s24, s6, 5
	s_lshl_b32 s25, s7, 5
	s_waitcnt lgkmcnt(0)
	v_cmp_lt_i64_e64 s[0:1], s[10:11], 1
	s_and_b64 vcc, exec, s[0:1]
	s_cbranch_vccnz .LBB995_7
; %bb.1:
	v_lshl_add_u32 v2, v1, 4, v0
	v_and_b32_e32 v5, 31, v2
	v_or_b32_e32 v7, s24, v5
	v_and_b32_e32 v10, 7, v0
	s_load_dwordx8 s[12:19], s[4:5], 0x18
	s_load_dwordx4 s[20:23], s[4:5], 0x38
	v_lshrrev_b32_e32 v3, 3, v2
	v_lshrrev_b32_e32 v9, 5, v2
	v_cmp_gt_i32_e64 s[0:1], s9, v7
	v_lshlrev_b32_e32 v2, 2, v5
	v_lshlrev_b32_e32 v7, 2, v10
	v_lshl_or_b32 v11, v9, 7, v2
	v_lshl_or_b32 v2, v3, 5, v7
	v_add_u32_e32 v13, 0x400, v2
	v_add_u32_e32 v2, s24, v5
	;; [unrolled: 1-line block ×3, first 2 shown]
	v_ashrrev_i32_e32 v3, 31, v2
	s_waitcnt lgkmcnt(0)
	v_mul_lo_u32 v5, s14, v3
	v_mul_lo_u32 v12, s15, v2
	v_mad_u64_u32 v[2:3], s[6:7], s14, v2, 0
	s_mul_i32 s6, s17, s8
	s_mul_hi_u32 s7, s16, s8
	v_add3_u32 v3, v3, v5, v12
	v_lshlrev_b64 v[2:3], 2, v[2:3]
	s_add_i32 s7, s7, s6
	s_mul_i32 s6, s16, s8
	s_lshl_b64 s[6:7], s[6:7], 2
	v_mov_b32_e32 v5, s7
	v_add_co_u32_e32 v2, vcc, s6, v2
	v_ashrrev_i32_e32 v8, 31, v4
	v_addc_co_u32_e32 v3, vcc, v3, v5, vcc
	v_lshlrev_b32_e32 v5, 2, v9
	v_cmp_gt_i32_e64 s[2:3], s9, v4
	v_add_co_u32_e32 v2, vcc, v2, v5
	v_mul_lo_u32 v8, s20, v8
	v_mul_lo_u32 v16, s21, v4
	v_mad_u64_u32 v[4:5], s[6:7], s20, v4, 0
	v_addc_co_u32_e32 v3, vcc, 0, v3, vcc
	v_add3_u32 v5, v5, v8, v16
	s_mul_i32 s6, s23, s8
	s_mul_hi_u32 s7, s22, s8
	v_mov_b32_e32 v12, s13
	v_add_co_u32_e32 v2, vcc, s12, v2
	v_lshlrev_b64 v[4:5], 2, v[4:5]
	s_add_i32 s7, s7, s6
	s_mul_i32 s6, s22, s8
	v_addc_co_u32_e32 v3, vcc, v12, v3, vcc
	s_lshl_b64 s[6:7], s[6:7], 2
	v_mov_b32_e32 v8, s7
	v_add_co_u32_e32 v4, vcc, s6, v4
	v_addc_co_u32_e32 v5, vcc, v5, v8, vcc
	v_add_co_u32_e32 v4, vcc, v4, v7
	v_addc_co_u32_e32 v5, vcc, 0, v5, vcc
	v_mov_b32_e32 v15, 0x400
	v_mov_b32_e32 v7, s19
	v_add_co_u32_e32 v4, vcc, s18, v4
	v_mov_b32_e32 v6, 0
	v_lshlrev_b32_e32 v14, 2, v0
	v_lshl_add_u32 v15, v1, 5, v15
	v_addc_co_u32_e32 v5, vcc, v7, v5, vcc
	s_mov_b64 s[12:13], 0
	v_mov_b32_e32 v7, 0
	v_mov_b32_e32 v8, 0
	;; [unrolled: 1-line block ×3, first 2 shown]
	s_branch .LBB995_3
.LBB995_2:                              ;   in Loop: Header=BB995_3 Depth=1
	s_or_b64 exec, exec, s[6:7]
	s_waitcnt vmcnt(0)
	ds_write_b32 v13, v16
	s_waitcnt lgkmcnt(0)
	s_barrier
	ds_read_b128 v[16:19], v15
	ds_read2_b32 v[20:21], v14 offset1:16
	ds_read2_b32 v[22:23], v14 offset0:32 offset1:48
	ds_read2_b32 v[24:25], v14 offset0:64 offset1:80
	;; [unrolled: 1-line block ×3, first 2 shown]
	s_add_u32 s12, s12, 8
	s_waitcnt lgkmcnt(3)
	v_fmac_f32_e32 v12, v20, v16
	v_fmac_f32_e32 v8, v21, v16
	s_waitcnt lgkmcnt(2)
	v_fmac_f32_e32 v12, v22, v17
	v_fmac_f32_e32 v8, v23, v17
	;; [unrolled: 3-line block ×4, first 2 shown]
	ds_read_b128 v[16:19], v15 offset:512
	v_add_co_u32_e32 v2, vcc, 32, v2
	s_addc_u32 s13, s13, 0
	v_addc_co_u32_e32 v3, vcc, 0, v3, vcc
	s_waitcnt lgkmcnt(0)
	v_fmac_f32_e32 v7, v20, v16
	v_fmac_f32_e32 v6, v21, v16
	;; [unrolled: 1-line block ×8, first 2 shown]
	ds_read_b128 v[16:19], v15 offset:16
	ds_read2_b32 v[20:21], v14 offset0:128 offset1:144
	ds_read2_b32 v[22:23], v14 offset0:160 offset1:176
	;; [unrolled: 1-line block ×4, first 2 shown]
	v_add_co_u32_e32 v4, vcc, 32, v4
	s_waitcnt lgkmcnt(3)
	v_fmac_f32_e32 v12, v20, v16
	v_fmac_f32_e32 v8, v21, v16
	s_waitcnt lgkmcnt(2)
	v_fmac_f32_e32 v12, v22, v17
	v_fmac_f32_e32 v8, v23, v17
	;; [unrolled: 3-line block ×4, first 2 shown]
	ds_read_b128 v[16:19], v15 offset:528
	v_addc_co_u32_e32 v5, vcc, 0, v5, vcc
	s_waitcnt lgkmcnt(0)
	s_barrier
	v_fmac_f32_e32 v7, v20, v16
	v_fmac_f32_e32 v6, v21, v16
	;; [unrolled: 1-line block ×4, first 2 shown]
	v_mov_b32_e32 v17, s11
	v_mov_b32_e32 v16, s10
	v_cmp_ge_i64_e64 s[6:7], s[12:13], v[16:17]
	v_fmac_f32_e32 v7, v24, v18
	v_fmac_f32_e32 v6, v25, v18
	;; [unrolled: 1-line block ×4, first 2 shown]
	s_and_b64 vcc, exec, s[6:7]
	s_cbranch_vccnz .LBB995_8
.LBB995_3:                              ; =>This Inner Loop Header: Depth=1
	v_mov_b32_e32 v17, s13
	v_add_co_u32_e32 v16, vcc, s12, v9
	v_addc_co_u32_e32 v17, vcc, 0, v17, vcc
	v_cmp_gt_i64_e32 vcc, s[10:11], v[16:17]
	v_mov_b32_e32 v16, 0
	s_and_b64 s[14:15], s[0:1], vcc
	s_and_saveexec_b64 s[6:7], s[14:15]
	s_cbranch_execz .LBB995_5
; %bb.4:                                ;   in Loop: Header=BB995_3 Depth=1
	global_load_dword v16, v[2:3], off
.LBB995_5:                              ;   in Loop: Header=BB995_3 Depth=1
	s_or_b64 exec, exec, s[6:7]
	v_mov_b32_e32 v18, s13
	v_add_co_u32_e32 v17, vcc, s12, v10
	v_addc_co_u32_e32 v18, vcc, 0, v18, vcc
	v_cmp_gt_i64_e32 vcc, s[10:11], v[17:18]
	s_waitcnt vmcnt(0)
	ds_write_b32 v11, v16
	s_and_b64 s[14:15], vcc, s[2:3]
	v_mov_b32_e32 v16, 0
	s_and_saveexec_b64 s[6:7], s[14:15]
	s_cbranch_execz .LBB995_2
; %bb.6:                                ;   in Loop: Header=BB995_3 Depth=1
	global_load_dword v16, v[4:5], off
	s_branch .LBB995_2
.LBB995_7:
	v_mov_b32_e32 v12, 0
	v_mov_b32_e32 v8, 0
	;; [unrolled: 1-line block ×4, first 2 shown]
.LBB995_8:
	s_load_dwordx2 s[10:11], s[4:5], 0x60
	s_load_dword s6, s[4:5], 0x10
	s_load_dword s7, s[4:5], 0x48
	s_load_dwordx4 s[0:3], s[4:5], 0x50
	v_add_u32_e32 v4, s25, v1
	s_waitcnt lgkmcnt(0)
	s_mul_i32 s4, s11, s8
	s_mul_hi_u32 s5, s10, s8
	v_ashrrev_i32_e32 v1, 31, v4
	s_add_i32 s5, s5, s4
	s_mul_i32 s4, s10, s8
	v_mul_lo_u32 v3, s2, v1
	v_mul_lo_u32 v5, s3, v4
	v_mad_u64_u32 v[1:2], s[10:11], s2, v4, 0
	s_lshl_b64 s[4:5], s[4:5], 2
	s_add_u32 s8, s0, s4
	v_add3_u32 v2, v2, v3, v5
	v_lshlrev_b64 v[1:2], 2, v[1:2]
	s_addc_u32 s10, s1, s5
	v_mov_b32_e32 v3, s10
	v_add_co_u32_e64 v5, s[0:1], s8, v1
	v_add_u32_e32 v0, s24, v0
	v_addc_co_u32_e64 v9, s[0:1], v3, v2, s[0:1]
	v_cmp_gt_i32_e32 vcc, s9, v4
	v_cmp_le_i32_e64 s[0:1], v0, v4
	s_and_b64 s[0:1], vcc, s[0:1]
	s_and_saveexec_b64 s[4:5], s[0:1]
	s_cbranch_execz .LBB995_10
; %bb.9:
	v_ashrrev_i32_e32 v1, 31, v0
	v_lshlrev_b64 v[1:2], 2, v[0:1]
	v_add_co_u32_e64 v1, s[0:1], v5, v1
	v_addc_co_u32_e64 v2, s[0:1], v9, v2, s[0:1]
	global_load_dword v3, v[1:2], off
	s_waitcnt vmcnt(0)
	v_mul_f32_e32 v3, s7, v3
	v_fmac_f32_e32 v3, s6, v12
	global_store_dword v[1:2], v3, off
.LBB995_10:
	s_or_b64 exec, exec, s[4:5]
	v_add_u32_e32 v2, 16, v0
	v_cmp_le_i32_e64 s[0:1], v2, v4
	s_and_b64 s[4:5], vcc, s[0:1]
	s_and_saveexec_b64 s[0:1], s[4:5]
	s_cbranch_execz .LBB995_12
; %bb.11:
	v_ashrrev_i32_e32 v3, 31, v2
	v_lshlrev_b64 v[10:11], 2, v[2:3]
	v_add_co_u32_e32 v10, vcc, v5, v10
	v_addc_co_u32_e32 v11, vcc, v9, v11, vcc
	global_load_dword v1, v[10:11], off
	s_waitcnt vmcnt(0)
	v_mul_f32_e32 v1, s7, v1
	v_fmac_f32_e32 v1, s6, v8
	global_store_dword v[10:11], v1, off
.LBB995_12:
	s_or_b64 exec, exec, s[0:1]
	v_add_u32_e32 v3, 16, v4
	v_ashrrev_i32_e32 v1, 31, v3
	v_mul_lo_u32 v1, s2, v1
	v_mul_lo_u32 v8, s3, v3
	v_mad_u64_u32 v[4:5], s[0:1], s2, v3, 0
	v_cmp_gt_i32_e32 vcc, s9, v3
	v_add3_u32 v5, v5, v1, v8
	v_lshlrev_b64 v[4:5], 2, v[4:5]
	v_mov_b32_e32 v1, s10
	v_add_co_u32_e64 v4, s[0:1], s8, v4
	v_addc_co_u32_e64 v5, s[0:1], v1, v5, s[0:1]
	v_cmp_le_i32_e64 s[0:1], v0, v3
	s_and_b64 s[0:1], vcc, s[0:1]
	s_and_saveexec_b64 s[2:3], s[0:1]
	s_cbranch_execz .LBB995_14
; %bb.13:
	v_ashrrev_i32_e32 v1, 31, v0
	v_lshlrev_b64 v[0:1], 2, v[0:1]
	v_add_co_u32_e64 v0, s[0:1], v4, v0
	v_addc_co_u32_e64 v1, s[0:1], v5, v1, s[0:1]
	global_load_dword v8, v[0:1], off
	s_waitcnt vmcnt(0)
	v_mul_f32_e32 v8, s7, v8
	v_fmac_f32_e32 v8, s6, v7
	global_store_dword v[0:1], v8, off
.LBB995_14:
	s_or_b64 exec, exec, s[2:3]
	v_cmp_le_i32_e64 s[0:1], v2, v3
	s_and_b64 s[0:1], vcc, s[0:1]
	s_and_saveexec_b64 s[2:3], s[0:1]
	s_cbranch_execz .LBB995_16
; %bb.15:
	v_ashrrev_i32_e32 v3, 31, v2
	v_lshlrev_b64 v[0:1], 2, v[2:3]
	v_add_co_u32_e32 v0, vcc, v4, v0
	v_addc_co_u32_e32 v1, vcc, v5, v1, vcc
	global_load_dword v2, v[0:1], off
	s_waitcnt vmcnt(0)
	v_mul_f32_e32 v2, s7, v2
	v_fmac_f32_e32 v2, s6, v6
	global_store_dword v[0:1], v2, off
.LBB995_16:
	s_endpgm
	.section	.rodata,"a",@progbits
	.p2align	6, 0x0
	.amdhsa_kernel _ZL34rocblas_syrkx_herkx_general_kernelIlfLi16ELi32ELi8ELb0ELb0ELc84ELc85EKffEviT_T0_PT8_S1_lS4_S1_lS2_PT9_S1_li
		.amdhsa_group_segment_fixed_size 2048
		.amdhsa_private_segment_fixed_size 0
		.amdhsa_kernarg_size 108
		.amdhsa_user_sgpr_count 6
		.amdhsa_user_sgpr_private_segment_buffer 1
		.amdhsa_user_sgpr_dispatch_ptr 0
		.amdhsa_user_sgpr_queue_ptr 0
		.amdhsa_user_sgpr_kernarg_segment_ptr 1
		.amdhsa_user_sgpr_dispatch_id 0
		.amdhsa_user_sgpr_flat_scratch_init 0
		.amdhsa_user_sgpr_private_segment_size 0
		.amdhsa_uses_dynamic_stack 0
		.amdhsa_system_sgpr_private_segment_wavefront_offset 0
		.amdhsa_system_sgpr_workgroup_id_x 1
		.amdhsa_system_sgpr_workgroup_id_y 1
		.amdhsa_system_sgpr_workgroup_id_z 1
		.amdhsa_system_sgpr_workgroup_info 0
		.amdhsa_system_vgpr_workitem_id 1
		.amdhsa_next_free_vgpr 28
		.amdhsa_next_free_sgpr 26
		.amdhsa_reserve_vcc 1
		.amdhsa_reserve_flat_scratch 0
		.amdhsa_float_round_mode_32 0
		.amdhsa_float_round_mode_16_64 0
		.amdhsa_float_denorm_mode_32 3
		.amdhsa_float_denorm_mode_16_64 3
		.amdhsa_dx10_clamp 1
		.amdhsa_ieee_mode 1
		.amdhsa_fp16_overflow 0
		.amdhsa_exception_fp_ieee_invalid_op 0
		.amdhsa_exception_fp_denorm_src 0
		.amdhsa_exception_fp_ieee_div_zero 0
		.amdhsa_exception_fp_ieee_overflow 0
		.amdhsa_exception_fp_ieee_underflow 0
		.amdhsa_exception_fp_ieee_inexact 0
		.amdhsa_exception_int_div_zero 0
	.end_amdhsa_kernel
	.section	.text._ZL34rocblas_syrkx_herkx_general_kernelIlfLi16ELi32ELi8ELb0ELb0ELc84ELc85EKffEviT_T0_PT8_S1_lS4_S1_lS2_PT9_S1_li,"axG",@progbits,_ZL34rocblas_syrkx_herkx_general_kernelIlfLi16ELi32ELi8ELb0ELb0ELc84ELc85EKffEviT_T0_PT8_S1_lS4_S1_lS2_PT9_S1_li,comdat
.Lfunc_end995:
	.size	_ZL34rocblas_syrkx_herkx_general_kernelIlfLi16ELi32ELi8ELb0ELb0ELc84ELc85EKffEviT_T0_PT8_S1_lS4_S1_lS2_PT9_S1_li, .Lfunc_end995-_ZL34rocblas_syrkx_herkx_general_kernelIlfLi16ELi32ELi8ELb0ELb0ELc84ELc85EKffEviT_T0_PT8_S1_lS4_S1_lS2_PT9_S1_li
                                        ; -- End function
	.set _ZL34rocblas_syrkx_herkx_general_kernelIlfLi16ELi32ELi8ELb0ELb0ELc84ELc85EKffEviT_T0_PT8_S1_lS4_S1_lS2_PT9_S1_li.num_vgpr, 28
	.set _ZL34rocblas_syrkx_herkx_general_kernelIlfLi16ELi32ELi8ELb0ELb0ELc84ELc85EKffEviT_T0_PT8_S1_lS4_S1_lS2_PT9_S1_li.num_agpr, 0
	.set _ZL34rocblas_syrkx_herkx_general_kernelIlfLi16ELi32ELi8ELb0ELb0ELc84ELc85EKffEviT_T0_PT8_S1_lS4_S1_lS2_PT9_S1_li.numbered_sgpr, 26
	.set _ZL34rocblas_syrkx_herkx_general_kernelIlfLi16ELi32ELi8ELb0ELb0ELc84ELc85EKffEviT_T0_PT8_S1_lS4_S1_lS2_PT9_S1_li.num_named_barrier, 0
	.set _ZL34rocblas_syrkx_herkx_general_kernelIlfLi16ELi32ELi8ELb0ELb0ELc84ELc85EKffEviT_T0_PT8_S1_lS4_S1_lS2_PT9_S1_li.private_seg_size, 0
	.set _ZL34rocblas_syrkx_herkx_general_kernelIlfLi16ELi32ELi8ELb0ELb0ELc84ELc85EKffEviT_T0_PT8_S1_lS4_S1_lS2_PT9_S1_li.uses_vcc, 1
	.set _ZL34rocblas_syrkx_herkx_general_kernelIlfLi16ELi32ELi8ELb0ELb0ELc84ELc85EKffEviT_T0_PT8_S1_lS4_S1_lS2_PT9_S1_li.uses_flat_scratch, 0
	.set _ZL34rocblas_syrkx_herkx_general_kernelIlfLi16ELi32ELi8ELb0ELb0ELc84ELc85EKffEviT_T0_PT8_S1_lS4_S1_lS2_PT9_S1_li.has_dyn_sized_stack, 0
	.set _ZL34rocblas_syrkx_herkx_general_kernelIlfLi16ELi32ELi8ELb0ELb0ELc84ELc85EKffEviT_T0_PT8_S1_lS4_S1_lS2_PT9_S1_li.has_recursion, 0
	.set _ZL34rocblas_syrkx_herkx_general_kernelIlfLi16ELi32ELi8ELb0ELb0ELc84ELc85EKffEviT_T0_PT8_S1_lS4_S1_lS2_PT9_S1_li.has_indirect_call, 0
	.section	.AMDGPU.csdata,"",@progbits
; Kernel info:
; codeLenInByte = 1364
; TotalNumSgprs: 30
; NumVgprs: 28
; ScratchSize: 0
; MemoryBound: 0
; FloatMode: 240
; IeeeMode: 1
; LDSByteSize: 2048 bytes/workgroup (compile time only)
; SGPRBlocks: 3
; VGPRBlocks: 6
; NumSGPRsForWavesPerEU: 30
; NumVGPRsForWavesPerEU: 28
; Occupancy: 9
; WaveLimiterHint : 0
; COMPUTE_PGM_RSRC2:SCRATCH_EN: 0
; COMPUTE_PGM_RSRC2:USER_SGPR: 6
; COMPUTE_PGM_RSRC2:TRAP_HANDLER: 0
; COMPUTE_PGM_RSRC2:TGID_X_EN: 1
; COMPUTE_PGM_RSRC2:TGID_Y_EN: 1
; COMPUTE_PGM_RSRC2:TGID_Z_EN: 1
; COMPUTE_PGM_RSRC2:TIDIG_COMP_CNT: 1
	.section	.text._ZL34rocblas_syrkx_herkx_general_kernelIlfLi16ELi32ELi8ELb0ELb0ELc67ELc85EKffEviT_T0_PT8_S1_lS4_S1_lS2_PT9_S1_li,"axG",@progbits,_ZL34rocblas_syrkx_herkx_general_kernelIlfLi16ELi32ELi8ELb0ELb0ELc67ELc85EKffEviT_T0_PT8_S1_lS4_S1_lS2_PT9_S1_li,comdat
	.globl	_ZL34rocblas_syrkx_herkx_general_kernelIlfLi16ELi32ELi8ELb0ELb0ELc67ELc85EKffEviT_T0_PT8_S1_lS4_S1_lS2_PT9_S1_li ; -- Begin function _ZL34rocblas_syrkx_herkx_general_kernelIlfLi16ELi32ELi8ELb0ELb0ELc67ELc85EKffEviT_T0_PT8_S1_lS4_S1_lS2_PT9_S1_li
	.p2align	8
	.type	_ZL34rocblas_syrkx_herkx_general_kernelIlfLi16ELi32ELi8ELb0ELb0ELc67ELc85EKffEviT_T0_PT8_S1_lS4_S1_lS2_PT9_S1_li,@function
_ZL34rocblas_syrkx_herkx_general_kernelIlfLi16ELi32ELi8ELb0ELb0ELc67ELc85EKffEviT_T0_PT8_S1_lS4_S1_lS2_PT9_S1_li: ; @_ZL34rocblas_syrkx_herkx_general_kernelIlfLi16ELi32ELi8ELb0ELb0ELc67ELc85EKffEviT_T0_PT8_S1_lS4_S1_lS2_PT9_S1_li
; %bb.0:
	s_load_dwordx2 s[10:11], s[4:5], 0x8
	s_load_dword s9, s[4:5], 0x0
	s_lshl_b32 s24, s6, 5
	s_lshl_b32 s25, s7, 5
	s_waitcnt lgkmcnt(0)
	v_cmp_lt_i64_e64 s[0:1], s[10:11], 1
	s_and_b64 vcc, exec, s[0:1]
	s_cbranch_vccnz .LBB996_7
; %bb.1:
	v_lshl_add_u32 v2, v1, 4, v0
	v_and_b32_e32 v5, 31, v2
	v_or_b32_e32 v7, s24, v5
	v_and_b32_e32 v10, 7, v0
	s_load_dwordx8 s[12:19], s[4:5], 0x18
	s_load_dwordx4 s[20:23], s[4:5], 0x38
	v_lshrrev_b32_e32 v3, 3, v2
	v_lshrrev_b32_e32 v9, 5, v2
	v_cmp_gt_i32_e64 s[0:1], s9, v7
	v_lshlrev_b32_e32 v2, 2, v5
	v_lshlrev_b32_e32 v7, 2, v10
	v_lshl_or_b32 v11, v9, 7, v2
	v_lshl_or_b32 v2, v3, 5, v7
	v_add_u32_e32 v13, 0x400, v2
	v_add_u32_e32 v2, s24, v5
	;; [unrolled: 1-line block ×3, first 2 shown]
	v_ashrrev_i32_e32 v3, 31, v2
	s_waitcnt lgkmcnt(0)
	v_mul_lo_u32 v5, s14, v3
	v_mul_lo_u32 v12, s15, v2
	v_mad_u64_u32 v[2:3], s[6:7], s14, v2, 0
	s_mul_i32 s6, s17, s8
	s_mul_hi_u32 s7, s16, s8
	v_add3_u32 v3, v3, v5, v12
	v_lshlrev_b64 v[2:3], 2, v[2:3]
	s_add_i32 s7, s7, s6
	s_mul_i32 s6, s16, s8
	s_lshl_b64 s[6:7], s[6:7], 2
	v_mov_b32_e32 v5, s7
	v_add_co_u32_e32 v2, vcc, s6, v2
	v_ashrrev_i32_e32 v8, 31, v4
	v_addc_co_u32_e32 v3, vcc, v3, v5, vcc
	v_lshlrev_b32_e32 v5, 2, v9
	v_cmp_gt_i32_e64 s[2:3], s9, v4
	v_add_co_u32_e32 v2, vcc, v2, v5
	v_mul_lo_u32 v8, s20, v8
	v_mul_lo_u32 v16, s21, v4
	v_mad_u64_u32 v[4:5], s[6:7], s20, v4, 0
	v_addc_co_u32_e32 v3, vcc, 0, v3, vcc
	v_add3_u32 v5, v5, v8, v16
	s_mul_i32 s6, s23, s8
	s_mul_hi_u32 s7, s22, s8
	v_mov_b32_e32 v12, s13
	v_add_co_u32_e32 v2, vcc, s12, v2
	v_lshlrev_b64 v[4:5], 2, v[4:5]
	s_add_i32 s7, s7, s6
	s_mul_i32 s6, s22, s8
	v_addc_co_u32_e32 v3, vcc, v12, v3, vcc
	s_lshl_b64 s[6:7], s[6:7], 2
	v_mov_b32_e32 v8, s7
	v_add_co_u32_e32 v4, vcc, s6, v4
	v_addc_co_u32_e32 v5, vcc, v5, v8, vcc
	v_add_co_u32_e32 v4, vcc, v4, v7
	v_addc_co_u32_e32 v5, vcc, 0, v5, vcc
	v_mov_b32_e32 v15, 0x400
	v_mov_b32_e32 v7, s19
	v_add_co_u32_e32 v4, vcc, s18, v4
	v_mov_b32_e32 v6, 0
	v_lshlrev_b32_e32 v14, 2, v0
	v_lshl_add_u32 v15, v1, 5, v15
	v_addc_co_u32_e32 v5, vcc, v7, v5, vcc
	s_mov_b64 s[12:13], 0
	v_mov_b32_e32 v7, 0
	v_mov_b32_e32 v8, 0
	;; [unrolled: 1-line block ×3, first 2 shown]
	s_branch .LBB996_3
.LBB996_2:                              ;   in Loop: Header=BB996_3 Depth=1
	s_or_b64 exec, exec, s[6:7]
	s_waitcnt vmcnt(0)
	ds_write_b32 v13, v16
	s_waitcnt lgkmcnt(0)
	s_barrier
	ds_read_b128 v[16:19], v15
	ds_read2_b32 v[20:21], v14 offset1:16
	ds_read2_b32 v[22:23], v14 offset0:32 offset1:48
	ds_read2_b32 v[24:25], v14 offset0:64 offset1:80
	;; [unrolled: 1-line block ×3, first 2 shown]
	s_add_u32 s12, s12, 8
	s_waitcnt lgkmcnt(3)
	v_fmac_f32_e32 v12, v20, v16
	v_fmac_f32_e32 v8, v21, v16
	s_waitcnt lgkmcnt(2)
	v_fmac_f32_e32 v12, v22, v17
	v_fmac_f32_e32 v8, v23, v17
	;; [unrolled: 3-line block ×4, first 2 shown]
	ds_read_b128 v[16:19], v15 offset:512
	v_add_co_u32_e32 v2, vcc, 32, v2
	s_addc_u32 s13, s13, 0
	v_addc_co_u32_e32 v3, vcc, 0, v3, vcc
	s_waitcnt lgkmcnt(0)
	v_fmac_f32_e32 v7, v20, v16
	v_fmac_f32_e32 v6, v21, v16
	;; [unrolled: 1-line block ×8, first 2 shown]
	ds_read_b128 v[16:19], v15 offset:16
	ds_read2_b32 v[20:21], v14 offset0:128 offset1:144
	ds_read2_b32 v[22:23], v14 offset0:160 offset1:176
	;; [unrolled: 1-line block ×4, first 2 shown]
	v_add_co_u32_e32 v4, vcc, 32, v4
	s_waitcnt lgkmcnt(3)
	v_fmac_f32_e32 v12, v20, v16
	v_fmac_f32_e32 v8, v21, v16
	s_waitcnt lgkmcnt(2)
	v_fmac_f32_e32 v12, v22, v17
	v_fmac_f32_e32 v8, v23, v17
	;; [unrolled: 3-line block ×4, first 2 shown]
	ds_read_b128 v[16:19], v15 offset:528
	v_addc_co_u32_e32 v5, vcc, 0, v5, vcc
	s_waitcnt lgkmcnt(0)
	s_barrier
	v_fmac_f32_e32 v7, v20, v16
	v_fmac_f32_e32 v6, v21, v16
	;; [unrolled: 1-line block ×4, first 2 shown]
	v_mov_b32_e32 v17, s11
	v_mov_b32_e32 v16, s10
	v_cmp_ge_i64_e64 s[6:7], s[12:13], v[16:17]
	v_fmac_f32_e32 v7, v24, v18
	v_fmac_f32_e32 v6, v25, v18
	;; [unrolled: 1-line block ×4, first 2 shown]
	s_and_b64 vcc, exec, s[6:7]
	s_cbranch_vccnz .LBB996_8
.LBB996_3:                              ; =>This Inner Loop Header: Depth=1
	v_mov_b32_e32 v17, s13
	v_add_co_u32_e32 v16, vcc, s12, v9
	v_addc_co_u32_e32 v17, vcc, 0, v17, vcc
	v_cmp_gt_i64_e32 vcc, s[10:11], v[16:17]
	v_mov_b32_e32 v16, 0
	s_and_b64 s[14:15], s[0:1], vcc
	s_and_saveexec_b64 s[6:7], s[14:15]
	s_cbranch_execz .LBB996_5
; %bb.4:                                ;   in Loop: Header=BB996_3 Depth=1
	global_load_dword v16, v[2:3], off
.LBB996_5:                              ;   in Loop: Header=BB996_3 Depth=1
	s_or_b64 exec, exec, s[6:7]
	v_mov_b32_e32 v18, s13
	v_add_co_u32_e32 v17, vcc, s12, v10
	v_addc_co_u32_e32 v18, vcc, 0, v18, vcc
	v_cmp_gt_i64_e32 vcc, s[10:11], v[17:18]
	s_waitcnt vmcnt(0)
	ds_write_b32 v11, v16
	s_and_b64 s[14:15], vcc, s[2:3]
	v_mov_b32_e32 v16, 0
	s_and_saveexec_b64 s[6:7], s[14:15]
	s_cbranch_execz .LBB996_2
; %bb.6:                                ;   in Loop: Header=BB996_3 Depth=1
	global_load_dword v16, v[4:5], off
	s_branch .LBB996_2
.LBB996_7:
	v_mov_b32_e32 v12, 0
	v_mov_b32_e32 v8, 0
	;; [unrolled: 1-line block ×4, first 2 shown]
.LBB996_8:
	s_load_dwordx2 s[10:11], s[4:5], 0x60
	s_load_dword s6, s[4:5], 0x10
	s_load_dword s7, s[4:5], 0x48
	s_load_dwordx4 s[0:3], s[4:5], 0x50
	v_add_u32_e32 v4, s25, v1
	s_waitcnt lgkmcnt(0)
	s_mul_i32 s4, s11, s8
	s_mul_hi_u32 s5, s10, s8
	v_ashrrev_i32_e32 v1, 31, v4
	s_add_i32 s5, s5, s4
	s_mul_i32 s4, s10, s8
	v_mul_lo_u32 v3, s2, v1
	v_mul_lo_u32 v5, s3, v4
	v_mad_u64_u32 v[1:2], s[10:11], s2, v4, 0
	s_lshl_b64 s[4:5], s[4:5], 2
	s_add_u32 s8, s0, s4
	v_add3_u32 v2, v2, v3, v5
	v_lshlrev_b64 v[1:2], 2, v[1:2]
	s_addc_u32 s10, s1, s5
	v_mov_b32_e32 v3, s10
	v_add_co_u32_e64 v5, s[0:1], s8, v1
	v_add_u32_e32 v0, s24, v0
	v_addc_co_u32_e64 v9, s[0:1], v3, v2, s[0:1]
	v_cmp_gt_i32_e32 vcc, s9, v4
	v_cmp_le_i32_e64 s[0:1], v0, v4
	s_and_b64 s[0:1], vcc, s[0:1]
	s_and_saveexec_b64 s[4:5], s[0:1]
	s_cbranch_execz .LBB996_10
; %bb.9:
	v_ashrrev_i32_e32 v1, 31, v0
	v_lshlrev_b64 v[1:2], 2, v[0:1]
	v_add_co_u32_e64 v1, s[0:1], v5, v1
	v_addc_co_u32_e64 v2, s[0:1], v9, v2, s[0:1]
	global_load_dword v3, v[1:2], off
	s_waitcnt vmcnt(0)
	v_mul_f32_e32 v3, s7, v3
	v_fmac_f32_e32 v3, s6, v12
	global_store_dword v[1:2], v3, off
.LBB996_10:
	s_or_b64 exec, exec, s[4:5]
	v_add_u32_e32 v2, 16, v0
	v_cmp_le_i32_e64 s[0:1], v2, v4
	s_and_b64 s[4:5], vcc, s[0:1]
	s_and_saveexec_b64 s[0:1], s[4:5]
	s_cbranch_execz .LBB996_12
; %bb.11:
	v_ashrrev_i32_e32 v3, 31, v2
	v_lshlrev_b64 v[10:11], 2, v[2:3]
	v_add_co_u32_e32 v10, vcc, v5, v10
	v_addc_co_u32_e32 v11, vcc, v9, v11, vcc
	global_load_dword v1, v[10:11], off
	s_waitcnt vmcnt(0)
	v_mul_f32_e32 v1, s7, v1
	v_fmac_f32_e32 v1, s6, v8
	global_store_dword v[10:11], v1, off
.LBB996_12:
	s_or_b64 exec, exec, s[0:1]
	v_add_u32_e32 v3, 16, v4
	v_ashrrev_i32_e32 v1, 31, v3
	v_mul_lo_u32 v1, s2, v1
	v_mul_lo_u32 v8, s3, v3
	v_mad_u64_u32 v[4:5], s[0:1], s2, v3, 0
	v_cmp_gt_i32_e32 vcc, s9, v3
	v_add3_u32 v5, v5, v1, v8
	v_lshlrev_b64 v[4:5], 2, v[4:5]
	v_mov_b32_e32 v1, s10
	v_add_co_u32_e64 v4, s[0:1], s8, v4
	v_addc_co_u32_e64 v5, s[0:1], v1, v5, s[0:1]
	v_cmp_le_i32_e64 s[0:1], v0, v3
	s_and_b64 s[0:1], vcc, s[0:1]
	s_and_saveexec_b64 s[2:3], s[0:1]
	s_cbranch_execz .LBB996_14
; %bb.13:
	v_ashrrev_i32_e32 v1, 31, v0
	v_lshlrev_b64 v[0:1], 2, v[0:1]
	v_add_co_u32_e64 v0, s[0:1], v4, v0
	v_addc_co_u32_e64 v1, s[0:1], v5, v1, s[0:1]
	global_load_dword v8, v[0:1], off
	s_waitcnt vmcnt(0)
	v_mul_f32_e32 v8, s7, v8
	v_fmac_f32_e32 v8, s6, v7
	global_store_dword v[0:1], v8, off
.LBB996_14:
	s_or_b64 exec, exec, s[2:3]
	v_cmp_le_i32_e64 s[0:1], v2, v3
	s_and_b64 s[0:1], vcc, s[0:1]
	s_and_saveexec_b64 s[2:3], s[0:1]
	s_cbranch_execz .LBB996_16
; %bb.15:
	v_ashrrev_i32_e32 v3, 31, v2
	v_lshlrev_b64 v[0:1], 2, v[2:3]
	v_add_co_u32_e32 v0, vcc, v4, v0
	v_addc_co_u32_e32 v1, vcc, v5, v1, vcc
	global_load_dword v2, v[0:1], off
	s_waitcnt vmcnt(0)
	v_mul_f32_e32 v2, s7, v2
	v_fmac_f32_e32 v2, s6, v6
	global_store_dword v[0:1], v2, off
.LBB996_16:
	s_endpgm
	.section	.rodata,"a",@progbits
	.p2align	6, 0x0
	.amdhsa_kernel _ZL34rocblas_syrkx_herkx_general_kernelIlfLi16ELi32ELi8ELb0ELb0ELc67ELc85EKffEviT_T0_PT8_S1_lS4_S1_lS2_PT9_S1_li
		.amdhsa_group_segment_fixed_size 2048
		.amdhsa_private_segment_fixed_size 0
		.amdhsa_kernarg_size 108
		.amdhsa_user_sgpr_count 6
		.amdhsa_user_sgpr_private_segment_buffer 1
		.amdhsa_user_sgpr_dispatch_ptr 0
		.amdhsa_user_sgpr_queue_ptr 0
		.amdhsa_user_sgpr_kernarg_segment_ptr 1
		.amdhsa_user_sgpr_dispatch_id 0
		.amdhsa_user_sgpr_flat_scratch_init 0
		.amdhsa_user_sgpr_private_segment_size 0
		.amdhsa_uses_dynamic_stack 0
		.amdhsa_system_sgpr_private_segment_wavefront_offset 0
		.amdhsa_system_sgpr_workgroup_id_x 1
		.amdhsa_system_sgpr_workgroup_id_y 1
		.amdhsa_system_sgpr_workgroup_id_z 1
		.amdhsa_system_sgpr_workgroup_info 0
		.amdhsa_system_vgpr_workitem_id 1
		.amdhsa_next_free_vgpr 28
		.amdhsa_next_free_sgpr 26
		.amdhsa_reserve_vcc 1
		.amdhsa_reserve_flat_scratch 0
		.amdhsa_float_round_mode_32 0
		.amdhsa_float_round_mode_16_64 0
		.amdhsa_float_denorm_mode_32 3
		.amdhsa_float_denorm_mode_16_64 3
		.amdhsa_dx10_clamp 1
		.amdhsa_ieee_mode 1
		.amdhsa_fp16_overflow 0
		.amdhsa_exception_fp_ieee_invalid_op 0
		.amdhsa_exception_fp_denorm_src 0
		.amdhsa_exception_fp_ieee_div_zero 0
		.amdhsa_exception_fp_ieee_overflow 0
		.amdhsa_exception_fp_ieee_underflow 0
		.amdhsa_exception_fp_ieee_inexact 0
		.amdhsa_exception_int_div_zero 0
	.end_amdhsa_kernel
	.section	.text._ZL34rocblas_syrkx_herkx_general_kernelIlfLi16ELi32ELi8ELb0ELb0ELc67ELc85EKffEviT_T0_PT8_S1_lS4_S1_lS2_PT9_S1_li,"axG",@progbits,_ZL34rocblas_syrkx_herkx_general_kernelIlfLi16ELi32ELi8ELb0ELb0ELc67ELc85EKffEviT_T0_PT8_S1_lS4_S1_lS2_PT9_S1_li,comdat
.Lfunc_end996:
	.size	_ZL34rocblas_syrkx_herkx_general_kernelIlfLi16ELi32ELi8ELb0ELb0ELc67ELc85EKffEviT_T0_PT8_S1_lS4_S1_lS2_PT9_S1_li, .Lfunc_end996-_ZL34rocblas_syrkx_herkx_general_kernelIlfLi16ELi32ELi8ELb0ELb0ELc67ELc85EKffEviT_T0_PT8_S1_lS4_S1_lS2_PT9_S1_li
                                        ; -- End function
	.set _ZL34rocblas_syrkx_herkx_general_kernelIlfLi16ELi32ELi8ELb0ELb0ELc67ELc85EKffEviT_T0_PT8_S1_lS4_S1_lS2_PT9_S1_li.num_vgpr, 28
	.set _ZL34rocblas_syrkx_herkx_general_kernelIlfLi16ELi32ELi8ELb0ELb0ELc67ELc85EKffEviT_T0_PT8_S1_lS4_S1_lS2_PT9_S1_li.num_agpr, 0
	.set _ZL34rocblas_syrkx_herkx_general_kernelIlfLi16ELi32ELi8ELb0ELb0ELc67ELc85EKffEviT_T0_PT8_S1_lS4_S1_lS2_PT9_S1_li.numbered_sgpr, 26
	.set _ZL34rocblas_syrkx_herkx_general_kernelIlfLi16ELi32ELi8ELb0ELb0ELc67ELc85EKffEviT_T0_PT8_S1_lS4_S1_lS2_PT9_S1_li.num_named_barrier, 0
	.set _ZL34rocblas_syrkx_herkx_general_kernelIlfLi16ELi32ELi8ELb0ELb0ELc67ELc85EKffEviT_T0_PT8_S1_lS4_S1_lS2_PT9_S1_li.private_seg_size, 0
	.set _ZL34rocblas_syrkx_herkx_general_kernelIlfLi16ELi32ELi8ELb0ELb0ELc67ELc85EKffEviT_T0_PT8_S1_lS4_S1_lS2_PT9_S1_li.uses_vcc, 1
	.set _ZL34rocblas_syrkx_herkx_general_kernelIlfLi16ELi32ELi8ELb0ELb0ELc67ELc85EKffEviT_T0_PT8_S1_lS4_S1_lS2_PT9_S1_li.uses_flat_scratch, 0
	.set _ZL34rocblas_syrkx_herkx_general_kernelIlfLi16ELi32ELi8ELb0ELb0ELc67ELc85EKffEviT_T0_PT8_S1_lS4_S1_lS2_PT9_S1_li.has_dyn_sized_stack, 0
	.set _ZL34rocblas_syrkx_herkx_general_kernelIlfLi16ELi32ELi8ELb0ELb0ELc67ELc85EKffEviT_T0_PT8_S1_lS4_S1_lS2_PT9_S1_li.has_recursion, 0
	.set _ZL34rocblas_syrkx_herkx_general_kernelIlfLi16ELi32ELi8ELb0ELb0ELc67ELc85EKffEviT_T0_PT8_S1_lS4_S1_lS2_PT9_S1_li.has_indirect_call, 0
	.section	.AMDGPU.csdata,"",@progbits
; Kernel info:
; codeLenInByte = 1364
; TotalNumSgprs: 30
; NumVgprs: 28
; ScratchSize: 0
; MemoryBound: 0
; FloatMode: 240
; IeeeMode: 1
; LDSByteSize: 2048 bytes/workgroup (compile time only)
; SGPRBlocks: 3
; VGPRBlocks: 6
; NumSGPRsForWavesPerEU: 30
; NumVGPRsForWavesPerEU: 28
; Occupancy: 9
; WaveLimiterHint : 0
; COMPUTE_PGM_RSRC2:SCRATCH_EN: 0
; COMPUTE_PGM_RSRC2:USER_SGPR: 6
; COMPUTE_PGM_RSRC2:TRAP_HANDLER: 0
; COMPUTE_PGM_RSRC2:TGID_X_EN: 1
; COMPUTE_PGM_RSRC2:TGID_Y_EN: 1
; COMPUTE_PGM_RSRC2:TGID_Z_EN: 1
; COMPUTE_PGM_RSRC2:TIDIG_COMP_CNT: 1
	.section	.text._ZL34rocblas_syrkx_herkx_general_kernelIlfLi16ELi32ELi8ELb0ELb0ELc78ELc85EKffEviT_T0_PT8_S1_lS4_S1_lS2_PT9_S1_li,"axG",@progbits,_ZL34rocblas_syrkx_herkx_general_kernelIlfLi16ELi32ELi8ELb0ELb0ELc78ELc85EKffEviT_T0_PT8_S1_lS4_S1_lS2_PT9_S1_li,comdat
	.globl	_ZL34rocblas_syrkx_herkx_general_kernelIlfLi16ELi32ELi8ELb0ELb0ELc78ELc85EKffEviT_T0_PT8_S1_lS4_S1_lS2_PT9_S1_li ; -- Begin function _ZL34rocblas_syrkx_herkx_general_kernelIlfLi16ELi32ELi8ELb0ELb0ELc78ELc85EKffEviT_T0_PT8_S1_lS4_S1_lS2_PT9_S1_li
	.p2align	8
	.type	_ZL34rocblas_syrkx_herkx_general_kernelIlfLi16ELi32ELi8ELb0ELb0ELc78ELc85EKffEviT_T0_PT8_S1_lS4_S1_lS2_PT9_S1_li,@function
_ZL34rocblas_syrkx_herkx_general_kernelIlfLi16ELi32ELi8ELb0ELb0ELc78ELc85EKffEviT_T0_PT8_S1_lS4_S1_lS2_PT9_S1_li: ; @_ZL34rocblas_syrkx_herkx_general_kernelIlfLi16ELi32ELi8ELb0ELb0ELc78ELc85EKffEviT_T0_PT8_S1_lS4_S1_lS2_PT9_S1_li
; %bb.0:
	s_load_dwordx2 s[10:11], s[4:5], 0x8
	s_load_dword s9, s[4:5], 0x0
	s_lshl_b32 s24, s6, 5
	s_lshl_b32 s25, s7, 5
	s_waitcnt lgkmcnt(0)
	v_cmp_lt_i64_e64 s[0:1], s[10:11], 1
	s_and_b64 vcc, exec, s[0:1]
	s_cbranch_vccnz .LBB997_7
; %bb.1:
	s_load_dwordx8 s[12:19], s[4:5], 0x18
	s_load_dwordx4 s[20:23], s[4:5], 0x38
	v_lshl_add_u32 v2, v1, 4, v0
	v_and_b32_e32 v13, 31, v2
	v_lshrrev_b32_e32 v5, 3, v2
	v_or_b32_e32 v3, s24, v13
	v_lshrrev_b32_e32 v9, 5, v2
	v_lshlrev_b32_e32 v2, 2, v13
	v_cmp_gt_i32_e64 s[0:1], s9, v3
	v_lshl_or_b32 v11, v9, 7, v2
	s_waitcnt lgkmcnt(0)
	v_mad_u64_u32 v[2:3], s[6:7], s14, v9, 0
	v_and_b32_e32 v10, 7, v0
	v_add_u32_e32 v4, s25, v5
	v_lshlrev_b32_e32 v7, 2, v10
	v_lshl_or_b32 v5, v5, 5, v7
	v_mad_u64_u32 v[7:8], s[6:7], s15, v9, v[3:4]
	v_mov_b32_e32 v3, 0x400
	v_lshl_add_u32 v15, v1, 5, v3
	v_mov_b32_e32 v3, v7
	s_mul_i32 s6, s17, s8
	s_mul_hi_u32 s7, s16, s8
	v_lshlrev_b64 v[2:3], 2, v[2:3]
	s_add_i32 s7, s7, s6
	s_mul_i32 s6, s16, s8
	s_lshl_b64 s[6:7], s[6:7], 2
	v_mov_b32_e32 v7, s7
	v_add_co_u32_e32 v8, vcc, s6, v2
	v_add_u32_e32 v2, s24, v13
	v_addc_co_u32_e32 v7, vcc, v3, v7, vcc
	v_ashrrev_i32_e32 v3, 31, v2
	v_lshlrev_b64 v[2:3], 2, v[2:3]
	v_add_u32_e32 v12, 0x400, v5
	v_add_co_u32_e32 v2, vcc, v8, v2
	v_addc_co_u32_e32 v3, vcc, v7, v3, vcc
	v_mov_b32_e32 v7, s13
	v_add_co_u32_e32 v2, vcc, s12, v2
	v_addc_co_u32_e32 v3, vcc, v7, v3, vcc
	v_mad_u64_u32 v[7:8], s[6:7], s20, v10, 0
	s_lshl_b64 s[12:13], s[14:15], 5
	s_mul_i32 s14, s23, s8
	v_mad_u64_u32 v[16:17], s[6:7], s21, v10, v[8:9]
	s_mul_hi_u32 s15, s22, s8
	s_add_i32 s7, s15, s14
	v_mov_b32_e32 v8, v16
	s_mul_i32 s6, s22, s8
	v_lshlrev_b64 v[7:8], 2, v[7:8]
	v_ashrrev_i32_e32 v5, 31, v4
	s_lshl_b64 s[6:7], s[6:7], 2
	v_cmp_gt_i32_e64 s[2:3], s9, v4
	v_mov_b32_e32 v13, s7
	v_add_co_u32_e32 v7, vcc, s6, v7
	v_lshlrev_b64 v[4:5], 2, v[4:5]
	v_addc_co_u32_e32 v8, vcc, v13, v8, vcc
	v_add_co_u32_e32 v4, vcc, v7, v4
	v_addc_co_u32_e32 v5, vcc, v8, v5, vcc
	v_mov_b32_e32 v7, s19
	v_add_co_u32_e32 v4, vcc, s18, v4
	v_mov_b32_e32 v6, 0
	v_lshlrev_b32_e32 v14, 2, v0
	v_addc_co_u32_e32 v5, vcc, v7, v5, vcc
	s_lshl_b64 s[14:15], s[20:21], 5
	s_mov_b64 s[16:17], 0
	v_mov_b32_e32 v7, 0
	v_mov_b32_e32 v8, 0
	;; [unrolled: 1-line block ×3, first 2 shown]
	s_branch .LBB997_3
.LBB997_2:                              ;   in Loop: Header=BB997_3 Depth=1
	s_or_b64 exec, exec, s[6:7]
	s_waitcnt vmcnt(0)
	ds_write_b32 v12, v16
	s_waitcnt lgkmcnt(0)
	s_barrier
	ds_read_b128 v[16:19], v15
	ds_read2_b32 v[20:21], v14 offset1:16
	ds_read2_b32 v[22:23], v14 offset0:32 offset1:48
	ds_read2_b32 v[24:25], v14 offset0:64 offset1:80
	ds_read2_b32 v[26:27], v14 offset0:96 offset1:112
	v_add_co_u32_e32 v2, vcc, s12, v2
	s_waitcnt lgkmcnt(3)
	v_fmac_f32_e32 v13, v20, v16
	v_fmac_f32_e32 v8, v21, v16
	s_waitcnt lgkmcnt(2)
	v_fmac_f32_e32 v13, v22, v17
	v_fmac_f32_e32 v8, v23, v17
	;; [unrolled: 3-line block ×4, first 2 shown]
	ds_read_b128 v[16:19], v15 offset:512
	s_add_u32 s16, s16, 8
	s_addc_u32 s17, s17, 0
	s_waitcnt lgkmcnt(0)
	v_fmac_f32_e32 v7, v20, v16
	v_fmac_f32_e32 v6, v21, v16
	;; [unrolled: 1-line block ×8, first 2 shown]
	ds_read_b128 v[16:19], v15 offset:16
	ds_read2_b32 v[20:21], v14 offset0:128 offset1:144
	ds_read2_b32 v[22:23], v14 offset0:160 offset1:176
	;; [unrolled: 1-line block ×4, first 2 shown]
	s_waitcnt lgkmcnt(3)
	v_fmac_f32_e32 v13, v20, v16
	v_fmac_f32_e32 v8, v21, v16
	s_waitcnt lgkmcnt(2)
	v_fmac_f32_e32 v13, v22, v17
	v_fmac_f32_e32 v8, v23, v17
	;; [unrolled: 3-line block ×4, first 2 shown]
	ds_read_b128 v[16:19], v15 offset:528
	s_waitcnt lgkmcnt(0)
	s_barrier
	v_fmac_f32_e32 v7, v20, v16
	v_fmac_f32_e32 v6, v21, v16
	v_mov_b32_e32 v16, s13
	v_fmac_f32_e32 v7, v22, v17
	v_fmac_f32_e32 v6, v23, v17
	v_addc_co_u32_e32 v3, vcc, v3, v16, vcc
	v_mov_b32_e32 v17, s11
	v_mov_b32_e32 v16, s10
	v_fmac_f32_e32 v7, v24, v18
	v_fmac_f32_e32 v6, v25, v18
	v_add_co_u32_e32 v4, vcc, s14, v4
	v_mov_b32_e32 v18, s15
	v_cmp_ge_i64_e64 s[6:7], s[16:17], v[16:17]
	v_addc_co_u32_e32 v5, vcc, v5, v18, vcc
	v_fmac_f32_e32 v7, v26, v19
	v_fmac_f32_e32 v6, v27, v19
	s_and_b64 vcc, exec, s[6:7]
	s_cbranch_vccnz .LBB997_8
.LBB997_3:                              ; =>This Inner Loop Header: Depth=1
	v_mov_b32_e32 v17, s17
	v_add_co_u32_e32 v16, vcc, s16, v9
	v_addc_co_u32_e32 v17, vcc, 0, v17, vcc
	v_cmp_gt_i64_e32 vcc, s[10:11], v[16:17]
	v_mov_b32_e32 v16, 0
	s_and_b64 s[18:19], s[0:1], vcc
	s_and_saveexec_b64 s[6:7], s[18:19]
	s_cbranch_execz .LBB997_5
; %bb.4:                                ;   in Loop: Header=BB997_3 Depth=1
	global_load_dword v16, v[2:3], off
.LBB997_5:                              ;   in Loop: Header=BB997_3 Depth=1
	s_or_b64 exec, exec, s[6:7]
	v_mov_b32_e32 v18, s17
	v_add_co_u32_e32 v17, vcc, s16, v10
	v_addc_co_u32_e32 v18, vcc, 0, v18, vcc
	v_cmp_gt_i64_e32 vcc, s[10:11], v[17:18]
	s_waitcnt vmcnt(0)
	ds_write_b32 v11, v16
	s_and_b64 s[18:19], vcc, s[2:3]
	v_mov_b32_e32 v16, 0
	s_and_saveexec_b64 s[6:7], s[18:19]
	s_cbranch_execz .LBB997_2
; %bb.6:                                ;   in Loop: Header=BB997_3 Depth=1
	global_load_dword v16, v[4:5], off
	s_branch .LBB997_2
.LBB997_7:
	v_mov_b32_e32 v13, 0
	v_mov_b32_e32 v8, 0
	;; [unrolled: 1-line block ×4, first 2 shown]
.LBB997_8:
	s_load_dwordx2 s[10:11], s[4:5], 0x60
	s_load_dword s6, s[4:5], 0x10
	s_load_dword s7, s[4:5], 0x48
	s_load_dwordx4 s[0:3], s[4:5], 0x50
	v_add_u32_e32 v4, s25, v1
	s_waitcnt lgkmcnt(0)
	s_mul_i32 s4, s11, s8
	s_mul_hi_u32 s5, s10, s8
	v_ashrrev_i32_e32 v1, 31, v4
	s_add_i32 s5, s5, s4
	s_mul_i32 s4, s10, s8
	v_mul_lo_u32 v3, s2, v1
	v_mul_lo_u32 v5, s3, v4
	v_mad_u64_u32 v[1:2], s[10:11], s2, v4, 0
	s_lshl_b64 s[4:5], s[4:5], 2
	s_add_u32 s8, s0, s4
	v_add3_u32 v2, v2, v3, v5
	v_lshlrev_b64 v[1:2], 2, v[1:2]
	s_addc_u32 s10, s1, s5
	v_mov_b32_e32 v3, s10
	v_add_co_u32_e64 v5, s[0:1], s8, v1
	v_add_u32_e32 v0, s24, v0
	v_addc_co_u32_e64 v9, s[0:1], v3, v2, s[0:1]
	v_cmp_gt_i32_e32 vcc, s9, v4
	v_cmp_le_i32_e64 s[0:1], v0, v4
	s_and_b64 s[0:1], vcc, s[0:1]
	s_and_saveexec_b64 s[4:5], s[0:1]
	s_cbranch_execz .LBB997_10
; %bb.9:
	v_ashrrev_i32_e32 v1, 31, v0
	v_lshlrev_b64 v[1:2], 2, v[0:1]
	v_add_co_u32_e64 v1, s[0:1], v5, v1
	v_addc_co_u32_e64 v2, s[0:1], v9, v2, s[0:1]
	global_load_dword v3, v[1:2], off
	s_waitcnt vmcnt(0)
	v_mul_f32_e32 v3, s7, v3
	v_fmac_f32_e32 v3, s6, v13
	global_store_dword v[1:2], v3, off
.LBB997_10:
	s_or_b64 exec, exec, s[4:5]
	v_add_u32_e32 v2, 16, v0
	v_cmp_le_i32_e64 s[0:1], v2, v4
	s_and_b64 s[4:5], vcc, s[0:1]
	s_and_saveexec_b64 s[0:1], s[4:5]
	s_cbranch_execz .LBB997_12
; %bb.11:
	v_ashrrev_i32_e32 v3, 31, v2
	v_lshlrev_b64 v[10:11], 2, v[2:3]
	v_add_co_u32_e32 v10, vcc, v5, v10
	v_addc_co_u32_e32 v11, vcc, v9, v11, vcc
	global_load_dword v1, v[10:11], off
	s_waitcnt vmcnt(0)
	v_mul_f32_e32 v1, s7, v1
	v_fmac_f32_e32 v1, s6, v8
	global_store_dword v[10:11], v1, off
.LBB997_12:
	s_or_b64 exec, exec, s[0:1]
	v_add_u32_e32 v3, 16, v4
	v_ashrrev_i32_e32 v1, 31, v3
	v_mul_lo_u32 v1, s2, v1
	v_mul_lo_u32 v8, s3, v3
	v_mad_u64_u32 v[4:5], s[0:1], s2, v3, 0
	v_cmp_gt_i32_e32 vcc, s9, v3
	v_add3_u32 v5, v5, v1, v8
	v_lshlrev_b64 v[4:5], 2, v[4:5]
	v_mov_b32_e32 v1, s10
	v_add_co_u32_e64 v4, s[0:1], s8, v4
	v_addc_co_u32_e64 v5, s[0:1], v1, v5, s[0:1]
	v_cmp_le_i32_e64 s[0:1], v0, v3
	s_and_b64 s[0:1], vcc, s[0:1]
	s_and_saveexec_b64 s[2:3], s[0:1]
	s_cbranch_execz .LBB997_14
; %bb.13:
	v_ashrrev_i32_e32 v1, 31, v0
	v_lshlrev_b64 v[0:1], 2, v[0:1]
	v_add_co_u32_e64 v0, s[0:1], v4, v0
	v_addc_co_u32_e64 v1, s[0:1], v5, v1, s[0:1]
	global_load_dword v8, v[0:1], off
	s_waitcnt vmcnt(0)
	v_mul_f32_e32 v8, s7, v8
	v_fmac_f32_e32 v8, s6, v7
	global_store_dword v[0:1], v8, off
.LBB997_14:
	s_or_b64 exec, exec, s[2:3]
	v_cmp_le_i32_e64 s[0:1], v2, v3
	s_and_b64 s[0:1], vcc, s[0:1]
	s_and_saveexec_b64 s[2:3], s[0:1]
	s_cbranch_execz .LBB997_16
; %bb.15:
	v_ashrrev_i32_e32 v3, 31, v2
	v_lshlrev_b64 v[0:1], 2, v[2:3]
	v_add_co_u32_e32 v0, vcc, v4, v0
	v_addc_co_u32_e32 v1, vcc, v5, v1, vcc
	global_load_dword v2, v[0:1], off
	s_waitcnt vmcnt(0)
	v_mul_f32_e32 v2, s7, v2
	v_fmac_f32_e32 v2, s6, v6
	global_store_dword v[0:1], v2, off
.LBB997_16:
	s_endpgm
	.section	.rodata,"a",@progbits
	.p2align	6, 0x0
	.amdhsa_kernel _ZL34rocblas_syrkx_herkx_general_kernelIlfLi16ELi32ELi8ELb0ELb0ELc78ELc85EKffEviT_T0_PT8_S1_lS4_S1_lS2_PT9_S1_li
		.amdhsa_group_segment_fixed_size 2048
		.amdhsa_private_segment_fixed_size 0
		.amdhsa_kernarg_size 108
		.amdhsa_user_sgpr_count 6
		.amdhsa_user_sgpr_private_segment_buffer 1
		.amdhsa_user_sgpr_dispatch_ptr 0
		.amdhsa_user_sgpr_queue_ptr 0
		.amdhsa_user_sgpr_kernarg_segment_ptr 1
		.amdhsa_user_sgpr_dispatch_id 0
		.amdhsa_user_sgpr_flat_scratch_init 0
		.amdhsa_user_sgpr_private_segment_size 0
		.amdhsa_uses_dynamic_stack 0
		.amdhsa_system_sgpr_private_segment_wavefront_offset 0
		.amdhsa_system_sgpr_workgroup_id_x 1
		.amdhsa_system_sgpr_workgroup_id_y 1
		.amdhsa_system_sgpr_workgroup_id_z 1
		.amdhsa_system_sgpr_workgroup_info 0
		.amdhsa_system_vgpr_workitem_id 1
		.amdhsa_next_free_vgpr 28
		.amdhsa_next_free_sgpr 26
		.amdhsa_reserve_vcc 1
		.amdhsa_reserve_flat_scratch 0
		.amdhsa_float_round_mode_32 0
		.amdhsa_float_round_mode_16_64 0
		.amdhsa_float_denorm_mode_32 3
		.amdhsa_float_denorm_mode_16_64 3
		.amdhsa_dx10_clamp 1
		.amdhsa_ieee_mode 1
		.amdhsa_fp16_overflow 0
		.amdhsa_exception_fp_ieee_invalid_op 0
		.amdhsa_exception_fp_denorm_src 0
		.amdhsa_exception_fp_ieee_div_zero 0
		.amdhsa_exception_fp_ieee_overflow 0
		.amdhsa_exception_fp_ieee_underflow 0
		.amdhsa_exception_fp_ieee_inexact 0
		.amdhsa_exception_int_div_zero 0
	.end_amdhsa_kernel
	.section	.text._ZL34rocblas_syrkx_herkx_general_kernelIlfLi16ELi32ELi8ELb0ELb0ELc78ELc85EKffEviT_T0_PT8_S1_lS4_S1_lS2_PT9_S1_li,"axG",@progbits,_ZL34rocblas_syrkx_herkx_general_kernelIlfLi16ELi32ELi8ELb0ELb0ELc78ELc85EKffEviT_T0_PT8_S1_lS4_S1_lS2_PT9_S1_li,comdat
.Lfunc_end997:
	.size	_ZL34rocblas_syrkx_herkx_general_kernelIlfLi16ELi32ELi8ELb0ELb0ELc78ELc85EKffEviT_T0_PT8_S1_lS4_S1_lS2_PT9_S1_li, .Lfunc_end997-_ZL34rocblas_syrkx_herkx_general_kernelIlfLi16ELi32ELi8ELb0ELb0ELc78ELc85EKffEviT_T0_PT8_S1_lS4_S1_lS2_PT9_S1_li
                                        ; -- End function
	.set _ZL34rocblas_syrkx_herkx_general_kernelIlfLi16ELi32ELi8ELb0ELb0ELc78ELc85EKffEviT_T0_PT8_S1_lS4_S1_lS2_PT9_S1_li.num_vgpr, 28
	.set _ZL34rocblas_syrkx_herkx_general_kernelIlfLi16ELi32ELi8ELb0ELb0ELc78ELc85EKffEviT_T0_PT8_S1_lS4_S1_lS2_PT9_S1_li.num_agpr, 0
	.set _ZL34rocblas_syrkx_herkx_general_kernelIlfLi16ELi32ELi8ELb0ELb0ELc78ELc85EKffEviT_T0_PT8_S1_lS4_S1_lS2_PT9_S1_li.numbered_sgpr, 26
	.set _ZL34rocblas_syrkx_herkx_general_kernelIlfLi16ELi32ELi8ELb0ELb0ELc78ELc85EKffEviT_T0_PT8_S1_lS4_S1_lS2_PT9_S1_li.num_named_barrier, 0
	.set _ZL34rocblas_syrkx_herkx_general_kernelIlfLi16ELi32ELi8ELb0ELb0ELc78ELc85EKffEviT_T0_PT8_S1_lS4_S1_lS2_PT9_S1_li.private_seg_size, 0
	.set _ZL34rocblas_syrkx_herkx_general_kernelIlfLi16ELi32ELi8ELb0ELb0ELc78ELc85EKffEviT_T0_PT8_S1_lS4_S1_lS2_PT9_S1_li.uses_vcc, 1
	.set _ZL34rocblas_syrkx_herkx_general_kernelIlfLi16ELi32ELi8ELb0ELb0ELc78ELc85EKffEviT_T0_PT8_S1_lS4_S1_lS2_PT9_S1_li.uses_flat_scratch, 0
	.set _ZL34rocblas_syrkx_herkx_general_kernelIlfLi16ELi32ELi8ELb0ELb0ELc78ELc85EKffEviT_T0_PT8_S1_lS4_S1_lS2_PT9_S1_li.has_dyn_sized_stack, 0
	.set _ZL34rocblas_syrkx_herkx_general_kernelIlfLi16ELi32ELi8ELb0ELb0ELc78ELc85EKffEviT_T0_PT8_S1_lS4_S1_lS2_PT9_S1_li.has_recursion, 0
	.set _ZL34rocblas_syrkx_herkx_general_kernelIlfLi16ELi32ELi8ELb0ELb0ELc78ELc85EKffEviT_T0_PT8_S1_lS4_S1_lS2_PT9_S1_li.has_indirect_call, 0
	.section	.AMDGPU.csdata,"",@progbits
; Kernel info:
; codeLenInByte = 1368
; TotalNumSgprs: 30
; NumVgprs: 28
; ScratchSize: 0
; MemoryBound: 0
; FloatMode: 240
; IeeeMode: 1
; LDSByteSize: 2048 bytes/workgroup (compile time only)
; SGPRBlocks: 3
; VGPRBlocks: 6
; NumSGPRsForWavesPerEU: 30
; NumVGPRsForWavesPerEU: 28
; Occupancy: 9
; WaveLimiterHint : 0
; COMPUTE_PGM_RSRC2:SCRATCH_EN: 0
; COMPUTE_PGM_RSRC2:USER_SGPR: 6
; COMPUTE_PGM_RSRC2:TRAP_HANDLER: 0
; COMPUTE_PGM_RSRC2:TGID_X_EN: 1
; COMPUTE_PGM_RSRC2:TGID_Y_EN: 1
; COMPUTE_PGM_RSRC2:TGID_Z_EN: 1
; COMPUTE_PGM_RSRC2:TIDIG_COMP_CNT: 1
	.section	.text._ZL26rocblas_syr2k_scale_kernelIlLi128ELi8ELb0EffPfEvbiT_T3_T4_T5_S1_li,"axG",@progbits,_ZL26rocblas_syr2k_scale_kernelIlLi128ELi8ELb0EffPfEvbiT_T3_T4_T5_S1_li,comdat
	.globl	_ZL26rocblas_syr2k_scale_kernelIlLi128ELi8ELb0EffPfEvbiT_T3_T4_T5_S1_li ; -- Begin function _ZL26rocblas_syr2k_scale_kernelIlLi128ELi8ELb0EffPfEvbiT_T3_T4_T5_S1_li
	.p2align	8
	.type	_ZL26rocblas_syr2k_scale_kernelIlLi128ELi8ELb0EffPfEvbiT_T3_T4_T5_S1_li,@function
_ZL26rocblas_syr2k_scale_kernelIlLi128ELi8ELb0EffPfEvbiT_T3_T4_T5_S1_li: ; @_ZL26rocblas_syr2k_scale_kernelIlLi128ELi8ELb0EffPfEvbiT_T3_T4_T5_S1_li
; %bb.0:
	s_load_dword s2, s[4:5], 0x14
	s_waitcnt lgkmcnt(0)
	v_cmp_eq_f32_e64 s[0:1], s2, 1.0
	s_and_b64 vcc, exec, s[0:1]
	s_cbranch_vccnz .LBB998_5
; %bb.1:
	s_load_dwordx2 s[0:1], s[4:5], 0x0
	s_load_dword s3, s[4:5], 0x44
	s_waitcnt lgkmcnt(0)
	s_bitcmp1_b32 s0, 0
	s_cselect_b64 vcc, -1, 0
	s_lshr_b32 s0, s3, 16
	s_and_b32 s3, s3, 0xffff
	s_mul_i32 s6, s6, s3
	s_mul_i32 s7, s7, s0
	v_add_u32_e32 v0, s6, v0
	v_add_u32_e32 v1, s7, v1
	v_cndmask_b32_e32 v2, v1, v0, vcc
	v_cndmask_b32_e32 v3, v0, v1, vcc
	v_max_u32_e32 v4, v0, v1
	v_cmp_gt_u32_e32 vcc, s1, v4
	v_cmp_le_i32_e64 s[0:1], v2, v3
	s_and_b64 s[0:1], vcc, s[0:1]
	s_and_saveexec_b64 s[6:7], s[0:1]
	s_cbranch_execz .LBB998_5
; %bb.2:
	s_load_dwordx2 s[0:1], s[4:5], 0x28
	s_load_dwordx4 s[12:15], s[4:5], 0x18
	s_waitcnt lgkmcnt(0)
	s_mul_i32 s1, s1, s8
	v_mad_u64_u32 v[2:3], s[4:5], s14, v1, 0
	s_mul_hi_u32 s3, s0, s8
	s_mul_i32 s0, s0, s8
	v_mad_u64_u32 v[3:4], s[4:5], s15, v1, v[3:4]
	s_add_i32 s1, s3, s1
	s_lshl_b64 s[0:1], s[0:1], 2
	s_add_u32 s0, s12, s0
	v_lshlrev_b64 v[2:3], 2, v[2:3]
	s_addc_u32 s1, s13, s1
	v_mov_b32_e32 v1, 0
	v_mov_b32_e32 v4, s1
	v_add_co_u32_e32 v5, vcc, s0, v2
	v_addc_co_u32_e32 v4, vcc, v4, v3, vcc
	v_lshlrev_b64 v[2:3], 2, v[0:1]
	v_cmp_eq_f32_e64 s[0:1], s2, 0
	v_add_co_u32_e32 v2, vcc, v5, v2
	v_addc_co_u32_e32 v3, vcc, v4, v3, vcc
	s_and_b64 vcc, exec, s[0:1]
	s_cbranch_vccnz .LBB998_4
; %bb.3:
	global_load_dword v0, v[2:3], off
	s_waitcnt vmcnt(0)
	v_mul_f32_e32 v1, s2, v0
.LBB998_4:
	global_store_dword v[2:3], v1, off
.LBB998_5:
	s_endpgm
	.section	.rodata,"a",@progbits
	.p2align	6, 0x0
	.amdhsa_kernel _ZL26rocblas_syr2k_scale_kernelIlLi128ELi8ELb0EffPfEvbiT_T3_T4_T5_S1_li
		.amdhsa_group_segment_fixed_size 0
		.amdhsa_private_segment_fixed_size 0
		.amdhsa_kernarg_size 312
		.amdhsa_user_sgpr_count 6
		.amdhsa_user_sgpr_private_segment_buffer 1
		.amdhsa_user_sgpr_dispatch_ptr 0
		.amdhsa_user_sgpr_queue_ptr 0
		.amdhsa_user_sgpr_kernarg_segment_ptr 1
		.amdhsa_user_sgpr_dispatch_id 0
		.amdhsa_user_sgpr_flat_scratch_init 0
		.amdhsa_user_sgpr_private_segment_size 0
		.amdhsa_uses_dynamic_stack 0
		.amdhsa_system_sgpr_private_segment_wavefront_offset 0
		.amdhsa_system_sgpr_workgroup_id_x 1
		.amdhsa_system_sgpr_workgroup_id_y 1
		.amdhsa_system_sgpr_workgroup_id_z 1
		.amdhsa_system_sgpr_workgroup_info 0
		.amdhsa_system_vgpr_workitem_id 1
		.amdhsa_next_free_vgpr 6
		.amdhsa_next_free_sgpr 16
		.amdhsa_reserve_vcc 1
		.amdhsa_reserve_flat_scratch 0
		.amdhsa_float_round_mode_32 0
		.amdhsa_float_round_mode_16_64 0
		.amdhsa_float_denorm_mode_32 3
		.amdhsa_float_denorm_mode_16_64 3
		.amdhsa_dx10_clamp 1
		.amdhsa_ieee_mode 1
		.amdhsa_fp16_overflow 0
		.amdhsa_exception_fp_ieee_invalid_op 0
		.amdhsa_exception_fp_denorm_src 0
		.amdhsa_exception_fp_ieee_div_zero 0
		.amdhsa_exception_fp_ieee_overflow 0
		.amdhsa_exception_fp_ieee_underflow 0
		.amdhsa_exception_fp_ieee_inexact 0
		.amdhsa_exception_int_div_zero 0
	.end_amdhsa_kernel
	.section	.text._ZL26rocblas_syr2k_scale_kernelIlLi128ELi8ELb0EffPfEvbiT_T3_T4_T5_S1_li,"axG",@progbits,_ZL26rocblas_syr2k_scale_kernelIlLi128ELi8ELb0EffPfEvbiT_T3_T4_T5_S1_li,comdat
.Lfunc_end998:
	.size	_ZL26rocblas_syr2k_scale_kernelIlLi128ELi8ELb0EffPfEvbiT_T3_T4_T5_S1_li, .Lfunc_end998-_ZL26rocblas_syr2k_scale_kernelIlLi128ELi8ELb0EffPfEvbiT_T3_T4_T5_S1_li
                                        ; -- End function
	.set _ZL26rocblas_syr2k_scale_kernelIlLi128ELi8ELb0EffPfEvbiT_T3_T4_T5_S1_li.num_vgpr, 6
	.set _ZL26rocblas_syr2k_scale_kernelIlLi128ELi8ELb0EffPfEvbiT_T3_T4_T5_S1_li.num_agpr, 0
	.set _ZL26rocblas_syr2k_scale_kernelIlLi128ELi8ELb0EffPfEvbiT_T3_T4_T5_S1_li.numbered_sgpr, 16
	.set _ZL26rocblas_syr2k_scale_kernelIlLi128ELi8ELb0EffPfEvbiT_T3_T4_T5_S1_li.num_named_barrier, 0
	.set _ZL26rocblas_syr2k_scale_kernelIlLi128ELi8ELb0EffPfEvbiT_T3_T4_T5_S1_li.private_seg_size, 0
	.set _ZL26rocblas_syr2k_scale_kernelIlLi128ELi8ELb0EffPfEvbiT_T3_T4_T5_S1_li.uses_vcc, 1
	.set _ZL26rocblas_syr2k_scale_kernelIlLi128ELi8ELb0EffPfEvbiT_T3_T4_T5_S1_li.uses_flat_scratch, 0
	.set _ZL26rocblas_syr2k_scale_kernelIlLi128ELi8ELb0EffPfEvbiT_T3_T4_T5_S1_li.has_dyn_sized_stack, 0
	.set _ZL26rocblas_syr2k_scale_kernelIlLi128ELi8ELb0EffPfEvbiT_T3_T4_T5_S1_li.has_recursion, 0
	.set _ZL26rocblas_syr2k_scale_kernelIlLi128ELi8ELb0EffPfEvbiT_T3_T4_T5_S1_li.has_indirect_call, 0
	.section	.AMDGPU.csdata,"",@progbits
; Kernel info:
; codeLenInByte = 268
; TotalNumSgprs: 20
; NumVgprs: 6
; ScratchSize: 0
; MemoryBound: 0
; FloatMode: 240
; IeeeMode: 1
; LDSByteSize: 0 bytes/workgroup (compile time only)
; SGPRBlocks: 2
; VGPRBlocks: 1
; NumSGPRsForWavesPerEU: 20
; NumVGPRsForWavesPerEU: 6
; Occupancy: 10
; WaveLimiterHint : 0
; COMPUTE_PGM_RSRC2:SCRATCH_EN: 0
; COMPUTE_PGM_RSRC2:USER_SGPR: 6
; COMPUTE_PGM_RSRC2:TRAP_HANDLER: 0
; COMPUTE_PGM_RSRC2:TGID_X_EN: 1
; COMPUTE_PGM_RSRC2:TGID_Y_EN: 1
; COMPUTE_PGM_RSRC2:TGID_Z_EN: 1
; COMPUTE_PGM_RSRC2:TIDIG_COMP_CNT: 1
	.section	.text._ZL26rocblas_syr2k_her2k_kernelIlLb0ELb0ELb0ELi32EPKfS1_PfEvbiT_T4_T5_S3_lS5_S3_lT6_S3_li,"axG",@progbits,_ZL26rocblas_syr2k_her2k_kernelIlLb0ELb0ELb0ELi32EPKfS1_PfEvbiT_T4_T5_S3_lS5_S3_lT6_S3_li,comdat
	.globl	_ZL26rocblas_syr2k_her2k_kernelIlLb0ELb0ELb0ELi32EPKfS1_PfEvbiT_T4_T5_S3_lS5_S3_lT6_S3_li ; -- Begin function _ZL26rocblas_syr2k_her2k_kernelIlLb0ELb0ELb0ELi32EPKfS1_PfEvbiT_T4_T5_S3_lS5_S3_lT6_S3_li
	.p2align	8
	.type	_ZL26rocblas_syr2k_her2k_kernelIlLb0ELb0ELb0ELi32EPKfS1_PfEvbiT_T4_T5_S3_lS5_S3_lT6_S3_li,@function
_ZL26rocblas_syr2k_her2k_kernelIlLb0ELb0ELb0ELi32EPKfS1_PfEvbiT_T4_T5_S3_lS5_S3_lT6_S3_li: ; @_ZL26rocblas_syr2k_her2k_kernelIlLb0ELb0ELb0ELi32EPKfS1_PfEvbiT_T4_T5_S3_lS5_S3_lT6_S3_li
; %bb.0:
	s_load_dwordx16 s[12:27], s[4:5], 0x8
	s_waitcnt lgkmcnt(0)
	s_load_dword s28, s[14:15], 0x0
	s_waitcnt lgkmcnt(0)
	v_cmp_eq_f32_e64 s[0:1], s28, 0
	s_and_b64 vcc, exec, s[0:1]
	s_cbranch_vccnz .LBB999_10
; %bb.1:
	s_load_dwordx2 s[10:11], s[4:5], 0x0
	s_lshl_b32 s3, s7, 5
	s_lshl_b32 s2, s6, 5
	s_waitcnt lgkmcnt(0)
	s_and_b32 s0, 1, s10
	s_cmp_eq_u32 s0, 1
	s_cselect_b64 s[0:1], -1, 0
	s_and_b64 s[6:7], s[0:1], exec
	s_cselect_b32 s6, s2, s3
	s_cselect_b32 s7, s3, s2
	s_cmp_gt_i32 s6, s7
	v_cmp_lt_i64_e64 s[6:7], s[12:13], 1
	s_cselect_b64 s[14:15], -1, 0
	s_or_b64 s[6:7], s[14:15], s[6:7]
	s_and_b64 vcc, exec, s[6:7]
	s_cbranch_vccnz .LBB999_10
; %bb.2:
	s_load_dwordx2 s[6:7], s[4:5], 0x58
	s_load_dwordx4 s[36:39], s[4:5], 0x48
	v_add_u32_e32 v4, s3, v1
	v_lshlrev_b32_e32 v8, 7, v0
	v_lshlrev_b32_e32 v2, 2, v1
	s_waitcnt lgkmcnt(0)
	s_mul_i32 s3, s7, s8
	s_mul_hi_u32 s5, s6, s8
	s_mul_i32 s4, s6, s8
	s_add_i32 s5, s5, s3
	s_lshl_b64 s[4:5], s[4:5], 2
	s_add_u32 s9, s36, s4
	v_add_u32_e32 v9, v8, v2
	v_or_b32_e32 v10, 0x1000, v2
	v_ashrrev_i32_e32 v2, 31, v4
	s_addc_u32 s10, s37, s5
	v_mul_lo_u32 v15, s38, v2
	v_mul_lo_u32 v16, s39, v4
	v_mad_u64_u32 v[2:3], s[4:5], s38, v4, 0
	v_add_u32_e32 v6, s2, v0
	v_cndmask_b32_e64 v12, v6, v4, s[0:1]
	v_add3_u32 v3, v3, v15, v16
	v_cndmask_b32_e64 v13, v4, v6, s[0:1]
	v_max_i32_e32 v14, v6, v4
	v_lshlrev_b64 v[2:3], 2, v[2:3]
	v_cmp_gt_i32_e32 vcc, s11, v14
	v_cmp_le_i32_e64 s[4:5], v13, v12
	s_and_b64 s[6:7], s[4:5], vcc
	v_ashrrev_i32_e32 v13, 31, v6
	v_mov_b32_e32 v12, v6
	v_mov_b32_e32 v14, s10
	v_add_co_u32_e32 v15, vcc, s9, v2
	v_addc_co_u32_e32 v14, vcc, v14, v3, vcc
	v_lshlrev_b64 v[2:3], 2, v[12:13]
	v_mad_u64_u32 v[12:13], s[4:5], s24, v0, 0
	v_add_co_u32_e32 v2, vcc, v15, v2
	v_addc_co_u32_e32 v3, vcc, v14, v3, vcc
	v_mad_u64_u32 v[13:14], s[4:5], s25, v0, v[13:14]
	s_mul_i32 s9, s27, s8
	s_mul_hi_u32 s10, s26, s8
	v_mov_b32_e32 v7, 0
	s_add_i32 s5, s10, s9
	s_mul_i32 s4, s26, s8
	v_lshlrev_b64 v[12:13], 2, v[12:13]
	s_ashr_i32 s3, s11, 31
	s_mov_b32 s2, s11
	v_mov_b32_e32 v5, v7
	s_lshl_b64 s[4:5], s[4:5], 2
	v_cmp_gt_i64_e64 s[0:1], s[2:3], v[6:7]
	v_cmp_gt_i64_e64 s[2:3], s[2:3], v[4:5]
	v_mov_b32_e32 v14, s5
	v_add_co_u32_e32 v12, vcc, s4, v12
	v_lshlrev_b64 v[4:5], 2, v[4:5]
	v_addc_co_u32_e32 v13, vcc, v14, v13, vcc
	v_add_co_u32_e32 v4, vcc, v12, v4
	v_addc_co_u32_e32 v5, vcc, v13, v5, vcc
	v_mov_b32_e32 v12, s23
	v_add_co_u32_e32 v4, vcc, s22, v4
	v_addc_co_u32_e32 v5, vcc, v12, v5, vcc
	v_mad_u64_u32 v[12:13], s[4:5], s18, v1, 0
	s_mul_i32 s9, s21, s8
	s_mul_hi_u32 s14, s20, s8
	v_mad_u64_u32 v[13:14], s[4:5], s19, v1, v[13:14]
	s_add_i32 s5, s14, s9
	s_mul_i32 s4, s20, s8
	v_lshlrev_b64 v[12:13], 2, v[12:13]
	s_lshl_b64 s[4:5], s[4:5], 2
	v_mov_b32_e32 v14, s5
	v_add_co_u32_e32 v12, vcc, s4, v12
	v_lshlrev_b64 v[6:7], 2, v[6:7]
	v_addc_co_u32_e32 v13, vcc, v14, v13, vcc
	v_add_co_u32_e32 v6, vcc, v12, v6
	v_addc_co_u32_e32 v7, vcc, v13, v7, vcc
	v_mov_b32_e32 v12, s17
	v_add_co_u32_e32 v6, vcc, s16, v6
	v_add_u32_e32 v11, v10, v8
	s_lshl_b64 s[10:11], s[24:25], 7
	v_addc_co_u32_e32 v7, vcc, v12, v7, vcc
	s_lshl_b64 s[8:9], s[18:19], 7
	s_mov_b64 s[14:15], 0
	v_add_u32_e32 v12, 0x400, v10
	v_add_u32_e32 v13, 0x800, v10
	;; [unrolled: 1-line block ×3, first 2 shown]
	s_branch .LBB999_4
.LBB999_3:                              ;   in Loop: Header=BB999_4 Depth=1
	s_or_b64 exec, exec, s[4:5]
	v_mov_b32_e32 v15, s11
	v_add_co_u32_e32 v4, vcc, s10, v4
	s_add_u32 s14, s14, 32
	v_addc_co_u32_e32 v5, vcc, v5, v15, vcc
	v_mov_b32_e32 v16, s13
	s_addc_u32 s15, s15, 0
	v_mov_b32_e32 v15, s12
	v_cmp_lt_i64_e32 vcc, s[14:15], v[15:16]
	v_mov_b32_e32 v17, s9
	v_add_co_u32_e64 v6, s[4:5], s8, v6
	v_addc_co_u32_e64 v7, s[4:5], v7, v17, s[4:5]
	s_waitcnt vmcnt(0)
	s_barrier
	s_cbranch_vccz .LBB999_10
.LBB999_4:                              ; =>This Inner Loop Header: Depth=1
	v_mov_b32_e32 v16, s15
	v_add_co_u32_e32 v15, vcc, s14, v1
	v_addc_co_u32_e32 v16, vcc, 0, v16, vcc
	v_cmp_gt_i64_e32 vcc, s[12:13], v[15:16]
	v_mov_b32_e32 v15, 0
	s_and_b64 s[16:17], s[0:1], vcc
	s_and_saveexec_b64 s[4:5], s[16:17]
	s_cbranch_execz .LBB999_6
; %bb.5:                                ;   in Loop: Header=BB999_4 Depth=1
	global_load_dword v15, v[6:7], off
.LBB999_6:                              ;   in Loop: Header=BB999_4 Depth=1
	s_or_b64 exec, exec, s[4:5]
	v_mov_b32_e32 v17, s15
	v_add_co_u32_e32 v16, vcc, s14, v0
	v_addc_co_u32_e32 v17, vcc, 0, v17, vcc
	v_cmp_gt_i64_e32 vcc, s[12:13], v[16:17]
	s_waitcnt vmcnt(0)
	ds_write_b32 v9, v15
	s_and_b64 s[16:17], s[2:3], vcc
	v_mov_b32_e32 v15, 0
	s_and_saveexec_b64 s[4:5], s[16:17]
	s_cbranch_execz .LBB999_8
; %bb.7:                                ;   in Loop: Header=BB999_4 Depth=1
	global_load_dword v15, v[4:5], off
.LBB999_8:                              ;   in Loop: Header=BB999_4 Depth=1
	s_or_b64 exec, exec, s[4:5]
	s_waitcnt vmcnt(0)
	ds_write_b32 v11, v15
	s_waitcnt lgkmcnt(0)
	s_barrier
	s_and_saveexec_b64 s[4:5], s[6:7]
	s_cbranch_execz .LBB999_3
; %bb.9:                                ;   in Loop: Header=BB999_4 Depth=1
	global_load_dword v27, v[2:3], off
	ds_read_b128 v[15:18], v8
	ds_read2_b32 v[23:24], v10 offset1:32
	ds_read2_b32 v[25:26], v10 offset0:64 offset1:96
	ds_read_b128 v[19:22], v8 offset:16
	s_waitcnt lgkmcnt(2)
	v_fma_f32 v28, v15, v23, 0
	v_fmac_f32_e32 v28, v16, v24
	ds_read2_b32 v[23:24], v10 offset0:128 offset1:160
	s_waitcnt lgkmcnt(2)
	v_fmac_f32_e32 v28, v17, v25
	v_fmac_f32_e32 v28, v18, v26
	ds_read2_b32 v[25:26], v10 offset0:192 offset1:224
	ds_read_b128 v[15:18], v8 offset:32
	s_waitcnt lgkmcnt(2)
	v_fmac_f32_e32 v28, v19, v23
	v_fmac_f32_e32 v28, v20, v24
	ds_read2_b32 v[23:24], v12 offset1:32
	s_waitcnt lgkmcnt(2)
	v_fmac_f32_e32 v28, v21, v25
	v_fmac_f32_e32 v28, v22, v26
	ds_read_b128 v[19:22], v8 offset:48
	ds_read2_b32 v[25:26], v12 offset0:64 offset1:96
	s_waitcnt lgkmcnt(2)
	v_fmac_f32_e32 v28, v15, v23
	v_fmac_f32_e32 v28, v16, v24
	ds_read2_b32 v[15:16], v12 offset0:128 offset1:160
	s_waitcnt lgkmcnt(1)
	v_fmac_f32_e32 v28, v17, v25
	v_fmac_f32_e32 v28, v18, v26
	;; [unrolled: 4-line block ×3, first 2 shown]
	ds_read_b128 v[15:18], v8 offset:64
	ds_read2_b32 v[25:26], v13 offset1:32
	s_waitcnt lgkmcnt(2)
	v_fmac_f32_e32 v28, v21, v23
	v_fmac_f32_e32 v28, v22, v24
	ds_read2_b32 v[23:24], v13 offset0:64 offset1:96
	ds_read_b128 v[19:22], v8 offset:80
	s_waitcnt lgkmcnt(2)
	v_fmac_f32_e32 v28, v15, v25
	v_fmac_f32_e32 v28, v16, v26
	ds_read2_b32 v[15:16], v13 offset0:128 offset1:160
	s_waitcnt lgkmcnt(2)
	v_fmac_f32_e32 v28, v17, v23
	v_fmac_f32_e32 v28, v18, v24
	ds_read2_b32 v[23:24], v13 offset0:192 offset1:224
	s_waitcnt lgkmcnt(1)
	v_fmac_f32_e32 v28, v19, v15
	v_fmac_f32_e32 v28, v20, v16
	ds_read_b128 v[15:18], v8 offset:96
	ds_read2_b32 v[25:26], v14 offset1:32
	s_waitcnt lgkmcnt(2)
	v_fmac_f32_e32 v28, v21, v23
	v_fmac_f32_e32 v28, v22, v24
	ds_read2_b32 v[23:24], v14 offset0:64 offset1:96
	ds_read_b128 v[19:22], v8 offset:112
	s_waitcnt lgkmcnt(2)
	v_fmac_f32_e32 v28, v15, v25
	v_fmac_f32_e32 v28, v16, v26
	ds_read2_b32 v[15:16], v14 offset0:128 offset1:160
	s_waitcnt lgkmcnt(2)
	v_fmac_f32_e32 v28, v17, v23
	v_fmac_f32_e32 v28, v18, v24
	ds_read2_b32 v[17:18], v14 offset0:192 offset1:224
	s_waitcnt lgkmcnt(1)
	v_fmac_f32_e32 v28, v19, v15
	v_fmac_f32_e32 v28, v20, v16
	s_waitcnt lgkmcnt(0)
	v_fmac_f32_e32 v28, v21, v17
	v_fmac_f32_e32 v28, v22, v18
	s_waitcnt vmcnt(0)
	v_fmac_f32_e32 v27, s28, v28
	global_store_dword v[2:3], v27, off
	s_branch .LBB999_3
.LBB999_10:
	s_endpgm
	.section	.rodata,"a",@progbits
	.p2align	6, 0x0
	.amdhsa_kernel _ZL26rocblas_syr2k_her2k_kernelIlLb0ELb0ELb0ELi32EPKfS1_PfEvbiT_T4_T5_S3_lS5_S3_lT6_S3_li
		.amdhsa_group_segment_fixed_size 8192
		.amdhsa_private_segment_fixed_size 0
		.amdhsa_kernarg_size 100
		.amdhsa_user_sgpr_count 6
		.amdhsa_user_sgpr_private_segment_buffer 1
		.amdhsa_user_sgpr_dispatch_ptr 0
		.amdhsa_user_sgpr_queue_ptr 0
		.amdhsa_user_sgpr_kernarg_segment_ptr 1
		.amdhsa_user_sgpr_dispatch_id 0
		.amdhsa_user_sgpr_flat_scratch_init 0
		.amdhsa_user_sgpr_private_segment_size 0
		.amdhsa_uses_dynamic_stack 0
		.amdhsa_system_sgpr_private_segment_wavefront_offset 0
		.amdhsa_system_sgpr_workgroup_id_x 1
		.amdhsa_system_sgpr_workgroup_id_y 1
		.amdhsa_system_sgpr_workgroup_id_z 1
		.amdhsa_system_sgpr_workgroup_info 0
		.amdhsa_system_vgpr_workitem_id 1
		.amdhsa_next_free_vgpr 29
		.amdhsa_next_free_sgpr 61
		.amdhsa_reserve_vcc 1
		.amdhsa_reserve_flat_scratch 0
		.amdhsa_float_round_mode_32 0
		.amdhsa_float_round_mode_16_64 0
		.amdhsa_float_denorm_mode_32 3
		.amdhsa_float_denorm_mode_16_64 3
		.amdhsa_dx10_clamp 1
		.amdhsa_ieee_mode 1
		.amdhsa_fp16_overflow 0
		.amdhsa_exception_fp_ieee_invalid_op 0
		.amdhsa_exception_fp_denorm_src 0
		.amdhsa_exception_fp_ieee_div_zero 0
		.amdhsa_exception_fp_ieee_overflow 0
		.amdhsa_exception_fp_ieee_underflow 0
		.amdhsa_exception_fp_ieee_inexact 0
		.amdhsa_exception_int_div_zero 0
	.end_amdhsa_kernel
	.section	.text._ZL26rocblas_syr2k_her2k_kernelIlLb0ELb0ELb0ELi32EPKfS1_PfEvbiT_T4_T5_S3_lS5_S3_lT6_S3_li,"axG",@progbits,_ZL26rocblas_syr2k_her2k_kernelIlLb0ELb0ELb0ELi32EPKfS1_PfEvbiT_T4_T5_S3_lS5_S3_lT6_S3_li,comdat
.Lfunc_end999:
	.size	_ZL26rocblas_syr2k_her2k_kernelIlLb0ELb0ELb0ELi32EPKfS1_PfEvbiT_T4_T5_S3_lS5_S3_lT6_S3_li, .Lfunc_end999-_ZL26rocblas_syr2k_her2k_kernelIlLb0ELb0ELb0ELi32EPKfS1_PfEvbiT_T4_T5_S3_lS5_S3_lT6_S3_li
                                        ; -- End function
	.set _ZL26rocblas_syr2k_her2k_kernelIlLb0ELb0ELb0ELi32EPKfS1_PfEvbiT_T4_T5_S3_lS5_S3_lT6_S3_li.num_vgpr, 29
	.set _ZL26rocblas_syr2k_her2k_kernelIlLb0ELb0ELb0ELi32EPKfS1_PfEvbiT_T4_T5_S3_lS5_S3_lT6_S3_li.num_agpr, 0
	.set _ZL26rocblas_syr2k_her2k_kernelIlLb0ELb0ELb0ELi32EPKfS1_PfEvbiT_T4_T5_S3_lS5_S3_lT6_S3_li.numbered_sgpr, 40
	.set _ZL26rocblas_syr2k_her2k_kernelIlLb0ELb0ELb0ELi32EPKfS1_PfEvbiT_T4_T5_S3_lS5_S3_lT6_S3_li.num_named_barrier, 0
	.set _ZL26rocblas_syr2k_her2k_kernelIlLb0ELb0ELb0ELi32EPKfS1_PfEvbiT_T4_T5_S3_lS5_S3_lT6_S3_li.private_seg_size, 0
	.set _ZL26rocblas_syr2k_her2k_kernelIlLb0ELb0ELb0ELi32EPKfS1_PfEvbiT_T4_T5_S3_lS5_S3_lT6_S3_li.uses_vcc, 1
	.set _ZL26rocblas_syr2k_her2k_kernelIlLb0ELb0ELb0ELi32EPKfS1_PfEvbiT_T4_T5_S3_lS5_S3_lT6_S3_li.uses_flat_scratch, 0
	.set _ZL26rocblas_syr2k_her2k_kernelIlLb0ELb0ELb0ELi32EPKfS1_PfEvbiT_T4_T5_S3_lS5_S3_lT6_S3_li.has_dyn_sized_stack, 0
	.set _ZL26rocblas_syr2k_her2k_kernelIlLb0ELb0ELb0ELi32EPKfS1_PfEvbiT_T4_T5_S3_lS5_S3_lT6_S3_li.has_recursion, 0
	.set _ZL26rocblas_syr2k_her2k_kernelIlLb0ELb0ELb0ELi32EPKfS1_PfEvbiT_T4_T5_S3_lS5_S3_lT6_S3_li.has_indirect_call, 0
	.section	.AMDGPU.csdata,"",@progbits
; Kernel info:
; codeLenInByte = 1164
; TotalNumSgprs: 44
; NumVgprs: 29
; ScratchSize: 0
; MemoryBound: 0
; FloatMode: 240
; IeeeMode: 1
; LDSByteSize: 8192 bytes/workgroup (compile time only)
; SGPRBlocks: 8
; VGPRBlocks: 7
; NumSGPRsForWavesPerEU: 65
; NumVGPRsForWavesPerEU: 29
; Occupancy: 8
; WaveLimiterHint : 0
; COMPUTE_PGM_RSRC2:SCRATCH_EN: 0
; COMPUTE_PGM_RSRC2:USER_SGPR: 6
; COMPUTE_PGM_RSRC2:TRAP_HANDLER: 0
; COMPUTE_PGM_RSRC2:TGID_X_EN: 1
; COMPUTE_PGM_RSRC2:TGID_Y_EN: 1
; COMPUTE_PGM_RSRC2:TGID_Z_EN: 1
; COMPUTE_PGM_RSRC2:TIDIG_COMP_CNT: 1
	.section	.text._ZL26rocblas_syr2k_her2k_kernelIlLb0ELb0ELb1ELi32EPKfS1_PfEvbiT_T4_T5_S3_lS5_S3_lT6_S3_li,"axG",@progbits,_ZL26rocblas_syr2k_her2k_kernelIlLb0ELb0ELb1ELi32EPKfS1_PfEvbiT_T4_T5_S3_lS5_S3_lT6_S3_li,comdat
	.globl	_ZL26rocblas_syr2k_her2k_kernelIlLb0ELb0ELb1ELi32EPKfS1_PfEvbiT_T4_T5_S3_lS5_S3_lT6_S3_li ; -- Begin function _ZL26rocblas_syr2k_her2k_kernelIlLb0ELb0ELb1ELi32EPKfS1_PfEvbiT_T4_T5_S3_lS5_S3_lT6_S3_li
	.p2align	8
	.type	_ZL26rocblas_syr2k_her2k_kernelIlLb0ELb0ELb1ELi32EPKfS1_PfEvbiT_T4_T5_S3_lS5_S3_lT6_S3_li,@function
_ZL26rocblas_syr2k_her2k_kernelIlLb0ELb0ELb1ELi32EPKfS1_PfEvbiT_T4_T5_S3_lS5_S3_lT6_S3_li: ; @_ZL26rocblas_syr2k_her2k_kernelIlLb0ELb0ELb1ELi32EPKfS1_PfEvbiT_T4_T5_S3_lS5_S3_lT6_S3_li
; %bb.0:
	s_load_dwordx16 s[12:27], s[4:5], 0x8
	s_waitcnt lgkmcnt(0)
	s_load_dword s14, s[14:15], 0x0
	s_waitcnt lgkmcnt(0)
	v_cmp_eq_f32_e64 s[0:1], s14, 0
	s_and_b64 vcc, exec, s[0:1]
	s_cbranch_vccnz .LBB1000_10
; %bb.1:
	s_load_dwordx2 s[10:11], s[4:5], 0x0
	s_lshl_b32 s3, s7, 5
	s_lshl_b32 s2, s6, 5
	s_waitcnt lgkmcnt(0)
	s_and_b32 s0, 1, s10
	s_cmp_eq_u32 s0, 1
	s_cselect_b64 s[0:1], -1, 0
	s_and_b64 s[6:7], s[0:1], exec
	s_cselect_b32 s6, s2, s3
	s_cselect_b32 s7, s3, s2
	s_cmp_gt_i32 s6, s7
	v_cmp_lt_i64_e64 s[6:7], s[12:13], 1
	s_cselect_b64 s[28:29], -1, 0
	s_or_b64 s[6:7], s[28:29], s[6:7]
	s_and_b64 vcc, exec, s[6:7]
	s_cbranch_vccnz .LBB1000_10
; %bb.2:
	s_load_dwordx2 s[6:7], s[4:5], 0x58
	s_load_dwordx4 s[28:31], s[4:5], 0x48
	v_add_u32_e32 v4, s3, v1
	v_add_u32_e32 v6, s2, v0
	s_mov_b32 s2, s11
	s_waitcnt lgkmcnt(0)
	s_mul_i32 s3, s7, s8
	s_mul_hi_u32 s5, s6, s8
	s_mul_i32 s4, s6, s8
	s_add_i32 s5, s5, s3
	s_lshl_b64 s[4:5], s[4:5], 2
	s_add_u32 s9, s28, s4
	s_addc_u32 s10, s29, s5
	s_ashr_i32 s3, s11, 31
	v_mov_b32_e32 v7, 0
	v_ashrrev_i32_e32 v2, 31, v4
	v_cndmask_b32_e64 v12, v6, v4, s[0:1]
	v_cndmask_b32_e64 v13, v4, v6, s[0:1]
	v_cmp_gt_i64_e64 s[0:1], s[2:3], v[6:7]
	v_mov_b32_e32 v5, v7
	v_mul_lo_u32 v7, s30, v2
	v_mul_lo_u32 v15, s31, v4
	v_mad_u64_u32 v[2:3], s[4:5], s30, v4, 0
	v_cmp_gt_i64_e64 s[2:3], s[2:3], v[4:5]
	v_max_i32_e32 v5, v6, v4
	v_add3_u32 v3, v3, v7, v15
	v_lshlrev_b64 v[2:3], 2, v[2:3]
	v_cmp_gt_i32_e32 vcc, s11, v5
	v_cmp_le_i32_e64 s[4:5], v13, v12
	s_and_b64 s[6:7], s[4:5], vcc
	v_ashrrev_i32_e32 v7, 31, v6
	v_mov_b32_e32 v5, s10
	v_add_co_u32_e32 v15, vcc, s9, v2
	v_mad_u64_u32 v[12:13], s[4:5], s24, v4, 0
	v_addc_co_u32_e32 v5, vcc, v5, v3, vcc
	v_lshlrev_b64 v[2:3], 2, v[6:7]
	s_mul_i32 s9, s27, s8
	v_add_co_u32_e32 v2, vcc, v15, v2
	v_addc_co_u32_e32 v3, vcc, v5, v3, vcc
	v_mov_b32_e32 v5, v13
	v_mad_u64_u32 v[4:5], s[4:5], s25, v4, v[5:6]
	s_mul_hi_u32 s10, s26, s8
	s_add_i32 s5, s10, s9
	v_mov_b32_e32 v13, v4
	s_mul_i32 s4, s26, s8
	v_lshlrev_b64 v[4:5], 2, v[12:13]
	s_lshl_b64 s[4:5], s[4:5], 2
	v_mov_b32_e32 v7, s5
	v_add_co_u32_e32 v4, vcc, s4, v4
	v_addc_co_u32_e32 v5, vcc, v7, v5, vcc
	v_lshlrev_b32_e32 v7, 2, v0
	v_mad_u64_u32 v[12:13], s[4:5], s18, v6, 0
	v_add_co_u32_e32 v4, vcc, v4, v7
	v_addc_co_u32_e32 v5, vcc, 0, v5, vcc
	v_mov_b32_e32 v7, s23
	v_add_co_u32_e32 v4, vcc, s22, v4
	v_lshlrev_b32_e32 v8, 7, v0
	v_addc_co_u32_e32 v5, vcc, v7, v5, vcc
	v_mov_b32_e32 v7, v13
	v_mad_u64_u32 v[6:7], s[4:5], s19, v6, v[7:8]
	s_mul_i32 s9, s21, s8
	s_mul_hi_u32 s10, s20, s8
	v_mov_b32_e32 v13, v6
	s_add_i32 s5, s10, s9
	s_mul_i32 s4, s20, s8
	v_lshlrev_b64 v[6:7], 2, v[12:13]
	s_lshl_b64 s[4:5], s[4:5], 2
	v_mov_b32_e32 v12, s5
	v_add_co_u32_e32 v6, vcc, s4, v6
	v_lshlrev_b32_e32 v14, 2, v1
	v_addc_co_u32_e32 v7, vcc, v12, v7, vcc
	v_add_co_u32_e32 v6, vcc, v6, v14
	v_addc_co_u32_e32 v7, vcc, 0, v7, vcc
	v_or_b32_e32 v10, 0x1000, v14
	v_mov_b32_e32 v12, s17
	v_add_co_u32_e32 v6, vcc, s16, v6
	v_add_u32_e32 v9, v8, v14
	v_add_u32_e32 v11, v10, v8
	v_addc_co_u32_e32 v7, vcc, v12, v7, vcc
	s_mov_b64 s[8:9], 0
	v_add_u32_e32 v12, 0x400, v10
	v_add_u32_e32 v13, 0x800, v10
	;; [unrolled: 1-line block ×3, first 2 shown]
	s_branch .LBB1000_4
.LBB1000_3:                             ;   in Loop: Header=BB1000_4 Depth=1
	s_or_b64 exec, exec, s[4:5]
	s_add_u32 s8, s8, 32
	v_add_co_u32_e32 v4, vcc, 0x80, v4
	v_mov_b32_e32 v16, s13
	s_addc_u32 s9, s9, 0
	v_addc_co_u32_e32 v5, vcc, 0, v5, vcc
	v_mov_b32_e32 v15, s12
	v_add_co_u32_e32 v6, vcc, 0x80, v6
	v_cmp_lt_i64_e64 s[4:5], s[8:9], v[15:16]
	v_addc_co_u32_e32 v7, vcc, 0, v7, vcc
	s_and_b64 vcc, exec, s[4:5]
	s_waitcnt vmcnt(0)
	s_barrier
	s_cbranch_vccz .LBB1000_10
.LBB1000_4:                             ; =>This Inner Loop Header: Depth=1
	v_mov_b32_e32 v16, s9
	v_add_co_u32_e32 v15, vcc, s8, v1
	v_addc_co_u32_e32 v16, vcc, 0, v16, vcc
	v_cmp_gt_i64_e32 vcc, s[12:13], v[15:16]
	v_mov_b32_e32 v15, 0
	s_and_b64 s[10:11], s[0:1], vcc
	s_and_saveexec_b64 s[4:5], s[10:11]
	s_cbranch_execz .LBB1000_6
; %bb.5:                                ;   in Loop: Header=BB1000_4 Depth=1
	global_load_dword v15, v[6:7], off
.LBB1000_6:                             ;   in Loop: Header=BB1000_4 Depth=1
	s_or_b64 exec, exec, s[4:5]
	v_mov_b32_e32 v17, s9
	v_add_co_u32_e32 v16, vcc, s8, v0
	v_addc_co_u32_e32 v17, vcc, 0, v17, vcc
	v_cmp_gt_i64_e32 vcc, s[12:13], v[16:17]
	s_waitcnt vmcnt(0)
	ds_write_b32 v9, v15
	s_and_b64 s[10:11], s[2:3], vcc
	v_mov_b32_e32 v15, 0
	s_and_saveexec_b64 s[4:5], s[10:11]
	s_cbranch_execz .LBB1000_8
; %bb.7:                                ;   in Loop: Header=BB1000_4 Depth=1
	global_load_dword v15, v[4:5], off
.LBB1000_8:                             ;   in Loop: Header=BB1000_4 Depth=1
	s_or_b64 exec, exec, s[4:5]
	s_waitcnt vmcnt(0)
	ds_write_b32 v11, v15
	s_waitcnt lgkmcnt(0)
	s_barrier
	s_and_saveexec_b64 s[4:5], s[6:7]
	s_cbranch_execz .LBB1000_3
; %bb.9:                                ;   in Loop: Header=BB1000_4 Depth=1
	global_load_dword v27, v[2:3], off
	ds_read_b128 v[15:18], v8
	ds_read2_b32 v[23:24], v10 offset1:32
	ds_read2_b32 v[25:26], v10 offset0:64 offset1:96
	ds_read_b128 v[19:22], v8 offset:16
	s_waitcnt lgkmcnt(2)
	v_fma_f32 v28, v15, v23, 0
	v_fmac_f32_e32 v28, v16, v24
	ds_read2_b32 v[23:24], v10 offset0:128 offset1:160
	s_waitcnt lgkmcnt(2)
	v_fmac_f32_e32 v28, v17, v25
	v_fmac_f32_e32 v28, v18, v26
	ds_read2_b32 v[25:26], v10 offset0:192 offset1:224
	ds_read_b128 v[15:18], v8 offset:32
	s_waitcnt lgkmcnt(2)
	v_fmac_f32_e32 v28, v19, v23
	v_fmac_f32_e32 v28, v20, v24
	ds_read2_b32 v[23:24], v12 offset1:32
	s_waitcnt lgkmcnt(2)
	v_fmac_f32_e32 v28, v21, v25
	v_fmac_f32_e32 v28, v22, v26
	ds_read_b128 v[19:22], v8 offset:48
	ds_read2_b32 v[25:26], v12 offset0:64 offset1:96
	s_waitcnt lgkmcnt(2)
	v_fmac_f32_e32 v28, v15, v23
	v_fmac_f32_e32 v28, v16, v24
	ds_read2_b32 v[15:16], v12 offset0:128 offset1:160
	s_waitcnt lgkmcnt(1)
	v_fmac_f32_e32 v28, v17, v25
	v_fmac_f32_e32 v28, v18, v26
	;; [unrolled: 4-line block ×3, first 2 shown]
	ds_read_b128 v[15:18], v8 offset:64
	ds_read2_b32 v[25:26], v13 offset1:32
	s_waitcnt lgkmcnt(2)
	v_fmac_f32_e32 v28, v21, v23
	v_fmac_f32_e32 v28, v22, v24
	ds_read2_b32 v[23:24], v13 offset0:64 offset1:96
	ds_read_b128 v[19:22], v8 offset:80
	s_waitcnt lgkmcnt(2)
	v_fmac_f32_e32 v28, v15, v25
	v_fmac_f32_e32 v28, v16, v26
	ds_read2_b32 v[15:16], v13 offset0:128 offset1:160
	s_waitcnt lgkmcnt(2)
	v_fmac_f32_e32 v28, v17, v23
	v_fmac_f32_e32 v28, v18, v24
	ds_read2_b32 v[23:24], v13 offset0:192 offset1:224
	s_waitcnt lgkmcnt(1)
	v_fmac_f32_e32 v28, v19, v15
	v_fmac_f32_e32 v28, v20, v16
	ds_read_b128 v[15:18], v8 offset:96
	ds_read2_b32 v[25:26], v14 offset1:32
	s_waitcnt lgkmcnt(2)
	v_fmac_f32_e32 v28, v21, v23
	v_fmac_f32_e32 v28, v22, v24
	ds_read2_b32 v[23:24], v14 offset0:64 offset1:96
	ds_read_b128 v[19:22], v8 offset:112
	s_waitcnt lgkmcnt(2)
	v_fmac_f32_e32 v28, v15, v25
	v_fmac_f32_e32 v28, v16, v26
	ds_read2_b32 v[15:16], v14 offset0:128 offset1:160
	s_waitcnt lgkmcnt(2)
	v_fmac_f32_e32 v28, v17, v23
	v_fmac_f32_e32 v28, v18, v24
	ds_read2_b32 v[17:18], v14 offset0:192 offset1:224
	s_waitcnt lgkmcnt(1)
	v_fmac_f32_e32 v28, v19, v15
	v_fmac_f32_e32 v28, v20, v16
	s_waitcnt lgkmcnt(0)
	v_fmac_f32_e32 v28, v21, v17
	v_fmac_f32_e32 v28, v22, v18
	s_waitcnt vmcnt(0)
	v_fmac_f32_e32 v27, s14, v28
	global_store_dword v[2:3], v27, off
	s_branch .LBB1000_3
.LBB1000_10:
	s_endpgm
	.section	.rodata,"a",@progbits
	.p2align	6, 0x0
	.amdhsa_kernel _ZL26rocblas_syr2k_her2k_kernelIlLb0ELb0ELb1ELi32EPKfS1_PfEvbiT_T4_T5_S3_lS5_S3_lT6_S3_li
		.amdhsa_group_segment_fixed_size 8192
		.amdhsa_private_segment_fixed_size 0
		.amdhsa_kernarg_size 100
		.amdhsa_user_sgpr_count 6
		.amdhsa_user_sgpr_private_segment_buffer 1
		.amdhsa_user_sgpr_dispatch_ptr 0
		.amdhsa_user_sgpr_queue_ptr 0
		.amdhsa_user_sgpr_kernarg_segment_ptr 1
		.amdhsa_user_sgpr_dispatch_id 0
		.amdhsa_user_sgpr_flat_scratch_init 0
		.amdhsa_user_sgpr_private_segment_size 0
		.amdhsa_uses_dynamic_stack 0
		.amdhsa_system_sgpr_private_segment_wavefront_offset 0
		.amdhsa_system_sgpr_workgroup_id_x 1
		.amdhsa_system_sgpr_workgroup_id_y 1
		.amdhsa_system_sgpr_workgroup_id_z 1
		.amdhsa_system_sgpr_workgroup_info 0
		.amdhsa_system_vgpr_workitem_id 1
		.amdhsa_next_free_vgpr 29
		.amdhsa_next_free_sgpr 61
		.amdhsa_reserve_vcc 1
		.amdhsa_reserve_flat_scratch 0
		.amdhsa_float_round_mode_32 0
		.amdhsa_float_round_mode_16_64 0
		.amdhsa_float_denorm_mode_32 3
		.amdhsa_float_denorm_mode_16_64 3
		.amdhsa_dx10_clamp 1
		.amdhsa_ieee_mode 1
		.amdhsa_fp16_overflow 0
		.amdhsa_exception_fp_ieee_invalid_op 0
		.amdhsa_exception_fp_denorm_src 0
		.amdhsa_exception_fp_ieee_div_zero 0
		.amdhsa_exception_fp_ieee_overflow 0
		.amdhsa_exception_fp_ieee_underflow 0
		.amdhsa_exception_fp_ieee_inexact 0
		.amdhsa_exception_int_div_zero 0
	.end_amdhsa_kernel
	.section	.text._ZL26rocblas_syr2k_her2k_kernelIlLb0ELb0ELb1ELi32EPKfS1_PfEvbiT_T4_T5_S3_lS5_S3_lT6_S3_li,"axG",@progbits,_ZL26rocblas_syr2k_her2k_kernelIlLb0ELb0ELb1ELi32EPKfS1_PfEvbiT_T4_T5_S3_lS5_S3_lT6_S3_li,comdat
.Lfunc_end1000:
	.size	_ZL26rocblas_syr2k_her2k_kernelIlLb0ELb0ELb1ELi32EPKfS1_PfEvbiT_T4_T5_S3_lS5_S3_lT6_S3_li, .Lfunc_end1000-_ZL26rocblas_syr2k_her2k_kernelIlLb0ELb0ELb1ELi32EPKfS1_PfEvbiT_T4_T5_S3_lS5_S3_lT6_S3_li
                                        ; -- End function
	.set _ZL26rocblas_syr2k_her2k_kernelIlLb0ELb0ELb1ELi32EPKfS1_PfEvbiT_T4_T5_S3_lS5_S3_lT6_S3_li.num_vgpr, 29
	.set _ZL26rocblas_syr2k_her2k_kernelIlLb0ELb0ELb1ELi32EPKfS1_PfEvbiT_T4_T5_S3_lS5_S3_lT6_S3_li.num_agpr, 0
	.set _ZL26rocblas_syr2k_her2k_kernelIlLb0ELb0ELb1ELi32EPKfS1_PfEvbiT_T4_T5_S3_lS5_S3_lT6_S3_li.numbered_sgpr, 32
	.set _ZL26rocblas_syr2k_her2k_kernelIlLb0ELb0ELb1ELi32EPKfS1_PfEvbiT_T4_T5_S3_lS5_S3_lT6_S3_li.num_named_barrier, 0
	.set _ZL26rocblas_syr2k_her2k_kernelIlLb0ELb0ELb1ELi32EPKfS1_PfEvbiT_T4_T5_S3_lS5_S3_lT6_S3_li.private_seg_size, 0
	.set _ZL26rocblas_syr2k_her2k_kernelIlLb0ELb0ELb1ELi32EPKfS1_PfEvbiT_T4_T5_S3_lS5_S3_lT6_S3_li.uses_vcc, 1
	.set _ZL26rocblas_syr2k_her2k_kernelIlLb0ELb0ELb1ELi32EPKfS1_PfEvbiT_T4_T5_S3_lS5_S3_lT6_S3_li.uses_flat_scratch, 0
	.set _ZL26rocblas_syr2k_her2k_kernelIlLb0ELb0ELb1ELi32EPKfS1_PfEvbiT_T4_T5_S3_lS5_S3_lT6_S3_li.has_dyn_sized_stack, 0
	.set _ZL26rocblas_syr2k_her2k_kernelIlLb0ELb0ELb1ELi32EPKfS1_PfEvbiT_T4_T5_S3_lS5_S3_lT6_S3_li.has_recursion, 0
	.set _ZL26rocblas_syr2k_her2k_kernelIlLb0ELb0ELb1ELi32EPKfS1_PfEvbiT_T4_T5_S3_lS5_S3_lT6_S3_li.has_indirect_call, 0
	.section	.AMDGPU.csdata,"",@progbits
; Kernel info:
; codeLenInByte = 1156
; TotalNumSgprs: 36
; NumVgprs: 29
; ScratchSize: 0
; MemoryBound: 0
; FloatMode: 240
; IeeeMode: 1
; LDSByteSize: 8192 bytes/workgroup (compile time only)
; SGPRBlocks: 8
; VGPRBlocks: 7
; NumSGPRsForWavesPerEU: 65
; NumVGPRsForWavesPerEU: 29
; Occupancy: 8
; WaveLimiterHint : 0
; COMPUTE_PGM_RSRC2:SCRATCH_EN: 0
; COMPUTE_PGM_RSRC2:USER_SGPR: 6
; COMPUTE_PGM_RSRC2:TRAP_HANDLER: 0
; COMPUTE_PGM_RSRC2:TGID_X_EN: 1
; COMPUTE_PGM_RSRC2:TGID_Y_EN: 1
; COMPUTE_PGM_RSRC2:TGID_Z_EN: 1
; COMPUTE_PGM_RSRC2:TIDIG_COMP_CNT: 1
	.section	.text._ZL26rocblas_syr2k_her2k_kernelIlLb0ELb0ELb0ELi32EdPKdPdEvbiT_T4_T5_S3_lS5_S3_lT6_S3_li,"axG",@progbits,_ZL26rocblas_syr2k_her2k_kernelIlLb0ELb0ELb0ELi32EdPKdPdEvbiT_T4_T5_S3_lS5_S3_lT6_S3_li,comdat
	.globl	_ZL26rocblas_syr2k_her2k_kernelIlLb0ELb0ELb0ELi32EdPKdPdEvbiT_T4_T5_S3_lS5_S3_lT6_S3_li ; -- Begin function _ZL26rocblas_syr2k_her2k_kernelIlLb0ELb0ELb0ELi32EdPKdPdEvbiT_T4_T5_S3_lS5_S3_lT6_S3_li
	.p2align	8
	.type	_ZL26rocblas_syr2k_her2k_kernelIlLb0ELb0ELb0ELi32EdPKdPdEvbiT_T4_T5_S3_lS5_S3_lT6_S3_li,@function
_ZL26rocblas_syr2k_her2k_kernelIlLb0ELb0ELb0ELi32EdPKdPdEvbiT_T4_T5_S3_lS5_S3_lT6_S3_li: ; @_ZL26rocblas_syr2k_her2k_kernelIlLb0ELb0ELb0ELi32EdPKdPdEvbiT_T4_T5_S3_lS5_S3_lT6_S3_li
; %bb.0:
	s_load_dwordx16 s[12:27], s[4:5], 0x8
	s_waitcnt lgkmcnt(0)
	v_cmp_eq_f64_e64 s[0:1], s[14:15], 0
	s_and_b64 vcc, exec, s[0:1]
	s_cbranch_vccnz .LBB1001_10
; %bb.1:
	s_load_dwordx2 s[10:11], s[4:5], 0x0
	s_lshl_b32 s3, s7, 5
	s_lshl_b32 s2, s6, 5
	s_waitcnt lgkmcnt(0)
	s_and_b32 s0, 1, s10
	s_cmp_eq_u32 s0, 1
	s_cselect_b64 s[0:1], -1, 0
	s_and_b64 s[6:7], s[0:1], exec
	s_cselect_b32 s6, s2, s3
	s_cselect_b32 s7, s3, s2
	s_cmp_gt_i32 s6, s7
	v_cmp_lt_i64_e64 s[6:7], s[12:13], 1
	s_cselect_b64 s[28:29], -1, 0
	s_or_b64 s[6:7], s[28:29], s[6:7]
	s_and_b64 vcc, exec, s[6:7]
	s_cbranch_vccnz .LBB1001_10
; %bb.2:
	s_load_dwordx2 s[6:7], s[4:5], 0x58
	s_load_dwordx4 s[28:31], s[4:5], 0x48
	v_add_u32_e32 v4, s3, v1
	v_lshlrev_b32_e32 v12, 8, v0
	v_lshlrev_b32_e32 v2, 3, v1
	s_waitcnt lgkmcnt(0)
	s_mul_i32 s3, s7, s8
	s_mul_hi_u32 s5, s6, s8
	s_mul_i32 s4, s6, s8
	s_add_i32 s5, s5, s3
	s_lshl_b64 s[4:5], s[4:5], 3
	s_add_u32 s9, s28, s4
	v_add_u32_e32 v13, v12, v2
	v_or_b32_e32 v14, 0x2000, v2
	v_ashrrev_i32_e32 v2, 31, v4
	s_addc_u32 s10, s29, s5
	v_mul_lo_u32 v11, s30, v2
	v_mul_lo_u32 v16, s31, v4
	v_mad_u64_u32 v[2:3], s[4:5], s30, v4, 0
	v_add_u32_e32 v6, s2, v0
	v_cndmask_b32_e64 v8, v6, v4, s[0:1]
	v_add3_u32 v3, v3, v11, v16
	v_cndmask_b32_e64 v9, v4, v6, s[0:1]
	v_max_i32_e32 v10, v6, v4
	v_lshlrev_b64 v[2:3], 3, v[2:3]
	v_cmp_gt_i32_e32 vcc, s11, v10
	v_cmp_le_i32_e64 s[4:5], v9, v8
	s_and_b64 s[6:7], s[4:5], vcc
	v_ashrrev_i32_e32 v9, 31, v6
	v_mov_b32_e32 v8, v6
	v_mov_b32_e32 v10, s10
	v_add_co_u32_e32 v11, vcc, s9, v2
	v_addc_co_u32_e32 v10, vcc, v10, v3, vcc
	v_lshlrev_b64 v[2:3], 3, v[8:9]
	v_mad_u64_u32 v[8:9], s[4:5], s24, v0, 0
	v_add_co_u32_e32 v2, vcc, v11, v2
	v_addc_co_u32_e32 v3, vcc, v10, v3, vcc
	v_mad_u64_u32 v[9:10], s[4:5], s25, v0, v[9:10]
	s_mul_i32 s9, s27, s8
	s_mul_hi_u32 s10, s26, s8
	v_mov_b32_e32 v7, 0
	s_add_i32 s5, s10, s9
	s_mul_i32 s4, s26, s8
	v_lshlrev_b64 v[8:9], 3, v[8:9]
	s_ashr_i32 s3, s11, 31
	s_mov_b32 s2, s11
	v_mov_b32_e32 v5, v7
	s_lshl_b64 s[4:5], s[4:5], 3
	v_cmp_gt_i64_e64 s[0:1], s[2:3], v[6:7]
	v_cmp_gt_i64_e64 s[2:3], s[2:3], v[4:5]
	v_mov_b32_e32 v10, s5
	v_add_co_u32_e32 v8, vcc, s4, v8
	v_lshlrev_b64 v[4:5], 3, v[4:5]
	v_addc_co_u32_e32 v9, vcc, v10, v9, vcc
	v_add_co_u32_e32 v4, vcc, v8, v4
	v_addc_co_u32_e32 v5, vcc, v9, v5, vcc
	v_mov_b32_e32 v8, s23
	v_add_co_u32_e32 v4, vcc, s22, v4
	v_addc_co_u32_e32 v5, vcc, v8, v5, vcc
	v_mad_u64_u32 v[8:9], s[4:5], s18, v1, 0
	s_mul_i32 s9, s21, s8
	s_mul_hi_u32 s21, s20, s8
	v_mad_u64_u32 v[9:10], s[4:5], s19, v1, v[9:10]
	s_add_i32 s5, s21, s9
	s_mul_i32 s4, s20, s8
	v_lshlrev_b64 v[8:9], 3, v[8:9]
	s_lshl_b64 s[4:5], s[4:5], 3
	v_mov_b32_e32 v10, s5
	v_add_co_u32_e32 v8, vcc, s4, v8
	v_lshlrev_b64 v[6:7], 3, v[6:7]
	v_addc_co_u32_e32 v9, vcc, v10, v9, vcc
	v_add_co_u32_e32 v6, vcc, v8, v6
	v_addc_co_u32_e32 v7, vcc, v9, v7, vcc
	v_mov_b32_e32 v8, s17
	v_add_co_u32_e32 v6, vcc, s16, v6
	v_add_u32_e32 v15, v14, v12
	s_lshl_b64 s[10:11], s[24:25], 8
	v_addc_co_u32_e32 v7, vcc, v8, v7, vcc
	s_lshl_b64 s[8:9], s[18:19], 8
	s_mov_b64 s[16:17], 0
	v_add_u32_e32 v16, 0x800, v14
	v_add_u32_e32 v17, 0x1000, v14
	;; [unrolled: 1-line block ×3, first 2 shown]
	s_branch .LBB1001_4
.LBB1001_3:                             ;   in Loop: Header=BB1001_4 Depth=1
	s_or_b64 exec, exec, s[4:5]
	v_mov_b32_e32 v8, s11
	v_add_co_u32_e32 v4, vcc, s10, v4
	s_add_u32 s16, s16, 32
	v_addc_co_u32_e32 v5, vcc, v5, v8, vcc
	v_mov_b32_e32 v8, s12
	s_addc_u32 s17, s17, 0
	v_mov_b32_e32 v9, s13
	v_cmp_lt_i64_e32 vcc, s[16:17], v[8:9]
	v_mov_b32_e32 v10, s9
	v_add_co_u32_e64 v6, s[4:5], s8, v6
	v_addc_co_u32_e64 v7, s[4:5], v7, v10, s[4:5]
	s_waitcnt vmcnt(0)
	s_barrier
	s_cbranch_vccz .LBB1001_10
.LBB1001_4:                             ; =>This Inner Loop Header: Depth=1
	v_mov_b32_e32 v9, s17
	v_add_co_u32_e32 v8, vcc, s16, v1
	v_addc_co_u32_e32 v9, vcc, 0, v9, vcc
	v_cmp_gt_i64_e32 vcc, s[12:13], v[8:9]
	v_mov_b32_e32 v8, 0
	v_mov_b32_e32 v10, 0
	;; [unrolled: 1-line block ×4, first 2 shown]
	s_and_b64 s[18:19], s[0:1], vcc
	s_and_saveexec_b64 s[4:5], s[18:19]
	s_cbranch_execz .LBB1001_6
; %bb.5:                                ;   in Loop: Header=BB1001_4 Depth=1
	global_load_dwordx2 v[10:11], v[6:7], off
.LBB1001_6:                             ;   in Loop: Header=BB1001_4 Depth=1
	s_or_b64 exec, exec, s[4:5]
	v_mov_b32_e32 v20, s17
	v_add_co_u32_e32 v19, vcc, s16, v0
	v_addc_co_u32_e32 v20, vcc, 0, v20, vcc
	v_cmp_gt_i64_e32 vcc, s[12:13], v[19:20]
	s_waitcnt vmcnt(0)
	ds_write_b64 v13, v[10:11]
	s_and_b64 s[18:19], s[2:3], vcc
	s_and_saveexec_b64 s[4:5], s[18:19]
	s_cbranch_execz .LBB1001_8
; %bb.7:                                ;   in Loop: Header=BB1001_4 Depth=1
	global_load_dwordx2 v[8:9], v[4:5], off
.LBB1001_8:                             ;   in Loop: Header=BB1001_4 Depth=1
	s_or_b64 exec, exec, s[4:5]
	s_waitcnt vmcnt(0)
	ds_write_b64 v15, v[8:9]
	s_waitcnt lgkmcnt(0)
	s_barrier
	s_and_saveexec_b64 s[4:5], s[6:7]
	s_cbranch_execz .LBB1001_3
; %bb.9:                                ;   in Loop: Header=BB1001_4 Depth=1
	ds_read2_b64 v[8:11], v14 offset1:32
	ds_read_b128 v[19:22], v12
	s_waitcnt lgkmcnt(0)
	v_fma_f64 v[8:9], v[19:20], v[8:9], 0
	v_fma_f64 v[23:24], v[21:22], v[10:11], v[8:9]
	ds_read_b128 v[8:11], v12 offset:16
	ds_read2_b64 v[19:22], v14 offset0:64 offset1:96
	s_waitcnt lgkmcnt(0)
	v_fma_f64 v[8:9], v[8:9], v[19:20], v[23:24]
	v_fma_f64 v[23:24], v[10:11], v[21:22], v[8:9]
	ds_read2_b64 v[8:11], v14 offset0:128 offset1:160
	ds_read_b128 v[19:22], v12 offset:32
	s_waitcnt lgkmcnt(0)
	v_fma_f64 v[8:9], v[19:20], v[8:9], v[23:24]
	v_fma_f64 v[23:24], v[21:22], v[10:11], v[8:9]
	ds_read_b128 v[8:11], v12 offset:48
	ds_read2_b64 v[19:22], v14 offset0:192 offset1:224
	s_waitcnt lgkmcnt(0)
	v_fma_f64 v[8:9], v[8:9], v[19:20], v[23:24]
	v_fma_f64 v[23:24], v[10:11], v[21:22], v[8:9]
	ds_read2_b64 v[8:11], v16 offset1:32
	ds_read_b128 v[19:22], v12 offset:64
	s_waitcnt lgkmcnt(0)
	v_fma_f64 v[8:9], v[19:20], v[8:9], v[23:24]
	v_fma_f64 v[23:24], v[21:22], v[10:11], v[8:9]
	ds_read_b128 v[8:11], v12 offset:80
	ds_read2_b64 v[19:22], v16 offset0:64 offset1:96
	s_waitcnt lgkmcnt(0)
	v_fma_f64 v[8:9], v[8:9], v[19:20], v[23:24]
	v_fma_f64 v[23:24], v[10:11], v[21:22], v[8:9]
	ds_read2_b64 v[8:11], v16 offset0:128 offset1:160
	ds_read_b128 v[19:22], v12 offset:96
	s_waitcnt lgkmcnt(0)
	v_fma_f64 v[8:9], v[19:20], v[8:9], v[23:24]
	v_fma_f64 v[23:24], v[21:22], v[10:11], v[8:9]
	ds_read_b128 v[8:11], v12 offset:112
	ds_read2_b64 v[19:22], v16 offset0:192 offset1:224
	s_waitcnt lgkmcnt(0)
	v_fma_f64 v[8:9], v[8:9], v[19:20], v[23:24]
	v_fma_f64 v[23:24], v[10:11], v[21:22], v[8:9]
	ds_read2_b64 v[8:11], v17 offset1:32
	ds_read_b128 v[19:22], v12 offset:128
	s_waitcnt lgkmcnt(0)
	v_fma_f64 v[8:9], v[19:20], v[8:9], v[23:24]
	v_fma_f64 v[23:24], v[21:22], v[10:11], v[8:9]
	ds_read_b128 v[8:11], v12 offset:144
	ds_read2_b64 v[19:22], v17 offset0:64 offset1:96
	s_waitcnt lgkmcnt(0)
	v_fma_f64 v[8:9], v[8:9], v[19:20], v[23:24]
	v_fma_f64 v[23:24], v[10:11], v[21:22], v[8:9]
	ds_read2_b64 v[8:11], v17 offset0:128 offset1:160
	ds_read_b128 v[19:22], v12 offset:160
	s_waitcnt lgkmcnt(0)
	v_fma_f64 v[8:9], v[19:20], v[8:9], v[23:24]
	v_fma_f64 v[23:24], v[21:22], v[10:11], v[8:9]
	ds_read_b128 v[8:11], v12 offset:176
	ds_read2_b64 v[19:22], v17 offset0:192 offset1:224
	s_waitcnt lgkmcnt(0)
	v_fma_f64 v[8:9], v[8:9], v[19:20], v[23:24]
	global_load_dwordx2 v[23:24], v[2:3], off
	v_fma_f64 v[25:26], v[10:11], v[21:22], v[8:9]
	ds_read2_b64 v[8:11], v18 offset1:32
	ds_read_b128 v[19:22], v12 offset:192
	s_waitcnt lgkmcnt(0)
	v_fma_f64 v[8:9], v[19:20], v[8:9], v[25:26]
	v_fma_f64 v[25:26], v[21:22], v[10:11], v[8:9]
	ds_read_b128 v[8:11], v12 offset:208
	ds_read2_b64 v[19:22], v18 offset0:64 offset1:96
	s_waitcnt lgkmcnt(0)
	v_fma_f64 v[8:9], v[8:9], v[19:20], v[25:26]
	v_fma_f64 v[25:26], v[10:11], v[21:22], v[8:9]
	ds_read2_b64 v[8:11], v18 offset0:128 offset1:160
	ds_read_b128 v[19:22], v12 offset:224
	s_waitcnt lgkmcnt(0)
	v_fma_f64 v[8:9], v[19:20], v[8:9], v[25:26]
	v_fma_f64 v[25:26], v[21:22], v[10:11], v[8:9]
	ds_read_b128 v[8:11], v12 offset:240
	ds_read2_b64 v[19:22], v18 offset0:192 offset1:224
	s_waitcnt lgkmcnt(0)
	v_fma_f64 v[8:9], v[8:9], v[19:20], v[25:26]
	v_fma_f64 v[8:9], v[10:11], v[21:22], v[8:9]
	s_waitcnt vmcnt(0)
	v_fma_f64 v[8:9], s[14:15], v[8:9], v[23:24]
	global_store_dwordx2 v[2:3], v[8:9], off
	s_branch .LBB1001_3
.LBB1001_10:
	s_endpgm
	.section	.rodata,"a",@progbits
	.p2align	6, 0x0
	.amdhsa_kernel _ZL26rocblas_syr2k_her2k_kernelIlLb0ELb0ELb0ELi32EdPKdPdEvbiT_T4_T5_S3_lS5_S3_lT6_S3_li
		.amdhsa_group_segment_fixed_size 16384
		.amdhsa_private_segment_fixed_size 0
		.amdhsa_kernarg_size 100
		.amdhsa_user_sgpr_count 6
		.amdhsa_user_sgpr_private_segment_buffer 1
		.amdhsa_user_sgpr_dispatch_ptr 0
		.amdhsa_user_sgpr_queue_ptr 0
		.amdhsa_user_sgpr_kernarg_segment_ptr 1
		.amdhsa_user_sgpr_dispatch_id 0
		.amdhsa_user_sgpr_flat_scratch_init 0
		.amdhsa_user_sgpr_private_segment_size 0
		.amdhsa_uses_dynamic_stack 0
		.amdhsa_system_sgpr_private_segment_wavefront_offset 0
		.amdhsa_system_sgpr_workgroup_id_x 1
		.amdhsa_system_sgpr_workgroup_id_y 1
		.amdhsa_system_sgpr_workgroup_id_z 1
		.amdhsa_system_sgpr_workgroup_info 0
		.amdhsa_system_vgpr_workitem_id 1
		.amdhsa_next_free_vgpr 29
		.amdhsa_next_free_sgpr 61
		.amdhsa_reserve_vcc 1
		.amdhsa_reserve_flat_scratch 0
		.amdhsa_float_round_mode_32 0
		.amdhsa_float_round_mode_16_64 0
		.amdhsa_float_denorm_mode_32 3
		.amdhsa_float_denorm_mode_16_64 3
		.amdhsa_dx10_clamp 1
		.amdhsa_ieee_mode 1
		.amdhsa_fp16_overflow 0
		.amdhsa_exception_fp_ieee_invalid_op 0
		.amdhsa_exception_fp_denorm_src 0
		.amdhsa_exception_fp_ieee_div_zero 0
		.amdhsa_exception_fp_ieee_overflow 0
		.amdhsa_exception_fp_ieee_underflow 0
		.amdhsa_exception_fp_ieee_inexact 0
		.amdhsa_exception_int_div_zero 0
	.end_amdhsa_kernel
	.section	.text._ZL26rocblas_syr2k_her2k_kernelIlLb0ELb0ELb0ELi32EdPKdPdEvbiT_T4_T5_S3_lS5_S3_lT6_S3_li,"axG",@progbits,_ZL26rocblas_syr2k_her2k_kernelIlLb0ELb0ELb0ELi32EdPKdPdEvbiT_T4_T5_S3_lS5_S3_lT6_S3_li,comdat
.Lfunc_end1001:
	.size	_ZL26rocblas_syr2k_her2k_kernelIlLb0ELb0ELb0ELi32EdPKdPdEvbiT_T4_T5_S3_lS5_S3_lT6_S3_li, .Lfunc_end1001-_ZL26rocblas_syr2k_her2k_kernelIlLb0ELb0ELb0ELi32EdPKdPdEvbiT_T4_T5_S3_lS5_S3_lT6_S3_li
                                        ; -- End function
	.set _ZL26rocblas_syr2k_her2k_kernelIlLb0ELb0ELb0ELi32EdPKdPdEvbiT_T4_T5_S3_lS5_S3_lT6_S3_li.num_vgpr, 27
	.set _ZL26rocblas_syr2k_her2k_kernelIlLb0ELb0ELb0ELi32EdPKdPdEvbiT_T4_T5_S3_lS5_S3_lT6_S3_li.num_agpr, 0
	.set _ZL26rocblas_syr2k_her2k_kernelIlLb0ELb0ELb0ELi32EdPKdPdEvbiT_T4_T5_S3_lS5_S3_lT6_S3_li.numbered_sgpr, 32
	.set _ZL26rocblas_syr2k_her2k_kernelIlLb0ELb0ELb0ELi32EdPKdPdEvbiT_T4_T5_S3_lS5_S3_lT6_S3_li.num_named_barrier, 0
	.set _ZL26rocblas_syr2k_her2k_kernelIlLb0ELb0ELb0ELi32EdPKdPdEvbiT_T4_T5_S3_lS5_S3_lT6_S3_li.private_seg_size, 0
	.set _ZL26rocblas_syr2k_her2k_kernelIlLb0ELb0ELb0ELi32EdPKdPdEvbiT_T4_T5_S3_lS5_S3_lT6_S3_li.uses_vcc, 1
	.set _ZL26rocblas_syr2k_her2k_kernelIlLb0ELb0ELb0ELi32EdPKdPdEvbiT_T4_T5_S3_lS5_S3_lT6_S3_li.uses_flat_scratch, 0
	.set _ZL26rocblas_syr2k_her2k_kernelIlLb0ELb0ELb0ELi32EdPKdPdEvbiT_T4_T5_S3_lS5_S3_lT6_S3_li.has_dyn_sized_stack, 0
	.set _ZL26rocblas_syr2k_her2k_kernelIlLb0ELb0ELb0ELi32EdPKdPdEvbiT_T4_T5_S3_lS5_S3_lT6_S3_li.has_recursion, 0
	.set _ZL26rocblas_syr2k_her2k_kernelIlLb0ELb0ELb0ELi32EdPKdPdEvbiT_T4_T5_S3_lS5_S3_lT6_S3_li.has_indirect_call, 0
	.section	.AMDGPU.csdata,"",@progbits
; Kernel info:
; codeLenInByte = 1352
; TotalNumSgprs: 36
; NumVgprs: 27
; ScratchSize: 0
; MemoryBound: 0
; FloatMode: 240
; IeeeMode: 1
; LDSByteSize: 16384 bytes/workgroup (compile time only)
; SGPRBlocks: 8
; VGPRBlocks: 7
; NumSGPRsForWavesPerEU: 65
; NumVGPRsForWavesPerEU: 29
; Occupancy: 8
; WaveLimiterHint : 0
; COMPUTE_PGM_RSRC2:SCRATCH_EN: 0
; COMPUTE_PGM_RSRC2:USER_SGPR: 6
; COMPUTE_PGM_RSRC2:TRAP_HANDLER: 0
; COMPUTE_PGM_RSRC2:TGID_X_EN: 1
; COMPUTE_PGM_RSRC2:TGID_Y_EN: 1
; COMPUTE_PGM_RSRC2:TGID_Z_EN: 1
; COMPUTE_PGM_RSRC2:TIDIG_COMP_CNT: 1
	.section	.text._ZL26rocblas_syr2k_her2k_kernelIlLb0ELb0ELb1ELi32EdPKdPdEvbiT_T4_T5_S3_lS5_S3_lT6_S3_li,"axG",@progbits,_ZL26rocblas_syr2k_her2k_kernelIlLb0ELb0ELb1ELi32EdPKdPdEvbiT_T4_T5_S3_lS5_S3_lT6_S3_li,comdat
	.globl	_ZL26rocblas_syr2k_her2k_kernelIlLb0ELb0ELb1ELi32EdPKdPdEvbiT_T4_T5_S3_lS5_S3_lT6_S3_li ; -- Begin function _ZL26rocblas_syr2k_her2k_kernelIlLb0ELb0ELb1ELi32EdPKdPdEvbiT_T4_T5_S3_lS5_S3_lT6_S3_li
	.p2align	8
	.type	_ZL26rocblas_syr2k_her2k_kernelIlLb0ELb0ELb1ELi32EdPKdPdEvbiT_T4_T5_S3_lS5_S3_lT6_S3_li,@function
_ZL26rocblas_syr2k_her2k_kernelIlLb0ELb0ELb1ELi32EdPKdPdEvbiT_T4_T5_S3_lS5_S3_lT6_S3_li: ; @_ZL26rocblas_syr2k_her2k_kernelIlLb0ELb0ELb1ELi32EdPKdPdEvbiT_T4_T5_S3_lS5_S3_lT6_S3_li
; %bb.0:
	s_load_dwordx16 s[12:27], s[4:5], 0x8
	s_waitcnt lgkmcnt(0)
	v_cmp_eq_f64_e64 s[0:1], s[14:15], 0
	s_and_b64 vcc, exec, s[0:1]
	s_cbranch_vccnz .LBB1002_10
; %bb.1:
	s_load_dwordx2 s[10:11], s[4:5], 0x0
	s_lshl_b32 s3, s7, 5
	s_lshl_b32 s2, s6, 5
	s_waitcnt lgkmcnt(0)
	s_and_b32 s0, 1, s10
	s_cmp_eq_u32 s0, 1
	s_cselect_b64 s[0:1], -1, 0
	s_and_b64 s[6:7], s[0:1], exec
	s_cselect_b32 s6, s2, s3
	s_cselect_b32 s7, s3, s2
	s_cmp_gt_i32 s6, s7
	v_cmp_lt_i64_e64 s[6:7], s[12:13], 1
	s_cselect_b64 s[28:29], -1, 0
	s_or_b64 s[6:7], s[28:29], s[6:7]
	s_and_b64 vcc, exec, s[6:7]
	s_cbranch_vccnz .LBB1002_10
; %bb.2:
	s_load_dwordx2 s[6:7], s[4:5], 0x58
	s_load_dwordx4 s[28:31], s[4:5], 0x48
	v_add_u32_e32 v4, s3, v1
	v_add_u32_e32 v6, s2, v0
	s_mov_b32 s2, s11
	s_waitcnt lgkmcnt(0)
	s_mul_i32 s3, s7, s8
	s_mul_hi_u32 s5, s6, s8
	s_mul_i32 s4, s6, s8
	s_add_i32 s5, s5, s3
	s_lshl_b64 s[4:5], s[4:5], 3
	s_add_u32 s9, s28, s4
	s_addc_u32 s10, s29, s5
	s_ashr_i32 s3, s11, 31
	v_mov_b32_e32 v7, 0
	v_ashrrev_i32_e32 v2, 31, v4
	v_cndmask_b32_e64 v8, v6, v4, s[0:1]
	v_cndmask_b32_e64 v9, v4, v6, s[0:1]
	v_cmp_gt_i64_e64 s[0:1], s[2:3], v[6:7]
	v_mov_b32_e32 v5, v7
	v_mul_lo_u32 v7, s30, v2
	v_mul_lo_u32 v11, s31, v4
	v_mad_u64_u32 v[2:3], s[4:5], s30, v4, 0
	v_cmp_gt_i64_e64 s[2:3], s[2:3], v[4:5]
	v_max_i32_e32 v5, v6, v4
	v_add3_u32 v3, v3, v7, v11
	v_lshlrev_b64 v[2:3], 3, v[2:3]
	v_cmp_gt_i32_e32 vcc, s11, v5
	v_cmp_le_i32_e64 s[4:5], v9, v8
	s_and_b64 s[6:7], s[4:5], vcc
	v_ashrrev_i32_e32 v7, 31, v6
	v_mov_b32_e32 v5, s10
	v_add_co_u32_e32 v9, vcc, s9, v2
	v_addc_co_u32_e32 v5, vcc, v5, v3, vcc
	v_lshlrev_b64 v[2:3], 3, v[6:7]
	v_mad_u64_u32 v[7:8], s[4:5], s24, v4, 0
	v_add_co_u32_e32 v2, vcc, v9, v2
	v_addc_co_u32_e32 v3, vcc, v5, v3, vcc
	v_mov_b32_e32 v5, v8
	v_mad_u64_u32 v[4:5], s[4:5], s25, v4, v[5:6]
	s_mul_i32 s9, s27, s8
	s_mul_hi_u32 s10, s26, s8
	v_mov_b32_e32 v8, v4
	s_add_i32 s5, s10, s9
	s_mul_i32 s4, s26, s8
	v_lshlrev_b64 v[4:5], 3, v[7:8]
	s_lshl_b64 s[4:5], s[4:5], 3
	v_mov_b32_e32 v7, s5
	v_add_co_u32_e32 v4, vcc, s4, v4
	v_addc_co_u32_e32 v5, vcc, v7, v5, vcc
	v_lshlrev_b32_e32 v7, 3, v0
	v_add_co_u32_e32 v4, vcc, v4, v7
	v_mad_u64_u32 v[7:8], s[4:5], s18, v6, 0
	v_addc_co_u32_e32 v5, vcc, 0, v5, vcc
	v_mov_b32_e32 v9, s23
	v_add_co_u32_e32 v4, vcc, s22, v4
	v_addc_co_u32_e32 v5, vcc, v9, v5, vcc
	v_mad_u64_u32 v[8:9], s[4:5], s19, v6, v[8:9]
	s_mul_i32 s9, s21, s8
	s_mul_hi_u32 s10, s20, s8
	s_add_i32 s5, s10, s9
	s_mul_i32 s4, s20, s8
	v_lshlrev_b64 v[6:7], 3, v[7:8]
	s_lshl_b64 s[4:5], s[4:5], 3
	v_mov_b32_e32 v8, s5
	v_add_co_u32_e32 v6, vcc, s4, v6
	v_lshlrev_b32_e32 v10, 3, v1
	v_addc_co_u32_e32 v7, vcc, v8, v7, vcc
	v_add_co_u32_e32 v6, vcc, v6, v10
	v_addc_co_u32_e32 v7, vcc, 0, v7, vcc
	v_lshlrev_b32_e32 v12, 8, v0
	v_or_b32_e32 v14, 0x2000, v10
	v_mov_b32_e32 v8, s17
	v_add_co_u32_e32 v6, vcc, s16, v6
	v_add_u32_e32 v13, v12, v10
	v_add_u32_e32 v15, v14, v12
	v_addc_co_u32_e32 v7, vcc, v8, v7, vcc
	s_mov_b64 s[8:9], 0
	v_add_u32_e32 v16, 0x800, v14
	v_add_u32_e32 v17, 0x1000, v14
	;; [unrolled: 1-line block ×3, first 2 shown]
	s_branch .LBB1002_4
.LBB1002_3:                             ;   in Loop: Header=BB1002_4 Depth=1
	s_or_b64 exec, exec, s[4:5]
	s_add_u32 s8, s8, 32
	v_add_co_u32_e32 v4, vcc, 0x100, v4
	v_mov_b32_e32 v8, s12
	s_addc_u32 s9, s9, 0
	v_addc_co_u32_e32 v5, vcc, 0, v5, vcc
	v_mov_b32_e32 v9, s13
	v_add_co_u32_e32 v6, vcc, 0x100, v6
	v_cmp_lt_i64_e64 s[4:5], s[8:9], v[8:9]
	v_addc_co_u32_e32 v7, vcc, 0, v7, vcc
	s_and_b64 vcc, exec, s[4:5]
	s_waitcnt vmcnt(0)
	s_barrier
	s_cbranch_vccz .LBB1002_10
.LBB1002_4:                             ; =>This Inner Loop Header: Depth=1
	v_mov_b32_e32 v9, s9
	v_add_co_u32_e32 v8, vcc, s8, v1
	v_addc_co_u32_e32 v9, vcc, 0, v9, vcc
	v_cmp_gt_i64_e32 vcc, s[12:13], v[8:9]
	v_mov_b32_e32 v8, 0
	v_mov_b32_e32 v10, 0
	;; [unrolled: 1-line block ×4, first 2 shown]
	s_and_b64 s[10:11], s[0:1], vcc
	s_and_saveexec_b64 s[4:5], s[10:11]
	s_cbranch_execz .LBB1002_6
; %bb.5:                                ;   in Loop: Header=BB1002_4 Depth=1
	global_load_dwordx2 v[10:11], v[6:7], off
.LBB1002_6:                             ;   in Loop: Header=BB1002_4 Depth=1
	s_or_b64 exec, exec, s[4:5]
	v_mov_b32_e32 v20, s9
	v_add_co_u32_e32 v19, vcc, s8, v0
	v_addc_co_u32_e32 v20, vcc, 0, v20, vcc
	v_cmp_gt_i64_e32 vcc, s[12:13], v[19:20]
	s_waitcnt vmcnt(0)
	ds_write_b64 v13, v[10:11]
	s_and_b64 s[10:11], s[2:3], vcc
	s_and_saveexec_b64 s[4:5], s[10:11]
	s_cbranch_execz .LBB1002_8
; %bb.7:                                ;   in Loop: Header=BB1002_4 Depth=1
	global_load_dwordx2 v[8:9], v[4:5], off
.LBB1002_8:                             ;   in Loop: Header=BB1002_4 Depth=1
	s_or_b64 exec, exec, s[4:5]
	s_waitcnt vmcnt(0)
	ds_write_b64 v15, v[8:9]
	s_waitcnt lgkmcnt(0)
	s_barrier
	s_and_saveexec_b64 s[4:5], s[6:7]
	s_cbranch_execz .LBB1002_3
; %bb.9:                                ;   in Loop: Header=BB1002_4 Depth=1
	ds_read2_b64 v[8:11], v14 offset1:32
	ds_read_b128 v[19:22], v12
	s_waitcnt lgkmcnt(0)
	v_fma_f64 v[8:9], v[19:20], v[8:9], 0
	v_fma_f64 v[23:24], v[21:22], v[10:11], v[8:9]
	ds_read_b128 v[8:11], v12 offset:16
	ds_read2_b64 v[19:22], v14 offset0:64 offset1:96
	s_waitcnt lgkmcnt(0)
	v_fma_f64 v[8:9], v[8:9], v[19:20], v[23:24]
	v_fma_f64 v[23:24], v[10:11], v[21:22], v[8:9]
	ds_read2_b64 v[8:11], v14 offset0:128 offset1:160
	ds_read_b128 v[19:22], v12 offset:32
	s_waitcnt lgkmcnt(0)
	v_fma_f64 v[8:9], v[19:20], v[8:9], v[23:24]
	v_fma_f64 v[23:24], v[21:22], v[10:11], v[8:9]
	ds_read_b128 v[8:11], v12 offset:48
	ds_read2_b64 v[19:22], v14 offset0:192 offset1:224
	s_waitcnt lgkmcnt(0)
	v_fma_f64 v[8:9], v[8:9], v[19:20], v[23:24]
	v_fma_f64 v[23:24], v[10:11], v[21:22], v[8:9]
	ds_read2_b64 v[8:11], v16 offset1:32
	ds_read_b128 v[19:22], v12 offset:64
	s_waitcnt lgkmcnt(0)
	v_fma_f64 v[8:9], v[19:20], v[8:9], v[23:24]
	v_fma_f64 v[23:24], v[21:22], v[10:11], v[8:9]
	ds_read_b128 v[8:11], v12 offset:80
	ds_read2_b64 v[19:22], v16 offset0:64 offset1:96
	s_waitcnt lgkmcnt(0)
	v_fma_f64 v[8:9], v[8:9], v[19:20], v[23:24]
	v_fma_f64 v[23:24], v[10:11], v[21:22], v[8:9]
	ds_read2_b64 v[8:11], v16 offset0:128 offset1:160
	ds_read_b128 v[19:22], v12 offset:96
	s_waitcnt lgkmcnt(0)
	v_fma_f64 v[8:9], v[19:20], v[8:9], v[23:24]
	v_fma_f64 v[23:24], v[21:22], v[10:11], v[8:9]
	ds_read_b128 v[8:11], v12 offset:112
	ds_read2_b64 v[19:22], v16 offset0:192 offset1:224
	s_waitcnt lgkmcnt(0)
	v_fma_f64 v[8:9], v[8:9], v[19:20], v[23:24]
	v_fma_f64 v[23:24], v[10:11], v[21:22], v[8:9]
	ds_read2_b64 v[8:11], v17 offset1:32
	ds_read_b128 v[19:22], v12 offset:128
	s_waitcnt lgkmcnt(0)
	v_fma_f64 v[8:9], v[19:20], v[8:9], v[23:24]
	v_fma_f64 v[23:24], v[21:22], v[10:11], v[8:9]
	ds_read_b128 v[8:11], v12 offset:144
	ds_read2_b64 v[19:22], v17 offset0:64 offset1:96
	s_waitcnt lgkmcnt(0)
	v_fma_f64 v[8:9], v[8:9], v[19:20], v[23:24]
	v_fma_f64 v[23:24], v[10:11], v[21:22], v[8:9]
	ds_read2_b64 v[8:11], v17 offset0:128 offset1:160
	ds_read_b128 v[19:22], v12 offset:160
	s_waitcnt lgkmcnt(0)
	v_fma_f64 v[8:9], v[19:20], v[8:9], v[23:24]
	v_fma_f64 v[23:24], v[21:22], v[10:11], v[8:9]
	ds_read_b128 v[8:11], v12 offset:176
	ds_read2_b64 v[19:22], v17 offset0:192 offset1:224
	s_waitcnt lgkmcnt(0)
	v_fma_f64 v[8:9], v[8:9], v[19:20], v[23:24]
	global_load_dwordx2 v[23:24], v[2:3], off
	v_fma_f64 v[25:26], v[10:11], v[21:22], v[8:9]
	ds_read2_b64 v[8:11], v18 offset1:32
	ds_read_b128 v[19:22], v12 offset:192
	s_waitcnt lgkmcnt(0)
	v_fma_f64 v[8:9], v[19:20], v[8:9], v[25:26]
	v_fma_f64 v[25:26], v[21:22], v[10:11], v[8:9]
	ds_read_b128 v[8:11], v12 offset:208
	ds_read2_b64 v[19:22], v18 offset0:64 offset1:96
	s_waitcnt lgkmcnt(0)
	v_fma_f64 v[8:9], v[8:9], v[19:20], v[25:26]
	v_fma_f64 v[25:26], v[10:11], v[21:22], v[8:9]
	ds_read2_b64 v[8:11], v18 offset0:128 offset1:160
	ds_read_b128 v[19:22], v12 offset:224
	s_waitcnt lgkmcnt(0)
	v_fma_f64 v[8:9], v[19:20], v[8:9], v[25:26]
	v_fma_f64 v[25:26], v[21:22], v[10:11], v[8:9]
	ds_read_b128 v[8:11], v12 offset:240
	ds_read2_b64 v[19:22], v18 offset0:192 offset1:224
	s_waitcnt lgkmcnt(0)
	v_fma_f64 v[8:9], v[8:9], v[19:20], v[25:26]
	v_fma_f64 v[8:9], v[10:11], v[21:22], v[8:9]
	s_waitcnt vmcnt(0)
	v_fma_f64 v[8:9], s[14:15], v[8:9], v[23:24]
	global_store_dwordx2 v[2:3], v[8:9], off
	s_branch .LBB1002_3
.LBB1002_10:
	s_endpgm
	.section	.rodata,"a",@progbits
	.p2align	6, 0x0
	.amdhsa_kernel _ZL26rocblas_syr2k_her2k_kernelIlLb0ELb0ELb1ELi32EdPKdPdEvbiT_T4_T5_S3_lS5_S3_lT6_S3_li
		.amdhsa_group_segment_fixed_size 16384
		.amdhsa_private_segment_fixed_size 0
		.amdhsa_kernarg_size 100
		.amdhsa_user_sgpr_count 6
		.amdhsa_user_sgpr_private_segment_buffer 1
		.amdhsa_user_sgpr_dispatch_ptr 0
		.amdhsa_user_sgpr_queue_ptr 0
		.amdhsa_user_sgpr_kernarg_segment_ptr 1
		.amdhsa_user_sgpr_dispatch_id 0
		.amdhsa_user_sgpr_flat_scratch_init 0
		.amdhsa_user_sgpr_private_segment_size 0
		.amdhsa_uses_dynamic_stack 0
		.amdhsa_system_sgpr_private_segment_wavefront_offset 0
		.amdhsa_system_sgpr_workgroup_id_x 1
		.amdhsa_system_sgpr_workgroup_id_y 1
		.amdhsa_system_sgpr_workgroup_id_z 1
		.amdhsa_system_sgpr_workgroup_info 0
		.amdhsa_system_vgpr_workitem_id 1
		.amdhsa_next_free_vgpr 29
		.amdhsa_next_free_sgpr 61
		.amdhsa_reserve_vcc 1
		.amdhsa_reserve_flat_scratch 0
		.amdhsa_float_round_mode_32 0
		.amdhsa_float_round_mode_16_64 0
		.amdhsa_float_denorm_mode_32 3
		.amdhsa_float_denorm_mode_16_64 3
		.amdhsa_dx10_clamp 1
		.amdhsa_ieee_mode 1
		.amdhsa_fp16_overflow 0
		.amdhsa_exception_fp_ieee_invalid_op 0
		.amdhsa_exception_fp_denorm_src 0
		.amdhsa_exception_fp_ieee_div_zero 0
		.amdhsa_exception_fp_ieee_overflow 0
		.amdhsa_exception_fp_ieee_underflow 0
		.amdhsa_exception_fp_ieee_inexact 0
		.amdhsa_exception_int_div_zero 0
	.end_amdhsa_kernel
	.section	.text._ZL26rocblas_syr2k_her2k_kernelIlLb0ELb0ELb1ELi32EdPKdPdEvbiT_T4_T5_S3_lS5_S3_lT6_S3_li,"axG",@progbits,_ZL26rocblas_syr2k_her2k_kernelIlLb0ELb0ELb1ELi32EdPKdPdEvbiT_T4_T5_S3_lS5_S3_lT6_S3_li,comdat
.Lfunc_end1002:
	.size	_ZL26rocblas_syr2k_her2k_kernelIlLb0ELb0ELb1ELi32EdPKdPdEvbiT_T4_T5_S3_lS5_S3_lT6_S3_li, .Lfunc_end1002-_ZL26rocblas_syr2k_her2k_kernelIlLb0ELb0ELb1ELi32EdPKdPdEvbiT_T4_T5_S3_lS5_S3_lT6_S3_li
                                        ; -- End function
	.set _ZL26rocblas_syr2k_her2k_kernelIlLb0ELb0ELb1ELi32EdPKdPdEvbiT_T4_T5_S3_lS5_S3_lT6_S3_li.num_vgpr, 27
	.set _ZL26rocblas_syr2k_her2k_kernelIlLb0ELb0ELb1ELi32EdPKdPdEvbiT_T4_T5_S3_lS5_S3_lT6_S3_li.num_agpr, 0
	.set _ZL26rocblas_syr2k_her2k_kernelIlLb0ELb0ELb1ELi32EdPKdPdEvbiT_T4_T5_S3_lS5_S3_lT6_S3_li.numbered_sgpr, 32
	.set _ZL26rocblas_syr2k_her2k_kernelIlLb0ELb0ELb1ELi32EdPKdPdEvbiT_T4_T5_S3_lS5_S3_lT6_S3_li.num_named_barrier, 0
	.set _ZL26rocblas_syr2k_her2k_kernelIlLb0ELb0ELb1ELi32EdPKdPdEvbiT_T4_T5_S3_lS5_S3_lT6_S3_li.private_seg_size, 0
	.set _ZL26rocblas_syr2k_her2k_kernelIlLb0ELb0ELb1ELi32EdPKdPdEvbiT_T4_T5_S3_lS5_S3_lT6_S3_li.uses_vcc, 1
	.set _ZL26rocblas_syr2k_her2k_kernelIlLb0ELb0ELb1ELi32EdPKdPdEvbiT_T4_T5_S3_lS5_S3_lT6_S3_li.uses_flat_scratch, 0
	.set _ZL26rocblas_syr2k_her2k_kernelIlLb0ELb0ELb1ELi32EdPKdPdEvbiT_T4_T5_S3_lS5_S3_lT6_S3_li.has_dyn_sized_stack, 0
	.set _ZL26rocblas_syr2k_her2k_kernelIlLb0ELb0ELb1ELi32EdPKdPdEvbiT_T4_T5_S3_lS5_S3_lT6_S3_li.has_recursion, 0
	.set _ZL26rocblas_syr2k_her2k_kernelIlLb0ELb0ELb1ELi32EdPKdPdEvbiT_T4_T5_S3_lS5_S3_lT6_S3_li.has_indirect_call, 0
	.section	.AMDGPU.csdata,"",@progbits
; Kernel info:
; codeLenInByte = 1336
; TotalNumSgprs: 36
; NumVgprs: 27
; ScratchSize: 0
; MemoryBound: 0
; FloatMode: 240
; IeeeMode: 1
; LDSByteSize: 16384 bytes/workgroup (compile time only)
; SGPRBlocks: 8
; VGPRBlocks: 7
; NumSGPRsForWavesPerEU: 65
; NumVGPRsForWavesPerEU: 29
; Occupancy: 8
; WaveLimiterHint : 0
; COMPUTE_PGM_RSRC2:SCRATCH_EN: 0
; COMPUTE_PGM_RSRC2:USER_SGPR: 6
; COMPUTE_PGM_RSRC2:TRAP_HANDLER: 0
; COMPUTE_PGM_RSRC2:TGID_X_EN: 1
; COMPUTE_PGM_RSRC2:TGID_Y_EN: 1
; COMPUTE_PGM_RSRC2:TGID_Z_EN: 1
; COMPUTE_PGM_RSRC2:TIDIG_COMP_CNT: 1
	.section	.text._ZL37rocblas_syrkx_herkx_restricted_kernelIldLi16ELi32ELi8ELi1ELi1ELb0ELc84ELc76EKddEviT_PT9_S1_lS3_S1_lPT10_S1_li,"axG",@progbits,_ZL37rocblas_syrkx_herkx_restricted_kernelIldLi16ELi32ELi8ELi1ELi1ELb0ELc84ELc76EKddEviT_PT9_S1_lS3_S1_lPT10_S1_li,comdat
	.globl	_ZL37rocblas_syrkx_herkx_restricted_kernelIldLi16ELi32ELi8ELi1ELi1ELb0ELc84ELc76EKddEviT_PT9_S1_lS3_S1_lPT10_S1_li ; -- Begin function _ZL37rocblas_syrkx_herkx_restricted_kernelIldLi16ELi32ELi8ELi1ELi1ELb0ELc84ELc76EKddEviT_PT9_S1_lS3_S1_lPT10_S1_li
	.p2align	8
	.type	_ZL37rocblas_syrkx_herkx_restricted_kernelIldLi16ELi32ELi8ELi1ELi1ELb0ELc84ELc76EKddEviT_PT9_S1_lS3_S1_lPT10_S1_li,@function
_ZL37rocblas_syrkx_herkx_restricted_kernelIldLi16ELi32ELi8ELi1ELi1ELb0ELc84ELc76EKddEviT_PT9_S1_lS3_S1_lPT10_S1_li: ; @_ZL37rocblas_syrkx_herkx_restricted_kernelIldLi16ELi32ELi8ELi1ELi1ELb0ELc84ELc76EKddEviT_PT9_S1_lS3_S1_lPT10_S1_li
; %bb.0:
	s_load_dwordx16 s[12:27], s[4:5], 0x8
	s_lshl_b32 s2, s6, 5
	s_lshl_b32 s3, s7, 5
	s_waitcnt lgkmcnt(0)
	v_cmp_lt_i64_e64 s[0:1], s[12:13], 1
	s_and_b64 vcc, exec, s[0:1]
	s_cbranch_vccnz .LBB1003_3
; %bb.1:
	v_lshl_add_u32 v4, v1, 4, v0
	v_lshrrev_b32_e32 v8, 3, v4
	v_add_u32_e32 v5, s3, v8
	v_ashrrev_i32_e32 v6, 31, v5
	v_and_b32_e32 v2, 7, v0
	v_mov_b32_e32 v3, 0
	v_mul_lo_u32 v9, s22, v6
	v_mul_lo_u32 v10, s23, v5
	v_mad_u64_u32 v[6:7], s[0:1], s22, v5, v[2:3]
	v_lshlrev_b32_e32 v2, 3, v2
	v_lshl_or_b32 v2, v8, 6, v2
	v_add3_u32 v7, v10, v7, v9
	v_and_b32_e32 v9, 31, v4
	v_add_u32_e32 v15, 0x800, v2
	v_mov_b32_e32 v2, 0x800
	v_add_u32_e32 v8, s2, v9
	v_lshrrev_b32_e32 v4, 5, v4
	v_mov_b32_e32 v5, v3
	v_lshlrev_b32_e32 v3, 3, v9
	v_lshl_add_u32 v17, v1, 6, v2
	v_ashrrev_i32_e32 v2, 31, v8
	v_lshl_or_b32 v14, v4, 8, v3
	v_mul_lo_u32 v9, s16, v2
	v_mad_u64_u32 v[2:3], s[0:1], s16, v8, v[4:5]
	v_mul_lo_u32 v4, s17, v8
	s_mul_i32 s6, s19, s8
	s_mul_hi_u32 s7, s18, s8
	s_add_i32 s1, s7, s6
	s_mul_i32 s0, s18, s8
	s_lshl_b64 s[0:1], s[0:1], 3
	v_add3_u32 v3, v4, v3, v9
	v_lshlrev_b64 v[2:3], 3, v[2:3]
	s_add_u32 s0, s14, s0
	s_addc_u32 s1, s15, s1
	v_mov_b32_e32 v5, s1
	v_add_co_u32_e32 v4, vcc, s0, v2
	s_mul_i32 s0, s25, s8
	s_mul_hi_u32 s1, s24, s8
	s_add_i32 s1, s1, s0
	s_mul_i32 s0, s24, s8
	s_lshl_b64 s[0:1], s[0:1], 3
	v_addc_co_u32_e32 v5, vcc, v5, v3, vcc
	v_lshlrev_b64 v[2:3], 3, v[6:7]
	s_add_u32 s0, s20, s0
	s_addc_u32 s1, s21, s1
	v_mov_b32_e32 v7, s1
	v_add_co_u32_e32 v6, vcc, s0, v2
	v_addc_co_u32_e32 v7, vcc, v7, v3, vcc
	v_mov_b32_e32 v2, 0
	v_mov_b32_e32 v8, 0
	v_mov_b32_e32 v10, 0
	v_mov_b32_e32 v12, 0
	v_lshlrev_b32_e32 v16, 3, v0
	v_mov_b32_e32 v3, 0
	v_mov_b32_e32 v9, 0
	;; [unrolled: 1-line block ×4, first 2 shown]
	s_mov_b64 s[0:1], 0
.LBB1003_2:                             ; =>This Inner Loop Header: Depth=1
	global_load_dwordx2 v[18:19], v[4:5], off
	global_load_dwordx2 v[20:21], v[6:7], off
	s_add_u32 s0, s0, 8
	v_add_co_u32_e32 v4, vcc, 64, v4
	v_addc_co_u32_e32 v5, vcc, 0, v5, vcc
	s_addc_u32 s1, s1, 0
	v_add_co_u32_e32 v6, vcc, 64, v6
	v_addc_co_u32_e32 v7, vcc, 0, v7, vcc
	s_waitcnt vmcnt(1)
	ds_write_b64 v14, v[18:19]
	s_waitcnt vmcnt(0)
	ds_write_b64 v15, v[20:21]
	s_waitcnt lgkmcnt(0)
	s_barrier
	ds_read2_b64 v[18:21], v16 offset1:16
	ds_read_b128 v[22:25], v17
	ds_read_b128 v[26:29], v17 offset:1024
	ds_read_b128 v[30:33], v17 offset:16
	s_waitcnt lgkmcnt(2)
	v_fma_f64 v[34:35], v[18:19], v[22:23], v[12:13]
	v_fma_f64 v[22:23], v[20:21], v[22:23], v[10:11]
	s_waitcnt lgkmcnt(1)
	v_fma_f64 v[8:9], v[18:19], v[26:27], v[8:9]
	v_fma_f64 v[2:3], v[20:21], v[26:27], v[2:3]
	ds_read2_b64 v[18:21], v16 offset0:32 offset1:48
	ds_read_b128 v[10:13], v17 offset:1040
	s_waitcnt lgkmcnt(1)
	v_fma_f64 v[26:27], v[18:19], v[24:25], v[34:35]
	v_fma_f64 v[34:35], v[20:21], v[24:25], v[22:23]
	;; [unrolled: 1-line block ×4, first 2 shown]
	ds_read2_b64 v[18:21], v16 offset0:64 offset1:80
	ds_read2_b64 v[22:25], v16 offset0:96 offset1:112
	s_waitcnt lgkmcnt(1)
	v_fma_f64 v[26:27], v[18:19], v[30:31], v[26:27]
	v_fma_f64 v[28:29], v[20:21], v[30:31], v[34:35]
	;; [unrolled: 1-line block ×4, first 2 shown]
	ds_read2_b64 v[8:11], v16 offset0:128 offset1:144
	ds_read_b128 v[18:21], v17 offset:32
	s_waitcnt lgkmcnt(2)
	v_fma_f64 v[34:35], v[22:23], v[32:33], v[26:27]
	v_fma_f64 v[32:33], v[24:25], v[32:33], v[28:29]
	;; [unrolled: 1-line block ×4, first 2 shown]
	ds_read_b128 v[22:25], v17 offset:1056
	ds_read_b128 v[26:29], v17 offset:48
	s_waitcnt lgkmcnt(2)
	v_fma_f64 v[12:13], v[8:9], v[18:19], v[34:35]
	v_fma_f64 v[18:19], v[10:11], v[18:19], v[32:33]
	s_waitcnt lgkmcnt(1)
	v_fma_f64 v[34:35], v[8:9], v[22:23], v[36:37]
	v_fma_f64 v[2:3], v[10:11], v[22:23], v[2:3]
	ds_read2_b64 v[8:11], v16 offset0:160 offset1:176
	ds_read_b128 v[30:33], v17 offset:1072
	v_mov_b32_e32 v23, s1
	v_mov_b32_e32 v22, s0
	v_cmp_le_u64_e32 vcc, s[12:13], v[22:23]
	s_waitcnt lgkmcnt(1)
	v_fma_f64 v[12:13], v[8:9], v[20:21], v[12:13]
	v_fma_f64 v[18:19], v[10:11], v[20:21], v[18:19]
	;; [unrolled: 1-line block ×4, first 2 shown]
	ds_read2_b64 v[8:11], v16 offset0:192 offset1:208
	s_and_b64 vcc, exec, vcc
	s_waitcnt lgkmcnt(0)
	v_fma_f64 v[12:13], v[8:9], v[26:27], v[12:13]
	v_fma_f64 v[24:25], v[10:11], v[26:27], v[18:19]
	;; [unrolled: 1-line block ×4, first 2 shown]
	ds_read2_b64 v[18:21], v16 offset0:224 offset1:240
	s_waitcnt lgkmcnt(0)
	s_barrier
	v_fma_f64 v[12:13], v[18:19], v[28:29], v[12:13]
	v_fma_f64 v[10:11], v[20:21], v[28:29], v[24:25]
	;; [unrolled: 1-line block ×4, first 2 shown]
	s_cbranch_vccz .LBB1003_2
	s_branch .LBB1003_4
.LBB1003_3:
	v_mov_b32_e32 v12, 0
	v_mov_b32_e32 v10, 0
	;; [unrolled: 1-line block ×8, first 2 shown]
.LBB1003_4:
	s_load_dwordx4 s[12:15], s[4:5], 0x48
	s_load_dword s9, s[4:5], 0x0
	v_add_u32_e32 v6, s3, v1
	v_ashrrev_i32_e32 v1, 31, v6
	v_add_u32_e32 v0, s2, v0
	s_waitcnt lgkmcnt(0)
	v_mul_lo_u32 v1, s12, v1
	v_mul_lo_u32 v7, s13, v6
	v_mad_u64_u32 v[4:5], s[4:5], s12, v6, 0
	s_mul_i32 s1, s15, s8
	s_mul_hi_u32 s3, s14, s8
	s_mul_i32 s0, s14, s8
	s_add_i32 s1, s3, s1
	s_lshl_b64 s[0:1], s[0:1], 3
	v_add3_u32 v5, v5, v1, v7
	s_add_u32 s6, s26, s0
	v_lshlrev_b64 v[4:5], 3, v[4:5]
	s_addc_u32 s7, s27, s1
	v_mov_b32_e32 v1, s7
	v_add_co_u32_e32 v7, vcc, s6, v4
	v_addc_co_u32_e32 v14, vcc, v1, v5, vcc
	v_cmp_le_i32_e64 s[0:1], v6, v0
	v_cmp_gt_i32_e32 vcc, s9, v0
	s_and_b64 s[0:1], s[0:1], vcc
	s_and_saveexec_b64 s[2:3], s[0:1]
	s_cbranch_execz .LBB1003_6
; %bb.5:
	v_ashrrev_i32_e32 v1, 31, v0
	v_lshlrev_b64 v[4:5], 3, v[0:1]
	v_add_co_u32_e64 v4, s[0:1], v7, v4
	v_addc_co_u32_e64 v5, s[0:1], v14, v5, s[0:1]
	global_load_dwordx2 v[15:16], v[4:5], off
	s_waitcnt vmcnt(0)
	v_add_f64 v[12:13], v[12:13], v[15:16]
	global_store_dwordx2 v[4:5], v[12:13], off
.LBB1003_6:
	s_or_b64 exec, exec, s[2:3]
	v_add_u32_e32 v4, 16, v0
	v_cmp_le_i32_e64 s[2:3], v6, v4
	v_cmp_gt_i32_e64 s[0:1], s9, v4
	s_and_b64 s[2:3], s[2:3], s[0:1]
	s_and_saveexec_b64 s[4:5], s[2:3]
	s_cbranch_execz .LBB1003_8
; %bb.7:
	v_ashrrev_i32_e32 v5, 31, v4
	v_lshlrev_b64 v[12:13], 3, v[4:5]
	v_add_co_u32_e64 v12, s[2:3], v7, v12
	v_addc_co_u32_e64 v13, s[2:3], v14, v13, s[2:3]
	global_load_dwordx2 v[14:15], v[12:13], off
	s_waitcnt vmcnt(0)
	v_add_f64 v[10:11], v[10:11], v[14:15]
	global_store_dwordx2 v[12:13], v[10:11], off
.LBB1003_8:
	s_or_b64 exec, exec, s[4:5]
	v_add_u32_e32 v5, 16, v6
	v_ashrrev_i32_e32 v1, 31, v5
	v_mul_lo_u32 v10, s13, v5
	v_mad_u64_u32 v[6:7], s[2:3], s12, v5, 0
	v_mul_lo_u32 v1, s12, v1
	v_add3_u32 v7, v7, v1, v10
	v_lshlrev_b64 v[6:7], 3, v[6:7]
	v_mov_b32_e32 v1, s7
	v_add_co_u32_e64 v6, s[2:3], s6, v6
	v_addc_co_u32_e64 v7, s[2:3], v1, v7, s[2:3]
	v_cmp_le_i32_e64 s[2:3], v5, v0
	s_and_b64 s[4:5], s[2:3], vcc
	s_and_saveexec_b64 s[2:3], s[4:5]
	s_cbranch_execz .LBB1003_10
; %bb.9:
	v_ashrrev_i32_e32 v1, 31, v0
	v_lshlrev_b64 v[0:1], 3, v[0:1]
	v_add_co_u32_e32 v0, vcc, v6, v0
	v_addc_co_u32_e32 v1, vcc, v7, v1, vcc
	global_load_dwordx2 v[10:11], v[0:1], off
	s_waitcnt vmcnt(0)
	v_add_f64 v[8:9], v[8:9], v[10:11]
	global_store_dwordx2 v[0:1], v[8:9], off
.LBB1003_10:
	s_or_b64 exec, exec, s[2:3]
	v_cmp_le_i32_e32 vcc, v5, v4
	s_and_b64 s[0:1], vcc, s[0:1]
	s_and_saveexec_b64 s[2:3], s[0:1]
	s_cbranch_execz .LBB1003_12
; %bb.11:
	v_ashrrev_i32_e32 v5, 31, v4
	v_lshlrev_b64 v[0:1], 3, v[4:5]
	v_add_co_u32_e32 v0, vcc, v6, v0
	v_addc_co_u32_e32 v1, vcc, v7, v1, vcc
	global_load_dwordx2 v[4:5], v[0:1], off
	s_waitcnt vmcnt(0)
	v_add_f64 v[2:3], v[2:3], v[4:5]
	global_store_dwordx2 v[0:1], v[2:3], off
.LBB1003_12:
	s_endpgm
	.section	.rodata,"a",@progbits
	.p2align	6, 0x0
	.amdhsa_kernel _ZL37rocblas_syrkx_herkx_restricted_kernelIldLi16ELi32ELi8ELi1ELi1ELb0ELc84ELc76EKddEviT_PT9_S1_lS3_S1_lPT10_S1_li
		.amdhsa_group_segment_fixed_size 4096
		.amdhsa_private_segment_fixed_size 0
		.amdhsa_kernarg_size 92
		.amdhsa_user_sgpr_count 6
		.amdhsa_user_sgpr_private_segment_buffer 1
		.amdhsa_user_sgpr_dispatch_ptr 0
		.amdhsa_user_sgpr_queue_ptr 0
		.amdhsa_user_sgpr_kernarg_segment_ptr 1
		.amdhsa_user_sgpr_dispatch_id 0
		.amdhsa_user_sgpr_flat_scratch_init 0
		.amdhsa_user_sgpr_private_segment_size 0
		.amdhsa_uses_dynamic_stack 0
		.amdhsa_system_sgpr_private_segment_wavefront_offset 0
		.amdhsa_system_sgpr_workgroup_id_x 1
		.amdhsa_system_sgpr_workgroup_id_y 1
		.amdhsa_system_sgpr_workgroup_id_z 1
		.amdhsa_system_sgpr_workgroup_info 0
		.amdhsa_system_vgpr_workitem_id 1
		.amdhsa_next_free_vgpr 38
		.amdhsa_next_free_sgpr 28
		.amdhsa_reserve_vcc 1
		.amdhsa_reserve_flat_scratch 0
		.amdhsa_float_round_mode_32 0
		.amdhsa_float_round_mode_16_64 0
		.amdhsa_float_denorm_mode_32 3
		.amdhsa_float_denorm_mode_16_64 3
		.amdhsa_dx10_clamp 1
		.amdhsa_ieee_mode 1
		.amdhsa_fp16_overflow 0
		.amdhsa_exception_fp_ieee_invalid_op 0
		.amdhsa_exception_fp_denorm_src 0
		.amdhsa_exception_fp_ieee_div_zero 0
		.amdhsa_exception_fp_ieee_overflow 0
		.amdhsa_exception_fp_ieee_underflow 0
		.amdhsa_exception_fp_ieee_inexact 0
		.amdhsa_exception_int_div_zero 0
	.end_amdhsa_kernel
	.section	.text._ZL37rocblas_syrkx_herkx_restricted_kernelIldLi16ELi32ELi8ELi1ELi1ELb0ELc84ELc76EKddEviT_PT9_S1_lS3_S1_lPT10_S1_li,"axG",@progbits,_ZL37rocblas_syrkx_herkx_restricted_kernelIldLi16ELi32ELi8ELi1ELi1ELb0ELc84ELc76EKddEviT_PT9_S1_lS3_S1_lPT10_S1_li,comdat
.Lfunc_end1003:
	.size	_ZL37rocblas_syrkx_herkx_restricted_kernelIldLi16ELi32ELi8ELi1ELi1ELb0ELc84ELc76EKddEviT_PT9_S1_lS3_S1_lPT10_S1_li, .Lfunc_end1003-_ZL37rocblas_syrkx_herkx_restricted_kernelIldLi16ELi32ELi8ELi1ELi1ELb0ELc84ELc76EKddEviT_PT9_S1_lS3_S1_lPT10_S1_li
                                        ; -- End function
	.set _ZL37rocblas_syrkx_herkx_restricted_kernelIldLi16ELi32ELi8ELi1ELi1ELb0ELc84ELc76EKddEviT_PT9_S1_lS3_S1_lPT10_S1_li.num_vgpr, 38
	.set _ZL37rocblas_syrkx_herkx_restricted_kernelIldLi16ELi32ELi8ELi1ELi1ELb0ELc84ELc76EKddEviT_PT9_S1_lS3_S1_lPT10_S1_li.num_agpr, 0
	.set _ZL37rocblas_syrkx_herkx_restricted_kernelIldLi16ELi32ELi8ELi1ELi1ELb0ELc84ELc76EKddEviT_PT9_S1_lS3_S1_lPT10_S1_li.numbered_sgpr, 28
	.set _ZL37rocblas_syrkx_herkx_restricted_kernelIldLi16ELi32ELi8ELi1ELi1ELb0ELc84ELc76EKddEviT_PT9_S1_lS3_S1_lPT10_S1_li.num_named_barrier, 0
	.set _ZL37rocblas_syrkx_herkx_restricted_kernelIldLi16ELi32ELi8ELi1ELi1ELb0ELc84ELc76EKddEviT_PT9_S1_lS3_S1_lPT10_S1_li.private_seg_size, 0
	.set _ZL37rocblas_syrkx_herkx_restricted_kernelIldLi16ELi32ELi8ELi1ELi1ELb0ELc84ELc76EKddEviT_PT9_S1_lS3_S1_lPT10_S1_li.uses_vcc, 1
	.set _ZL37rocblas_syrkx_herkx_restricted_kernelIldLi16ELi32ELi8ELi1ELi1ELb0ELc84ELc76EKddEviT_PT9_S1_lS3_S1_lPT10_S1_li.uses_flat_scratch, 0
	.set _ZL37rocblas_syrkx_herkx_restricted_kernelIldLi16ELi32ELi8ELi1ELi1ELb0ELc84ELc76EKddEviT_PT9_S1_lS3_S1_lPT10_S1_li.has_dyn_sized_stack, 0
	.set _ZL37rocblas_syrkx_herkx_restricted_kernelIldLi16ELi32ELi8ELi1ELi1ELb0ELc84ELc76EKddEviT_PT9_S1_lS3_S1_lPT10_S1_li.has_recursion, 0
	.set _ZL37rocblas_syrkx_herkx_restricted_kernelIldLi16ELi32ELi8ELi1ELi1ELb0ELc84ELc76EKddEviT_PT9_S1_lS3_S1_lPT10_S1_li.has_indirect_call, 0
	.section	.AMDGPU.csdata,"",@progbits
; Kernel info:
; codeLenInByte = 1384
; TotalNumSgprs: 32
; NumVgprs: 38
; ScratchSize: 0
; MemoryBound: 0
; FloatMode: 240
; IeeeMode: 1
; LDSByteSize: 4096 bytes/workgroup (compile time only)
; SGPRBlocks: 3
; VGPRBlocks: 9
; NumSGPRsForWavesPerEU: 32
; NumVGPRsForWavesPerEU: 38
; Occupancy: 6
; WaveLimiterHint : 1
; COMPUTE_PGM_RSRC2:SCRATCH_EN: 0
; COMPUTE_PGM_RSRC2:USER_SGPR: 6
; COMPUTE_PGM_RSRC2:TRAP_HANDLER: 0
; COMPUTE_PGM_RSRC2:TGID_X_EN: 1
; COMPUTE_PGM_RSRC2:TGID_Y_EN: 1
; COMPUTE_PGM_RSRC2:TGID_Z_EN: 1
; COMPUTE_PGM_RSRC2:TIDIG_COMP_CNT: 1
	.section	.text._ZL37rocblas_syrkx_herkx_restricted_kernelIldLi16ELi32ELi8ELi1ELi1ELb0ELc67ELc76EKddEviT_PT9_S1_lS3_S1_lPT10_S1_li,"axG",@progbits,_ZL37rocblas_syrkx_herkx_restricted_kernelIldLi16ELi32ELi8ELi1ELi1ELb0ELc67ELc76EKddEviT_PT9_S1_lS3_S1_lPT10_S1_li,comdat
	.globl	_ZL37rocblas_syrkx_herkx_restricted_kernelIldLi16ELi32ELi8ELi1ELi1ELb0ELc67ELc76EKddEviT_PT9_S1_lS3_S1_lPT10_S1_li ; -- Begin function _ZL37rocblas_syrkx_herkx_restricted_kernelIldLi16ELi32ELi8ELi1ELi1ELb0ELc67ELc76EKddEviT_PT9_S1_lS3_S1_lPT10_S1_li
	.p2align	8
	.type	_ZL37rocblas_syrkx_herkx_restricted_kernelIldLi16ELi32ELi8ELi1ELi1ELb0ELc67ELc76EKddEviT_PT9_S1_lS3_S1_lPT10_S1_li,@function
_ZL37rocblas_syrkx_herkx_restricted_kernelIldLi16ELi32ELi8ELi1ELi1ELb0ELc67ELc76EKddEviT_PT9_S1_lS3_S1_lPT10_S1_li: ; @_ZL37rocblas_syrkx_herkx_restricted_kernelIldLi16ELi32ELi8ELi1ELi1ELb0ELc67ELc76EKddEviT_PT9_S1_lS3_S1_lPT10_S1_li
; %bb.0:
	s_load_dwordx16 s[12:27], s[4:5], 0x8
	s_lshl_b32 s2, s6, 5
	s_lshl_b32 s3, s7, 5
	s_waitcnt lgkmcnt(0)
	v_cmp_lt_i64_e64 s[0:1], s[12:13], 1
	s_and_b64 vcc, exec, s[0:1]
	s_cbranch_vccnz .LBB1004_3
; %bb.1:
	v_lshl_add_u32 v4, v1, 4, v0
	v_lshrrev_b32_e32 v8, 3, v4
	v_add_u32_e32 v5, s3, v8
	v_ashrrev_i32_e32 v6, 31, v5
	v_and_b32_e32 v2, 7, v0
	v_mov_b32_e32 v3, 0
	v_mul_lo_u32 v9, s22, v6
	v_mul_lo_u32 v10, s23, v5
	v_mad_u64_u32 v[6:7], s[0:1], s22, v5, v[2:3]
	v_lshlrev_b32_e32 v2, 3, v2
	v_lshl_or_b32 v2, v8, 6, v2
	v_add3_u32 v7, v10, v7, v9
	v_and_b32_e32 v9, 31, v4
	v_add_u32_e32 v15, 0x800, v2
	v_mov_b32_e32 v2, 0x800
	v_add_u32_e32 v8, s2, v9
	v_lshrrev_b32_e32 v4, 5, v4
	v_mov_b32_e32 v5, v3
	v_lshlrev_b32_e32 v3, 3, v9
	v_lshl_add_u32 v17, v1, 6, v2
	v_ashrrev_i32_e32 v2, 31, v8
	v_lshl_or_b32 v14, v4, 8, v3
	v_mul_lo_u32 v9, s16, v2
	v_mad_u64_u32 v[2:3], s[0:1], s16, v8, v[4:5]
	v_mul_lo_u32 v4, s17, v8
	s_mul_i32 s6, s19, s8
	s_mul_hi_u32 s7, s18, s8
	s_add_i32 s1, s7, s6
	s_mul_i32 s0, s18, s8
	s_lshl_b64 s[0:1], s[0:1], 3
	v_add3_u32 v3, v4, v3, v9
	v_lshlrev_b64 v[2:3], 3, v[2:3]
	s_add_u32 s0, s14, s0
	s_addc_u32 s1, s15, s1
	v_mov_b32_e32 v5, s1
	v_add_co_u32_e32 v4, vcc, s0, v2
	s_mul_i32 s0, s25, s8
	s_mul_hi_u32 s1, s24, s8
	s_add_i32 s1, s1, s0
	s_mul_i32 s0, s24, s8
	s_lshl_b64 s[0:1], s[0:1], 3
	v_addc_co_u32_e32 v5, vcc, v5, v3, vcc
	v_lshlrev_b64 v[2:3], 3, v[6:7]
	s_add_u32 s0, s20, s0
	s_addc_u32 s1, s21, s1
	v_mov_b32_e32 v7, s1
	v_add_co_u32_e32 v6, vcc, s0, v2
	v_addc_co_u32_e32 v7, vcc, v7, v3, vcc
	v_mov_b32_e32 v2, 0
	v_mov_b32_e32 v8, 0
	;; [unrolled: 1-line block ×4, first 2 shown]
	v_lshlrev_b32_e32 v16, 3, v0
	v_mov_b32_e32 v3, 0
	v_mov_b32_e32 v9, 0
	;; [unrolled: 1-line block ×4, first 2 shown]
	s_mov_b64 s[0:1], 0
.LBB1004_2:                             ; =>This Inner Loop Header: Depth=1
	global_load_dwordx2 v[18:19], v[4:5], off
	global_load_dwordx2 v[20:21], v[6:7], off
	s_add_u32 s0, s0, 8
	v_add_co_u32_e32 v4, vcc, 64, v4
	v_addc_co_u32_e32 v5, vcc, 0, v5, vcc
	s_addc_u32 s1, s1, 0
	v_add_co_u32_e32 v6, vcc, 64, v6
	v_addc_co_u32_e32 v7, vcc, 0, v7, vcc
	s_waitcnt vmcnt(1)
	ds_write_b64 v14, v[18:19]
	s_waitcnt vmcnt(0)
	ds_write_b64 v15, v[20:21]
	s_waitcnt lgkmcnt(0)
	s_barrier
	ds_read2_b64 v[18:21], v16 offset1:16
	ds_read_b128 v[22:25], v17
	ds_read_b128 v[26:29], v17 offset:1024
	ds_read_b128 v[30:33], v17 offset:16
	s_waitcnt lgkmcnt(2)
	v_fma_f64 v[34:35], v[18:19], v[22:23], v[12:13]
	v_fma_f64 v[22:23], v[20:21], v[22:23], v[10:11]
	s_waitcnt lgkmcnt(1)
	v_fma_f64 v[8:9], v[18:19], v[26:27], v[8:9]
	v_fma_f64 v[2:3], v[20:21], v[26:27], v[2:3]
	ds_read2_b64 v[18:21], v16 offset0:32 offset1:48
	ds_read_b128 v[10:13], v17 offset:1040
	s_waitcnt lgkmcnt(1)
	v_fma_f64 v[26:27], v[18:19], v[24:25], v[34:35]
	v_fma_f64 v[34:35], v[20:21], v[24:25], v[22:23]
	;; [unrolled: 1-line block ×4, first 2 shown]
	ds_read2_b64 v[18:21], v16 offset0:64 offset1:80
	ds_read2_b64 v[22:25], v16 offset0:96 offset1:112
	s_waitcnt lgkmcnt(1)
	v_fma_f64 v[26:27], v[18:19], v[30:31], v[26:27]
	v_fma_f64 v[28:29], v[20:21], v[30:31], v[34:35]
	;; [unrolled: 1-line block ×4, first 2 shown]
	ds_read2_b64 v[8:11], v16 offset0:128 offset1:144
	ds_read_b128 v[18:21], v17 offset:32
	s_waitcnt lgkmcnt(2)
	v_fma_f64 v[34:35], v[22:23], v[32:33], v[26:27]
	v_fma_f64 v[32:33], v[24:25], v[32:33], v[28:29]
	;; [unrolled: 1-line block ×4, first 2 shown]
	ds_read_b128 v[22:25], v17 offset:1056
	ds_read_b128 v[26:29], v17 offset:48
	s_waitcnt lgkmcnt(2)
	v_fma_f64 v[12:13], v[8:9], v[18:19], v[34:35]
	v_fma_f64 v[18:19], v[10:11], v[18:19], v[32:33]
	s_waitcnt lgkmcnt(1)
	v_fma_f64 v[34:35], v[8:9], v[22:23], v[36:37]
	v_fma_f64 v[2:3], v[10:11], v[22:23], v[2:3]
	ds_read2_b64 v[8:11], v16 offset0:160 offset1:176
	ds_read_b128 v[30:33], v17 offset:1072
	v_mov_b32_e32 v23, s1
	v_mov_b32_e32 v22, s0
	v_cmp_le_u64_e32 vcc, s[12:13], v[22:23]
	s_waitcnt lgkmcnt(1)
	v_fma_f64 v[12:13], v[8:9], v[20:21], v[12:13]
	v_fma_f64 v[18:19], v[10:11], v[20:21], v[18:19]
	;; [unrolled: 1-line block ×4, first 2 shown]
	ds_read2_b64 v[8:11], v16 offset0:192 offset1:208
	s_and_b64 vcc, exec, vcc
	s_waitcnt lgkmcnt(0)
	v_fma_f64 v[12:13], v[8:9], v[26:27], v[12:13]
	v_fma_f64 v[24:25], v[10:11], v[26:27], v[18:19]
	v_fma_f64 v[8:9], v[8:9], v[30:31], v[20:21]
	v_fma_f64 v[2:3], v[10:11], v[30:31], v[2:3]
	ds_read2_b64 v[18:21], v16 offset0:224 offset1:240
	s_waitcnt lgkmcnt(0)
	s_barrier
	v_fma_f64 v[12:13], v[18:19], v[28:29], v[12:13]
	v_fma_f64 v[10:11], v[20:21], v[28:29], v[24:25]
	v_fma_f64 v[8:9], v[18:19], v[32:33], v[8:9]
	v_fma_f64 v[2:3], v[20:21], v[32:33], v[2:3]
	s_cbranch_vccz .LBB1004_2
	s_branch .LBB1004_4
.LBB1004_3:
	v_mov_b32_e32 v12, 0
	v_mov_b32_e32 v10, 0
	;; [unrolled: 1-line block ×8, first 2 shown]
.LBB1004_4:
	s_load_dwordx4 s[12:15], s[4:5], 0x48
	s_load_dword s9, s[4:5], 0x0
	v_add_u32_e32 v6, s3, v1
	v_ashrrev_i32_e32 v1, 31, v6
	v_add_u32_e32 v0, s2, v0
	s_waitcnt lgkmcnt(0)
	v_mul_lo_u32 v1, s12, v1
	v_mul_lo_u32 v7, s13, v6
	v_mad_u64_u32 v[4:5], s[4:5], s12, v6, 0
	s_mul_i32 s1, s15, s8
	s_mul_hi_u32 s3, s14, s8
	s_mul_i32 s0, s14, s8
	s_add_i32 s1, s3, s1
	s_lshl_b64 s[0:1], s[0:1], 3
	v_add3_u32 v5, v5, v1, v7
	s_add_u32 s6, s26, s0
	v_lshlrev_b64 v[4:5], 3, v[4:5]
	s_addc_u32 s7, s27, s1
	v_mov_b32_e32 v1, s7
	v_add_co_u32_e32 v7, vcc, s6, v4
	v_addc_co_u32_e32 v14, vcc, v1, v5, vcc
	v_cmp_le_i32_e64 s[0:1], v6, v0
	v_cmp_gt_i32_e32 vcc, s9, v0
	s_and_b64 s[0:1], s[0:1], vcc
	s_and_saveexec_b64 s[2:3], s[0:1]
	s_cbranch_execz .LBB1004_6
; %bb.5:
	v_ashrrev_i32_e32 v1, 31, v0
	v_lshlrev_b64 v[4:5], 3, v[0:1]
	v_add_co_u32_e64 v4, s[0:1], v7, v4
	v_addc_co_u32_e64 v5, s[0:1], v14, v5, s[0:1]
	global_load_dwordx2 v[15:16], v[4:5], off
	s_waitcnt vmcnt(0)
	v_add_f64 v[12:13], v[12:13], v[15:16]
	global_store_dwordx2 v[4:5], v[12:13], off
.LBB1004_6:
	s_or_b64 exec, exec, s[2:3]
	v_add_u32_e32 v4, 16, v0
	v_cmp_le_i32_e64 s[2:3], v6, v4
	v_cmp_gt_i32_e64 s[0:1], s9, v4
	s_and_b64 s[2:3], s[2:3], s[0:1]
	s_and_saveexec_b64 s[4:5], s[2:3]
	s_cbranch_execz .LBB1004_8
; %bb.7:
	v_ashrrev_i32_e32 v5, 31, v4
	v_lshlrev_b64 v[12:13], 3, v[4:5]
	v_add_co_u32_e64 v12, s[2:3], v7, v12
	v_addc_co_u32_e64 v13, s[2:3], v14, v13, s[2:3]
	global_load_dwordx2 v[14:15], v[12:13], off
	s_waitcnt vmcnt(0)
	v_add_f64 v[10:11], v[10:11], v[14:15]
	global_store_dwordx2 v[12:13], v[10:11], off
.LBB1004_8:
	s_or_b64 exec, exec, s[4:5]
	v_add_u32_e32 v5, 16, v6
	v_ashrrev_i32_e32 v1, 31, v5
	v_mul_lo_u32 v10, s13, v5
	v_mad_u64_u32 v[6:7], s[2:3], s12, v5, 0
	v_mul_lo_u32 v1, s12, v1
	v_add3_u32 v7, v7, v1, v10
	v_lshlrev_b64 v[6:7], 3, v[6:7]
	v_mov_b32_e32 v1, s7
	v_add_co_u32_e64 v6, s[2:3], s6, v6
	v_addc_co_u32_e64 v7, s[2:3], v1, v7, s[2:3]
	v_cmp_le_i32_e64 s[2:3], v5, v0
	s_and_b64 s[4:5], s[2:3], vcc
	s_and_saveexec_b64 s[2:3], s[4:5]
	s_cbranch_execz .LBB1004_10
; %bb.9:
	v_ashrrev_i32_e32 v1, 31, v0
	v_lshlrev_b64 v[0:1], 3, v[0:1]
	v_add_co_u32_e32 v0, vcc, v6, v0
	v_addc_co_u32_e32 v1, vcc, v7, v1, vcc
	global_load_dwordx2 v[10:11], v[0:1], off
	s_waitcnt vmcnt(0)
	v_add_f64 v[8:9], v[8:9], v[10:11]
	global_store_dwordx2 v[0:1], v[8:9], off
.LBB1004_10:
	s_or_b64 exec, exec, s[2:3]
	v_cmp_le_i32_e32 vcc, v5, v4
	s_and_b64 s[0:1], vcc, s[0:1]
	s_and_saveexec_b64 s[2:3], s[0:1]
	s_cbranch_execz .LBB1004_12
; %bb.11:
	v_ashrrev_i32_e32 v5, 31, v4
	v_lshlrev_b64 v[0:1], 3, v[4:5]
	v_add_co_u32_e32 v0, vcc, v6, v0
	v_addc_co_u32_e32 v1, vcc, v7, v1, vcc
	global_load_dwordx2 v[4:5], v[0:1], off
	s_waitcnt vmcnt(0)
	v_add_f64 v[2:3], v[2:3], v[4:5]
	global_store_dwordx2 v[0:1], v[2:3], off
.LBB1004_12:
	s_endpgm
	.section	.rodata,"a",@progbits
	.p2align	6, 0x0
	.amdhsa_kernel _ZL37rocblas_syrkx_herkx_restricted_kernelIldLi16ELi32ELi8ELi1ELi1ELb0ELc67ELc76EKddEviT_PT9_S1_lS3_S1_lPT10_S1_li
		.amdhsa_group_segment_fixed_size 4096
		.amdhsa_private_segment_fixed_size 0
		.amdhsa_kernarg_size 92
		.amdhsa_user_sgpr_count 6
		.amdhsa_user_sgpr_private_segment_buffer 1
		.amdhsa_user_sgpr_dispatch_ptr 0
		.amdhsa_user_sgpr_queue_ptr 0
		.amdhsa_user_sgpr_kernarg_segment_ptr 1
		.amdhsa_user_sgpr_dispatch_id 0
		.amdhsa_user_sgpr_flat_scratch_init 0
		.amdhsa_user_sgpr_private_segment_size 0
		.amdhsa_uses_dynamic_stack 0
		.amdhsa_system_sgpr_private_segment_wavefront_offset 0
		.amdhsa_system_sgpr_workgroup_id_x 1
		.amdhsa_system_sgpr_workgroup_id_y 1
		.amdhsa_system_sgpr_workgroup_id_z 1
		.amdhsa_system_sgpr_workgroup_info 0
		.amdhsa_system_vgpr_workitem_id 1
		.amdhsa_next_free_vgpr 38
		.amdhsa_next_free_sgpr 28
		.amdhsa_reserve_vcc 1
		.amdhsa_reserve_flat_scratch 0
		.amdhsa_float_round_mode_32 0
		.amdhsa_float_round_mode_16_64 0
		.amdhsa_float_denorm_mode_32 3
		.amdhsa_float_denorm_mode_16_64 3
		.amdhsa_dx10_clamp 1
		.amdhsa_ieee_mode 1
		.amdhsa_fp16_overflow 0
		.amdhsa_exception_fp_ieee_invalid_op 0
		.amdhsa_exception_fp_denorm_src 0
		.amdhsa_exception_fp_ieee_div_zero 0
		.amdhsa_exception_fp_ieee_overflow 0
		.amdhsa_exception_fp_ieee_underflow 0
		.amdhsa_exception_fp_ieee_inexact 0
		.amdhsa_exception_int_div_zero 0
	.end_amdhsa_kernel
	.section	.text._ZL37rocblas_syrkx_herkx_restricted_kernelIldLi16ELi32ELi8ELi1ELi1ELb0ELc67ELc76EKddEviT_PT9_S1_lS3_S1_lPT10_S1_li,"axG",@progbits,_ZL37rocblas_syrkx_herkx_restricted_kernelIldLi16ELi32ELi8ELi1ELi1ELb0ELc67ELc76EKddEviT_PT9_S1_lS3_S1_lPT10_S1_li,comdat
.Lfunc_end1004:
	.size	_ZL37rocblas_syrkx_herkx_restricted_kernelIldLi16ELi32ELi8ELi1ELi1ELb0ELc67ELc76EKddEviT_PT9_S1_lS3_S1_lPT10_S1_li, .Lfunc_end1004-_ZL37rocblas_syrkx_herkx_restricted_kernelIldLi16ELi32ELi8ELi1ELi1ELb0ELc67ELc76EKddEviT_PT9_S1_lS3_S1_lPT10_S1_li
                                        ; -- End function
	.set _ZL37rocblas_syrkx_herkx_restricted_kernelIldLi16ELi32ELi8ELi1ELi1ELb0ELc67ELc76EKddEviT_PT9_S1_lS3_S1_lPT10_S1_li.num_vgpr, 38
	.set _ZL37rocblas_syrkx_herkx_restricted_kernelIldLi16ELi32ELi8ELi1ELi1ELb0ELc67ELc76EKddEviT_PT9_S1_lS3_S1_lPT10_S1_li.num_agpr, 0
	.set _ZL37rocblas_syrkx_herkx_restricted_kernelIldLi16ELi32ELi8ELi1ELi1ELb0ELc67ELc76EKddEviT_PT9_S1_lS3_S1_lPT10_S1_li.numbered_sgpr, 28
	.set _ZL37rocblas_syrkx_herkx_restricted_kernelIldLi16ELi32ELi8ELi1ELi1ELb0ELc67ELc76EKddEviT_PT9_S1_lS3_S1_lPT10_S1_li.num_named_barrier, 0
	.set _ZL37rocblas_syrkx_herkx_restricted_kernelIldLi16ELi32ELi8ELi1ELi1ELb0ELc67ELc76EKddEviT_PT9_S1_lS3_S1_lPT10_S1_li.private_seg_size, 0
	.set _ZL37rocblas_syrkx_herkx_restricted_kernelIldLi16ELi32ELi8ELi1ELi1ELb0ELc67ELc76EKddEviT_PT9_S1_lS3_S1_lPT10_S1_li.uses_vcc, 1
	.set _ZL37rocblas_syrkx_herkx_restricted_kernelIldLi16ELi32ELi8ELi1ELi1ELb0ELc67ELc76EKddEviT_PT9_S1_lS3_S1_lPT10_S1_li.uses_flat_scratch, 0
	.set _ZL37rocblas_syrkx_herkx_restricted_kernelIldLi16ELi32ELi8ELi1ELi1ELb0ELc67ELc76EKddEviT_PT9_S1_lS3_S1_lPT10_S1_li.has_dyn_sized_stack, 0
	.set _ZL37rocblas_syrkx_herkx_restricted_kernelIldLi16ELi32ELi8ELi1ELi1ELb0ELc67ELc76EKddEviT_PT9_S1_lS3_S1_lPT10_S1_li.has_recursion, 0
	.set _ZL37rocblas_syrkx_herkx_restricted_kernelIldLi16ELi32ELi8ELi1ELi1ELb0ELc67ELc76EKddEviT_PT9_S1_lS3_S1_lPT10_S1_li.has_indirect_call, 0
	.section	.AMDGPU.csdata,"",@progbits
; Kernel info:
; codeLenInByte = 1384
; TotalNumSgprs: 32
; NumVgprs: 38
; ScratchSize: 0
; MemoryBound: 0
; FloatMode: 240
; IeeeMode: 1
; LDSByteSize: 4096 bytes/workgroup (compile time only)
; SGPRBlocks: 3
; VGPRBlocks: 9
; NumSGPRsForWavesPerEU: 32
; NumVGPRsForWavesPerEU: 38
; Occupancy: 6
; WaveLimiterHint : 1
; COMPUTE_PGM_RSRC2:SCRATCH_EN: 0
; COMPUTE_PGM_RSRC2:USER_SGPR: 6
; COMPUTE_PGM_RSRC2:TRAP_HANDLER: 0
; COMPUTE_PGM_RSRC2:TGID_X_EN: 1
; COMPUTE_PGM_RSRC2:TGID_Y_EN: 1
; COMPUTE_PGM_RSRC2:TGID_Z_EN: 1
; COMPUTE_PGM_RSRC2:TIDIG_COMP_CNT: 1
	.section	.text._ZL37rocblas_syrkx_herkx_restricted_kernelIldLi16ELi32ELi8ELi1ELi1ELb0ELc78ELc76EKddEviT_PT9_S1_lS3_S1_lPT10_S1_li,"axG",@progbits,_ZL37rocblas_syrkx_herkx_restricted_kernelIldLi16ELi32ELi8ELi1ELi1ELb0ELc78ELc76EKddEviT_PT9_S1_lS3_S1_lPT10_S1_li,comdat
	.globl	_ZL37rocblas_syrkx_herkx_restricted_kernelIldLi16ELi32ELi8ELi1ELi1ELb0ELc78ELc76EKddEviT_PT9_S1_lS3_S1_lPT10_S1_li ; -- Begin function _ZL37rocblas_syrkx_herkx_restricted_kernelIldLi16ELi32ELi8ELi1ELi1ELb0ELc78ELc76EKddEviT_PT9_S1_lS3_S1_lPT10_S1_li
	.p2align	8
	.type	_ZL37rocblas_syrkx_herkx_restricted_kernelIldLi16ELi32ELi8ELi1ELi1ELb0ELc78ELc76EKddEviT_PT9_S1_lS3_S1_lPT10_S1_li,@function
_ZL37rocblas_syrkx_herkx_restricted_kernelIldLi16ELi32ELi8ELi1ELi1ELb0ELc78ELc76EKddEviT_PT9_S1_lS3_S1_lPT10_S1_li: ; @_ZL37rocblas_syrkx_herkx_restricted_kernelIldLi16ELi32ELi8ELi1ELi1ELb0ELc78ELc76EKddEviT_PT9_S1_lS3_S1_lPT10_S1_li
; %bb.0:
	s_load_dwordx16 s[12:27], s[4:5], 0x8
	s_lshl_b32 s9, s6, 5
	s_lshl_b32 s10, s7, 5
	s_waitcnt lgkmcnt(0)
	v_cmp_lt_i64_e64 s[0:1], s[12:13], 1
	s_and_b64 vcc, exec, s[0:1]
	s_cbranch_vccnz .LBB1005_3
; %bb.1:
	v_lshl_add_u32 v6, v1, 4, v0
	v_lshrrev_b32_e32 v7, 3, v6
	v_add_u32_e32 v2, s10, v7
	v_and_b32_e32 v5, 7, v0
	v_ashrrev_i32_e32 v3, 31, v2
	v_mad_u64_u32 v[2:3], s[0:1], s22, v5, v[2:3]
	v_lshrrev_b32_e32 v8, 5, v6
	s_mul_i32 s2, s19, s8
	v_mad_u64_u32 v[3:4], s[0:1], s23, v5, v[3:4]
	v_and_b32_e32 v4, 31, v6
	v_lshlrev_b32_e32 v5, 3, v5
	v_lshlrev_b32_e32 v6, 3, v4
	v_lshl_or_b32 v5, v7, 6, v5
	v_add_u32_e32 v4, s9, v4
	v_add_u32_e32 v15, 0x800, v5
	v_ashrrev_i32_e32 v5, 31, v4
	v_mad_u64_u32 v[4:5], s[0:1], s16, v8, v[4:5]
	v_lshl_or_b32 v14, v8, 8, v6
	v_mov_b32_e32 v6, 0x800
	v_lshl_add_u32 v17, v1, 6, v6
	v_mad_u64_u32 v[5:6], s[0:1], s17, v8, v[5:6]
	s_mul_hi_u32 s3, s18, s8
	s_add_i32 s1, s3, s2
	s_mul_i32 s0, s18, s8
	s_lshl_b64 s[0:1], s[0:1], 3
	v_lshlrev_b64 v[4:5], 3, v[4:5]
	s_add_u32 s0, s14, s0
	s_mul_i32 s2, s25, s8
	s_mul_hi_u32 s3, s24, s8
	s_addc_u32 s1, s15, s1
	s_add_i32 s3, s3, s2
	s_mul_i32 s2, s24, s8
	v_mov_b32_e32 v6, s1
	v_add_co_u32_e32 v4, vcc, s0, v4
	s_lshl_b64 s[0:1], s[16:17], 6
	s_lshl_b64 s[2:3], s[2:3], 3
	v_lshlrev_b64 v[2:3], 3, v[2:3]
	s_add_u32 s2, s20, s2
	v_addc_co_u32_e32 v5, vcc, v6, v5, vcc
	s_addc_u32 s3, s21, s3
	v_mov_b32_e32 v6, s3
	v_add_co_u32_e32 v8, vcc, s2, v2
	v_addc_co_u32_e32 v9, vcc, v6, v3, vcc
	s_lshl_b64 s[2:3], s[22:23], 6
	v_mov_b32_e32 v2, 0
	v_mov_b32_e32 v6, 0
	;; [unrolled: 1-line block ×4, first 2 shown]
	v_lshlrev_b32_e32 v16, 3, v0
	v_mov_b32_e32 v3, 0
	s_mov_b64 s[6:7], 0
	v_mov_b32_e32 v18, s1
	v_mov_b32_e32 v7, 0
	;; [unrolled: 1-line block ×5, first 2 shown]
.LBB1005_2:                             ; =>This Inner Loop Header: Depth=1
	global_load_dwordx2 v[20:21], v[4:5], off
	global_load_dwordx2 v[22:23], v[8:9], off
	s_add_u32 s6, s6, 8
	v_add_co_u32_e32 v4, vcc, s0, v4
	v_addc_co_u32_e32 v5, vcc, v5, v18, vcc
	s_addc_u32 s7, s7, 0
	v_add_co_u32_e32 v8, vcc, s2, v8
	v_addc_co_u32_e32 v9, vcc, v9, v19, vcc
	s_waitcnt vmcnt(1)
	ds_write_b64 v14, v[20:21]
	s_waitcnt vmcnt(0)
	ds_write_b64 v15, v[22:23]
	s_waitcnt lgkmcnt(0)
	s_barrier
	ds_read2_b64 v[20:23], v16 offset1:16
	ds_read_b128 v[24:27], v17
	ds_read_b128 v[28:31], v17 offset:16
	s_waitcnt lgkmcnt(1)
	v_fma_f64 v[36:37], v[20:21], v[24:25], v[12:13]
	v_fma_f64 v[24:25], v[22:23], v[24:25], v[10:11]
	ds_read_b128 v[10:13], v17 offset:1024
	ds_read_b128 v[32:35], v17 offset:1040
	s_waitcnt lgkmcnt(1)
	v_fma_f64 v[6:7], v[20:21], v[10:11], v[6:7]
	v_fma_f64 v[2:3], v[22:23], v[10:11], v[2:3]
	ds_read2_b64 v[20:23], v16 offset0:32 offset1:48
	s_waitcnt lgkmcnt(0)
	v_fma_f64 v[36:37], v[20:21], v[26:27], v[36:37]
	v_fma_f64 v[24:25], v[22:23], v[26:27], v[24:25]
	v_fma_f64 v[6:7], v[20:21], v[12:13], v[6:7]
	v_fma_f64 v[2:3], v[22:23], v[12:13], v[2:3]
	ds_read2_b64 v[10:13], v16 offset0:64 offset1:80
	s_waitcnt lgkmcnt(0)
	v_fma_f64 v[20:21], v[10:11], v[28:29], v[36:37]
	v_fma_f64 v[22:23], v[12:13], v[28:29], v[24:25]
	;; [unrolled: 6-line block ×3, first 2 shown]
	ds_read2_b64 v[20:23], v16 offset0:128 offset1:144
	v_fma_f64 v[6:7], v[10:11], v[34:35], v[6:7]
	v_fma_f64 v[2:3], v[12:13], v[34:35], v[2:3]
	ds_read_b128 v[10:13], v17 offset:32
	ds_read_b128 v[24:27], v17 offset:48
	s_waitcnt lgkmcnt(1)
	v_fma_f64 v[36:37], v[20:21], v[10:11], v[28:29]
	v_fma_f64 v[10:11], v[22:23], v[10:11], v[30:31]
	ds_read_b128 v[28:31], v17 offset:1056
	ds_read_b128 v[32:35], v17 offset:1072
	s_waitcnt lgkmcnt(1)
	v_fma_f64 v[6:7], v[20:21], v[28:29], v[6:7]
	v_fma_f64 v[2:3], v[22:23], v[28:29], v[2:3]
	ds_read2_b64 v[20:23], v16 offset0:160 offset1:176
	s_waitcnt lgkmcnt(0)
	v_fma_f64 v[28:29], v[20:21], v[12:13], v[36:37]
	v_fma_f64 v[36:37], v[22:23], v[12:13], v[10:11]
	;; [unrolled: 1-line block ×4, first 2 shown]
	ds_read2_b64 v[10:13], v16 offset0:192 offset1:208
	ds_read2_b64 v[20:23], v16 offset0:224 offset1:240
	v_mov_b32_e32 v31, s7
	v_mov_b32_e32 v30, s6
	v_cmp_le_u64_e32 vcc, s[12:13], v[30:31]
	s_waitcnt lgkmcnt(1)
	v_fma_f64 v[28:29], v[10:11], v[24:25], v[28:29]
	v_fma_f64 v[24:25], v[12:13], v[24:25], v[36:37]
	;; [unrolled: 1-line block ×4, first 2 shown]
	s_and_b64 vcc, exec, vcc
	s_waitcnt lgkmcnt(0)
	s_barrier
	v_fma_f64 v[12:13], v[20:21], v[26:27], v[28:29]
	v_fma_f64 v[10:11], v[22:23], v[26:27], v[24:25]
	v_fma_f64 v[6:7], v[20:21], v[34:35], v[6:7]
	v_fma_f64 v[2:3], v[22:23], v[34:35], v[2:3]
	s_cbranch_vccz .LBB1005_2
	s_branch .LBB1005_4
.LBB1005_3:
	v_mov_b32_e32 v12, 0
	v_mov_b32_e32 v10, 0
	;; [unrolled: 1-line block ×8, first 2 shown]
.LBB1005_4:
	s_load_dwordx4 s[12:15], s[4:5], 0x48
	s_load_dword s11, s[4:5], 0x0
	v_add_u32_e32 v8, s10, v1
	v_ashrrev_i32_e32 v1, 31, v8
	v_add_u32_e32 v0, s9, v0
	s_waitcnt lgkmcnt(0)
	s_mul_i32 s1, s15, s8
	s_mul_hi_u32 s2, s14, s8
	s_add_i32 s1, s2, s1
	v_mul_lo_u32 v1, s12, v1
	v_mul_lo_u32 v9, s13, v8
	v_mad_u64_u32 v[4:5], s[2:3], s12, v8, 0
	s_mul_i32 s0, s14, s8
	s_lshl_b64 s[0:1], s[0:1], 3
	v_add3_u32 v5, v5, v1, v9
	s_add_u32 s6, s26, s0
	v_lshlrev_b64 v[4:5], 3, v[4:5]
	s_addc_u32 s7, s27, s1
	v_mov_b32_e32 v1, s7
	v_add_co_u32_e32 v9, vcc, s6, v4
	v_addc_co_u32_e32 v14, vcc, v1, v5, vcc
	v_cmp_le_i32_e64 s[0:1], v8, v0
	v_cmp_gt_i32_e32 vcc, s11, v0
	s_and_b64 s[0:1], s[0:1], vcc
	s_and_saveexec_b64 s[2:3], s[0:1]
	s_cbranch_execz .LBB1005_6
; %bb.5:
	v_ashrrev_i32_e32 v1, 31, v0
	v_lshlrev_b64 v[4:5], 3, v[0:1]
	v_add_co_u32_e64 v4, s[0:1], v9, v4
	v_addc_co_u32_e64 v5, s[0:1], v14, v5, s[0:1]
	global_load_dwordx2 v[15:16], v[4:5], off
	s_waitcnt vmcnt(0)
	v_add_f64 v[12:13], v[12:13], v[15:16]
	global_store_dwordx2 v[4:5], v[12:13], off
.LBB1005_6:
	s_or_b64 exec, exec, s[2:3]
	v_add_u32_e32 v4, 16, v0
	v_cmp_le_i32_e64 s[2:3], v8, v4
	v_cmp_gt_i32_e64 s[0:1], s11, v4
	s_and_b64 s[2:3], s[2:3], s[0:1]
	s_and_saveexec_b64 s[4:5], s[2:3]
	s_cbranch_execz .LBB1005_8
; %bb.7:
	v_ashrrev_i32_e32 v5, 31, v4
	v_lshlrev_b64 v[12:13], 3, v[4:5]
	v_add_co_u32_e64 v12, s[2:3], v9, v12
	v_addc_co_u32_e64 v13, s[2:3], v14, v13, s[2:3]
	global_load_dwordx2 v[14:15], v[12:13], off
	s_waitcnt vmcnt(0)
	v_add_f64 v[9:10], v[10:11], v[14:15]
	global_store_dwordx2 v[12:13], v[9:10], off
.LBB1005_8:
	s_or_b64 exec, exec, s[4:5]
	v_add_u32_e32 v5, 16, v8
	v_ashrrev_i32_e32 v1, 31, v5
	v_mul_lo_u32 v10, s13, v5
	v_mad_u64_u32 v[8:9], s[2:3], s12, v5, 0
	v_mul_lo_u32 v1, s12, v1
	v_add3_u32 v9, v9, v1, v10
	v_lshlrev_b64 v[8:9], 3, v[8:9]
	v_mov_b32_e32 v1, s7
	v_add_co_u32_e64 v8, s[2:3], s6, v8
	v_addc_co_u32_e64 v9, s[2:3], v1, v9, s[2:3]
	v_cmp_le_i32_e64 s[2:3], v5, v0
	s_and_b64 s[4:5], s[2:3], vcc
	s_and_saveexec_b64 s[2:3], s[4:5]
	s_cbranch_execz .LBB1005_10
; %bb.9:
	v_ashrrev_i32_e32 v1, 31, v0
	v_lshlrev_b64 v[0:1], 3, v[0:1]
	v_add_co_u32_e32 v0, vcc, v8, v0
	v_addc_co_u32_e32 v1, vcc, v9, v1, vcc
	global_load_dwordx2 v[10:11], v[0:1], off
	s_waitcnt vmcnt(0)
	v_add_f64 v[6:7], v[6:7], v[10:11]
	global_store_dwordx2 v[0:1], v[6:7], off
.LBB1005_10:
	s_or_b64 exec, exec, s[2:3]
	v_cmp_le_i32_e32 vcc, v5, v4
	s_and_b64 s[0:1], vcc, s[0:1]
	s_and_saveexec_b64 s[2:3], s[0:1]
	s_cbranch_execz .LBB1005_12
; %bb.11:
	v_ashrrev_i32_e32 v5, 31, v4
	v_lshlrev_b64 v[0:1], 3, v[4:5]
	v_add_co_u32_e32 v0, vcc, v8, v0
	v_addc_co_u32_e32 v1, vcc, v9, v1, vcc
	global_load_dwordx2 v[4:5], v[0:1], off
	s_waitcnt vmcnt(0)
	v_add_f64 v[2:3], v[2:3], v[4:5]
	global_store_dwordx2 v[0:1], v[2:3], off
.LBB1005_12:
	s_endpgm
	.section	.rodata,"a",@progbits
	.p2align	6, 0x0
	.amdhsa_kernel _ZL37rocblas_syrkx_herkx_restricted_kernelIldLi16ELi32ELi8ELi1ELi1ELb0ELc78ELc76EKddEviT_PT9_S1_lS3_S1_lPT10_S1_li
		.amdhsa_group_segment_fixed_size 4096
		.amdhsa_private_segment_fixed_size 0
		.amdhsa_kernarg_size 92
		.amdhsa_user_sgpr_count 6
		.amdhsa_user_sgpr_private_segment_buffer 1
		.amdhsa_user_sgpr_dispatch_ptr 0
		.amdhsa_user_sgpr_queue_ptr 0
		.amdhsa_user_sgpr_kernarg_segment_ptr 1
		.amdhsa_user_sgpr_dispatch_id 0
		.amdhsa_user_sgpr_flat_scratch_init 0
		.amdhsa_user_sgpr_private_segment_size 0
		.amdhsa_uses_dynamic_stack 0
		.amdhsa_system_sgpr_private_segment_wavefront_offset 0
		.amdhsa_system_sgpr_workgroup_id_x 1
		.amdhsa_system_sgpr_workgroup_id_y 1
		.amdhsa_system_sgpr_workgroup_id_z 1
		.amdhsa_system_sgpr_workgroup_info 0
		.amdhsa_system_vgpr_workitem_id 1
		.amdhsa_next_free_vgpr 38
		.amdhsa_next_free_sgpr 28
		.amdhsa_reserve_vcc 1
		.amdhsa_reserve_flat_scratch 0
		.amdhsa_float_round_mode_32 0
		.amdhsa_float_round_mode_16_64 0
		.amdhsa_float_denorm_mode_32 3
		.amdhsa_float_denorm_mode_16_64 3
		.amdhsa_dx10_clamp 1
		.amdhsa_ieee_mode 1
		.amdhsa_fp16_overflow 0
		.amdhsa_exception_fp_ieee_invalid_op 0
		.amdhsa_exception_fp_denorm_src 0
		.amdhsa_exception_fp_ieee_div_zero 0
		.amdhsa_exception_fp_ieee_overflow 0
		.amdhsa_exception_fp_ieee_underflow 0
		.amdhsa_exception_fp_ieee_inexact 0
		.amdhsa_exception_int_div_zero 0
	.end_amdhsa_kernel
	.section	.text._ZL37rocblas_syrkx_herkx_restricted_kernelIldLi16ELi32ELi8ELi1ELi1ELb0ELc78ELc76EKddEviT_PT9_S1_lS3_S1_lPT10_S1_li,"axG",@progbits,_ZL37rocblas_syrkx_herkx_restricted_kernelIldLi16ELi32ELi8ELi1ELi1ELb0ELc78ELc76EKddEviT_PT9_S1_lS3_S1_lPT10_S1_li,comdat
.Lfunc_end1005:
	.size	_ZL37rocblas_syrkx_herkx_restricted_kernelIldLi16ELi32ELi8ELi1ELi1ELb0ELc78ELc76EKddEviT_PT9_S1_lS3_S1_lPT10_S1_li, .Lfunc_end1005-_ZL37rocblas_syrkx_herkx_restricted_kernelIldLi16ELi32ELi8ELi1ELi1ELb0ELc78ELc76EKddEviT_PT9_S1_lS3_S1_lPT10_S1_li
                                        ; -- End function
	.set _ZL37rocblas_syrkx_herkx_restricted_kernelIldLi16ELi32ELi8ELi1ELi1ELb0ELc78ELc76EKddEviT_PT9_S1_lS3_S1_lPT10_S1_li.num_vgpr, 38
	.set _ZL37rocblas_syrkx_herkx_restricted_kernelIldLi16ELi32ELi8ELi1ELi1ELb0ELc78ELc76EKddEviT_PT9_S1_lS3_S1_lPT10_S1_li.num_agpr, 0
	.set _ZL37rocblas_syrkx_herkx_restricted_kernelIldLi16ELi32ELi8ELi1ELi1ELb0ELc78ELc76EKddEviT_PT9_S1_lS3_S1_lPT10_S1_li.numbered_sgpr, 28
	.set _ZL37rocblas_syrkx_herkx_restricted_kernelIldLi16ELi32ELi8ELi1ELi1ELb0ELc78ELc76EKddEviT_PT9_S1_lS3_S1_lPT10_S1_li.num_named_barrier, 0
	.set _ZL37rocblas_syrkx_herkx_restricted_kernelIldLi16ELi32ELi8ELi1ELi1ELb0ELc78ELc76EKddEviT_PT9_S1_lS3_S1_lPT10_S1_li.private_seg_size, 0
	.set _ZL37rocblas_syrkx_herkx_restricted_kernelIldLi16ELi32ELi8ELi1ELi1ELb0ELc78ELc76EKddEviT_PT9_S1_lS3_S1_lPT10_S1_li.uses_vcc, 1
	.set _ZL37rocblas_syrkx_herkx_restricted_kernelIldLi16ELi32ELi8ELi1ELi1ELb0ELc78ELc76EKddEviT_PT9_S1_lS3_S1_lPT10_S1_li.uses_flat_scratch, 0
	.set _ZL37rocblas_syrkx_herkx_restricted_kernelIldLi16ELi32ELi8ELi1ELi1ELb0ELc78ELc76EKddEviT_PT9_S1_lS3_S1_lPT10_S1_li.has_dyn_sized_stack, 0
	.set _ZL37rocblas_syrkx_herkx_restricted_kernelIldLi16ELi32ELi8ELi1ELi1ELb0ELc78ELc76EKddEviT_PT9_S1_lS3_S1_lPT10_S1_li.has_recursion, 0
	.set _ZL37rocblas_syrkx_herkx_restricted_kernelIldLi16ELi32ELi8ELi1ELi1ELb0ELc78ELc76EKddEviT_PT9_S1_lS3_S1_lPT10_S1_li.has_indirect_call, 0
	.section	.AMDGPU.csdata,"",@progbits
; Kernel info:
; codeLenInByte = 1360
; TotalNumSgprs: 32
; NumVgprs: 38
; ScratchSize: 0
; MemoryBound: 0
; FloatMode: 240
; IeeeMode: 1
; LDSByteSize: 4096 bytes/workgroup (compile time only)
; SGPRBlocks: 3
; VGPRBlocks: 9
; NumSGPRsForWavesPerEU: 32
; NumVGPRsForWavesPerEU: 38
; Occupancy: 6
; WaveLimiterHint : 1
; COMPUTE_PGM_RSRC2:SCRATCH_EN: 0
; COMPUTE_PGM_RSRC2:USER_SGPR: 6
; COMPUTE_PGM_RSRC2:TRAP_HANDLER: 0
; COMPUTE_PGM_RSRC2:TGID_X_EN: 1
; COMPUTE_PGM_RSRC2:TGID_Y_EN: 1
; COMPUTE_PGM_RSRC2:TGID_Z_EN: 1
; COMPUTE_PGM_RSRC2:TIDIG_COMP_CNT: 1
	.section	.text._ZL37rocblas_syrkx_herkx_restricted_kernelIldLi16ELi32ELi8ELi1ELi1ELb0ELc84ELc85EKddEviT_PT9_S1_lS3_S1_lPT10_S1_li,"axG",@progbits,_ZL37rocblas_syrkx_herkx_restricted_kernelIldLi16ELi32ELi8ELi1ELi1ELb0ELc84ELc85EKddEviT_PT9_S1_lS3_S1_lPT10_S1_li,comdat
	.globl	_ZL37rocblas_syrkx_herkx_restricted_kernelIldLi16ELi32ELi8ELi1ELi1ELb0ELc84ELc85EKddEviT_PT9_S1_lS3_S1_lPT10_S1_li ; -- Begin function _ZL37rocblas_syrkx_herkx_restricted_kernelIldLi16ELi32ELi8ELi1ELi1ELb0ELc84ELc85EKddEviT_PT9_S1_lS3_S1_lPT10_S1_li
	.p2align	8
	.type	_ZL37rocblas_syrkx_herkx_restricted_kernelIldLi16ELi32ELi8ELi1ELi1ELb0ELc84ELc85EKddEviT_PT9_S1_lS3_S1_lPT10_S1_li,@function
_ZL37rocblas_syrkx_herkx_restricted_kernelIldLi16ELi32ELi8ELi1ELi1ELb0ELc84ELc85EKddEviT_PT9_S1_lS3_S1_lPT10_S1_li: ; @_ZL37rocblas_syrkx_herkx_restricted_kernelIldLi16ELi32ELi8ELi1ELi1ELb0ELc84ELc85EKddEviT_PT9_S1_lS3_S1_lPT10_S1_li
; %bb.0:
	s_load_dwordx16 s[12:27], s[4:5], 0x8
	s_lshl_b32 s2, s6, 5
	s_lshl_b32 s3, s7, 5
	s_waitcnt lgkmcnt(0)
	v_cmp_lt_i64_e64 s[0:1], s[12:13], 1
	s_and_b64 vcc, exec, s[0:1]
	s_cbranch_vccnz .LBB1006_3
; %bb.1:
	v_lshl_add_u32 v4, v1, 4, v0
	v_lshrrev_b32_e32 v8, 3, v4
	v_add_u32_e32 v5, s3, v8
	v_ashrrev_i32_e32 v6, 31, v5
	v_and_b32_e32 v2, 7, v0
	v_mov_b32_e32 v3, 0
	v_mul_lo_u32 v9, s22, v6
	v_mul_lo_u32 v10, s23, v5
	v_mad_u64_u32 v[6:7], s[0:1], s22, v5, v[2:3]
	v_lshlrev_b32_e32 v2, 3, v2
	v_lshl_or_b32 v2, v8, 6, v2
	v_add3_u32 v7, v10, v7, v9
	v_and_b32_e32 v9, 31, v4
	v_add_u32_e32 v15, 0x800, v2
	v_mov_b32_e32 v2, 0x800
	v_add_u32_e32 v8, s2, v9
	v_lshrrev_b32_e32 v4, 5, v4
	v_mov_b32_e32 v5, v3
	v_lshlrev_b32_e32 v3, 3, v9
	v_lshl_add_u32 v17, v1, 6, v2
	v_ashrrev_i32_e32 v2, 31, v8
	v_lshl_or_b32 v14, v4, 8, v3
	v_mul_lo_u32 v9, s16, v2
	v_mad_u64_u32 v[2:3], s[0:1], s16, v8, v[4:5]
	v_mul_lo_u32 v4, s17, v8
	s_mul_i32 s6, s19, s8
	s_mul_hi_u32 s7, s18, s8
	s_add_i32 s1, s7, s6
	s_mul_i32 s0, s18, s8
	s_lshl_b64 s[0:1], s[0:1], 3
	v_add3_u32 v3, v4, v3, v9
	v_lshlrev_b64 v[2:3], 3, v[2:3]
	s_add_u32 s0, s14, s0
	s_addc_u32 s1, s15, s1
	v_mov_b32_e32 v5, s1
	v_add_co_u32_e32 v4, vcc, s0, v2
	s_mul_i32 s0, s25, s8
	s_mul_hi_u32 s1, s24, s8
	s_add_i32 s1, s1, s0
	s_mul_i32 s0, s24, s8
	s_lshl_b64 s[0:1], s[0:1], 3
	v_addc_co_u32_e32 v5, vcc, v5, v3, vcc
	v_lshlrev_b64 v[2:3], 3, v[6:7]
	s_add_u32 s0, s20, s0
	s_addc_u32 s1, s21, s1
	v_mov_b32_e32 v6, s1
	v_add_co_u32_e32 v8, vcc, s0, v2
	v_addc_co_u32_e32 v9, vcc, v6, v3, vcc
	v_mov_b32_e32 v2, 0
	v_mov_b32_e32 v6, 0
	;; [unrolled: 1-line block ×4, first 2 shown]
	v_lshlrev_b32_e32 v16, 3, v0
	v_mov_b32_e32 v3, 0
	v_mov_b32_e32 v7, 0
	;; [unrolled: 1-line block ×4, first 2 shown]
	s_mov_b64 s[0:1], 0
.LBB1006_2:                             ; =>This Inner Loop Header: Depth=1
	global_load_dwordx2 v[18:19], v[4:5], off
	global_load_dwordx2 v[20:21], v[8:9], off
	s_add_u32 s0, s0, 8
	v_add_co_u32_e32 v4, vcc, 64, v4
	v_addc_co_u32_e32 v5, vcc, 0, v5, vcc
	s_addc_u32 s1, s1, 0
	v_add_co_u32_e32 v8, vcc, 64, v8
	v_addc_co_u32_e32 v9, vcc, 0, v9, vcc
	s_waitcnt vmcnt(1)
	ds_write_b64 v14, v[18:19]
	s_waitcnt vmcnt(0)
	ds_write_b64 v15, v[20:21]
	s_waitcnt lgkmcnt(0)
	s_barrier
	ds_read2_b64 v[18:21], v16 offset1:16
	ds_read_b128 v[22:25], v17
	ds_read_b128 v[26:29], v17 offset:1024
	ds_read_b128 v[30:33], v17 offset:16
	s_waitcnt lgkmcnt(2)
	v_fma_f64 v[34:35], v[18:19], v[22:23], v[12:13]
	v_fma_f64 v[22:23], v[20:21], v[22:23], v[10:11]
	s_waitcnt lgkmcnt(1)
	v_fma_f64 v[6:7], v[18:19], v[26:27], v[6:7]
	v_fma_f64 v[2:3], v[20:21], v[26:27], v[2:3]
	ds_read2_b64 v[18:21], v16 offset0:32 offset1:48
	ds_read_b128 v[10:13], v17 offset:1040
	s_waitcnt lgkmcnt(1)
	v_fma_f64 v[26:27], v[18:19], v[24:25], v[34:35]
	v_fma_f64 v[34:35], v[20:21], v[24:25], v[22:23]
	;; [unrolled: 1-line block ×4, first 2 shown]
	ds_read2_b64 v[18:21], v16 offset0:64 offset1:80
	ds_read2_b64 v[22:25], v16 offset0:96 offset1:112
	s_waitcnt lgkmcnt(1)
	v_fma_f64 v[26:27], v[18:19], v[30:31], v[26:27]
	v_fma_f64 v[28:29], v[20:21], v[30:31], v[34:35]
	;; [unrolled: 1-line block ×4, first 2 shown]
	ds_read2_b64 v[18:21], v16 offset0:128 offset1:144
	s_waitcnt lgkmcnt(1)
	v_fma_f64 v[30:31], v[22:23], v[32:33], v[26:27]
	v_fma_f64 v[32:33], v[24:25], v[32:33], v[28:29]
	;; [unrolled: 1-line block ×4, first 2 shown]
	ds_read_b128 v[26:29], v17 offset:32
	ds_read_b128 v[10:13], v17 offset:1056
	;; [unrolled: 1-line block ×3, first 2 shown]
	s_waitcnt lgkmcnt(2)
	v_fma_f64 v[34:35], v[18:19], v[26:27], v[30:31]
	v_fma_f64 v[26:27], v[20:21], v[26:27], v[32:33]
	s_waitcnt lgkmcnt(1)
	v_fma_f64 v[6:7], v[18:19], v[10:11], v[6:7]
	v_fma_f64 v[2:3], v[20:21], v[10:11], v[2:3]
	ds_read2_b64 v[18:21], v16 offset0:160 offset1:176
	ds_read_b128 v[30:33], v17 offset:1072
	s_waitcnt lgkmcnt(1)
	v_fma_f64 v[34:35], v[18:19], v[28:29], v[34:35]
	v_fma_f64 v[26:27], v[20:21], v[28:29], v[26:27]
	;; [unrolled: 1-line block ×4, first 2 shown]
	ds_read2_b64 v[10:13], v16 offset0:192 offset1:208
	ds_read2_b64 v[18:21], v16 offset0:224 offset1:240
	v_mov_b32_e32 v29, s1
	v_mov_b32_e32 v28, s0
	v_cmp_le_u64_e32 vcc, s[12:13], v[28:29]
	s_waitcnt lgkmcnt(1)
	v_fma_f64 v[34:35], v[10:11], v[22:23], v[34:35]
	v_fma_f64 v[22:23], v[12:13], v[22:23], v[26:27]
	v_fma_f64 v[6:7], v[10:11], v[30:31], v[6:7]
	v_fma_f64 v[2:3], v[12:13], v[30:31], v[2:3]
	s_and_b64 vcc, exec, vcc
	s_waitcnt lgkmcnt(0)
	s_barrier
	v_fma_f64 v[12:13], v[18:19], v[24:25], v[34:35]
	v_fma_f64 v[10:11], v[20:21], v[24:25], v[22:23]
	;; [unrolled: 1-line block ×4, first 2 shown]
	s_cbranch_vccz .LBB1006_2
	s_branch .LBB1006_4
.LBB1006_3:
	v_mov_b32_e32 v12, 0
	v_mov_b32_e32 v10, 0
	;; [unrolled: 1-line block ×8, first 2 shown]
.LBB1006_4:
	s_load_dwordx4 s[12:15], s[4:5], 0x48
	s_load_dword s6, s[4:5], 0x0
	v_add_u32_e32 v8, s3, v1
	v_ashrrev_i32_e32 v1, 31, v8
	v_add_u32_e32 v0, s2, v0
	s_waitcnt lgkmcnt(0)
	s_mul_i32 s1, s15, s8
	s_mul_hi_u32 s3, s14, s8
	s_mul_i32 s0, s14, s8
	v_mul_lo_u32 v1, s12, v1
	v_mul_lo_u32 v9, s13, v8
	v_mad_u64_u32 v[4:5], s[8:9], s12, v8, 0
	s_add_i32 s1, s3, s1
	s_lshl_b64 s[0:1], s[0:1], 3
	v_add3_u32 v5, v5, v1, v9
	s_add_u32 s4, s26, s0
	v_lshlrev_b64 v[4:5], 3, v[4:5]
	s_addc_u32 s5, s27, s1
	v_mov_b32_e32 v1, s5
	v_add_co_u32_e64 v9, s[0:1], s4, v4
	v_addc_co_u32_e64 v14, s[0:1], v1, v5, s[0:1]
	v_cmp_gt_i32_e32 vcc, s6, v8
	v_cmp_le_i32_e64 s[0:1], v0, v8
	s_and_b64 s[0:1], vcc, s[0:1]
	s_and_saveexec_b64 s[2:3], s[0:1]
	s_cbranch_execz .LBB1006_6
; %bb.5:
	v_ashrrev_i32_e32 v1, 31, v0
	v_lshlrev_b64 v[4:5], 3, v[0:1]
	v_add_co_u32_e64 v4, s[0:1], v9, v4
	v_addc_co_u32_e64 v5, s[0:1], v14, v5, s[0:1]
	global_load_dwordx2 v[15:16], v[4:5], off
	s_waitcnt vmcnt(0)
	v_add_f64 v[12:13], v[12:13], v[15:16]
	global_store_dwordx2 v[4:5], v[12:13], off
.LBB1006_6:
	s_or_b64 exec, exec, s[2:3]
	v_add_u32_e32 v4, 16, v0
	v_cmp_le_i32_e64 s[0:1], v4, v8
	s_and_b64 s[2:3], vcc, s[0:1]
	s_and_saveexec_b64 s[0:1], s[2:3]
	s_cbranch_execz .LBB1006_8
; %bb.7:
	v_ashrrev_i32_e32 v5, 31, v4
	v_lshlrev_b64 v[12:13], 3, v[4:5]
	v_add_co_u32_e32 v12, vcc, v9, v12
	v_addc_co_u32_e32 v13, vcc, v14, v13, vcc
	global_load_dwordx2 v[14:15], v[12:13], off
	s_waitcnt vmcnt(0)
	v_add_f64 v[9:10], v[10:11], v[14:15]
	global_store_dwordx2 v[12:13], v[9:10], off
.LBB1006_8:
	s_or_b64 exec, exec, s[0:1]
	v_add_u32_e32 v5, 16, v8
	v_ashrrev_i32_e32 v1, 31, v5
	v_mul_lo_u32 v1, s12, v1
	v_mul_lo_u32 v10, s13, v5
	v_mad_u64_u32 v[8:9], s[0:1], s12, v5, 0
	v_cmp_gt_i32_e32 vcc, s6, v5
	v_add3_u32 v9, v9, v1, v10
	v_lshlrev_b64 v[8:9], 3, v[8:9]
	v_mov_b32_e32 v1, s5
	v_add_co_u32_e64 v8, s[0:1], s4, v8
	v_addc_co_u32_e64 v9, s[0:1], v1, v9, s[0:1]
	v_cmp_le_i32_e64 s[0:1], v0, v5
	s_and_b64 s[0:1], vcc, s[0:1]
	s_and_saveexec_b64 s[2:3], s[0:1]
	s_cbranch_execz .LBB1006_10
; %bb.9:
	v_ashrrev_i32_e32 v1, 31, v0
	v_lshlrev_b64 v[0:1], 3, v[0:1]
	v_add_co_u32_e64 v0, s[0:1], v8, v0
	v_addc_co_u32_e64 v1, s[0:1], v9, v1, s[0:1]
	global_load_dwordx2 v[10:11], v[0:1], off
	s_waitcnt vmcnt(0)
	v_add_f64 v[6:7], v[6:7], v[10:11]
	global_store_dwordx2 v[0:1], v[6:7], off
.LBB1006_10:
	s_or_b64 exec, exec, s[2:3]
	v_cmp_le_i32_e64 s[0:1], v4, v5
	s_and_b64 s[0:1], vcc, s[0:1]
	s_and_saveexec_b64 s[2:3], s[0:1]
	s_cbranch_execz .LBB1006_12
; %bb.11:
	v_ashrrev_i32_e32 v5, 31, v4
	v_lshlrev_b64 v[0:1], 3, v[4:5]
	v_add_co_u32_e32 v0, vcc, v8, v0
	v_addc_co_u32_e32 v1, vcc, v9, v1, vcc
	global_load_dwordx2 v[4:5], v[0:1], off
	s_waitcnt vmcnt(0)
	v_add_f64 v[2:3], v[2:3], v[4:5]
	global_store_dwordx2 v[0:1], v[2:3], off
.LBB1006_12:
	s_endpgm
	.section	.rodata,"a",@progbits
	.p2align	6, 0x0
	.amdhsa_kernel _ZL37rocblas_syrkx_herkx_restricted_kernelIldLi16ELi32ELi8ELi1ELi1ELb0ELc84ELc85EKddEviT_PT9_S1_lS3_S1_lPT10_S1_li
		.amdhsa_group_segment_fixed_size 4096
		.amdhsa_private_segment_fixed_size 0
		.amdhsa_kernarg_size 92
		.amdhsa_user_sgpr_count 6
		.amdhsa_user_sgpr_private_segment_buffer 1
		.amdhsa_user_sgpr_dispatch_ptr 0
		.amdhsa_user_sgpr_queue_ptr 0
		.amdhsa_user_sgpr_kernarg_segment_ptr 1
		.amdhsa_user_sgpr_dispatch_id 0
		.amdhsa_user_sgpr_flat_scratch_init 0
		.amdhsa_user_sgpr_private_segment_size 0
		.amdhsa_uses_dynamic_stack 0
		.amdhsa_system_sgpr_private_segment_wavefront_offset 0
		.amdhsa_system_sgpr_workgroup_id_x 1
		.amdhsa_system_sgpr_workgroup_id_y 1
		.amdhsa_system_sgpr_workgroup_id_z 1
		.amdhsa_system_sgpr_workgroup_info 0
		.amdhsa_system_vgpr_workitem_id 1
		.amdhsa_next_free_vgpr 36
		.amdhsa_next_free_sgpr 28
		.amdhsa_reserve_vcc 1
		.amdhsa_reserve_flat_scratch 0
		.amdhsa_float_round_mode_32 0
		.amdhsa_float_round_mode_16_64 0
		.amdhsa_float_denorm_mode_32 3
		.amdhsa_float_denorm_mode_16_64 3
		.amdhsa_dx10_clamp 1
		.amdhsa_ieee_mode 1
		.amdhsa_fp16_overflow 0
		.amdhsa_exception_fp_ieee_invalid_op 0
		.amdhsa_exception_fp_denorm_src 0
		.amdhsa_exception_fp_ieee_div_zero 0
		.amdhsa_exception_fp_ieee_overflow 0
		.amdhsa_exception_fp_ieee_underflow 0
		.amdhsa_exception_fp_ieee_inexact 0
		.amdhsa_exception_int_div_zero 0
	.end_amdhsa_kernel
	.section	.text._ZL37rocblas_syrkx_herkx_restricted_kernelIldLi16ELi32ELi8ELi1ELi1ELb0ELc84ELc85EKddEviT_PT9_S1_lS3_S1_lPT10_S1_li,"axG",@progbits,_ZL37rocblas_syrkx_herkx_restricted_kernelIldLi16ELi32ELi8ELi1ELi1ELb0ELc84ELc85EKddEviT_PT9_S1_lS3_S1_lPT10_S1_li,comdat
.Lfunc_end1006:
	.size	_ZL37rocblas_syrkx_herkx_restricted_kernelIldLi16ELi32ELi8ELi1ELi1ELb0ELc84ELc85EKddEviT_PT9_S1_lS3_S1_lPT10_S1_li, .Lfunc_end1006-_ZL37rocblas_syrkx_herkx_restricted_kernelIldLi16ELi32ELi8ELi1ELi1ELb0ELc84ELc85EKddEviT_PT9_S1_lS3_S1_lPT10_S1_li
                                        ; -- End function
	.set _ZL37rocblas_syrkx_herkx_restricted_kernelIldLi16ELi32ELi8ELi1ELi1ELb0ELc84ELc85EKddEviT_PT9_S1_lS3_S1_lPT10_S1_li.num_vgpr, 36
	.set _ZL37rocblas_syrkx_herkx_restricted_kernelIldLi16ELi32ELi8ELi1ELi1ELb0ELc84ELc85EKddEviT_PT9_S1_lS3_S1_lPT10_S1_li.num_agpr, 0
	.set _ZL37rocblas_syrkx_herkx_restricted_kernelIldLi16ELi32ELi8ELi1ELi1ELb0ELc84ELc85EKddEviT_PT9_S1_lS3_S1_lPT10_S1_li.numbered_sgpr, 28
	.set _ZL37rocblas_syrkx_herkx_restricted_kernelIldLi16ELi32ELi8ELi1ELi1ELb0ELc84ELc85EKddEviT_PT9_S1_lS3_S1_lPT10_S1_li.num_named_barrier, 0
	.set _ZL37rocblas_syrkx_herkx_restricted_kernelIldLi16ELi32ELi8ELi1ELi1ELb0ELc84ELc85EKddEviT_PT9_S1_lS3_S1_lPT10_S1_li.private_seg_size, 0
	.set _ZL37rocblas_syrkx_herkx_restricted_kernelIldLi16ELi32ELi8ELi1ELi1ELb0ELc84ELc85EKddEviT_PT9_S1_lS3_S1_lPT10_S1_li.uses_vcc, 1
	.set _ZL37rocblas_syrkx_herkx_restricted_kernelIldLi16ELi32ELi8ELi1ELi1ELb0ELc84ELc85EKddEviT_PT9_S1_lS3_S1_lPT10_S1_li.uses_flat_scratch, 0
	.set _ZL37rocblas_syrkx_herkx_restricted_kernelIldLi16ELi32ELi8ELi1ELi1ELb0ELc84ELc85EKddEviT_PT9_S1_lS3_S1_lPT10_S1_li.has_dyn_sized_stack, 0
	.set _ZL37rocblas_syrkx_herkx_restricted_kernelIldLi16ELi32ELi8ELi1ELi1ELb0ELc84ELc85EKddEviT_PT9_S1_lS3_S1_lPT10_S1_li.has_recursion, 0
	.set _ZL37rocblas_syrkx_herkx_restricted_kernelIldLi16ELi32ELi8ELi1ELi1ELb0ELc84ELc85EKddEviT_PT9_S1_lS3_S1_lPT10_S1_li.has_indirect_call, 0
	.section	.AMDGPU.csdata,"",@progbits
; Kernel info:
; codeLenInByte = 1392
; TotalNumSgprs: 32
; NumVgprs: 36
; ScratchSize: 0
; MemoryBound: 0
; FloatMode: 240
; IeeeMode: 1
; LDSByteSize: 4096 bytes/workgroup (compile time only)
; SGPRBlocks: 3
; VGPRBlocks: 8
; NumSGPRsForWavesPerEU: 32
; NumVGPRsForWavesPerEU: 36
; Occupancy: 7
; WaveLimiterHint : 1
; COMPUTE_PGM_RSRC2:SCRATCH_EN: 0
; COMPUTE_PGM_RSRC2:USER_SGPR: 6
; COMPUTE_PGM_RSRC2:TRAP_HANDLER: 0
; COMPUTE_PGM_RSRC2:TGID_X_EN: 1
; COMPUTE_PGM_RSRC2:TGID_Y_EN: 1
; COMPUTE_PGM_RSRC2:TGID_Z_EN: 1
; COMPUTE_PGM_RSRC2:TIDIG_COMP_CNT: 1
	.section	.text._ZL37rocblas_syrkx_herkx_restricted_kernelIldLi16ELi32ELi8ELi1ELi1ELb0ELc67ELc85EKddEviT_PT9_S1_lS3_S1_lPT10_S1_li,"axG",@progbits,_ZL37rocblas_syrkx_herkx_restricted_kernelIldLi16ELi32ELi8ELi1ELi1ELb0ELc67ELc85EKddEviT_PT9_S1_lS3_S1_lPT10_S1_li,comdat
	.globl	_ZL37rocblas_syrkx_herkx_restricted_kernelIldLi16ELi32ELi8ELi1ELi1ELb0ELc67ELc85EKddEviT_PT9_S1_lS3_S1_lPT10_S1_li ; -- Begin function _ZL37rocblas_syrkx_herkx_restricted_kernelIldLi16ELi32ELi8ELi1ELi1ELb0ELc67ELc85EKddEviT_PT9_S1_lS3_S1_lPT10_S1_li
	.p2align	8
	.type	_ZL37rocblas_syrkx_herkx_restricted_kernelIldLi16ELi32ELi8ELi1ELi1ELb0ELc67ELc85EKddEviT_PT9_S1_lS3_S1_lPT10_S1_li,@function
_ZL37rocblas_syrkx_herkx_restricted_kernelIldLi16ELi32ELi8ELi1ELi1ELb0ELc67ELc85EKddEviT_PT9_S1_lS3_S1_lPT10_S1_li: ; @_ZL37rocblas_syrkx_herkx_restricted_kernelIldLi16ELi32ELi8ELi1ELi1ELb0ELc67ELc85EKddEviT_PT9_S1_lS3_S1_lPT10_S1_li
; %bb.0:
	s_load_dwordx16 s[12:27], s[4:5], 0x8
	s_lshl_b32 s2, s6, 5
	s_lshl_b32 s3, s7, 5
	s_waitcnt lgkmcnt(0)
	v_cmp_lt_i64_e64 s[0:1], s[12:13], 1
	s_and_b64 vcc, exec, s[0:1]
	s_cbranch_vccnz .LBB1007_3
; %bb.1:
	v_lshl_add_u32 v4, v1, 4, v0
	v_lshrrev_b32_e32 v8, 3, v4
	v_add_u32_e32 v5, s3, v8
	v_ashrrev_i32_e32 v6, 31, v5
	v_and_b32_e32 v2, 7, v0
	v_mov_b32_e32 v3, 0
	v_mul_lo_u32 v9, s22, v6
	v_mul_lo_u32 v10, s23, v5
	v_mad_u64_u32 v[6:7], s[0:1], s22, v5, v[2:3]
	v_lshlrev_b32_e32 v2, 3, v2
	v_lshl_or_b32 v2, v8, 6, v2
	v_add3_u32 v7, v10, v7, v9
	v_and_b32_e32 v9, 31, v4
	v_add_u32_e32 v15, 0x800, v2
	v_mov_b32_e32 v2, 0x800
	v_add_u32_e32 v8, s2, v9
	v_lshrrev_b32_e32 v4, 5, v4
	v_mov_b32_e32 v5, v3
	v_lshlrev_b32_e32 v3, 3, v9
	v_lshl_add_u32 v17, v1, 6, v2
	v_ashrrev_i32_e32 v2, 31, v8
	v_lshl_or_b32 v14, v4, 8, v3
	v_mul_lo_u32 v9, s16, v2
	v_mad_u64_u32 v[2:3], s[0:1], s16, v8, v[4:5]
	v_mul_lo_u32 v4, s17, v8
	s_mul_i32 s6, s19, s8
	s_mul_hi_u32 s7, s18, s8
	s_add_i32 s1, s7, s6
	s_mul_i32 s0, s18, s8
	s_lshl_b64 s[0:1], s[0:1], 3
	v_add3_u32 v3, v4, v3, v9
	v_lshlrev_b64 v[2:3], 3, v[2:3]
	s_add_u32 s0, s14, s0
	s_addc_u32 s1, s15, s1
	v_mov_b32_e32 v5, s1
	v_add_co_u32_e32 v4, vcc, s0, v2
	s_mul_i32 s0, s25, s8
	s_mul_hi_u32 s1, s24, s8
	s_add_i32 s1, s1, s0
	s_mul_i32 s0, s24, s8
	s_lshl_b64 s[0:1], s[0:1], 3
	v_addc_co_u32_e32 v5, vcc, v5, v3, vcc
	v_lshlrev_b64 v[2:3], 3, v[6:7]
	s_add_u32 s0, s20, s0
	s_addc_u32 s1, s21, s1
	v_mov_b32_e32 v6, s1
	v_add_co_u32_e32 v8, vcc, s0, v2
	v_addc_co_u32_e32 v9, vcc, v6, v3, vcc
	v_mov_b32_e32 v2, 0
	v_mov_b32_e32 v6, 0
	;; [unrolled: 1-line block ×4, first 2 shown]
	v_lshlrev_b32_e32 v16, 3, v0
	v_mov_b32_e32 v3, 0
	v_mov_b32_e32 v7, 0
	;; [unrolled: 1-line block ×4, first 2 shown]
	s_mov_b64 s[0:1], 0
.LBB1007_2:                             ; =>This Inner Loop Header: Depth=1
	global_load_dwordx2 v[18:19], v[4:5], off
	global_load_dwordx2 v[20:21], v[8:9], off
	s_add_u32 s0, s0, 8
	v_add_co_u32_e32 v4, vcc, 64, v4
	v_addc_co_u32_e32 v5, vcc, 0, v5, vcc
	s_addc_u32 s1, s1, 0
	v_add_co_u32_e32 v8, vcc, 64, v8
	v_addc_co_u32_e32 v9, vcc, 0, v9, vcc
	s_waitcnt vmcnt(1)
	ds_write_b64 v14, v[18:19]
	s_waitcnt vmcnt(0)
	ds_write_b64 v15, v[20:21]
	s_waitcnt lgkmcnt(0)
	s_barrier
	ds_read2_b64 v[18:21], v16 offset1:16
	ds_read_b128 v[22:25], v17
	ds_read_b128 v[26:29], v17 offset:1024
	ds_read_b128 v[30:33], v17 offset:16
	s_waitcnt lgkmcnt(2)
	v_fma_f64 v[34:35], v[18:19], v[22:23], v[12:13]
	v_fma_f64 v[22:23], v[20:21], v[22:23], v[10:11]
	s_waitcnt lgkmcnt(1)
	v_fma_f64 v[6:7], v[18:19], v[26:27], v[6:7]
	v_fma_f64 v[2:3], v[20:21], v[26:27], v[2:3]
	ds_read2_b64 v[18:21], v16 offset0:32 offset1:48
	ds_read_b128 v[10:13], v17 offset:1040
	s_waitcnt lgkmcnt(1)
	v_fma_f64 v[26:27], v[18:19], v[24:25], v[34:35]
	v_fma_f64 v[34:35], v[20:21], v[24:25], v[22:23]
	;; [unrolled: 1-line block ×4, first 2 shown]
	ds_read2_b64 v[18:21], v16 offset0:64 offset1:80
	ds_read2_b64 v[22:25], v16 offset0:96 offset1:112
	s_waitcnt lgkmcnt(1)
	v_fma_f64 v[26:27], v[18:19], v[30:31], v[26:27]
	v_fma_f64 v[28:29], v[20:21], v[30:31], v[34:35]
	;; [unrolled: 1-line block ×4, first 2 shown]
	ds_read2_b64 v[18:21], v16 offset0:128 offset1:144
	s_waitcnt lgkmcnt(1)
	v_fma_f64 v[30:31], v[22:23], v[32:33], v[26:27]
	v_fma_f64 v[32:33], v[24:25], v[32:33], v[28:29]
	;; [unrolled: 1-line block ×4, first 2 shown]
	ds_read_b128 v[26:29], v17 offset:32
	ds_read_b128 v[10:13], v17 offset:1056
	;; [unrolled: 1-line block ×3, first 2 shown]
	s_waitcnt lgkmcnt(2)
	v_fma_f64 v[34:35], v[18:19], v[26:27], v[30:31]
	v_fma_f64 v[26:27], v[20:21], v[26:27], v[32:33]
	s_waitcnt lgkmcnt(1)
	v_fma_f64 v[6:7], v[18:19], v[10:11], v[6:7]
	v_fma_f64 v[2:3], v[20:21], v[10:11], v[2:3]
	ds_read2_b64 v[18:21], v16 offset0:160 offset1:176
	ds_read_b128 v[30:33], v17 offset:1072
	s_waitcnt lgkmcnt(1)
	v_fma_f64 v[34:35], v[18:19], v[28:29], v[34:35]
	v_fma_f64 v[26:27], v[20:21], v[28:29], v[26:27]
	;; [unrolled: 1-line block ×4, first 2 shown]
	ds_read2_b64 v[10:13], v16 offset0:192 offset1:208
	ds_read2_b64 v[18:21], v16 offset0:224 offset1:240
	v_mov_b32_e32 v29, s1
	v_mov_b32_e32 v28, s0
	v_cmp_le_u64_e32 vcc, s[12:13], v[28:29]
	s_waitcnt lgkmcnt(1)
	v_fma_f64 v[34:35], v[10:11], v[22:23], v[34:35]
	v_fma_f64 v[22:23], v[12:13], v[22:23], v[26:27]
	;; [unrolled: 1-line block ×4, first 2 shown]
	s_and_b64 vcc, exec, vcc
	s_waitcnt lgkmcnt(0)
	s_barrier
	v_fma_f64 v[12:13], v[18:19], v[24:25], v[34:35]
	v_fma_f64 v[10:11], v[20:21], v[24:25], v[22:23]
	;; [unrolled: 1-line block ×4, first 2 shown]
	s_cbranch_vccz .LBB1007_2
	s_branch .LBB1007_4
.LBB1007_3:
	v_mov_b32_e32 v12, 0
	v_mov_b32_e32 v10, 0
	;; [unrolled: 1-line block ×8, first 2 shown]
.LBB1007_4:
	s_load_dwordx4 s[12:15], s[4:5], 0x48
	s_load_dword s6, s[4:5], 0x0
	v_add_u32_e32 v8, s3, v1
	v_ashrrev_i32_e32 v1, 31, v8
	v_add_u32_e32 v0, s2, v0
	s_waitcnt lgkmcnt(0)
	s_mul_i32 s1, s15, s8
	s_mul_hi_u32 s3, s14, s8
	s_mul_i32 s0, s14, s8
	v_mul_lo_u32 v1, s12, v1
	v_mul_lo_u32 v9, s13, v8
	v_mad_u64_u32 v[4:5], s[8:9], s12, v8, 0
	s_add_i32 s1, s3, s1
	s_lshl_b64 s[0:1], s[0:1], 3
	v_add3_u32 v5, v5, v1, v9
	s_add_u32 s4, s26, s0
	v_lshlrev_b64 v[4:5], 3, v[4:5]
	s_addc_u32 s5, s27, s1
	v_mov_b32_e32 v1, s5
	v_add_co_u32_e64 v9, s[0:1], s4, v4
	v_addc_co_u32_e64 v14, s[0:1], v1, v5, s[0:1]
	v_cmp_gt_i32_e32 vcc, s6, v8
	v_cmp_le_i32_e64 s[0:1], v0, v8
	s_and_b64 s[0:1], vcc, s[0:1]
	s_and_saveexec_b64 s[2:3], s[0:1]
	s_cbranch_execz .LBB1007_6
; %bb.5:
	v_ashrrev_i32_e32 v1, 31, v0
	v_lshlrev_b64 v[4:5], 3, v[0:1]
	v_add_co_u32_e64 v4, s[0:1], v9, v4
	v_addc_co_u32_e64 v5, s[0:1], v14, v5, s[0:1]
	global_load_dwordx2 v[15:16], v[4:5], off
	s_waitcnt vmcnt(0)
	v_add_f64 v[12:13], v[12:13], v[15:16]
	global_store_dwordx2 v[4:5], v[12:13], off
.LBB1007_6:
	s_or_b64 exec, exec, s[2:3]
	v_add_u32_e32 v4, 16, v0
	v_cmp_le_i32_e64 s[0:1], v4, v8
	s_and_b64 s[2:3], vcc, s[0:1]
	s_and_saveexec_b64 s[0:1], s[2:3]
	s_cbranch_execz .LBB1007_8
; %bb.7:
	v_ashrrev_i32_e32 v5, 31, v4
	v_lshlrev_b64 v[12:13], 3, v[4:5]
	v_add_co_u32_e32 v12, vcc, v9, v12
	v_addc_co_u32_e32 v13, vcc, v14, v13, vcc
	global_load_dwordx2 v[14:15], v[12:13], off
	s_waitcnt vmcnt(0)
	v_add_f64 v[9:10], v[10:11], v[14:15]
	global_store_dwordx2 v[12:13], v[9:10], off
.LBB1007_8:
	s_or_b64 exec, exec, s[0:1]
	v_add_u32_e32 v5, 16, v8
	v_ashrrev_i32_e32 v1, 31, v5
	v_mul_lo_u32 v1, s12, v1
	v_mul_lo_u32 v10, s13, v5
	v_mad_u64_u32 v[8:9], s[0:1], s12, v5, 0
	v_cmp_gt_i32_e32 vcc, s6, v5
	v_add3_u32 v9, v9, v1, v10
	v_lshlrev_b64 v[8:9], 3, v[8:9]
	v_mov_b32_e32 v1, s5
	v_add_co_u32_e64 v8, s[0:1], s4, v8
	v_addc_co_u32_e64 v9, s[0:1], v1, v9, s[0:1]
	v_cmp_le_i32_e64 s[0:1], v0, v5
	s_and_b64 s[0:1], vcc, s[0:1]
	s_and_saveexec_b64 s[2:3], s[0:1]
	s_cbranch_execz .LBB1007_10
; %bb.9:
	v_ashrrev_i32_e32 v1, 31, v0
	v_lshlrev_b64 v[0:1], 3, v[0:1]
	v_add_co_u32_e64 v0, s[0:1], v8, v0
	v_addc_co_u32_e64 v1, s[0:1], v9, v1, s[0:1]
	global_load_dwordx2 v[10:11], v[0:1], off
	s_waitcnt vmcnt(0)
	v_add_f64 v[6:7], v[6:7], v[10:11]
	global_store_dwordx2 v[0:1], v[6:7], off
.LBB1007_10:
	s_or_b64 exec, exec, s[2:3]
	v_cmp_le_i32_e64 s[0:1], v4, v5
	s_and_b64 s[0:1], vcc, s[0:1]
	s_and_saveexec_b64 s[2:3], s[0:1]
	s_cbranch_execz .LBB1007_12
; %bb.11:
	v_ashrrev_i32_e32 v5, 31, v4
	v_lshlrev_b64 v[0:1], 3, v[4:5]
	v_add_co_u32_e32 v0, vcc, v8, v0
	v_addc_co_u32_e32 v1, vcc, v9, v1, vcc
	global_load_dwordx2 v[4:5], v[0:1], off
	s_waitcnt vmcnt(0)
	v_add_f64 v[2:3], v[2:3], v[4:5]
	global_store_dwordx2 v[0:1], v[2:3], off
.LBB1007_12:
	s_endpgm
	.section	.rodata,"a",@progbits
	.p2align	6, 0x0
	.amdhsa_kernel _ZL37rocblas_syrkx_herkx_restricted_kernelIldLi16ELi32ELi8ELi1ELi1ELb0ELc67ELc85EKddEviT_PT9_S1_lS3_S1_lPT10_S1_li
		.amdhsa_group_segment_fixed_size 4096
		.amdhsa_private_segment_fixed_size 0
		.amdhsa_kernarg_size 92
		.amdhsa_user_sgpr_count 6
		.amdhsa_user_sgpr_private_segment_buffer 1
		.amdhsa_user_sgpr_dispatch_ptr 0
		.amdhsa_user_sgpr_queue_ptr 0
		.amdhsa_user_sgpr_kernarg_segment_ptr 1
		.amdhsa_user_sgpr_dispatch_id 0
		.amdhsa_user_sgpr_flat_scratch_init 0
		.amdhsa_user_sgpr_private_segment_size 0
		.amdhsa_uses_dynamic_stack 0
		.amdhsa_system_sgpr_private_segment_wavefront_offset 0
		.amdhsa_system_sgpr_workgroup_id_x 1
		.amdhsa_system_sgpr_workgroup_id_y 1
		.amdhsa_system_sgpr_workgroup_id_z 1
		.amdhsa_system_sgpr_workgroup_info 0
		.amdhsa_system_vgpr_workitem_id 1
		.amdhsa_next_free_vgpr 36
		.amdhsa_next_free_sgpr 28
		.amdhsa_reserve_vcc 1
		.amdhsa_reserve_flat_scratch 0
		.amdhsa_float_round_mode_32 0
		.amdhsa_float_round_mode_16_64 0
		.amdhsa_float_denorm_mode_32 3
		.amdhsa_float_denorm_mode_16_64 3
		.amdhsa_dx10_clamp 1
		.amdhsa_ieee_mode 1
		.amdhsa_fp16_overflow 0
		.amdhsa_exception_fp_ieee_invalid_op 0
		.amdhsa_exception_fp_denorm_src 0
		.amdhsa_exception_fp_ieee_div_zero 0
		.amdhsa_exception_fp_ieee_overflow 0
		.amdhsa_exception_fp_ieee_underflow 0
		.amdhsa_exception_fp_ieee_inexact 0
		.amdhsa_exception_int_div_zero 0
	.end_amdhsa_kernel
	.section	.text._ZL37rocblas_syrkx_herkx_restricted_kernelIldLi16ELi32ELi8ELi1ELi1ELb0ELc67ELc85EKddEviT_PT9_S1_lS3_S1_lPT10_S1_li,"axG",@progbits,_ZL37rocblas_syrkx_herkx_restricted_kernelIldLi16ELi32ELi8ELi1ELi1ELb0ELc67ELc85EKddEviT_PT9_S1_lS3_S1_lPT10_S1_li,comdat
.Lfunc_end1007:
	.size	_ZL37rocblas_syrkx_herkx_restricted_kernelIldLi16ELi32ELi8ELi1ELi1ELb0ELc67ELc85EKddEviT_PT9_S1_lS3_S1_lPT10_S1_li, .Lfunc_end1007-_ZL37rocblas_syrkx_herkx_restricted_kernelIldLi16ELi32ELi8ELi1ELi1ELb0ELc67ELc85EKddEviT_PT9_S1_lS3_S1_lPT10_S1_li
                                        ; -- End function
	.set _ZL37rocblas_syrkx_herkx_restricted_kernelIldLi16ELi32ELi8ELi1ELi1ELb0ELc67ELc85EKddEviT_PT9_S1_lS3_S1_lPT10_S1_li.num_vgpr, 36
	.set _ZL37rocblas_syrkx_herkx_restricted_kernelIldLi16ELi32ELi8ELi1ELi1ELb0ELc67ELc85EKddEviT_PT9_S1_lS3_S1_lPT10_S1_li.num_agpr, 0
	.set _ZL37rocblas_syrkx_herkx_restricted_kernelIldLi16ELi32ELi8ELi1ELi1ELb0ELc67ELc85EKddEviT_PT9_S1_lS3_S1_lPT10_S1_li.numbered_sgpr, 28
	.set _ZL37rocblas_syrkx_herkx_restricted_kernelIldLi16ELi32ELi8ELi1ELi1ELb0ELc67ELc85EKddEviT_PT9_S1_lS3_S1_lPT10_S1_li.num_named_barrier, 0
	.set _ZL37rocblas_syrkx_herkx_restricted_kernelIldLi16ELi32ELi8ELi1ELi1ELb0ELc67ELc85EKddEviT_PT9_S1_lS3_S1_lPT10_S1_li.private_seg_size, 0
	.set _ZL37rocblas_syrkx_herkx_restricted_kernelIldLi16ELi32ELi8ELi1ELi1ELb0ELc67ELc85EKddEviT_PT9_S1_lS3_S1_lPT10_S1_li.uses_vcc, 1
	.set _ZL37rocblas_syrkx_herkx_restricted_kernelIldLi16ELi32ELi8ELi1ELi1ELb0ELc67ELc85EKddEviT_PT9_S1_lS3_S1_lPT10_S1_li.uses_flat_scratch, 0
	.set _ZL37rocblas_syrkx_herkx_restricted_kernelIldLi16ELi32ELi8ELi1ELi1ELb0ELc67ELc85EKddEviT_PT9_S1_lS3_S1_lPT10_S1_li.has_dyn_sized_stack, 0
	.set _ZL37rocblas_syrkx_herkx_restricted_kernelIldLi16ELi32ELi8ELi1ELi1ELb0ELc67ELc85EKddEviT_PT9_S1_lS3_S1_lPT10_S1_li.has_recursion, 0
	.set _ZL37rocblas_syrkx_herkx_restricted_kernelIldLi16ELi32ELi8ELi1ELi1ELb0ELc67ELc85EKddEviT_PT9_S1_lS3_S1_lPT10_S1_li.has_indirect_call, 0
	.section	.AMDGPU.csdata,"",@progbits
; Kernel info:
; codeLenInByte = 1392
; TotalNumSgprs: 32
; NumVgprs: 36
; ScratchSize: 0
; MemoryBound: 0
; FloatMode: 240
; IeeeMode: 1
; LDSByteSize: 4096 bytes/workgroup (compile time only)
; SGPRBlocks: 3
; VGPRBlocks: 8
; NumSGPRsForWavesPerEU: 32
; NumVGPRsForWavesPerEU: 36
; Occupancy: 7
; WaveLimiterHint : 1
; COMPUTE_PGM_RSRC2:SCRATCH_EN: 0
; COMPUTE_PGM_RSRC2:USER_SGPR: 6
; COMPUTE_PGM_RSRC2:TRAP_HANDLER: 0
; COMPUTE_PGM_RSRC2:TGID_X_EN: 1
; COMPUTE_PGM_RSRC2:TGID_Y_EN: 1
; COMPUTE_PGM_RSRC2:TGID_Z_EN: 1
; COMPUTE_PGM_RSRC2:TIDIG_COMP_CNT: 1
	.section	.text._ZL37rocblas_syrkx_herkx_restricted_kernelIldLi16ELi32ELi8ELi1ELi1ELb0ELc78ELc85EKddEviT_PT9_S1_lS3_S1_lPT10_S1_li,"axG",@progbits,_ZL37rocblas_syrkx_herkx_restricted_kernelIldLi16ELi32ELi8ELi1ELi1ELb0ELc78ELc85EKddEviT_PT9_S1_lS3_S1_lPT10_S1_li,comdat
	.globl	_ZL37rocblas_syrkx_herkx_restricted_kernelIldLi16ELi32ELi8ELi1ELi1ELb0ELc78ELc85EKddEviT_PT9_S1_lS3_S1_lPT10_S1_li ; -- Begin function _ZL37rocblas_syrkx_herkx_restricted_kernelIldLi16ELi32ELi8ELi1ELi1ELb0ELc78ELc85EKddEviT_PT9_S1_lS3_S1_lPT10_S1_li
	.p2align	8
	.type	_ZL37rocblas_syrkx_herkx_restricted_kernelIldLi16ELi32ELi8ELi1ELi1ELb0ELc78ELc85EKddEviT_PT9_S1_lS3_S1_lPT10_S1_li,@function
_ZL37rocblas_syrkx_herkx_restricted_kernelIldLi16ELi32ELi8ELi1ELi1ELb0ELc78ELc85EKddEviT_PT9_S1_lS3_S1_lPT10_S1_li: ; @_ZL37rocblas_syrkx_herkx_restricted_kernelIldLi16ELi32ELi8ELi1ELi1ELb0ELc78ELc85EKddEviT_PT9_S1_lS3_S1_lPT10_S1_li
; %bb.0:
	s_load_dwordx16 s[12:27], s[4:5], 0x8
	s_lshl_b32 s9, s6, 5
	s_lshl_b32 s10, s7, 5
	s_waitcnt lgkmcnt(0)
	v_cmp_lt_i64_e64 s[0:1], s[12:13], 1
	s_and_b64 vcc, exec, s[0:1]
	s_cbranch_vccnz .LBB1008_3
; %bb.1:
	v_lshl_add_u32 v6, v1, 4, v0
	v_lshrrev_b32_e32 v7, 3, v6
	v_add_u32_e32 v2, s10, v7
	v_and_b32_e32 v5, 7, v0
	v_ashrrev_i32_e32 v3, 31, v2
	v_mad_u64_u32 v[2:3], s[0:1], s22, v5, v[2:3]
	v_lshrrev_b32_e32 v8, 5, v6
	s_mul_i32 s2, s19, s8
	v_mad_u64_u32 v[3:4], s[0:1], s23, v5, v[3:4]
	v_and_b32_e32 v4, 31, v6
	v_lshlrev_b32_e32 v5, 3, v5
	v_lshlrev_b32_e32 v6, 3, v4
	v_lshl_or_b32 v5, v7, 6, v5
	v_add_u32_e32 v4, s9, v4
	v_add_u32_e32 v15, 0x800, v5
	v_ashrrev_i32_e32 v5, 31, v4
	v_mad_u64_u32 v[4:5], s[0:1], s16, v8, v[4:5]
	v_lshl_or_b32 v14, v8, 8, v6
	v_mov_b32_e32 v6, 0x800
	v_lshl_add_u32 v17, v1, 6, v6
	v_mad_u64_u32 v[5:6], s[0:1], s17, v8, v[5:6]
	s_mul_hi_u32 s3, s18, s8
	s_add_i32 s1, s3, s2
	s_mul_i32 s0, s18, s8
	s_lshl_b64 s[0:1], s[0:1], 3
	v_lshlrev_b64 v[4:5], 3, v[4:5]
	s_add_u32 s0, s14, s0
	s_mul_i32 s2, s25, s8
	s_mul_hi_u32 s3, s24, s8
	s_addc_u32 s1, s15, s1
	s_add_i32 s3, s3, s2
	s_mul_i32 s2, s24, s8
	v_mov_b32_e32 v6, s1
	v_add_co_u32_e32 v4, vcc, s0, v4
	s_lshl_b64 s[0:1], s[16:17], 6
	s_lshl_b64 s[2:3], s[2:3], 3
	v_lshlrev_b64 v[2:3], 3, v[2:3]
	s_add_u32 s2, s20, s2
	v_addc_co_u32_e32 v5, vcc, v6, v5, vcc
	s_addc_u32 s3, s21, s3
	v_mov_b32_e32 v6, s3
	v_add_co_u32_e32 v8, vcc, s2, v2
	v_addc_co_u32_e32 v9, vcc, v6, v3, vcc
	s_lshl_b64 s[2:3], s[22:23], 6
	v_mov_b32_e32 v2, 0
	v_mov_b32_e32 v6, 0
	;; [unrolled: 1-line block ×4, first 2 shown]
	v_lshlrev_b32_e32 v16, 3, v0
	v_mov_b32_e32 v3, 0
	s_mov_b64 s[6:7], 0
	v_mov_b32_e32 v18, s1
	v_mov_b32_e32 v7, 0
	v_mov_b32_e32 v11, 0
	v_mov_b32_e32 v13, 0
	v_mov_b32_e32 v19, s3
.LBB1008_2:                             ; =>This Inner Loop Header: Depth=1
	global_load_dwordx2 v[20:21], v[4:5], off
	global_load_dwordx2 v[22:23], v[8:9], off
	s_add_u32 s6, s6, 8
	v_add_co_u32_e32 v4, vcc, s0, v4
	v_addc_co_u32_e32 v5, vcc, v5, v18, vcc
	s_addc_u32 s7, s7, 0
	v_add_co_u32_e32 v8, vcc, s2, v8
	v_addc_co_u32_e32 v9, vcc, v9, v19, vcc
	s_waitcnt vmcnt(1)
	ds_write_b64 v14, v[20:21]
	s_waitcnt vmcnt(0)
	ds_write_b64 v15, v[22:23]
	s_waitcnt lgkmcnt(0)
	s_barrier
	ds_read2_b64 v[20:23], v16 offset1:16
	ds_read_b128 v[24:27], v17
	ds_read_b128 v[28:31], v17 offset:16
	s_waitcnt lgkmcnt(1)
	v_fma_f64 v[36:37], v[20:21], v[24:25], v[12:13]
	v_fma_f64 v[24:25], v[22:23], v[24:25], v[10:11]
	ds_read_b128 v[10:13], v17 offset:1024
	ds_read_b128 v[32:35], v17 offset:1040
	s_waitcnt lgkmcnt(1)
	v_fma_f64 v[6:7], v[20:21], v[10:11], v[6:7]
	v_fma_f64 v[2:3], v[22:23], v[10:11], v[2:3]
	ds_read2_b64 v[20:23], v16 offset0:32 offset1:48
	s_waitcnt lgkmcnt(0)
	v_fma_f64 v[36:37], v[20:21], v[26:27], v[36:37]
	v_fma_f64 v[24:25], v[22:23], v[26:27], v[24:25]
	v_fma_f64 v[6:7], v[20:21], v[12:13], v[6:7]
	v_fma_f64 v[2:3], v[22:23], v[12:13], v[2:3]
	ds_read2_b64 v[10:13], v16 offset0:64 offset1:80
	s_waitcnt lgkmcnt(0)
	v_fma_f64 v[20:21], v[10:11], v[28:29], v[36:37]
	v_fma_f64 v[22:23], v[12:13], v[28:29], v[24:25]
	;; [unrolled: 6-line block ×3, first 2 shown]
	ds_read2_b64 v[20:23], v16 offset0:128 offset1:144
	v_fma_f64 v[6:7], v[10:11], v[34:35], v[6:7]
	v_fma_f64 v[2:3], v[12:13], v[34:35], v[2:3]
	ds_read_b128 v[10:13], v17 offset:32
	ds_read_b128 v[24:27], v17 offset:48
	s_waitcnt lgkmcnt(1)
	v_fma_f64 v[36:37], v[20:21], v[10:11], v[28:29]
	v_fma_f64 v[10:11], v[22:23], v[10:11], v[30:31]
	ds_read_b128 v[28:31], v17 offset:1056
	ds_read_b128 v[32:35], v17 offset:1072
	s_waitcnt lgkmcnt(1)
	v_fma_f64 v[6:7], v[20:21], v[28:29], v[6:7]
	v_fma_f64 v[2:3], v[22:23], v[28:29], v[2:3]
	ds_read2_b64 v[20:23], v16 offset0:160 offset1:176
	s_waitcnt lgkmcnt(0)
	v_fma_f64 v[28:29], v[20:21], v[12:13], v[36:37]
	v_fma_f64 v[36:37], v[22:23], v[12:13], v[10:11]
	;; [unrolled: 1-line block ×4, first 2 shown]
	ds_read2_b64 v[10:13], v16 offset0:192 offset1:208
	ds_read2_b64 v[20:23], v16 offset0:224 offset1:240
	v_mov_b32_e32 v31, s7
	v_mov_b32_e32 v30, s6
	v_cmp_le_u64_e32 vcc, s[12:13], v[30:31]
	s_waitcnt lgkmcnt(1)
	v_fma_f64 v[28:29], v[10:11], v[24:25], v[28:29]
	v_fma_f64 v[24:25], v[12:13], v[24:25], v[36:37]
	;; [unrolled: 1-line block ×4, first 2 shown]
	s_and_b64 vcc, exec, vcc
	s_waitcnt lgkmcnt(0)
	s_barrier
	v_fma_f64 v[12:13], v[20:21], v[26:27], v[28:29]
	v_fma_f64 v[10:11], v[22:23], v[26:27], v[24:25]
	;; [unrolled: 1-line block ×4, first 2 shown]
	s_cbranch_vccz .LBB1008_2
	s_branch .LBB1008_4
.LBB1008_3:
	v_mov_b32_e32 v12, 0
	v_mov_b32_e32 v10, 0
	;; [unrolled: 1-line block ×8, first 2 shown]
.LBB1008_4:
	s_load_dwordx4 s[12:15], s[4:5], 0x48
	s_load_dword s6, s[4:5], 0x0
	v_add_u32_e32 v8, s10, v1
	v_ashrrev_i32_e32 v1, 31, v8
	v_add_u32_e32 v0, s9, v0
	s_waitcnt lgkmcnt(0)
	s_mul_i32 s1, s15, s8
	s_mul_hi_u32 s2, s14, s8
	s_add_i32 s1, s2, s1
	v_mul_lo_u32 v1, s12, v1
	v_mul_lo_u32 v9, s13, v8
	v_mad_u64_u32 v[4:5], s[2:3], s12, v8, 0
	s_mul_i32 s0, s14, s8
	s_lshl_b64 s[0:1], s[0:1], 3
	v_add3_u32 v5, v5, v1, v9
	s_add_u32 s4, s26, s0
	v_lshlrev_b64 v[4:5], 3, v[4:5]
	s_addc_u32 s5, s27, s1
	v_mov_b32_e32 v1, s5
	v_add_co_u32_e64 v9, s[0:1], s4, v4
	v_addc_co_u32_e64 v14, s[0:1], v1, v5, s[0:1]
	v_cmp_gt_i32_e32 vcc, s6, v8
	v_cmp_le_i32_e64 s[0:1], v0, v8
	s_and_b64 s[0:1], vcc, s[0:1]
	s_and_saveexec_b64 s[2:3], s[0:1]
	s_cbranch_execz .LBB1008_6
; %bb.5:
	v_ashrrev_i32_e32 v1, 31, v0
	v_lshlrev_b64 v[4:5], 3, v[0:1]
	v_add_co_u32_e64 v4, s[0:1], v9, v4
	v_addc_co_u32_e64 v5, s[0:1], v14, v5, s[0:1]
	global_load_dwordx2 v[15:16], v[4:5], off
	s_waitcnt vmcnt(0)
	v_add_f64 v[12:13], v[12:13], v[15:16]
	global_store_dwordx2 v[4:5], v[12:13], off
.LBB1008_6:
	s_or_b64 exec, exec, s[2:3]
	v_add_u32_e32 v4, 16, v0
	v_cmp_le_i32_e64 s[0:1], v4, v8
	s_and_b64 s[2:3], vcc, s[0:1]
	s_and_saveexec_b64 s[0:1], s[2:3]
	s_cbranch_execz .LBB1008_8
; %bb.7:
	v_ashrrev_i32_e32 v5, 31, v4
	v_lshlrev_b64 v[12:13], 3, v[4:5]
	v_add_co_u32_e32 v12, vcc, v9, v12
	v_addc_co_u32_e32 v13, vcc, v14, v13, vcc
	global_load_dwordx2 v[14:15], v[12:13], off
	s_waitcnt vmcnt(0)
	v_add_f64 v[9:10], v[10:11], v[14:15]
	global_store_dwordx2 v[12:13], v[9:10], off
.LBB1008_8:
	s_or_b64 exec, exec, s[0:1]
	v_add_u32_e32 v5, 16, v8
	v_ashrrev_i32_e32 v1, 31, v5
	v_mul_lo_u32 v1, s12, v1
	v_mul_lo_u32 v10, s13, v5
	v_mad_u64_u32 v[8:9], s[0:1], s12, v5, 0
	v_cmp_gt_i32_e32 vcc, s6, v5
	v_add3_u32 v9, v9, v1, v10
	v_lshlrev_b64 v[8:9], 3, v[8:9]
	v_mov_b32_e32 v1, s5
	v_add_co_u32_e64 v8, s[0:1], s4, v8
	v_addc_co_u32_e64 v9, s[0:1], v1, v9, s[0:1]
	v_cmp_le_i32_e64 s[0:1], v0, v5
	s_and_b64 s[0:1], vcc, s[0:1]
	s_and_saveexec_b64 s[2:3], s[0:1]
	s_cbranch_execz .LBB1008_10
; %bb.9:
	v_ashrrev_i32_e32 v1, 31, v0
	v_lshlrev_b64 v[0:1], 3, v[0:1]
	v_add_co_u32_e64 v0, s[0:1], v8, v0
	v_addc_co_u32_e64 v1, s[0:1], v9, v1, s[0:1]
	global_load_dwordx2 v[10:11], v[0:1], off
	s_waitcnt vmcnt(0)
	v_add_f64 v[6:7], v[6:7], v[10:11]
	global_store_dwordx2 v[0:1], v[6:7], off
.LBB1008_10:
	s_or_b64 exec, exec, s[2:3]
	v_cmp_le_i32_e64 s[0:1], v4, v5
	s_and_b64 s[0:1], vcc, s[0:1]
	s_and_saveexec_b64 s[2:3], s[0:1]
	s_cbranch_execz .LBB1008_12
; %bb.11:
	v_ashrrev_i32_e32 v5, 31, v4
	v_lshlrev_b64 v[0:1], 3, v[4:5]
	v_add_co_u32_e32 v0, vcc, v8, v0
	v_addc_co_u32_e32 v1, vcc, v9, v1, vcc
	global_load_dwordx2 v[4:5], v[0:1], off
	s_waitcnt vmcnt(0)
	v_add_f64 v[2:3], v[2:3], v[4:5]
	global_store_dwordx2 v[0:1], v[2:3], off
.LBB1008_12:
	s_endpgm
	.section	.rodata,"a",@progbits
	.p2align	6, 0x0
	.amdhsa_kernel _ZL37rocblas_syrkx_herkx_restricted_kernelIldLi16ELi32ELi8ELi1ELi1ELb0ELc78ELc85EKddEviT_PT9_S1_lS3_S1_lPT10_S1_li
		.amdhsa_group_segment_fixed_size 4096
		.amdhsa_private_segment_fixed_size 0
		.amdhsa_kernarg_size 92
		.amdhsa_user_sgpr_count 6
		.amdhsa_user_sgpr_private_segment_buffer 1
		.amdhsa_user_sgpr_dispatch_ptr 0
		.amdhsa_user_sgpr_queue_ptr 0
		.amdhsa_user_sgpr_kernarg_segment_ptr 1
		.amdhsa_user_sgpr_dispatch_id 0
		.amdhsa_user_sgpr_flat_scratch_init 0
		.amdhsa_user_sgpr_private_segment_size 0
		.amdhsa_uses_dynamic_stack 0
		.amdhsa_system_sgpr_private_segment_wavefront_offset 0
		.amdhsa_system_sgpr_workgroup_id_x 1
		.amdhsa_system_sgpr_workgroup_id_y 1
		.amdhsa_system_sgpr_workgroup_id_z 1
		.amdhsa_system_sgpr_workgroup_info 0
		.amdhsa_system_vgpr_workitem_id 1
		.amdhsa_next_free_vgpr 38
		.amdhsa_next_free_sgpr 28
		.amdhsa_reserve_vcc 1
		.amdhsa_reserve_flat_scratch 0
		.amdhsa_float_round_mode_32 0
		.amdhsa_float_round_mode_16_64 0
		.amdhsa_float_denorm_mode_32 3
		.amdhsa_float_denorm_mode_16_64 3
		.amdhsa_dx10_clamp 1
		.amdhsa_ieee_mode 1
		.amdhsa_fp16_overflow 0
		.amdhsa_exception_fp_ieee_invalid_op 0
		.amdhsa_exception_fp_denorm_src 0
		.amdhsa_exception_fp_ieee_div_zero 0
		.amdhsa_exception_fp_ieee_overflow 0
		.amdhsa_exception_fp_ieee_underflow 0
		.amdhsa_exception_fp_ieee_inexact 0
		.amdhsa_exception_int_div_zero 0
	.end_amdhsa_kernel
	.section	.text._ZL37rocblas_syrkx_herkx_restricted_kernelIldLi16ELi32ELi8ELi1ELi1ELb0ELc78ELc85EKddEviT_PT9_S1_lS3_S1_lPT10_S1_li,"axG",@progbits,_ZL37rocblas_syrkx_herkx_restricted_kernelIldLi16ELi32ELi8ELi1ELi1ELb0ELc78ELc85EKddEviT_PT9_S1_lS3_S1_lPT10_S1_li,comdat
.Lfunc_end1008:
	.size	_ZL37rocblas_syrkx_herkx_restricted_kernelIldLi16ELi32ELi8ELi1ELi1ELb0ELc78ELc85EKddEviT_PT9_S1_lS3_S1_lPT10_S1_li, .Lfunc_end1008-_ZL37rocblas_syrkx_herkx_restricted_kernelIldLi16ELi32ELi8ELi1ELi1ELb0ELc78ELc85EKddEviT_PT9_S1_lS3_S1_lPT10_S1_li
                                        ; -- End function
	.set _ZL37rocblas_syrkx_herkx_restricted_kernelIldLi16ELi32ELi8ELi1ELi1ELb0ELc78ELc85EKddEviT_PT9_S1_lS3_S1_lPT10_S1_li.num_vgpr, 38
	.set _ZL37rocblas_syrkx_herkx_restricted_kernelIldLi16ELi32ELi8ELi1ELi1ELb0ELc78ELc85EKddEviT_PT9_S1_lS3_S1_lPT10_S1_li.num_agpr, 0
	.set _ZL37rocblas_syrkx_herkx_restricted_kernelIldLi16ELi32ELi8ELi1ELi1ELb0ELc78ELc85EKddEviT_PT9_S1_lS3_S1_lPT10_S1_li.numbered_sgpr, 28
	.set _ZL37rocblas_syrkx_herkx_restricted_kernelIldLi16ELi32ELi8ELi1ELi1ELb0ELc78ELc85EKddEviT_PT9_S1_lS3_S1_lPT10_S1_li.num_named_barrier, 0
	.set _ZL37rocblas_syrkx_herkx_restricted_kernelIldLi16ELi32ELi8ELi1ELi1ELb0ELc78ELc85EKddEviT_PT9_S1_lS3_S1_lPT10_S1_li.private_seg_size, 0
	.set _ZL37rocblas_syrkx_herkx_restricted_kernelIldLi16ELi32ELi8ELi1ELi1ELb0ELc78ELc85EKddEviT_PT9_S1_lS3_S1_lPT10_S1_li.uses_vcc, 1
	.set _ZL37rocblas_syrkx_herkx_restricted_kernelIldLi16ELi32ELi8ELi1ELi1ELb0ELc78ELc85EKddEviT_PT9_S1_lS3_S1_lPT10_S1_li.uses_flat_scratch, 0
	.set _ZL37rocblas_syrkx_herkx_restricted_kernelIldLi16ELi32ELi8ELi1ELi1ELb0ELc78ELc85EKddEviT_PT9_S1_lS3_S1_lPT10_S1_li.has_dyn_sized_stack, 0
	.set _ZL37rocblas_syrkx_herkx_restricted_kernelIldLi16ELi32ELi8ELi1ELi1ELb0ELc78ELc85EKddEviT_PT9_S1_lS3_S1_lPT10_S1_li.has_recursion, 0
	.set _ZL37rocblas_syrkx_herkx_restricted_kernelIldLi16ELi32ELi8ELi1ELi1ELb0ELc78ELc85EKddEviT_PT9_S1_lS3_S1_lPT10_S1_li.has_indirect_call, 0
	.section	.AMDGPU.csdata,"",@progbits
; Kernel info:
; codeLenInByte = 1368
; TotalNumSgprs: 32
; NumVgprs: 38
; ScratchSize: 0
; MemoryBound: 0
; FloatMode: 240
; IeeeMode: 1
; LDSByteSize: 4096 bytes/workgroup (compile time only)
; SGPRBlocks: 3
; VGPRBlocks: 9
; NumSGPRsForWavesPerEU: 32
; NumVGPRsForWavesPerEU: 38
; Occupancy: 6
; WaveLimiterHint : 1
; COMPUTE_PGM_RSRC2:SCRATCH_EN: 0
; COMPUTE_PGM_RSRC2:USER_SGPR: 6
; COMPUTE_PGM_RSRC2:TRAP_HANDLER: 0
; COMPUTE_PGM_RSRC2:TGID_X_EN: 1
; COMPUTE_PGM_RSRC2:TGID_Y_EN: 1
; COMPUTE_PGM_RSRC2:TGID_Z_EN: 1
; COMPUTE_PGM_RSRC2:TIDIG_COMP_CNT: 1
	.section	.text._ZL37rocblas_syrkx_herkx_restricted_kernelIldLi16ELi32ELi8ELi1ELin1ELb0ELc84ELc76EKddEviT_PT9_S1_lS3_S1_lPT10_S1_li,"axG",@progbits,_ZL37rocblas_syrkx_herkx_restricted_kernelIldLi16ELi32ELi8ELi1ELin1ELb0ELc84ELc76EKddEviT_PT9_S1_lS3_S1_lPT10_S1_li,comdat
	.globl	_ZL37rocblas_syrkx_herkx_restricted_kernelIldLi16ELi32ELi8ELi1ELin1ELb0ELc84ELc76EKddEviT_PT9_S1_lS3_S1_lPT10_S1_li ; -- Begin function _ZL37rocblas_syrkx_herkx_restricted_kernelIldLi16ELi32ELi8ELi1ELin1ELb0ELc84ELc76EKddEviT_PT9_S1_lS3_S1_lPT10_S1_li
	.p2align	8
	.type	_ZL37rocblas_syrkx_herkx_restricted_kernelIldLi16ELi32ELi8ELi1ELin1ELb0ELc84ELc76EKddEviT_PT9_S1_lS3_S1_lPT10_S1_li,@function
_ZL37rocblas_syrkx_herkx_restricted_kernelIldLi16ELi32ELi8ELi1ELin1ELb0ELc84ELc76EKddEviT_PT9_S1_lS3_S1_lPT10_S1_li: ; @_ZL37rocblas_syrkx_herkx_restricted_kernelIldLi16ELi32ELi8ELi1ELin1ELb0ELc84ELc76EKddEviT_PT9_S1_lS3_S1_lPT10_S1_li
; %bb.0:
	s_load_dwordx16 s[12:27], s[4:5], 0x8
	s_lshl_b32 s2, s6, 5
	s_lshl_b32 s3, s7, 5
	s_waitcnt lgkmcnt(0)
	v_cmp_lt_i64_e64 s[0:1], s[12:13], 1
	s_and_b64 vcc, exec, s[0:1]
	s_cbranch_vccnz .LBB1009_3
; %bb.1:
	v_lshl_add_u32 v4, v1, 4, v0
	v_lshrrev_b32_e32 v8, 3, v4
	v_add_u32_e32 v5, s3, v8
	v_ashrrev_i32_e32 v6, 31, v5
	v_and_b32_e32 v2, 7, v0
	v_mov_b32_e32 v3, 0
	v_mul_lo_u32 v9, s22, v6
	v_mul_lo_u32 v10, s23, v5
	v_mad_u64_u32 v[6:7], s[0:1], s22, v5, v[2:3]
	v_lshlrev_b32_e32 v2, 3, v2
	v_lshl_or_b32 v2, v8, 6, v2
	v_add3_u32 v7, v10, v7, v9
	v_and_b32_e32 v9, 31, v4
	v_add_u32_e32 v15, 0x800, v2
	v_mov_b32_e32 v2, 0x800
	v_add_u32_e32 v8, s2, v9
	v_lshrrev_b32_e32 v4, 5, v4
	v_mov_b32_e32 v5, v3
	v_lshlrev_b32_e32 v3, 3, v9
	v_lshl_add_u32 v17, v1, 6, v2
	v_ashrrev_i32_e32 v2, 31, v8
	v_lshl_or_b32 v14, v4, 8, v3
	v_mul_lo_u32 v9, s16, v2
	v_mad_u64_u32 v[2:3], s[0:1], s16, v8, v[4:5]
	v_mul_lo_u32 v4, s17, v8
	s_mul_i32 s6, s19, s8
	s_mul_hi_u32 s7, s18, s8
	s_add_i32 s1, s7, s6
	s_mul_i32 s0, s18, s8
	s_lshl_b64 s[0:1], s[0:1], 3
	v_add3_u32 v3, v4, v3, v9
	v_lshlrev_b64 v[2:3], 3, v[2:3]
	s_add_u32 s0, s14, s0
	s_addc_u32 s1, s15, s1
	v_mov_b32_e32 v5, s1
	v_add_co_u32_e32 v4, vcc, s0, v2
	s_mul_i32 s0, s25, s8
	s_mul_hi_u32 s1, s24, s8
	s_add_i32 s1, s1, s0
	s_mul_i32 s0, s24, s8
	s_lshl_b64 s[0:1], s[0:1], 3
	v_addc_co_u32_e32 v5, vcc, v5, v3, vcc
	v_lshlrev_b64 v[2:3], 3, v[6:7]
	s_add_u32 s0, s20, s0
	s_addc_u32 s1, s21, s1
	v_mov_b32_e32 v7, s1
	v_add_co_u32_e32 v6, vcc, s0, v2
	v_addc_co_u32_e32 v7, vcc, v7, v3, vcc
	v_mov_b32_e32 v2, 0
	v_mov_b32_e32 v8, 0
	;; [unrolled: 1-line block ×4, first 2 shown]
	v_lshlrev_b32_e32 v16, 3, v0
	v_mov_b32_e32 v3, 0
	v_mov_b32_e32 v9, 0
	;; [unrolled: 1-line block ×4, first 2 shown]
	s_mov_b64 s[0:1], 0
.LBB1009_2:                             ; =>This Inner Loop Header: Depth=1
	global_load_dwordx2 v[18:19], v[4:5], off
	global_load_dwordx2 v[20:21], v[6:7], off
	s_add_u32 s0, s0, 8
	v_add_co_u32_e32 v4, vcc, 64, v4
	v_addc_co_u32_e32 v5, vcc, 0, v5, vcc
	s_addc_u32 s1, s1, 0
	v_add_co_u32_e32 v6, vcc, 64, v6
	v_addc_co_u32_e32 v7, vcc, 0, v7, vcc
	s_waitcnt vmcnt(1)
	ds_write_b64 v14, v[18:19]
	s_waitcnt vmcnt(0)
	ds_write_b64 v15, v[20:21]
	s_waitcnt lgkmcnt(0)
	s_barrier
	ds_read2_b64 v[18:21], v16 offset1:16
	ds_read_b128 v[22:25], v17
	ds_read_b128 v[26:29], v17 offset:1024
	ds_read_b128 v[30:33], v17 offset:16
	s_waitcnt lgkmcnt(2)
	v_fma_f64 v[34:35], v[18:19], v[22:23], v[12:13]
	v_fma_f64 v[22:23], v[20:21], v[22:23], v[10:11]
	s_waitcnt lgkmcnt(1)
	v_fma_f64 v[8:9], v[18:19], v[26:27], v[8:9]
	v_fma_f64 v[2:3], v[20:21], v[26:27], v[2:3]
	ds_read2_b64 v[18:21], v16 offset0:32 offset1:48
	ds_read_b128 v[10:13], v17 offset:1040
	s_waitcnt lgkmcnt(1)
	v_fma_f64 v[26:27], v[18:19], v[24:25], v[34:35]
	v_fma_f64 v[34:35], v[20:21], v[24:25], v[22:23]
	;; [unrolled: 1-line block ×4, first 2 shown]
	ds_read2_b64 v[18:21], v16 offset0:64 offset1:80
	ds_read2_b64 v[22:25], v16 offset0:96 offset1:112
	s_waitcnt lgkmcnt(1)
	v_fma_f64 v[26:27], v[18:19], v[30:31], v[26:27]
	v_fma_f64 v[28:29], v[20:21], v[30:31], v[34:35]
	v_fma_f64 v[30:31], v[18:19], v[10:11], v[8:9]
	v_fma_f64 v[2:3], v[20:21], v[10:11], v[2:3]
	ds_read2_b64 v[8:11], v16 offset0:128 offset1:144
	ds_read_b128 v[18:21], v17 offset:32
	s_waitcnt lgkmcnt(2)
	v_fma_f64 v[34:35], v[22:23], v[32:33], v[26:27]
	v_fma_f64 v[32:33], v[24:25], v[32:33], v[28:29]
	;; [unrolled: 1-line block ×4, first 2 shown]
	ds_read_b128 v[22:25], v17 offset:1056
	ds_read_b128 v[26:29], v17 offset:48
	s_waitcnt lgkmcnt(2)
	v_fma_f64 v[12:13], v[8:9], v[18:19], v[34:35]
	v_fma_f64 v[18:19], v[10:11], v[18:19], v[32:33]
	s_waitcnt lgkmcnt(1)
	v_fma_f64 v[34:35], v[8:9], v[22:23], v[36:37]
	v_fma_f64 v[2:3], v[10:11], v[22:23], v[2:3]
	ds_read2_b64 v[8:11], v16 offset0:160 offset1:176
	ds_read_b128 v[30:33], v17 offset:1072
	v_mov_b32_e32 v23, s1
	v_mov_b32_e32 v22, s0
	v_cmp_le_u64_e32 vcc, s[12:13], v[22:23]
	s_waitcnt lgkmcnt(1)
	v_fma_f64 v[12:13], v[8:9], v[20:21], v[12:13]
	v_fma_f64 v[18:19], v[10:11], v[20:21], v[18:19]
	;; [unrolled: 1-line block ×4, first 2 shown]
	ds_read2_b64 v[8:11], v16 offset0:192 offset1:208
	s_and_b64 vcc, exec, vcc
	s_waitcnt lgkmcnt(0)
	v_fma_f64 v[12:13], v[8:9], v[26:27], v[12:13]
	v_fma_f64 v[24:25], v[10:11], v[26:27], v[18:19]
	;; [unrolled: 1-line block ×4, first 2 shown]
	ds_read2_b64 v[18:21], v16 offset0:224 offset1:240
	s_waitcnt lgkmcnt(0)
	s_barrier
	v_fma_f64 v[12:13], v[18:19], v[28:29], v[12:13]
	v_fma_f64 v[10:11], v[20:21], v[28:29], v[24:25]
	;; [unrolled: 1-line block ×4, first 2 shown]
	s_cbranch_vccz .LBB1009_2
	s_branch .LBB1009_4
.LBB1009_3:
	v_mov_b32_e32 v12, 0
	v_mov_b32_e32 v10, 0
	;; [unrolled: 1-line block ×8, first 2 shown]
.LBB1009_4:
	s_load_dwordx4 s[12:15], s[4:5], 0x48
	s_load_dword s9, s[4:5], 0x0
	v_add_u32_e32 v6, s3, v1
	v_ashrrev_i32_e32 v1, 31, v6
	v_add_u32_e32 v0, s2, v0
	s_waitcnt lgkmcnt(0)
	v_mul_lo_u32 v1, s12, v1
	v_mul_lo_u32 v7, s13, v6
	v_mad_u64_u32 v[4:5], s[4:5], s12, v6, 0
	s_mul_i32 s1, s15, s8
	s_mul_hi_u32 s3, s14, s8
	s_mul_i32 s0, s14, s8
	s_add_i32 s1, s3, s1
	s_lshl_b64 s[0:1], s[0:1], 3
	v_add3_u32 v5, v5, v1, v7
	s_add_u32 s6, s26, s0
	v_lshlrev_b64 v[4:5], 3, v[4:5]
	s_addc_u32 s7, s27, s1
	v_mov_b32_e32 v1, s7
	v_add_co_u32_e32 v7, vcc, s6, v4
	v_addc_co_u32_e32 v14, vcc, v1, v5, vcc
	v_cmp_le_i32_e64 s[0:1], v6, v0
	v_cmp_gt_i32_e32 vcc, s9, v0
	s_and_b64 s[0:1], s[0:1], vcc
	s_and_saveexec_b64 s[2:3], s[0:1]
	s_cbranch_execz .LBB1009_6
; %bb.5:
	v_ashrrev_i32_e32 v1, 31, v0
	v_lshlrev_b64 v[4:5], 3, v[0:1]
	v_add_co_u32_e64 v4, s[0:1], v7, v4
	v_addc_co_u32_e64 v5, s[0:1], v14, v5, s[0:1]
	global_load_dwordx2 v[15:16], v[4:5], off
	s_waitcnt vmcnt(0)
	v_add_f64 v[12:13], v[12:13], -v[15:16]
	global_store_dwordx2 v[4:5], v[12:13], off
.LBB1009_6:
	s_or_b64 exec, exec, s[2:3]
	v_add_u32_e32 v4, 16, v0
	v_cmp_le_i32_e64 s[2:3], v6, v4
	v_cmp_gt_i32_e64 s[0:1], s9, v4
	s_and_b64 s[2:3], s[2:3], s[0:1]
	s_and_saveexec_b64 s[4:5], s[2:3]
	s_cbranch_execz .LBB1009_8
; %bb.7:
	v_ashrrev_i32_e32 v5, 31, v4
	v_lshlrev_b64 v[12:13], 3, v[4:5]
	v_add_co_u32_e64 v12, s[2:3], v7, v12
	v_addc_co_u32_e64 v13, s[2:3], v14, v13, s[2:3]
	global_load_dwordx2 v[14:15], v[12:13], off
	s_waitcnt vmcnt(0)
	v_add_f64 v[10:11], v[10:11], -v[14:15]
	global_store_dwordx2 v[12:13], v[10:11], off
.LBB1009_8:
	s_or_b64 exec, exec, s[4:5]
	v_add_u32_e32 v5, 16, v6
	v_ashrrev_i32_e32 v1, 31, v5
	v_mul_lo_u32 v10, s13, v5
	v_mad_u64_u32 v[6:7], s[2:3], s12, v5, 0
	v_mul_lo_u32 v1, s12, v1
	v_add3_u32 v7, v7, v1, v10
	v_lshlrev_b64 v[6:7], 3, v[6:7]
	v_mov_b32_e32 v1, s7
	v_add_co_u32_e64 v6, s[2:3], s6, v6
	v_addc_co_u32_e64 v7, s[2:3], v1, v7, s[2:3]
	v_cmp_le_i32_e64 s[2:3], v5, v0
	s_and_b64 s[4:5], s[2:3], vcc
	s_and_saveexec_b64 s[2:3], s[4:5]
	s_cbranch_execz .LBB1009_10
; %bb.9:
	v_ashrrev_i32_e32 v1, 31, v0
	v_lshlrev_b64 v[0:1], 3, v[0:1]
	v_add_co_u32_e32 v0, vcc, v6, v0
	v_addc_co_u32_e32 v1, vcc, v7, v1, vcc
	global_load_dwordx2 v[10:11], v[0:1], off
	s_waitcnt vmcnt(0)
	v_add_f64 v[8:9], v[8:9], -v[10:11]
	global_store_dwordx2 v[0:1], v[8:9], off
.LBB1009_10:
	s_or_b64 exec, exec, s[2:3]
	v_cmp_le_i32_e32 vcc, v5, v4
	s_and_b64 s[0:1], vcc, s[0:1]
	s_and_saveexec_b64 s[2:3], s[0:1]
	s_cbranch_execz .LBB1009_12
; %bb.11:
	v_ashrrev_i32_e32 v5, 31, v4
	v_lshlrev_b64 v[0:1], 3, v[4:5]
	v_add_co_u32_e32 v0, vcc, v6, v0
	v_addc_co_u32_e32 v1, vcc, v7, v1, vcc
	global_load_dwordx2 v[4:5], v[0:1], off
	s_waitcnt vmcnt(0)
	v_add_f64 v[2:3], v[2:3], -v[4:5]
	global_store_dwordx2 v[0:1], v[2:3], off
.LBB1009_12:
	s_endpgm
	.section	.rodata,"a",@progbits
	.p2align	6, 0x0
	.amdhsa_kernel _ZL37rocblas_syrkx_herkx_restricted_kernelIldLi16ELi32ELi8ELi1ELin1ELb0ELc84ELc76EKddEviT_PT9_S1_lS3_S1_lPT10_S1_li
		.amdhsa_group_segment_fixed_size 4096
		.amdhsa_private_segment_fixed_size 0
		.amdhsa_kernarg_size 92
		.amdhsa_user_sgpr_count 6
		.amdhsa_user_sgpr_private_segment_buffer 1
		.amdhsa_user_sgpr_dispatch_ptr 0
		.amdhsa_user_sgpr_queue_ptr 0
		.amdhsa_user_sgpr_kernarg_segment_ptr 1
		.amdhsa_user_sgpr_dispatch_id 0
		.amdhsa_user_sgpr_flat_scratch_init 0
		.amdhsa_user_sgpr_private_segment_size 0
		.amdhsa_uses_dynamic_stack 0
		.amdhsa_system_sgpr_private_segment_wavefront_offset 0
		.amdhsa_system_sgpr_workgroup_id_x 1
		.amdhsa_system_sgpr_workgroup_id_y 1
		.amdhsa_system_sgpr_workgroup_id_z 1
		.amdhsa_system_sgpr_workgroup_info 0
		.amdhsa_system_vgpr_workitem_id 1
		.amdhsa_next_free_vgpr 38
		.amdhsa_next_free_sgpr 28
		.amdhsa_reserve_vcc 1
		.amdhsa_reserve_flat_scratch 0
		.amdhsa_float_round_mode_32 0
		.amdhsa_float_round_mode_16_64 0
		.amdhsa_float_denorm_mode_32 3
		.amdhsa_float_denorm_mode_16_64 3
		.amdhsa_dx10_clamp 1
		.amdhsa_ieee_mode 1
		.amdhsa_fp16_overflow 0
		.amdhsa_exception_fp_ieee_invalid_op 0
		.amdhsa_exception_fp_denorm_src 0
		.amdhsa_exception_fp_ieee_div_zero 0
		.amdhsa_exception_fp_ieee_overflow 0
		.amdhsa_exception_fp_ieee_underflow 0
		.amdhsa_exception_fp_ieee_inexact 0
		.amdhsa_exception_int_div_zero 0
	.end_amdhsa_kernel
	.section	.text._ZL37rocblas_syrkx_herkx_restricted_kernelIldLi16ELi32ELi8ELi1ELin1ELb0ELc84ELc76EKddEviT_PT9_S1_lS3_S1_lPT10_S1_li,"axG",@progbits,_ZL37rocblas_syrkx_herkx_restricted_kernelIldLi16ELi32ELi8ELi1ELin1ELb0ELc84ELc76EKddEviT_PT9_S1_lS3_S1_lPT10_S1_li,comdat
.Lfunc_end1009:
	.size	_ZL37rocblas_syrkx_herkx_restricted_kernelIldLi16ELi32ELi8ELi1ELin1ELb0ELc84ELc76EKddEviT_PT9_S1_lS3_S1_lPT10_S1_li, .Lfunc_end1009-_ZL37rocblas_syrkx_herkx_restricted_kernelIldLi16ELi32ELi8ELi1ELin1ELb0ELc84ELc76EKddEviT_PT9_S1_lS3_S1_lPT10_S1_li
                                        ; -- End function
	.set _ZL37rocblas_syrkx_herkx_restricted_kernelIldLi16ELi32ELi8ELi1ELin1ELb0ELc84ELc76EKddEviT_PT9_S1_lS3_S1_lPT10_S1_li.num_vgpr, 38
	.set _ZL37rocblas_syrkx_herkx_restricted_kernelIldLi16ELi32ELi8ELi1ELin1ELb0ELc84ELc76EKddEviT_PT9_S1_lS3_S1_lPT10_S1_li.num_agpr, 0
	.set _ZL37rocblas_syrkx_herkx_restricted_kernelIldLi16ELi32ELi8ELi1ELin1ELb0ELc84ELc76EKddEviT_PT9_S1_lS3_S1_lPT10_S1_li.numbered_sgpr, 28
	.set _ZL37rocblas_syrkx_herkx_restricted_kernelIldLi16ELi32ELi8ELi1ELin1ELb0ELc84ELc76EKddEviT_PT9_S1_lS3_S1_lPT10_S1_li.num_named_barrier, 0
	.set _ZL37rocblas_syrkx_herkx_restricted_kernelIldLi16ELi32ELi8ELi1ELin1ELb0ELc84ELc76EKddEviT_PT9_S1_lS3_S1_lPT10_S1_li.private_seg_size, 0
	.set _ZL37rocblas_syrkx_herkx_restricted_kernelIldLi16ELi32ELi8ELi1ELin1ELb0ELc84ELc76EKddEviT_PT9_S1_lS3_S1_lPT10_S1_li.uses_vcc, 1
	.set _ZL37rocblas_syrkx_herkx_restricted_kernelIldLi16ELi32ELi8ELi1ELin1ELb0ELc84ELc76EKddEviT_PT9_S1_lS3_S1_lPT10_S1_li.uses_flat_scratch, 0
	.set _ZL37rocblas_syrkx_herkx_restricted_kernelIldLi16ELi32ELi8ELi1ELin1ELb0ELc84ELc76EKddEviT_PT9_S1_lS3_S1_lPT10_S1_li.has_dyn_sized_stack, 0
	.set _ZL37rocblas_syrkx_herkx_restricted_kernelIldLi16ELi32ELi8ELi1ELin1ELb0ELc84ELc76EKddEviT_PT9_S1_lS3_S1_lPT10_S1_li.has_recursion, 0
	.set _ZL37rocblas_syrkx_herkx_restricted_kernelIldLi16ELi32ELi8ELi1ELin1ELb0ELc84ELc76EKddEviT_PT9_S1_lS3_S1_lPT10_S1_li.has_indirect_call, 0
	.section	.AMDGPU.csdata,"",@progbits
; Kernel info:
; codeLenInByte = 1384
; TotalNumSgprs: 32
; NumVgprs: 38
; ScratchSize: 0
; MemoryBound: 0
; FloatMode: 240
; IeeeMode: 1
; LDSByteSize: 4096 bytes/workgroup (compile time only)
; SGPRBlocks: 3
; VGPRBlocks: 9
; NumSGPRsForWavesPerEU: 32
; NumVGPRsForWavesPerEU: 38
; Occupancy: 6
; WaveLimiterHint : 1
; COMPUTE_PGM_RSRC2:SCRATCH_EN: 0
; COMPUTE_PGM_RSRC2:USER_SGPR: 6
; COMPUTE_PGM_RSRC2:TRAP_HANDLER: 0
; COMPUTE_PGM_RSRC2:TGID_X_EN: 1
; COMPUTE_PGM_RSRC2:TGID_Y_EN: 1
; COMPUTE_PGM_RSRC2:TGID_Z_EN: 1
; COMPUTE_PGM_RSRC2:TIDIG_COMP_CNT: 1
	.section	.text._ZL37rocblas_syrkx_herkx_restricted_kernelIldLi16ELi32ELi8ELi1ELin1ELb0ELc67ELc76EKddEviT_PT9_S1_lS3_S1_lPT10_S1_li,"axG",@progbits,_ZL37rocblas_syrkx_herkx_restricted_kernelIldLi16ELi32ELi8ELi1ELin1ELb0ELc67ELc76EKddEviT_PT9_S1_lS3_S1_lPT10_S1_li,comdat
	.globl	_ZL37rocblas_syrkx_herkx_restricted_kernelIldLi16ELi32ELi8ELi1ELin1ELb0ELc67ELc76EKddEviT_PT9_S1_lS3_S1_lPT10_S1_li ; -- Begin function _ZL37rocblas_syrkx_herkx_restricted_kernelIldLi16ELi32ELi8ELi1ELin1ELb0ELc67ELc76EKddEviT_PT9_S1_lS3_S1_lPT10_S1_li
	.p2align	8
	.type	_ZL37rocblas_syrkx_herkx_restricted_kernelIldLi16ELi32ELi8ELi1ELin1ELb0ELc67ELc76EKddEviT_PT9_S1_lS3_S1_lPT10_S1_li,@function
_ZL37rocblas_syrkx_herkx_restricted_kernelIldLi16ELi32ELi8ELi1ELin1ELb0ELc67ELc76EKddEviT_PT9_S1_lS3_S1_lPT10_S1_li: ; @_ZL37rocblas_syrkx_herkx_restricted_kernelIldLi16ELi32ELi8ELi1ELin1ELb0ELc67ELc76EKddEviT_PT9_S1_lS3_S1_lPT10_S1_li
; %bb.0:
	s_load_dwordx16 s[12:27], s[4:5], 0x8
	s_lshl_b32 s2, s6, 5
	s_lshl_b32 s3, s7, 5
	s_waitcnt lgkmcnt(0)
	v_cmp_lt_i64_e64 s[0:1], s[12:13], 1
	s_and_b64 vcc, exec, s[0:1]
	s_cbranch_vccnz .LBB1010_3
; %bb.1:
	v_lshl_add_u32 v4, v1, 4, v0
	v_lshrrev_b32_e32 v8, 3, v4
	v_add_u32_e32 v5, s3, v8
	v_ashrrev_i32_e32 v6, 31, v5
	v_and_b32_e32 v2, 7, v0
	v_mov_b32_e32 v3, 0
	v_mul_lo_u32 v9, s22, v6
	v_mul_lo_u32 v10, s23, v5
	v_mad_u64_u32 v[6:7], s[0:1], s22, v5, v[2:3]
	v_lshlrev_b32_e32 v2, 3, v2
	v_lshl_or_b32 v2, v8, 6, v2
	v_add3_u32 v7, v10, v7, v9
	v_and_b32_e32 v9, 31, v4
	v_add_u32_e32 v15, 0x800, v2
	v_mov_b32_e32 v2, 0x800
	v_add_u32_e32 v8, s2, v9
	v_lshrrev_b32_e32 v4, 5, v4
	v_mov_b32_e32 v5, v3
	v_lshlrev_b32_e32 v3, 3, v9
	v_lshl_add_u32 v17, v1, 6, v2
	v_ashrrev_i32_e32 v2, 31, v8
	v_lshl_or_b32 v14, v4, 8, v3
	v_mul_lo_u32 v9, s16, v2
	v_mad_u64_u32 v[2:3], s[0:1], s16, v8, v[4:5]
	v_mul_lo_u32 v4, s17, v8
	s_mul_i32 s6, s19, s8
	s_mul_hi_u32 s7, s18, s8
	s_add_i32 s1, s7, s6
	s_mul_i32 s0, s18, s8
	s_lshl_b64 s[0:1], s[0:1], 3
	v_add3_u32 v3, v4, v3, v9
	v_lshlrev_b64 v[2:3], 3, v[2:3]
	s_add_u32 s0, s14, s0
	s_addc_u32 s1, s15, s1
	v_mov_b32_e32 v5, s1
	v_add_co_u32_e32 v4, vcc, s0, v2
	s_mul_i32 s0, s25, s8
	s_mul_hi_u32 s1, s24, s8
	s_add_i32 s1, s1, s0
	s_mul_i32 s0, s24, s8
	s_lshl_b64 s[0:1], s[0:1], 3
	v_addc_co_u32_e32 v5, vcc, v5, v3, vcc
	v_lshlrev_b64 v[2:3], 3, v[6:7]
	s_add_u32 s0, s20, s0
	s_addc_u32 s1, s21, s1
	v_mov_b32_e32 v7, s1
	v_add_co_u32_e32 v6, vcc, s0, v2
	v_addc_co_u32_e32 v7, vcc, v7, v3, vcc
	v_mov_b32_e32 v2, 0
	v_mov_b32_e32 v8, 0
	;; [unrolled: 1-line block ×4, first 2 shown]
	v_lshlrev_b32_e32 v16, 3, v0
	v_mov_b32_e32 v3, 0
	v_mov_b32_e32 v9, 0
	;; [unrolled: 1-line block ×4, first 2 shown]
	s_mov_b64 s[0:1], 0
.LBB1010_2:                             ; =>This Inner Loop Header: Depth=1
	global_load_dwordx2 v[18:19], v[4:5], off
	global_load_dwordx2 v[20:21], v[6:7], off
	s_add_u32 s0, s0, 8
	v_add_co_u32_e32 v4, vcc, 64, v4
	v_addc_co_u32_e32 v5, vcc, 0, v5, vcc
	s_addc_u32 s1, s1, 0
	v_add_co_u32_e32 v6, vcc, 64, v6
	v_addc_co_u32_e32 v7, vcc, 0, v7, vcc
	s_waitcnt vmcnt(1)
	ds_write_b64 v14, v[18:19]
	s_waitcnt vmcnt(0)
	ds_write_b64 v15, v[20:21]
	s_waitcnt lgkmcnt(0)
	s_barrier
	ds_read2_b64 v[18:21], v16 offset1:16
	ds_read_b128 v[22:25], v17
	ds_read_b128 v[26:29], v17 offset:1024
	ds_read_b128 v[30:33], v17 offset:16
	s_waitcnt lgkmcnt(2)
	v_fma_f64 v[34:35], v[18:19], v[22:23], v[12:13]
	v_fma_f64 v[22:23], v[20:21], v[22:23], v[10:11]
	s_waitcnt lgkmcnt(1)
	v_fma_f64 v[8:9], v[18:19], v[26:27], v[8:9]
	v_fma_f64 v[2:3], v[20:21], v[26:27], v[2:3]
	ds_read2_b64 v[18:21], v16 offset0:32 offset1:48
	ds_read_b128 v[10:13], v17 offset:1040
	s_waitcnt lgkmcnt(1)
	v_fma_f64 v[26:27], v[18:19], v[24:25], v[34:35]
	v_fma_f64 v[34:35], v[20:21], v[24:25], v[22:23]
	;; [unrolled: 1-line block ×4, first 2 shown]
	ds_read2_b64 v[18:21], v16 offset0:64 offset1:80
	ds_read2_b64 v[22:25], v16 offset0:96 offset1:112
	s_waitcnt lgkmcnt(1)
	v_fma_f64 v[26:27], v[18:19], v[30:31], v[26:27]
	v_fma_f64 v[28:29], v[20:21], v[30:31], v[34:35]
	;; [unrolled: 1-line block ×4, first 2 shown]
	ds_read2_b64 v[8:11], v16 offset0:128 offset1:144
	ds_read_b128 v[18:21], v17 offset:32
	s_waitcnt lgkmcnt(2)
	v_fma_f64 v[34:35], v[22:23], v[32:33], v[26:27]
	v_fma_f64 v[32:33], v[24:25], v[32:33], v[28:29]
	;; [unrolled: 1-line block ×4, first 2 shown]
	ds_read_b128 v[22:25], v17 offset:1056
	ds_read_b128 v[26:29], v17 offset:48
	s_waitcnt lgkmcnt(2)
	v_fma_f64 v[12:13], v[8:9], v[18:19], v[34:35]
	v_fma_f64 v[18:19], v[10:11], v[18:19], v[32:33]
	s_waitcnt lgkmcnt(1)
	v_fma_f64 v[34:35], v[8:9], v[22:23], v[36:37]
	v_fma_f64 v[2:3], v[10:11], v[22:23], v[2:3]
	ds_read2_b64 v[8:11], v16 offset0:160 offset1:176
	ds_read_b128 v[30:33], v17 offset:1072
	v_mov_b32_e32 v23, s1
	v_mov_b32_e32 v22, s0
	v_cmp_le_u64_e32 vcc, s[12:13], v[22:23]
	s_waitcnt lgkmcnt(1)
	v_fma_f64 v[12:13], v[8:9], v[20:21], v[12:13]
	v_fma_f64 v[18:19], v[10:11], v[20:21], v[18:19]
	;; [unrolled: 1-line block ×4, first 2 shown]
	ds_read2_b64 v[8:11], v16 offset0:192 offset1:208
	s_and_b64 vcc, exec, vcc
	s_waitcnt lgkmcnt(0)
	v_fma_f64 v[12:13], v[8:9], v[26:27], v[12:13]
	v_fma_f64 v[24:25], v[10:11], v[26:27], v[18:19]
	;; [unrolled: 1-line block ×4, first 2 shown]
	ds_read2_b64 v[18:21], v16 offset0:224 offset1:240
	s_waitcnt lgkmcnt(0)
	s_barrier
	v_fma_f64 v[12:13], v[18:19], v[28:29], v[12:13]
	v_fma_f64 v[10:11], v[20:21], v[28:29], v[24:25]
	;; [unrolled: 1-line block ×4, first 2 shown]
	s_cbranch_vccz .LBB1010_2
	s_branch .LBB1010_4
.LBB1010_3:
	v_mov_b32_e32 v12, 0
	v_mov_b32_e32 v10, 0
	;; [unrolled: 1-line block ×8, first 2 shown]
.LBB1010_4:
	s_load_dwordx4 s[12:15], s[4:5], 0x48
	s_load_dword s9, s[4:5], 0x0
	v_add_u32_e32 v6, s3, v1
	v_ashrrev_i32_e32 v1, 31, v6
	v_add_u32_e32 v0, s2, v0
	s_waitcnt lgkmcnt(0)
	v_mul_lo_u32 v1, s12, v1
	v_mul_lo_u32 v7, s13, v6
	v_mad_u64_u32 v[4:5], s[4:5], s12, v6, 0
	s_mul_i32 s1, s15, s8
	s_mul_hi_u32 s3, s14, s8
	s_mul_i32 s0, s14, s8
	s_add_i32 s1, s3, s1
	s_lshl_b64 s[0:1], s[0:1], 3
	v_add3_u32 v5, v5, v1, v7
	s_add_u32 s6, s26, s0
	v_lshlrev_b64 v[4:5], 3, v[4:5]
	s_addc_u32 s7, s27, s1
	v_mov_b32_e32 v1, s7
	v_add_co_u32_e32 v7, vcc, s6, v4
	v_addc_co_u32_e32 v14, vcc, v1, v5, vcc
	v_cmp_le_i32_e64 s[0:1], v6, v0
	v_cmp_gt_i32_e32 vcc, s9, v0
	s_and_b64 s[0:1], s[0:1], vcc
	s_and_saveexec_b64 s[2:3], s[0:1]
	s_cbranch_execz .LBB1010_6
; %bb.5:
	v_ashrrev_i32_e32 v1, 31, v0
	v_lshlrev_b64 v[4:5], 3, v[0:1]
	v_add_co_u32_e64 v4, s[0:1], v7, v4
	v_addc_co_u32_e64 v5, s[0:1], v14, v5, s[0:1]
	global_load_dwordx2 v[15:16], v[4:5], off
	s_waitcnt vmcnt(0)
	v_add_f64 v[12:13], v[12:13], -v[15:16]
	global_store_dwordx2 v[4:5], v[12:13], off
.LBB1010_6:
	s_or_b64 exec, exec, s[2:3]
	v_add_u32_e32 v4, 16, v0
	v_cmp_le_i32_e64 s[2:3], v6, v4
	v_cmp_gt_i32_e64 s[0:1], s9, v4
	s_and_b64 s[2:3], s[2:3], s[0:1]
	s_and_saveexec_b64 s[4:5], s[2:3]
	s_cbranch_execz .LBB1010_8
; %bb.7:
	v_ashrrev_i32_e32 v5, 31, v4
	v_lshlrev_b64 v[12:13], 3, v[4:5]
	v_add_co_u32_e64 v12, s[2:3], v7, v12
	v_addc_co_u32_e64 v13, s[2:3], v14, v13, s[2:3]
	global_load_dwordx2 v[14:15], v[12:13], off
	s_waitcnt vmcnt(0)
	v_add_f64 v[10:11], v[10:11], -v[14:15]
	global_store_dwordx2 v[12:13], v[10:11], off
.LBB1010_8:
	s_or_b64 exec, exec, s[4:5]
	v_add_u32_e32 v5, 16, v6
	v_ashrrev_i32_e32 v1, 31, v5
	v_mul_lo_u32 v10, s13, v5
	v_mad_u64_u32 v[6:7], s[2:3], s12, v5, 0
	v_mul_lo_u32 v1, s12, v1
	v_add3_u32 v7, v7, v1, v10
	v_lshlrev_b64 v[6:7], 3, v[6:7]
	v_mov_b32_e32 v1, s7
	v_add_co_u32_e64 v6, s[2:3], s6, v6
	v_addc_co_u32_e64 v7, s[2:3], v1, v7, s[2:3]
	v_cmp_le_i32_e64 s[2:3], v5, v0
	s_and_b64 s[4:5], s[2:3], vcc
	s_and_saveexec_b64 s[2:3], s[4:5]
	s_cbranch_execz .LBB1010_10
; %bb.9:
	v_ashrrev_i32_e32 v1, 31, v0
	v_lshlrev_b64 v[0:1], 3, v[0:1]
	v_add_co_u32_e32 v0, vcc, v6, v0
	v_addc_co_u32_e32 v1, vcc, v7, v1, vcc
	global_load_dwordx2 v[10:11], v[0:1], off
	s_waitcnt vmcnt(0)
	v_add_f64 v[8:9], v[8:9], -v[10:11]
	global_store_dwordx2 v[0:1], v[8:9], off
.LBB1010_10:
	s_or_b64 exec, exec, s[2:3]
	v_cmp_le_i32_e32 vcc, v5, v4
	s_and_b64 s[0:1], vcc, s[0:1]
	s_and_saveexec_b64 s[2:3], s[0:1]
	s_cbranch_execz .LBB1010_12
; %bb.11:
	v_ashrrev_i32_e32 v5, 31, v4
	v_lshlrev_b64 v[0:1], 3, v[4:5]
	v_add_co_u32_e32 v0, vcc, v6, v0
	v_addc_co_u32_e32 v1, vcc, v7, v1, vcc
	global_load_dwordx2 v[4:5], v[0:1], off
	s_waitcnt vmcnt(0)
	v_add_f64 v[2:3], v[2:3], -v[4:5]
	global_store_dwordx2 v[0:1], v[2:3], off
.LBB1010_12:
	s_endpgm
	.section	.rodata,"a",@progbits
	.p2align	6, 0x0
	.amdhsa_kernel _ZL37rocblas_syrkx_herkx_restricted_kernelIldLi16ELi32ELi8ELi1ELin1ELb0ELc67ELc76EKddEviT_PT9_S1_lS3_S1_lPT10_S1_li
		.amdhsa_group_segment_fixed_size 4096
		.amdhsa_private_segment_fixed_size 0
		.amdhsa_kernarg_size 92
		.amdhsa_user_sgpr_count 6
		.amdhsa_user_sgpr_private_segment_buffer 1
		.amdhsa_user_sgpr_dispatch_ptr 0
		.amdhsa_user_sgpr_queue_ptr 0
		.amdhsa_user_sgpr_kernarg_segment_ptr 1
		.amdhsa_user_sgpr_dispatch_id 0
		.amdhsa_user_sgpr_flat_scratch_init 0
		.amdhsa_user_sgpr_private_segment_size 0
		.amdhsa_uses_dynamic_stack 0
		.amdhsa_system_sgpr_private_segment_wavefront_offset 0
		.amdhsa_system_sgpr_workgroup_id_x 1
		.amdhsa_system_sgpr_workgroup_id_y 1
		.amdhsa_system_sgpr_workgroup_id_z 1
		.amdhsa_system_sgpr_workgroup_info 0
		.amdhsa_system_vgpr_workitem_id 1
		.amdhsa_next_free_vgpr 38
		.amdhsa_next_free_sgpr 28
		.amdhsa_reserve_vcc 1
		.amdhsa_reserve_flat_scratch 0
		.amdhsa_float_round_mode_32 0
		.amdhsa_float_round_mode_16_64 0
		.amdhsa_float_denorm_mode_32 3
		.amdhsa_float_denorm_mode_16_64 3
		.amdhsa_dx10_clamp 1
		.amdhsa_ieee_mode 1
		.amdhsa_fp16_overflow 0
		.amdhsa_exception_fp_ieee_invalid_op 0
		.amdhsa_exception_fp_denorm_src 0
		.amdhsa_exception_fp_ieee_div_zero 0
		.amdhsa_exception_fp_ieee_overflow 0
		.amdhsa_exception_fp_ieee_underflow 0
		.amdhsa_exception_fp_ieee_inexact 0
		.amdhsa_exception_int_div_zero 0
	.end_amdhsa_kernel
	.section	.text._ZL37rocblas_syrkx_herkx_restricted_kernelIldLi16ELi32ELi8ELi1ELin1ELb0ELc67ELc76EKddEviT_PT9_S1_lS3_S1_lPT10_S1_li,"axG",@progbits,_ZL37rocblas_syrkx_herkx_restricted_kernelIldLi16ELi32ELi8ELi1ELin1ELb0ELc67ELc76EKddEviT_PT9_S1_lS3_S1_lPT10_S1_li,comdat
.Lfunc_end1010:
	.size	_ZL37rocblas_syrkx_herkx_restricted_kernelIldLi16ELi32ELi8ELi1ELin1ELb0ELc67ELc76EKddEviT_PT9_S1_lS3_S1_lPT10_S1_li, .Lfunc_end1010-_ZL37rocblas_syrkx_herkx_restricted_kernelIldLi16ELi32ELi8ELi1ELin1ELb0ELc67ELc76EKddEviT_PT9_S1_lS3_S1_lPT10_S1_li
                                        ; -- End function
	.set _ZL37rocblas_syrkx_herkx_restricted_kernelIldLi16ELi32ELi8ELi1ELin1ELb0ELc67ELc76EKddEviT_PT9_S1_lS3_S1_lPT10_S1_li.num_vgpr, 38
	.set _ZL37rocblas_syrkx_herkx_restricted_kernelIldLi16ELi32ELi8ELi1ELin1ELb0ELc67ELc76EKddEviT_PT9_S1_lS3_S1_lPT10_S1_li.num_agpr, 0
	.set _ZL37rocblas_syrkx_herkx_restricted_kernelIldLi16ELi32ELi8ELi1ELin1ELb0ELc67ELc76EKddEviT_PT9_S1_lS3_S1_lPT10_S1_li.numbered_sgpr, 28
	.set _ZL37rocblas_syrkx_herkx_restricted_kernelIldLi16ELi32ELi8ELi1ELin1ELb0ELc67ELc76EKddEviT_PT9_S1_lS3_S1_lPT10_S1_li.num_named_barrier, 0
	.set _ZL37rocblas_syrkx_herkx_restricted_kernelIldLi16ELi32ELi8ELi1ELin1ELb0ELc67ELc76EKddEviT_PT9_S1_lS3_S1_lPT10_S1_li.private_seg_size, 0
	.set _ZL37rocblas_syrkx_herkx_restricted_kernelIldLi16ELi32ELi8ELi1ELin1ELb0ELc67ELc76EKddEviT_PT9_S1_lS3_S1_lPT10_S1_li.uses_vcc, 1
	.set _ZL37rocblas_syrkx_herkx_restricted_kernelIldLi16ELi32ELi8ELi1ELin1ELb0ELc67ELc76EKddEviT_PT9_S1_lS3_S1_lPT10_S1_li.uses_flat_scratch, 0
	.set _ZL37rocblas_syrkx_herkx_restricted_kernelIldLi16ELi32ELi8ELi1ELin1ELb0ELc67ELc76EKddEviT_PT9_S1_lS3_S1_lPT10_S1_li.has_dyn_sized_stack, 0
	.set _ZL37rocblas_syrkx_herkx_restricted_kernelIldLi16ELi32ELi8ELi1ELin1ELb0ELc67ELc76EKddEviT_PT9_S1_lS3_S1_lPT10_S1_li.has_recursion, 0
	.set _ZL37rocblas_syrkx_herkx_restricted_kernelIldLi16ELi32ELi8ELi1ELin1ELb0ELc67ELc76EKddEviT_PT9_S1_lS3_S1_lPT10_S1_li.has_indirect_call, 0
	.section	.AMDGPU.csdata,"",@progbits
; Kernel info:
; codeLenInByte = 1384
; TotalNumSgprs: 32
; NumVgprs: 38
; ScratchSize: 0
; MemoryBound: 0
; FloatMode: 240
; IeeeMode: 1
; LDSByteSize: 4096 bytes/workgroup (compile time only)
; SGPRBlocks: 3
; VGPRBlocks: 9
; NumSGPRsForWavesPerEU: 32
; NumVGPRsForWavesPerEU: 38
; Occupancy: 6
; WaveLimiterHint : 1
; COMPUTE_PGM_RSRC2:SCRATCH_EN: 0
; COMPUTE_PGM_RSRC2:USER_SGPR: 6
; COMPUTE_PGM_RSRC2:TRAP_HANDLER: 0
; COMPUTE_PGM_RSRC2:TGID_X_EN: 1
; COMPUTE_PGM_RSRC2:TGID_Y_EN: 1
; COMPUTE_PGM_RSRC2:TGID_Z_EN: 1
; COMPUTE_PGM_RSRC2:TIDIG_COMP_CNT: 1
	.section	.text._ZL37rocblas_syrkx_herkx_restricted_kernelIldLi16ELi32ELi8ELi1ELin1ELb0ELc78ELc76EKddEviT_PT9_S1_lS3_S1_lPT10_S1_li,"axG",@progbits,_ZL37rocblas_syrkx_herkx_restricted_kernelIldLi16ELi32ELi8ELi1ELin1ELb0ELc78ELc76EKddEviT_PT9_S1_lS3_S1_lPT10_S1_li,comdat
	.globl	_ZL37rocblas_syrkx_herkx_restricted_kernelIldLi16ELi32ELi8ELi1ELin1ELb0ELc78ELc76EKddEviT_PT9_S1_lS3_S1_lPT10_S1_li ; -- Begin function _ZL37rocblas_syrkx_herkx_restricted_kernelIldLi16ELi32ELi8ELi1ELin1ELb0ELc78ELc76EKddEviT_PT9_S1_lS3_S1_lPT10_S1_li
	.p2align	8
	.type	_ZL37rocblas_syrkx_herkx_restricted_kernelIldLi16ELi32ELi8ELi1ELin1ELb0ELc78ELc76EKddEviT_PT9_S1_lS3_S1_lPT10_S1_li,@function
_ZL37rocblas_syrkx_herkx_restricted_kernelIldLi16ELi32ELi8ELi1ELin1ELb0ELc78ELc76EKddEviT_PT9_S1_lS3_S1_lPT10_S1_li: ; @_ZL37rocblas_syrkx_herkx_restricted_kernelIldLi16ELi32ELi8ELi1ELin1ELb0ELc78ELc76EKddEviT_PT9_S1_lS3_S1_lPT10_S1_li
; %bb.0:
	s_load_dwordx16 s[12:27], s[4:5], 0x8
	s_lshl_b32 s9, s6, 5
	s_lshl_b32 s10, s7, 5
	s_waitcnt lgkmcnt(0)
	v_cmp_lt_i64_e64 s[0:1], s[12:13], 1
	s_and_b64 vcc, exec, s[0:1]
	s_cbranch_vccnz .LBB1011_3
; %bb.1:
	v_lshl_add_u32 v6, v1, 4, v0
	v_lshrrev_b32_e32 v7, 3, v6
	v_add_u32_e32 v2, s10, v7
	v_and_b32_e32 v5, 7, v0
	v_ashrrev_i32_e32 v3, 31, v2
	v_mad_u64_u32 v[2:3], s[0:1], s22, v5, v[2:3]
	v_lshrrev_b32_e32 v8, 5, v6
	s_mul_i32 s2, s19, s8
	v_mad_u64_u32 v[3:4], s[0:1], s23, v5, v[3:4]
	v_and_b32_e32 v4, 31, v6
	v_lshlrev_b32_e32 v5, 3, v5
	v_lshlrev_b32_e32 v6, 3, v4
	v_lshl_or_b32 v5, v7, 6, v5
	v_add_u32_e32 v4, s9, v4
	v_add_u32_e32 v15, 0x800, v5
	v_ashrrev_i32_e32 v5, 31, v4
	v_mad_u64_u32 v[4:5], s[0:1], s16, v8, v[4:5]
	v_lshl_or_b32 v14, v8, 8, v6
	v_mov_b32_e32 v6, 0x800
	v_lshl_add_u32 v17, v1, 6, v6
	v_mad_u64_u32 v[5:6], s[0:1], s17, v8, v[5:6]
	s_mul_hi_u32 s3, s18, s8
	s_add_i32 s1, s3, s2
	s_mul_i32 s0, s18, s8
	s_lshl_b64 s[0:1], s[0:1], 3
	v_lshlrev_b64 v[4:5], 3, v[4:5]
	s_add_u32 s0, s14, s0
	s_mul_i32 s2, s25, s8
	s_mul_hi_u32 s3, s24, s8
	s_addc_u32 s1, s15, s1
	s_add_i32 s3, s3, s2
	s_mul_i32 s2, s24, s8
	v_mov_b32_e32 v6, s1
	v_add_co_u32_e32 v4, vcc, s0, v4
	s_lshl_b64 s[0:1], s[16:17], 6
	s_lshl_b64 s[2:3], s[2:3], 3
	v_lshlrev_b64 v[2:3], 3, v[2:3]
	s_add_u32 s2, s20, s2
	v_addc_co_u32_e32 v5, vcc, v6, v5, vcc
	s_addc_u32 s3, s21, s3
	v_mov_b32_e32 v6, s3
	v_add_co_u32_e32 v8, vcc, s2, v2
	v_addc_co_u32_e32 v9, vcc, v6, v3, vcc
	s_lshl_b64 s[2:3], s[22:23], 6
	v_mov_b32_e32 v2, 0
	v_mov_b32_e32 v6, 0
	;; [unrolled: 1-line block ×4, first 2 shown]
	v_lshlrev_b32_e32 v16, 3, v0
	v_mov_b32_e32 v3, 0
	s_mov_b64 s[6:7], 0
	v_mov_b32_e32 v18, s1
	v_mov_b32_e32 v7, 0
	;; [unrolled: 1-line block ×5, first 2 shown]
.LBB1011_2:                             ; =>This Inner Loop Header: Depth=1
	global_load_dwordx2 v[20:21], v[4:5], off
	global_load_dwordx2 v[22:23], v[8:9], off
	s_add_u32 s6, s6, 8
	v_add_co_u32_e32 v4, vcc, s0, v4
	v_addc_co_u32_e32 v5, vcc, v5, v18, vcc
	s_addc_u32 s7, s7, 0
	v_add_co_u32_e32 v8, vcc, s2, v8
	v_addc_co_u32_e32 v9, vcc, v9, v19, vcc
	s_waitcnt vmcnt(1)
	ds_write_b64 v14, v[20:21]
	s_waitcnt vmcnt(0)
	ds_write_b64 v15, v[22:23]
	s_waitcnt lgkmcnt(0)
	s_barrier
	ds_read2_b64 v[20:23], v16 offset1:16
	ds_read_b128 v[24:27], v17
	ds_read_b128 v[28:31], v17 offset:16
	s_waitcnt lgkmcnt(1)
	v_fma_f64 v[36:37], v[20:21], v[24:25], v[12:13]
	v_fma_f64 v[24:25], v[22:23], v[24:25], v[10:11]
	ds_read_b128 v[10:13], v17 offset:1024
	ds_read_b128 v[32:35], v17 offset:1040
	s_waitcnt lgkmcnt(1)
	v_fma_f64 v[6:7], v[20:21], v[10:11], v[6:7]
	v_fma_f64 v[2:3], v[22:23], v[10:11], v[2:3]
	ds_read2_b64 v[20:23], v16 offset0:32 offset1:48
	s_waitcnt lgkmcnt(0)
	v_fma_f64 v[36:37], v[20:21], v[26:27], v[36:37]
	v_fma_f64 v[24:25], v[22:23], v[26:27], v[24:25]
	v_fma_f64 v[6:7], v[20:21], v[12:13], v[6:7]
	v_fma_f64 v[2:3], v[22:23], v[12:13], v[2:3]
	ds_read2_b64 v[10:13], v16 offset0:64 offset1:80
	s_waitcnt lgkmcnt(0)
	v_fma_f64 v[20:21], v[10:11], v[28:29], v[36:37]
	v_fma_f64 v[22:23], v[12:13], v[28:29], v[24:25]
	;; [unrolled: 6-line block ×3, first 2 shown]
	ds_read2_b64 v[20:23], v16 offset0:128 offset1:144
	v_fma_f64 v[6:7], v[10:11], v[34:35], v[6:7]
	v_fma_f64 v[2:3], v[12:13], v[34:35], v[2:3]
	ds_read_b128 v[10:13], v17 offset:32
	ds_read_b128 v[24:27], v17 offset:48
	s_waitcnt lgkmcnt(1)
	v_fma_f64 v[36:37], v[20:21], v[10:11], v[28:29]
	v_fma_f64 v[10:11], v[22:23], v[10:11], v[30:31]
	ds_read_b128 v[28:31], v17 offset:1056
	ds_read_b128 v[32:35], v17 offset:1072
	s_waitcnt lgkmcnt(1)
	v_fma_f64 v[6:7], v[20:21], v[28:29], v[6:7]
	v_fma_f64 v[2:3], v[22:23], v[28:29], v[2:3]
	ds_read2_b64 v[20:23], v16 offset0:160 offset1:176
	s_waitcnt lgkmcnt(0)
	v_fma_f64 v[28:29], v[20:21], v[12:13], v[36:37]
	v_fma_f64 v[36:37], v[22:23], v[12:13], v[10:11]
	;; [unrolled: 1-line block ×4, first 2 shown]
	ds_read2_b64 v[10:13], v16 offset0:192 offset1:208
	ds_read2_b64 v[20:23], v16 offset0:224 offset1:240
	v_mov_b32_e32 v31, s7
	v_mov_b32_e32 v30, s6
	v_cmp_le_u64_e32 vcc, s[12:13], v[30:31]
	s_waitcnt lgkmcnt(1)
	v_fma_f64 v[28:29], v[10:11], v[24:25], v[28:29]
	v_fma_f64 v[24:25], v[12:13], v[24:25], v[36:37]
	;; [unrolled: 1-line block ×4, first 2 shown]
	s_and_b64 vcc, exec, vcc
	s_waitcnt lgkmcnt(0)
	s_barrier
	v_fma_f64 v[12:13], v[20:21], v[26:27], v[28:29]
	v_fma_f64 v[10:11], v[22:23], v[26:27], v[24:25]
	v_fma_f64 v[6:7], v[20:21], v[34:35], v[6:7]
	v_fma_f64 v[2:3], v[22:23], v[34:35], v[2:3]
	s_cbranch_vccz .LBB1011_2
	s_branch .LBB1011_4
.LBB1011_3:
	v_mov_b32_e32 v12, 0
	v_mov_b32_e32 v10, 0
	v_mov_b32_e32 v6, 0
	v_mov_b32_e32 v2, 0
	v_mov_b32_e32 v13, 0
	v_mov_b32_e32 v11, 0
	v_mov_b32_e32 v7, 0
	v_mov_b32_e32 v3, 0
.LBB1011_4:
	s_load_dwordx4 s[12:15], s[4:5], 0x48
	s_load_dword s11, s[4:5], 0x0
	v_add_u32_e32 v8, s10, v1
	v_ashrrev_i32_e32 v1, 31, v8
	v_add_u32_e32 v0, s9, v0
	s_waitcnt lgkmcnt(0)
	s_mul_i32 s1, s15, s8
	s_mul_hi_u32 s2, s14, s8
	s_add_i32 s1, s2, s1
	v_mul_lo_u32 v1, s12, v1
	v_mul_lo_u32 v9, s13, v8
	v_mad_u64_u32 v[4:5], s[2:3], s12, v8, 0
	s_mul_i32 s0, s14, s8
	s_lshl_b64 s[0:1], s[0:1], 3
	v_add3_u32 v5, v5, v1, v9
	s_add_u32 s6, s26, s0
	v_lshlrev_b64 v[4:5], 3, v[4:5]
	s_addc_u32 s7, s27, s1
	v_mov_b32_e32 v1, s7
	v_add_co_u32_e32 v9, vcc, s6, v4
	v_addc_co_u32_e32 v14, vcc, v1, v5, vcc
	v_cmp_le_i32_e64 s[0:1], v8, v0
	v_cmp_gt_i32_e32 vcc, s11, v0
	s_and_b64 s[0:1], s[0:1], vcc
	s_and_saveexec_b64 s[2:3], s[0:1]
	s_cbranch_execz .LBB1011_6
; %bb.5:
	v_ashrrev_i32_e32 v1, 31, v0
	v_lshlrev_b64 v[4:5], 3, v[0:1]
	v_add_co_u32_e64 v4, s[0:1], v9, v4
	v_addc_co_u32_e64 v5, s[0:1], v14, v5, s[0:1]
	global_load_dwordx2 v[15:16], v[4:5], off
	s_waitcnt vmcnt(0)
	v_add_f64 v[12:13], v[12:13], -v[15:16]
	global_store_dwordx2 v[4:5], v[12:13], off
.LBB1011_6:
	s_or_b64 exec, exec, s[2:3]
	v_add_u32_e32 v4, 16, v0
	v_cmp_le_i32_e64 s[2:3], v8, v4
	v_cmp_gt_i32_e64 s[0:1], s11, v4
	s_and_b64 s[2:3], s[2:3], s[0:1]
	s_and_saveexec_b64 s[4:5], s[2:3]
	s_cbranch_execz .LBB1011_8
; %bb.7:
	v_ashrrev_i32_e32 v5, 31, v4
	v_lshlrev_b64 v[12:13], 3, v[4:5]
	v_add_co_u32_e64 v12, s[2:3], v9, v12
	v_addc_co_u32_e64 v13, s[2:3], v14, v13, s[2:3]
	global_load_dwordx2 v[14:15], v[12:13], off
	s_waitcnt vmcnt(0)
	v_add_f64 v[9:10], v[10:11], -v[14:15]
	global_store_dwordx2 v[12:13], v[9:10], off
.LBB1011_8:
	s_or_b64 exec, exec, s[4:5]
	v_add_u32_e32 v5, 16, v8
	v_ashrrev_i32_e32 v1, 31, v5
	v_mul_lo_u32 v10, s13, v5
	v_mad_u64_u32 v[8:9], s[2:3], s12, v5, 0
	v_mul_lo_u32 v1, s12, v1
	v_add3_u32 v9, v9, v1, v10
	v_lshlrev_b64 v[8:9], 3, v[8:9]
	v_mov_b32_e32 v1, s7
	v_add_co_u32_e64 v8, s[2:3], s6, v8
	v_addc_co_u32_e64 v9, s[2:3], v1, v9, s[2:3]
	v_cmp_le_i32_e64 s[2:3], v5, v0
	s_and_b64 s[4:5], s[2:3], vcc
	s_and_saveexec_b64 s[2:3], s[4:5]
	s_cbranch_execz .LBB1011_10
; %bb.9:
	v_ashrrev_i32_e32 v1, 31, v0
	v_lshlrev_b64 v[0:1], 3, v[0:1]
	v_add_co_u32_e32 v0, vcc, v8, v0
	v_addc_co_u32_e32 v1, vcc, v9, v1, vcc
	global_load_dwordx2 v[10:11], v[0:1], off
	s_waitcnt vmcnt(0)
	v_add_f64 v[6:7], v[6:7], -v[10:11]
	global_store_dwordx2 v[0:1], v[6:7], off
.LBB1011_10:
	s_or_b64 exec, exec, s[2:3]
	v_cmp_le_i32_e32 vcc, v5, v4
	s_and_b64 s[0:1], vcc, s[0:1]
	s_and_saveexec_b64 s[2:3], s[0:1]
	s_cbranch_execz .LBB1011_12
; %bb.11:
	v_ashrrev_i32_e32 v5, 31, v4
	v_lshlrev_b64 v[0:1], 3, v[4:5]
	v_add_co_u32_e32 v0, vcc, v8, v0
	v_addc_co_u32_e32 v1, vcc, v9, v1, vcc
	global_load_dwordx2 v[4:5], v[0:1], off
	s_waitcnt vmcnt(0)
	v_add_f64 v[2:3], v[2:3], -v[4:5]
	global_store_dwordx2 v[0:1], v[2:3], off
.LBB1011_12:
	s_endpgm
	.section	.rodata,"a",@progbits
	.p2align	6, 0x0
	.amdhsa_kernel _ZL37rocblas_syrkx_herkx_restricted_kernelIldLi16ELi32ELi8ELi1ELin1ELb0ELc78ELc76EKddEviT_PT9_S1_lS3_S1_lPT10_S1_li
		.amdhsa_group_segment_fixed_size 4096
		.amdhsa_private_segment_fixed_size 0
		.amdhsa_kernarg_size 92
		.amdhsa_user_sgpr_count 6
		.amdhsa_user_sgpr_private_segment_buffer 1
		.amdhsa_user_sgpr_dispatch_ptr 0
		.amdhsa_user_sgpr_queue_ptr 0
		.amdhsa_user_sgpr_kernarg_segment_ptr 1
		.amdhsa_user_sgpr_dispatch_id 0
		.amdhsa_user_sgpr_flat_scratch_init 0
		.amdhsa_user_sgpr_private_segment_size 0
		.amdhsa_uses_dynamic_stack 0
		.amdhsa_system_sgpr_private_segment_wavefront_offset 0
		.amdhsa_system_sgpr_workgroup_id_x 1
		.amdhsa_system_sgpr_workgroup_id_y 1
		.amdhsa_system_sgpr_workgroup_id_z 1
		.amdhsa_system_sgpr_workgroup_info 0
		.amdhsa_system_vgpr_workitem_id 1
		.amdhsa_next_free_vgpr 38
		.amdhsa_next_free_sgpr 28
		.amdhsa_reserve_vcc 1
		.amdhsa_reserve_flat_scratch 0
		.amdhsa_float_round_mode_32 0
		.amdhsa_float_round_mode_16_64 0
		.amdhsa_float_denorm_mode_32 3
		.amdhsa_float_denorm_mode_16_64 3
		.amdhsa_dx10_clamp 1
		.amdhsa_ieee_mode 1
		.amdhsa_fp16_overflow 0
		.amdhsa_exception_fp_ieee_invalid_op 0
		.amdhsa_exception_fp_denorm_src 0
		.amdhsa_exception_fp_ieee_div_zero 0
		.amdhsa_exception_fp_ieee_overflow 0
		.amdhsa_exception_fp_ieee_underflow 0
		.amdhsa_exception_fp_ieee_inexact 0
		.amdhsa_exception_int_div_zero 0
	.end_amdhsa_kernel
	.section	.text._ZL37rocblas_syrkx_herkx_restricted_kernelIldLi16ELi32ELi8ELi1ELin1ELb0ELc78ELc76EKddEviT_PT9_S1_lS3_S1_lPT10_S1_li,"axG",@progbits,_ZL37rocblas_syrkx_herkx_restricted_kernelIldLi16ELi32ELi8ELi1ELin1ELb0ELc78ELc76EKddEviT_PT9_S1_lS3_S1_lPT10_S1_li,comdat
.Lfunc_end1011:
	.size	_ZL37rocblas_syrkx_herkx_restricted_kernelIldLi16ELi32ELi8ELi1ELin1ELb0ELc78ELc76EKddEviT_PT9_S1_lS3_S1_lPT10_S1_li, .Lfunc_end1011-_ZL37rocblas_syrkx_herkx_restricted_kernelIldLi16ELi32ELi8ELi1ELin1ELb0ELc78ELc76EKddEviT_PT9_S1_lS3_S1_lPT10_S1_li
                                        ; -- End function
	.set _ZL37rocblas_syrkx_herkx_restricted_kernelIldLi16ELi32ELi8ELi1ELin1ELb0ELc78ELc76EKddEviT_PT9_S1_lS3_S1_lPT10_S1_li.num_vgpr, 38
	.set _ZL37rocblas_syrkx_herkx_restricted_kernelIldLi16ELi32ELi8ELi1ELin1ELb0ELc78ELc76EKddEviT_PT9_S1_lS3_S1_lPT10_S1_li.num_agpr, 0
	.set _ZL37rocblas_syrkx_herkx_restricted_kernelIldLi16ELi32ELi8ELi1ELin1ELb0ELc78ELc76EKddEviT_PT9_S1_lS3_S1_lPT10_S1_li.numbered_sgpr, 28
	.set _ZL37rocblas_syrkx_herkx_restricted_kernelIldLi16ELi32ELi8ELi1ELin1ELb0ELc78ELc76EKddEviT_PT9_S1_lS3_S1_lPT10_S1_li.num_named_barrier, 0
	.set _ZL37rocblas_syrkx_herkx_restricted_kernelIldLi16ELi32ELi8ELi1ELin1ELb0ELc78ELc76EKddEviT_PT9_S1_lS3_S1_lPT10_S1_li.private_seg_size, 0
	.set _ZL37rocblas_syrkx_herkx_restricted_kernelIldLi16ELi32ELi8ELi1ELin1ELb0ELc78ELc76EKddEviT_PT9_S1_lS3_S1_lPT10_S1_li.uses_vcc, 1
	.set _ZL37rocblas_syrkx_herkx_restricted_kernelIldLi16ELi32ELi8ELi1ELin1ELb0ELc78ELc76EKddEviT_PT9_S1_lS3_S1_lPT10_S1_li.uses_flat_scratch, 0
	.set _ZL37rocblas_syrkx_herkx_restricted_kernelIldLi16ELi32ELi8ELi1ELin1ELb0ELc78ELc76EKddEviT_PT9_S1_lS3_S1_lPT10_S1_li.has_dyn_sized_stack, 0
	.set _ZL37rocblas_syrkx_herkx_restricted_kernelIldLi16ELi32ELi8ELi1ELin1ELb0ELc78ELc76EKddEviT_PT9_S1_lS3_S1_lPT10_S1_li.has_recursion, 0
	.set _ZL37rocblas_syrkx_herkx_restricted_kernelIldLi16ELi32ELi8ELi1ELin1ELb0ELc78ELc76EKddEviT_PT9_S1_lS3_S1_lPT10_S1_li.has_indirect_call, 0
	.section	.AMDGPU.csdata,"",@progbits
; Kernel info:
; codeLenInByte = 1360
; TotalNumSgprs: 32
; NumVgprs: 38
; ScratchSize: 0
; MemoryBound: 0
; FloatMode: 240
; IeeeMode: 1
; LDSByteSize: 4096 bytes/workgroup (compile time only)
; SGPRBlocks: 3
; VGPRBlocks: 9
; NumSGPRsForWavesPerEU: 32
; NumVGPRsForWavesPerEU: 38
; Occupancy: 6
; WaveLimiterHint : 1
; COMPUTE_PGM_RSRC2:SCRATCH_EN: 0
; COMPUTE_PGM_RSRC2:USER_SGPR: 6
; COMPUTE_PGM_RSRC2:TRAP_HANDLER: 0
; COMPUTE_PGM_RSRC2:TGID_X_EN: 1
; COMPUTE_PGM_RSRC2:TGID_Y_EN: 1
; COMPUTE_PGM_RSRC2:TGID_Z_EN: 1
; COMPUTE_PGM_RSRC2:TIDIG_COMP_CNT: 1
	.section	.text._ZL37rocblas_syrkx_herkx_restricted_kernelIldLi16ELi32ELi8ELi1ELin1ELb0ELc84ELc85EKddEviT_PT9_S1_lS3_S1_lPT10_S1_li,"axG",@progbits,_ZL37rocblas_syrkx_herkx_restricted_kernelIldLi16ELi32ELi8ELi1ELin1ELb0ELc84ELc85EKddEviT_PT9_S1_lS3_S1_lPT10_S1_li,comdat
	.globl	_ZL37rocblas_syrkx_herkx_restricted_kernelIldLi16ELi32ELi8ELi1ELin1ELb0ELc84ELc85EKddEviT_PT9_S1_lS3_S1_lPT10_S1_li ; -- Begin function _ZL37rocblas_syrkx_herkx_restricted_kernelIldLi16ELi32ELi8ELi1ELin1ELb0ELc84ELc85EKddEviT_PT9_S1_lS3_S1_lPT10_S1_li
	.p2align	8
	.type	_ZL37rocblas_syrkx_herkx_restricted_kernelIldLi16ELi32ELi8ELi1ELin1ELb0ELc84ELc85EKddEviT_PT9_S1_lS3_S1_lPT10_S1_li,@function
_ZL37rocblas_syrkx_herkx_restricted_kernelIldLi16ELi32ELi8ELi1ELin1ELb0ELc84ELc85EKddEviT_PT9_S1_lS3_S1_lPT10_S1_li: ; @_ZL37rocblas_syrkx_herkx_restricted_kernelIldLi16ELi32ELi8ELi1ELin1ELb0ELc84ELc85EKddEviT_PT9_S1_lS3_S1_lPT10_S1_li
; %bb.0:
	s_load_dwordx16 s[12:27], s[4:5], 0x8
	s_lshl_b32 s2, s6, 5
	s_lshl_b32 s3, s7, 5
	s_waitcnt lgkmcnt(0)
	v_cmp_lt_i64_e64 s[0:1], s[12:13], 1
	s_and_b64 vcc, exec, s[0:1]
	s_cbranch_vccnz .LBB1012_3
; %bb.1:
	v_lshl_add_u32 v4, v1, 4, v0
	v_lshrrev_b32_e32 v8, 3, v4
	v_add_u32_e32 v5, s3, v8
	v_ashrrev_i32_e32 v6, 31, v5
	v_and_b32_e32 v2, 7, v0
	v_mov_b32_e32 v3, 0
	v_mul_lo_u32 v9, s22, v6
	v_mul_lo_u32 v10, s23, v5
	v_mad_u64_u32 v[6:7], s[0:1], s22, v5, v[2:3]
	v_lshlrev_b32_e32 v2, 3, v2
	v_lshl_or_b32 v2, v8, 6, v2
	v_add3_u32 v7, v10, v7, v9
	v_and_b32_e32 v9, 31, v4
	v_add_u32_e32 v15, 0x800, v2
	v_mov_b32_e32 v2, 0x800
	v_add_u32_e32 v8, s2, v9
	v_lshrrev_b32_e32 v4, 5, v4
	v_mov_b32_e32 v5, v3
	v_lshlrev_b32_e32 v3, 3, v9
	v_lshl_add_u32 v17, v1, 6, v2
	v_ashrrev_i32_e32 v2, 31, v8
	v_lshl_or_b32 v14, v4, 8, v3
	v_mul_lo_u32 v9, s16, v2
	v_mad_u64_u32 v[2:3], s[0:1], s16, v8, v[4:5]
	v_mul_lo_u32 v4, s17, v8
	s_mul_i32 s6, s19, s8
	s_mul_hi_u32 s7, s18, s8
	s_add_i32 s1, s7, s6
	s_mul_i32 s0, s18, s8
	s_lshl_b64 s[0:1], s[0:1], 3
	v_add3_u32 v3, v4, v3, v9
	v_lshlrev_b64 v[2:3], 3, v[2:3]
	s_add_u32 s0, s14, s0
	s_addc_u32 s1, s15, s1
	v_mov_b32_e32 v5, s1
	v_add_co_u32_e32 v4, vcc, s0, v2
	s_mul_i32 s0, s25, s8
	s_mul_hi_u32 s1, s24, s8
	s_add_i32 s1, s1, s0
	s_mul_i32 s0, s24, s8
	s_lshl_b64 s[0:1], s[0:1], 3
	v_addc_co_u32_e32 v5, vcc, v5, v3, vcc
	v_lshlrev_b64 v[2:3], 3, v[6:7]
	s_add_u32 s0, s20, s0
	s_addc_u32 s1, s21, s1
	v_mov_b32_e32 v6, s1
	v_add_co_u32_e32 v8, vcc, s0, v2
	v_addc_co_u32_e32 v9, vcc, v6, v3, vcc
	v_mov_b32_e32 v2, 0
	v_mov_b32_e32 v6, 0
	;; [unrolled: 1-line block ×4, first 2 shown]
	v_lshlrev_b32_e32 v16, 3, v0
	v_mov_b32_e32 v3, 0
	v_mov_b32_e32 v7, 0
	;; [unrolled: 1-line block ×4, first 2 shown]
	s_mov_b64 s[0:1], 0
.LBB1012_2:                             ; =>This Inner Loop Header: Depth=1
	global_load_dwordx2 v[18:19], v[4:5], off
	global_load_dwordx2 v[20:21], v[8:9], off
	s_add_u32 s0, s0, 8
	v_add_co_u32_e32 v4, vcc, 64, v4
	v_addc_co_u32_e32 v5, vcc, 0, v5, vcc
	s_addc_u32 s1, s1, 0
	v_add_co_u32_e32 v8, vcc, 64, v8
	v_addc_co_u32_e32 v9, vcc, 0, v9, vcc
	s_waitcnt vmcnt(1)
	ds_write_b64 v14, v[18:19]
	s_waitcnt vmcnt(0)
	ds_write_b64 v15, v[20:21]
	s_waitcnt lgkmcnt(0)
	s_barrier
	ds_read2_b64 v[18:21], v16 offset1:16
	ds_read_b128 v[22:25], v17
	ds_read_b128 v[26:29], v17 offset:1024
	ds_read_b128 v[30:33], v17 offset:16
	s_waitcnt lgkmcnt(2)
	v_fma_f64 v[34:35], v[18:19], v[22:23], v[12:13]
	v_fma_f64 v[22:23], v[20:21], v[22:23], v[10:11]
	s_waitcnt lgkmcnt(1)
	v_fma_f64 v[6:7], v[18:19], v[26:27], v[6:7]
	v_fma_f64 v[2:3], v[20:21], v[26:27], v[2:3]
	ds_read2_b64 v[18:21], v16 offset0:32 offset1:48
	ds_read_b128 v[10:13], v17 offset:1040
	s_waitcnt lgkmcnt(1)
	v_fma_f64 v[26:27], v[18:19], v[24:25], v[34:35]
	v_fma_f64 v[34:35], v[20:21], v[24:25], v[22:23]
	;; [unrolled: 1-line block ×4, first 2 shown]
	ds_read2_b64 v[18:21], v16 offset0:64 offset1:80
	ds_read2_b64 v[22:25], v16 offset0:96 offset1:112
	s_waitcnt lgkmcnt(1)
	v_fma_f64 v[26:27], v[18:19], v[30:31], v[26:27]
	v_fma_f64 v[28:29], v[20:21], v[30:31], v[34:35]
	;; [unrolled: 1-line block ×4, first 2 shown]
	ds_read2_b64 v[18:21], v16 offset0:128 offset1:144
	s_waitcnt lgkmcnt(1)
	v_fma_f64 v[30:31], v[22:23], v[32:33], v[26:27]
	v_fma_f64 v[32:33], v[24:25], v[32:33], v[28:29]
	;; [unrolled: 1-line block ×4, first 2 shown]
	ds_read_b128 v[26:29], v17 offset:32
	ds_read_b128 v[10:13], v17 offset:1056
	;; [unrolled: 1-line block ×3, first 2 shown]
	s_waitcnt lgkmcnt(2)
	v_fma_f64 v[34:35], v[18:19], v[26:27], v[30:31]
	v_fma_f64 v[26:27], v[20:21], v[26:27], v[32:33]
	s_waitcnt lgkmcnt(1)
	v_fma_f64 v[6:7], v[18:19], v[10:11], v[6:7]
	v_fma_f64 v[2:3], v[20:21], v[10:11], v[2:3]
	ds_read2_b64 v[18:21], v16 offset0:160 offset1:176
	ds_read_b128 v[30:33], v17 offset:1072
	s_waitcnt lgkmcnt(1)
	v_fma_f64 v[34:35], v[18:19], v[28:29], v[34:35]
	v_fma_f64 v[26:27], v[20:21], v[28:29], v[26:27]
	;; [unrolled: 1-line block ×4, first 2 shown]
	ds_read2_b64 v[10:13], v16 offset0:192 offset1:208
	ds_read2_b64 v[18:21], v16 offset0:224 offset1:240
	v_mov_b32_e32 v29, s1
	v_mov_b32_e32 v28, s0
	v_cmp_le_u64_e32 vcc, s[12:13], v[28:29]
	s_waitcnt lgkmcnt(1)
	v_fma_f64 v[34:35], v[10:11], v[22:23], v[34:35]
	v_fma_f64 v[22:23], v[12:13], v[22:23], v[26:27]
	;; [unrolled: 1-line block ×4, first 2 shown]
	s_and_b64 vcc, exec, vcc
	s_waitcnt lgkmcnt(0)
	s_barrier
	v_fma_f64 v[12:13], v[18:19], v[24:25], v[34:35]
	v_fma_f64 v[10:11], v[20:21], v[24:25], v[22:23]
	;; [unrolled: 1-line block ×4, first 2 shown]
	s_cbranch_vccz .LBB1012_2
	s_branch .LBB1012_4
.LBB1012_3:
	v_mov_b32_e32 v12, 0
	v_mov_b32_e32 v10, 0
	;; [unrolled: 1-line block ×8, first 2 shown]
.LBB1012_4:
	s_load_dwordx4 s[12:15], s[4:5], 0x48
	s_load_dword s6, s[4:5], 0x0
	v_add_u32_e32 v8, s3, v1
	v_ashrrev_i32_e32 v1, 31, v8
	v_add_u32_e32 v0, s2, v0
	s_waitcnt lgkmcnt(0)
	s_mul_i32 s1, s15, s8
	s_mul_hi_u32 s3, s14, s8
	s_mul_i32 s0, s14, s8
	v_mul_lo_u32 v1, s12, v1
	v_mul_lo_u32 v9, s13, v8
	v_mad_u64_u32 v[4:5], s[8:9], s12, v8, 0
	s_add_i32 s1, s3, s1
	s_lshl_b64 s[0:1], s[0:1], 3
	v_add3_u32 v5, v5, v1, v9
	s_add_u32 s4, s26, s0
	v_lshlrev_b64 v[4:5], 3, v[4:5]
	s_addc_u32 s5, s27, s1
	v_mov_b32_e32 v1, s5
	v_add_co_u32_e64 v9, s[0:1], s4, v4
	v_addc_co_u32_e64 v14, s[0:1], v1, v5, s[0:1]
	v_cmp_gt_i32_e32 vcc, s6, v8
	v_cmp_le_i32_e64 s[0:1], v0, v8
	s_and_b64 s[0:1], vcc, s[0:1]
	s_and_saveexec_b64 s[2:3], s[0:1]
	s_cbranch_execz .LBB1012_6
; %bb.5:
	v_ashrrev_i32_e32 v1, 31, v0
	v_lshlrev_b64 v[4:5], 3, v[0:1]
	v_add_co_u32_e64 v4, s[0:1], v9, v4
	v_addc_co_u32_e64 v5, s[0:1], v14, v5, s[0:1]
	global_load_dwordx2 v[15:16], v[4:5], off
	s_waitcnt vmcnt(0)
	v_add_f64 v[12:13], v[12:13], -v[15:16]
	global_store_dwordx2 v[4:5], v[12:13], off
.LBB1012_6:
	s_or_b64 exec, exec, s[2:3]
	v_add_u32_e32 v4, 16, v0
	v_cmp_le_i32_e64 s[0:1], v4, v8
	s_and_b64 s[2:3], vcc, s[0:1]
	s_and_saveexec_b64 s[0:1], s[2:3]
	s_cbranch_execz .LBB1012_8
; %bb.7:
	v_ashrrev_i32_e32 v5, 31, v4
	v_lshlrev_b64 v[12:13], 3, v[4:5]
	v_add_co_u32_e32 v12, vcc, v9, v12
	v_addc_co_u32_e32 v13, vcc, v14, v13, vcc
	global_load_dwordx2 v[14:15], v[12:13], off
	s_waitcnt vmcnt(0)
	v_add_f64 v[9:10], v[10:11], -v[14:15]
	global_store_dwordx2 v[12:13], v[9:10], off
.LBB1012_8:
	s_or_b64 exec, exec, s[0:1]
	v_add_u32_e32 v5, 16, v8
	v_ashrrev_i32_e32 v1, 31, v5
	v_mul_lo_u32 v1, s12, v1
	v_mul_lo_u32 v10, s13, v5
	v_mad_u64_u32 v[8:9], s[0:1], s12, v5, 0
	v_cmp_gt_i32_e32 vcc, s6, v5
	v_add3_u32 v9, v9, v1, v10
	v_lshlrev_b64 v[8:9], 3, v[8:9]
	v_mov_b32_e32 v1, s5
	v_add_co_u32_e64 v8, s[0:1], s4, v8
	v_addc_co_u32_e64 v9, s[0:1], v1, v9, s[0:1]
	v_cmp_le_i32_e64 s[0:1], v0, v5
	s_and_b64 s[0:1], vcc, s[0:1]
	s_and_saveexec_b64 s[2:3], s[0:1]
	s_cbranch_execz .LBB1012_10
; %bb.9:
	v_ashrrev_i32_e32 v1, 31, v0
	v_lshlrev_b64 v[0:1], 3, v[0:1]
	v_add_co_u32_e64 v0, s[0:1], v8, v0
	v_addc_co_u32_e64 v1, s[0:1], v9, v1, s[0:1]
	global_load_dwordx2 v[10:11], v[0:1], off
	s_waitcnt vmcnt(0)
	v_add_f64 v[6:7], v[6:7], -v[10:11]
	global_store_dwordx2 v[0:1], v[6:7], off
.LBB1012_10:
	s_or_b64 exec, exec, s[2:3]
	v_cmp_le_i32_e64 s[0:1], v4, v5
	s_and_b64 s[0:1], vcc, s[0:1]
	s_and_saveexec_b64 s[2:3], s[0:1]
	s_cbranch_execz .LBB1012_12
; %bb.11:
	v_ashrrev_i32_e32 v5, 31, v4
	v_lshlrev_b64 v[0:1], 3, v[4:5]
	v_add_co_u32_e32 v0, vcc, v8, v0
	v_addc_co_u32_e32 v1, vcc, v9, v1, vcc
	global_load_dwordx2 v[4:5], v[0:1], off
	s_waitcnt vmcnt(0)
	v_add_f64 v[2:3], v[2:3], -v[4:5]
	global_store_dwordx2 v[0:1], v[2:3], off
.LBB1012_12:
	s_endpgm
	.section	.rodata,"a",@progbits
	.p2align	6, 0x0
	.amdhsa_kernel _ZL37rocblas_syrkx_herkx_restricted_kernelIldLi16ELi32ELi8ELi1ELin1ELb0ELc84ELc85EKddEviT_PT9_S1_lS3_S1_lPT10_S1_li
		.amdhsa_group_segment_fixed_size 4096
		.amdhsa_private_segment_fixed_size 0
		.amdhsa_kernarg_size 92
		.amdhsa_user_sgpr_count 6
		.amdhsa_user_sgpr_private_segment_buffer 1
		.amdhsa_user_sgpr_dispatch_ptr 0
		.amdhsa_user_sgpr_queue_ptr 0
		.amdhsa_user_sgpr_kernarg_segment_ptr 1
		.amdhsa_user_sgpr_dispatch_id 0
		.amdhsa_user_sgpr_flat_scratch_init 0
		.amdhsa_user_sgpr_private_segment_size 0
		.amdhsa_uses_dynamic_stack 0
		.amdhsa_system_sgpr_private_segment_wavefront_offset 0
		.amdhsa_system_sgpr_workgroup_id_x 1
		.amdhsa_system_sgpr_workgroup_id_y 1
		.amdhsa_system_sgpr_workgroup_id_z 1
		.amdhsa_system_sgpr_workgroup_info 0
		.amdhsa_system_vgpr_workitem_id 1
		.amdhsa_next_free_vgpr 36
		.amdhsa_next_free_sgpr 28
		.amdhsa_reserve_vcc 1
		.amdhsa_reserve_flat_scratch 0
		.amdhsa_float_round_mode_32 0
		.amdhsa_float_round_mode_16_64 0
		.amdhsa_float_denorm_mode_32 3
		.amdhsa_float_denorm_mode_16_64 3
		.amdhsa_dx10_clamp 1
		.amdhsa_ieee_mode 1
		.amdhsa_fp16_overflow 0
		.amdhsa_exception_fp_ieee_invalid_op 0
		.amdhsa_exception_fp_denorm_src 0
		.amdhsa_exception_fp_ieee_div_zero 0
		.amdhsa_exception_fp_ieee_overflow 0
		.amdhsa_exception_fp_ieee_underflow 0
		.amdhsa_exception_fp_ieee_inexact 0
		.amdhsa_exception_int_div_zero 0
	.end_amdhsa_kernel
	.section	.text._ZL37rocblas_syrkx_herkx_restricted_kernelIldLi16ELi32ELi8ELi1ELin1ELb0ELc84ELc85EKddEviT_PT9_S1_lS3_S1_lPT10_S1_li,"axG",@progbits,_ZL37rocblas_syrkx_herkx_restricted_kernelIldLi16ELi32ELi8ELi1ELin1ELb0ELc84ELc85EKddEviT_PT9_S1_lS3_S1_lPT10_S1_li,comdat
.Lfunc_end1012:
	.size	_ZL37rocblas_syrkx_herkx_restricted_kernelIldLi16ELi32ELi8ELi1ELin1ELb0ELc84ELc85EKddEviT_PT9_S1_lS3_S1_lPT10_S1_li, .Lfunc_end1012-_ZL37rocblas_syrkx_herkx_restricted_kernelIldLi16ELi32ELi8ELi1ELin1ELb0ELc84ELc85EKddEviT_PT9_S1_lS3_S1_lPT10_S1_li
                                        ; -- End function
	.set _ZL37rocblas_syrkx_herkx_restricted_kernelIldLi16ELi32ELi8ELi1ELin1ELb0ELc84ELc85EKddEviT_PT9_S1_lS3_S1_lPT10_S1_li.num_vgpr, 36
	.set _ZL37rocblas_syrkx_herkx_restricted_kernelIldLi16ELi32ELi8ELi1ELin1ELb0ELc84ELc85EKddEviT_PT9_S1_lS3_S1_lPT10_S1_li.num_agpr, 0
	.set _ZL37rocblas_syrkx_herkx_restricted_kernelIldLi16ELi32ELi8ELi1ELin1ELb0ELc84ELc85EKddEviT_PT9_S1_lS3_S1_lPT10_S1_li.numbered_sgpr, 28
	.set _ZL37rocblas_syrkx_herkx_restricted_kernelIldLi16ELi32ELi8ELi1ELin1ELb0ELc84ELc85EKddEviT_PT9_S1_lS3_S1_lPT10_S1_li.num_named_barrier, 0
	.set _ZL37rocblas_syrkx_herkx_restricted_kernelIldLi16ELi32ELi8ELi1ELin1ELb0ELc84ELc85EKddEviT_PT9_S1_lS3_S1_lPT10_S1_li.private_seg_size, 0
	.set _ZL37rocblas_syrkx_herkx_restricted_kernelIldLi16ELi32ELi8ELi1ELin1ELb0ELc84ELc85EKddEviT_PT9_S1_lS3_S1_lPT10_S1_li.uses_vcc, 1
	.set _ZL37rocblas_syrkx_herkx_restricted_kernelIldLi16ELi32ELi8ELi1ELin1ELb0ELc84ELc85EKddEviT_PT9_S1_lS3_S1_lPT10_S1_li.uses_flat_scratch, 0
	.set _ZL37rocblas_syrkx_herkx_restricted_kernelIldLi16ELi32ELi8ELi1ELin1ELb0ELc84ELc85EKddEviT_PT9_S1_lS3_S1_lPT10_S1_li.has_dyn_sized_stack, 0
	.set _ZL37rocblas_syrkx_herkx_restricted_kernelIldLi16ELi32ELi8ELi1ELin1ELb0ELc84ELc85EKddEviT_PT9_S1_lS3_S1_lPT10_S1_li.has_recursion, 0
	.set _ZL37rocblas_syrkx_herkx_restricted_kernelIldLi16ELi32ELi8ELi1ELin1ELb0ELc84ELc85EKddEviT_PT9_S1_lS3_S1_lPT10_S1_li.has_indirect_call, 0
	.section	.AMDGPU.csdata,"",@progbits
; Kernel info:
; codeLenInByte = 1392
; TotalNumSgprs: 32
; NumVgprs: 36
; ScratchSize: 0
; MemoryBound: 0
; FloatMode: 240
; IeeeMode: 1
; LDSByteSize: 4096 bytes/workgroup (compile time only)
; SGPRBlocks: 3
; VGPRBlocks: 8
; NumSGPRsForWavesPerEU: 32
; NumVGPRsForWavesPerEU: 36
; Occupancy: 7
; WaveLimiterHint : 1
; COMPUTE_PGM_RSRC2:SCRATCH_EN: 0
; COMPUTE_PGM_RSRC2:USER_SGPR: 6
; COMPUTE_PGM_RSRC2:TRAP_HANDLER: 0
; COMPUTE_PGM_RSRC2:TGID_X_EN: 1
; COMPUTE_PGM_RSRC2:TGID_Y_EN: 1
; COMPUTE_PGM_RSRC2:TGID_Z_EN: 1
; COMPUTE_PGM_RSRC2:TIDIG_COMP_CNT: 1
	.section	.text._ZL37rocblas_syrkx_herkx_restricted_kernelIldLi16ELi32ELi8ELi1ELin1ELb0ELc67ELc85EKddEviT_PT9_S1_lS3_S1_lPT10_S1_li,"axG",@progbits,_ZL37rocblas_syrkx_herkx_restricted_kernelIldLi16ELi32ELi8ELi1ELin1ELb0ELc67ELc85EKddEviT_PT9_S1_lS3_S1_lPT10_S1_li,comdat
	.globl	_ZL37rocblas_syrkx_herkx_restricted_kernelIldLi16ELi32ELi8ELi1ELin1ELb0ELc67ELc85EKddEviT_PT9_S1_lS3_S1_lPT10_S1_li ; -- Begin function _ZL37rocblas_syrkx_herkx_restricted_kernelIldLi16ELi32ELi8ELi1ELin1ELb0ELc67ELc85EKddEviT_PT9_S1_lS3_S1_lPT10_S1_li
	.p2align	8
	.type	_ZL37rocblas_syrkx_herkx_restricted_kernelIldLi16ELi32ELi8ELi1ELin1ELb0ELc67ELc85EKddEviT_PT9_S1_lS3_S1_lPT10_S1_li,@function
_ZL37rocblas_syrkx_herkx_restricted_kernelIldLi16ELi32ELi8ELi1ELin1ELb0ELc67ELc85EKddEviT_PT9_S1_lS3_S1_lPT10_S1_li: ; @_ZL37rocblas_syrkx_herkx_restricted_kernelIldLi16ELi32ELi8ELi1ELin1ELb0ELc67ELc85EKddEviT_PT9_S1_lS3_S1_lPT10_S1_li
; %bb.0:
	s_load_dwordx16 s[12:27], s[4:5], 0x8
	s_lshl_b32 s2, s6, 5
	s_lshl_b32 s3, s7, 5
	s_waitcnt lgkmcnt(0)
	v_cmp_lt_i64_e64 s[0:1], s[12:13], 1
	s_and_b64 vcc, exec, s[0:1]
	s_cbranch_vccnz .LBB1013_3
; %bb.1:
	v_lshl_add_u32 v4, v1, 4, v0
	v_lshrrev_b32_e32 v8, 3, v4
	v_add_u32_e32 v5, s3, v8
	v_ashrrev_i32_e32 v6, 31, v5
	v_and_b32_e32 v2, 7, v0
	v_mov_b32_e32 v3, 0
	v_mul_lo_u32 v9, s22, v6
	v_mul_lo_u32 v10, s23, v5
	v_mad_u64_u32 v[6:7], s[0:1], s22, v5, v[2:3]
	v_lshlrev_b32_e32 v2, 3, v2
	v_lshl_or_b32 v2, v8, 6, v2
	v_add3_u32 v7, v10, v7, v9
	v_and_b32_e32 v9, 31, v4
	v_add_u32_e32 v15, 0x800, v2
	v_mov_b32_e32 v2, 0x800
	v_add_u32_e32 v8, s2, v9
	v_lshrrev_b32_e32 v4, 5, v4
	v_mov_b32_e32 v5, v3
	v_lshlrev_b32_e32 v3, 3, v9
	v_lshl_add_u32 v17, v1, 6, v2
	v_ashrrev_i32_e32 v2, 31, v8
	v_lshl_or_b32 v14, v4, 8, v3
	v_mul_lo_u32 v9, s16, v2
	v_mad_u64_u32 v[2:3], s[0:1], s16, v8, v[4:5]
	v_mul_lo_u32 v4, s17, v8
	s_mul_i32 s6, s19, s8
	s_mul_hi_u32 s7, s18, s8
	s_add_i32 s1, s7, s6
	s_mul_i32 s0, s18, s8
	s_lshl_b64 s[0:1], s[0:1], 3
	v_add3_u32 v3, v4, v3, v9
	v_lshlrev_b64 v[2:3], 3, v[2:3]
	s_add_u32 s0, s14, s0
	s_addc_u32 s1, s15, s1
	v_mov_b32_e32 v5, s1
	v_add_co_u32_e32 v4, vcc, s0, v2
	s_mul_i32 s0, s25, s8
	s_mul_hi_u32 s1, s24, s8
	s_add_i32 s1, s1, s0
	s_mul_i32 s0, s24, s8
	s_lshl_b64 s[0:1], s[0:1], 3
	v_addc_co_u32_e32 v5, vcc, v5, v3, vcc
	v_lshlrev_b64 v[2:3], 3, v[6:7]
	s_add_u32 s0, s20, s0
	s_addc_u32 s1, s21, s1
	v_mov_b32_e32 v6, s1
	v_add_co_u32_e32 v8, vcc, s0, v2
	v_addc_co_u32_e32 v9, vcc, v6, v3, vcc
	v_mov_b32_e32 v2, 0
	v_mov_b32_e32 v6, 0
	;; [unrolled: 1-line block ×4, first 2 shown]
	v_lshlrev_b32_e32 v16, 3, v0
	v_mov_b32_e32 v3, 0
	v_mov_b32_e32 v7, 0
	;; [unrolled: 1-line block ×4, first 2 shown]
	s_mov_b64 s[0:1], 0
.LBB1013_2:                             ; =>This Inner Loop Header: Depth=1
	global_load_dwordx2 v[18:19], v[4:5], off
	global_load_dwordx2 v[20:21], v[8:9], off
	s_add_u32 s0, s0, 8
	v_add_co_u32_e32 v4, vcc, 64, v4
	v_addc_co_u32_e32 v5, vcc, 0, v5, vcc
	s_addc_u32 s1, s1, 0
	v_add_co_u32_e32 v8, vcc, 64, v8
	v_addc_co_u32_e32 v9, vcc, 0, v9, vcc
	s_waitcnt vmcnt(1)
	ds_write_b64 v14, v[18:19]
	s_waitcnt vmcnt(0)
	ds_write_b64 v15, v[20:21]
	s_waitcnt lgkmcnt(0)
	s_barrier
	ds_read2_b64 v[18:21], v16 offset1:16
	ds_read_b128 v[22:25], v17
	ds_read_b128 v[26:29], v17 offset:1024
	ds_read_b128 v[30:33], v17 offset:16
	s_waitcnt lgkmcnt(2)
	v_fma_f64 v[34:35], v[18:19], v[22:23], v[12:13]
	v_fma_f64 v[22:23], v[20:21], v[22:23], v[10:11]
	s_waitcnt lgkmcnt(1)
	v_fma_f64 v[6:7], v[18:19], v[26:27], v[6:7]
	v_fma_f64 v[2:3], v[20:21], v[26:27], v[2:3]
	ds_read2_b64 v[18:21], v16 offset0:32 offset1:48
	ds_read_b128 v[10:13], v17 offset:1040
	s_waitcnt lgkmcnt(1)
	v_fma_f64 v[26:27], v[18:19], v[24:25], v[34:35]
	v_fma_f64 v[34:35], v[20:21], v[24:25], v[22:23]
	;; [unrolled: 1-line block ×4, first 2 shown]
	ds_read2_b64 v[18:21], v16 offset0:64 offset1:80
	ds_read2_b64 v[22:25], v16 offset0:96 offset1:112
	s_waitcnt lgkmcnt(1)
	v_fma_f64 v[26:27], v[18:19], v[30:31], v[26:27]
	v_fma_f64 v[28:29], v[20:21], v[30:31], v[34:35]
	v_fma_f64 v[6:7], v[18:19], v[10:11], v[6:7]
	v_fma_f64 v[2:3], v[20:21], v[10:11], v[2:3]
	ds_read2_b64 v[18:21], v16 offset0:128 offset1:144
	s_waitcnt lgkmcnt(1)
	v_fma_f64 v[30:31], v[22:23], v[32:33], v[26:27]
	v_fma_f64 v[32:33], v[24:25], v[32:33], v[28:29]
	;; [unrolled: 1-line block ×4, first 2 shown]
	ds_read_b128 v[26:29], v17 offset:32
	ds_read_b128 v[10:13], v17 offset:1056
	;; [unrolled: 1-line block ×3, first 2 shown]
	s_waitcnt lgkmcnt(2)
	v_fma_f64 v[34:35], v[18:19], v[26:27], v[30:31]
	v_fma_f64 v[26:27], v[20:21], v[26:27], v[32:33]
	s_waitcnt lgkmcnt(1)
	v_fma_f64 v[6:7], v[18:19], v[10:11], v[6:7]
	v_fma_f64 v[2:3], v[20:21], v[10:11], v[2:3]
	ds_read2_b64 v[18:21], v16 offset0:160 offset1:176
	ds_read_b128 v[30:33], v17 offset:1072
	s_waitcnt lgkmcnt(1)
	v_fma_f64 v[34:35], v[18:19], v[28:29], v[34:35]
	v_fma_f64 v[26:27], v[20:21], v[28:29], v[26:27]
	;; [unrolled: 1-line block ×4, first 2 shown]
	ds_read2_b64 v[10:13], v16 offset0:192 offset1:208
	ds_read2_b64 v[18:21], v16 offset0:224 offset1:240
	v_mov_b32_e32 v29, s1
	v_mov_b32_e32 v28, s0
	v_cmp_le_u64_e32 vcc, s[12:13], v[28:29]
	s_waitcnt lgkmcnt(1)
	v_fma_f64 v[34:35], v[10:11], v[22:23], v[34:35]
	v_fma_f64 v[22:23], v[12:13], v[22:23], v[26:27]
	v_fma_f64 v[6:7], v[10:11], v[30:31], v[6:7]
	v_fma_f64 v[2:3], v[12:13], v[30:31], v[2:3]
	s_and_b64 vcc, exec, vcc
	s_waitcnt lgkmcnt(0)
	s_barrier
	v_fma_f64 v[12:13], v[18:19], v[24:25], v[34:35]
	v_fma_f64 v[10:11], v[20:21], v[24:25], v[22:23]
	;; [unrolled: 1-line block ×4, first 2 shown]
	s_cbranch_vccz .LBB1013_2
	s_branch .LBB1013_4
.LBB1013_3:
	v_mov_b32_e32 v12, 0
	v_mov_b32_e32 v10, 0
	;; [unrolled: 1-line block ×8, first 2 shown]
.LBB1013_4:
	s_load_dwordx4 s[12:15], s[4:5], 0x48
	s_load_dword s6, s[4:5], 0x0
	v_add_u32_e32 v8, s3, v1
	v_ashrrev_i32_e32 v1, 31, v8
	v_add_u32_e32 v0, s2, v0
	s_waitcnt lgkmcnt(0)
	s_mul_i32 s1, s15, s8
	s_mul_hi_u32 s3, s14, s8
	s_mul_i32 s0, s14, s8
	v_mul_lo_u32 v1, s12, v1
	v_mul_lo_u32 v9, s13, v8
	v_mad_u64_u32 v[4:5], s[8:9], s12, v8, 0
	s_add_i32 s1, s3, s1
	s_lshl_b64 s[0:1], s[0:1], 3
	v_add3_u32 v5, v5, v1, v9
	s_add_u32 s4, s26, s0
	v_lshlrev_b64 v[4:5], 3, v[4:5]
	s_addc_u32 s5, s27, s1
	v_mov_b32_e32 v1, s5
	v_add_co_u32_e64 v9, s[0:1], s4, v4
	v_addc_co_u32_e64 v14, s[0:1], v1, v5, s[0:1]
	v_cmp_gt_i32_e32 vcc, s6, v8
	v_cmp_le_i32_e64 s[0:1], v0, v8
	s_and_b64 s[0:1], vcc, s[0:1]
	s_and_saveexec_b64 s[2:3], s[0:1]
	s_cbranch_execz .LBB1013_6
; %bb.5:
	v_ashrrev_i32_e32 v1, 31, v0
	v_lshlrev_b64 v[4:5], 3, v[0:1]
	v_add_co_u32_e64 v4, s[0:1], v9, v4
	v_addc_co_u32_e64 v5, s[0:1], v14, v5, s[0:1]
	global_load_dwordx2 v[15:16], v[4:5], off
	s_waitcnt vmcnt(0)
	v_add_f64 v[12:13], v[12:13], -v[15:16]
	global_store_dwordx2 v[4:5], v[12:13], off
.LBB1013_6:
	s_or_b64 exec, exec, s[2:3]
	v_add_u32_e32 v4, 16, v0
	v_cmp_le_i32_e64 s[0:1], v4, v8
	s_and_b64 s[2:3], vcc, s[0:1]
	s_and_saveexec_b64 s[0:1], s[2:3]
	s_cbranch_execz .LBB1013_8
; %bb.7:
	v_ashrrev_i32_e32 v5, 31, v4
	v_lshlrev_b64 v[12:13], 3, v[4:5]
	v_add_co_u32_e32 v12, vcc, v9, v12
	v_addc_co_u32_e32 v13, vcc, v14, v13, vcc
	global_load_dwordx2 v[14:15], v[12:13], off
	s_waitcnt vmcnt(0)
	v_add_f64 v[9:10], v[10:11], -v[14:15]
	global_store_dwordx2 v[12:13], v[9:10], off
.LBB1013_8:
	s_or_b64 exec, exec, s[0:1]
	v_add_u32_e32 v5, 16, v8
	v_ashrrev_i32_e32 v1, 31, v5
	v_mul_lo_u32 v1, s12, v1
	v_mul_lo_u32 v10, s13, v5
	v_mad_u64_u32 v[8:9], s[0:1], s12, v5, 0
	v_cmp_gt_i32_e32 vcc, s6, v5
	v_add3_u32 v9, v9, v1, v10
	v_lshlrev_b64 v[8:9], 3, v[8:9]
	v_mov_b32_e32 v1, s5
	v_add_co_u32_e64 v8, s[0:1], s4, v8
	v_addc_co_u32_e64 v9, s[0:1], v1, v9, s[0:1]
	v_cmp_le_i32_e64 s[0:1], v0, v5
	s_and_b64 s[0:1], vcc, s[0:1]
	s_and_saveexec_b64 s[2:3], s[0:1]
	s_cbranch_execz .LBB1013_10
; %bb.9:
	v_ashrrev_i32_e32 v1, 31, v0
	v_lshlrev_b64 v[0:1], 3, v[0:1]
	v_add_co_u32_e64 v0, s[0:1], v8, v0
	v_addc_co_u32_e64 v1, s[0:1], v9, v1, s[0:1]
	global_load_dwordx2 v[10:11], v[0:1], off
	s_waitcnt vmcnt(0)
	v_add_f64 v[6:7], v[6:7], -v[10:11]
	global_store_dwordx2 v[0:1], v[6:7], off
.LBB1013_10:
	s_or_b64 exec, exec, s[2:3]
	v_cmp_le_i32_e64 s[0:1], v4, v5
	s_and_b64 s[0:1], vcc, s[0:1]
	s_and_saveexec_b64 s[2:3], s[0:1]
	s_cbranch_execz .LBB1013_12
; %bb.11:
	v_ashrrev_i32_e32 v5, 31, v4
	v_lshlrev_b64 v[0:1], 3, v[4:5]
	v_add_co_u32_e32 v0, vcc, v8, v0
	v_addc_co_u32_e32 v1, vcc, v9, v1, vcc
	global_load_dwordx2 v[4:5], v[0:1], off
	s_waitcnt vmcnt(0)
	v_add_f64 v[2:3], v[2:3], -v[4:5]
	global_store_dwordx2 v[0:1], v[2:3], off
.LBB1013_12:
	s_endpgm
	.section	.rodata,"a",@progbits
	.p2align	6, 0x0
	.amdhsa_kernel _ZL37rocblas_syrkx_herkx_restricted_kernelIldLi16ELi32ELi8ELi1ELin1ELb0ELc67ELc85EKddEviT_PT9_S1_lS3_S1_lPT10_S1_li
		.amdhsa_group_segment_fixed_size 4096
		.amdhsa_private_segment_fixed_size 0
		.amdhsa_kernarg_size 92
		.amdhsa_user_sgpr_count 6
		.amdhsa_user_sgpr_private_segment_buffer 1
		.amdhsa_user_sgpr_dispatch_ptr 0
		.amdhsa_user_sgpr_queue_ptr 0
		.amdhsa_user_sgpr_kernarg_segment_ptr 1
		.amdhsa_user_sgpr_dispatch_id 0
		.amdhsa_user_sgpr_flat_scratch_init 0
		.amdhsa_user_sgpr_private_segment_size 0
		.amdhsa_uses_dynamic_stack 0
		.amdhsa_system_sgpr_private_segment_wavefront_offset 0
		.amdhsa_system_sgpr_workgroup_id_x 1
		.amdhsa_system_sgpr_workgroup_id_y 1
		.amdhsa_system_sgpr_workgroup_id_z 1
		.amdhsa_system_sgpr_workgroup_info 0
		.amdhsa_system_vgpr_workitem_id 1
		.amdhsa_next_free_vgpr 36
		.amdhsa_next_free_sgpr 28
		.amdhsa_reserve_vcc 1
		.amdhsa_reserve_flat_scratch 0
		.amdhsa_float_round_mode_32 0
		.amdhsa_float_round_mode_16_64 0
		.amdhsa_float_denorm_mode_32 3
		.amdhsa_float_denorm_mode_16_64 3
		.amdhsa_dx10_clamp 1
		.amdhsa_ieee_mode 1
		.amdhsa_fp16_overflow 0
		.amdhsa_exception_fp_ieee_invalid_op 0
		.amdhsa_exception_fp_denorm_src 0
		.amdhsa_exception_fp_ieee_div_zero 0
		.amdhsa_exception_fp_ieee_overflow 0
		.amdhsa_exception_fp_ieee_underflow 0
		.amdhsa_exception_fp_ieee_inexact 0
		.amdhsa_exception_int_div_zero 0
	.end_amdhsa_kernel
	.section	.text._ZL37rocblas_syrkx_herkx_restricted_kernelIldLi16ELi32ELi8ELi1ELin1ELb0ELc67ELc85EKddEviT_PT9_S1_lS3_S1_lPT10_S1_li,"axG",@progbits,_ZL37rocblas_syrkx_herkx_restricted_kernelIldLi16ELi32ELi8ELi1ELin1ELb0ELc67ELc85EKddEviT_PT9_S1_lS3_S1_lPT10_S1_li,comdat
.Lfunc_end1013:
	.size	_ZL37rocblas_syrkx_herkx_restricted_kernelIldLi16ELi32ELi8ELi1ELin1ELb0ELc67ELc85EKddEviT_PT9_S1_lS3_S1_lPT10_S1_li, .Lfunc_end1013-_ZL37rocblas_syrkx_herkx_restricted_kernelIldLi16ELi32ELi8ELi1ELin1ELb0ELc67ELc85EKddEviT_PT9_S1_lS3_S1_lPT10_S1_li
                                        ; -- End function
	.set _ZL37rocblas_syrkx_herkx_restricted_kernelIldLi16ELi32ELi8ELi1ELin1ELb0ELc67ELc85EKddEviT_PT9_S1_lS3_S1_lPT10_S1_li.num_vgpr, 36
	.set _ZL37rocblas_syrkx_herkx_restricted_kernelIldLi16ELi32ELi8ELi1ELin1ELb0ELc67ELc85EKddEviT_PT9_S1_lS3_S1_lPT10_S1_li.num_agpr, 0
	.set _ZL37rocblas_syrkx_herkx_restricted_kernelIldLi16ELi32ELi8ELi1ELin1ELb0ELc67ELc85EKddEviT_PT9_S1_lS3_S1_lPT10_S1_li.numbered_sgpr, 28
	.set _ZL37rocblas_syrkx_herkx_restricted_kernelIldLi16ELi32ELi8ELi1ELin1ELb0ELc67ELc85EKddEviT_PT9_S1_lS3_S1_lPT10_S1_li.num_named_barrier, 0
	.set _ZL37rocblas_syrkx_herkx_restricted_kernelIldLi16ELi32ELi8ELi1ELin1ELb0ELc67ELc85EKddEviT_PT9_S1_lS3_S1_lPT10_S1_li.private_seg_size, 0
	.set _ZL37rocblas_syrkx_herkx_restricted_kernelIldLi16ELi32ELi8ELi1ELin1ELb0ELc67ELc85EKddEviT_PT9_S1_lS3_S1_lPT10_S1_li.uses_vcc, 1
	.set _ZL37rocblas_syrkx_herkx_restricted_kernelIldLi16ELi32ELi8ELi1ELin1ELb0ELc67ELc85EKddEviT_PT9_S1_lS3_S1_lPT10_S1_li.uses_flat_scratch, 0
	.set _ZL37rocblas_syrkx_herkx_restricted_kernelIldLi16ELi32ELi8ELi1ELin1ELb0ELc67ELc85EKddEviT_PT9_S1_lS3_S1_lPT10_S1_li.has_dyn_sized_stack, 0
	.set _ZL37rocblas_syrkx_herkx_restricted_kernelIldLi16ELi32ELi8ELi1ELin1ELb0ELc67ELc85EKddEviT_PT9_S1_lS3_S1_lPT10_S1_li.has_recursion, 0
	.set _ZL37rocblas_syrkx_herkx_restricted_kernelIldLi16ELi32ELi8ELi1ELin1ELb0ELc67ELc85EKddEviT_PT9_S1_lS3_S1_lPT10_S1_li.has_indirect_call, 0
	.section	.AMDGPU.csdata,"",@progbits
; Kernel info:
; codeLenInByte = 1392
; TotalNumSgprs: 32
; NumVgprs: 36
; ScratchSize: 0
; MemoryBound: 0
; FloatMode: 240
; IeeeMode: 1
; LDSByteSize: 4096 bytes/workgroup (compile time only)
; SGPRBlocks: 3
; VGPRBlocks: 8
; NumSGPRsForWavesPerEU: 32
; NumVGPRsForWavesPerEU: 36
; Occupancy: 7
; WaveLimiterHint : 1
; COMPUTE_PGM_RSRC2:SCRATCH_EN: 0
; COMPUTE_PGM_RSRC2:USER_SGPR: 6
; COMPUTE_PGM_RSRC2:TRAP_HANDLER: 0
; COMPUTE_PGM_RSRC2:TGID_X_EN: 1
; COMPUTE_PGM_RSRC2:TGID_Y_EN: 1
; COMPUTE_PGM_RSRC2:TGID_Z_EN: 1
; COMPUTE_PGM_RSRC2:TIDIG_COMP_CNT: 1
	.section	.text._ZL37rocblas_syrkx_herkx_restricted_kernelIldLi16ELi32ELi8ELi1ELin1ELb0ELc78ELc85EKddEviT_PT9_S1_lS3_S1_lPT10_S1_li,"axG",@progbits,_ZL37rocblas_syrkx_herkx_restricted_kernelIldLi16ELi32ELi8ELi1ELin1ELb0ELc78ELc85EKddEviT_PT9_S1_lS3_S1_lPT10_S1_li,comdat
	.globl	_ZL37rocblas_syrkx_herkx_restricted_kernelIldLi16ELi32ELi8ELi1ELin1ELb0ELc78ELc85EKddEviT_PT9_S1_lS3_S1_lPT10_S1_li ; -- Begin function _ZL37rocblas_syrkx_herkx_restricted_kernelIldLi16ELi32ELi8ELi1ELin1ELb0ELc78ELc85EKddEviT_PT9_S1_lS3_S1_lPT10_S1_li
	.p2align	8
	.type	_ZL37rocblas_syrkx_herkx_restricted_kernelIldLi16ELi32ELi8ELi1ELin1ELb0ELc78ELc85EKddEviT_PT9_S1_lS3_S1_lPT10_S1_li,@function
_ZL37rocblas_syrkx_herkx_restricted_kernelIldLi16ELi32ELi8ELi1ELin1ELb0ELc78ELc85EKddEviT_PT9_S1_lS3_S1_lPT10_S1_li: ; @_ZL37rocblas_syrkx_herkx_restricted_kernelIldLi16ELi32ELi8ELi1ELin1ELb0ELc78ELc85EKddEviT_PT9_S1_lS3_S1_lPT10_S1_li
; %bb.0:
	s_load_dwordx16 s[12:27], s[4:5], 0x8
	s_lshl_b32 s9, s6, 5
	s_lshl_b32 s10, s7, 5
	s_waitcnt lgkmcnt(0)
	v_cmp_lt_i64_e64 s[0:1], s[12:13], 1
	s_and_b64 vcc, exec, s[0:1]
	s_cbranch_vccnz .LBB1014_3
; %bb.1:
	v_lshl_add_u32 v6, v1, 4, v0
	v_lshrrev_b32_e32 v7, 3, v6
	v_add_u32_e32 v2, s10, v7
	v_and_b32_e32 v5, 7, v0
	v_ashrrev_i32_e32 v3, 31, v2
	v_mad_u64_u32 v[2:3], s[0:1], s22, v5, v[2:3]
	v_lshrrev_b32_e32 v8, 5, v6
	s_mul_i32 s2, s19, s8
	v_mad_u64_u32 v[3:4], s[0:1], s23, v5, v[3:4]
	v_and_b32_e32 v4, 31, v6
	v_lshlrev_b32_e32 v5, 3, v5
	v_lshlrev_b32_e32 v6, 3, v4
	v_lshl_or_b32 v5, v7, 6, v5
	v_add_u32_e32 v4, s9, v4
	v_add_u32_e32 v15, 0x800, v5
	v_ashrrev_i32_e32 v5, 31, v4
	v_mad_u64_u32 v[4:5], s[0:1], s16, v8, v[4:5]
	v_lshl_or_b32 v14, v8, 8, v6
	v_mov_b32_e32 v6, 0x800
	v_lshl_add_u32 v17, v1, 6, v6
	v_mad_u64_u32 v[5:6], s[0:1], s17, v8, v[5:6]
	s_mul_hi_u32 s3, s18, s8
	s_add_i32 s1, s3, s2
	s_mul_i32 s0, s18, s8
	s_lshl_b64 s[0:1], s[0:1], 3
	v_lshlrev_b64 v[4:5], 3, v[4:5]
	s_add_u32 s0, s14, s0
	s_mul_i32 s2, s25, s8
	s_mul_hi_u32 s3, s24, s8
	s_addc_u32 s1, s15, s1
	s_add_i32 s3, s3, s2
	s_mul_i32 s2, s24, s8
	v_mov_b32_e32 v6, s1
	v_add_co_u32_e32 v4, vcc, s0, v4
	s_lshl_b64 s[0:1], s[16:17], 6
	s_lshl_b64 s[2:3], s[2:3], 3
	v_lshlrev_b64 v[2:3], 3, v[2:3]
	s_add_u32 s2, s20, s2
	v_addc_co_u32_e32 v5, vcc, v6, v5, vcc
	s_addc_u32 s3, s21, s3
	v_mov_b32_e32 v6, s3
	v_add_co_u32_e32 v8, vcc, s2, v2
	v_addc_co_u32_e32 v9, vcc, v6, v3, vcc
	s_lshl_b64 s[2:3], s[22:23], 6
	v_mov_b32_e32 v2, 0
	v_mov_b32_e32 v6, 0
	;; [unrolled: 1-line block ×4, first 2 shown]
	v_lshlrev_b32_e32 v16, 3, v0
	v_mov_b32_e32 v3, 0
	s_mov_b64 s[6:7], 0
	v_mov_b32_e32 v18, s1
	v_mov_b32_e32 v7, 0
	;; [unrolled: 1-line block ×5, first 2 shown]
.LBB1014_2:                             ; =>This Inner Loop Header: Depth=1
	global_load_dwordx2 v[20:21], v[4:5], off
	global_load_dwordx2 v[22:23], v[8:9], off
	s_add_u32 s6, s6, 8
	v_add_co_u32_e32 v4, vcc, s0, v4
	v_addc_co_u32_e32 v5, vcc, v5, v18, vcc
	s_addc_u32 s7, s7, 0
	v_add_co_u32_e32 v8, vcc, s2, v8
	v_addc_co_u32_e32 v9, vcc, v9, v19, vcc
	s_waitcnt vmcnt(1)
	ds_write_b64 v14, v[20:21]
	s_waitcnt vmcnt(0)
	ds_write_b64 v15, v[22:23]
	s_waitcnt lgkmcnt(0)
	s_barrier
	ds_read2_b64 v[20:23], v16 offset1:16
	ds_read_b128 v[24:27], v17
	ds_read_b128 v[28:31], v17 offset:16
	s_waitcnt lgkmcnt(1)
	v_fma_f64 v[36:37], v[20:21], v[24:25], v[12:13]
	v_fma_f64 v[24:25], v[22:23], v[24:25], v[10:11]
	ds_read_b128 v[10:13], v17 offset:1024
	ds_read_b128 v[32:35], v17 offset:1040
	s_waitcnt lgkmcnt(1)
	v_fma_f64 v[6:7], v[20:21], v[10:11], v[6:7]
	v_fma_f64 v[2:3], v[22:23], v[10:11], v[2:3]
	ds_read2_b64 v[20:23], v16 offset0:32 offset1:48
	s_waitcnt lgkmcnt(0)
	v_fma_f64 v[36:37], v[20:21], v[26:27], v[36:37]
	v_fma_f64 v[24:25], v[22:23], v[26:27], v[24:25]
	v_fma_f64 v[6:7], v[20:21], v[12:13], v[6:7]
	v_fma_f64 v[2:3], v[22:23], v[12:13], v[2:3]
	ds_read2_b64 v[10:13], v16 offset0:64 offset1:80
	s_waitcnt lgkmcnt(0)
	v_fma_f64 v[20:21], v[10:11], v[28:29], v[36:37]
	v_fma_f64 v[22:23], v[12:13], v[28:29], v[24:25]
	;; [unrolled: 6-line block ×3, first 2 shown]
	ds_read2_b64 v[20:23], v16 offset0:128 offset1:144
	v_fma_f64 v[6:7], v[10:11], v[34:35], v[6:7]
	v_fma_f64 v[2:3], v[12:13], v[34:35], v[2:3]
	ds_read_b128 v[10:13], v17 offset:32
	ds_read_b128 v[24:27], v17 offset:48
	s_waitcnt lgkmcnt(1)
	v_fma_f64 v[36:37], v[20:21], v[10:11], v[28:29]
	v_fma_f64 v[10:11], v[22:23], v[10:11], v[30:31]
	ds_read_b128 v[28:31], v17 offset:1056
	ds_read_b128 v[32:35], v17 offset:1072
	s_waitcnt lgkmcnt(1)
	v_fma_f64 v[6:7], v[20:21], v[28:29], v[6:7]
	v_fma_f64 v[2:3], v[22:23], v[28:29], v[2:3]
	ds_read2_b64 v[20:23], v16 offset0:160 offset1:176
	s_waitcnt lgkmcnt(0)
	v_fma_f64 v[28:29], v[20:21], v[12:13], v[36:37]
	v_fma_f64 v[36:37], v[22:23], v[12:13], v[10:11]
	;; [unrolled: 1-line block ×4, first 2 shown]
	ds_read2_b64 v[10:13], v16 offset0:192 offset1:208
	ds_read2_b64 v[20:23], v16 offset0:224 offset1:240
	v_mov_b32_e32 v31, s7
	v_mov_b32_e32 v30, s6
	v_cmp_le_u64_e32 vcc, s[12:13], v[30:31]
	s_waitcnt lgkmcnt(1)
	v_fma_f64 v[28:29], v[10:11], v[24:25], v[28:29]
	v_fma_f64 v[24:25], v[12:13], v[24:25], v[36:37]
	;; [unrolled: 1-line block ×4, first 2 shown]
	s_and_b64 vcc, exec, vcc
	s_waitcnt lgkmcnt(0)
	s_barrier
	v_fma_f64 v[12:13], v[20:21], v[26:27], v[28:29]
	v_fma_f64 v[10:11], v[22:23], v[26:27], v[24:25]
	;; [unrolled: 1-line block ×4, first 2 shown]
	s_cbranch_vccz .LBB1014_2
	s_branch .LBB1014_4
.LBB1014_3:
	v_mov_b32_e32 v12, 0
	v_mov_b32_e32 v10, 0
	;; [unrolled: 1-line block ×8, first 2 shown]
.LBB1014_4:
	s_load_dwordx4 s[12:15], s[4:5], 0x48
	s_load_dword s6, s[4:5], 0x0
	v_add_u32_e32 v8, s10, v1
	v_ashrrev_i32_e32 v1, 31, v8
	v_add_u32_e32 v0, s9, v0
	s_waitcnt lgkmcnt(0)
	s_mul_i32 s1, s15, s8
	s_mul_hi_u32 s2, s14, s8
	s_add_i32 s1, s2, s1
	v_mul_lo_u32 v1, s12, v1
	v_mul_lo_u32 v9, s13, v8
	v_mad_u64_u32 v[4:5], s[2:3], s12, v8, 0
	s_mul_i32 s0, s14, s8
	s_lshl_b64 s[0:1], s[0:1], 3
	v_add3_u32 v5, v5, v1, v9
	s_add_u32 s4, s26, s0
	v_lshlrev_b64 v[4:5], 3, v[4:5]
	s_addc_u32 s5, s27, s1
	v_mov_b32_e32 v1, s5
	v_add_co_u32_e64 v9, s[0:1], s4, v4
	v_addc_co_u32_e64 v14, s[0:1], v1, v5, s[0:1]
	v_cmp_gt_i32_e32 vcc, s6, v8
	v_cmp_le_i32_e64 s[0:1], v0, v8
	s_and_b64 s[0:1], vcc, s[0:1]
	s_and_saveexec_b64 s[2:3], s[0:1]
	s_cbranch_execz .LBB1014_6
; %bb.5:
	v_ashrrev_i32_e32 v1, 31, v0
	v_lshlrev_b64 v[4:5], 3, v[0:1]
	v_add_co_u32_e64 v4, s[0:1], v9, v4
	v_addc_co_u32_e64 v5, s[0:1], v14, v5, s[0:1]
	global_load_dwordx2 v[15:16], v[4:5], off
	s_waitcnt vmcnt(0)
	v_add_f64 v[12:13], v[12:13], -v[15:16]
	global_store_dwordx2 v[4:5], v[12:13], off
.LBB1014_6:
	s_or_b64 exec, exec, s[2:3]
	v_add_u32_e32 v4, 16, v0
	v_cmp_le_i32_e64 s[0:1], v4, v8
	s_and_b64 s[2:3], vcc, s[0:1]
	s_and_saveexec_b64 s[0:1], s[2:3]
	s_cbranch_execz .LBB1014_8
; %bb.7:
	v_ashrrev_i32_e32 v5, 31, v4
	v_lshlrev_b64 v[12:13], 3, v[4:5]
	v_add_co_u32_e32 v12, vcc, v9, v12
	v_addc_co_u32_e32 v13, vcc, v14, v13, vcc
	global_load_dwordx2 v[14:15], v[12:13], off
	s_waitcnt vmcnt(0)
	v_add_f64 v[9:10], v[10:11], -v[14:15]
	global_store_dwordx2 v[12:13], v[9:10], off
.LBB1014_8:
	s_or_b64 exec, exec, s[0:1]
	v_add_u32_e32 v5, 16, v8
	v_ashrrev_i32_e32 v1, 31, v5
	v_mul_lo_u32 v1, s12, v1
	v_mul_lo_u32 v10, s13, v5
	v_mad_u64_u32 v[8:9], s[0:1], s12, v5, 0
	v_cmp_gt_i32_e32 vcc, s6, v5
	v_add3_u32 v9, v9, v1, v10
	v_lshlrev_b64 v[8:9], 3, v[8:9]
	v_mov_b32_e32 v1, s5
	v_add_co_u32_e64 v8, s[0:1], s4, v8
	v_addc_co_u32_e64 v9, s[0:1], v1, v9, s[0:1]
	v_cmp_le_i32_e64 s[0:1], v0, v5
	s_and_b64 s[0:1], vcc, s[0:1]
	s_and_saveexec_b64 s[2:3], s[0:1]
	s_cbranch_execz .LBB1014_10
; %bb.9:
	v_ashrrev_i32_e32 v1, 31, v0
	v_lshlrev_b64 v[0:1], 3, v[0:1]
	v_add_co_u32_e64 v0, s[0:1], v8, v0
	v_addc_co_u32_e64 v1, s[0:1], v9, v1, s[0:1]
	global_load_dwordx2 v[10:11], v[0:1], off
	s_waitcnt vmcnt(0)
	v_add_f64 v[6:7], v[6:7], -v[10:11]
	global_store_dwordx2 v[0:1], v[6:7], off
.LBB1014_10:
	s_or_b64 exec, exec, s[2:3]
	v_cmp_le_i32_e64 s[0:1], v4, v5
	s_and_b64 s[0:1], vcc, s[0:1]
	s_and_saveexec_b64 s[2:3], s[0:1]
	s_cbranch_execz .LBB1014_12
; %bb.11:
	v_ashrrev_i32_e32 v5, 31, v4
	v_lshlrev_b64 v[0:1], 3, v[4:5]
	v_add_co_u32_e32 v0, vcc, v8, v0
	v_addc_co_u32_e32 v1, vcc, v9, v1, vcc
	global_load_dwordx2 v[4:5], v[0:1], off
	s_waitcnt vmcnt(0)
	v_add_f64 v[2:3], v[2:3], -v[4:5]
	global_store_dwordx2 v[0:1], v[2:3], off
.LBB1014_12:
	s_endpgm
	.section	.rodata,"a",@progbits
	.p2align	6, 0x0
	.amdhsa_kernel _ZL37rocblas_syrkx_herkx_restricted_kernelIldLi16ELi32ELi8ELi1ELin1ELb0ELc78ELc85EKddEviT_PT9_S1_lS3_S1_lPT10_S1_li
		.amdhsa_group_segment_fixed_size 4096
		.amdhsa_private_segment_fixed_size 0
		.amdhsa_kernarg_size 92
		.amdhsa_user_sgpr_count 6
		.amdhsa_user_sgpr_private_segment_buffer 1
		.amdhsa_user_sgpr_dispatch_ptr 0
		.amdhsa_user_sgpr_queue_ptr 0
		.amdhsa_user_sgpr_kernarg_segment_ptr 1
		.amdhsa_user_sgpr_dispatch_id 0
		.amdhsa_user_sgpr_flat_scratch_init 0
		.amdhsa_user_sgpr_private_segment_size 0
		.amdhsa_uses_dynamic_stack 0
		.amdhsa_system_sgpr_private_segment_wavefront_offset 0
		.amdhsa_system_sgpr_workgroup_id_x 1
		.amdhsa_system_sgpr_workgroup_id_y 1
		.amdhsa_system_sgpr_workgroup_id_z 1
		.amdhsa_system_sgpr_workgroup_info 0
		.amdhsa_system_vgpr_workitem_id 1
		.amdhsa_next_free_vgpr 38
		.amdhsa_next_free_sgpr 28
		.amdhsa_reserve_vcc 1
		.amdhsa_reserve_flat_scratch 0
		.amdhsa_float_round_mode_32 0
		.amdhsa_float_round_mode_16_64 0
		.amdhsa_float_denorm_mode_32 3
		.amdhsa_float_denorm_mode_16_64 3
		.amdhsa_dx10_clamp 1
		.amdhsa_ieee_mode 1
		.amdhsa_fp16_overflow 0
		.amdhsa_exception_fp_ieee_invalid_op 0
		.amdhsa_exception_fp_denorm_src 0
		.amdhsa_exception_fp_ieee_div_zero 0
		.amdhsa_exception_fp_ieee_overflow 0
		.amdhsa_exception_fp_ieee_underflow 0
		.amdhsa_exception_fp_ieee_inexact 0
		.amdhsa_exception_int_div_zero 0
	.end_amdhsa_kernel
	.section	.text._ZL37rocblas_syrkx_herkx_restricted_kernelIldLi16ELi32ELi8ELi1ELin1ELb0ELc78ELc85EKddEviT_PT9_S1_lS3_S1_lPT10_S1_li,"axG",@progbits,_ZL37rocblas_syrkx_herkx_restricted_kernelIldLi16ELi32ELi8ELi1ELin1ELb0ELc78ELc85EKddEviT_PT9_S1_lS3_S1_lPT10_S1_li,comdat
.Lfunc_end1014:
	.size	_ZL37rocblas_syrkx_herkx_restricted_kernelIldLi16ELi32ELi8ELi1ELin1ELb0ELc78ELc85EKddEviT_PT9_S1_lS3_S1_lPT10_S1_li, .Lfunc_end1014-_ZL37rocblas_syrkx_herkx_restricted_kernelIldLi16ELi32ELi8ELi1ELin1ELb0ELc78ELc85EKddEviT_PT9_S1_lS3_S1_lPT10_S1_li
                                        ; -- End function
	.set _ZL37rocblas_syrkx_herkx_restricted_kernelIldLi16ELi32ELi8ELi1ELin1ELb0ELc78ELc85EKddEviT_PT9_S1_lS3_S1_lPT10_S1_li.num_vgpr, 38
	.set _ZL37rocblas_syrkx_herkx_restricted_kernelIldLi16ELi32ELi8ELi1ELin1ELb0ELc78ELc85EKddEviT_PT9_S1_lS3_S1_lPT10_S1_li.num_agpr, 0
	.set _ZL37rocblas_syrkx_herkx_restricted_kernelIldLi16ELi32ELi8ELi1ELin1ELb0ELc78ELc85EKddEviT_PT9_S1_lS3_S1_lPT10_S1_li.numbered_sgpr, 28
	.set _ZL37rocblas_syrkx_herkx_restricted_kernelIldLi16ELi32ELi8ELi1ELin1ELb0ELc78ELc85EKddEviT_PT9_S1_lS3_S1_lPT10_S1_li.num_named_barrier, 0
	.set _ZL37rocblas_syrkx_herkx_restricted_kernelIldLi16ELi32ELi8ELi1ELin1ELb0ELc78ELc85EKddEviT_PT9_S1_lS3_S1_lPT10_S1_li.private_seg_size, 0
	.set _ZL37rocblas_syrkx_herkx_restricted_kernelIldLi16ELi32ELi8ELi1ELin1ELb0ELc78ELc85EKddEviT_PT9_S1_lS3_S1_lPT10_S1_li.uses_vcc, 1
	.set _ZL37rocblas_syrkx_herkx_restricted_kernelIldLi16ELi32ELi8ELi1ELin1ELb0ELc78ELc85EKddEviT_PT9_S1_lS3_S1_lPT10_S1_li.uses_flat_scratch, 0
	.set _ZL37rocblas_syrkx_herkx_restricted_kernelIldLi16ELi32ELi8ELi1ELin1ELb0ELc78ELc85EKddEviT_PT9_S1_lS3_S1_lPT10_S1_li.has_dyn_sized_stack, 0
	.set _ZL37rocblas_syrkx_herkx_restricted_kernelIldLi16ELi32ELi8ELi1ELin1ELb0ELc78ELc85EKddEviT_PT9_S1_lS3_S1_lPT10_S1_li.has_recursion, 0
	.set _ZL37rocblas_syrkx_herkx_restricted_kernelIldLi16ELi32ELi8ELi1ELin1ELb0ELc78ELc85EKddEviT_PT9_S1_lS3_S1_lPT10_S1_li.has_indirect_call, 0
	.section	.AMDGPU.csdata,"",@progbits
; Kernel info:
; codeLenInByte = 1368
; TotalNumSgprs: 32
; NumVgprs: 38
; ScratchSize: 0
; MemoryBound: 0
; FloatMode: 240
; IeeeMode: 1
; LDSByteSize: 4096 bytes/workgroup (compile time only)
; SGPRBlocks: 3
; VGPRBlocks: 9
; NumSGPRsForWavesPerEU: 32
; NumVGPRsForWavesPerEU: 38
; Occupancy: 6
; WaveLimiterHint : 1
; COMPUTE_PGM_RSRC2:SCRATCH_EN: 0
; COMPUTE_PGM_RSRC2:USER_SGPR: 6
; COMPUTE_PGM_RSRC2:TRAP_HANDLER: 0
; COMPUTE_PGM_RSRC2:TGID_X_EN: 1
; COMPUTE_PGM_RSRC2:TGID_Y_EN: 1
; COMPUTE_PGM_RSRC2:TGID_Z_EN: 1
; COMPUTE_PGM_RSRC2:TIDIG_COMP_CNT: 1
	.section	.text._ZL37rocblas_syrkx_herkx_restricted_kernelIldLi16ELi32ELi8ELi1ELi0ELb0ELc84ELc76EKddEviT_PT9_S1_lS3_S1_lPT10_S1_li,"axG",@progbits,_ZL37rocblas_syrkx_herkx_restricted_kernelIldLi16ELi32ELi8ELi1ELi0ELb0ELc84ELc76EKddEviT_PT9_S1_lS3_S1_lPT10_S1_li,comdat
	.globl	_ZL37rocblas_syrkx_herkx_restricted_kernelIldLi16ELi32ELi8ELi1ELi0ELb0ELc84ELc76EKddEviT_PT9_S1_lS3_S1_lPT10_S1_li ; -- Begin function _ZL37rocblas_syrkx_herkx_restricted_kernelIldLi16ELi32ELi8ELi1ELi0ELb0ELc84ELc76EKddEviT_PT9_S1_lS3_S1_lPT10_S1_li
	.p2align	8
	.type	_ZL37rocblas_syrkx_herkx_restricted_kernelIldLi16ELi32ELi8ELi1ELi0ELb0ELc84ELc76EKddEviT_PT9_S1_lS3_S1_lPT10_S1_li,@function
_ZL37rocblas_syrkx_herkx_restricted_kernelIldLi16ELi32ELi8ELi1ELi0ELb0ELc84ELc76EKddEviT_PT9_S1_lS3_S1_lPT10_S1_li: ; @_ZL37rocblas_syrkx_herkx_restricted_kernelIldLi16ELi32ELi8ELi1ELi0ELb0ELc84ELc76EKddEviT_PT9_S1_lS3_S1_lPT10_S1_li
; %bb.0:
	s_load_dwordx16 s[12:27], s[4:5], 0x8
	s_lshl_b32 s2, s6, 5
	s_lshl_b32 s3, s7, 5
	s_waitcnt lgkmcnt(0)
	v_cmp_lt_i64_e64 s[0:1], s[12:13], 1
	s_and_b64 vcc, exec, s[0:1]
	s_cbranch_vccnz .LBB1015_3
; %bb.1:
	v_lshl_add_u32 v4, v1, 4, v0
	v_lshrrev_b32_e32 v8, 3, v4
	v_add_u32_e32 v5, s3, v8
	v_ashrrev_i32_e32 v6, 31, v5
	v_and_b32_e32 v2, 7, v0
	v_mov_b32_e32 v3, 0
	v_mul_lo_u32 v9, s22, v6
	v_mul_lo_u32 v10, s23, v5
	v_mad_u64_u32 v[6:7], s[0:1], s22, v5, v[2:3]
	v_lshlrev_b32_e32 v2, 3, v2
	v_lshl_or_b32 v2, v8, 6, v2
	v_add3_u32 v7, v10, v7, v9
	v_and_b32_e32 v9, 31, v4
	v_add_u32_e32 v15, 0x800, v2
	v_mov_b32_e32 v2, 0x800
	v_add_u32_e32 v8, s2, v9
	v_lshrrev_b32_e32 v4, 5, v4
	v_mov_b32_e32 v5, v3
	v_lshlrev_b32_e32 v3, 3, v9
	v_lshl_add_u32 v17, v1, 6, v2
	v_ashrrev_i32_e32 v2, 31, v8
	v_lshl_or_b32 v14, v4, 8, v3
	v_mul_lo_u32 v9, s16, v2
	v_mad_u64_u32 v[2:3], s[0:1], s16, v8, v[4:5]
	v_mul_lo_u32 v4, s17, v8
	s_mul_i32 s6, s19, s8
	s_mul_hi_u32 s7, s18, s8
	s_add_i32 s1, s7, s6
	s_mul_i32 s0, s18, s8
	s_lshl_b64 s[0:1], s[0:1], 3
	v_add3_u32 v3, v4, v3, v9
	v_lshlrev_b64 v[2:3], 3, v[2:3]
	s_add_u32 s0, s14, s0
	s_addc_u32 s1, s15, s1
	v_mov_b32_e32 v5, s1
	v_add_co_u32_e32 v4, vcc, s0, v2
	s_mul_i32 s0, s25, s8
	s_mul_hi_u32 s1, s24, s8
	s_add_i32 s1, s1, s0
	s_mul_i32 s0, s24, s8
	s_lshl_b64 s[0:1], s[0:1], 3
	v_addc_co_u32_e32 v5, vcc, v5, v3, vcc
	v_lshlrev_b64 v[2:3], 3, v[6:7]
	s_add_u32 s0, s20, s0
	s_addc_u32 s1, s21, s1
	v_mov_b32_e32 v7, s1
	v_add_co_u32_e32 v6, vcc, s0, v2
	v_addc_co_u32_e32 v7, vcc, v7, v3, vcc
	v_mov_b32_e32 v2, 0
	v_mov_b32_e32 v8, 0
	;; [unrolled: 1-line block ×4, first 2 shown]
	v_lshlrev_b32_e32 v16, 3, v0
	v_mov_b32_e32 v3, 0
	v_mov_b32_e32 v9, 0
	;; [unrolled: 1-line block ×4, first 2 shown]
	s_mov_b64 s[0:1], 0
.LBB1015_2:                             ; =>This Inner Loop Header: Depth=1
	global_load_dwordx2 v[18:19], v[4:5], off
	global_load_dwordx2 v[20:21], v[6:7], off
	s_add_u32 s0, s0, 8
	v_add_co_u32_e32 v4, vcc, 64, v4
	v_addc_co_u32_e32 v5, vcc, 0, v5, vcc
	s_addc_u32 s1, s1, 0
	v_add_co_u32_e32 v6, vcc, 64, v6
	v_addc_co_u32_e32 v7, vcc, 0, v7, vcc
	s_waitcnt vmcnt(1)
	ds_write_b64 v14, v[18:19]
	s_waitcnt vmcnt(0)
	ds_write_b64 v15, v[20:21]
	s_waitcnt lgkmcnt(0)
	s_barrier
	ds_read2_b64 v[18:21], v16 offset1:16
	ds_read_b128 v[22:25], v17
	ds_read_b128 v[26:29], v17 offset:1024
	ds_read_b128 v[30:33], v17 offset:16
	s_waitcnt lgkmcnt(2)
	v_fma_f64 v[34:35], v[18:19], v[22:23], v[12:13]
	v_fma_f64 v[22:23], v[20:21], v[22:23], v[10:11]
	s_waitcnt lgkmcnt(1)
	v_fma_f64 v[8:9], v[18:19], v[26:27], v[8:9]
	v_fma_f64 v[2:3], v[20:21], v[26:27], v[2:3]
	ds_read2_b64 v[18:21], v16 offset0:32 offset1:48
	ds_read_b128 v[10:13], v17 offset:1040
	s_waitcnt lgkmcnt(1)
	v_fma_f64 v[26:27], v[18:19], v[24:25], v[34:35]
	v_fma_f64 v[34:35], v[20:21], v[24:25], v[22:23]
	;; [unrolled: 1-line block ×4, first 2 shown]
	ds_read2_b64 v[18:21], v16 offset0:64 offset1:80
	ds_read2_b64 v[22:25], v16 offset0:96 offset1:112
	s_waitcnt lgkmcnt(1)
	v_fma_f64 v[26:27], v[18:19], v[30:31], v[26:27]
	v_fma_f64 v[28:29], v[20:21], v[30:31], v[34:35]
	;; [unrolled: 1-line block ×4, first 2 shown]
	ds_read2_b64 v[8:11], v16 offset0:128 offset1:144
	ds_read_b128 v[18:21], v17 offset:32
	s_waitcnt lgkmcnt(2)
	v_fma_f64 v[34:35], v[22:23], v[32:33], v[26:27]
	v_fma_f64 v[32:33], v[24:25], v[32:33], v[28:29]
	;; [unrolled: 1-line block ×4, first 2 shown]
	ds_read_b128 v[22:25], v17 offset:1056
	ds_read_b128 v[26:29], v17 offset:48
	s_waitcnt lgkmcnt(2)
	v_fma_f64 v[12:13], v[8:9], v[18:19], v[34:35]
	v_fma_f64 v[18:19], v[10:11], v[18:19], v[32:33]
	s_waitcnt lgkmcnt(1)
	v_fma_f64 v[34:35], v[8:9], v[22:23], v[36:37]
	v_fma_f64 v[2:3], v[10:11], v[22:23], v[2:3]
	ds_read2_b64 v[8:11], v16 offset0:160 offset1:176
	ds_read_b128 v[30:33], v17 offset:1072
	v_mov_b32_e32 v23, s1
	v_mov_b32_e32 v22, s0
	v_cmp_le_u64_e32 vcc, s[12:13], v[22:23]
	s_waitcnt lgkmcnt(1)
	v_fma_f64 v[12:13], v[8:9], v[20:21], v[12:13]
	v_fma_f64 v[18:19], v[10:11], v[20:21], v[18:19]
	;; [unrolled: 1-line block ×4, first 2 shown]
	ds_read2_b64 v[8:11], v16 offset0:192 offset1:208
	s_and_b64 vcc, exec, vcc
	s_waitcnt lgkmcnt(0)
	v_fma_f64 v[12:13], v[8:9], v[26:27], v[12:13]
	v_fma_f64 v[24:25], v[10:11], v[26:27], v[18:19]
	;; [unrolled: 1-line block ×4, first 2 shown]
	ds_read2_b64 v[18:21], v16 offset0:224 offset1:240
	s_waitcnt lgkmcnt(0)
	s_barrier
	v_fma_f64 v[12:13], v[18:19], v[28:29], v[12:13]
	v_fma_f64 v[10:11], v[20:21], v[28:29], v[24:25]
	;; [unrolled: 1-line block ×4, first 2 shown]
	s_cbranch_vccz .LBB1015_2
	s_branch .LBB1015_4
.LBB1015_3:
	v_mov_b32_e32 v12, 0
	v_mov_b32_e32 v10, 0
	;; [unrolled: 1-line block ×8, first 2 shown]
.LBB1015_4:
	s_load_dwordx4 s[12:15], s[4:5], 0x48
	s_load_dword s9, s[4:5], 0x0
	v_add_u32_e32 v6, s3, v1
	v_ashrrev_i32_e32 v1, 31, v6
	v_add_u32_e32 v0, s2, v0
	s_waitcnt lgkmcnt(0)
	v_mul_lo_u32 v1, s12, v1
	v_mul_lo_u32 v7, s13, v6
	v_mad_u64_u32 v[4:5], s[4:5], s12, v6, 0
	s_mul_i32 s1, s15, s8
	s_mul_hi_u32 s3, s14, s8
	s_mul_i32 s0, s14, s8
	s_add_i32 s1, s3, s1
	s_lshl_b64 s[0:1], s[0:1], 3
	v_add3_u32 v5, v5, v1, v7
	s_add_u32 s6, s26, s0
	v_lshlrev_b64 v[4:5], 3, v[4:5]
	s_addc_u32 s7, s27, s1
	v_mov_b32_e32 v1, s7
	v_add_co_u32_e32 v7, vcc, s6, v4
	v_addc_co_u32_e32 v14, vcc, v1, v5, vcc
	v_cmp_le_i32_e64 s[0:1], v6, v0
	v_cmp_gt_i32_e32 vcc, s9, v0
	s_and_b64 s[0:1], s[0:1], vcc
	s_and_saveexec_b64 s[2:3], s[0:1]
	s_cbranch_execz .LBB1015_6
; %bb.5:
	v_ashrrev_i32_e32 v1, 31, v0
	v_lshlrev_b64 v[4:5], 3, v[0:1]
	v_add_co_u32_e64 v4, s[0:1], v7, v4
	v_addc_co_u32_e64 v5, s[0:1], v14, v5, s[0:1]
	global_store_dwordx2 v[4:5], v[12:13], off
.LBB1015_6:
	s_or_b64 exec, exec, s[2:3]
	v_add_u32_e32 v4, 16, v0
	v_cmp_le_i32_e64 s[2:3], v6, v4
	v_cmp_gt_i32_e64 s[0:1], s9, v4
	s_and_b64 s[2:3], s[2:3], s[0:1]
	s_and_saveexec_b64 s[4:5], s[2:3]
	s_cbranch_execz .LBB1015_8
; %bb.7:
	v_ashrrev_i32_e32 v5, 31, v4
	v_lshlrev_b64 v[12:13], 3, v[4:5]
	v_add_co_u32_e64 v12, s[2:3], v7, v12
	v_addc_co_u32_e64 v13, s[2:3], v14, v13, s[2:3]
	global_store_dwordx2 v[12:13], v[10:11], off
.LBB1015_8:
	s_or_b64 exec, exec, s[4:5]
	v_add_u32_e32 v5, 16, v6
	v_ashrrev_i32_e32 v1, 31, v5
	v_mul_lo_u32 v10, s13, v5
	v_mad_u64_u32 v[6:7], s[2:3], s12, v5, 0
	v_mul_lo_u32 v1, s12, v1
	v_add3_u32 v7, v7, v1, v10
	v_lshlrev_b64 v[6:7], 3, v[6:7]
	v_mov_b32_e32 v1, s7
	v_add_co_u32_e64 v6, s[2:3], s6, v6
	v_addc_co_u32_e64 v7, s[2:3], v1, v7, s[2:3]
	v_cmp_le_i32_e64 s[2:3], v5, v0
	s_and_b64 s[4:5], s[2:3], vcc
	s_and_saveexec_b64 s[2:3], s[4:5]
	s_cbranch_execz .LBB1015_10
; %bb.9:
	v_ashrrev_i32_e32 v1, 31, v0
	v_lshlrev_b64 v[0:1], 3, v[0:1]
	v_add_co_u32_e32 v0, vcc, v6, v0
	v_addc_co_u32_e32 v1, vcc, v7, v1, vcc
	global_store_dwordx2 v[0:1], v[8:9], off
.LBB1015_10:
	s_or_b64 exec, exec, s[2:3]
	v_cmp_le_i32_e32 vcc, v5, v4
	s_and_b64 s[0:1], vcc, s[0:1]
	s_and_saveexec_b64 s[2:3], s[0:1]
	s_cbranch_execz .LBB1015_12
; %bb.11:
	v_ashrrev_i32_e32 v5, 31, v4
	v_lshlrev_b64 v[0:1], 3, v[4:5]
	v_add_co_u32_e32 v0, vcc, v6, v0
	v_addc_co_u32_e32 v1, vcc, v7, v1, vcc
	global_store_dwordx2 v[0:1], v[2:3], off
.LBB1015_12:
	s_endpgm
	.section	.rodata,"a",@progbits
	.p2align	6, 0x0
	.amdhsa_kernel _ZL37rocblas_syrkx_herkx_restricted_kernelIldLi16ELi32ELi8ELi1ELi0ELb0ELc84ELc76EKddEviT_PT9_S1_lS3_S1_lPT10_S1_li
		.amdhsa_group_segment_fixed_size 4096
		.amdhsa_private_segment_fixed_size 0
		.amdhsa_kernarg_size 92
		.amdhsa_user_sgpr_count 6
		.amdhsa_user_sgpr_private_segment_buffer 1
		.amdhsa_user_sgpr_dispatch_ptr 0
		.amdhsa_user_sgpr_queue_ptr 0
		.amdhsa_user_sgpr_kernarg_segment_ptr 1
		.amdhsa_user_sgpr_dispatch_id 0
		.amdhsa_user_sgpr_flat_scratch_init 0
		.amdhsa_user_sgpr_private_segment_size 0
		.amdhsa_uses_dynamic_stack 0
		.amdhsa_system_sgpr_private_segment_wavefront_offset 0
		.amdhsa_system_sgpr_workgroup_id_x 1
		.amdhsa_system_sgpr_workgroup_id_y 1
		.amdhsa_system_sgpr_workgroup_id_z 1
		.amdhsa_system_sgpr_workgroup_info 0
		.amdhsa_system_vgpr_workitem_id 1
		.amdhsa_next_free_vgpr 38
		.amdhsa_next_free_sgpr 28
		.amdhsa_reserve_vcc 1
		.amdhsa_reserve_flat_scratch 0
		.amdhsa_float_round_mode_32 0
		.amdhsa_float_round_mode_16_64 0
		.amdhsa_float_denorm_mode_32 3
		.amdhsa_float_denorm_mode_16_64 3
		.amdhsa_dx10_clamp 1
		.amdhsa_ieee_mode 1
		.amdhsa_fp16_overflow 0
		.amdhsa_exception_fp_ieee_invalid_op 0
		.amdhsa_exception_fp_denorm_src 0
		.amdhsa_exception_fp_ieee_div_zero 0
		.amdhsa_exception_fp_ieee_overflow 0
		.amdhsa_exception_fp_ieee_underflow 0
		.amdhsa_exception_fp_ieee_inexact 0
		.amdhsa_exception_int_div_zero 0
	.end_amdhsa_kernel
	.section	.text._ZL37rocblas_syrkx_herkx_restricted_kernelIldLi16ELi32ELi8ELi1ELi0ELb0ELc84ELc76EKddEviT_PT9_S1_lS3_S1_lPT10_S1_li,"axG",@progbits,_ZL37rocblas_syrkx_herkx_restricted_kernelIldLi16ELi32ELi8ELi1ELi0ELb0ELc84ELc76EKddEviT_PT9_S1_lS3_S1_lPT10_S1_li,comdat
.Lfunc_end1015:
	.size	_ZL37rocblas_syrkx_herkx_restricted_kernelIldLi16ELi32ELi8ELi1ELi0ELb0ELc84ELc76EKddEviT_PT9_S1_lS3_S1_lPT10_S1_li, .Lfunc_end1015-_ZL37rocblas_syrkx_herkx_restricted_kernelIldLi16ELi32ELi8ELi1ELi0ELb0ELc84ELc76EKddEviT_PT9_S1_lS3_S1_lPT10_S1_li
                                        ; -- End function
	.set _ZL37rocblas_syrkx_herkx_restricted_kernelIldLi16ELi32ELi8ELi1ELi0ELb0ELc84ELc76EKddEviT_PT9_S1_lS3_S1_lPT10_S1_li.num_vgpr, 38
	.set _ZL37rocblas_syrkx_herkx_restricted_kernelIldLi16ELi32ELi8ELi1ELi0ELb0ELc84ELc76EKddEviT_PT9_S1_lS3_S1_lPT10_S1_li.num_agpr, 0
	.set _ZL37rocblas_syrkx_herkx_restricted_kernelIldLi16ELi32ELi8ELi1ELi0ELb0ELc84ELc76EKddEviT_PT9_S1_lS3_S1_lPT10_S1_li.numbered_sgpr, 28
	.set _ZL37rocblas_syrkx_herkx_restricted_kernelIldLi16ELi32ELi8ELi1ELi0ELb0ELc84ELc76EKddEviT_PT9_S1_lS3_S1_lPT10_S1_li.num_named_barrier, 0
	.set _ZL37rocblas_syrkx_herkx_restricted_kernelIldLi16ELi32ELi8ELi1ELi0ELb0ELc84ELc76EKddEviT_PT9_S1_lS3_S1_lPT10_S1_li.private_seg_size, 0
	.set _ZL37rocblas_syrkx_herkx_restricted_kernelIldLi16ELi32ELi8ELi1ELi0ELb0ELc84ELc76EKddEviT_PT9_S1_lS3_S1_lPT10_S1_li.uses_vcc, 1
	.set _ZL37rocblas_syrkx_herkx_restricted_kernelIldLi16ELi32ELi8ELi1ELi0ELb0ELc84ELc76EKddEviT_PT9_S1_lS3_S1_lPT10_S1_li.uses_flat_scratch, 0
	.set _ZL37rocblas_syrkx_herkx_restricted_kernelIldLi16ELi32ELi8ELi1ELi0ELb0ELc84ELc76EKddEviT_PT9_S1_lS3_S1_lPT10_S1_li.has_dyn_sized_stack, 0
	.set _ZL37rocblas_syrkx_herkx_restricted_kernelIldLi16ELi32ELi8ELi1ELi0ELb0ELc84ELc76EKddEviT_PT9_S1_lS3_S1_lPT10_S1_li.has_recursion, 0
	.set _ZL37rocblas_syrkx_herkx_restricted_kernelIldLi16ELi32ELi8ELi1ELi0ELb0ELc84ELc76EKddEviT_PT9_S1_lS3_S1_lPT10_S1_li.has_indirect_call, 0
	.section	.AMDGPU.csdata,"",@progbits
; Kernel info:
; codeLenInByte = 1304
; TotalNumSgprs: 32
; NumVgprs: 38
; ScratchSize: 0
; MemoryBound: 0
; FloatMode: 240
; IeeeMode: 1
; LDSByteSize: 4096 bytes/workgroup (compile time only)
; SGPRBlocks: 3
; VGPRBlocks: 9
; NumSGPRsForWavesPerEU: 32
; NumVGPRsForWavesPerEU: 38
; Occupancy: 6
; WaveLimiterHint : 1
; COMPUTE_PGM_RSRC2:SCRATCH_EN: 0
; COMPUTE_PGM_RSRC2:USER_SGPR: 6
; COMPUTE_PGM_RSRC2:TRAP_HANDLER: 0
; COMPUTE_PGM_RSRC2:TGID_X_EN: 1
; COMPUTE_PGM_RSRC2:TGID_Y_EN: 1
; COMPUTE_PGM_RSRC2:TGID_Z_EN: 1
; COMPUTE_PGM_RSRC2:TIDIG_COMP_CNT: 1
	.section	.text._ZL37rocblas_syrkx_herkx_restricted_kernelIldLi16ELi32ELi8ELi1ELi0ELb0ELc67ELc76EKddEviT_PT9_S1_lS3_S1_lPT10_S1_li,"axG",@progbits,_ZL37rocblas_syrkx_herkx_restricted_kernelIldLi16ELi32ELi8ELi1ELi0ELb0ELc67ELc76EKddEviT_PT9_S1_lS3_S1_lPT10_S1_li,comdat
	.globl	_ZL37rocblas_syrkx_herkx_restricted_kernelIldLi16ELi32ELi8ELi1ELi0ELb0ELc67ELc76EKddEviT_PT9_S1_lS3_S1_lPT10_S1_li ; -- Begin function _ZL37rocblas_syrkx_herkx_restricted_kernelIldLi16ELi32ELi8ELi1ELi0ELb0ELc67ELc76EKddEviT_PT9_S1_lS3_S1_lPT10_S1_li
	.p2align	8
	.type	_ZL37rocblas_syrkx_herkx_restricted_kernelIldLi16ELi32ELi8ELi1ELi0ELb0ELc67ELc76EKddEviT_PT9_S1_lS3_S1_lPT10_S1_li,@function
_ZL37rocblas_syrkx_herkx_restricted_kernelIldLi16ELi32ELi8ELi1ELi0ELb0ELc67ELc76EKddEviT_PT9_S1_lS3_S1_lPT10_S1_li: ; @_ZL37rocblas_syrkx_herkx_restricted_kernelIldLi16ELi32ELi8ELi1ELi0ELb0ELc67ELc76EKddEviT_PT9_S1_lS3_S1_lPT10_S1_li
; %bb.0:
	s_load_dwordx16 s[12:27], s[4:5], 0x8
	s_lshl_b32 s2, s6, 5
	s_lshl_b32 s3, s7, 5
	s_waitcnt lgkmcnt(0)
	v_cmp_lt_i64_e64 s[0:1], s[12:13], 1
	s_and_b64 vcc, exec, s[0:1]
	s_cbranch_vccnz .LBB1016_3
; %bb.1:
	v_lshl_add_u32 v4, v1, 4, v0
	v_lshrrev_b32_e32 v8, 3, v4
	v_add_u32_e32 v5, s3, v8
	v_ashrrev_i32_e32 v6, 31, v5
	v_and_b32_e32 v2, 7, v0
	v_mov_b32_e32 v3, 0
	v_mul_lo_u32 v9, s22, v6
	v_mul_lo_u32 v10, s23, v5
	v_mad_u64_u32 v[6:7], s[0:1], s22, v5, v[2:3]
	v_lshlrev_b32_e32 v2, 3, v2
	v_lshl_or_b32 v2, v8, 6, v2
	v_add3_u32 v7, v10, v7, v9
	v_and_b32_e32 v9, 31, v4
	v_add_u32_e32 v15, 0x800, v2
	v_mov_b32_e32 v2, 0x800
	v_add_u32_e32 v8, s2, v9
	v_lshrrev_b32_e32 v4, 5, v4
	v_mov_b32_e32 v5, v3
	v_lshlrev_b32_e32 v3, 3, v9
	v_lshl_add_u32 v17, v1, 6, v2
	v_ashrrev_i32_e32 v2, 31, v8
	v_lshl_or_b32 v14, v4, 8, v3
	v_mul_lo_u32 v9, s16, v2
	v_mad_u64_u32 v[2:3], s[0:1], s16, v8, v[4:5]
	v_mul_lo_u32 v4, s17, v8
	s_mul_i32 s6, s19, s8
	s_mul_hi_u32 s7, s18, s8
	s_add_i32 s1, s7, s6
	s_mul_i32 s0, s18, s8
	s_lshl_b64 s[0:1], s[0:1], 3
	v_add3_u32 v3, v4, v3, v9
	v_lshlrev_b64 v[2:3], 3, v[2:3]
	s_add_u32 s0, s14, s0
	s_addc_u32 s1, s15, s1
	v_mov_b32_e32 v5, s1
	v_add_co_u32_e32 v4, vcc, s0, v2
	s_mul_i32 s0, s25, s8
	s_mul_hi_u32 s1, s24, s8
	s_add_i32 s1, s1, s0
	s_mul_i32 s0, s24, s8
	s_lshl_b64 s[0:1], s[0:1], 3
	v_addc_co_u32_e32 v5, vcc, v5, v3, vcc
	v_lshlrev_b64 v[2:3], 3, v[6:7]
	s_add_u32 s0, s20, s0
	s_addc_u32 s1, s21, s1
	v_mov_b32_e32 v7, s1
	v_add_co_u32_e32 v6, vcc, s0, v2
	v_addc_co_u32_e32 v7, vcc, v7, v3, vcc
	v_mov_b32_e32 v2, 0
	v_mov_b32_e32 v8, 0
	v_mov_b32_e32 v10, 0
	v_mov_b32_e32 v12, 0
	v_lshlrev_b32_e32 v16, 3, v0
	v_mov_b32_e32 v3, 0
	v_mov_b32_e32 v9, 0
	;; [unrolled: 1-line block ×4, first 2 shown]
	s_mov_b64 s[0:1], 0
.LBB1016_2:                             ; =>This Inner Loop Header: Depth=1
	global_load_dwordx2 v[18:19], v[4:5], off
	global_load_dwordx2 v[20:21], v[6:7], off
	s_add_u32 s0, s0, 8
	v_add_co_u32_e32 v4, vcc, 64, v4
	v_addc_co_u32_e32 v5, vcc, 0, v5, vcc
	s_addc_u32 s1, s1, 0
	v_add_co_u32_e32 v6, vcc, 64, v6
	v_addc_co_u32_e32 v7, vcc, 0, v7, vcc
	s_waitcnt vmcnt(1)
	ds_write_b64 v14, v[18:19]
	s_waitcnt vmcnt(0)
	ds_write_b64 v15, v[20:21]
	s_waitcnt lgkmcnt(0)
	s_barrier
	ds_read2_b64 v[18:21], v16 offset1:16
	ds_read_b128 v[22:25], v17
	ds_read_b128 v[26:29], v17 offset:1024
	ds_read_b128 v[30:33], v17 offset:16
	s_waitcnt lgkmcnt(2)
	v_fma_f64 v[34:35], v[18:19], v[22:23], v[12:13]
	v_fma_f64 v[22:23], v[20:21], v[22:23], v[10:11]
	s_waitcnt lgkmcnt(1)
	v_fma_f64 v[8:9], v[18:19], v[26:27], v[8:9]
	v_fma_f64 v[2:3], v[20:21], v[26:27], v[2:3]
	ds_read2_b64 v[18:21], v16 offset0:32 offset1:48
	ds_read_b128 v[10:13], v17 offset:1040
	s_waitcnt lgkmcnt(1)
	v_fma_f64 v[26:27], v[18:19], v[24:25], v[34:35]
	v_fma_f64 v[34:35], v[20:21], v[24:25], v[22:23]
	;; [unrolled: 1-line block ×4, first 2 shown]
	ds_read2_b64 v[18:21], v16 offset0:64 offset1:80
	ds_read2_b64 v[22:25], v16 offset0:96 offset1:112
	s_waitcnt lgkmcnt(1)
	v_fma_f64 v[26:27], v[18:19], v[30:31], v[26:27]
	v_fma_f64 v[28:29], v[20:21], v[30:31], v[34:35]
	;; [unrolled: 1-line block ×4, first 2 shown]
	ds_read2_b64 v[8:11], v16 offset0:128 offset1:144
	ds_read_b128 v[18:21], v17 offset:32
	s_waitcnt lgkmcnt(2)
	v_fma_f64 v[34:35], v[22:23], v[32:33], v[26:27]
	v_fma_f64 v[32:33], v[24:25], v[32:33], v[28:29]
	;; [unrolled: 1-line block ×4, first 2 shown]
	ds_read_b128 v[22:25], v17 offset:1056
	ds_read_b128 v[26:29], v17 offset:48
	s_waitcnt lgkmcnt(2)
	v_fma_f64 v[12:13], v[8:9], v[18:19], v[34:35]
	v_fma_f64 v[18:19], v[10:11], v[18:19], v[32:33]
	s_waitcnt lgkmcnt(1)
	v_fma_f64 v[34:35], v[8:9], v[22:23], v[36:37]
	v_fma_f64 v[2:3], v[10:11], v[22:23], v[2:3]
	ds_read2_b64 v[8:11], v16 offset0:160 offset1:176
	ds_read_b128 v[30:33], v17 offset:1072
	v_mov_b32_e32 v23, s1
	v_mov_b32_e32 v22, s0
	v_cmp_le_u64_e32 vcc, s[12:13], v[22:23]
	s_waitcnt lgkmcnt(1)
	v_fma_f64 v[12:13], v[8:9], v[20:21], v[12:13]
	v_fma_f64 v[18:19], v[10:11], v[20:21], v[18:19]
	;; [unrolled: 1-line block ×4, first 2 shown]
	ds_read2_b64 v[8:11], v16 offset0:192 offset1:208
	s_and_b64 vcc, exec, vcc
	s_waitcnt lgkmcnt(0)
	v_fma_f64 v[12:13], v[8:9], v[26:27], v[12:13]
	v_fma_f64 v[24:25], v[10:11], v[26:27], v[18:19]
	;; [unrolled: 1-line block ×4, first 2 shown]
	ds_read2_b64 v[18:21], v16 offset0:224 offset1:240
	s_waitcnt lgkmcnt(0)
	s_barrier
	v_fma_f64 v[12:13], v[18:19], v[28:29], v[12:13]
	v_fma_f64 v[10:11], v[20:21], v[28:29], v[24:25]
	;; [unrolled: 1-line block ×4, first 2 shown]
	s_cbranch_vccz .LBB1016_2
	s_branch .LBB1016_4
.LBB1016_3:
	v_mov_b32_e32 v12, 0
	v_mov_b32_e32 v10, 0
	;; [unrolled: 1-line block ×8, first 2 shown]
.LBB1016_4:
	s_load_dwordx4 s[12:15], s[4:5], 0x48
	s_load_dword s9, s[4:5], 0x0
	v_add_u32_e32 v6, s3, v1
	v_ashrrev_i32_e32 v1, 31, v6
	v_add_u32_e32 v0, s2, v0
	s_waitcnt lgkmcnt(0)
	v_mul_lo_u32 v1, s12, v1
	v_mul_lo_u32 v7, s13, v6
	v_mad_u64_u32 v[4:5], s[4:5], s12, v6, 0
	s_mul_i32 s1, s15, s8
	s_mul_hi_u32 s3, s14, s8
	s_mul_i32 s0, s14, s8
	s_add_i32 s1, s3, s1
	s_lshl_b64 s[0:1], s[0:1], 3
	v_add3_u32 v5, v5, v1, v7
	s_add_u32 s6, s26, s0
	v_lshlrev_b64 v[4:5], 3, v[4:5]
	s_addc_u32 s7, s27, s1
	v_mov_b32_e32 v1, s7
	v_add_co_u32_e32 v7, vcc, s6, v4
	v_addc_co_u32_e32 v14, vcc, v1, v5, vcc
	v_cmp_le_i32_e64 s[0:1], v6, v0
	v_cmp_gt_i32_e32 vcc, s9, v0
	s_and_b64 s[0:1], s[0:1], vcc
	s_and_saveexec_b64 s[2:3], s[0:1]
	s_cbranch_execz .LBB1016_6
; %bb.5:
	v_ashrrev_i32_e32 v1, 31, v0
	v_lshlrev_b64 v[4:5], 3, v[0:1]
	v_add_co_u32_e64 v4, s[0:1], v7, v4
	v_addc_co_u32_e64 v5, s[0:1], v14, v5, s[0:1]
	global_store_dwordx2 v[4:5], v[12:13], off
.LBB1016_6:
	s_or_b64 exec, exec, s[2:3]
	v_add_u32_e32 v4, 16, v0
	v_cmp_le_i32_e64 s[2:3], v6, v4
	v_cmp_gt_i32_e64 s[0:1], s9, v4
	s_and_b64 s[2:3], s[2:3], s[0:1]
	s_and_saveexec_b64 s[4:5], s[2:3]
	s_cbranch_execz .LBB1016_8
; %bb.7:
	v_ashrrev_i32_e32 v5, 31, v4
	v_lshlrev_b64 v[12:13], 3, v[4:5]
	v_add_co_u32_e64 v12, s[2:3], v7, v12
	v_addc_co_u32_e64 v13, s[2:3], v14, v13, s[2:3]
	global_store_dwordx2 v[12:13], v[10:11], off
.LBB1016_8:
	s_or_b64 exec, exec, s[4:5]
	v_add_u32_e32 v5, 16, v6
	v_ashrrev_i32_e32 v1, 31, v5
	v_mul_lo_u32 v10, s13, v5
	v_mad_u64_u32 v[6:7], s[2:3], s12, v5, 0
	v_mul_lo_u32 v1, s12, v1
	v_add3_u32 v7, v7, v1, v10
	v_lshlrev_b64 v[6:7], 3, v[6:7]
	v_mov_b32_e32 v1, s7
	v_add_co_u32_e64 v6, s[2:3], s6, v6
	v_addc_co_u32_e64 v7, s[2:3], v1, v7, s[2:3]
	v_cmp_le_i32_e64 s[2:3], v5, v0
	s_and_b64 s[4:5], s[2:3], vcc
	s_and_saveexec_b64 s[2:3], s[4:5]
	s_cbranch_execz .LBB1016_10
; %bb.9:
	v_ashrrev_i32_e32 v1, 31, v0
	v_lshlrev_b64 v[0:1], 3, v[0:1]
	v_add_co_u32_e32 v0, vcc, v6, v0
	v_addc_co_u32_e32 v1, vcc, v7, v1, vcc
	global_store_dwordx2 v[0:1], v[8:9], off
.LBB1016_10:
	s_or_b64 exec, exec, s[2:3]
	v_cmp_le_i32_e32 vcc, v5, v4
	s_and_b64 s[0:1], vcc, s[0:1]
	s_and_saveexec_b64 s[2:3], s[0:1]
	s_cbranch_execz .LBB1016_12
; %bb.11:
	v_ashrrev_i32_e32 v5, 31, v4
	v_lshlrev_b64 v[0:1], 3, v[4:5]
	v_add_co_u32_e32 v0, vcc, v6, v0
	v_addc_co_u32_e32 v1, vcc, v7, v1, vcc
	global_store_dwordx2 v[0:1], v[2:3], off
.LBB1016_12:
	s_endpgm
	.section	.rodata,"a",@progbits
	.p2align	6, 0x0
	.amdhsa_kernel _ZL37rocblas_syrkx_herkx_restricted_kernelIldLi16ELi32ELi8ELi1ELi0ELb0ELc67ELc76EKddEviT_PT9_S1_lS3_S1_lPT10_S1_li
		.amdhsa_group_segment_fixed_size 4096
		.amdhsa_private_segment_fixed_size 0
		.amdhsa_kernarg_size 92
		.amdhsa_user_sgpr_count 6
		.amdhsa_user_sgpr_private_segment_buffer 1
		.amdhsa_user_sgpr_dispatch_ptr 0
		.amdhsa_user_sgpr_queue_ptr 0
		.amdhsa_user_sgpr_kernarg_segment_ptr 1
		.amdhsa_user_sgpr_dispatch_id 0
		.amdhsa_user_sgpr_flat_scratch_init 0
		.amdhsa_user_sgpr_private_segment_size 0
		.amdhsa_uses_dynamic_stack 0
		.amdhsa_system_sgpr_private_segment_wavefront_offset 0
		.amdhsa_system_sgpr_workgroup_id_x 1
		.amdhsa_system_sgpr_workgroup_id_y 1
		.amdhsa_system_sgpr_workgroup_id_z 1
		.amdhsa_system_sgpr_workgroup_info 0
		.amdhsa_system_vgpr_workitem_id 1
		.amdhsa_next_free_vgpr 38
		.amdhsa_next_free_sgpr 28
		.amdhsa_reserve_vcc 1
		.amdhsa_reserve_flat_scratch 0
		.amdhsa_float_round_mode_32 0
		.amdhsa_float_round_mode_16_64 0
		.amdhsa_float_denorm_mode_32 3
		.amdhsa_float_denorm_mode_16_64 3
		.amdhsa_dx10_clamp 1
		.amdhsa_ieee_mode 1
		.amdhsa_fp16_overflow 0
		.amdhsa_exception_fp_ieee_invalid_op 0
		.amdhsa_exception_fp_denorm_src 0
		.amdhsa_exception_fp_ieee_div_zero 0
		.amdhsa_exception_fp_ieee_overflow 0
		.amdhsa_exception_fp_ieee_underflow 0
		.amdhsa_exception_fp_ieee_inexact 0
		.amdhsa_exception_int_div_zero 0
	.end_amdhsa_kernel
	.section	.text._ZL37rocblas_syrkx_herkx_restricted_kernelIldLi16ELi32ELi8ELi1ELi0ELb0ELc67ELc76EKddEviT_PT9_S1_lS3_S1_lPT10_S1_li,"axG",@progbits,_ZL37rocblas_syrkx_herkx_restricted_kernelIldLi16ELi32ELi8ELi1ELi0ELb0ELc67ELc76EKddEviT_PT9_S1_lS3_S1_lPT10_S1_li,comdat
.Lfunc_end1016:
	.size	_ZL37rocblas_syrkx_herkx_restricted_kernelIldLi16ELi32ELi8ELi1ELi0ELb0ELc67ELc76EKddEviT_PT9_S1_lS3_S1_lPT10_S1_li, .Lfunc_end1016-_ZL37rocblas_syrkx_herkx_restricted_kernelIldLi16ELi32ELi8ELi1ELi0ELb0ELc67ELc76EKddEviT_PT9_S1_lS3_S1_lPT10_S1_li
                                        ; -- End function
	.set _ZL37rocblas_syrkx_herkx_restricted_kernelIldLi16ELi32ELi8ELi1ELi0ELb0ELc67ELc76EKddEviT_PT9_S1_lS3_S1_lPT10_S1_li.num_vgpr, 38
	.set _ZL37rocblas_syrkx_herkx_restricted_kernelIldLi16ELi32ELi8ELi1ELi0ELb0ELc67ELc76EKddEviT_PT9_S1_lS3_S1_lPT10_S1_li.num_agpr, 0
	.set _ZL37rocblas_syrkx_herkx_restricted_kernelIldLi16ELi32ELi8ELi1ELi0ELb0ELc67ELc76EKddEviT_PT9_S1_lS3_S1_lPT10_S1_li.numbered_sgpr, 28
	.set _ZL37rocblas_syrkx_herkx_restricted_kernelIldLi16ELi32ELi8ELi1ELi0ELb0ELc67ELc76EKddEviT_PT9_S1_lS3_S1_lPT10_S1_li.num_named_barrier, 0
	.set _ZL37rocblas_syrkx_herkx_restricted_kernelIldLi16ELi32ELi8ELi1ELi0ELb0ELc67ELc76EKddEviT_PT9_S1_lS3_S1_lPT10_S1_li.private_seg_size, 0
	.set _ZL37rocblas_syrkx_herkx_restricted_kernelIldLi16ELi32ELi8ELi1ELi0ELb0ELc67ELc76EKddEviT_PT9_S1_lS3_S1_lPT10_S1_li.uses_vcc, 1
	.set _ZL37rocblas_syrkx_herkx_restricted_kernelIldLi16ELi32ELi8ELi1ELi0ELb0ELc67ELc76EKddEviT_PT9_S1_lS3_S1_lPT10_S1_li.uses_flat_scratch, 0
	.set _ZL37rocblas_syrkx_herkx_restricted_kernelIldLi16ELi32ELi8ELi1ELi0ELb0ELc67ELc76EKddEviT_PT9_S1_lS3_S1_lPT10_S1_li.has_dyn_sized_stack, 0
	.set _ZL37rocblas_syrkx_herkx_restricted_kernelIldLi16ELi32ELi8ELi1ELi0ELb0ELc67ELc76EKddEviT_PT9_S1_lS3_S1_lPT10_S1_li.has_recursion, 0
	.set _ZL37rocblas_syrkx_herkx_restricted_kernelIldLi16ELi32ELi8ELi1ELi0ELb0ELc67ELc76EKddEviT_PT9_S1_lS3_S1_lPT10_S1_li.has_indirect_call, 0
	.section	.AMDGPU.csdata,"",@progbits
; Kernel info:
; codeLenInByte = 1304
; TotalNumSgprs: 32
; NumVgprs: 38
; ScratchSize: 0
; MemoryBound: 0
; FloatMode: 240
; IeeeMode: 1
; LDSByteSize: 4096 bytes/workgroup (compile time only)
; SGPRBlocks: 3
; VGPRBlocks: 9
; NumSGPRsForWavesPerEU: 32
; NumVGPRsForWavesPerEU: 38
; Occupancy: 6
; WaveLimiterHint : 1
; COMPUTE_PGM_RSRC2:SCRATCH_EN: 0
; COMPUTE_PGM_RSRC2:USER_SGPR: 6
; COMPUTE_PGM_RSRC2:TRAP_HANDLER: 0
; COMPUTE_PGM_RSRC2:TGID_X_EN: 1
; COMPUTE_PGM_RSRC2:TGID_Y_EN: 1
; COMPUTE_PGM_RSRC2:TGID_Z_EN: 1
; COMPUTE_PGM_RSRC2:TIDIG_COMP_CNT: 1
	.section	.text._ZL37rocblas_syrkx_herkx_restricted_kernelIldLi16ELi32ELi8ELi1ELi0ELb0ELc78ELc76EKddEviT_PT9_S1_lS3_S1_lPT10_S1_li,"axG",@progbits,_ZL37rocblas_syrkx_herkx_restricted_kernelIldLi16ELi32ELi8ELi1ELi0ELb0ELc78ELc76EKddEviT_PT9_S1_lS3_S1_lPT10_S1_li,comdat
	.globl	_ZL37rocblas_syrkx_herkx_restricted_kernelIldLi16ELi32ELi8ELi1ELi0ELb0ELc78ELc76EKddEviT_PT9_S1_lS3_S1_lPT10_S1_li ; -- Begin function _ZL37rocblas_syrkx_herkx_restricted_kernelIldLi16ELi32ELi8ELi1ELi0ELb0ELc78ELc76EKddEviT_PT9_S1_lS3_S1_lPT10_S1_li
	.p2align	8
	.type	_ZL37rocblas_syrkx_herkx_restricted_kernelIldLi16ELi32ELi8ELi1ELi0ELb0ELc78ELc76EKddEviT_PT9_S1_lS3_S1_lPT10_S1_li,@function
_ZL37rocblas_syrkx_herkx_restricted_kernelIldLi16ELi32ELi8ELi1ELi0ELb0ELc78ELc76EKddEviT_PT9_S1_lS3_S1_lPT10_S1_li: ; @_ZL37rocblas_syrkx_herkx_restricted_kernelIldLi16ELi32ELi8ELi1ELi0ELb0ELc78ELc76EKddEviT_PT9_S1_lS3_S1_lPT10_S1_li
; %bb.0:
	s_load_dwordx16 s[12:27], s[4:5], 0x8
	s_lshl_b32 s9, s6, 5
	s_lshl_b32 s10, s7, 5
	s_waitcnt lgkmcnt(0)
	v_cmp_lt_i64_e64 s[0:1], s[12:13], 1
	s_and_b64 vcc, exec, s[0:1]
	s_cbranch_vccnz .LBB1017_3
; %bb.1:
	v_lshl_add_u32 v6, v1, 4, v0
	v_lshrrev_b32_e32 v7, 3, v6
	v_add_u32_e32 v2, s10, v7
	v_and_b32_e32 v5, 7, v0
	v_ashrrev_i32_e32 v3, 31, v2
	v_mad_u64_u32 v[2:3], s[0:1], s22, v5, v[2:3]
	v_lshrrev_b32_e32 v8, 5, v6
	s_mul_i32 s2, s19, s8
	v_mad_u64_u32 v[3:4], s[0:1], s23, v5, v[3:4]
	v_and_b32_e32 v4, 31, v6
	v_lshlrev_b32_e32 v5, 3, v5
	v_lshlrev_b32_e32 v6, 3, v4
	v_lshl_or_b32 v5, v7, 6, v5
	v_add_u32_e32 v4, s9, v4
	v_add_u32_e32 v15, 0x800, v5
	v_ashrrev_i32_e32 v5, 31, v4
	v_mad_u64_u32 v[4:5], s[0:1], s16, v8, v[4:5]
	v_lshl_or_b32 v14, v8, 8, v6
	v_mov_b32_e32 v6, 0x800
	v_lshl_add_u32 v17, v1, 6, v6
	v_mad_u64_u32 v[5:6], s[0:1], s17, v8, v[5:6]
	s_mul_hi_u32 s3, s18, s8
	s_add_i32 s1, s3, s2
	s_mul_i32 s0, s18, s8
	s_lshl_b64 s[0:1], s[0:1], 3
	v_lshlrev_b64 v[4:5], 3, v[4:5]
	s_add_u32 s0, s14, s0
	s_mul_i32 s2, s25, s8
	s_mul_hi_u32 s3, s24, s8
	s_addc_u32 s1, s15, s1
	s_add_i32 s3, s3, s2
	s_mul_i32 s2, s24, s8
	v_mov_b32_e32 v6, s1
	v_add_co_u32_e32 v4, vcc, s0, v4
	s_lshl_b64 s[0:1], s[16:17], 6
	s_lshl_b64 s[2:3], s[2:3], 3
	v_lshlrev_b64 v[2:3], 3, v[2:3]
	s_add_u32 s2, s20, s2
	v_addc_co_u32_e32 v5, vcc, v6, v5, vcc
	s_addc_u32 s3, s21, s3
	v_mov_b32_e32 v7, s3
	v_add_co_u32_e32 v6, vcc, s2, v2
	v_addc_co_u32_e32 v7, vcc, v7, v3, vcc
	s_lshl_b64 s[2:3], s[22:23], 6
	v_mov_b32_e32 v2, 0
	v_mov_b32_e32 v8, 0
	;; [unrolled: 1-line block ×4, first 2 shown]
	v_lshlrev_b32_e32 v16, 3, v0
	v_mov_b32_e32 v3, 0
	s_mov_b64 s[6:7], 0
	v_mov_b32_e32 v18, s1
	v_mov_b32_e32 v9, 0
	;; [unrolled: 1-line block ×5, first 2 shown]
.LBB1017_2:                             ; =>This Inner Loop Header: Depth=1
	global_load_dwordx2 v[20:21], v[4:5], off
	global_load_dwordx2 v[22:23], v[6:7], off
	s_add_u32 s6, s6, 8
	v_add_co_u32_e32 v4, vcc, s0, v4
	v_addc_co_u32_e32 v5, vcc, v5, v18, vcc
	s_addc_u32 s7, s7, 0
	v_add_co_u32_e32 v6, vcc, s2, v6
	v_addc_co_u32_e32 v7, vcc, v7, v19, vcc
	s_waitcnt vmcnt(1)
	ds_write_b64 v14, v[20:21]
	s_waitcnt vmcnt(0)
	ds_write_b64 v15, v[22:23]
	s_waitcnt lgkmcnt(0)
	s_barrier
	ds_read2_b64 v[20:23], v16 offset1:16
	ds_read_b128 v[24:27], v17
	ds_read_b128 v[28:31], v17 offset:16
	s_waitcnt lgkmcnt(1)
	v_fma_f64 v[36:37], v[20:21], v[24:25], v[12:13]
	v_fma_f64 v[24:25], v[22:23], v[24:25], v[10:11]
	ds_read_b128 v[10:13], v17 offset:1024
	ds_read_b128 v[32:35], v17 offset:1040
	s_waitcnt lgkmcnt(1)
	v_fma_f64 v[20:21], v[20:21], v[10:11], v[8:9]
	v_fma_f64 v[2:3], v[22:23], v[10:11], v[2:3]
	ds_read2_b64 v[8:11], v16 offset0:32 offset1:48
	s_waitcnt lgkmcnt(0)
	v_fma_f64 v[22:23], v[8:9], v[26:27], v[36:37]
	v_fma_f64 v[24:25], v[10:11], v[26:27], v[24:25]
	v_fma_f64 v[20:21], v[8:9], v[12:13], v[20:21]
	v_fma_f64 v[2:3], v[10:11], v[12:13], v[2:3]
	ds_read2_b64 v[8:11], v16 offset0:64 offset1:80
	s_waitcnt lgkmcnt(0)
	v_fma_f64 v[12:13], v[8:9], v[28:29], v[22:23]
	v_fma_f64 v[22:23], v[10:11], v[28:29], v[24:25]
	;; [unrolled: 6-line block ×3, first 2 shown]
	ds_read2_b64 v[20:23], v16 offset0:128 offset1:144
	v_fma_f64 v[36:37], v[8:9], v[34:35], v[24:25]
	v_fma_f64 v[2:3], v[10:11], v[34:35], v[2:3]
	ds_read_b128 v[8:11], v17 offset:32
	ds_read_b128 v[24:27], v17 offset:48
	s_waitcnt lgkmcnt(1)
	v_fma_f64 v[12:13], v[20:21], v[8:9], v[12:13]
	v_fma_f64 v[8:9], v[22:23], v[8:9], v[28:29]
	ds_read_b128 v[28:31], v17 offset:1056
	ds_read_b128 v[32:35], v17 offset:1072
	s_waitcnt lgkmcnt(1)
	v_fma_f64 v[36:37], v[20:21], v[28:29], v[36:37]
	v_fma_f64 v[2:3], v[22:23], v[28:29], v[2:3]
	ds_read2_b64 v[20:23], v16 offset0:160 offset1:176
	s_waitcnt lgkmcnt(0)
	v_fma_f64 v[12:13], v[20:21], v[10:11], v[12:13]
	v_fma_f64 v[28:29], v[22:23], v[10:11], v[8:9]
	;; [unrolled: 1-line block ×4, first 2 shown]
	ds_read2_b64 v[8:11], v16 offset0:192 offset1:208
	v_mov_b32_e32 v31, s7
	v_mov_b32_e32 v30, s6
	v_cmp_le_u64_e32 vcc, s[12:13], v[30:31]
	s_waitcnt lgkmcnt(0)
	v_fma_f64 v[12:13], v[8:9], v[24:25], v[12:13]
	v_fma_f64 v[24:25], v[10:11], v[24:25], v[28:29]
	;; [unrolled: 1-line block ×4, first 2 shown]
	ds_read2_b64 v[20:23], v16 offset0:224 offset1:240
	s_and_b64 vcc, exec, vcc
	s_waitcnt lgkmcnt(0)
	s_barrier
	v_fma_f64 v[12:13], v[20:21], v[26:27], v[12:13]
	v_fma_f64 v[10:11], v[22:23], v[26:27], v[24:25]
	;; [unrolled: 1-line block ×4, first 2 shown]
	s_cbranch_vccz .LBB1017_2
	s_branch .LBB1017_4
.LBB1017_3:
	v_mov_b32_e32 v12, 0
	v_mov_b32_e32 v10, 0
	;; [unrolled: 1-line block ×8, first 2 shown]
.LBB1017_4:
	s_load_dwordx4 s[12:15], s[4:5], 0x48
	s_load_dword s11, s[4:5], 0x0
	v_add_u32_e32 v6, s10, v1
	v_ashrrev_i32_e32 v1, 31, v6
	v_add_u32_e32 v0, s9, v0
	s_waitcnt lgkmcnt(0)
	s_mul_i32 s1, s15, s8
	s_mul_hi_u32 s2, s14, s8
	s_add_i32 s1, s2, s1
	v_mul_lo_u32 v1, s12, v1
	v_mul_lo_u32 v7, s13, v6
	v_mad_u64_u32 v[4:5], s[2:3], s12, v6, 0
	s_mul_i32 s0, s14, s8
	s_lshl_b64 s[0:1], s[0:1], 3
	v_add3_u32 v5, v5, v1, v7
	s_add_u32 s6, s26, s0
	v_lshlrev_b64 v[4:5], 3, v[4:5]
	s_addc_u32 s7, s27, s1
	v_mov_b32_e32 v1, s7
	v_add_co_u32_e32 v7, vcc, s6, v4
	v_addc_co_u32_e32 v14, vcc, v1, v5, vcc
	v_cmp_le_i32_e64 s[0:1], v6, v0
	v_cmp_gt_i32_e32 vcc, s11, v0
	s_and_b64 s[0:1], s[0:1], vcc
	s_and_saveexec_b64 s[2:3], s[0:1]
	s_cbranch_execz .LBB1017_6
; %bb.5:
	v_ashrrev_i32_e32 v1, 31, v0
	v_lshlrev_b64 v[4:5], 3, v[0:1]
	v_add_co_u32_e64 v4, s[0:1], v7, v4
	v_addc_co_u32_e64 v5, s[0:1], v14, v5, s[0:1]
	global_store_dwordx2 v[4:5], v[12:13], off
.LBB1017_6:
	s_or_b64 exec, exec, s[2:3]
	v_add_u32_e32 v4, 16, v0
	v_cmp_le_i32_e64 s[2:3], v6, v4
	v_cmp_gt_i32_e64 s[0:1], s11, v4
	s_and_b64 s[2:3], s[2:3], s[0:1]
	s_and_saveexec_b64 s[4:5], s[2:3]
	s_cbranch_execz .LBB1017_8
; %bb.7:
	v_ashrrev_i32_e32 v5, 31, v4
	v_lshlrev_b64 v[12:13], 3, v[4:5]
	v_add_co_u32_e64 v12, s[2:3], v7, v12
	v_addc_co_u32_e64 v13, s[2:3], v14, v13, s[2:3]
	global_store_dwordx2 v[12:13], v[10:11], off
.LBB1017_8:
	s_or_b64 exec, exec, s[4:5]
	v_add_u32_e32 v5, 16, v6
	v_ashrrev_i32_e32 v1, 31, v5
	v_mul_lo_u32 v10, s13, v5
	v_mad_u64_u32 v[6:7], s[2:3], s12, v5, 0
	v_mul_lo_u32 v1, s12, v1
	v_add3_u32 v7, v7, v1, v10
	v_lshlrev_b64 v[6:7], 3, v[6:7]
	v_mov_b32_e32 v1, s7
	v_add_co_u32_e64 v6, s[2:3], s6, v6
	v_addc_co_u32_e64 v7, s[2:3], v1, v7, s[2:3]
	v_cmp_le_i32_e64 s[2:3], v5, v0
	s_and_b64 s[4:5], s[2:3], vcc
	s_and_saveexec_b64 s[2:3], s[4:5]
	s_cbranch_execz .LBB1017_10
; %bb.9:
	v_ashrrev_i32_e32 v1, 31, v0
	v_lshlrev_b64 v[0:1], 3, v[0:1]
	v_add_co_u32_e32 v0, vcc, v6, v0
	v_addc_co_u32_e32 v1, vcc, v7, v1, vcc
	global_store_dwordx2 v[0:1], v[8:9], off
.LBB1017_10:
	s_or_b64 exec, exec, s[2:3]
	v_cmp_le_i32_e32 vcc, v5, v4
	s_and_b64 s[0:1], vcc, s[0:1]
	s_and_saveexec_b64 s[2:3], s[0:1]
	s_cbranch_execz .LBB1017_12
; %bb.11:
	v_ashrrev_i32_e32 v5, 31, v4
	v_lshlrev_b64 v[0:1], 3, v[4:5]
	v_add_co_u32_e32 v0, vcc, v6, v0
	v_addc_co_u32_e32 v1, vcc, v7, v1, vcc
	global_store_dwordx2 v[0:1], v[2:3], off
.LBB1017_12:
	s_endpgm
	.section	.rodata,"a",@progbits
	.p2align	6, 0x0
	.amdhsa_kernel _ZL37rocblas_syrkx_herkx_restricted_kernelIldLi16ELi32ELi8ELi1ELi0ELb0ELc78ELc76EKddEviT_PT9_S1_lS3_S1_lPT10_S1_li
		.amdhsa_group_segment_fixed_size 4096
		.amdhsa_private_segment_fixed_size 0
		.amdhsa_kernarg_size 92
		.amdhsa_user_sgpr_count 6
		.amdhsa_user_sgpr_private_segment_buffer 1
		.amdhsa_user_sgpr_dispatch_ptr 0
		.amdhsa_user_sgpr_queue_ptr 0
		.amdhsa_user_sgpr_kernarg_segment_ptr 1
		.amdhsa_user_sgpr_dispatch_id 0
		.amdhsa_user_sgpr_flat_scratch_init 0
		.amdhsa_user_sgpr_private_segment_size 0
		.amdhsa_uses_dynamic_stack 0
		.amdhsa_system_sgpr_private_segment_wavefront_offset 0
		.amdhsa_system_sgpr_workgroup_id_x 1
		.amdhsa_system_sgpr_workgroup_id_y 1
		.amdhsa_system_sgpr_workgroup_id_z 1
		.amdhsa_system_sgpr_workgroup_info 0
		.amdhsa_system_vgpr_workitem_id 1
		.amdhsa_next_free_vgpr 38
		.amdhsa_next_free_sgpr 28
		.amdhsa_reserve_vcc 1
		.amdhsa_reserve_flat_scratch 0
		.amdhsa_float_round_mode_32 0
		.amdhsa_float_round_mode_16_64 0
		.amdhsa_float_denorm_mode_32 3
		.amdhsa_float_denorm_mode_16_64 3
		.amdhsa_dx10_clamp 1
		.amdhsa_ieee_mode 1
		.amdhsa_fp16_overflow 0
		.amdhsa_exception_fp_ieee_invalid_op 0
		.amdhsa_exception_fp_denorm_src 0
		.amdhsa_exception_fp_ieee_div_zero 0
		.amdhsa_exception_fp_ieee_overflow 0
		.amdhsa_exception_fp_ieee_underflow 0
		.amdhsa_exception_fp_ieee_inexact 0
		.amdhsa_exception_int_div_zero 0
	.end_amdhsa_kernel
	.section	.text._ZL37rocblas_syrkx_herkx_restricted_kernelIldLi16ELi32ELi8ELi1ELi0ELb0ELc78ELc76EKddEviT_PT9_S1_lS3_S1_lPT10_S1_li,"axG",@progbits,_ZL37rocblas_syrkx_herkx_restricted_kernelIldLi16ELi32ELi8ELi1ELi0ELb0ELc78ELc76EKddEviT_PT9_S1_lS3_S1_lPT10_S1_li,comdat
.Lfunc_end1017:
	.size	_ZL37rocblas_syrkx_herkx_restricted_kernelIldLi16ELi32ELi8ELi1ELi0ELb0ELc78ELc76EKddEviT_PT9_S1_lS3_S1_lPT10_S1_li, .Lfunc_end1017-_ZL37rocblas_syrkx_herkx_restricted_kernelIldLi16ELi32ELi8ELi1ELi0ELb0ELc78ELc76EKddEviT_PT9_S1_lS3_S1_lPT10_S1_li
                                        ; -- End function
	.set _ZL37rocblas_syrkx_herkx_restricted_kernelIldLi16ELi32ELi8ELi1ELi0ELb0ELc78ELc76EKddEviT_PT9_S1_lS3_S1_lPT10_S1_li.num_vgpr, 38
	.set _ZL37rocblas_syrkx_herkx_restricted_kernelIldLi16ELi32ELi8ELi1ELi0ELb0ELc78ELc76EKddEviT_PT9_S1_lS3_S1_lPT10_S1_li.num_agpr, 0
	.set _ZL37rocblas_syrkx_herkx_restricted_kernelIldLi16ELi32ELi8ELi1ELi0ELb0ELc78ELc76EKddEviT_PT9_S1_lS3_S1_lPT10_S1_li.numbered_sgpr, 28
	.set _ZL37rocblas_syrkx_herkx_restricted_kernelIldLi16ELi32ELi8ELi1ELi0ELb0ELc78ELc76EKddEviT_PT9_S1_lS3_S1_lPT10_S1_li.num_named_barrier, 0
	.set _ZL37rocblas_syrkx_herkx_restricted_kernelIldLi16ELi32ELi8ELi1ELi0ELb0ELc78ELc76EKddEviT_PT9_S1_lS3_S1_lPT10_S1_li.private_seg_size, 0
	.set _ZL37rocblas_syrkx_herkx_restricted_kernelIldLi16ELi32ELi8ELi1ELi0ELb0ELc78ELc76EKddEviT_PT9_S1_lS3_S1_lPT10_S1_li.uses_vcc, 1
	.set _ZL37rocblas_syrkx_herkx_restricted_kernelIldLi16ELi32ELi8ELi1ELi0ELb0ELc78ELc76EKddEviT_PT9_S1_lS3_S1_lPT10_S1_li.uses_flat_scratch, 0
	.set _ZL37rocblas_syrkx_herkx_restricted_kernelIldLi16ELi32ELi8ELi1ELi0ELb0ELc78ELc76EKddEviT_PT9_S1_lS3_S1_lPT10_S1_li.has_dyn_sized_stack, 0
	.set _ZL37rocblas_syrkx_herkx_restricted_kernelIldLi16ELi32ELi8ELi1ELi0ELb0ELc78ELc76EKddEviT_PT9_S1_lS3_S1_lPT10_S1_li.has_recursion, 0
	.set _ZL37rocblas_syrkx_herkx_restricted_kernelIldLi16ELi32ELi8ELi1ELi0ELb0ELc78ELc76EKddEviT_PT9_S1_lS3_S1_lPT10_S1_li.has_indirect_call, 0
	.section	.AMDGPU.csdata,"",@progbits
; Kernel info:
; codeLenInByte = 1280
; TotalNumSgprs: 32
; NumVgprs: 38
; ScratchSize: 0
; MemoryBound: 0
; FloatMode: 240
; IeeeMode: 1
; LDSByteSize: 4096 bytes/workgroup (compile time only)
; SGPRBlocks: 3
; VGPRBlocks: 9
; NumSGPRsForWavesPerEU: 32
; NumVGPRsForWavesPerEU: 38
; Occupancy: 6
; WaveLimiterHint : 1
; COMPUTE_PGM_RSRC2:SCRATCH_EN: 0
; COMPUTE_PGM_RSRC2:USER_SGPR: 6
; COMPUTE_PGM_RSRC2:TRAP_HANDLER: 0
; COMPUTE_PGM_RSRC2:TGID_X_EN: 1
; COMPUTE_PGM_RSRC2:TGID_Y_EN: 1
; COMPUTE_PGM_RSRC2:TGID_Z_EN: 1
; COMPUTE_PGM_RSRC2:TIDIG_COMP_CNT: 1
	.section	.text._ZL37rocblas_syrkx_herkx_restricted_kernelIldLi16ELi32ELi8ELi1ELi0ELb0ELc84ELc85EKddEviT_PT9_S1_lS3_S1_lPT10_S1_li,"axG",@progbits,_ZL37rocblas_syrkx_herkx_restricted_kernelIldLi16ELi32ELi8ELi1ELi0ELb0ELc84ELc85EKddEviT_PT9_S1_lS3_S1_lPT10_S1_li,comdat
	.globl	_ZL37rocblas_syrkx_herkx_restricted_kernelIldLi16ELi32ELi8ELi1ELi0ELb0ELc84ELc85EKddEviT_PT9_S1_lS3_S1_lPT10_S1_li ; -- Begin function _ZL37rocblas_syrkx_herkx_restricted_kernelIldLi16ELi32ELi8ELi1ELi0ELb0ELc84ELc85EKddEviT_PT9_S1_lS3_S1_lPT10_S1_li
	.p2align	8
	.type	_ZL37rocblas_syrkx_herkx_restricted_kernelIldLi16ELi32ELi8ELi1ELi0ELb0ELc84ELc85EKddEviT_PT9_S1_lS3_S1_lPT10_S1_li,@function
_ZL37rocblas_syrkx_herkx_restricted_kernelIldLi16ELi32ELi8ELi1ELi0ELb0ELc84ELc85EKddEviT_PT9_S1_lS3_S1_lPT10_S1_li: ; @_ZL37rocblas_syrkx_herkx_restricted_kernelIldLi16ELi32ELi8ELi1ELi0ELb0ELc84ELc85EKddEviT_PT9_S1_lS3_S1_lPT10_S1_li
; %bb.0:
	s_load_dwordx16 s[12:27], s[4:5], 0x8
	s_lshl_b32 s2, s6, 5
	s_lshl_b32 s3, s7, 5
	s_waitcnt lgkmcnt(0)
	v_cmp_lt_i64_e64 s[0:1], s[12:13], 1
	s_and_b64 vcc, exec, s[0:1]
	s_cbranch_vccnz .LBB1018_3
; %bb.1:
	v_lshl_add_u32 v4, v1, 4, v0
	v_lshrrev_b32_e32 v8, 3, v4
	v_add_u32_e32 v5, s3, v8
	v_ashrrev_i32_e32 v6, 31, v5
	v_and_b32_e32 v2, 7, v0
	v_mov_b32_e32 v3, 0
	v_mul_lo_u32 v9, s22, v6
	v_mul_lo_u32 v10, s23, v5
	v_mad_u64_u32 v[6:7], s[0:1], s22, v5, v[2:3]
	v_lshlrev_b32_e32 v2, 3, v2
	v_lshl_or_b32 v2, v8, 6, v2
	v_add3_u32 v7, v10, v7, v9
	v_and_b32_e32 v9, 31, v4
	v_add_u32_e32 v15, 0x800, v2
	v_mov_b32_e32 v2, 0x800
	v_add_u32_e32 v8, s2, v9
	v_lshrrev_b32_e32 v4, 5, v4
	v_mov_b32_e32 v5, v3
	v_lshlrev_b32_e32 v3, 3, v9
	v_lshl_add_u32 v17, v1, 6, v2
	v_ashrrev_i32_e32 v2, 31, v8
	v_lshl_or_b32 v14, v4, 8, v3
	v_mul_lo_u32 v9, s16, v2
	v_mad_u64_u32 v[2:3], s[0:1], s16, v8, v[4:5]
	v_mul_lo_u32 v4, s17, v8
	s_mul_i32 s6, s19, s8
	s_mul_hi_u32 s7, s18, s8
	s_add_i32 s1, s7, s6
	s_mul_i32 s0, s18, s8
	s_lshl_b64 s[0:1], s[0:1], 3
	v_add3_u32 v3, v4, v3, v9
	v_lshlrev_b64 v[2:3], 3, v[2:3]
	s_add_u32 s0, s14, s0
	s_addc_u32 s1, s15, s1
	v_mov_b32_e32 v5, s1
	v_add_co_u32_e32 v4, vcc, s0, v2
	s_mul_i32 s0, s25, s8
	s_mul_hi_u32 s1, s24, s8
	s_add_i32 s1, s1, s0
	s_mul_i32 s0, s24, s8
	s_lshl_b64 s[0:1], s[0:1], 3
	v_addc_co_u32_e32 v5, vcc, v5, v3, vcc
	v_lshlrev_b64 v[2:3], 3, v[6:7]
	s_add_u32 s0, s20, s0
	s_addc_u32 s1, s21, s1
	v_mov_b32_e32 v7, s1
	v_add_co_u32_e32 v6, vcc, s0, v2
	v_addc_co_u32_e32 v7, vcc, v7, v3, vcc
	v_mov_b32_e32 v2, 0
	v_mov_b32_e32 v8, 0
	;; [unrolled: 1-line block ×4, first 2 shown]
	v_lshlrev_b32_e32 v16, 3, v0
	v_mov_b32_e32 v3, 0
	v_mov_b32_e32 v9, 0
	v_mov_b32_e32 v11, 0
	v_mov_b32_e32 v13, 0
	s_mov_b64 s[0:1], 0
.LBB1018_2:                             ; =>This Inner Loop Header: Depth=1
	global_load_dwordx2 v[18:19], v[4:5], off
	global_load_dwordx2 v[20:21], v[6:7], off
	s_add_u32 s0, s0, 8
	v_add_co_u32_e32 v4, vcc, 64, v4
	v_addc_co_u32_e32 v5, vcc, 0, v5, vcc
	s_addc_u32 s1, s1, 0
	v_add_co_u32_e32 v6, vcc, 64, v6
	v_addc_co_u32_e32 v7, vcc, 0, v7, vcc
	s_waitcnt vmcnt(1)
	ds_write_b64 v14, v[18:19]
	s_waitcnt vmcnt(0)
	ds_write_b64 v15, v[20:21]
	s_waitcnt lgkmcnt(0)
	s_barrier
	ds_read2_b64 v[18:21], v16 offset1:16
	ds_read_b128 v[22:25], v17
	ds_read_b128 v[26:29], v17 offset:1024
	ds_read_b128 v[30:33], v17 offset:16
	s_waitcnt lgkmcnt(2)
	v_fma_f64 v[34:35], v[18:19], v[22:23], v[12:13]
	v_fma_f64 v[22:23], v[20:21], v[22:23], v[10:11]
	s_waitcnt lgkmcnt(1)
	v_fma_f64 v[8:9], v[18:19], v[26:27], v[8:9]
	v_fma_f64 v[2:3], v[20:21], v[26:27], v[2:3]
	ds_read2_b64 v[18:21], v16 offset0:32 offset1:48
	ds_read_b128 v[10:13], v17 offset:1040
	s_waitcnt lgkmcnt(1)
	v_fma_f64 v[26:27], v[18:19], v[24:25], v[34:35]
	v_fma_f64 v[34:35], v[20:21], v[24:25], v[22:23]
	;; [unrolled: 1-line block ×4, first 2 shown]
	ds_read2_b64 v[18:21], v16 offset0:64 offset1:80
	ds_read2_b64 v[22:25], v16 offset0:96 offset1:112
	s_waitcnt lgkmcnt(1)
	v_fma_f64 v[26:27], v[18:19], v[30:31], v[26:27]
	v_fma_f64 v[28:29], v[20:21], v[30:31], v[34:35]
	v_fma_f64 v[30:31], v[18:19], v[10:11], v[8:9]
	v_fma_f64 v[2:3], v[20:21], v[10:11], v[2:3]
	ds_read2_b64 v[8:11], v16 offset0:128 offset1:144
	ds_read_b128 v[18:21], v17 offset:32
	s_waitcnt lgkmcnt(2)
	v_fma_f64 v[34:35], v[22:23], v[32:33], v[26:27]
	v_fma_f64 v[32:33], v[24:25], v[32:33], v[28:29]
	;; [unrolled: 1-line block ×4, first 2 shown]
	ds_read_b128 v[22:25], v17 offset:1056
	ds_read_b128 v[26:29], v17 offset:48
	s_waitcnt lgkmcnt(2)
	v_fma_f64 v[12:13], v[8:9], v[18:19], v[34:35]
	v_fma_f64 v[18:19], v[10:11], v[18:19], v[32:33]
	s_waitcnt lgkmcnt(1)
	v_fma_f64 v[34:35], v[8:9], v[22:23], v[36:37]
	v_fma_f64 v[2:3], v[10:11], v[22:23], v[2:3]
	ds_read2_b64 v[8:11], v16 offset0:160 offset1:176
	ds_read_b128 v[30:33], v17 offset:1072
	v_mov_b32_e32 v23, s1
	v_mov_b32_e32 v22, s0
	v_cmp_le_u64_e32 vcc, s[12:13], v[22:23]
	s_waitcnt lgkmcnt(1)
	v_fma_f64 v[12:13], v[8:9], v[20:21], v[12:13]
	v_fma_f64 v[18:19], v[10:11], v[20:21], v[18:19]
	;; [unrolled: 1-line block ×4, first 2 shown]
	ds_read2_b64 v[8:11], v16 offset0:192 offset1:208
	s_and_b64 vcc, exec, vcc
	s_waitcnt lgkmcnt(0)
	v_fma_f64 v[12:13], v[8:9], v[26:27], v[12:13]
	v_fma_f64 v[24:25], v[10:11], v[26:27], v[18:19]
	;; [unrolled: 1-line block ×4, first 2 shown]
	ds_read2_b64 v[18:21], v16 offset0:224 offset1:240
	s_waitcnt lgkmcnt(0)
	s_barrier
	v_fma_f64 v[12:13], v[18:19], v[28:29], v[12:13]
	v_fma_f64 v[10:11], v[20:21], v[28:29], v[24:25]
	;; [unrolled: 1-line block ×4, first 2 shown]
	s_cbranch_vccz .LBB1018_2
	s_branch .LBB1018_4
.LBB1018_3:
	v_mov_b32_e32 v12, 0
	v_mov_b32_e32 v10, 0
	;; [unrolled: 1-line block ×8, first 2 shown]
.LBB1018_4:
	s_load_dwordx4 s[12:15], s[4:5], 0x48
	s_load_dword s6, s[4:5], 0x0
	v_add_u32_e32 v6, s3, v1
	v_ashrrev_i32_e32 v1, 31, v6
	v_add_u32_e32 v0, s2, v0
	s_waitcnt lgkmcnt(0)
	s_mul_i32 s1, s15, s8
	s_mul_hi_u32 s3, s14, s8
	s_mul_i32 s0, s14, s8
	v_mul_lo_u32 v1, s12, v1
	v_mul_lo_u32 v7, s13, v6
	v_mad_u64_u32 v[4:5], s[8:9], s12, v6, 0
	s_add_i32 s1, s3, s1
	s_lshl_b64 s[0:1], s[0:1], 3
	v_add3_u32 v5, v5, v1, v7
	s_add_u32 s4, s26, s0
	v_lshlrev_b64 v[4:5], 3, v[4:5]
	s_addc_u32 s5, s27, s1
	v_mov_b32_e32 v1, s5
	v_add_co_u32_e64 v7, s[0:1], s4, v4
	v_addc_co_u32_e64 v14, s[0:1], v1, v5, s[0:1]
	v_cmp_gt_i32_e32 vcc, s6, v6
	v_cmp_le_i32_e64 s[0:1], v0, v6
	s_and_b64 s[0:1], vcc, s[0:1]
	s_and_saveexec_b64 s[2:3], s[0:1]
	s_cbranch_execz .LBB1018_6
; %bb.5:
	v_ashrrev_i32_e32 v1, 31, v0
	v_lshlrev_b64 v[4:5], 3, v[0:1]
	v_add_co_u32_e64 v4, s[0:1], v7, v4
	v_addc_co_u32_e64 v5, s[0:1], v14, v5, s[0:1]
	global_store_dwordx2 v[4:5], v[12:13], off
.LBB1018_6:
	s_or_b64 exec, exec, s[2:3]
	v_add_u32_e32 v4, 16, v0
	v_cmp_le_i32_e64 s[0:1], v4, v6
	s_and_b64 s[2:3], vcc, s[0:1]
	s_and_saveexec_b64 s[0:1], s[2:3]
	s_cbranch_execz .LBB1018_8
; %bb.7:
	v_ashrrev_i32_e32 v5, 31, v4
	v_lshlrev_b64 v[12:13], 3, v[4:5]
	v_add_co_u32_e32 v12, vcc, v7, v12
	v_addc_co_u32_e32 v13, vcc, v14, v13, vcc
	global_store_dwordx2 v[12:13], v[10:11], off
.LBB1018_8:
	s_or_b64 exec, exec, s[0:1]
	v_add_u32_e32 v5, 16, v6
	v_ashrrev_i32_e32 v1, 31, v5
	v_mul_lo_u32 v1, s12, v1
	v_mul_lo_u32 v10, s13, v5
	v_mad_u64_u32 v[6:7], s[0:1], s12, v5, 0
	v_cmp_gt_i32_e32 vcc, s6, v5
	v_add3_u32 v7, v7, v1, v10
	v_lshlrev_b64 v[6:7], 3, v[6:7]
	v_mov_b32_e32 v1, s5
	v_add_co_u32_e64 v6, s[0:1], s4, v6
	v_addc_co_u32_e64 v7, s[0:1], v1, v7, s[0:1]
	v_cmp_le_i32_e64 s[0:1], v0, v5
	s_and_b64 s[0:1], vcc, s[0:1]
	s_and_saveexec_b64 s[2:3], s[0:1]
	s_cbranch_execz .LBB1018_10
; %bb.9:
	v_ashrrev_i32_e32 v1, 31, v0
	v_lshlrev_b64 v[0:1], 3, v[0:1]
	v_add_co_u32_e64 v0, s[0:1], v6, v0
	v_addc_co_u32_e64 v1, s[0:1], v7, v1, s[0:1]
	global_store_dwordx2 v[0:1], v[8:9], off
.LBB1018_10:
	s_or_b64 exec, exec, s[2:3]
	v_cmp_le_i32_e64 s[0:1], v4, v5
	s_and_b64 s[0:1], vcc, s[0:1]
	s_and_saveexec_b64 s[2:3], s[0:1]
	s_cbranch_execz .LBB1018_12
; %bb.11:
	v_ashrrev_i32_e32 v5, 31, v4
	v_lshlrev_b64 v[0:1], 3, v[4:5]
	v_add_co_u32_e32 v0, vcc, v6, v0
	v_addc_co_u32_e32 v1, vcc, v7, v1, vcc
	global_store_dwordx2 v[0:1], v[2:3], off
.LBB1018_12:
	s_endpgm
	.section	.rodata,"a",@progbits
	.p2align	6, 0x0
	.amdhsa_kernel _ZL37rocblas_syrkx_herkx_restricted_kernelIldLi16ELi32ELi8ELi1ELi0ELb0ELc84ELc85EKddEviT_PT9_S1_lS3_S1_lPT10_S1_li
		.amdhsa_group_segment_fixed_size 4096
		.amdhsa_private_segment_fixed_size 0
		.amdhsa_kernarg_size 92
		.amdhsa_user_sgpr_count 6
		.amdhsa_user_sgpr_private_segment_buffer 1
		.amdhsa_user_sgpr_dispatch_ptr 0
		.amdhsa_user_sgpr_queue_ptr 0
		.amdhsa_user_sgpr_kernarg_segment_ptr 1
		.amdhsa_user_sgpr_dispatch_id 0
		.amdhsa_user_sgpr_flat_scratch_init 0
		.amdhsa_user_sgpr_private_segment_size 0
		.amdhsa_uses_dynamic_stack 0
		.amdhsa_system_sgpr_private_segment_wavefront_offset 0
		.amdhsa_system_sgpr_workgroup_id_x 1
		.amdhsa_system_sgpr_workgroup_id_y 1
		.amdhsa_system_sgpr_workgroup_id_z 1
		.amdhsa_system_sgpr_workgroup_info 0
		.amdhsa_system_vgpr_workitem_id 1
		.amdhsa_next_free_vgpr 38
		.amdhsa_next_free_sgpr 28
		.amdhsa_reserve_vcc 1
		.amdhsa_reserve_flat_scratch 0
		.amdhsa_float_round_mode_32 0
		.amdhsa_float_round_mode_16_64 0
		.amdhsa_float_denorm_mode_32 3
		.amdhsa_float_denorm_mode_16_64 3
		.amdhsa_dx10_clamp 1
		.amdhsa_ieee_mode 1
		.amdhsa_fp16_overflow 0
		.amdhsa_exception_fp_ieee_invalid_op 0
		.amdhsa_exception_fp_denorm_src 0
		.amdhsa_exception_fp_ieee_div_zero 0
		.amdhsa_exception_fp_ieee_overflow 0
		.amdhsa_exception_fp_ieee_underflow 0
		.amdhsa_exception_fp_ieee_inexact 0
		.amdhsa_exception_int_div_zero 0
	.end_amdhsa_kernel
	.section	.text._ZL37rocblas_syrkx_herkx_restricted_kernelIldLi16ELi32ELi8ELi1ELi0ELb0ELc84ELc85EKddEviT_PT9_S1_lS3_S1_lPT10_S1_li,"axG",@progbits,_ZL37rocblas_syrkx_herkx_restricted_kernelIldLi16ELi32ELi8ELi1ELi0ELb0ELc84ELc85EKddEviT_PT9_S1_lS3_S1_lPT10_S1_li,comdat
.Lfunc_end1018:
	.size	_ZL37rocblas_syrkx_herkx_restricted_kernelIldLi16ELi32ELi8ELi1ELi0ELb0ELc84ELc85EKddEviT_PT9_S1_lS3_S1_lPT10_S1_li, .Lfunc_end1018-_ZL37rocblas_syrkx_herkx_restricted_kernelIldLi16ELi32ELi8ELi1ELi0ELb0ELc84ELc85EKddEviT_PT9_S1_lS3_S1_lPT10_S1_li
                                        ; -- End function
	.set _ZL37rocblas_syrkx_herkx_restricted_kernelIldLi16ELi32ELi8ELi1ELi0ELb0ELc84ELc85EKddEviT_PT9_S1_lS3_S1_lPT10_S1_li.num_vgpr, 38
	.set _ZL37rocblas_syrkx_herkx_restricted_kernelIldLi16ELi32ELi8ELi1ELi0ELb0ELc84ELc85EKddEviT_PT9_S1_lS3_S1_lPT10_S1_li.num_agpr, 0
	.set _ZL37rocblas_syrkx_herkx_restricted_kernelIldLi16ELi32ELi8ELi1ELi0ELb0ELc84ELc85EKddEviT_PT9_S1_lS3_S1_lPT10_S1_li.numbered_sgpr, 28
	.set _ZL37rocblas_syrkx_herkx_restricted_kernelIldLi16ELi32ELi8ELi1ELi0ELb0ELc84ELc85EKddEviT_PT9_S1_lS3_S1_lPT10_S1_li.num_named_barrier, 0
	.set _ZL37rocblas_syrkx_herkx_restricted_kernelIldLi16ELi32ELi8ELi1ELi0ELb0ELc84ELc85EKddEviT_PT9_S1_lS3_S1_lPT10_S1_li.private_seg_size, 0
	.set _ZL37rocblas_syrkx_herkx_restricted_kernelIldLi16ELi32ELi8ELi1ELi0ELb0ELc84ELc85EKddEviT_PT9_S1_lS3_S1_lPT10_S1_li.uses_vcc, 1
	.set _ZL37rocblas_syrkx_herkx_restricted_kernelIldLi16ELi32ELi8ELi1ELi0ELb0ELc84ELc85EKddEviT_PT9_S1_lS3_S1_lPT10_S1_li.uses_flat_scratch, 0
	.set _ZL37rocblas_syrkx_herkx_restricted_kernelIldLi16ELi32ELi8ELi1ELi0ELb0ELc84ELc85EKddEviT_PT9_S1_lS3_S1_lPT10_S1_li.has_dyn_sized_stack, 0
	.set _ZL37rocblas_syrkx_herkx_restricted_kernelIldLi16ELi32ELi8ELi1ELi0ELb0ELc84ELc85EKddEviT_PT9_S1_lS3_S1_lPT10_S1_li.has_recursion, 0
	.set _ZL37rocblas_syrkx_herkx_restricted_kernelIldLi16ELi32ELi8ELi1ELi0ELb0ELc84ELc85EKddEviT_PT9_S1_lS3_S1_lPT10_S1_li.has_indirect_call, 0
	.section	.AMDGPU.csdata,"",@progbits
; Kernel info:
; codeLenInByte = 1312
; TotalNumSgprs: 32
; NumVgprs: 38
; ScratchSize: 0
; MemoryBound: 0
; FloatMode: 240
; IeeeMode: 1
; LDSByteSize: 4096 bytes/workgroup (compile time only)
; SGPRBlocks: 3
; VGPRBlocks: 9
; NumSGPRsForWavesPerEU: 32
; NumVGPRsForWavesPerEU: 38
; Occupancy: 6
; WaveLimiterHint : 1
; COMPUTE_PGM_RSRC2:SCRATCH_EN: 0
; COMPUTE_PGM_RSRC2:USER_SGPR: 6
; COMPUTE_PGM_RSRC2:TRAP_HANDLER: 0
; COMPUTE_PGM_RSRC2:TGID_X_EN: 1
; COMPUTE_PGM_RSRC2:TGID_Y_EN: 1
; COMPUTE_PGM_RSRC2:TGID_Z_EN: 1
; COMPUTE_PGM_RSRC2:TIDIG_COMP_CNT: 1
	.section	.text._ZL37rocblas_syrkx_herkx_restricted_kernelIldLi16ELi32ELi8ELi1ELi0ELb0ELc67ELc85EKddEviT_PT9_S1_lS3_S1_lPT10_S1_li,"axG",@progbits,_ZL37rocblas_syrkx_herkx_restricted_kernelIldLi16ELi32ELi8ELi1ELi0ELb0ELc67ELc85EKddEviT_PT9_S1_lS3_S1_lPT10_S1_li,comdat
	.globl	_ZL37rocblas_syrkx_herkx_restricted_kernelIldLi16ELi32ELi8ELi1ELi0ELb0ELc67ELc85EKddEviT_PT9_S1_lS3_S1_lPT10_S1_li ; -- Begin function _ZL37rocblas_syrkx_herkx_restricted_kernelIldLi16ELi32ELi8ELi1ELi0ELb0ELc67ELc85EKddEviT_PT9_S1_lS3_S1_lPT10_S1_li
	.p2align	8
	.type	_ZL37rocblas_syrkx_herkx_restricted_kernelIldLi16ELi32ELi8ELi1ELi0ELb0ELc67ELc85EKddEviT_PT9_S1_lS3_S1_lPT10_S1_li,@function
_ZL37rocblas_syrkx_herkx_restricted_kernelIldLi16ELi32ELi8ELi1ELi0ELb0ELc67ELc85EKddEviT_PT9_S1_lS3_S1_lPT10_S1_li: ; @_ZL37rocblas_syrkx_herkx_restricted_kernelIldLi16ELi32ELi8ELi1ELi0ELb0ELc67ELc85EKddEviT_PT9_S1_lS3_S1_lPT10_S1_li
; %bb.0:
	s_load_dwordx16 s[12:27], s[4:5], 0x8
	s_lshl_b32 s2, s6, 5
	s_lshl_b32 s3, s7, 5
	s_waitcnt lgkmcnt(0)
	v_cmp_lt_i64_e64 s[0:1], s[12:13], 1
	s_and_b64 vcc, exec, s[0:1]
	s_cbranch_vccnz .LBB1019_3
; %bb.1:
	v_lshl_add_u32 v4, v1, 4, v0
	v_lshrrev_b32_e32 v8, 3, v4
	v_add_u32_e32 v5, s3, v8
	v_ashrrev_i32_e32 v6, 31, v5
	v_and_b32_e32 v2, 7, v0
	v_mov_b32_e32 v3, 0
	v_mul_lo_u32 v9, s22, v6
	v_mul_lo_u32 v10, s23, v5
	v_mad_u64_u32 v[6:7], s[0:1], s22, v5, v[2:3]
	v_lshlrev_b32_e32 v2, 3, v2
	v_lshl_or_b32 v2, v8, 6, v2
	v_add3_u32 v7, v10, v7, v9
	v_and_b32_e32 v9, 31, v4
	v_add_u32_e32 v15, 0x800, v2
	v_mov_b32_e32 v2, 0x800
	v_add_u32_e32 v8, s2, v9
	v_lshrrev_b32_e32 v4, 5, v4
	v_mov_b32_e32 v5, v3
	v_lshlrev_b32_e32 v3, 3, v9
	v_lshl_add_u32 v17, v1, 6, v2
	v_ashrrev_i32_e32 v2, 31, v8
	v_lshl_or_b32 v14, v4, 8, v3
	v_mul_lo_u32 v9, s16, v2
	v_mad_u64_u32 v[2:3], s[0:1], s16, v8, v[4:5]
	v_mul_lo_u32 v4, s17, v8
	s_mul_i32 s6, s19, s8
	s_mul_hi_u32 s7, s18, s8
	s_add_i32 s1, s7, s6
	s_mul_i32 s0, s18, s8
	s_lshl_b64 s[0:1], s[0:1], 3
	v_add3_u32 v3, v4, v3, v9
	v_lshlrev_b64 v[2:3], 3, v[2:3]
	s_add_u32 s0, s14, s0
	s_addc_u32 s1, s15, s1
	v_mov_b32_e32 v5, s1
	v_add_co_u32_e32 v4, vcc, s0, v2
	s_mul_i32 s0, s25, s8
	s_mul_hi_u32 s1, s24, s8
	s_add_i32 s1, s1, s0
	s_mul_i32 s0, s24, s8
	s_lshl_b64 s[0:1], s[0:1], 3
	v_addc_co_u32_e32 v5, vcc, v5, v3, vcc
	v_lshlrev_b64 v[2:3], 3, v[6:7]
	s_add_u32 s0, s20, s0
	s_addc_u32 s1, s21, s1
	v_mov_b32_e32 v7, s1
	v_add_co_u32_e32 v6, vcc, s0, v2
	v_addc_co_u32_e32 v7, vcc, v7, v3, vcc
	v_mov_b32_e32 v2, 0
	v_mov_b32_e32 v8, 0
	;; [unrolled: 1-line block ×4, first 2 shown]
	v_lshlrev_b32_e32 v16, 3, v0
	v_mov_b32_e32 v3, 0
	v_mov_b32_e32 v9, 0
	;; [unrolled: 1-line block ×4, first 2 shown]
	s_mov_b64 s[0:1], 0
.LBB1019_2:                             ; =>This Inner Loop Header: Depth=1
	global_load_dwordx2 v[18:19], v[4:5], off
	global_load_dwordx2 v[20:21], v[6:7], off
	s_add_u32 s0, s0, 8
	v_add_co_u32_e32 v4, vcc, 64, v4
	v_addc_co_u32_e32 v5, vcc, 0, v5, vcc
	s_addc_u32 s1, s1, 0
	v_add_co_u32_e32 v6, vcc, 64, v6
	v_addc_co_u32_e32 v7, vcc, 0, v7, vcc
	s_waitcnt vmcnt(1)
	ds_write_b64 v14, v[18:19]
	s_waitcnt vmcnt(0)
	ds_write_b64 v15, v[20:21]
	s_waitcnt lgkmcnt(0)
	s_barrier
	ds_read2_b64 v[18:21], v16 offset1:16
	ds_read_b128 v[22:25], v17
	ds_read_b128 v[26:29], v17 offset:1024
	ds_read_b128 v[30:33], v17 offset:16
	s_waitcnt lgkmcnt(2)
	v_fma_f64 v[34:35], v[18:19], v[22:23], v[12:13]
	v_fma_f64 v[22:23], v[20:21], v[22:23], v[10:11]
	s_waitcnt lgkmcnt(1)
	v_fma_f64 v[8:9], v[18:19], v[26:27], v[8:9]
	v_fma_f64 v[2:3], v[20:21], v[26:27], v[2:3]
	ds_read2_b64 v[18:21], v16 offset0:32 offset1:48
	ds_read_b128 v[10:13], v17 offset:1040
	s_waitcnt lgkmcnt(1)
	v_fma_f64 v[26:27], v[18:19], v[24:25], v[34:35]
	v_fma_f64 v[34:35], v[20:21], v[24:25], v[22:23]
	;; [unrolled: 1-line block ×4, first 2 shown]
	ds_read2_b64 v[18:21], v16 offset0:64 offset1:80
	ds_read2_b64 v[22:25], v16 offset0:96 offset1:112
	s_waitcnt lgkmcnt(1)
	v_fma_f64 v[26:27], v[18:19], v[30:31], v[26:27]
	v_fma_f64 v[28:29], v[20:21], v[30:31], v[34:35]
	;; [unrolled: 1-line block ×4, first 2 shown]
	ds_read2_b64 v[8:11], v16 offset0:128 offset1:144
	ds_read_b128 v[18:21], v17 offset:32
	s_waitcnt lgkmcnt(2)
	v_fma_f64 v[34:35], v[22:23], v[32:33], v[26:27]
	v_fma_f64 v[32:33], v[24:25], v[32:33], v[28:29]
	;; [unrolled: 1-line block ×4, first 2 shown]
	ds_read_b128 v[22:25], v17 offset:1056
	ds_read_b128 v[26:29], v17 offset:48
	s_waitcnt lgkmcnt(2)
	v_fma_f64 v[12:13], v[8:9], v[18:19], v[34:35]
	v_fma_f64 v[18:19], v[10:11], v[18:19], v[32:33]
	s_waitcnt lgkmcnt(1)
	v_fma_f64 v[34:35], v[8:9], v[22:23], v[36:37]
	v_fma_f64 v[2:3], v[10:11], v[22:23], v[2:3]
	ds_read2_b64 v[8:11], v16 offset0:160 offset1:176
	ds_read_b128 v[30:33], v17 offset:1072
	v_mov_b32_e32 v23, s1
	v_mov_b32_e32 v22, s0
	v_cmp_le_u64_e32 vcc, s[12:13], v[22:23]
	s_waitcnt lgkmcnt(1)
	v_fma_f64 v[12:13], v[8:9], v[20:21], v[12:13]
	v_fma_f64 v[18:19], v[10:11], v[20:21], v[18:19]
	;; [unrolled: 1-line block ×4, first 2 shown]
	ds_read2_b64 v[8:11], v16 offset0:192 offset1:208
	s_and_b64 vcc, exec, vcc
	s_waitcnt lgkmcnt(0)
	v_fma_f64 v[12:13], v[8:9], v[26:27], v[12:13]
	v_fma_f64 v[24:25], v[10:11], v[26:27], v[18:19]
	;; [unrolled: 1-line block ×4, first 2 shown]
	ds_read2_b64 v[18:21], v16 offset0:224 offset1:240
	s_waitcnt lgkmcnt(0)
	s_barrier
	v_fma_f64 v[12:13], v[18:19], v[28:29], v[12:13]
	v_fma_f64 v[10:11], v[20:21], v[28:29], v[24:25]
	;; [unrolled: 1-line block ×4, first 2 shown]
	s_cbranch_vccz .LBB1019_2
	s_branch .LBB1019_4
.LBB1019_3:
	v_mov_b32_e32 v12, 0
	v_mov_b32_e32 v10, 0
	;; [unrolled: 1-line block ×8, first 2 shown]
.LBB1019_4:
	s_load_dwordx4 s[12:15], s[4:5], 0x48
	s_load_dword s6, s[4:5], 0x0
	v_add_u32_e32 v6, s3, v1
	v_ashrrev_i32_e32 v1, 31, v6
	v_add_u32_e32 v0, s2, v0
	s_waitcnt lgkmcnt(0)
	s_mul_i32 s1, s15, s8
	s_mul_hi_u32 s3, s14, s8
	s_mul_i32 s0, s14, s8
	v_mul_lo_u32 v1, s12, v1
	v_mul_lo_u32 v7, s13, v6
	v_mad_u64_u32 v[4:5], s[8:9], s12, v6, 0
	s_add_i32 s1, s3, s1
	s_lshl_b64 s[0:1], s[0:1], 3
	v_add3_u32 v5, v5, v1, v7
	s_add_u32 s4, s26, s0
	v_lshlrev_b64 v[4:5], 3, v[4:5]
	s_addc_u32 s5, s27, s1
	v_mov_b32_e32 v1, s5
	v_add_co_u32_e64 v7, s[0:1], s4, v4
	v_addc_co_u32_e64 v14, s[0:1], v1, v5, s[0:1]
	v_cmp_gt_i32_e32 vcc, s6, v6
	v_cmp_le_i32_e64 s[0:1], v0, v6
	s_and_b64 s[0:1], vcc, s[0:1]
	s_and_saveexec_b64 s[2:3], s[0:1]
	s_cbranch_execz .LBB1019_6
; %bb.5:
	v_ashrrev_i32_e32 v1, 31, v0
	v_lshlrev_b64 v[4:5], 3, v[0:1]
	v_add_co_u32_e64 v4, s[0:1], v7, v4
	v_addc_co_u32_e64 v5, s[0:1], v14, v5, s[0:1]
	global_store_dwordx2 v[4:5], v[12:13], off
.LBB1019_6:
	s_or_b64 exec, exec, s[2:3]
	v_add_u32_e32 v4, 16, v0
	v_cmp_le_i32_e64 s[0:1], v4, v6
	s_and_b64 s[2:3], vcc, s[0:1]
	s_and_saveexec_b64 s[0:1], s[2:3]
	s_cbranch_execz .LBB1019_8
; %bb.7:
	v_ashrrev_i32_e32 v5, 31, v4
	v_lshlrev_b64 v[12:13], 3, v[4:5]
	v_add_co_u32_e32 v12, vcc, v7, v12
	v_addc_co_u32_e32 v13, vcc, v14, v13, vcc
	global_store_dwordx2 v[12:13], v[10:11], off
.LBB1019_8:
	s_or_b64 exec, exec, s[0:1]
	v_add_u32_e32 v5, 16, v6
	v_ashrrev_i32_e32 v1, 31, v5
	v_mul_lo_u32 v1, s12, v1
	v_mul_lo_u32 v10, s13, v5
	v_mad_u64_u32 v[6:7], s[0:1], s12, v5, 0
	v_cmp_gt_i32_e32 vcc, s6, v5
	v_add3_u32 v7, v7, v1, v10
	v_lshlrev_b64 v[6:7], 3, v[6:7]
	v_mov_b32_e32 v1, s5
	v_add_co_u32_e64 v6, s[0:1], s4, v6
	v_addc_co_u32_e64 v7, s[0:1], v1, v7, s[0:1]
	v_cmp_le_i32_e64 s[0:1], v0, v5
	s_and_b64 s[0:1], vcc, s[0:1]
	s_and_saveexec_b64 s[2:3], s[0:1]
	s_cbranch_execz .LBB1019_10
; %bb.9:
	v_ashrrev_i32_e32 v1, 31, v0
	v_lshlrev_b64 v[0:1], 3, v[0:1]
	v_add_co_u32_e64 v0, s[0:1], v6, v0
	v_addc_co_u32_e64 v1, s[0:1], v7, v1, s[0:1]
	global_store_dwordx2 v[0:1], v[8:9], off
.LBB1019_10:
	s_or_b64 exec, exec, s[2:3]
	v_cmp_le_i32_e64 s[0:1], v4, v5
	s_and_b64 s[0:1], vcc, s[0:1]
	s_and_saveexec_b64 s[2:3], s[0:1]
	s_cbranch_execz .LBB1019_12
; %bb.11:
	v_ashrrev_i32_e32 v5, 31, v4
	v_lshlrev_b64 v[0:1], 3, v[4:5]
	v_add_co_u32_e32 v0, vcc, v6, v0
	v_addc_co_u32_e32 v1, vcc, v7, v1, vcc
	global_store_dwordx2 v[0:1], v[2:3], off
.LBB1019_12:
	s_endpgm
	.section	.rodata,"a",@progbits
	.p2align	6, 0x0
	.amdhsa_kernel _ZL37rocblas_syrkx_herkx_restricted_kernelIldLi16ELi32ELi8ELi1ELi0ELb0ELc67ELc85EKddEviT_PT9_S1_lS3_S1_lPT10_S1_li
		.amdhsa_group_segment_fixed_size 4096
		.amdhsa_private_segment_fixed_size 0
		.amdhsa_kernarg_size 92
		.amdhsa_user_sgpr_count 6
		.amdhsa_user_sgpr_private_segment_buffer 1
		.amdhsa_user_sgpr_dispatch_ptr 0
		.amdhsa_user_sgpr_queue_ptr 0
		.amdhsa_user_sgpr_kernarg_segment_ptr 1
		.amdhsa_user_sgpr_dispatch_id 0
		.amdhsa_user_sgpr_flat_scratch_init 0
		.amdhsa_user_sgpr_private_segment_size 0
		.amdhsa_uses_dynamic_stack 0
		.amdhsa_system_sgpr_private_segment_wavefront_offset 0
		.amdhsa_system_sgpr_workgroup_id_x 1
		.amdhsa_system_sgpr_workgroup_id_y 1
		.amdhsa_system_sgpr_workgroup_id_z 1
		.amdhsa_system_sgpr_workgroup_info 0
		.amdhsa_system_vgpr_workitem_id 1
		.amdhsa_next_free_vgpr 38
		.amdhsa_next_free_sgpr 28
		.amdhsa_reserve_vcc 1
		.amdhsa_reserve_flat_scratch 0
		.amdhsa_float_round_mode_32 0
		.amdhsa_float_round_mode_16_64 0
		.amdhsa_float_denorm_mode_32 3
		.amdhsa_float_denorm_mode_16_64 3
		.amdhsa_dx10_clamp 1
		.amdhsa_ieee_mode 1
		.amdhsa_fp16_overflow 0
		.amdhsa_exception_fp_ieee_invalid_op 0
		.amdhsa_exception_fp_denorm_src 0
		.amdhsa_exception_fp_ieee_div_zero 0
		.amdhsa_exception_fp_ieee_overflow 0
		.amdhsa_exception_fp_ieee_underflow 0
		.amdhsa_exception_fp_ieee_inexact 0
		.amdhsa_exception_int_div_zero 0
	.end_amdhsa_kernel
	.section	.text._ZL37rocblas_syrkx_herkx_restricted_kernelIldLi16ELi32ELi8ELi1ELi0ELb0ELc67ELc85EKddEviT_PT9_S1_lS3_S1_lPT10_S1_li,"axG",@progbits,_ZL37rocblas_syrkx_herkx_restricted_kernelIldLi16ELi32ELi8ELi1ELi0ELb0ELc67ELc85EKddEviT_PT9_S1_lS3_S1_lPT10_S1_li,comdat
.Lfunc_end1019:
	.size	_ZL37rocblas_syrkx_herkx_restricted_kernelIldLi16ELi32ELi8ELi1ELi0ELb0ELc67ELc85EKddEviT_PT9_S1_lS3_S1_lPT10_S1_li, .Lfunc_end1019-_ZL37rocblas_syrkx_herkx_restricted_kernelIldLi16ELi32ELi8ELi1ELi0ELb0ELc67ELc85EKddEviT_PT9_S1_lS3_S1_lPT10_S1_li
                                        ; -- End function
	.set _ZL37rocblas_syrkx_herkx_restricted_kernelIldLi16ELi32ELi8ELi1ELi0ELb0ELc67ELc85EKddEviT_PT9_S1_lS3_S1_lPT10_S1_li.num_vgpr, 38
	.set _ZL37rocblas_syrkx_herkx_restricted_kernelIldLi16ELi32ELi8ELi1ELi0ELb0ELc67ELc85EKddEviT_PT9_S1_lS3_S1_lPT10_S1_li.num_agpr, 0
	.set _ZL37rocblas_syrkx_herkx_restricted_kernelIldLi16ELi32ELi8ELi1ELi0ELb0ELc67ELc85EKddEviT_PT9_S1_lS3_S1_lPT10_S1_li.numbered_sgpr, 28
	.set _ZL37rocblas_syrkx_herkx_restricted_kernelIldLi16ELi32ELi8ELi1ELi0ELb0ELc67ELc85EKddEviT_PT9_S1_lS3_S1_lPT10_S1_li.num_named_barrier, 0
	.set _ZL37rocblas_syrkx_herkx_restricted_kernelIldLi16ELi32ELi8ELi1ELi0ELb0ELc67ELc85EKddEviT_PT9_S1_lS3_S1_lPT10_S1_li.private_seg_size, 0
	.set _ZL37rocblas_syrkx_herkx_restricted_kernelIldLi16ELi32ELi8ELi1ELi0ELb0ELc67ELc85EKddEviT_PT9_S1_lS3_S1_lPT10_S1_li.uses_vcc, 1
	.set _ZL37rocblas_syrkx_herkx_restricted_kernelIldLi16ELi32ELi8ELi1ELi0ELb0ELc67ELc85EKddEviT_PT9_S1_lS3_S1_lPT10_S1_li.uses_flat_scratch, 0
	.set _ZL37rocblas_syrkx_herkx_restricted_kernelIldLi16ELi32ELi8ELi1ELi0ELb0ELc67ELc85EKddEviT_PT9_S1_lS3_S1_lPT10_S1_li.has_dyn_sized_stack, 0
	.set _ZL37rocblas_syrkx_herkx_restricted_kernelIldLi16ELi32ELi8ELi1ELi0ELb0ELc67ELc85EKddEviT_PT9_S1_lS3_S1_lPT10_S1_li.has_recursion, 0
	.set _ZL37rocblas_syrkx_herkx_restricted_kernelIldLi16ELi32ELi8ELi1ELi0ELb0ELc67ELc85EKddEviT_PT9_S1_lS3_S1_lPT10_S1_li.has_indirect_call, 0
	.section	.AMDGPU.csdata,"",@progbits
; Kernel info:
; codeLenInByte = 1312
; TotalNumSgprs: 32
; NumVgprs: 38
; ScratchSize: 0
; MemoryBound: 0
; FloatMode: 240
; IeeeMode: 1
; LDSByteSize: 4096 bytes/workgroup (compile time only)
; SGPRBlocks: 3
; VGPRBlocks: 9
; NumSGPRsForWavesPerEU: 32
; NumVGPRsForWavesPerEU: 38
; Occupancy: 6
; WaveLimiterHint : 1
; COMPUTE_PGM_RSRC2:SCRATCH_EN: 0
; COMPUTE_PGM_RSRC2:USER_SGPR: 6
; COMPUTE_PGM_RSRC2:TRAP_HANDLER: 0
; COMPUTE_PGM_RSRC2:TGID_X_EN: 1
; COMPUTE_PGM_RSRC2:TGID_Y_EN: 1
; COMPUTE_PGM_RSRC2:TGID_Z_EN: 1
; COMPUTE_PGM_RSRC2:TIDIG_COMP_CNT: 1
	.section	.text._ZL37rocblas_syrkx_herkx_restricted_kernelIldLi16ELi32ELi8ELi1ELi0ELb0ELc78ELc85EKddEviT_PT9_S1_lS3_S1_lPT10_S1_li,"axG",@progbits,_ZL37rocblas_syrkx_herkx_restricted_kernelIldLi16ELi32ELi8ELi1ELi0ELb0ELc78ELc85EKddEviT_PT9_S1_lS3_S1_lPT10_S1_li,comdat
	.globl	_ZL37rocblas_syrkx_herkx_restricted_kernelIldLi16ELi32ELi8ELi1ELi0ELb0ELc78ELc85EKddEviT_PT9_S1_lS3_S1_lPT10_S1_li ; -- Begin function _ZL37rocblas_syrkx_herkx_restricted_kernelIldLi16ELi32ELi8ELi1ELi0ELb0ELc78ELc85EKddEviT_PT9_S1_lS3_S1_lPT10_S1_li
	.p2align	8
	.type	_ZL37rocblas_syrkx_herkx_restricted_kernelIldLi16ELi32ELi8ELi1ELi0ELb0ELc78ELc85EKddEviT_PT9_S1_lS3_S1_lPT10_S1_li,@function
_ZL37rocblas_syrkx_herkx_restricted_kernelIldLi16ELi32ELi8ELi1ELi0ELb0ELc78ELc85EKddEviT_PT9_S1_lS3_S1_lPT10_S1_li: ; @_ZL37rocblas_syrkx_herkx_restricted_kernelIldLi16ELi32ELi8ELi1ELi0ELb0ELc78ELc85EKddEviT_PT9_S1_lS3_S1_lPT10_S1_li
; %bb.0:
	s_load_dwordx16 s[12:27], s[4:5], 0x8
	s_lshl_b32 s9, s6, 5
	s_lshl_b32 s10, s7, 5
	s_waitcnt lgkmcnt(0)
	v_cmp_lt_i64_e64 s[0:1], s[12:13], 1
	s_and_b64 vcc, exec, s[0:1]
	s_cbranch_vccnz .LBB1020_3
; %bb.1:
	v_lshl_add_u32 v6, v1, 4, v0
	v_lshrrev_b32_e32 v7, 3, v6
	v_add_u32_e32 v2, s10, v7
	v_and_b32_e32 v5, 7, v0
	v_ashrrev_i32_e32 v3, 31, v2
	v_mad_u64_u32 v[2:3], s[0:1], s22, v5, v[2:3]
	v_lshrrev_b32_e32 v8, 5, v6
	s_mul_i32 s2, s19, s8
	v_mad_u64_u32 v[3:4], s[0:1], s23, v5, v[3:4]
	v_and_b32_e32 v4, 31, v6
	v_lshlrev_b32_e32 v5, 3, v5
	v_lshlrev_b32_e32 v6, 3, v4
	v_lshl_or_b32 v5, v7, 6, v5
	v_add_u32_e32 v4, s9, v4
	v_add_u32_e32 v15, 0x800, v5
	v_ashrrev_i32_e32 v5, 31, v4
	v_mad_u64_u32 v[4:5], s[0:1], s16, v8, v[4:5]
	v_lshl_or_b32 v14, v8, 8, v6
	v_mov_b32_e32 v6, 0x800
	v_lshl_add_u32 v17, v1, 6, v6
	v_mad_u64_u32 v[5:6], s[0:1], s17, v8, v[5:6]
	s_mul_hi_u32 s3, s18, s8
	s_add_i32 s1, s3, s2
	s_mul_i32 s0, s18, s8
	s_lshl_b64 s[0:1], s[0:1], 3
	v_lshlrev_b64 v[4:5], 3, v[4:5]
	s_add_u32 s0, s14, s0
	s_mul_i32 s2, s25, s8
	s_mul_hi_u32 s3, s24, s8
	s_addc_u32 s1, s15, s1
	s_add_i32 s3, s3, s2
	s_mul_i32 s2, s24, s8
	v_mov_b32_e32 v6, s1
	v_add_co_u32_e32 v4, vcc, s0, v4
	s_lshl_b64 s[0:1], s[16:17], 6
	s_lshl_b64 s[2:3], s[2:3], 3
	v_lshlrev_b64 v[2:3], 3, v[2:3]
	s_add_u32 s2, s20, s2
	v_addc_co_u32_e32 v5, vcc, v6, v5, vcc
	s_addc_u32 s3, s21, s3
	v_mov_b32_e32 v7, s3
	v_add_co_u32_e32 v6, vcc, s2, v2
	v_addc_co_u32_e32 v7, vcc, v7, v3, vcc
	s_lshl_b64 s[2:3], s[22:23], 6
	v_mov_b32_e32 v2, 0
	v_mov_b32_e32 v8, 0
	;; [unrolled: 1-line block ×4, first 2 shown]
	v_lshlrev_b32_e32 v16, 3, v0
	v_mov_b32_e32 v3, 0
	s_mov_b64 s[6:7], 0
	v_mov_b32_e32 v18, s1
	v_mov_b32_e32 v9, 0
	;; [unrolled: 1-line block ×5, first 2 shown]
.LBB1020_2:                             ; =>This Inner Loop Header: Depth=1
	global_load_dwordx2 v[20:21], v[4:5], off
	global_load_dwordx2 v[22:23], v[6:7], off
	s_add_u32 s6, s6, 8
	v_add_co_u32_e32 v4, vcc, s0, v4
	v_addc_co_u32_e32 v5, vcc, v5, v18, vcc
	s_addc_u32 s7, s7, 0
	v_add_co_u32_e32 v6, vcc, s2, v6
	v_addc_co_u32_e32 v7, vcc, v7, v19, vcc
	s_waitcnt vmcnt(1)
	ds_write_b64 v14, v[20:21]
	s_waitcnt vmcnt(0)
	ds_write_b64 v15, v[22:23]
	s_waitcnt lgkmcnt(0)
	s_barrier
	ds_read2_b64 v[20:23], v16 offset1:16
	ds_read_b128 v[24:27], v17
	ds_read_b128 v[28:31], v17 offset:16
	s_waitcnt lgkmcnt(1)
	v_fma_f64 v[36:37], v[20:21], v[24:25], v[12:13]
	v_fma_f64 v[24:25], v[22:23], v[24:25], v[10:11]
	ds_read_b128 v[10:13], v17 offset:1024
	ds_read_b128 v[32:35], v17 offset:1040
	s_waitcnt lgkmcnt(1)
	v_fma_f64 v[20:21], v[20:21], v[10:11], v[8:9]
	v_fma_f64 v[2:3], v[22:23], v[10:11], v[2:3]
	ds_read2_b64 v[8:11], v16 offset0:32 offset1:48
	s_waitcnt lgkmcnt(0)
	v_fma_f64 v[22:23], v[8:9], v[26:27], v[36:37]
	v_fma_f64 v[24:25], v[10:11], v[26:27], v[24:25]
	v_fma_f64 v[20:21], v[8:9], v[12:13], v[20:21]
	v_fma_f64 v[2:3], v[10:11], v[12:13], v[2:3]
	ds_read2_b64 v[8:11], v16 offset0:64 offset1:80
	s_waitcnt lgkmcnt(0)
	v_fma_f64 v[12:13], v[8:9], v[28:29], v[22:23]
	v_fma_f64 v[22:23], v[10:11], v[28:29], v[24:25]
	;; [unrolled: 6-line block ×3, first 2 shown]
	ds_read2_b64 v[20:23], v16 offset0:128 offset1:144
	v_fma_f64 v[36:37], v[8:9], v[34:35], v[24:25]
	v_fma_f64 v[2:3], v[10:11], v[34:35], v[2:3]
	ds_read_b128 v[8:11], v17 offset:32
	ds_read_b128 v[24:27], v17 offset:48
	s_waitcnt lgkmcnt(1)
	v_fma_f64 v[12:13], v[20:21], v[8:9], v[12:13]
	v_fma_f64 v[8:9], v[22:23], v[8:9], v[28:29]
	ds_read_b128 v[28:31], v17 offset:1056
	ds_read_b128 v[32:35], v17 offset:1072
	s_waitcnt lgkmcnt(1)
	v_fma_f64 v[36:37], v[20:21], v[28:29], v[36:37]
	v_fma_f64 v[2:3], v[22:23], v[28:29], v[2:3]
	ds_read2_b64 v[20:23], v16 offset0:160 offset1:176
	s_waitcnt lgkmcnt(0)
	v_fma_f64 v[12:13], v[20:21], v[10:11], v[12:13]
	v_fma_f64 v[28:29], v[22:23], v[10:11], v[8:9]
	;; [unrolled: 1-line block ×4, first 2 shown]
	ds_read2_b64 v[8:11], v16 offset0:192 offset1:208
	v_mov_b32_e32 v31, s7
	v_mov_b32_e32 v30, s6
	v_cmp_le_u64_e32 vcc, s[12:13], v[30:31]
	s_waitcnt lgkmcnt(0)
	v_fma_f64 v[12:13], v[8:9], v[24:25], v[12:13]
	v_fma_f64 v[24:25], v[10:11], v[24:25], v[28:29]
	;; [unrolled: 1-line block ×4, first 2 shown]
	ds_read2_b64 v[20:23], v16 offset0:224 offset1:240
	s_and_b64 vcc, exec, vcc
	s_waitcnt lgkmcnt(0)
	s_barrier
	v_fma_f64 v[12:13], v[20:21], v[26:27], v[12:13]
	v_fma_f64 v[10:11], v[22:23], v[26:27], v[24:25]
	;; [unrolled: 1-line block ×4, first 2 shown]
	s_cbranch_vccz .LBB1020_2
	s_branch .LBB1020_4
.LBB1020_3:
	v_mov_b32_e32 v12, 0
	v_mov_b32_e32 v10, 0
	;; [unrolled: 1-line block ×8, first 2 shown]
.LBB1020_4:
	s_load_dwordx4 s[12:15], s[4:5], 0x48
	s_load_dword s6, s[4:5], 0x0
	v_add_u32_e32 v6, s10, v1
	v_ashrrev_i32_e32 v1, 31, v6
	v_add_u32_e32 v0, s9, v0
	s_waitcnt lgkmcnt(0)
	s_mul_i32 s1, s15, s8
	s_mul_hi_u32 s2, s14, s8
	s_add_i32 s1, s2, s1
	v_mul_lo_u32 v1, s12, v1
	v_mul_lo_u32 v7, s13, v6
	v_mad_u64_u32 v[4:5], s[2:3], s12, v6, 0
	s_mul_i32 s0, s14, s8
	s_lshl_b64 s[0:1], s[0:1], 3
	v_add3_u32 v5, v5, v1, v7
	s_add_u32 s4, s26, s0
	v_lshlrev_b64 v[4:5], 3, v[4:5]
	s_addc_u32 s5, s27, s1
	v_mov_b32_e32 v1, s5
	v_add_co_u32_e64 v7, s[0:1], s4, v4
	v_addc_co_u32_e64 v14, s[0:1], v1, v5, s[0:1]
	v_cmp_gt_i32_e32 vcc, s6, v6
	v_cmp_le_i32_e64 s[0:1], v0, v6
	s_and_b64 s[0:1], vcc, s[0:1]
	s_and_saveexec_b64 s[2:3], s[0:1]
	s_cbranch_execz .LBB1020_6
; %bb.5:
	v_ashrrev_i32_e32 v1, 31, v0
	v_lshlrev_b64 v[4:5], 3, v[0:1]
	v_add_co_u32_e64 v4, s[0:1], v7, v4
	v_addc_co_u32_e64 v5, s[0:1], v14, v5, s[0:1]
	global_store_dwordx2 v[4:5], v[12:13], off
.LBB1020_6:
	s_or_b64 exec, exec, s[2:3]
	v_add_u32_e32 v4, 16, v0
	v_cmp_le_i32_e64 s[0:1], v4, v6
	s_and_b64 s[2:3], vcc, s[0:1]
	s_and_saveexec_b64 s[0:1], s[2:3]
	s_cbranch_execz .LBB1020_8
; %bb.7:
	v_ashrrev_i32_e32 v5, 31, v4
	v_lshlrev_b64 v[12:13], 3, v[4:5]
	v_add_co_u32_e32 v12, vcc, v7, v12
	v_addc_co_u32_e32 v13, vcc, v14, v13, vcc
	global_store_dwordx2 v[12:13], v[10:11], off
.LBB1020_8:
	s_or_b64 exec, exec, s[0:1]
	v_add_u32_e32 v5, 16, v6
	v_ashrrev_i32_e32 v1, 31, v5
	v_mul_lo_u32 v1, s12, v1
	v_mul_lo_u32 v10, s13, v5
	v_mad_u64_u32 v[6:7], s[0:1], s12, v5, 0
	v_cmp_gt_i32_e32 vcc, s6, v5
	v_add3_u32 v7, v7, v1, v10
	v_lshlrev_b64 v[6:7], 3, v[6:7]
	v_mov_b32_e32 v1, s5
	v_add_co_u32_e64 v6, s[0:1], s4, v6
	v_addc_co_u32_e64 v7, s[0:1], v1, v7, s[0:1]
	v_cmp_le_i32_e64 s[0:1], v0, v5
	s_and_b64 s[0:1], vcc, s[0:1]
	s_and_saveexec_b64 s[2:3], s[0:1]
	s_cbranch_execz .LBB1020_10
; %bb.9:
	v_ashrrev_i32_e32 v1, 31, v0
	v_lshlrev_b64 v[0:1], 3, v[0:1]
	v_add_co_u32_e64 v0, s[0:1], v6, v0
	v_addc_co_u32_e64 v1, s[0:1], v7, v1, s[0:1]
	global_store_dwordx2 v[0:1], v[8:9], off
.LBB1020_10:
	s_or_b64 exec, exec, s[2:3]
	v_cmp_le_i32_e64 s[0:1], v4, v5
	s_and_b64 s[0:1], vcc, s[0:1]
	s_and_saveexec_b64 s[2:3], s[0:1]
	s_cbranch_execz .LBB1020_12
; %bb.11:
	v_ashrrev_i32_e32 v5, 31, v4
	v_lshlrev_b64 v[0:1], 3, v[4:5]
	v_add_co_u32_e32 v0, vcc, v6, v0
	v_addc_co_u32_e32 v1, vcc, v7, v1, vcc
	global_store_dwordx2 v[0:1], v[2:3], off
.LBB1020_12:
	s_endpgm
	.section	.rodata,"a",@progbits
	.p2align	6, 0x0
	.amdhsa_kernel _ZL37rocblas_syrkx_herkx_restricted_kernelIldLi16ELi32ELi8ELi1ELi0ELb0ELc78ELc85EKddEviT_PT9_S1_lS3_S1_lPT10_S1_li
		.amdhsa_group_segment_fixed_size 4096
		.amdhsa_private_segment_fixed_size 0
		.amdhsa_kernarg_size 92
		.amdhsa_user_sgpr_count 6
		.amdhsa_user_sgpr_private_segment_buffer 1
		.amdhsa_user_sgpr_dispatch_ptr 0
		.amdhsa_user_sgpr_queue_ptr 0
		.amdhsa_user_sgpr_kernarg_segment_ptr 1
		.amdhsa_user_sgpr_dispatch_id 0
		.amdhsa_user_sgpr_flat_scratch_init 0
		.amdhsa_user_sgpr_private_segment_size 0
		.amdhsa_uses_dynamic_stack 0
		.amdhsa_system_sgpr_private_segment_wavefront_offset 0
		.amdhsa_system_sgpr_workgroup_id_x 1
		.amdhsa_system_sgpr_workgroup_id_y 1
		.amdhsa_system_sgpr_workgroup_id_z 1
		.amdhsa_system_sgpr_workgroup_info 0
		.amdhsa_system_vgpr_workitem_id 1
		.amdhsa_next_free_vgpr 38
		.amdhsa_next_free_sgpr 28
		.amdhsa_reserve_vcc 1
		.amdhsa_reserve_flat_scratch 0
		.amdhsa_float_round_mode_32 0
		.amdhsa_float_round_mode_16_64 0
		.amdhsa_float_denorm_mode_32 3
		.amdhsa_float_denorm_mode_16_64 3
		.amdhsa_dx10_clamp 1
		.amdhsa_ieee_mode 1
		.amdhsa_fp16_overflow 0
		.amdhsa_exception_fp_ieee_invalid_op 0
		.amdhsa_exception_fp_denorm_src 0
		.amdhsa_exception_fp_ieee_div_zero 0
		.amdhsa_exception_fp_ieee_overflow 0
		.amdhsa_exception_fp_ieee_underflow 0
		.amdhsa_exception_fp_ieee_inexact 0
		.amdhsa_exception_int_div_zero 0
	.end_amdhsa_kernel
	.section	.text._ZL37rocblas_syrkx_herkx_restricted_kernelIldLi16ELi32ELi8ELi1ELi0ELb0ELc78ELc85EKddEviT_PT9_S1_lS3_S1_lPT10_S1_li,"axG",@progbits,_ZL37rocblas_syrkx_herkx_restricted_kernelIldLi16ELi32ELi8ELi1ELi0ELb0ELc78ELc85EKddEviT_PT9_S1_lS3_S1_lPT10_S1_li,comdat
.Lfunc_end1020:
	.size	_ZL37rocblas_syrkx_herkx_restricted_kernelIldLi16ELi32ELi8ELi1ELi0ELb0ELc78ELc85EKddEviT_PT9_S1_lS3_S1_lPT10_S1_li, .Lfunc_end1020-_ZL37rocblas_syrkx_herkx_restricted_kernelIldLi16ELi32ELi8ELi1ELi0ELb0ELc78ELc85EKddEviT_PT9_S1_lS3_S1_lPT10_S1_li
                                        ; -- End function
	.set _ZL37rocblas_syrkx_herkx_restricted_kernelIldLi16ELi32ELi8ELi1ELi0ELb0ELc78ELc85EKddEviT_PT9_S1_lS3_S1_lPT10_S1_li.num_vgpr, 38
	.set _ZL37rocblas_syrkx_herkx_restricted_kernelIldLi16ELi32ELi8ELi1ELi0ELb0ELc78ELc85EKddEviT_PT9_S1_lS3_S1_lPT10_S1_li.num_agpr, 0
	.set _ZL37rocblas_syrkx_herkx_restricted_kernelIldLi16ELi32ELi8ELi1ELi0ELb0ELc78ELc85EKddEviT_PT9_S1_lS3_S1_lPT10_S1_li.numbered_sgpr, 28
	.set _ZL37rocblas_syrkx_herkx_restricted_kernelIldLi16ELi32ELi8ELi1ELi0ELb0ELc78ELc85EKddEviT_PT9_S1_lS3_S1_lPT10_S1_li.num_named_barrier, 0
	.set _ZL37rocblas_syrkx_herkx_restricted_kernelIldLi16ELi32ELi8ELi1ELi0ELb0ELc78ELc85EKddEviT_PT9_S1_lS3_S1_lPT10_S1_li.private_seg_size, 0
	.set _ZL37rocblas_syrkx_herkx_restricted_kernelIldLi16ELi32ELi8ELi1ELi0ELb0ELc78ELc85EKddEviT_PT9_S1_lS3_S1_lPT10_S1_li.uses_vcc, 1
	.set _ZL37rocblas_syrkx_herkx_restricted_kernelIldLi16ELi32ELi8ELi1ELi0ELb0ELc78ELc85EKddEviT_PT9_S1_lS3_S1_lPT10_S1_li.uses_flat_scratch, 0
	.set _ZL37rocblas_syrkx_herkx_restricted_kernelIldLi16ELi32ELi8ELi1ELi0ELb0ELc78ELc85EKddEviT_PT9_S1_lS3_S1_lPT10_S1_li.has_dyn_sized_stack, 0
	.set _ZL37rocblas_syrkx_herkx_restricted_kernelIldLi16ELi32ELi8ELi1ELi0ELb0ELc78ELc85EKddEviT_PT9_S1_lS3_S1_lPT10_S1_li.has_recursion, 0
	.set _ZL37rocblas_syrkx_herkx_restricted_kernelIldLi16ELi32ELi8ELi1ELi0ELb0ELc78ELc85EKddEviT_PT9_S1_lS3_S1_lPT10_S1_li.has_indirect_call, 0
	.section	.AMDGPU.csdata,"",@progbits
; Kernel info:
; codeLenInByte = 1288
; TotalNumSgprs: 32
; NumVgprs: 38
; ScratchSize: 0
; MemoryBound: 0
; FloatMode: 240
; IeeeMode: 1
; LDSByteSize: 4096 bytes/workgroup (compile time only)
; SGPRBlocks: 3
; VGPRBlocks: 9
; NumSGPRsForWavesPerEU: 32
; NumVGPRsForWavesPerEU: 38
; Occupancy: 6
; WaveLimiterHint : 1
; COMPUTE_PGM_RSRC2:SCRATCH_EN: 0
; COMPUTE_PGM_RSRC2:USER_SGPR: 6
; COMPUTE_PGM_RSRC2:TRAP_HANDLER: 0
; COMPUTE_PGM_RSRC2:TGID_X_EN: 1
; COMPUTE_PGM_RSRC2:TGID_Y_EN: 1
; COMPUTE_PGM_RSRC2:TGID_Z_EN: 1
; COMPUTE_PGM_RSRC2:TIDIG_COMP_CNT: 1
	.section	.text._ZL37rocblas_syrkx_herkx_restricted_kernelIldLi16ELi32ELi8ELin1ELi0ELb0ELc84ELc76EKddEviT_PT9_S1_lS3_S1_lPT10_S1_li,"axG",@progbits,_ZL37rocblas_syrkx_herkx_restricted_kernelIldLi16ELi32ELi8ELin1ELi0ELb0ELc84ELc76EKddEviT_PT9_S1_lS3_S1_lPT10_S1_li,comdat
	.globl	_ZL37rocblas_syrkx_herkx_restricted_kernelIldLi16ELi32ELi8ELin1ELi0ELb0ELc84ELc76EKddEviT_PT9_S1_lS3_S1_lPT10_S1_li ; -- Begin function _ZL37rocblas_syrkx_herkx_restricted_kernelIldLi16ELi32ELi8ELin1ELi0ELb0ELc84ELc76EKddEviT_PT9_S1_lS3_S1_lPT10_S1_li
	.p2align	8
	.type	_ZL37rocblas_syrkx_herkx_restricted_kernelIldLi16ELi32ELi8ELin1ELi0ELb0ELc84ELc76EKddEviT_PT9_S1_lS3_S1_lPT10_S1_li,@function
_ZL37rocblas_syrkx_herkx_restricted_kernelIldLi16ELi32ELi8ELin1ELi0ELb0ELc84ELc76EKddEviT_PT9_S1_lS3_S1_lPT10_S1_li: ; @_ZL37rocblas_syrkx_herkx_restricted_kernelIldLi16ELi32ELi8ELin1ELi0ELb0ELc84ELc76EKddEviT_PT9_S1_lS3_S1_lPT10_S1_li
; %bb.0:
	s_load_dwordx16 s[12:27], s[4:5], 0x8
	s_lshl_b32 s2, s6, 5
	s_lshl_b32 s3, s7, 5
	s_waitcnt lgkmcnt(0)
	v_cmp_lt_i64_e64 s[0:1], s[12:13], 1
	s_and_b64 vcc, exec, s[0:1]
	s_cbranch_vccnz .LBB1021_3
; %bb.1:
	v_lshl_add_u32 v4, v1, 4, v0
	v_lshrrev_b32_e32 v8, 3, v4
	v_add_u32_e32 v5, s3, v8
	v_ashrrev_i32_e32 v6, 31, v5
	v_and_b32_e32 v2, 7, v0
	v_mov_b32_e32 v3, 0
	v_mul_lo_u32 v9, s22, v6
	v_mul_lo_u32 v10, s23, v5
	v_mad_u64_u32 v[6:7], s[0:1], s22, v5, v[2:3]
	v_lshlrev_b32_e32 v2, 3, v2
	v_lshl_or_b32 v2, v8, 6, v2
	v_add3_u32 v7, v10, v7, v9
	v_and_b32_e32 v9, 31, v4
	v_add_u32_e32 v15, 0x800, v2
	v_mov_b32_e32 v2, 0x800
	v_add_u32_e32 v8, s2, v9
	v_lshrrev_b32_e32 v4, 5, v4
	v_mov_b32_e32 v5, v3
	v_lshlrev_b32_e32 v3, 3, v9
	v_lshl_add_u32 v17, v1, 6, v2
	v_ashrrev_i32_e32 v2, 31, v8
	v_lshl_or_b32 v14, v4, 8, v3
	v_mul_lo_u32 v9, s16, v2
	v_mad_u64_u32 v[2:3], s[0:1], s16, v8, v[4:5]
	v_mul_lo_u32 v4, s17, v8
	s_mul_i32 s6, s19, s8
	s_mul_hi_u32 s7, s18, s8
	s_add_i32 s1, s7, s6
	s_mul_i32 s0, s18, s8
	s_lshl_b64 s[0:1], s[0:1], 3
	v_add3_u32 v3, v4, v3, v9
	v_lshlrev_b64 v[2:3], 3, v[2:3]
	s_add_u32 s0, s14, s0
	s_addc_u32 s1, s15, s1
	v_mov_b32_e32 v5, s1
	v_add_co_u32_e32 v4, vcc, s0, v2
	s_mul_i32 s0, s25, s8
	s_mul_hi_u32 s1, s24, s8
	s_add_i32 s1, s1, s0
	s_mul_i32 s0, s24, s8
	s_lshl_b64 s[0:1], s[0:1], 3
	v_addc_co_u32_e32 v5, vcc, v5, v3, vcc
	v_lshlrev_b64 v[2:3], 3, v[6:7]
	s_add_u32 s0, s20, s0
	s_addc_u32 s1, s21, s1
	v_mov_b32_e32 v6, s1
	v_add_co_u32_e32 v8, vcc, s0, v2
	v_addc_co_u32_e32 v9, vcc, v6, v3, vcc
	v_mov_b32_e32 v2, 0
	v_mov_b32_e32 v6, 0
	;; [unrolled: 1-line block ×4, first 2 shown]
	v_lshlrev_b32_e32 v16, 3, v0
	v_mov_b32_e32 v3, 0
	v_mov_b32_e32 v7, 0
	;; [unrolled: 1-line block ×4, first 2 shown]
	s_mov_b64 s[0:1], 0
.LBB1021_2:                             ; =>This Inner Loop Header: Depth=1
	global_load_dwordx2 v[18:19], v[4:5], off
	global_load_dwordx2 v[20:21], v[8:9], off
	s_add_u32 s0, s0, 8
	v_add_co_u32_e32 v4, vcc, 64, v4
	v_addc_co_u32_e32 v5, vcc, 0, v5, vcc
	s_addc_u32 s1, s1, 0
	v_add_co_u32_e32 v8, vcc, 64, v8
	v_addc_co_u32_e32 v9, vcc, 0, v9, vcc
	s_waitcnt vmcnt(1)
	ds_write_b64 v14, v[18:19]
	s_waitcnt vmcnt(0)
	ds_write_b64 v15, v[20:21]
	s_waitcnt lgkmcnt(0)
	s_barrier
	ds_read2_b64 v[18:21], v16 offset1:16
	ds_read_b128 v[22:25], v17
	ds_read_b128 v[26:29], v17 offset:1024
	ds_read_b128 v[30:33], v17 offset:16
	s_waitcnt lgkmcnt(2)
	v_fma_f64 v[34:35], v[18:19], v[22:23], v[12:13]
	v_fma_f64 v[22:23], v[20:21], v[22:23], v[10:11]
	s_waitcnt lgkmcnt(1)
	v_fma_f64 v[6:7], v[18:19], v[26:27], v[6:7]
	v_fma_f64 v[2:3], v[20:21], v[26:27], v[2:3]
	ds_read2_b64 v[18:21], v16 offset0:32 offset1:48
	ds_read_b128 v[10:13], v17 offset:1040
	s_waitcnt lgkmcnt(1)
	v_fma_f64 v[26:27], v[18:19], v[24:25], v[34:35]
	v_fma_f64 v[34:35], v[20:21], v[24:25], v[22:23]
	;; [unrolled: 1-line block ×4, first 2 shown]
	ds_read2_b64 v[18:21], v16 offset0:64 offset1:80
	ds_read2_b64 v[22:25], v16 offset0:96 offset1:112
	s_waitcnt lgkmcnt(1)
	v_fma_f64 v[26:27], v[18:19], v[30:31], v[26:27]
	v_fma_f64 v[28:29], v[20:21], v[30:31], v[34:35]
	;; [unrolled: 1-line block ×4, first 2 shown]
	ds_read2_b64 v[18:21], v16 offset0:128 offset1:144
	s_waitcnt lgkmcnt(1)
	v_fma_f64 v[30:31], v[22:23], v[32:33], v[26:27]
	v_fma_f64 v[32:33], v[24:25], v[32:33], v[28:29]
	;; [unrolled: 1-line block ×4, first 2 shown]
	ds_read_b128 v[26:29], v17 offset:32
	ds_read_b128 v[10:13], v17 offset:1056
	ds_read_b128 v[22:25], v17 offset:48
	s_waitcnt lgkmcnt(2)
	v_fma_f64 v[34:35], v[18:19], v[26:27], v[30:31]
	v_fma_f64 v[26:27], v[20:21], v[26:27], v[32:33]
	s_waitcnt lgkmcnt(1)
	v_fma_f64 v[6:7], v[18:19], v[10:11], v[6:7]
	v_fma_f64 v[2:3], v[20:21], v[10:11], v[2:3]
	ds_read2_b64 v[18:21], v16 offset0:160 offset1:176
	ds_read_b128 v[30:33], v17 offset:1072
	s_waitcnt lgkmcnt(1)
	v_fma_f64 v[34:35], v[18:19], v[28:29], v[34:35]
	v_fma_f64 v[26:27], v[20:21], v[28:29], v[26:27]
	;; [unrolled: 1-line block ×4, first 2 shown]
	ds_read2_b64 v[10:13], v16 offset0:192 offset1:208
	ds_read2_b64 v[18:21], v16 offset0:224 offset1:240
	v_mov_b32_e32 v29, s1
	v_mov_b32_e32 v28, s0
	v_cmp_le_u64_e32 vcc, s[12:13], v[28:29]
	s_waitcnt lgkmcnt(1)
	v_fma_f64 v[34:35], v[10:11], v[22:23], v[34:35]
	v_fma_f64 v[22:23], v[12:13], v[22:23], v[26:27]
	;; [unrolled: 1-line block ×4, first 2 shown]
	s_and_b64 vcc, exec, vcc
	s_waitcnt lgkmcnt(0)
	s_barrier
	v_fma_f64 v[12:13], v[18:19], v[24:25], v[34:35]
	v_fma_f64 v[10:11], v[20:21], v[24:25], v[22:23]
	;; [unrolled: 1-line block ×4, first 2 shown]
	s_cbranch_vccz .LBB1021_2
	s_branch .LBB1021_4
.LBB1021_3:
	v_mov_b32_e32 v12, 0
	v_mov_b32_e32 v10, 0
	;; [unrolled: 1-line block ×8, first 2 shown]
.LBB1021_4:
	s_load_dwordx4 s[12:15], s[4:5], 0x48
	s_load_dword s9, s[4:5], 0x0
	v_add_u32_e32 v8, s3, v1
	v_ashrrev_i32_e32 v1, 31, v8
	v_add_u32_e32 v0, s2, v0
	s_waitcnt lgkmcnt(0)
	v_mul_lo_u32 v1, s12, v1
	v_mul_lo_u32 v9, s13, v8
	v_mad_u64_u32 v[4:5], s[4:5], s12, v8, 0
	s_mul_i32 s1, s15, s8
	s_mul_hi_u32 s3, s14, s8
	s_mul_i32 s0, s14, s8
	s_add_i32 s1, s3, s1
	s_lshl_b64 s[0:1], s[0:1], 3
	v_add3_u32 v5, v5, v1, v9
	s_add_u32 s6, s26, s0
	v_lshlrev_b64 v[4:5], 3, v[4:5]
	s_addc_u32 s7, s27, s1
	v_mov_b32_e32 v1, s7
	v_add_co_u32_e32 v9, vcc, s6, v4
	v_addc_co_u32_e32 v14, vcc, v1, v5, vcc
	v_cmp_le_i32_e64 s[0:1], v8, v0
	v_cmp_gt_i32_e32 vcc, s9, v0
	s_and_b64 s[0:1], s[0:1], vcc
	s_and_saveexec_b64 s[2:3], s[0:1]
	s_cbranch_execz .LBB1021_6
; %bb.5:
	v_ashrrev_i32_e32 v1, 31, v0
	v_lshlrev_b64 v[4:5], 3, v[0:1]
	v_xor_b32_e32 v13, 0x80000000, v13
	v_add_co_u32_e64 v4, s[0:1], v9, v4
	v_addc_co_u32_e64 v5, s[0:1], v14, v5, s[0:1]
	global_store_dwordx2 v[4:5], v[12:13], off
.LBB1021_6:
	s_or_b64 exec, exec, s[2:3]
	v_add_u32_e32 v4, 16, v0
	v_cmp_le_i32_e64 s[2:3], v8, v4
	v_cmp_gt_i32_e64 s[0:1], s9, v4
	s_and_b64 s[2:3], s[2:3], s[0:1]
	s_and_saveexec_b64 s[4:5], s[2:3]
	s_cbranch_execz .LBB1021_8
; %bb.7:
	v_ashrrev_i32_e32 v5, 31, v4
	v_lshlrev_b64 v[12:13], 3, v[4:5]
	v_xor_b32_e32 v11, 0x80000000, v11
	v_add_co_u32_e64 v12, s[2:3], v9, v12
	v_addc_co_u32_e64 v13, s[2:3], v14, v13, s[2:3]
	global_store_dwordx2 v[12:13], v[10:11], off
.LBB1021_8:
	s_or_b64 exec, exec, s[4:5]
	v_add_u32_e32 v5, 16, v8
	v_ashrrev_i32_e32 v1, 31, v5
	v_mul_lo_u32 v10, s13, v5
	v_mad_u64_u32 v[8:9], s[2:3], s12, v5, 0
	v_mul_lo_u32 v1, s12, v1
	v_add3_u32 v9, v9, v1, v10
	v_lshlrev_b64 v[8:9], 3, v[8:9]
	v_mov_b32_e32 v1, s7
	v_add_co_u32_e64 v8, s[2:3], s6, v8
	v_addc_co_u32_e64 v9, s[2:3], v1, v9, s[2:3]
	v_cmp_le_i32_e64 s[2:3], v5, v0
	s_and_b64 s[4:5], s[2:3], vcc
	s_and_saveexec_b64 s[2:3], s[4:5]
	s_cbranch_execz .LBB1021_10
; %bb.9:
	v_ashrrev_i32_e32 v1, 31, v0
	v_lshlrev_b64 v[0:1], 3, v[0:1]
	v_xor_b32_e32 v7, 0x80000000, v7
	v_add_co_u32_e32 v0, vcc, v8, v0
	v_addc_co_u32_e32 v1, vcc, v9, v1, vcc
	global_store_dwordx2 v[0:1], v[6:7], off
.LBB1021_10:
	s_or_b64 exec, exec, s[2:3]
	v_cmp_le_i32_e32 vcc, v5, v4
	s_and_b64 s[0:1], vcc, s[0:1]
	s_and_saveexec_b64 s[2:3], s[0:1]
	s_cbranch_execz .LBB1021_12
; %bb.11:
	v_ashrrev_i32_e32 v5, 31, v4
	v_lshlrev_b64 v[0:1], 3, v[4:5]
	v_xor_b32_e32 v3, 0x80000000, v3
	v_add_co_u32_e32 v0, vcc, v8, v0
	v_addc_co_u32_e32 v1, vcc, v9, v1, vcc
	global_store_dwordx2 v[0:1], v[2:3], off
.LBB1021_12:
	s_endpgm
	.section	.rodata,"a",@progbits
	.p2align	6, 0x0
	.amdhsa_kernel _ZL37rocblas_syrkx_herkx_restricted_kernelIldLi16ELi32ELi8ELin1ELi0ELb0ELc84ELc76EKddEviT_PT9_S1_lS3_S1_lPT10_S1_li
		.amdhsa_group_segment_fixed_size 4096
		.amdhsa_private_segment_fixed_size 0
		.amdhsa_kernarg_size 92
		.amdhsa_user_sgpr_count 6
		.amdhsa_user_sgpr_private_segment_buffer 1
		.amdhsa_user_sgpr_dispatch_ptr 0
		.amdhsa_user_sgpr_queue_ptr 0
		.amdhsa_user_sgpr_kernarg_segment_ptr 1
		.amdhsa_user_sgpr_dispatch_id 0
		.amdhsa_user_sgpr_flat_scratch_init 0
		.amdhsa_user_sgpr_private_segment_size 0
		.amdhsa_uses_dynamic_stack 0
		.amdhsa_system_sgpr_private_segment_wavefront_offset 0
		.amdhsa_system_sgpr_workgroup_id_x 1
		.amdhsa_system_sgpr_workgroup_id_y 1
		.amdhsa_system_sgpr_workgroup_id_z 1
		.amdhsa_system_sgpr_workgroup_info 0
		.amdhsa_system_vgpr_workitem_id 1
		.amdhsa_next_free_vgpr 36
		.amdhsa_next_free_sgpr 28
		.amdhsa_reserve_vcc 1
		.amdhsa_reserve_flat_scratch 0
		.amdhsa_float_round_mode_32 0
		.amdhsa_float_round_mode_16_64 0
		.amdhsa_float_denorm_mode_32 3
		.amdhsa_float_denorm_mode_16_64 3
		.amdhsa_dx10_clamp 1
		.amdhsa_ieee_mode 1
		.amdhsa_fp16_overflow 0
		.amdhsa_exception_fp_ieee_invalid_op 0
		.amdhsa_exception_fp_denorm_src 0
		.amdhsa_exception_fp_ieee_div_zero 0
		.amdhsa_exception_fp_ieee_overflow 0
		.amdhsa_exception_fp_ieee_underflow 0
		.amdhsa_exception_fp_ieee_inexact 0
		.amdhsa_exception_int_div_zero 0
	.end_amdhsa_kernel
	.section	.text._ZL37rocblas_syrkx_herkx_restricted_kernelIldLi16ELi32ELi8ELin1ELi0ELb0ELc84ELc76EKddEviT_PT9_S1_lS3_S1_lPT10_S1_li,"axG",@progbits,_ZL37rocblas_syrkx_herkx_restricted_kernelIldLi16ELi32ELi8ELin1ELi0ELb0ELc84ELc76EKddEviT_PT9_S1_lS3_S1_lPT10_S1_li,comdat
.Lfunc_end1021:
	.size	_ZL37rocblas_syrkx_herkx_restricted_kernelIldLi16ELi32ELi8ELin1ELi0ELb0ELc84ELc76EKddEviT_PT9_S1_lS3_S1_lPT10_S1_li, .Lfunc_end1021-_ZL37rocblas_syrkx_herkx_restricted_kernelIldLi16ELi32ELi8ELin1ELi0ELb0ELc84ELc76EKddEviT_PT9_S1_lS3_S1_lPT10_S1_li
                                        ; -- End function
	.set _ZL37rocblas_syrkx_herkx_restricted_kernelIldLi16ELi32ELi8ELin1ELi0ELb0ELc84ELc76EKddEviT_PT9_S1_lS3_S1_lPT10_S1_li.num_vgpr, 36
	.set _ZL37rocblas_syrkx_herkx_restricted_kernelIldLi16ELi32ELi8ELin1ELi0ELb0ELc84ELc76EKddEviT_PT9_S1_lS3_S1_lPT10_S1_li.num_agpr, 0
	.set _ZL37rocblas_syrkx_herkx_restricted_kernelIldLi16ELi32ELi8ELin1ELi0ELb0ELc84ELc76EKddEviT_PT9_S1_lS3_S1_lPT10_S1_li.numbered_sgpr, 28
	.set _ZL37rocblas_syrkx_herkx_restricted_kernelIldLi16ELi32ELi8ELin1ELi0ELb0ELc84ELc76EKddEviT_PT9_S1_lS3_S1_lPT10_S1_li.num_named_barrier, 0
	.set _ZL37rocblas_syrkx_herkx_restricted_kernelIldLi16ELi32ELi8ELin1ELi0ELb0ELc84ELc76EKddEviT_PT9_S1_lS3_S1_lPT10_S1_li.private_seg_size, 0
	.set _ZL37rocblas_syrkx_herkx_restricted_kernelIldLi16ELi32ELi8ELin1ELi0ELb0ELc84ELc76EKddEviT_PT9_S1_lS3_S1_lPT10_S1_li.uses_vcc, 1
	.set _ZL37rocblas_syrkx_herkx_restricted_kernelIldLi16ELi32ELi8ELin1ELi0ELb0ELc84ELc76EKddEviT_PT9_S1_lS3_S1_lPT10_S1_li.uses_flat_scratch, 0
	.set _ZL37rocblas_syrkx_herkx_restricted_kernelIldLi16ELi32ELi8ELin1ELi0ELb0ELc84ELc76EKddEviT_PT9_S1_lS3_S1_lPT10_S1_li.has_dyn_sized_stack, 0
	.set _ZL37rocblas_syrkx_herkx_restricted_kernelIldLi16ELi32ELi8ELin1ELi0ELb0ELc84ELc76EKddEviT_PT9_S1_lS3_S1_lPT10_S1_li.has_recursion, 0
	.set _ZL37rocblas_syrkx_herkx_restricted_kernelIldLi16ELi32ELi8ELin1ELi0ELb0ELc84ELc76EKddEviT_PT9_S1_lS3_S1_lPT10_S1_li.has_indirect_call, 0
	.section	.AMDGPU.csdata,"",@progbits
; Kernel info:
; codeLenInByte = 1336
; TotalNumSgprs: 32
; NumVgprs: 36
; ScratchSize: 0
; MemoryBound: 0
; FloatMode: 240
; IeeeMode: 1
; LDSByteSize: 4096 bytes/workgroup (compile time only)
; SGPRBlocks: 3
; VGPRBlocks: 8
; NumSGPRsForWavesPerEU: 32
; NumVGPRsForWavesPerEU: 36
; Occupancy: 7
; WaveLimiterHint : 1
; COMPUTE_PGM_RSRC2:SCRATCH_EN: 0
; COMPUTE_PGM_RSRC2:USER_SGPR: 6
; COMPUTE_PGM_RSRC2:TRAP_HANDLER: 0
; COMPUTE_PGM_RSRC2:TGID_X_EN: 1
; COMPUTE_PGM_RSRC2:TGID_Y_EN: 1
; COMPUTE_PGM_RSRC2:TGID_Z_EN: 1
; COMPUTE_PGM_RSRC2:TIDIG_COMP_CNT: 1
	.section	.text._ZL37rocblas_syrkx_herkx_restricted_kernelIldLi16ELi32ELi8ELin1ELi0ELb0ELc67ELc76EKddEviT_PT9_S1_lS3_S1_lPT10_S1_li,"axG",@progbits,_ZL37rocblas_syrkx_herkx_restricted_kernelIldLi16ELi32ELi8ELin1ELi0ELb0ELc67ELc76EKddEviT_PT9_S1_lS3_S1_lPT10_S1_li,comdat
	.globl	_ZL37rocblas_syrkx_herkx_restricted_kernelIldLi16ELi32ELi8ELin1ELi0ELb0ELc67ELc76EKddEviT_PT9_S1_lS3_S1_lPT10_S1_li ; -- Begin function _ZL37rocblas_syrkx_herkx_restricted_kernelIldLi16ELi32ELi8ELin1ELi0ELb0ELc67ELc76EKddEviT_PT9_S1_lS3_S1_lPT10_S1_li
	.p2align	8
	.type	_ZL37rocblas_syrkx_herkx_restricted_kernelIldLi16ELi32ELi8ELin1ELi0ELb0ELc67ELc76EKddEviT_PT9_S1_lS3_S1_lPT10_S1_li,@function
_ZL37rocblas_syrkx_herkx_restricted_kernelIldLi16ELi32ELi8ELin1ELi0ELb0ELc67ELc76EKddEviT_PT9_S1_lS3_S1_lPT10_S1_li: ; @_ZL37rocblas_syrkx_herkx_restricted_kernelIldLi16ELi32ELi8ELin1ELi0ELb0ELc67ELc76EKddEviT_PT9_S1_lS3_S1_lPT10_S1_li
; %bb.0:
	s_load_dwordx16 s[12:27], s[4:5], 0x8
	s_lshl_b32 s2, s6, 5
	s_lshl_b32 s3, s7, 5
	s_waitcnt lgkmcnt(0)
	v_cmp_lt_i64_e64 s[0:1], s[12:13], 1
	s_and_b64 vcc, exec, s[0:1]
	s_cbranch_vccnz .LBB1022_3
; %bb.1:
	v_lshl_add_u32 v4, v1, 4, v0
	v_lshrrev_b32_e32 v8, 3, v4
	v_add_u32_e32 v5, s3, v8
	v_ashrrev_i32_e32 v6, 31, v5
	v_and_b32_e32 v2, 7, v0
	v_mov_b32_e32 v3, 0
	v_mul_lo_u32 v9, s22, v6
	v_mul_lo_u32 v10, s23, v5
	v_mad_u64_u32 v[6:7], s[0:1], s22, v5, v[2:3]
	v_lshlrev_b32_e32 v2, 3, v2
	v_lshl_or_b32 v2, v8, 6, v2
	v_add3_u32 v7, v10, v7, v9
	v_and_b32_e32 v9, 31, v4
	v_add_u32_e32 v15, 0x800, v2
	v_mov_b32_e32 v2, 0x800
	v_add_u32_e32 v8, s2, v9
	v_lshrrev_b32_e32 v4, 5, v4
	v_mov_b32_e32 v5, v3
	v_lshlrev_b32_e32 v3, 3, v9
	v_lshl_add_u32 v17, v1, 6, v2
	v_ashrrev_i32_e32 v2, 31, v8
	v_lshl_or_b32 v14, v4, 8, v3
	v_mul_lo_u32 v9, s16, v2
	v_mad_u64_u32 v[2:3], s[0:1], s16, v8, v[4:5]
	v_mul_lo_u32 v4, s17, v8
	s_mul_i32 s6, s19, s8
	s_mul_hi_u32 s7, s18, s8
	s_add_i32 s1, s7, s6
	s_mul_i32 s0, s18, s8
	s_lshl_b64 s[0:1], s[0:1], 3
	v_add3_u32 v3, v4, v3, v9
	v_lshlrev_b64 v[2:3], 3, v[2:3]
	s_add_u32 s0, s14, s0
	s_addc_u32 s1, s15, s1
	v_mov_b32_e32 v5, s1
	v_add_co_u32_e32 v4, vcc, s0, v2
	s_mul_i32 s0, s25, s8
	s_mul_hi_u32 s1, s24, s8
	s_add_i32 s1, s1, s0
	s_mul_i32 s0, s24, s8
	s_lshl_b64 s[0:1], s[0:1], 3
	v_addc_co_u32_e32 v5, vcc, v5, v3, vcc
	v_lshlrev_b64 v[2:3], 3, v[6:7]
	s_add_u32 s0, s20, s0
	s_addc_u32 s1, s21, s1
	v_mov_b32_e32 v6, s1
	v_add_co_u32_e32 v8, vcc, s0, v2
	v_addc_co_u32_e32 v9, vcc, v6, v3, vcc
	v_mov_b32_e32 v2, 0
	v_mov_b32_e32 v6, 0
	;; [unrolled: 1-line block ×4, first 2 shown]
	v_lshlrev_b32_e32 v16, 3, v0
	v_mov_b32_e32 v3, 0
	v_mov_b32_e32 v7, 0
	;; [unrolled: 1-line block ×4, first 2 shown]
	s_mov_b64 s[0:1], 0
.LBB1022_2:                             ; =>This Inner Loop Header: Depth=1
	global_load_dwordx2 v[18:19], v[4:5], off
	global_load_dwordx2 v[20:21], v[8:9], off
	s_add_u32 s0, s0, 8
	v_add_co_u32_e32 v4, vcc, 64, v4
	v_addc_co_u32_e32 v5, vcc, 0, v5, vcc
	s_addc_u32 s1, s1, 0
	v_add_co_u32_e32 v8, vcc, 64, v8
	v_addc_co_u32_e32 v9, vcc, 0, v9, vcc
	s_waitcnt vmcnt(1)
	ds_write_b64 v14, v[18:19]
	s_waitcnt vmcnt(0)
	ds_write_b64 v15, v[20:21]
	s_waitcnt lgkmcnt(0)
	s_barrier
	ds_read2_b64 v[18:21], v16 offset1:16
	ds_read_b128 v[22:25], v17
	ds_read_b128 v[26:29], v17 offset:1024
	ds_read_b128 v[30:33], v17 offset:16
	s_waitcnt lgkmcnt(2)
	v_fma_f64 v[34:35], v[18:19], v[22:23], v[12:13]
	v_fma_f64 v[22:23], v[20:21], v[22:23], v[10:11]
	s_waitcnt lgkmcnt(1)
	v_fma_f64 v[6:7], v[18:19], v[26:27], v[6:7]
	v_fma_f64 v[2:3], v[20:21], v[26:27], v[2:3]
	ds_read2_b64 v[18:21], v16 offset0:32 offset1:48
	ds_read_b128 v[10:13], v17 offset:1040
	s_waitcnt lgkmcnt(1)
	v_fma_f64 v[26:27], v[18:19], v[24:25], v[34:35]
	v_fma_f64 v[34:35], v[20:21], v[24:25], v[22:23]
	;; [unrolled: 1-line block ×4, first 2 shown]
	ds_read2_b64 v[18:21], v16 offset0:64 offset1:80
	ds_read2_b64 v[22:25], v16 offset0:96 offset1:112
	s_waitcnt lgkmcnt(1)
	v_fma_f64 v[26:27], v[18:19], v[30:31], v[26:27]
	v_fma_f64 v[28:29], v[20:21], v[30:31], v[34:35]
	;; [unrolled: 1-line block ×4, first 2 shown]
	ds_read2_b64 v[18:21], v16 offset0:128 offset1:144
	s_waitcnt lgkmcnt(1)
	v_fma_f64 v[30:31], v[22:23], v[32:33], v[26:27]
	v_fma_f64 v[32:33], v[24:25], v[32:33], v[28:29]
	;; [unrolled: 1-line block ×4, first 2 shown]
	ds_read_b128 v[26:29], v17 offset:32
	ds_read_b128 v[10:13], v17 offset:1056
	;; [unrolled: 1-line block ×3, first 2 shown]
	s_waitcnt lgkmcnt(2)
	v_fma_f64 v[34:35], v[18:19], v[26:27], v[30:31]
	v_fma_f64 v[26:27], v[20:21], v[26:27], v[32:33]
	s_waitcnt lgkmcnt(1)
	v_fma_f64 v[6:7], v[18:19], v[10:11], v[6:7]
	v_fma_f64 v[2:3], v[20:21], v[10:11], v[2:3]
	ds_read2_b64 v[18:21], v16 offset0:160 offset1:176
	ds_read_b128 v[30:33], v17 offset:1072
	s_waitcnt lgkmcnt(1)
	v_fma_f64 v[34:35], v[18:19], v[28:29], v[34:35]
	v_fma_f64 v[26:27], v[20:21], v[28:29], v[26:27]
	;; [unrolled: 1-line block ×4, first 2 shown]
	ds_read2_b64 v[10:13], v16 offset0:192 offset1:208
	ds_read2_b64 v[18:21], v16 offset0:224 offset1:240
	v_mov_b32_e32 v29, s1
	v_mov_b32_e32 v28, s0
	v_cmp_le_u64_e32 vcc, s[12:13], v[28:29]
	s_waitcnt lgkmcnt(1)
	v_fma_f64 v[34:35], v[10:11], v[22:23], v[34:35]
	v_fma_f64 v[22:23], v[12:13], v[22:23], v[26:27]
	;; [unrolled: 1-line block ×4, first 2 shown]
	s_and_b64 vcc, exec, vcc
	s_waitcnt lgkmcnt(0)
	s_barrier
	v_fma_f64 v[12:13], v[18:19], v[24:25], v[34:35]
	v_fma_f64 v[10:11], v[20:21], v[24:25], v[22:23]
	;; [unrolled: 1-line block ×4, first 2 shown]
	s_cbranch_vccz .LBB1022_2
	s_branch .LBB1022_4
.LBB1022_3:
	v_mov_b32_e32 v12, 0
	v_mov_b32_e32 v10, 0
	;; [unrolled: 1-line block ×8, first 2 shown]
.LBB1022_4:
	s_load_dwordx4 s[12:15], s[4:5], 0x48
	s_load_dword s9, s[4:5], 0x0
	v_add_u32_e32 v8, s3, v1
	v_ashrrev_i32_e32 v1, 31, v8
	v_add_u32_e32 v0, s2, v0
	s_waitcnt lgkmcnt(0)
	v_mul_lo_u32 v1, s12, v1
	v_mul_lo_u32 v9, s13, v8
	v_mad_u64_u32 v[4:5], s[4:5], s12, v8, 0
	s_mul_i32 s1, s15, s8
	s_mul_hi_u32 s3, s14, s8
	s_mul_i32 s0, s14, s8
	s_add_i32 s1, s3, s1
	s_lshl_b64 s[0:1], s[0:1], 3
	v_add3_u32 v5, v5, v1, v9
	s_add_u32 s6, s26, s0
	v_lshlrev_b64 v[4:5], 3, v[4:5]
	s_addc_u32 s7, s27, s1
	v_mov_b32_e32 v1, s7
	v_add_co_u32_e32 v9, vcc, s6, v4
	v_addc_co_u32_e32 v14, vcc, v1, v5, vcc
	v_cmp_le_i32_e64 s[0:1], v8, v0
	v_cmp_gt_i32_e32 vcc, s9, v0
	s_and_b64 s[0:1], s[0:1], vcc
	s_and_saveexec_b64 s[2:3], s[0:1]
	s_cbranch_execz .LBB1022_6
; %bb.5:
	v_ashrrev_i32_e32 v1, 31, v0
	v_lshlrev_b64 v[4:5], 3, v[0:1]
	v_xor_b32_e32 v13, 0x80000000, v13
	v_add_co_u32_e64 v4, s[0:1], v9, v4
	v_addc_co_u32_e64 v5, s[0:1], v14, v5, s[0:1]
	global_store_dwordx2 v[4:5], v[12:13], off
.LBB1022_6:
	s_or_b64 exec, exec, s[2:3]
	v_add_u32_e32 v4, 16, v0
	v_cmp_le_i32_e64 s[2:3], v8, v4
	v_cmp_gt_i32_e64 s[0:1], s9, v4
	s_and_b64 s[2:3], s[2:3], s[0:1]
	s_and_saveexec_b64 s[4:5], s[2:3]
	s_cbranch_execz .LBB1022_8
; %bb.7:
	v_ashrrev_i32_e32 v5, 31, v4
	v_lshlrev_b64 v[12:13], 3, v[4:5]
	v_xor_b32_e32 v11, 0x80000000, v11
	v_add_co_u32_e64 v12, s[2:3], v9, v12
	v_addc_co_u32_e64 v13, s[2:3], v14, v13, s[2:3]
	global_store_dwordx2 v[12:13], v[10:11], off
.LBB1022_8:
	s_or_b64 exec, exec, s[4:5]
	v_add_u32_e32 v5, 16, v8
	v_ashrrev_i32_e32 v1, 31, v5
	v_mul_lo_u32 v10, s13, v5
	v_mad_u64_u32 v[8:9], s[2:3], s12, v5, 0
	v_mul_lo_u32 v1, s12, v1
	v_add3_u32 v9, v9, v1, v10
	v_lshlrev_b64 v[8:9], 3, v[8:9]
	v_mov_b32_e32 v1, s7
	v_add_co_u32_e64 v8, s[2:3], s6, v8
	v_addc_co_u32_e64 v9, s[2:3], v1, v9, s[2:3]
	v_cmp_le_i32_e64 s[2:3], v5, v0
	s_and_b64 s[4:5], s[2:3], vcc
	s_and_saveexec_b64 s[2:3], s[4:5]
	s_cbranch_execz .LBB1022_10
; %bb.9:
	v_ashrrev_i32_e32 v1, 31, v0
	v_lshlrev_b64 v[0:1], 3, v[0:1]
	v_xor_b32_e32 v7, 0x80000000, v7
	v_add_co_u32_e32 v0, vcc, v8, v0
	v_addc_co_u32_e32 v1, vcc, v9, v1, vcc
	global_store_dwordx2 v[0:1], v[6:7], off
.LBB1022_10:
	s_or_b64 exec, exec, s[2:3]
	v_cmp_le_i32_e32 vcc, v5, v4
	s_and_b64 s[0:1], vcc, s[0:1]
	s_and_saveexec_b64 s[2:3], s[0:1]
	s_cbranch_execz .LBB1022_12
; %bb.11:
	v_ashrrev_i32_e32 v5, 31, v4
	v_lshlrev_b64 v[0:1], 3, v[4:5]
	v_xor_b32_e32 v3, 0x80000000, v3
	v_add_co_u32_e32 v0, vcc, v8, v0
	v_addc_co_u32_e32 v1, vcc, v9, v1, vcc
	global_store_dwordx2 v[0:1], v[2:3], off
.LBB1022_12:
	s_endpgm
	.section	.rodata,"a",@progbits
	.p2align	6, 0x0
	.amdhsa_kernel _ZL37rocblas_syrkx_herkx_restricted_kernelIldLi16ELi32ELi8ELin1ELi0ELb0ELc67ELc76EKddEviT_PT9_S1_lS3_S1_lPT10_S1_li
		.amdhsa_group_segment_fixed_size 4096
		.amdhsa_private_segment_fixed_size 0
		.amdhsa_kernarg_size 92
		.amdhsa_user_sgpr_count 6
		.amdhsa_user_sgpr_private_segment_buffer 1
		.amdhsa_user_sgpr_dispatch_ptr 0
		.amdhsa_user_sgpr_queue_ptr 0
		.amdhsa_user_sgpr_kernarg_segment_ptr 1
		.amdhsa_user_sgpr_dispatch_id 0
		.amdhsa_user_sgpr_flat_scratch_init 0
		.amdhsa_user_sgpr_private_segment_size 0
		.amdhsa_uses_dynamic_stack 0
		.amdhsa_system_sgpr_private_segment_wavefront_offset 0
		.amdhsa_system_sgpr_workgroup_id_x 1
		.amdhsa_system_sgpr_workgroup_id_y 1
		.amdhsa_system_sgpr_workgroup_id_z 1
		.amdhsa_system_sgpr_workgroup_info 0
		.amdhsa_system_vgpr_workitem_id 1
		.amdhsa_next_free_vgpr 36
		.amdhsa_next_free_sgpr 28
		.amdhsa_reserve_vcc 1
		.amdhsa_reserve_flat_scratch 0
		.amdhsa_float_round_mode_32 0
		.amdhsa_float_round_mode_16_64 0
		.amdhsa_float_denorm_mode_32 3
		.amdhsa_float_denorm_mode_16_64 3
		.amdhsa_dx10_clamp 1
		.amdhsa_ieee_mode 1
		.amdhsa_fp16_overflow 0
		.amdhsa_exception_fp_ieee_invalid_op 0
		.amdhsa_exception_fp_denorm_src 0
		.amdhsa_exception_fp_ieee_div_zero 0
		.amdhsa_exception_fp_ieee_overflow 0
		.amdhsa_exception_fp_ieee_underflow 0
		.amdhsa_exception_fp_ieee_inexact 0
		.amdhsa_exception_int_div_zero 0
	.end_amdhsa_kernel
	.section	.text._ZL37rocblas_syrkx_herkx_restricted_kernelIldLi16ELi32ELi8ELin1ELi0ELb0ELc67ELc76EKddEviT_PT9_S1_lS3_S1_lPT10_S1_li,"axG",@progbits,_ZL37rocblas_syrkx_herkx_restricted_kernelIldLi16ELi32ELi8ELin1ELi0ELb0ELc67ELc76EKddEviT_PT9_S1_lS3_S1_lPT10_S1_li,comdat
.Lfunc_end1022:
	.size	_ZL37rocblas_syrkx_herkx_restricted_kernelIldLi16ELi32ELi8ELin1ELi0ELb0ELc67ELc76EKddEviT_PT9_S1_lS3_S1_lPT10_S1_li, .Lfunc_end1022-_ZL37rocblas_syrkx_herkx_restricted_kernelIldLi16ELi32ELi8ELin1ELi0ELb0ELc67ELc76EKddEviT_PT9_S1_lS3_S1_lPT10_S1_li
                                        ; -- End function
	.set _ZL37rocblas_syrkx_herkx_restricted_kernelIldLi16ELi32ELi8ELin1ELi0ELb0ELc67ELc76EKddEviT_PT9_S1_lS3_S1_lPT10_S1_li.num_vgpr, 36
	.set _ZL37rocblas_syrkx_herkx_restricted_kernelIldLi16ELi32ELi8ELin1ELi0ELb0ELc67ELc76EKddEviT_PT9_S1_lS3_S1_lPT10_S1_li.num_agpr, 0
	.set _ZL37rocblas_syrkx_herkx_restricted_kernelIldLi16ELi32ELi8ELin1ELi0ELb0ELc67ELc76EKddEviT_PT9_S1_lS3_S1_lPT10_S1_li.numbered_sgpr, 28
	.set _ZL37rocblas_syrkx_herkx_restricted_kernelIldLi16ELi32ELi8ELin1ELi0ELb0ELc67ELc76EKddEviT_PT9_S1_lS3_S1_lPT10_S1_li.num_named_barrier, 0
	.set _ZL37rocblas_syrkx_herkx_restricted_kernelIldLi16ELi32ELi8ELin1ELi0ELb0ELc67ELc76EKddEviT_PT9_S1_lS3_S1_lPT10_S1_li.private_seg_size, 0
	.set _ZL37rocblas_syrkx_herkx_restricted_kernelIldLi16ELi32ELi8ELin1ELi0ELb0ELc67ELc76EKddEviT_PT9_S1_lS3_S1_lPT10_S1_li.uses_vcc, 1
	.set _ZL37rocblas_syrkx_herkx_restricted_kernelIldLi16ELi32ELi8ELin1ELi0ELb0ELc67ELc76EKddEviT_PT9_S1_lS3_S1_lPT10_S1_li.uses_flat_scratch, 0
	.set _ZL37rocblas_syrkx_herkx_restricted_kernelIldLi16ELi32ELi8ELin1ELi0ELb0ELc67ELc76EKddEviT_PT9_S1_lS3_S1_lPT10_S1_li.has_dyn_sized_stack, 0
	.set _ZL37rocblas_syrkx_herkx_restricted_kernelIldLi16ELi32ELi8ELin1ELi0ELb0ELc67ELc76EKddEviT_PT9_S1_lS3_S1_lPT10_S1_li.has_recursion, 0
	.set _ZL37rocblas_syrkx_herkx_restricted_kernelIldLi16ELi32ELi8ELin1ELi0ELb0ELc67ELc76EKddEviT_PT9_S1_lS3_S1_lPT10_S1_li.has_indirect_call, 0
	.section	.AMDGPU.csdata,"",@progbits
; Kernel info:
; codeLenInByte = 1336
; TotalNumSgprs: 32
; NumVgprs: 36
; ScratchSize: 0
; MemoryBound: 0
; FloatMode: 240
; IeeeMode: 1
; LDSByteSize: 4096 bytes/workgroup (compile time only)
; SGPRBlocks: 3
; VGPRBlocks: 8
; NumSGPRsForWavesPerEU: 32
; NumVGPRsForWavesPerEU: 36
; Occupancy: 7
; WaveLimiterHint : 1
; COMPUTE_PGM_RSRC2:SCRATCH_EN: 0
; COMPUTE_PGM_RSRC2:USER_SGPR: 6
; COMPUTE_PGM_RSRC2:TRAP_HANDLER: 0
; COMPUTE_PGM_RSRC2:TGID_X_EN: 1
; COMPUTE_PGM_RSRC2:TGID_Y_EN: 1
; COMPUTE_PGM_RSRC2:TGID_Z_EN: 1
; COMPUTE_PGM_RSRC2:TIDIG_COMP_CNT: 1
	.section	.text._ZL37rocblas_syrkx_herkx_restricted_kernelIldLi16ELi32ELi8ELin1ELi0ELb0ELc78ELc76EKddEviT_PT9_S1_lS3_S1_lPT10_S1_li,"axG",@progbits,_ZL37rocblas_syrkx_herkx_restricted_kernelIldLi16ELi32ELi8ELin1ELi0ELb0ELc78ELc76EKddEviT_PT9_S1_lS3_S1_lPT10_S1_li,comdat
	.globl	_ZL37rocblas_syrkx_herkx_restricted_kernelIldLi16ELi32ELi8ELin1ELi0ELb0ELc78ELc76EKddEviT_PT9_S1_lS3_S1_lPT10_S1_li ; -- Begin function _ZL37rocblas_syrkx_herkx_restricted_kernelIldLi16ELi32ELi8ELin1ELi0ELb0ELc78ELc76EKddEviT_PT9_S1_lS3_S1_lPT10_S1_li
	.p2align	8
	.type	_ZL37rocblas_syrkx_herkx_restricted_kernelIldLi16ELi32ELi8ELin1ELi0ELb0ELc78ELc76EKddEviT_PT9_S1_lS3_S1_lPT10_S1_li,@function
_ZL37rocblas_syrkx_herkx_restricted_kernelIldLi16ELi32ELi8ELin1ELi0ELb0ELc78ELc76EKddEviT_PT9_S1_lS3_S1_lPT10_S1_li: ; @_ZL37rocblas_syrkx_herkx_restricted_kernelIldLi16ELi32ELi8ELin1ELi0ELb0ELc78ELc76EKddEviT_PT9_S1_lS3_S1_lPT10_S1_li
; %bb.0:
	s_load_dwordx16 s[12:27], s[4:5], 0x8
	s_lshl_b32 s9, s6, 5
	s_lshl_b32 s10, s7, 5
	s_waitcnt lgkmcnt(0)
	v_cmp_lt_i64_e64 s[0:1], s[12:13], 1
	s_and_b64 vcc, exec, s[0:1]
	s_cbranch_vccnz .LBB1023_3
; %bb.1:
	v_lshl_add_u32 v6, v1, 4, v0
	v_lshrrev_b32_e32 v7, 3, v6
	v_add_u32_e32 v2, s10, v7
	v_and_b32_e32 v5, 7, v0
	v_ashrrev_i32_e32 v3, 31, v2
	v_mad_u64_u32 v[2:3], s[0:1], s22, v5, v[2:3]
	v_lshrrev_b32_e32 v8, 5, v6
	s_mul_i32 s2, s19, s8
	v_mad_u64_u32 v[3:4], s[0:1], s23, v5, v[3:4]
	v_and_b32_e32 v4, 31, v6
	v_lshlrev_b32_e32 v5, 3, v5
	v_lshlrev_b32_e32 v6, 3, v4
	v_lshl_or_b32 v5, v7, 6, v5
	v_add_u32_e32 v4, s9, v4
	v_add_u32_e32 v15, 0x800, v5
	v_ashrrev_i32_e32 v5, 31, v4
	v_mad_u64_u32 v[4:5], s[0:1], s16, v8, v[4:5]
	v_lshl_or_b32 v14, v8, 8, v6
	v_mov_b32_e32 v6, 0x800
	v_lshl_add_u32 v17, v1, 6, v6
	v_mad_u64_u32 v[5:6], s[0:1], s17, v8, v[5:6]
	s_mul_hi_u32 s3, s18, s8
	s_add_i32 s1, s3, s2
	s_mul_i32 s0, s18, s8
	s_lshl_b64 s[0:1], s[0:1], 3
	v_lshlrev_b64 v[4:5], 3, v[4:5]
	s_add_u32 s0, s14, s0
	s_mul_i32 s2, s25, s8
	s_mul_hi_u32 s3, s24, s8
	s_addc_u32 s1, s15, s1
	s_add_i32 s3, s3, s2
	s_mul_i32 s2, s24, s8
	v_mov_b32_e32 v6, s1
	v_add_co_u32_e32 v4, vcc, s0, v4
	s_lshl_b64 s[0:1], s[16:17], 6
	s_lshl_b64 s[2:3], s[2:3], 3
	v_lshlrev_b64 v[2:3], 3, v[2:3]
	s_add_u32 s2, s20, s2
	v_addc_co_u32_e32 v5, vcc, v6, v5, vcc
	s_addc_u32 s3, s21, s3
	v_mov_b32_e32 v6, s3
	v_add_co_u32_e32 v8, vcc, s2, v2
	v_addc_co_u32_e32 v9, vcc, v6, v3, vcc
	s_lshl_b64 s[2:3], s[22:23], 6
	v_mov_b32_e32 v2, 0
	v_mov_b32_e32 v6, 0
	;; [unrolled: 1-line block ×4, first 2 shown]
	v_lshlrev_b32_e32 v16, 3, v0
	v_mov_b32_e32 v3, 0
	s_mov_b64 s[6:7], 0
	v_mov_b32_e32 v18, s1
	v_mov_b32_e32 v7, 0
	;; [unrolled: 1-line block ×5, first 2 shown]
.LBB1023_2:                             ; =>This Inner Loop Header: Depth=1
	global_load_dwordx2 v[20:21], v[4:5], off
	global_load_dwordx2 v[22:23], v[8:9], off
	s_add_u32 s6, s6, 8
	v_add_co_u32_e32 v4, vcc, s0, v4
	v_addc_co_u32_e32 v5, vcc, v5, v18, vcc
	s_addc_u32 s7, s7, 0
	v_add_co_u32_e32 v8, vcc, s2, v8
	v_addc_co_u32_e32 v9, vcc, v9, v19, vcc
	s_waitcnt vmcnt(1)
	ds_write_b64 v14, v[20:21]
	s_waitcnt vmcnt(0)
	ds_write_b64 v15, v[22:23]
	s_waitcnt lgkmcnt(0)
	s_barrier
	ds_read2_b64 v[20:23], v16 offset1:16
	ds_read_b128 v[24:27], v17
	ds_read_b128 v[28:31], v17 offset:16
	s_waitcnt lgkmcnt(1)
	v_fma_f64 v[36:37], v[20:21], v[24:25], v[12:13]
	v_fma_f64 v[24:25], v[22:23], v[24:25], v[10:11]
	ds_read_b128 v[10:13], v17 offset:1024
	ds_read_b128 v[32:35], v17 offset:1040
	s_waitcnt lgkmcnt(1)
	v_fma_f64 v[6:7], v[20:21], v[10:11], v[6:7]
	v_fma_f64 v[2:3], v[22:23], v[10:11], v[2:3]
	ds_read2_b64 v[20:23], v16 offset0:32 offset1:48
	s_waitcnt lgkmcnt(0)
	v_fma_f64 v[36:37], v[20:21], v[26:27], v[36:37]
	v_fma_f64 v[24:25], v[22:23], v[26:27], v[24:25]
	v_fma_f64 v[6:7], v[20:21], v[12:13], v[6:7]
	v_fma_f64 v[2:3], v[22:23], v[12:13], v[2:3]
	ds_read2_b64 v[10:13], v16 offset0:64 offset1:80
	s_waitcnt lgkmcnt(0)
	v_fma_f64 v[20:21], v[10:11], v[28:29], v[36:37]
	v_fma_f64 v[22:23], v[12:13], v[28:29], v[24:25]
	;; [unrolled: 6-line block ×3, first 2 shown]
	ds_read2_b64 v[20:23], v16 offset0:128 offset1:144
	v_fma_f64 v[6:7], v[10:11], v[34:35], v[6:7]
	v_fma_f64 v[2:3], v[12:13], v[34:35], v[2:3]
	ds_read_b128 v[10:13], v17 offset:32
	ds_read_b128 v[24:27], v17 offset:48
	s_waitcnt lgkmcnt(1)
	v_fma_f64 v[36:37], v[20:21], v[10:11], v[28:29]
	v_fma_f64 v[10:11], v[22:23], v[10:11], v[30:31]
	ds_read_b128 v[28:31], v17 offset:1056
	ds_read_b128 v[32:35], v17 offset:1072
	s_waitcnt lgkmcnt(1)
	v_fma_f64 v[6:7], v[20:21], v[28:29], v[6:7]
	v_fma_f64 v[2:3], v[22:23], v[28:29], v[2:3]
	ds_read2_b64 v[20:23], v16 offset0:160 offset1:176
	s_waitcnt lgkmcnt(0)
	v_fma_f64 v[28:29], v[20:21], v[12:13], v[36:37]
	v_fma_f64 v[36:37], v[22:23], v[12:13], v[10:11]
	;; [unrolled: 1-line block ×4, first 2 shown]
	ds_read2_b64 v[10:13], v16 offset0:192 offset1:208
	ds_read2_b64 v[20:23], v16 offset0:224 offset1:240
	v_mov_b32_e32 v31, s7
	v_mov_b32_e32 v30, s6
	v_cmp_le_u64_e32 vcc, s[12:13], v[30:31]
	s_waitcnt lgkmcnt(1)
	v_fma_f64 v[28:29], v[10:11], v[24:25], v[28:29]
	v_fma_f64 v[24:25], v[12:13], v[24:25], v[36:37]
	;; [unrolled: 1-line block ×4, first 2 shown]
	s_and_b64 vcc, exec, vcc
	s_waitcnt lgkmcnt(0)
	s_barrier
	v_fma_f64 v[12:13], v[20:21], v[26:27], v[28:29]
	v_fma_f64 v[10:11], v[22:23], v[26:27], v[24:25]
	;; [unrolled: 1-line block ×4, first 2 shown]
	s_cbranch_vccz .LBB1023_2
	s_branch .LBB1023_4
.LBB1023_3:
	v_mov_b32_e32 v12, 0
	v_mov_b32_e32 v10, 0
	;; [unrolled: 1-line block ×8, first 2 shown]
.LBB1023_4:
	s_load_dwordx4 s[12:15], s[4:5], 0x48
	s_load_dword s11, s[4:5], 0x0
	v_add_u32_e32 v8, s10, v1
	v_ashrrev_i32_e32 v1, 31, v8
	v_add_u32_e32 v0, s9, v0
	s_waitcnt lgkmcnt(0)
	s_mul_i32 s1, s15, s8
	s_mul_hi_u32 s2, s14, s8
	s_add_i32 s1, s2, s1
	v_mul_lo_u32 v1, s12, v1
	v_mul_lo_u32 v9, s13, v8
	v_mad_u64_u32 v[4:5], s[2:3], s12, v8, 0
	s_mul_i32 s0, s14, s8
	s_lshl_b64 s[0:1], s[0:1], 3
	v_add3_u32 v5, v5, v1, v9
	s_add_u32 s6, s26, s0
	v_lshlrev_b64 v[4:5], 3, v[4:5]
	s_addc_u32 s7, s27, s1
	v_mov_b32_e32 v1, s7
	v_add_co_u32_e32 v9, vcc, s6, v4
	v_addc_co_u32_e32 v14, vcc, v1, v5, vcc
	v_cmp_le_i32_e64 s[0:1], v8, v0
	v_cmp_gt_i32_e32 vcc, s11, v0
	s_and_b64 s[0:1], s[0:1], vcc
	s_and_saveexec_b64 s[2:3], s[0:1]
	s_cbranch_execz .LBB1023_6
; %bb.5:
	v_ashrrev_i32_e32 v1, 31, v0
	v_lshlrev_b64 v[4:5], 3, v[0:1]
	v_xor_b32_e32 v13, 0x80000000, v13
	v_add_co_u32_e64 v4, s[0:1], v9, v4
	v_addc_co_u32_e64 v5, s[0:1], v14, v5, s[0:1]
	global_store_dwordx2 v[4:5], v[12:13], off
.LBB1023_6:
	s_or_b64 exec, exec, s[2:3]
	v_add_u32_e32 v4, 16, v0
	v_cmp_le_i32_e64 s[2:3], v8, v4
	v_cmp_gt_i32_e64 s[0:1], s11, v4
	s_and_b64 s[2:3], s[2:3], s[0:1]
	s_and_saveexec_b64 s[4:5], s[2:3]
	s_cbranch_execz .LBB1023_8
; %bb.7:
	v_ashrrev_i32_e32 v5, 31, v4
	v_lshlrev_b64 v[12:13], 3, v[4:5]
	v_xor_b32_e32 v11, 0x80000000, v11
	v_add_co_u32_e64 v12, s[2:3], v9, v12
	v_addc_co_u32_e64 v13, s[2:3], v14, v13, s[2:3]
	global_store_dwordx2 v[12:13], v[10:11], off
.LBB1023_8:
	s_or_b64 exec, exec, s[4:5]
	v_add_u32_e32 v5, 16, v8
	v_ashrrev_i32_e32 v1, 31, v5
	v_mul_lo_u32 v10, s13, v5
	v_mad_u64_u32 v[8:9], s[2:3], s12, v5, 0
	v_mul_lo_u32 v1, s12, v1
	v_add3_u32 v9, v9, v1, v10
	v_lshlrev_b64 v[8:9], 3, v[8:9]
	v_mov_b32_e32 v1, s7
	v_add_co_u32_e64 v8, s[2:3], s6, v8
	v_addc_co_u32_e64 v9, s[2:3], v1, v9, s[2:3]
	v_cmp_le_i32_e64 s[2:3], v5, v0
	s_and_b64 s[4:5], s[2:3], vcc
	s_and_saveexec_b64 s[2:3], s[4:5]
	s_cbranch_execz .LBB1023_10
; %bb.9:
	v_ashrrev_i32_e32 v1, 31, v0
	v_lshlrev_b64 v[0:1], 3, v[0:1]
	v_xor_b32_e32 v7, 0x80000000, v7
	v_add_co_u32_e32 v0, vcc, v8, v0
	v_addc_co_u32_e32 v1, vcc, v9, v1, vcc
	global_store_dwordx2 v[0:1], v[6:7], off
.LBB1023_10:
	s_or_b64 exec, exec, s[2:3]
	v_cmp_le_i32_e32 vcc, v5, v4
	s_and_b64 s[0:1], vcc, s[0:1]
	s_and_saveexec_b64 s[2:3], s[0:1]
	s_cbranch_execz .LBB1023_12
; %bb.11:
	v_ashrrev_i32_e32 v5, 31, v4
	v_lshlrev_b64 v[0:1], 3, v[4:5]
	v_xor_b32_e32 v3, 0x80000000, v3
	v_add_co_u32_e32 v0, vcc, v8, v0
	v_addc_co_u32_e32 v1, vcc, v9, v1, vcc
	global_store_dwordx2 v[0:1], v[2:3], off
.LBB1023_12:
	s_endpgm
	.section	.rodata,"a",@progbits
	.p2align	6, 0x0
	.amdhsa_kernel _ZL37rocblas_syrkx_herkx_restricted_kernelIldLi16ELi32ELi8ELin1ELi0ELb0ELc78ELc76EKddEviT_PT9_S1_lS3_S1_lPT10_S1_li
		.amdhsa_group_segment_fixed_size 4096
		.amdhsa_private_segment_fixed_size 0
		.amdhsa_kernarg_size 92
		.amdhsa_user_sgpr_count 6
		.amdhsa_user_sgpr_private_segment_buffer 1
		.amdhsa_user_sgpr_dispatch_ptr 0
		.amdhsa_user_sgpr_queue_ptr 0
		.amdhsa_user_sgpr_kernarg_segment_ptr 1
		.amdhsa_user_sgpr_dispatch_id 0
		.amdhsa_user_sgpr_flat_scratch_init 0
		.amdhsa_user_sgpr_private_segment_size 0
		.amdhsa_uses_dynamic_stack 0
		.amdhsa_system_sgpr_private_segment_wavefront_offset 0
		.amdhsa_system_sgpr_workgroup_id_x 1
		.amdhsa_system_sgpr_workgroup_id_y 1
		.amdhsa_system_sgpr_workgroup_id_z 1
		.amdhsa_system_sgpr_workgroup_info 0
		.amdhsa_system_vgpr_workitem_id 1
		.amdhsa_next_free_vgpr 38
		.amdhsa_next_free_sgpr 28
		.amdhsa_reserve_vcc 1
		.amdhsa_reserve_flat_scratch 0
		.amdhsa_float_round_mode_32 0
		.amdhsa_float_round_mode_16_64 0
		.amdhsa_float_denorm_mode_32 3
		.amdhsa_float_denorm_mode_16_64 3
		.amdhsa_dx10_clamp 1
		.amdhsa_ieee_mode 1
		.amdhsa_fp16_overflow 0
		.amdhsa_exception_fp_ieee_invalid_op 0
		.amdhsa_exception_fp_denorm_src 0
		.amdhsa_exception_fp_ieee_div_zero 0
		.amdhsa_exception_fp_ieee_overflow 0
		.amdhsa_exception_fp_ieee_underflow 0
		.amdhsa_exception_fp_ieee_inexact 0
		.amdhsa_exception_int_div_zero 0
	.end_amdhsa_kernel
	.section	.text._ZL37rocblas_syrkx_herkx_restricted_kernelIldLi16ELi32ELi8ELin1ELi0ELb0ELc78ELc76EKddEviT_PT9_S1_lS3_S1_lPT10_S1_li,"axG",@progbits,_ZL37rocblas_syrkx_herkx_restricted_kernelIldLi16ELi32ELi8ELin1ELi0ELb0ELc78ELc76EKddEviT_PT9_S1_lS3_S1_lPT10_S1_li,comdat
.Lfunc_end1023:
	.size	_ZL37rocblas_syrkx_herkx_restricted_kernelIldLi16ELi32ELi8ELin1ELi0ELb0ELc78ELc76EKddEviT_PT9_S1_lS3_S1_lPT10_S1_li, .Lfunc_end1023-_ZL37rocblas_syrkx_herkx_restricted_kernelIldLi16ELi32ELi8ELin1ELi0ELb0ELc78ELc76EKddEviT_PT9_S1_lS3_S1_lPT10_S1_li
                                        ; -- End function
	.set _ZL37rocblas_syrkx_herkx_restricted_kernelIldLi16ELi32ELi8ELin1ELi0ELb0ELc78ELc76EKddEviT_PT9_S1_lS3_S1_lPT10_S1_li.num_vgpr, 38
	.set _ZL37rocblas_syrkx_herkx_restricted_kernelIldLi16ELi32ELi8ELin1ELi0ELb0ELc78ELc76EKddEviT_PT9_S1_lS3_S1_lPT10_S1_li.num_agpr, 0
	.set _ZL37rocblas_syrkx_herkx_restricted_kernelIldLi16ELi32ELi8ELin1ELi0ELb0ELc78ELc76EKddEviT_PT9_S1_lS3_S1_lPT10_S1_li.numbered_sgpr, 28
	.set _ZL37rocblas_syrkx_herkx_restricted_kernelIldLi16ELi32ELi8ELin1ELi0ELb0ELc78ELc76EKddEviT_PT9_S1_lS3_S1_lPT10_S1_li.num_named_barrier, 0
	.set _ZL37rocblas_syrkx_herkx_restricted_kernelIldLi16ELi32ELi8ELin1ELi0ELb0ELc78ELc76EKddEviT_PT9_S1_lS3_S1_lPT10_S1_li.private_seg_size, 0
	.set _ZL37rocblas_syrkx_herkx_restricted_kernelIldLi16ELi32ELi8ELin1ELi0ELb0ELc78ELc76EKddEviT_PT9_S1_lS3_S1_lPT10_S1_li.uses_vcc, 1
	.set _ZL37rocblas_syrkx_herkx_restricted_kernelIldLi16ELi32ELi8ELin1ELi0ELb0ELc78ELc76EKddEviT_PT9_S1_lS3_S1_lPT10_S1_li.uses_flat_scratch, 0
	.set _ZL37rocblas_syrkx_herkx_restricted_kernelIldLi16ELi32ELi8ELin1ELi0ELb0ELc78ELc76EKddEviT_PT9_S1_lS3_S1_lPT10_S1_li.has_dyn_sized_stack, 0
	.set _ZL37rocblas_syrkx_herkx_restricted_kernelIldLi16ELi32ELi8ELin1ELi0ELb0ELc78ELc76EKddEviT_PT9_S1_lS3_S1_lPT10_S1_li.has_recursion, 0
	.set _ZL37rocblas_syrkx_herkx_restricted_kernelIldLi16ELi32ELi8ELin1ELi0ELb0ELc78ELc76EKddEviT_PT9_S1_lS3_S1_lPT10_S1_li.has_indirect_call, 0
	.section	.AMDGPU.csdata,"",@progbits
; Kernel info:
; codeLenInByte = 1312
; TotalNumSgprs: 32
; NumVgprs: 38
; ScratchSize: 0
; MemoryBound: 0
; FloatMode: 240
; IeeeMode: 1
; LDSByteSize: 4096 bytes/workgroup (compile time only)
; SGPRBlocks: 3
; VGPRBlocks: 9
; NumSGPRsForWavesPerEU: 32
; NumVGPRsForWavesPerEU: 38
; Occupancy: 6
; WaveLimiterHint : 1
; COMPUTE_PGM_RSRC2:SCRATCH_EN: 0
; COMPUTE_PGM_RSRC2:USER_SGPR: 6
; COMPUTE_PGM_RSRC2:TRAP_HANDLER: 0
; COMPUTE_PGM_RSRC2:TGID_X_EN: 1
; COMPUTE_PGM_RSRC2:TGID_Y_EN: 1
; COMPUTE_PGM_RSRC2:TGID_Z_EN: 1
; COMPUTE_PGM_RSRC2:TIDIG_COMP_CNT: 1
	.section	.text._ZL37rocblas_syrkx_herkx_restricted_kernelIldLi16ELi32ELi8ELin1ELi0ELb0ELc84ELc85EKddEviT_PT9_S1_lS3_S1_lPT10_S1_li,"axG",@progbits,_ZL37rocblas_syrkx_herkx_restricted_kernelIldLi16ELi32ELi8ELin1ELi0ELb0ELc84ELc85EKddEviT_PT9_S1_lS3_S1_lPT10_S1_li,comdat
	.globl	_ZL37rocblas_syrkx_herkx_restricted_kernelIldLi16ELi32ELi8ELin1ELi0ELb0ELc84ELc85EKddEviT_PT9_S1_lS3_S1_lPT10_S1_li ; -- Begin function _ZL37rocblas_syrkx_herkx_restricted_kernelIldLi16ELi32ELi8ELin1ELi0ELb0ELc84ELc85EKddEviT_PT9_S1_lS3_S1_lPT10_S1_li
	.p2align	8
	.type	_ZL37rocblas_syrkx_herkx_restricted_kernelIldLi16ELi32ELi8ELin1ELi0ELb0ELc84ELc85EKddEviT_PT9_S1_lS3_S1_lPT10_S1_li,@function
_ZL37rocblas_syrkx_herkx_restricted_kernelIldLi16ELi32ELi8ELin1ELi0ELb0ELc84ELc85EKddEviT_PT9_S1_lS3_S1_lPT10_S1_li: ; @_ZL37rocblas_syrkx_herkx_restricted_kernelIldLi16ELi32ELi8ELin1ELi0ELb0ELc84ELc85EKddEviT_PT9_S1_lS3_S1_lPT10_S1_li
; %bb.0:
	s_load_dwordx16 s[12:27], s[4:5], 0x8
	s_lshl_b32 s2, s6, 5
	s_lshl_b32 s3, s7, 5
	s_waitcnt lgkmcnt(0)
	v_cmp_lt_i64_e64 s[0:1], s[12:13], 1
	s_and_b64 vcc, exec, s[0:1]
	s_cbranch_vccnz .LBB1024_3
; %bb.1:
	v_lshl_add_u32 v4, v1, 4, v0
	v_lshrrev_b32_e32 v8, 3, v4
	v_add_u32_e32 v5, s3, v8
	v_ashrrev_i32_e32 v6, 31, v5
	v_and_b32_e32 v2, 7, v0
	v_mov_b32_e32 v3, 0
	v_mul_lo_u32 v9, s22, v6
	v_mul_lo_u32 v10, s23, v5
	v_mad_u64_u32 v[6:7], s[0:1], s22, v5, v[2:3]
	v_lshlrev_b32_e32 v2, 3, v2
	v_lshl_or_b32 v2, v8, 6, v2
	v_add3_u32 v7, v10, v7, v9
	v_and_b32_e32 v9, 31, v4
	v_add_u32_e32 v15, 0x800, v2
	v_mov_b32_e32 v2, 0x800
	v_add_u32_e32 v8, s2, v9
	v_lshrrev_b32_e32 v4, 5, v4
	v_mov_b32_e32 v5, v3
	v_lshlrev_b32_e32 v3, 3, v9
	v_lshl_add_u32 v17, v1, 6, v2
	v_ashrrev_i32_e32 v2, 31, v8
	v_lshl_or_b32 v14, v4, 8, v3
	v_mul_lo_u32 v9, s16, v2
	v_mad_u64_u32 v[2:3], s[0:1], s16, v8, v[4:5]
	v_mul_lo_u32 v4, s17, v8
	s_mul_i32 s6, s19, s8
	s_mul_hi_u32 s7, s18, s8
	s_add_i32 s1, s7, s6
	s_mul_i32 s0, s18, s8
	s_lshl_b64 s[0:1], s[0:1], 3
	v_add3_u32 v3, v4, v3, v9
	v_lshlrev_b64 v[2:3], 3, v[2:3]
	s_add_u32 s0, s14, s0
	s_addc_u32 s1, s15, s1
	v_mov_b32_e32 v5, s1
	v_add_co_u32_e32 v4, vcc, s0, v2
	s_mul_i32 s0, s25, s8
	s_mul_hi_u32 s1, s24, s8
	s_add_i32 s1, s1, s0
	s_mul_i32 s0, s24, s8
	s_lshl_b64 s[0:1], s[0:1], 3
	v_addc_co_u32_e32 v5, vcc, v5, v3, vcc
	v_lshlrev_b64 v[2:3], 3, v[6:7]
	s_add_u32 s0, s20, s0
	s_addc_u32 s1, s21, s1
	v_mov_b32_e32 v6, s1
	v_add_co_u32_e32 v8, vcc, s0, v2
	v_addc_co_u32_e32 v9, vcc, v6, v3, vcc
	v_mov_b32_e32 v2, 0
	v_mov_b32_e32 v6, 0
	;; [unrolled: 1-line block ×4, first 2 shown]
	v_lshlrev_b32_e32 v16, 3, v0
	v_mov_b32_e32 v3, 0
	v_mov_b32_e32 v7, 0
	;; [unrolled: 1-line block ×4, first 2 shown]
	s_mov_b64 s[0:1], 0
.LBB1024_2:                             ; =>This Inner Loop Header: Depth=1
	global_load_dwordx2 v[18:19], v[4:5], off
	global_load_dwordx2 v[20:21], v[8:9], off
	s_add_u32 s0, s0, 8
	v_add_co_u32_e32 v4, vcc, 64, v4
	v_addc_co_u32_e32 v5, vcc, 0, v5, vcc
	s_addc_u32 s1, s1, 0
	v_add_co_u32_e32 v8, vcc, 64, v8
	v_addc_co_u32_e32 v9, vcc, 0, v9, vcc
	s_waitcnt vmcnt(1)
	ds_write_b64 v14, v[18:19]
	s_waitcnt vmcnt(0)
	ds_write_b64 v15, v[20:21]
	s_waitcnt lgkmcnt(0)
	s_barrier
	ds_read2_b64 v[18:21], v16 offset1:16
	ds_read_b128 v[22:25], v17
	ds_read_b128 v[26:29], v17 offset:1024
	ds_read_b128 v[30:33], v17 offset:16
	s_waitcnt lgkmcnt(2)
	v_fma_f64 v[34:35], v[18:19], v[22:23], v[12:13]
	v_fma_f64 v[22:23], v[20:21], v[22:23], v[10:11]
	s_waitcnt lgkmcnt(1)
	v_fma_f64 v[6:7], v[18:19], v[26:27], v[6:7]
	v_fma_f64 v[2:3], v[20:21], v[26:27], v[2:3]
	ds_read2_b64 v[18:21], v16 offset0:32 offset1:48
	ds_read_b128 v[10:13], v17 offset:1040
	s_waitcnt lgkmcnt(1)
	v_fma_f64 v[26:27], v[18:19], v[24:25], v[34:35]
	v_fma_f64 v[34:35], v[20:21], v[24:25], v[22:23]
	;; [unrolled: 1-line block ×4, first 2 shown]
	ds_read2_b64 v[18:21], v16 offset0:64 offset1:80
	ds_read2_b64 v[22:25], v16 offset0:96 offset1:112
	s_waitcnt lgkmcnt(1)
	v_fma_f64 v[26:27], v[18:19], v[30:31], v[26:27]
	v_fma_f64 v[28:29], v[20:21], v[30:31], v[34:35]
	;; [unrolled: 1-line block ×4, first 2 shown]
	ds_read2_b64 v[18:21], v16 offset0:128 offset1:144
	s_waitcnt lgkmcnt(1)
	v_fma_f64 v[30:31], v[22:23], v[32:33], v[26:27]
	v_fma_f64 v[32:33], v[24:25], v[32:33], v[28:29]
	v_fma_f64 v[6:7], v[22:23], v[12:13], v[6:7]
	v_fma_f64 v[2:3], v[24:25], v[12:13], v[2:3]
	ds_read_b128 v[26:29], v17 offset:32
	ds_read_b128 v[10:13], v17 offset:1056
	;; [unrolled: 1-line block ×3, first 2 shown]
	s_waitcnt lgkmcnt(2)
	v_fma_f64 v[34:35], v[18:19], v[26:27], v[30:31]
	v_fma_f64 v[26:27], v[20:21], v[26:27], v[32:33]
	s_waitcnt lgkmcnt(1)
	v_fma_f64 v[6:7], v[18:19], v[10:11], v[6:7]
	v_fma_f64 v[2:3], v[20:21], v[10:11], v[2:3]
	ds_read2_b64 v[18:21], v16 offset0:160 offset1:176
	ds_read_b128 v[30:33], v17 offset:1072
	s_waitcnt lgkmcnt(1)
	v_fma_f64 v[34:35], v[18:19], v[28:29], v[34:35]
	v_fma_f64 v[26:27], v[20:21], v[28:29], v[26:27]
	;; [unrolled: 1-line block ×4, first 2 shown]
	ds_read2_b64 v[10:13], v16 offset0:192 offset1:208
	ds_read2_b64 v[18:21], v16 offset0:224 offset1:240
	v_mov_b32_e32 v29, s1
	v_mov_b32_e32 v28, s0
	v_cmp_le_u64_e32 vcc, s[12:13], v[28:29]
	s_waitcnt lgkmcnt(1)
	v_fma_f64 v[34:35], v[10:11], v[22:23], v[34:35]
	v_fma_f64 v[22:23], v[12:13], v[22:23], v[26:27]
	;; [unrolled: 1-line block ×4, first 2 shown]
	s_and_b64 vcc, exec, vcc
	s_waitcnt lgkmcnt(0)
	s_barrier
	v_fma_f64 v[12:13], v[18:19], v[24:25], v[34:35]
	v_fma_f64 v[10:11], v[20:21], v[24:25], v[22:23]
	;; [unrolled: 1-line block ×4, first 2 shown]
	s_cbranch_vccz .LBB1024_2
	s_branch .LBB1024_4
.LBB1024_3:
	v_mov_b32_e32 v12, 0
	v_mov_b32_e32 v10, 0
	;; [unrolled: 1-line block ×8, first 2 shown]
.LBB1024_4:
	s_load_dwordx4 s[12:15], s[4:5], 0x48
	s_load_dword s6, s[4:5], 0x0
	v_add_u32_e32 v8, s3, v1
	v_ashrrev_i32_e32 v1, 31, v8
	v_add_u32_e32 v0, s2, v0
	s_waitcnt lgkmcnt(0)
	s_mul_i32 s1, s15, s8
	s_mul_hi_u32 s3, s14, s8
	s_mul_i32 s0, s14, s8
	v_mul_lo_u32 v1, s12, v1
	v_mul_lo_u32 v9, s13, v8
	v_mad_u64_u32 v[4:5], s[8:9], s12, v8, 0
	s_add_i32 s1, s3, s1
	s_lshl_b64 s[0:1], s[0:1], 3
	v_add3_u32 v5, v5, v1, v9
	s_add_u32 s4, s26, s0
	v_lshlrev_b64 v[4:5], 3, v[4:5]
	s_addc_u32 s5, s27, s1
	v_mov_b32_e32 v1, s5
	v_add_co_u32_e64 v9, s[0:1], s4, v4
	v_addc_co_u32_e64 v14, s[0:1], v1, v5, s[0:1]
	v_cmp_gt_i32_e32 vcc, s6, v8
	v_cmp_le_i32_e64 s[0:1], v0, v8
	s_and_b64 s[0:1], vcc, s[0:1]
	s_and_saveexec_b64 s[2:3], s[0:1]
	s_cbranch_execz .LBB1024_6
; %bb.5:
	v_ashrrev_i32_e32 v1, 31, v0
	v_lshlrev_b64 v[4:5], 3, v[0:1]
	v_xor_b32_e32 v13, 0x80000000, v13
	v_add_co_u32_e64 v4, s[0:1], v9, v4
	v_addc_co_u32_e64 v5, s[0:1], v14, v5, s[0:1]
	global_store_dwordx2 v[4:5], v[12:13], off
.LBB1024_6:
	s_or_b64 exec, exec, s[2:3]
	v_add_u32_e32 v4, 16, v0
	v_cmp_le_i32_e64 s[0:1], v4, v8
	s_and_b64 s[2:3], vcc, s[0:1]
	s_and_saveexec_b64 s[0:1], s[2:3]
	s_cbranch_execz .LBB1024_8
; %bb.7:
	v_ashrrev_i32_e32 v5, 31, v4
	v_lshlrev_b64 v[12:13], 3, v[4:5]
	v_xor_b32_e32 v11, 0x80000000, v11
	v_add_co_u32_e32 v12, vcc, v9, v12
	v_addc_co_u32_e32 v13, vcc, v14, v13, vcc
	global_store_dwordx2 v[12:13], v[10:11], off
.LBB1024_8:
	s_or_b64 exec, exec, s[0:1]
	v_add_u32_e32 v5, 16, v8
	v_ashrrev_i32_e32 v1, 31, v5
	v_mul_lo_u32 v1, s12, v1
	v_mul_lo_u32 v10, s13, v5
	v_mad_u64_u32 v[8:9], s[0:1], s12, v5, 0
	v_cmp_gt_i32_e32 vcc, s6, v5
	v_add3_u32 v9, v9, v1, v10
	v_lshlrev_b64 v[8:9], 3, v[8:9]
	v_mov_b32_e32 v1, s5
	v_add_co_u32_e64 v8, s[0:1], s4, v8
	v_addc_co_u32_e64 v9, s[0:1], v1, v9, s[0:1]
	v_cmp_le_i32_e64 s[0:1], v0, v5
	s_and_b64 s[0:1], vcc, s[0:1]
	s_and_saveexec_b64 s[2:3], s[0:1]
	s_cbranch_execz .LBB1024_10
; %bb.9:
	v_ashrrev_i32_e32 v1, 31, v0
	v_lshlrev_b64 v[0:1], 3, v[0:1]
	v_xor_b32_e32 v7, 0x80000000, v7
	v_add_co_u32_e64 v0, s[0:1], v8, v0
	v_addc_co_u32_e64 v1, s[0:1], v9, v1, s[0:1]
	global_store_dwordx2 v[0:1], v[6:7], off
.LBB1024_10:
	s_or_b64 exec, exec, s[2:3]
	v_cmp_le_i32_e64 s[0:1], v4, v5
	s_and_b64 s[0:1], vcc, s[0:1]
	s_and_saveexec_b64 s[2:3], s[0:1]
	s_cbranch_execz .LBB1024_12
; %bb.11:
	v_ashrrev_i32_e32 v5, 31, v4
	v_lshlrev_b64 v[0:1], 3, v[4:5]
	v_xor_b32_e32 v3, 0x80000000, v3
	v_add_co_u32_e32 v0, vcc, v8, v0
	v_addc_co_u32_e32 v1, vcc, v9, v1, vcc
	global_store_dwordx2 v[0:1], v[2:3], off
.LBB1024_12:
	s_endpgm
	.section	.rodata,"a",@progbits
	.p2align	6, 0x0
	.amdhsa_kernel _ZL37rocblas_syrkx_herkx_restricted_kernelIldLi16ELi32ELi8ELin1ELi0ELb0ELc84ELc85EKddEviT_PT9_S1_lS3_S1_lPT10_S1_li
		.amdhsa_group_segment_fixed_size 4096
		.amdhsa_private_segment_fixed_size 0
		.amdhsa_kernarg_size 92
		.amdhsa_user_sgpr_count 6
		.amdhsa_user_sgpr_private_segment_buffer 1
		.amdhsa_user_sgpr_dispatch_ptr 0
		.amdhsa_user_sgpr_queue_ptr 0
		.amdhsa_user_sgpr_kernarg_segment_ptr 1
		.amdhsa_user_sgpr_dispatch_id 0
		.amdhsa_user_sgpr_flat_scratch_init 0
		.amdhsa_user_sgpr_private_segment_size 0
		.amdhsa_uses_dynamic_stack 0
		.amdhsa_system_sgpr_private_segment_wavefront_offset 0
		.amdhsa_system_sgpr_workgroup_id_x 1
		.amdhsa_system_sgpr_workgroup_id_y 1
		.amdhsa_system_sgpr_workgroup_id_z 1
		.amdhsa_system_sgpr_workgroup_info 0
		.amdhsa_system_vgpr_workitem_id 1
		.amdhsa_next_free_vgpr 36
		.amdhsa_next_free_sgpr 28
		.amdhsa_reserve_vcc 1
		.amdhsa_reserve_flat_scratch 0
		.amdhsa_float_round_mode_32 0
		.amdhsa_float_round_mode_16_64 0
		.amdhsa_float_denorm_mode_32 3
		.amdhsa_float_denorm_mode_16_64 3
		.amdhsa_dx10_clamp 1
		.amdhsa_ieee_mode 1
		.amdhsa_fp16_overflow 0
		.amdhsa_exception_fp_ieee_invalid_op 0
		.amdhsa_exception_fp_denorm_src 0
		.amdhsa_exception_fp_ieee_div_zero 0
		.amdhsa_exception_fp_ieee_overflow 0
		.amdhsa_exception_fp_ieee_underflow 0
		.amdhsa_exception_fp_ieee_inexact 0
		.amdhsa_exception_int_div_zero 0
	.end_amdhsa_kernel
	.section	.text._ZL37rocblas_syrkx_herkx_restricted_kernelIldLi16ELi32ELi8ELin1ELi0ELb0ELc84ELc85EKddEviT_PT9_S1_lS3_S1_lPT10_S1_li,"axG",@progbits,_ZL37rocblas_syrkx_herkx_restricted_kernelIldLi16ELi32ELi8ELin1ELi0ELb0ELc84ELc85EKddEviT_PT9_S1_lS3_S1_lPT10_S1_li,comdat
.Lfunc_end1024:
	.size	_ZL37rocblas_syrkx_herkx_restricted_kernelIldLi16ELi32ELi8ELin1ELi0ELb0ELc84ELc85EKddEviT_PT9_S1_lS3_S1_lPT10_S1_li, .Lfunc_end1024-_ZL37rocblas_syrkx_herkx_restricted_kernelIldLi16ELi32ELi8ELin1ELi0ELb0ELc84ELc85EKddEviT_PT9_S1_lS3_S1_lPT10_S1_li
                                        ; -- End function
	.set _ZL37rocblas_syrkx_herkx_restricted_kernelIldLi16ELi32ELi8ELin1ELi0ELb0ELc84ELc85EKddEviT_PT9_S1_lS3_S1_lPT10_S1_li.num_vgpr, 36
	.set _ZL37rocblas_syrkx_herkx_restricted_kernelIldLi16ELi32ELi8ELin1ELi0ELb0ELc84ELc85EKddEviT_PT9_S1_lS3_S1_lPT10_S1_li.num_agpr, 0
	.set _ZL37rocblas_syrkx_herkx_restricted_kernelIldLi16ELi32ELi8ELin1ELi0ELb0ELc84ELc85EKddEviT_PT9_S1_lS3_S1_lPT10_S1_li.numbered_sgpr, 28
	.set _ZL37rocblas_syrkx_herkx_restricted_kernelIldLi16ELi32ELi8ELin1ELi0ELb0ELc84ELc85EKddEviT_PT9_S1_lS3_S1_lPT10_S1_li.num_named_barrier, 0
	.set _ZL37rocblas_syrkx_herkx_restricted_kernelIldLi16ELi32ELi8ELin1ELi0ELb0ELc84ELc85EKddEviT_PT9_S1_lS3_S1_lPT10_S1_li.private_seg_size, 0
	.set _ZL37rocblas_syrkx_herkx_restricted_kernelIldLi16ELi32ELi8ELin1ELi0ELb0ELc84ELc85EKddEviT_PT9_S1_lS3_S1_lPT10_S1_li.uses_vcc, 1
	.set _ZL37rocblas_syrkx_herkx_restricted_kernelIldLi16ELi32ELi8ELin1ELi0ELb0ELc84ELc85EKddEviT_PT9_S1_lS3_S1_lPT10_S1_li.uses_flat_scratch, 0
	.set _ZL37rocblas_syrkx_herkx_restricted_kernelIldLi16ELi32ELi8ELin1ELi0ELb0ELc84ELc85EKddEviT_PT9_S1_lS3_S1_lPT10_S1_li.has_dyn_sized_stack, 0
	.set _ZL37rocblas_syrkx_herkx_restricted_kernelIldLi16ELi32ELi8ELin1ELi0ELb0ELc84ELc85EKddEviT_PT9_S1_lS3_S1_lPT10_S1_li.has_recursion, 0
	.set _ZL37rocblas_syrkx_herkx_restricted_kernelIldLi16ELi32ELi8ELin1ELi0ELb0ELc84ELc85EKddEviT_PT9_S1_lS3_S1_lPT10_S1_li.has_indirect_call, 0
	.section	.AMDGPU.csdata,"",@progbits
; Kernel info:
; codeLenInByte = 1344
; TotalNumSgprs: 32
; NumVgprs: 36
; ScratchSize: 0
; MemoryBound: 0
; FloatMode: 240
; IeeeMode: 1
; LDSByteSize: 4096 bytes/workgroup (compile time only)
; SGPRBlocks: 3
; VGPRBlocks: 8
; NumSGPRsForWavesPerEU: 32
; NumVGPRsForWavesPerEU: 36
; Occupancy: 7
; WaveLimiterHint : 1
; COMPUTE_PGM_RSRC2:SCRATCH_EN: 0
; COMPUTE_PGM_RSRC2:USER_SGPR: 6
; COMPUTE_PGM_RSRC2:TRAP_HANDLER: 0
; COMPUTE_PGM_RSRC2:TGID_X_EN: 1
; COMPUTE_PGM_RSRC2:TGID_Y_EN: 1
; COMPUTE_PGM_RSRC2:TGID_Z_EN: 1
; COMPUTE_PGM_RSRC2:TIDIG_COMP_CNT: 1
	.section	.text._ZL37rocblas_syrkx_herkx_restricted_kernelIldLi16ELi32ELi8ELin1ELi0ELb0ELc67ELc85EKddEviT_PT9_S1_lS3_S1_lPT10_S1_li,"axG",@progbits,_ZL37rocblas_syrkx_herkx_restricted_kernelIldLi16ELi32ELi8ELin1ELi0ELb0ELc67ELc85EKddEviT_PT9_S1_lS3_S1_lPT10_S1_li,comdat
	.globl	_ZL37rocblas_syrkx_herkx_restricted_kernelIldLi16ELi32ELi8ELin1ELi0ELb0ELc67ELc85EKddEviT_PT9_S1_lS3_S1_lPT10_S1_li ; -- Begin function _ZL37rocblas_syrkx_herkx_restricted_kernelIldLi16ELi32ELi8ELin1ELi0ELb0ELc67ELc85EKddEviT_PT9_S1_lS3_S1_lPT10_S1_li
	.p2align	8
	.type	_ZL37rocblas_syrkx_herkx_restricted_kernelIldLi16ELi32ELi8ELin1ELi0ELb0ELc67ELc85EKddEviT_PT9_S1_lS3_S1_lPT10_S1_li,@function
_ZL37rocblas_syrkx_herkx_restricted_kernelIldLi16ELi32ELi8ELin1ELi0ELb0ELc67ELc85EKddEviT_PT9_S1_lS3_S1_lPT10_S1_li: ; @_ZL37rocblas_syrkx_herkx_restricted_kernelIldLi16ELi32ELi8ELin1ELi0ELb0ELc67ELc85EKddEviT_PT9_S1_lS3_S1_lPT10_S1_li
; %bb.0:
	s_load_dwordx16 s[12:27], s[4:5], 0x8
	s_lshl_b32 s2, s6, 5
	s_lshl_b32 s3, s7, 5
	s_waitcnt lgkmcnt(0)
	v_cmp_lt_i64_e64 s[0:1], s[12:13], 1
	s_and_b64 vcc, exec, s[0:1]
	s_cbranch_vccnz .LBB1025_3
; %bb.1:
	v_lshl_add_u32 v4, v1, 4, v0
	v_lshrrev_b32_e32 v8, 3, v4
	v_add_u32_e32 v5, s3, v8
	v_ashrrev_i32_e32 v6, 31, v5
	v_and_b32_e32 v2, 7, v0
	v_mov_b32_e32 v3, 0
	v_mul_lo_u32 v9, s22, v6
	v_mul_lo_u32 v10, s23, v5
	v_mad_u64_u32 v[6:7], s[0:1], s22, v5, v[2:3]
	v_lshlrev_b32_e32 v2, 3, v2
	v_lshl_or_b32 v2, v8, 6, v2
	v_add3_u32 v7, v10, v7, v9
	v_and_b32_e32 v9, 31, v4
	v_add_u32_e32 v15, 0x800, v2
	v_mov_b32_e32 v2, 0x800
	v_add_u32_e32 v8, s2, v9
	v_lshrrev_b32_e32 v4, 5, v4
	v_mov_b32_e32 v5, v3
	v_lshlrev_b32_e32 v3, 3, v9
	v_lshl_add_u32 v17, v1, 6, v2
	v_ashrrev_i32_e32 v2, 31, v8
	v_lshl_or_b32 v14, v4, 8, v3
	v_mul_lo_u32 v9, s16, v2
	v_mad_u64_u32 v[2:3], s[0:1], s16, v8, v[4:5]
	v_mul_lo_u32 v4, s17, v8
	s_mul_i32 s6, s19, s8
	s_mul_hi_u32 s7, s18, s8
	s_add_i32 s1, s7, s6
	s_mul_i32 s0, s18, s8
	s_lshl_b64 s[0:1], s[0:1], 3
	v_add3_u32 v3, v4, v3, v9
	v_lshlrev_b64 v[2:3], 3, v[2:3]
	s_add_u32 s0, s14, s0
	s_addc_u32 s1, s15, s1
	v_mov_b32_e32 v5, s1
	v_add_co_u32_e32 v4, vcc, s0, v2
	s_mul_i32 s0, s25, s8
	s_mul_hi_u32 s1, s24, s8
	s_add_i32 s1, s1, s0
	s_mul_i32 s0, s24, s8
	s_lshl_b64 s[0:1], s[0:1], 3
	v_addc_co_u32_e32 v5, vcc, v5, v3, vcc
	v_lshlrev_b64 v[2:3], 3, v[6:7]
	s_add_u32 s0, s20, s0
	s_addc_u32 s1, s21, s1
	v_mov_b32_e32 v6, s1
	v_add_co_u32_e32 v8, vcc, s0, v2
	v_addc_co_u32_e32 v9, vcc, v6, v3, vcc
	v_mov_b32_e32 v2, 0
	v_mov_b32_e32 v6, 0
	;; [unrolled: 1-line block ×4, first 2 shown]
	v_lshlrev_b32_e32 v16, 3, v0
	v_mov_b32_e32 v3, 0
	v_mov_b32_e32 v7, 0
	;; [unrolled: 1-line block ×4, first 2 shown]
	s_mov_b64 s[0:1], 0
.LBB1025_2:                             ; =>This Inner Loop Header: Depth=1
	global_load_dwordx2 v[18:19], v[4:5], off
	global_load_dwordx2 v[20:21], v[8:9], off
	s_add_u32 s0, s0, 8
	v_add_co_u32_e32 v4, vcc, 64, v4
	v_addc_co_u32_e32 v5, vcc, 0, v5, vcc
	s_addc_u32 s1, s1, 0
	v_add_co_u32_e32 v8, vcc, 64, v8
	v_addc_co_u32_e32 v9, vcc, 0, v9, vcc
	s_waitcnt vmcnt(1)
	ds_write_b64 v14, v[18:19]
	s_waitcnt vmcnt(0)
	ds_write_b64 v15, v[20:21]
	s_waitcnt lgkmcnt(0)
	s_barrier
	ds_read2_b64 v[18:21], v16 offset1:16
	ds_read_b128 v[22:25], v17
	ds_read_b128 v[26:29], v17 offset:1024
	ds_read_b128 v[30:33], v17 offset:16
	s_waitcnt lgkmcnt(2)
	v_fma_f64 v[34:35], v[18:19], v[22:23], v[12:13]
	v_fma_f64 v[22:23], v[20:21], v[22:23], v[10:11]
	s_waitcnt lgkmcnt(1)
	v_fma_f64 v[6:7], v[18:19], v[26:27], v[6:7]
	v_fma_f64 v[2:3], v[20:21], v[26:27], v[2:3]
	ds_read2_b64 v[18:21], v16 offset0:32 offset1:48
	ds_read_b128 v[10:13], v17 offset:1040
	s_waitcnt lgkmcnt(1)
	v_fma_f64 v[26:27], v[18:19], v[24:25], v[34:35]
	v_fma_f64 v[34:35], v[20:21], v[24:25], v[22:23]
	;; [unrolled: 1-line block ×4, first 2 shown]
	ds_read2_b64 v[18:21], v16 offset0:64 offset1:80
	ds_read2_b64 v[22:25], v16 offset0:96 offset1:112
	s_waitcnt lgkmcnt(1)
	v_fma_f64 v[26:27], v[18:19], v[30:31], v[26:27]
	v_fma_f64 v[28:29], v[20:21], v[30:31], v[34:35]
	;; [unrolled: 1-line block ×4, first 2 shown]
	ds_read2_b64 v[18:21], v16 offset0:128 offset1:144
	s_waitcnt lgkmcnt(1)
	v_fma_f64 v[30:31], v[22:23], v[32:33], v[26:27]
	v_fma_f64 v[32:33], v[24:25], v[32:33], v[28:29]
	v_fma_f64 v[6:7], v[22:23], v[12:13], v[6:7]
	v_fma_f64 v[2:3], v[24:25], v[12:13], v[2:3]
	ds_read_b128 v[26:29], v17 offset:32
	ds_read_b128 v[10:13], v17 offset:1056
	;; [unrolled: 1-line block ×3, first 2 shown]
	s_waitcnt lgkmcnt(2)
	v_fma_f64 v[34:35], v[18:19], v[26:27], v[30:31]
	v_fma_f64 v[26:27], v[20:21], v[26:27], v[32:33]
	s_waitcnt lgkmcnt(1)
	v_fma_f64 v[6:7], v[18:19], v[10:11], v[6:7]
	v_fma_f64 v[2:3], v[20:21], v[10:11], v[2:3]
	ds_read2_b64 v[18:21], v16 offset0:160 offset1:176
	ds_read_b128 v[30:33], v17 offset:1072
	s_waitcnt lgkmcnt(1)
	v_fma_f64 v[34:35], v[18:19], v[28:29], v[34:35]
	v_fma_f64 v[26:27], v[20:21], v[28:29], v[26:27]
	v_fma_f64 v[6:7], v[18:19], v[12:13], v[6:7]
	v_fma_f64 v[2:3], v[20:21], v[12:13], v[2:3]
	ds_read2_b64 v[10:13], v16 offset0:192 offset1:208
	ds_read2_b64 v[18:21], v16 offset0:224 offset1:240
	v_mov_b32_e32 v29, s1
	v_mov_b32_e32 v28, s0
	v_cmp_le_u64_e32 vcc, s[12:13], v[28:29]
	s_waitcnt lgkmcnt(1)
	v_fma_f64 v[34:35], v[10:11], v[22:23], v[34:35]
	v_fma_f64 v[22:23], v[12:13], v[22:23], v[26:27]
	;; [unrolled: 1-line block ×4, first 2 shown]
	s_and_b64 vcc, exec, vcc
	s_waitcnt lgkmcnt(0)
	s_barrier
	v_fma_f64 v[12:13], v[18:19], v[24:25], v[34:35]
	v_fma_f64 v[10:11], v[20:21], v[24:25], v[22:23]
	;; [unrolled: 1-line block ×4, first 2 shown]
	s_cbranch_vccz .LBB1025_2
	s_branch .LBB1025_4
.LBB1025_3:
	v_mov_b32_e32 v12, 0
	v_mov_b32_e32 v10, 0
	;; [unrolled: 1-line block ×8, first 2 shown]
.LBB1025_4:
	s_load_dwordx4 s[12:15], s[4:5], 0x48
	s_load_dword s6, s[4:5], 0x0
	v_add_u32_e32 v8, s3, v1
	v_ashrrev_i32_e32 v1, 31, v8
	v_add_u32_e32 v0, s2, v0
	s_waitcnt lgkmcnt(0)
	s_mul_i32 s1, s15, s8
	s_mul_hi_u32 s3, s14, s8
	s_mul_i32 s0, s14, s8
	v_mul_lo_u32 v1, s12, v1
	v_mul_lo_u32 v9, s13, v8
	v_mad_u64_u32 v[4:5], s[8:9], s12, v8, 0
	s_add_i32 s1, s3, s1
	s_lshl_b64 s[0:1], s[0:1], 3
	v_add3_u32 v5, v5, v1, v9
	s_add_u32 s4, s26, s0
	v_lshlrev_b64 v[4:5], 3, v[4:5]
	s_addc_u32 s5, s27, s1
	v_mov_b32_e32 v1, s5
	v_add_co_u32_e64 v9, s[0:1], s4, v4
	v_addc_co_u32_e64 v14, s[0:1], v1, v5, s[0:1]
	v_cmp_gt_i32_e32 vcc, s6, v8
	v_cmp_le_i32_e64 s[0:1], v0, v8
	s_and_b64 s[0:1], vcc, s[0:1]
	s_and_saveexec_b64 s[2:3], s[0:1]
	s_cbranch_execz .LBB1025_6
; %bb.5:
	v_ashrrev_i32_e32 v1, 31, v0
	v_lshlrev_b64 v[4:5], 3, v[0:1]
	v_xor_b32_e32 v13, 0x80000000, v13
	v_add_co_u32_e64 v4, s[0:1], v9, v4
	v_addc_co_u32_e64 v5, s[0:1], v14, v5, s[0:1]
	global_store_dwordx2 v[4:5], v[12:13], off
.LBB1025_6:
	s_or_b64 exec, exec, s[2:3]
	v_add_u32_e32 v4, 16, v0
	v_cmp_le_i32_e64 s[0:1], v4, v8
	s_and_b64 s[2:3], vcc, s[0:1]
	s_and_saveexec_b64 s[0:1], s[2:3]
	s_cbranch_execz .LBB1025_8
; %bb.7:
	v_ashrrev_i32_e32 v5, 31, v4
	v_lshlrev_b64 v[12:13], 3, v[4:5]
	v_xor_b32_e32 v11, 0x80000000, v11
	v_add_co_u32_e32 v12, vcc, v9, v12
	v_addc_co_u32_e32 v13, vcc, v14, v13, vcc
	global_store_dwordx2 v[12:13], v[10:11], off
.LBB1025_8:
	s_or_b64 exec, exec, s[0:1]
	v_add_u32_e32 v5, 16, v8
	v_ashrrev_i32_e32 v1, 31, v5
	v_mul_lo_u32 v1, s12, v1
	v_mul_lo_u32 v10, s13, v5
	v_mad_u64_u32 v[8:9], s[0:1], s12, v5, 0
	v_cmp_gt_i32_e32 vcc, s6, v5
	v_add3_u32 v9, v9, v1, v10
	v_lshlrev_b64 v[8:9], 3, v[8:9]
	v_mov_b32_e32 v1, s5
	v_add_co_u32_e64 v8, s[0:1], s4, v8
	v_addc_co_u32_e64 v9, s[0:1], v1, v9, s[0:1]
	v_cmp_le_i32_e64 s[0:1], v0, v5
	s_and_b64 s[0:1], vcc, s[0:1]
	s_and_saveexec_b64 s[2:3], s[0:1]
	s_cbranch_execz .LBB1025_10
; %bb.9:
	v_ashrrev_i32_e32 v1, 31, v0
	v_lshlrev_b64 v[0:1], 3, v[0:1]
	v_xor_b32_e32 v7, 0x80000000, v7
	v_add_co_u32_e64 v0, s[0:1], v8, v0
	v_addc_co_u32_e64 v1, s[0:1], v9, v1, s[0:1]
	global_store_dwordx2 v[0:1], v[6:7], off
.LBB1025_10:
	s_or_b64 exec, exec, s[2:3]
	v_cmp_le_i32_e64 s[0:1], v4, v5
	s_and_b64 s[0:1], vcc, s[0:1]
	s_and_saveexec_b64 s[2:3], s[0:1]
	s_cbranch_execz .LBB1025_12
; %bb.11:
	v_ashrrev_i32_e32 v5, 31, v4
	v_lshlrev_b64 v[0:1], 3, v[4:5]
	v_xor_b32_e32 v3, 0x80000000, v3
	v_add_co_u32_e32 v0, vcc, v8, v0
	v_addc_co_u32_e32 v1, vcc, v9, v1, vcc
	global_store_dwordx2 v[0:1], v[2:3], off
.LBB1025_12:
	s_endpgm
	.section	.rodata,"a",@progbits
	.p2align	6, 0x0
	.amdhsa_kernel _ZL37rocblas_syrkx_herkx_restricted_kernelIldLi16ELi32ELi8ELin1ELi0ELb0ELc67ELc85EKddEviT_PT9_S1_lS3_S1_lPT10_S1_li
		.amdhsa_group_segment_fixed_size 4096
		.amdhsa_private_segment_fixed_size 0
		.amdhsa_kernarg_size 92
		.amdhsa_user_sgpr_count 6
		.amdhsa_user_sgpr_private_segment_buffer 1
		.amdhsa_user_sgpr_dispatch_ptr 0
		.amdhsa_user_sgpr_queue_ptr 0
		.amdhsa_user_sgpr_kernarg_segment_ptr 1
		.amdhsa_user_sgpr_dispatch_id 0
		.amdhsa_user_sgpr_flat_scratch_init 0
		.amdhsa_user_sgpr_private_segment_size 0
		.amdhsa_uses_dynamic_stack 0
		.amdhsa_system_sgpr_private_segment_wavefront_offset 0
		.amdhsa_system_sgpr_workgroup_id_x 1
		.amdhsa_system_sgpr_workgroup_id_y 1
		.amdhsa_system_sgpr_workgroup_id_z 1
		.amdhsa_system_sgpr_workgroup_info 0
		.amdhsa_system_vgpr_workitem_id 1
		.amdhsa_next_free_vgpr 36
		.amdhsa_next_free_sgpr 28
		.amdhsa_reserve_vcc 1
		.amdhsa_reserve_flat_scratch 0
		.amdhsa_float_round_mode_32 0
		.amdhsa_float_round_mode_16_64 0
		.amdhsa_float_denorm_mode_32 3
		.amdhsa_float_denorm_mode_16_64 3
		.amdhsa_dx10_clamp 1
		.amdhsa_ieee_mode 1
		.amdhsa_fp16_overflow 0
		.amdhsa_exception_fp_ieee_invalid_op 0
		.amdhsa_exception_fp_denorm_src 0
		.amdhsa_exception_fp_ieee_div_zero 0
		.amdhsa_exception_fp_ieee_overflow 0
		.amdhsa_exception_fp_ieee_underflow 0
		.amdhsa_exception_fp_ieee_inexact 0
		.amdhsa_exception_int_div_zero 0
	.end_amdhsa_kernel
	.section	.text._ZL37rocblas_syrkx_herkx_restricted_kernelIldLi16ELi32ELi8ELin1ELi0ELb0ELc67ELc85EKddEviT_PT9_S1_lS3_S1_lPT10_S1_li,"axG",@progbits,_ZL37rocblas_syrkx_herkx_restricted_kernelIldLi16ELi32ELi8ELin1ELi0ELb0ELc67ELc85EKddEviT_PT9_S1_lS3_S1_lPT10_S1_li,comdat
.Lfunc_end1025:
	.size	_ZL37rocblas_syrkx_herkx_restricted_kernelIldLi16ELi32ELi8ELin1ELi0ELb0ELc67ELc85EKddEviT_PT9_S1_lS3_S1_lPT10_S1_li, .Lfunc_end1025-_ZL37rocblas_syrkx_herkx_restricted_kernelIldLi16ELi32ELi8ELin1ELi0ELb0ELc67ELc85EKddEviT_PT9_S1_lS3_S1_lPT10_S1_li
                                        ; -- End function
	.set _ZL37rocblas_syrkx_herkx_restricted_kernelIldLi16ELi32ELi8ELin1ELi0ELb0ELc67ELc85EKddEviT_PT9_S1_lS3_S1_lPT10_S1_li.num_vgpr, 36
	.set _ZL37rocblas_syrkx_herkx_restricted_kernelIldLi16ELi32ELi8ELin1ELi0ELb0ELc67ELc85EKddEviT_PT9_S1_lS3_S1_lPT10_S1_li.num_agpr, 0
	.set _ZL37rocblas_syrkx_herkx_restricted_kernelIldLi16ELi32ELi8ELin1ELi0ELb0ELc67ELc85EKddEviT_PT9_S1_lS3_S1_lPT10_S1_li.numbered_sgpr, 28
	.set _ZL37rocblas_syrkx_herkx_restricted_kernelIldLi16ELi32ELi8ELin1ELi0ELb0ELc67ELc85EKddEviT_PT9_S1_lS3_S1_lPT10_S1_li.num_named_barrier, 0
	.set _ZL37rocblas_syrkx_herkx_restricted_kernelIldLi16ELi32ELi8ELin1ELi0ELb0ELc67ELc85EKddEviT_PT9_S1_lS3_S1_lPT10_S1_li.private_seg_size, 0
	.set _ZL37rocblas_syrkx_herkx_restricted_kernelIldLi16ELi32ELi8ELin1ELi0ELb0ELc67ELc85EKddEviT_PT9_S1_lS3_S1_lPT10_S1_li.uses_vcc, 1
	.set _ZL37rocblas_syrkx_herkx_restricted_kernelIldLi16ELi32ELi8ELin1ELi0ELb0ELc67ELc85EKddEviT_PT9_S1_lS3_S1_lPT10_S1_li.uses_flat_scratch, 0
	.set _ZL37rocblas_syrkx_herkx_restricted_kernelIldLi16ELi32ELi8ELin1ELi0ELb0ELc67ELc85EKddEviT_PT9_S1_lS3_S1_lPT10_S1_li.has_dyn_sized_stack, 0
	.set _ZL37rocblas_syrkx_herkx_restricted_kernelIldLi16ELi32ELi8ELin1ELi0ELb0ELc67ELc85EKddEviT_PT9_S1_lS3_S1_lPT10_S1_li.has_recursion, 0
	.set _ZL37rocblas_syrkx_herkx_restricted_kernelIldLi16ELi32ELi8ELin1ELi0ELb0ELc67ELc85EKddEviT_PT9_S1_lS3_S1_lPT10_S1_li.has_indirect_call, 0
	.section	.AMDGPU.csdata,"",@progbits
; Kernel info:
; codeLenInByte = 1344
; TotalNumSgprs: 32
; NumVgprs: 36
; ScratchSize: 0
; MemoryBound: 0
; FloatMode: 240
; IeeeMode: 1
; LDSByteSize: 4096 bytes/workgroup (compile time only)
; SGPRBlocks: 3
; VGPRBlocks: 8
; NumSGPRsForWavesPerEU: 32
; NumVGPRsForWavesPerEU: 36
; Occupancy: 7
; WaveLimiterHint : 1
; COMPUTE_PGM_RSRC2:SCRATCH_EN: 0
; COMPUTE_PGM_RSRC2:USER_SGPR: 6
; COMPUTE_PGM_RSRC2:TRAP_HANDLER: 0
; COMPUTE_PGM_RSRC2:TGID_X_EN: 1
; COMPUTE_PGM_RSRC2:TGID_Y_EN: 1
; COMPUTE_PGM_RSRC2:TGID_Z_EN: 1
; COMPUTE_PGM_RSRC2:TIDIG_COMP_CNT: 1
	.section	.text._ZL37rocblas_syrkx_herkx_restricted_kernelIldLi16ELi32ELi8ELin1ELi0ELb0ELc78ELc85EKddEviT_PT9_S1_lS3_S1_lPT10_S1_li,"axG",@progbits,_ZL37rocblas_syrkx_herkx_restricted_kernelIldLi16ELi32ELi8ELin1ELi0ELb0ELc78ELc85EKddEviT_PT9_S1_lS3_S1_lPT10_S1_li,comdat
	.globl	_ZL37rocblas_syrkx_herkx_restricted_kernelIldLi16ELi32ELi8ELin1ELi0ELb0ELc78ELc85EKddEviT_PT9_S1_lS3_S1_lPT10_S1_li ; -- Begin function _ZL37rocblas_syrkx_herkx_restricted_kernelIldLi16ELi32ELi8ELin1ELi0ELb0ELc78ELc85EKddEviT_PT9_S1_lS3_S1_lPT10_S1_li
	.p2align	8
	.type	_ZL37rocblas_syrkx_herkx_restricted_kernelIldLi16ELi32ELi8ELin1ELi0ELb0ELc78ELc85EKddEviT_PT9_S1_lS3_S1_lPT10_S1_li,@function
_ZL37rocblas_syrkx_herkx_restricted_kernelIldLi16ELi32ELi8ELin1ELi0ELb0ELc78ELc85EKddEviT_PT9_S1_lS3_S1_lPT10_S1_li: ; @_ZL37rocblas_syrkx_herkx_restricted_kernelIldLi16ELi32ELi8ELin1ELi0ELb0ELc78ELc85EKddEviT_PT9_S1_lS3_S1_lPT10_S1_li
; %bb.0:
	s_load_dwordx16 s[12:27], s[4:5], 0x8
	s_lshl_b32 s9, s6, 5
	s_lshl_b32 s10, s7, 5
	s_waitcnt lgkmcnt(0)
	v_cmp_lt_i64_e64 s[0:1], s[12:13], 1
	s_and_b64 vcc, exec, s[0:1]
	s_cbranch_vccnz .LBB1026_3
; %bb.1:
	v_lshl_add_u32 v6, v1, 4, v0
	v_lshrrev_b32_e32 v7, 3, v6
	v_add_u32_e32 v2, s10, v7
	v_and_b32_e32 v5, 7, v0
	v_ashrrev_i32_e32 v3, 31, v2
	v_mad_u64_u32 v[2:3], s[0:1], s22, v5, v[2:3]
	v_lshrrev_b32_e32 v8, 5, v6
	s_mul_i32 s2, s19, s8
	v_mad_u64_u32 v[3:4], s[0:1], s23, v5, v[3:4]
	v_and_b32_e32 v4, 31, v6
	v_lshlrev_b32_e32 v5, 3, v5
	v_lshlrev_b32_e32 v6, 3, v4
	v_lshl_or_b32 v5, v7, 6, v5
	v_add_u32_e32 v4, s9, v4
	v_add_u32_e32 v15, 0x800, v5
	v_ashrrev_i32_e32 v5, 31, v4
	v_mad_u64_u32 v[4:5], s[0:1], s16, v8, v[4:5]
	v_lshl_or_b32 v14, v8, 8, v6
	v_mov_b32_e32 v6, 0x800
	v_lshl_add_u32 v17, v1, 6, v6
	v_mad_u64_u32 v[5:6], s[0:1], s17, v8, v[5:6]
	s_mul_hi_u32 s3, s18, s8
	s_add_i32 s1, s3, s2
	s_mul_i32 s0, s18, s8
	s_lshl_b64 s[0:1], s[0:1], 3
	v_lshlrev_b64 v[4:5], 3, v[4:5]
	s_add_u32 s0, s14, s0
	s_mul_i32 s2, s25, s8
	s_mul_hi_u32 s3, s24, s8
	s_addc_u32 s1, s15, s1
	s_add_i32 s3, s3, s2
	s_mul_i32 s2, s24, s8
	v_mov_b32_e32 v6, s1
	v_add_co_u32_e32 v4, vcc, s0, v4
	s_lshl_b64 s[0:1], s[16:17], 6
	s_lshl_b64 s[2:3], s[2:3], 3
	v_lshlrev_b64 v[2:3], 3, v[2:3]
	s_add_u32 s2, s20, s2
	v_addc_co_u32_e32 v5, vcc, v6, v5, vcc
	s_addc_u32 s3, s21, s3
	v_mov_b32_e32 v6, s3
	v_add_co_u32_e32 v8, vcc, s2, v2
	v_addc_co_u32_e32 v9, vcc, v6, v3, vcc
	s_lshl_b64 s[2:3], s[22:23], 6
	v_mov_b32_e32 v2, 0
	v_mov_b32_e32 v6, 0
	;; [unrolled: 1-line block ×4, first 2 shown]
	v_lshlrev_b32_e32 v16, 3, v0
	v_mov_b32_e32 v3, 0
	s_mov_b64 s[6:7], 0
	v_mov_b32_e32 v18, s1
	v_mov_b32_e32 v7, 0
	v_mov_b32_e32 v11, 0
	v_mov_b32_e32 v13, 0
	v_mov_b32_e32 v19, s3
.LBB1026_2:                             ; =>This Inner Loop Header: Depth=1
	global_load_dwordx2 v[20:21], v[4:5], off
	global_load_dwordx2 v[22:23], v[8:9], off
	s_add_u32 s6, s6, 8
	v_add_co_u32_e32 v4, vcc, s0, v4
	v_addc_co_u32_e32 v5, vcc, v5, v18, vcc
	s_addc_u32 s7, s7, 0
	v_add_co_u32_e32 v8, vcc, s2, v8
	v_addc_co_u32_e32 v9, vcc, v9, v19, vcc
	s_waitcnt vmcnt(1)
	ds_write_b64 v14, v[20:21]
	s_waitcnt vmcnt(0)
	ds_write_b64 v15, v[22:23]
	s_waitcnt lgkmcnt(0)
	s_barrier
	ds_read2_b64 v[20:23], v16 offset1:16
	ds_read_b128 v[24:27], v17
	ds_read_b128 v[28:31], v17 offset:16
	s_waitcnt lgkmcnt(1)
	v_fma_f64 v[36:37], v[20:21], v[24:25], v[12:13]
	v_fma_f64 v[24:25], v[22:23], v[24:25], v[10:11]
	ds_read_b128 v[10:13], v17 offset:1024
	ds_read_b128 v[32:35], v17 offset:1040
	s_waitcnt lgkmcnt(1)
	v_fma_f64 v[6:7], v[20:21], v[10:11], v[6:7]
	v_fma_f64 v[2:3], v[22:23], v[10:11], v[2:3]
	ds_read2_b64 v[20:23], v16 offset0:32 offset1:48
	s_waitcnt lgkmcnt(0)
	v_fma_f64 v[36:37], v[20:21], v[26:27], v[36:37]
	v_fma_f64 v[24:25], v[22:23], v[26:27], v[24:25]
	v_fma_f64 v[6:7], v[20:21], v[12:13], v[6:7]
	v_fma_f64 v[2:3], v[22:23], v[12:13], v[2:3]
	ds_read2_b64 v[10:13], v16 offset0:64 offset1:80
	s_waitcnt lgkmcnt(0)
	v_fma_f64 v[20:21], v[10:11], v[28:29], v[36:37]
	v_fma_f64 v[22:23], v[12:13], v[28:29], v[24:25]
	;; [unrolled: 6-line block ×3, first 2 shown]
	ds_read2_b64 v[20:23], v16 offset0:128 offset1:144
	v_fma_f64 v[6:7], v[10:11], v[34:35], v[6:7]
	v_fma_f64 v[2:3], v[12:13], v[34:35], v[2:3]
	ds_read_b128 v[10:13], v17 offset:32
	ds_read_b128 v[24:27], v17 offset:48
	s_waitcnt lgkmcnt(1)
	v_fma_f64 v[36:37], v[20:21], v[10:11], v[28:29]
	v_fma_f64 v[10:11], v[22:23], v[10:11], v[30:31]
	ds_read_b128 v[28:31], v17 offset:1056
	ds_read_b128 v[32:35], v17 offset:1072
	s_waitcnt lgkmcnt(1)
	v_fma_f64 v[6:7], v[20:21], v[28:29], v[6:7]
	v_fma_f64 v[2:3], v[22:23], v[28:29], v[2:3]
	ds_read2_b64 v[20:23], v16 offset0:160 offset1:176
	s_waitcnt lgkmcnt(0)
	v_fma_f64 v[28:29], v[20:21], v[12:13], v[36:37]
	v_fma_f64 v[36:37], v[22:23], v[12:13], v[10:11]
	;; [unrolled: 1-line block ×4, first 2 shown]
	ds_read2_b64 v[10:13], v16 offset0:192 offset1:208
	ds_read2_b64 v[20:23], v16 offset0:224 offset1:240
	v_mov_b32_e32 v31, s7
	v_mov_b32_e32 v30, s6
	v_cmp_le_u64_e32 vcc, s[12:13], v[30:31]
	s_waitcnt lgkmcnt(1)
	v_fma_f64 v[28:29], v[10:11], v[24:25], v[28:29]
	v_fma_f64 v[24:25], v[12:13], v[24:25], v[36:37]
	;; [unrolled: 1-line block ×4, first 2 shown]
	s_and_b64 vcc, exec, vcc
	s_waitcnt lgkmcnt(0)
	s_barrier
	v_fma_f64 v[12:13], v[20:21], v[26:27], v[28:29]
	v_fma_f64 v[10:11], v[22:23], v[26:27], v[24:25]
	;; [unrolled: 1-line block ×4, first 2 shown]
	s_cbranch_vccz .LBB1026_2
	s_branch .LBB1026_4
.LBB1026_3:
	v_mov_b32_e32 v12, 0
	v_mov_b32_e32 v10, 0
	;; [unrolled: 1-line block ×8, first 2 shown]
.LBB1026_4:
	s_load_dwordx4 s[12:15], s[4:5], 0x48
	s_load_dword s6, s[4:5], 0x0
	v_add_u32_e32 v8, s10, v1
	v_ashrrev_i32_e32 v1, 31, v8
	v_add_u32_e32 v0, s9, v0
	s_waitcnt lgkmcnt(0)
	s_mul_i32 s1, s15, s8
	s_mul_hi_u32 s2, s14, s8
	s_add_i32 s1, s2, s1
	v_mul_lo_u32 v1, s12, v1
	v_mul_lo_u32 v9, s13, v8
	v_mad_u64_u32 v[4:5], s[2:3], s12, v8, 0
	s_mul_i32 s0, s14, s8
	s_lshl_b64 s[0:1], s[0:1], 3
	v_add3_u32 v5, v5, v1, v9
	s_add_u32 s4, s26, s0
	v_lshlrev_b64 v[4:5], 3, v[4:5]
	s_addc_u32 s5, s27, s1
	v_mov_b32_e32 v1, s5
	v_add_co_u32_e64 v9, s[0:1], s4, v4
	v_addc_co_u32_e64 v14, s[0:1], v1, v5, s[0:1]
	v_cmp_gt_i32_e32 vcc, s6, v8
	v_cmp_le_i32_e64 s[0:1], v0, v8
	s_and_b64 s[0:1], vcc, s[0:1]
	s_and_saveexec_b64 s[2:3], s[0:1]
	s_cbranch_execz .LBB1026_6
; %bb.5:
	v_ashrrev_i32_e32 v1, 31, v0
	v_lshlrev_b64 v[4:5], 3, v[0:1]
	v_xor_b32_e32 v13, 0x80000000, v13
	v_add_co_u32_e64 v4, s[0:1], v9, v4
	v_addc_co_u32_e64 v5, s[0:1], v14, v5, s[0:1]
	global_store_dwordx2 v[4:5], v[12:13], off
.LBB1026_6:
	s_or_b64 exec, exec, s[2:3]
	v_add_u32_e32 v4, 16, v0
	v_cmp_le_i32_e64 s[0:1], v4, v8
	s_and_b64 s[2:3], vcc, s[0:1]
	s_and_saveexec_b64 s[0:1], s[2:3]
	s_cbranch_execz .LBB1026_8
; %bb.7:
	v_ashrrev_i32_e32 v5, 31, v4
	v_lshlrev_b64 v[12:13], 3, v[4:5]
	v_xor_b32_e32 v11, 0x80000000, v11
	v_add_co_u32_e32 v12, vcc, v9, v12
	v_addc_co_u32_e32 v13, vcc, v14, v13, vcc
	global_store_dwordx2 v[12:13], v[10:11], off
.LBB1026_8:
	s_or_b64 exec, exec, s[0:1]
	v_add_u32_e32 v5, 16, v8
	v_ashrrev_i32_e32 v1, 31, v5
	v_mul_lo_u32 v1, s12, v1
	v_mul_lo_u32 v10, s13, v5
	v_mad_u64_u32 v[8:9], s[0:1], s12, v5, 0
	v_cmp_gt_i32_e32 vcc, s6, v5
	v_add3_u32 v9, v9, v1, v10
	v_lshlrev_b64 v[8:9], 3, v[8:9]
	v_mov_b32_e32 v1, s5
	v_add_co_u32_e64 v8, s[0:1], s4, v8
	v_addc_co_u32_e64 v9, s[0:1], v1, v9, s[0:1]
	v_cmp_le_i32_e64 s[0:1], v0, v5
	s_and_b64 s[0:1], vcc, s[0:1]
	s_and_saveexec_b64 s[2:3], s[0:1]
	s_cbranch_execz .LBB1026_10
; %bb.9:
	v_ashrrev_i32_e32 v1, 31, v0
	v_lshlrev_b64 v[0:1], 3, v[0:1]
	v_xor_b32_e32 v7, 0x80000000, v7
	v_add_co_u32_e64 v0, s[0:1], v8, v0
	v_addc_co_u32_e64 v1, s[0:1], v9, v1, s[0:1]
	global_store_dwordx2 v[0:1], v[6:7], off
.LBB1026_10:
	s_or_b64 exec, exec, s[2:3]
	v_cmp_le_i32_e64 s[0:1], v4, v5
	s_and_b64 s[0:1], vcc, s[0:1]
	s_and_saveexec_b64 s[2:3], s[0:1]
	s_cbranch_execz .LBB1026_12
; %bb.11:
	v_ashrrev_i32_e32 v5, 31, v4
	v_lshlrev_b64 v[0:1], 3, v[4:5]
	v_xor_b32_e32 v3, 0x80000000, v3
	v_add_co_u32_e32 v0, vcc, v8, v0
	v_addc_co_u32_e32 v1, vcc, v9, v1, vcc
	global_store_dwordx2 v[0:1], v[2:3], off
.LBB1026_12:
	s_endpgm
	.section	.rodata,"a",@progbits
	.p2align	6, 0x0
	.amdhsa_kernel _ZL37rocblas_syrkx_herkx_restricted_kernelIldLi16ELi32ELi8ELin1ELi0ELb0ELc78ELc85EKddEviT_PT9_S1_lS3_S1_lPT10_S1_li
		.amdhsa_group_segment_fixed_size 4096
		.amdhsa_private_segment_fixed_size 0
		.amdhsa_kernarg_size 92
		.amdhsa_user_sgpr_count 6
		.amdhsa_user_sgpr_private_segment_buffer 1
		.amdhsa_user_sgpr_dispatch_ptr 0
		.amdhsa_user_sgpr_queue_ptr 0
		.amdhsa_user_sgpr_kernarg_segment_ptr 1
		.amdhsa_user_sgpr_dispatch_id 0
		.amdhsa_user_sgpr_flat_scratch_init 0
		.amdhsa_user_sgpr_private_segment_size 0
		.amdhsa_uses_dynamic_stack 0
		.amdhsa_system_sgpr_private_segment_wavefront_offset 0
		.amdhsa_system_sgpr_workgroup_id_x 1
		.amdhsa_system_sgpr_workgroup_id_y 1
		.amdhsa_system_sgpr_workgroup_id_z 1
		.amdhsa_system_sgpr_workgroup_info 0
		.amdhsa_system_vgpr_workitem_id 1
		.amdhsa_next_free_vgpr 38
		.amdhsa_next_free_sgpr 28
		.amdhsa_reserve_vcc 1
		.amdhsa_reserve_flat_scratch 0
		.amdhsa_float_round_mode_32 0
		.amdhsa_float_round_mode_16_64 0
		.amdhsa_float_denorm_mode_32 3
		.amdhsa_float_denorm_mode_16_64 3
		.amdhsa_dx10_clamp 1
		.amdhsa_ieee_mode 1
		.amdhsa_fp16_overflow 0
		.amdhsa_exception_fp_ieee_invalid_op 0
		.amdhsa_exception_fp_denorm_src 0
		.amdhsa_exception_fp_ieee_div_zero 0
		.amdhsa_exception_fp_ieee_overflow 0
		.amdhsa_exception_fp_ieee_underflow 0
		.amdhsa_exception_fp_ieee_inexact 0
		.amdhsa_exception_int_div_zero 0
	.end_amdhsa_kernel
	.section	.text._ZL37rocblas_syrkx_herkx_restricted_kernelIldLi16ELi32ELi8ELin1ELi0ELb0ELc78ELc85EKddEviT_PT9_S1_lS3_S1_lPT10_S1_li,"axG",@progbits,_ZL37rocblas_syrkx_herkx_restricted_kernelIldLi16ELi32ELi8ELin1ELi0ELb0ELc78ELc85EKddEviT_PT9_S1_lS3_S1_lPT10_S1_li,comdat
.Lfunc_end1026:
	.size	_ZL37rocblas_syrkx_herkx_restricted_kernelIldLi16ELi32ELi8ELin1ELi0ELb0ELc78ELc85EKddEviT_PT9_S1_lS3_S1_lPT10_S1_li, .Lfunc_end1026-_ZL37rocblas_syrkx_herkx_restricted_kernelIldLi16ELi32ELi8ELin1ELi0ELb0ELc78ELc85EKddEviT_PT9_S1_lS3_S1_lPT10_S1_li
                                        ; -- End function
	.set _ZL37rocblas_syrkx_herkx_restricted_kernelIldLi16ELi32ELi8ELin1ELi0ELb0ELc78ELc85EKddEviT_PT9_S1_lS3_S1_lPT10_S1_li.num_vgpr, 38
	.set _ZL37rocblas_syrkx_herkx_restricted_kernelIldLi16ELi32ELi8ELin1ELi0ELb0ELc78ELc85EKddEviT_PT9_S1_lS3_S1_lPT10_S1_li.num_agpr, 0
	.set _ZL37rocblas_syrkx_herkx_restricted_kernelIldLi16ELi32ELi8ELin1ELi0ELb0ELc78ELc85EKddEviT_PT9_S1_lS3_S1_lPT10_S1_li.numbered_sgpr, 28
	.set _ZL37rocblas_syrkx_herkx_restricted_kernelIldLi16ELi32ELi8ELin1ELi0ELb0ELc78ELc85EKddEviT_PT9_S1_lS3_S1_lPT10_S1_li.num_named_barrier, 0
	.set _ZL37rocblas_syrkx_herkx_restricted_kernelIldLi16ELi32ELi8ELin1ELi0ELb0ELc78ELc85EKddEviT_PT9_S1_lS3_S1_lPT10_S1_li.private_seg_size, 0
	.set _ZL37rocblas_syrkx_herkx_restricted_kernelIldLi16ELi32ELi8ELin1ELi0ELb0ELc78ELc85EKddEviT_PT9_S1_lS3_S1_lPT10_S1_li.uses_vcc, 1
	.set _ZL37rocblas_syrkx_herkx_restricted_kernelIldLi16ELi32ELi8ELin1ELi0ELb0ELc78ELc85EKddEviT_PT9_S1_lS3_S1_lPT10_S1_li.uses_flat_scratch, 0
	.set _ZL37rocblas_syrkx_herkx_restricted_kernelIldLi16ELi32ELi8ELin1ELi0ELb0ELc78ELc85EKddEviT_PT9_S1_lS3_S1_lPT10_S1_li.has_dyn_sized_stack, 0
	.set _ZL37rocblas_syrkx_herkx_restricted_kernelIldLi16ELi32ELi8ELin1ELi0ELb0ELc78ELc85EKddEviT_PT9_S1_lS3_S1_lPT10_S1_li.has_recursion, 0
	.set _ZL37rocblas_syrkx_herkx_restricted_kernelIldLi16ELi32ELi8ELin1ELi0ELb0ELc78ELc85EKddEviT_PT9_S1_lS3_S1_lPT10_S1_li.has_indirect_call, 0
	.section	.AMDGPU.csdata,"",@progbits
; Kernel info:
; codeLenInByte = 1320
; TotalNumSgprs: 32
; NumVgprs: 38
; ScratchSize: 0
; MemoryBound: 0
; FloatMode: 240
; IeeeMode: 1
; LDSByteSize: 4096 bytes/workgroup (compile time only)
; SGPRBlocks: 3
; VGPRBlocks: 9
; NumSGPRsForWavesPerEU: 32
; NumVGPRsForWavesPerEU: 38
; Occupancy: 6
; WaveLimiterHint : 1
; COMPUTE_PGM_RSRC2:SCRATCH_EN: 0
; COMPUTE_PGM_RSRC2:USER_SGPR: 6
; COMPUTE_PGM_RSRC2:TRAP_HANDLER: 0
; COMPUTE_PGM_RSRC2:TGID_X_EN: 1
; COMPUTE_PGM_RSRC2:TGID_Y_EN: 1
; COMPUTE_PGM_RSRC2:TGID_Z_EN: 1
; COMPUTE_PGM_RSRC2:TIDIG_COMP_CNT: 1
	.section	.text._ZL37rocblas_syrkx_herkx_restricted_kernelIldLi16ELi32ELi8ELb1ELb0ELc84ELc76EKddEviT_T0_PT8_S1_lS4_S1_lS2_PT9_S1_li,"axG",@progbits,_ZL37rocblas_syrkx_herkx_restricted_kernelIldLi16ELi32ELi8ELb1ELb0ELc84ELc76EKddEviT_T0_PT8_S1_lS4_S1_lS2_PT9_S1_li,comdat
	.globl	_ZL37rocblas_syrkx_herkx_restricted_kernelIldLi16ELi32ELi8ELb1ELb0ELc84ELc76EKddEviT_T0_PT8_S1_lS4_S1_lS2_PT9_S1_li ; -- Begin function _ZL37rocblas_syrkx_herkx_restricted_kernelIldLi16ELi32ELi8ELb1ELb0ELc84ELc76EKddEviT_T0_PT8_S1_lS4_S1_lS2_PT9_S1_li
	.p2align	8
	.type	_ZL37rocblas_syrkx_herkx_restricted_kernelIldLi16ELi32ELi8ELb1ELb0ELc84ELc76EKddEviT_T0_PT8_S1_lS4_S1_lS2_PT9_S1_li,@function
_ZL37rocblas_syrkx_herkx_restricted_kernelIldLi16ELi32ELi8ELb1ELb0ELc84ELc76EKddEviT_T0_PT8_S1_lS4_S1_lS2_PT9_S1_li: ; @_ZL37rocblas_syrkx_herkx_restricted_kernelIldLi16ELi32ELi8ELb1ELb0ELc84ELc76EKddEviT_T0_PT8_S1_lS4_S1_lS2_PT9_S1_li
; %bb.0:
	s_load_dwordx16 s[12:27], s[4:5], 0x8
	s_lshl_b32 s2, s6, 5
	s_lshl_b32 s3, s7, 5
	s_waitcnt lgkmcnt(0)
	v_cmp_lt_i64_e64 s[0:1], s[12:13], 1
	s_and_b64 vcc, exec, s[0:1]
	s_cbranch_vccnz .LBB1027_3
; %bb.1:
	v_lshl_add_u32 v3, v1, 4, v0
	v_and_b32_e32 v7, 31, v3
	v_lshrrev_b32_e32 v4, 5, v3
	v_and_b32_e32 v2, 7, v0
	v_lshlrev_b32_e32 v10, 3, v7
	v_lshrrev_b32_e32 v6, 3, v3
	v_lshl_or_b32 v14, v4, 8, v10
	v_lshlrev_b32_e32 v10, 3, v2
	v_add_u32_e32 v8, s3, v6
	v_lshl_or_b32 v6, v6, 6, v10
	v_ashrrev_i32_e32 v9, 31, v8
	v_mov_b32_e32 v3, 0
	v_add_u32_e32 v15, 0x800, v6
	v_mov_b32_e32 v6, 0x800
	v_mov_b32_e32 v5, v3
	v_lshl_add_u32 v17, v1, 6, v6
	v_mul_lo_u32 v6, s24, v9
	v_mul_lo_u32 v9, s25, v8
	v_mad_u64_u32 v[2:3], s[0:1], s24, v8, v[2:3]
	s_mul_i32 s6, s27, s8
	s_mul_hi_u32 s7, s26, s8
	s_add_i32 s1, s7, s6
	s_mul_i32 s0, s26, s8
	s_lshl_b64 s[0:1], s[0:1], 3
	v_add3_u32 v3, v9, v3, v6
	v_lshlrev_b64 v[2:3], 3, v[2:3]
	s_add_u32 s0, s22, s0
	s_addc_u32 s1, s23, s1
	v_mov_b32_e32 v6, s1
	v_add_co_u32_e32 v2, vcc, s0, v2
	v_addc_co_u32_e32 v3, vcc, v6, v3, vcc
	v_add_u32_e32 v6, s2, v7
	v_ashrrev_i32_e32 v7, 31, v6
	v_mul_lo_u32 v7, s18, v7
	v_mad_u64_u32 v[4:5], s[0:1], s18, v6, v[4:5]
	v_mul_lo_u32 v6, s19, v6
	s_mul_i32 s6, s21, s8
	s_mul_hi_u32 s7, s20, s8
	s_add_i32 s1, s7, s6
	s_mul_i32 s0, s20, s8
	s_lshl_b64 s[0:1], s[0:1], 3
	v_add3_u32 v5, v6, v5, v7
	v_lshlrev_b64 v[4:5], 3, v[4:5]
	s_add_u32 s0, s16, s0
	s_addc_u32 s1, s17, s1
	v_mov_b32_e32 v7, s1
	v_add_co_u32_e32 v6, vcc, s0, v4
	v_addc_co_u32_e32 v7, vcc, v7, v5, vcc
	v_mov_b32_e32 v4, 0
	v_mov_b32_e32 v8, 0
	v_mov_b32_e32 v10, 0
	v_mov_b32_e32 v12, 0
	v_lshlrev_b32_e32 v16, 3, v0
	v_mov_b32_e32 v5, 0
	v_mov_b32_e32 v9, 0
	;; [unrolled: 1-line block ×4, first 2 shown]
	s_mov_b64 s[0:1], 0
.LBB1027_2:                             ; =>This Inner Loop Header: Depth=1
	global_load_dwordx2 v[18:19], v[6:7], off
	global_load_dwordx2 v[20:21], v[2:3], off
	s_add_u32 s0, s0, 8
	v_add_co_u32_e32 v2, vcc, 64, v2
	v_addc_co_u32_e32 v3, vcc, 0, v3, vcc
	s_addc_u32 s1, s1, 0
	v_add_co_u32_e32 v6, vcc, 64, v6
	v_addc_co_u32_e32 v7, vcc, 0, v7, vcc
	s_waitcnt vmcnt(1)
	ds_write_b64 v14, v[18:19]
	s_waitcnt vmcnt(0)
	ds_write_b64 v15, v[20:21]
	s_waitcnt lgkmcnt(0)
	s_barrier
	ds_read2_b64 v[18:21], v16 offset1:16
	ds_read_b128 v[22:25], v17
	ds_read_b128 v[26:29], v17 offset:1024
	ds_read_b128 v[30:33], v17 offset:16
	s_waitcnt lgkmcnt(2)
	v_fma_f64 v[34:35], v[18:19], v[22:23], v[12:13]
	v_fma_f64 v[22:23], v[20:21], v[22:23], v[10:11]
	s_waitcnt lgkmcnt(1)
	v_fma_f64 v[8:9], v[18:19], v[26:27], v[8:9]
	v_fma_f64 v[4:5], v[20:21], v[26:27], v[4:5]
	ds_read2_b64 v[18:21], v16 offset0:32 offset1:48
	ds_read_b128 v[10:13], v17 offset:1040
	s_waitcnt lgkmcnt(1)
	v_fma_f64 v[26:27], v[18:19], v[24:25], v[34:35]
	v_fma_f64 v[34:35], v[20:21], v[24:25], v[22:23]
	;; [unrolled: 1-line block ×4, first 2 shown]
	ds_read2_b64 v[18:21], v16 offset0:64 offset1:80
	ds_read2_b64 v[22:25], v16 offset0:96 offset1:112
	s_waitcnt lgkmcnt(1)
	v_fma_f64 v[26:27], v[18:19], v[30:31], v[26:27]
	v_fma_f64 v[28:29], v[20:21], v[30:31], v[34:35]
	;; [unrolled: 1-line block ×4, first 2 shown]
	ds_read2_b64 v[8:11], v16 offset0:128 offset1:144
	ds_read_b128 v[18:21], v17 offset:32
	s_waitcnt lgkmcnt(2)
	v_fma_f64 v[34:35], v[22:23], v[32:33], v[26:27]
	v_fma_f64 v[32:33], v[24:25], v[32:33], v[28:29]
	;; [unrolled: 1-line block ×4, first 2 shown]
	ds_read_b128 v[22:25], v17 offset:1056
	ds_read_b128 v[26:29], v17 offset:48
	s_waitcnt lgkmcnt(2)
	v_fma_f64 v[12:13], v[8:9], v[18:19], v[34:35]
	v_fma_f64 v[18:19], v[10:11], v[18:19], v[32:33]
	s_waitcnt lgkmcnt(1)
	v_fma_f64 v[34:35], v[8:9], v[22:23], v[36:37]
	v_fma_f64 v[4:5], v[10:11], v[22:23], v[4:5]
	ds_read2_b64 v[8:11], v16 offset0:160 offset1:176
	ds_read_b128 v[30:33], v17 offset:1072
	v_mov_b32_e32 v23, s1
	v_mov_b32_e32 v22, s0
	v_cmp_le_u64_e32 vcc, s[12:13], v[22:23]
	s_waitcnt lgkmcnt(1)
	v_fma_f64 v[12:13], v[8:9], v[20:21], v[12:13]
	v_fma_f64 v[18:19], v[10:11], v[20:21], v[18:19]
	v_fma_f64 v[20:21], v[8:9], v[24:25], v[34:35]
	v_fma_f64 v[4:5], v[10:11], v[24:25], v[4:5]
	ds_read2_b64 v[8:11], v16 offset0:192 offset1:208
	s_and_b64 vcc, exec, vcc
	s_waitcnt lgkmcnt(0)
	v_fma_f64 v[12:13], v[8:9], v[26:27], v[12:13]
	v_fma_f64 v[24:25], v[10:11], v[26:27], v[18:19]
	;; [unrolled: 1-line block ×4, first 2 shown]
	ds_read2_b64 v[18:21], v16 offset0:224 offset1:240
	s_waitcnt lgkmcnt(0)
	s_barrier
	v_fma_f64 v[12:13], v[18:19], v[28:29], v[12:13]
	v_fma_f64 v[10:11], v[20:21], v[28:29], v[24:25]
	v_fma_f64 v[8:9], v[18:19], v[32:33], v[8:9]
	v_fma_f64 v[4:5], v[20:21], v[32:33], v[4:5]
	s_cbranch_vccz .LBB1027_2
	s_branch .LBB1027_4
.LBB1027_3:
	v_mov_b32_e32 v12, 0
	v_mov_b32_e32 v10, 0
	;; [unrolled: 1-line block ×8, first 2 shown]
.LBB1027_4:
	s_load_dwordx2 s[0:1], s[4:5], 0x60
	s_load_dword s9, s[4:5], 0x0
	s_load_dwordx4 s[16:19], s[4:5], 0x50
	v_add_u32_e32 v6, s3, v1
	v_ashrrev_i32_e32 v1, 31, v6
	s_waitcnt lgkmcnt(0)
	s_mul_i32 s1, s1, s8
	s_mul_hi_u32 s4, s0, s8
	s_add_i32 s1, s4, s1
	v_mul_lo_u32 v3, s18, v1
	v_mul_lo_u32 v7, s19, v6
	v_mad_u64_u32 v[1:2], s[4:5], s18, v6, 0
	s_mul_i32 s0, s0, s8
	s_lshl_b64 s[0:1], s[0:1], 3
	v_add3_u32 v2, v2, v3, v7
	s_add_u32 s6, s16, s0
	v_lshlrev_b64 v[1:2], 3, v[1:2]
	s_addc_u32 s7, s17, s1
	v_mov_b32_e32 v3, s7
	v_add_co_u32_e32 v7, vcc, s6, v1
	v_add_u32_e32 v0, s2, v0
	v_addc_co_u32_e32 v14, vcc, v3, v2, vcc
	v_cmp_le_i32_e64 s[0:1], v6, v0
	v_cmp_gt_i32_e32 vcc, s9, v0
	s_and_b64 s[0:1], s[0:1], vcc
	s_and_saveexec_b64 s[2:3], s[0:1]
	s_cbranch_execz .LBB1027_6
; %bb.5:
	v_mul_f64 v[2:3], s[14:15], v[12:13]
	v_ashrrev_i32_e32 v1, 31, v0
	v_lshlrev_b64 v[12:13], 3, v[0:1]
	v_add_co_u32_e64 v12, s[0:1], v7, v12
	v_addc_co_u32_e64 v13, s[0:1], v14, v13, s[0:1]
	global_store_dwordx2 v[12:13], v[2:3], off
.LBB1027_6:
	s_or_b64 exec, exec, s[2:3]
	v_add_u32_e32 v2, 16, v0
	v_cmp_le_i32_e64 s[2:3], v6, v2
	v_cmp_gt_i32_e64 s[0:1], s9, v2
	s_and_b64 s[2:3], s[2:3], s[0:1]
	s_and_saveexec_b64 s[4:5], s[2:3]
	s_cbranch_execz .LBB1027_8
; %bb.7:
	v_mul_f64 v[10:11], s[14:15], v[10:11]
	v_ashrrev_i32_e32 v3, 31, v2
	v_lshlrev_b64 v[12:13], 3, v[2:3]
	v_add_co_u32_e64 v12, s[2:3], v7, v12
	v_addc_co_u32_e64 v13, s[2:3], v14, v13, s[2:3]
	global_store_dwordx2 v[12:13], v[10:11], off
.LBB1027_8:
	s_or_b64 exec, exec, s[4:5]
	v_add_u32_e32 v3, 16, v6
	v_ashrrev_i32_e32 v1, 31, v3
	v_mul_lo_u32 v10, s19, v3
	v_mad_u64_u32 v[6:7], s[2:3], s18, v3, 0
	v_mul_lo_u32 v1, s18, v1
	v_add3_u32 v7, v7, v1, v10
	v_lshlrev_b64 v[6:7], 3, v[6:7]
	v_mov_b32_e32 v1, s7
	v_add_co_u32_e64 v6, s[2:3], s6, v6
	v_addc_co_u32_e64 v7, s[2:3], v1, v7, s[2:3]
	v_cmp_le_i32_e64 s[2:3], v3, v0
	s_and_b64 s[4:5], s[2:3], vcc
	s_and_saveexec_b64 s[2:3], s[4:5]
	s_cbranch_execz .LBB1027_10
; %bb.9:
	v_mul_f64 v[8:9], s[14:15], v[8:9]
	v_ashrrev_i32_e32 v1, 31, v0
	v_lshlrev_b64 v[0:1], 3, v[0:1]
	v_add_co_u32_e32 v0, vcc, v6, v0
	v_addc_co_u32_e32 v1, vcc, v7, v1, vcc
	global_store_dwordx2 v[0:1], v[8:9], off
.LBB1027_10:
	s_or_b64 exec, exec, s[2:3]
	v_cmp_le_i32_e32 vcc, v3, v2
	s_and_b64 s[0:1], vcc, s[0:1]
	s_and_saveexec_b64 s[2:3], s[0:1]
	s_cbranch_execz .LBB1027_12
; %bb.11:
	v_mul_f64 v[0:1], s[14:15], v[4:5]
	v_ashrrev_i32_e32 v3, 31, v2
	v_lshlrev_b64 v[2:3], 3, v[2:3]
	v_add_co_u32_e32 v2, vcc, v6, v2
	v_addc_co_u32_e32 v3, vcc, v7, v3, vcc
	global_store_dwordx2 v[2:3], v[0:1], off
.LBB1027_12:
	s_endpgm
	.section	.rodata,"a",@progbits
	.p2align	6, 0x0
	.amdhsa_kernel _ZL37rocblas_syrkx_herkx_restricted_kernelIldLi16ELi32ELi8ELb1ELb0ELc84ELc76EKddEviT_T0_PT8_S1_lS4_S1_lS2_PT9_S1_li
		.amdhsa_group_segment_fixed_size 4096
		.amdhsa_private_segment_fixed_size 0
		.amdhsa_kernarg_size 108
		.amdhsa_user_sgpr_count 6
		.amdhsa_user_sgpr_private_segment_buffer 1
		.amdhsa_user_sgpr_dispatch_ptr 0
		.amdhsa_user_sgpr_queue_ptr 0
		.amdhsa_user_sgpr_kernarg_segment_ptr 1
		.amdhsa_user_sgpr_dispatch_id 0
		.amdhsa_user_sgpr_flat_scratch_init 0
		.amdhsa_user_sgpr_private_segment_size 0
		.amdhsa_uses_dynamic_stack 0
		.amdhsa_system_sgpr_private_segment_wavefront_offset 0
		.amdhsa_system_sgpr_workgroup_id_x 1
		.amdhsa_system_sgpr_workgroup_id_y 1
		.amdhsa_system_sgpr_workgroup_id_z 1
		.amdhsa_system_sgpr_workgroup_info 0
		.amdhsa_system_vgpr_workitem_id 1
		.amdhsa_next_free_vgpr 38
		.amdhsa_next_free_sgpr 28
		.amdhsa_reserve_vcc 1
		.amdhsa_reserve_flat_scratch 0
		.amdhsa_float_round_mode_32 0
		.amdhsa_float_round_mode_16_64 0
		.amdhsa_float_denorm_mode_32 3
		.amdhsa_float_denorm_mode_16_64 3
		.amdhsa_dx10_clamp 1
		.amdhsa_ieee_mode 1
		.amdhsa_fp16_overflow 0
		.amdhsa_exception_fp_ieee_invalid_op 0
		.amdhsa_exception_fp_denorm_src 0
		.amdhsa_exception_fp_ieee_div_zero 0
		.amdhsa_exception_fp_ieee_overflow 0
		.amdhsa_exception_fp_ieee_underflow 0
		.amdhsa_exception_fp_ieee_inexact 0
		.amdhsa_exception_int_div_zero 0
	.end_amdhsa_kernel
	.section	.text._ZL37rocblas_syrkx_herkx_restricted_kernelIldLi16ELi32ELi8ELb1ELb0ELc84ELc76EKddEviT_T0_PT8_S1_lS4_S1_lS2_PT9_S1_li,"axG",@progbits,_ZL37rocblas_syrkx_herkx_restricted_kernelIldLi16ELi32ELi8ELb1ELb0ELc84ELc76EKddEviT_T0_PT8_S1_lS4_S1_lS2_PT9_S1_li,comdat
.Lfunc_end1027:
	.size	_ZL37rocblas_syrkx_herkx_restricted_kernelIldLi16ELi32ELi8ELb1ELb0ELc84ELc76EKddEviT_T0_PT8_S1_lS4_S1_lS2_PT9_S1_li, .Lfunc_end1027-_ZL37rocblas_syrkx_herkx_restricted_kernelIldLi16ELi32ELi8ELb1ELb0ELc84ELc76EKddEviT_T0_PT8_S1_lS4_S1_lS2_PT9_S1_li
                                        ; -- End function
	.set _ZL37rocblas_syrkx_herkx_restricted_kernelIldLi16ELi32ELi8ELb1ELb0ELc84ELc76EKddEviT_T0_PT8_S1_lS4_S1_lS2_PT9_S1_li.num_vgpr, 38
	.set _ZL37rocblas_syrkx_herkx_restricted_kernelIldLi16ELi32ELi8ELb1ELb0ELc84ELc76EKddEviT_T0_PT8_S1_lS4_S1_lS2_PT9_S1_li.num_agpr, 0
	.set _ZL37rocblas_syrkx_herkx_restricted_kernelIldLi16ELi32ELi8ELb1ELb0ELc84ELc76EKddEviT_T0_PT8_S1_lS4_S1_lS2_PT9_S1_li.numbered_sgpr, 28
	.set _ZL37rocblas_syrkx_herkx_restricted_kernelIldLi16ELi32ELi8ELb1ELb0ELc84ELc76EKddEviT_T0_PT8_S1_lS4_S1_lS2_PT9_S1_li.num_named_barrier, 0
	.set _ZL37rocblas_syrkx_herkx_restricted_kernelIldLi16ELi32ELi8ELb1ELb0ELc84ELc76EKddEviT_T0_PT8_S1_lS4_S1_lS2_PT9_S1_li.private_seg_size, 0
	.set _ZL37rocblas_syrkx_herkx_restricted_kernelIldLi16ELi32ELi8ELb1ELb0ELc84ELc76EKddEviT_T0_PT8_S1_lS4_S1_lS2_PT9_S1_li.uses_vcc, 1
	.set _ZL37rocblas_syrkx_herkx_restricted_kernelIldLi16ELi32ELi8ELb1ELb0ELc84ELc76EKddEviT_T0_PT8_S1_lS4_S1_lS2_PT9_S1_li.uses_flat_scratch, 0
	.set _ZL37rocblas_syrkx_herkx_restricted_kernelIldLi16ELi32ELi8ELb1ELb0ELc84ELc76EKddEviT_T0_PT8_S1_lS4_S1_lS2_PT9_S1_li.has_dyn_sized_stack, 0
	.set _ZL37rocblas_syrkx_herkx_restricted_kernelIldLi16ELi32ELi8ELb1ELb0ELc84ELc76EKddEviT_T0_PT8_S1_lS4_S1_lS2_PT9_S1_li.has_recursion, 0
	.set _ZL37rocblas_syrkx_herkx_restricted_kernelIldLi16ELi32ELi8ELb1ELb0ELc84ELc76EKddEviT_T0_PT8_S1_lS4_S1_lS2_PT9_S1_li.has_indirect_call, 0
	.section	.AMDGPU.csdata,"",@progbits
; Kernel info:
; codeLenInByte = 1344
; TotalNumSgprs: 32
; NumVgprs: 38
; ScratchSize: 0
; MemoryBound: 0
; FloatMode: 240
; IeeeMode: 1
; LDSByteSize: 4096 bytes/workgroup (compile time only)
; SGPRBlocks: 3
; VGPRBlocks: 9
; NumSGPRsForWavesPerEU: 32
; NumVGPRsForWavesPerEU: 38
; Occupancy: 6
; WaveLimiterHint : 1
; COMPUTE_PGM_RSRC2:SCRATCH_EN: 0
; COMPUTE_PGM_RSRC2:USER_SGPR: 6
; COMPUTE_PGM_RSRC2:TRAP_HANDLER: 0
; COMPUTE_PGM_RSRC2:TGID_X_EN: 1
; COMPUTE_PGM_RSRC2:TGID_Y_EN: 1
; COMPUTE_PGM_RSRC2:TGID_Z_EN: 1
; COMPUTE_PGM_RSRC2:TIDIG_COMP_CNT: 1
	.section	.text._ZL37rocblas_syrkx_herkx_restricted_kernelIldLi16ELi32ELi8ELb1ELb0ELc67ELc76EKddEviT_T0_PT8_S1_lS4_S1_lS2_PT9_S1_li,"axG",@progbits,_ZL37rocblas_syrkx_herkx_restricted_kernelIldLi16ELi32ELi8ELb1ELb0ELc67ELc76EKddEviT_T0_PT8_S1_lS4_S1_lS2_PT9_S1_li,comdat
	.globl	_ZL37rocblas_syrkx_herkx_restricted_kernelIldLi16ELi32ELi8ELb1ELb0ELc67ELc76EKddEviT_T0_PT8_S1_lS4_S1_lS2_PT9_S1_li ; -- Begin function _ZL37rocblas_syrkx_herkx_restricted_kernelIldLi16ELi32ELi8ELb1ELb0ELc67ELc76EKddEviT_T0_PT8_S1_lS4_S1_lS2_PT9_S1_li
	.p2align	8
	.type	_ZL37rocblas_syrkx_herkx_restricted_kernelIldLi16ELi32ELi8ELb1ELb0ELc67ELc76EKddEviT_T0_PT8_S1_lS4_S1_lS2_PT9_S1_li,@function
_ZL37rocblas_syrkx_herkx_restricted_kernelIldLi16ELi32ELi8ELb1ELb0ELc67ELc76EKddEviT_T0_PT8_S1_lS4_S1_lS2_PT9_S1_li: ; @_ZL37rocblas_syrkx_herkx_restricted_kernelIldLi16ELi32ELi8ELb1ELb0ELc67ELc76EKddEviT_T0_PT8_S1_lS4_S1_lS2_PT9_S1_li
; %bb.0:
	s_load_dwordx16 s[12:27], s[4:5], 0x8
	s_lshl_b32 s2, s6, 5
	s_lshl_b32 s3, s7, 5
	s_waitcnt lgkmcnt(0)
	v_cmp_lt_i64_e64 s[0:1], s[12:13], 1
	s_and_b64 vcc, exec, s[0:1]
	s_cbranch_vccnz .LBB1028_3
; %bb.1:
	v_lshl_add_u32 v3, v1, 4, v0
	v_and_b32_e32 v7, 31, v3
	v_lshrrev_b32_e32 v4, 5, v3
	v_and_b32_e32 v2, 7, v0
	v_lshlrev_b32_e32 v10, 3, v7
	v_lshrrev_b32_e32 v6, 3, v3
	v_lshl_or_b32 v14, v4, 8, v10
	v_lshlrev_b32_e32 v10, 3, v2
	v_add_u32_e32 v8, s3, v6
	v_lshl_or_b32 v6, v6, 6, v10
	v_ashrrev_i32_e32 v9, 31, v8
	v_mov_b32_e32 v3, 0
	v_add_u32_e32 v15, 0x800, v6
	v_mov_b32_e32 v6, 0x800
	v_mov_b32_e32 v5, v3
	v_lshl_add_u32 v17, v1, 6, v6
	v_mul_lo_u32 v6, s24, v9
	v_mul_lo_u32 v9, s25, v8
	v_mad_u64_u32 v[2:3], s[0:1], s24, v8, v[2:3]
	s_mul_i32 s6, s27, s8
	s_mul_hi_u32 s7, s26, s8
	s_add_i32 s1, s7, s6
	s_mul_i32 s0, s26, s8
	s_lshl_b64 s[0:1], s[0:1], 3
	v_add3_u32 v3, v9, v3, v6
	v_lshlrev_b64 v[2:3], 3, v[2:3]
	s_add_u32 s0, s22, s0
	s_addc_u32 s1, s23, s1
	v_mov_b32_e32 v6, s1
	v_add_co_u32_e32 v2, vcc, s0, v2
	v_addc_co_u32_e32 v3, vcc, v6, v3, vcc
	v_add_u32_e32 v6, s2, v7
	v_ashrrev_i32_e32 v7, 31, v6
	v_mul_lo_u32 v7, s18, v7
	v_mad_u64_u32 v[4:5], s[0:1], s18, v6, v[4:5]
	v_mul_lo_u32 v6, s19, v6
	s_mul_i32 s6, s21, s8
	s_mul_hi_u32 s7, s20, s8
	s_add_i32 s1, s7, s6
	s_mul_i32 s0, s20, s8
	s_lshl_b64 s[0:1], s[0:1], 3
	v_add3_u32 v5, v6, v5, v7
	v_lshlrev_b64 v[4:5], 3, v[4:5]
	s_add_u32 s0, s16, s0
	s_addc_u32 s1, s17, s1
	v_mov_b32_e32 v7, s1
	v_add_co_u32_e32 v6, vcc, s0, v4
	v_addc_co_u32_e32 v7, vcc, v7, v5, vcc
	v_mov_b32_e32 v4, 0
	v_mov_b32_e32 v8, 0
	;; [unrolled: 1-line block ×4, first 2 shown]
	v_lshlrev_b32_e32 v16, 3, v0
	v_mov_b32_e32 v5, 0
	v_mov_b32_e32 v9, 0
	;; [unrolled: 1-line block ×4, first 2 shown]
	s_mov_b64 s[0:1], 0
.LBB1028_2:                             ; =>This Inner Loop Header: Depth=1
	global_load_dwordx2 v[18:19], v[6:7], off
	global_load_dwordx2 v[20:21], v[2:3], off
	s_add_u32 s0, s0, 8
	v_add_co_u32_e32 v2, vcc, 64, v2
	v_addc_co_u32_e32 v3, vcc, 0, v3, vcc
	s_addc_u32 s1, s1, 0
	v_add_co_u32_e32 v6, vcc, 64, v6
	v_addc_co_u32_e32 v7, vcc, 0, v7, vcc
	s_waitcnt vmcnt(1)
	ds_write_b64 v14, v[18:19]
	s_waitcnt vmcnt(0)
	ds_write_b64 v15, v[20:21]
	s_waitcnt lgkmcnt(0)
	s_barrier
	ds_read2_b64 v[18:21], v16 offset1:16
	ds_read_b128 v[22:25], v17
	ds_read_b128 v[26:29], v17 offset:1024
	ds_read_b128 v[30:33], v17 offset:16
	s_waitcnt lgkmcnt(2)
	v_fma_f64 v[34:35], v[18:19], v[22:23], v[12:13]
	v_fma_f64 v[22:23], v[20:21], v[22:23], v[10:11]
	s_waitcnt lgkmcnt(1)
	v_fma_f64 v[8:9], v[18:19], v[26:27], v[8:9]
	v_fma_f64 v[4:5], v[20:21], v[26:27], v[4:5]
	ds_read2_b64 v[18:21], v16 offset0:32 offset1:48
	ds_read_b128 v[10:13], v17 offset:1040
	s_waitcnt lgkmcnt(1)
	v_fma_f64 v[26:27], v[18:19], v[24:25], v[34:35]
	v_fma_f64 v[34:35], v[20:21], v[24:25], v[22:23]
	;; [unrolled: 1-line block ×4, first 2 shown]
	ds_read2_b64 v[18:21], v16 offset0:64 offset1:80
	ds_read2_b64 v[22:25], v16 offset0:96 offset1:112
	s_waitcnt lgkmcnt(1)
	v_fma_f64 v[26:27], v[18:19], v[30:31], v[26:27]
	v_fma_f64 v[28:29], v[20:21], v[30:31], v[34:35]
	;; [unrolled: 1-line block ×4, first 2 shown]
	ds_read2_b64 v[8:11], v16 offset0:128 offset1:144
	ds_read_b128 v[18:21], v17 offset:32
	s_waitcnt lgkmcnt(2)
	v_fma_f64 v[34:35], v[22:23], v[32:33], v[26:27]
	v_fma_f64 v[32:33], v[24:25], v[32:33], v[28:29]
	;; [unrolled: 1-line block ×4, first 2 shown]
	ds_read_b128 v[22:25], v17 offset:1056
	ds_read_b128 v[26:29], v17 offset:48
	s_waitcnt lgkmcnt(2)
	v_fma_f64 v[12:13], v[8:9], v[18:19], v[34:35]
	v_fma_f64 v[18:19], v[10:11], v[18:19], v[32:33]
	s_waitcnt lgkmcnt(1)
	v_fma_f64 v[34:35], v[8:9], v[22:23], v[36:37]
	v_fma_f64 v[4:5], v[10:11], v[22:23], v[4:5]
	ds_read2_b64 v[8:11], v16 offset0:160 offset1:176
	ds_read_b128 v[30:33], v17 offset:1072
	v_mov_b32_e32 v23, s1
	v_mov_b32_e32 v22, s0
	v_cmp_le_u64_e32 vcc, s[12:13], v[22:23]
	s_waitcnt lgkmcnt(1)
	v_fma_f64 v[12:13], v[8:9], v[20:21], v[12:13]
	v_fma_f64 v[18:19], v[10:11], v[20:21], v[18:19]
	;; [unrolled: 1-line block ×4, first 2 shown]
	ds_read2_b64 v[8:11], v16 offset0:192 offset1:208
	s_and_b64 vcc, exec, vcc
	s_waitcnt lgkmcnt(0)
	v_fma_f64 v[12:13], v[8:9], v[26:27], v[12:13]
	v_fma_f64 v[24:25], v[10:11], v[26:27], v[18:19]
	;; [unrolled: 1-line block ×4, first 2 shown]
	ds_read2_b64 v[18:21], v16 offset0:224 offset1:240
	s_waitcnt lgkmcnt(0)
	s_barrier
	v_fma_f64 v[12:13], v[18:19], v[28:29], v[12:13]
	v_fma_f64 v[10:11], v[20:21], v[28:29], v[24:25]
	;; [unrolled: 1-line block ×4, first 2 shown]
	s_cbranch_vccz .LBB1028_2
	s_branch .LBB1028_4
.LBB1028_3:
	v_mov_b32_e32 v12, 0
	v_mov_b32_e32 v10, 0
	v_mov_b32_e32 v8, 0
	v_mov_b32_e32 v4, 0
	v_mov_b32_e32 v13, 0
	v_mov_b32_e32 v11, 0
	v_mov_b32_e32 v9, 0
	v_mov_b32_e32 v5, 0
.LBB1028_4:
	s_load_dwordx2 s[0:1], s[4:5], 0x60
	s_load_dword s9, s[4:5], 0x0
	s_load_dwordx4 s[16:19], s[4:5], 0x50
	v_add_u32_e32 v6, s3, v1
	v_ashrrev_i32_e32 v1, 31, v6
	s_waitcnt lgkmcnt(0)
	s_mul_i32 s1, s1, s8
	s_mul_hi_u32 s4, s0, s8
	s_add_i32 s1, s4, s1
	v_mul_lo_u32 v3, s18, v1
	v_mul_lo_u32 v7, s19, v6
	v_mad_u64_u32 v[1:2], s[4:5], s18, v6, 0
	s_mul_i32 s0, s0, s8
	s_lshl_b64 s[0:1], s[0:1], 3
	v_add3_u32 v2, v2, v3, v7
	s_add_u32 s6, s16, s0
	v_lshlrev_b64 v[1:2], 3, v[1:2]
	s_addc_u32 s7, s17, s1
	v_mov_b32_e32 v3, s7
	v_add_co_u32_e32 v7, vcc, s6, v1
	v_add_u32_e32 v0, s2, v0
	v_addc_co_u32_e32 v14, vcc, v3, v2, vcc
	v_cmp_le_i32_e64 s[0:1], v6, v0
	v_cmp_gt_i32_e32 vcc, s9, v0
	s_and_b64 s[0:1], s[0:1], vcc
	s_and_saveexec_b64 s[2:3], s[0:1]
	s_cbranch_execz .LBB1028_6
; %bb.5:
	v_mul_f64 v[2:3], s[14:15], v[12:13]
	v_ashrrev_i32_e32 v1, 31, v0
	v_lshlrev_b64 v[12:13], 3, v[0:1]
	v_add_co_u32_e64 v12, s[0:1], v7, v12
	v_addc_co_u32_e64 v13, s[0:1], v14, v13, s[0:1]
	global_store_dwordx2 v[12:13], v[2:3], off
.LBB1028_6:
	s_or_b64 exec, exec, s[2:3]
	v_add_u32_e32 v2, 16, v0
	v_cmp_le_i32_e64 s[2:3], v6, v2
	v_cmp_gt_i32_e64 s[0:1], s9, v2
	s_and_b64 s[2:3], s[2:3], s[0:1]
	s_and_saveexec_b64 s[4:5], s[2:3]
	s_cbranch_execz .LBB1028_8
; %bb.7:
	v_mul_f64 v[10:11], s[14:15], v[10:11]
	v_ashrrev_i32_e32 v3, 31, v2
	v_lshlrev_b64 v[12:13], 3, v[2:3]
	v_add_co_u32_e64 v12, s[2:3], v7, v12
	v_addc_co_u32_e64 v13, s[2:3], v14, v13, s[2:3]
	global_store_dwordx2 v[12:13], v[10:11], off
.LBB1028_8:
	s_or_b64 exec, exec, s[4:5]
	v_add_u32_e32 v3, 16, v6
	v_ashrrev_i32_e32 v1, 31, v3
	v_mul_lo_u32 v10, s19, v3
	v_mad_u64_u32 v[6:7], s[2:3], s18, v3, 0
	v_mul_lo_u32 v1, s18, v1
	v_add3_u32 v7, v7, v1, v10
	v_lshlrev_b64 v[6:7], 3, v[6:7]
	v_mov_b32_e32 v1, s7
	v_add_co_u32_e64 v6, s[2:3], s6, v6
	v_addc_co_u32_e64 v7, s[2:3], v1, v7, s[2:3]
	v_cmp_le_i32_e64 s[2:3], v3, v0
	s_and_b64 s[4:5], s[2:3], vcc
	s_and_saveexec_b64 s[2:3], s[4:5]
	s_cbranch_execz .LBB1028_10
; %bb.9:
	v_mul_f64 v[8:9], s[14:15], v[8:9]
	v_ashrrev_i32_e32 v1, 31, v0
	v_lshlrev_b64 v[0:1], 3, v[0:1]
	v_add_co_u32_e32 v0, vcc, v6, v0
	v_addc_co_u32_e32 v1, vcc, v7, v1, vcc
	global_store_dwordx2 v[0:1], v[8:9], off
.LBB1028_10:
	s_or_b64 exec, exec, s[2:3]
	v_cmp_le_i32_e32 vcc, v3, v2
	s_and_b64 s[0:1], vcc, s[0:1]
	s_and_saveexec_b64 s[2:3], s[0:1]
	s_cbranch_execz .LBB1028_12
; %bb.11:
	v_mul_f64 v[0:1], s[14:15], v[4:5]
	v_ashrrev_i32_e32 v3, 31, v2
	v_lshlrev_b64 v[2:3], 3, v[2:3]
	v_add_co_u32_e32 v2, vcc, v6, v2
	v_addc_co_u32_e32 v3, vcc, v7, v3, vcc
	global_store_dwordx2 v[2:3], v[0:1], off
.LBB1028_12:
	s_endpgm
	.section	.rodata,"a",@progbits
	.p2align	6, 0x0
	.amdhsa_kernel _ZL37rocblas_syrkx_herkx_restricted_kernelIldLi16ELi32ELi8ELb1ELb0ELc67ELc76EKddEviT_T0_PT8_S1_lS4_S1_lS2_PT9_S1_li
		.amdhsa_group_segment_fixed_size 4096
		.amdhsa_private_segment_fixed_size 0
		.amdhsa_kernarg_size 108
		.amdhsa_user_sgpr_count 6
		.amdhsa_user_sgpr_private_segment_buffer 1
		.amdhsa_user_sgpr_dispatch_ptr 0
		.amdhsa_user_sgpr_queue_ptr 0
		.amdhsa_user_sgpr_kernarg_segment_ptr 1
		.amdhsa_user_sgpr_dispatch_id 0
		.amdhsa_user_sgpr_flat_scratch_init 0
		.amdhsa_user_sgpr_private_segment_size 0
		.amdhsa_uses_dynamic_stack 0
		.amdhsa_system_sgpr_private_segment_wavefront_offset 0
		.amdhsa_system_sgpr_workgroup_id_x 1
		.amdhsa_system_sgpr_workgroup_id_y 1
		.amdhsa_system_sgpr_workgroup_id_z 1
		.amdhsa_system_sgpr_workgroup_info 0
		.amdhsa_system_vgpr_workitem_id 1
		.amdhsa_next_free_vgpr 38
		.amdhsa_next_free_sgpr 28
		.amdhsa_reserve_vcc 1
		.amdhsa_reserve_flat_scratch 0
		.amdhsa_float_round_mode_32 0
		.amdhsa_float_round_mode_16_64 0
		.amdhsa_float_denorm_mode_32 3
		.amdhsa_float_denorm_mode_16_64 3
		.amdhsa_dx10_clamp 1
		.amdhsa_ieee_mode 1
		.amdhsa_fp16_overflow 0
		.amdhsa_exception_fp_ieee_invalid_op 0
		.amdhsa_exception_fp_denorm_src 0
		.amdhsa_exception_fp_ieee_div_zero 0
		.amdhsa_exception_fp_ieee_overflow 0
		.amdhsa_exception_fp_ieee_underflow 0
		.amdhsa_exception_fp_ieee_inexact 0
		.amdhsa_exception_int_div_zero 0
	.end_amdhsa_kernel
	.section	.text._ZL37rocblas_syrkx_herkx_restricted_kernelIldLi16ELi32ELi8ELb1ELb0ELc67ELc76EKddEviT_T0_PT8_S1_lS4_S1_lS2_PT9_S1_li,"axG",@progbits,_ZL37rocblas_syrkx_herkx_restricted_kernelIldLi16ELi32ELi8ELb1ELb0ELc67ELc76EKddEviT_T0_PT8_S1_lS4_S1_lS2_PT9_S1_li,comdat
.Lfunc_end1028:
	.size	_ZL37rocblas_syrkx_herkx_restricted_kernelIldLi16ELi32ELi8ELb1ELb0ELc67ELc76EKddEviT_T0_PT8_S1_lS4_S1_lS2_PT9_S1_li, .Lfunc_end1028-_ZL37rocblas_syrkx_herkx_restricted_kernelIldLi16ELi32ELi8ELb1ELb0ELc67ELc76EKddEviT_T0_PT8_S1_lS4_S1_lS2_PT9_S1_li
                                        ; -- End function
	.set _ZL37rocblas_syrkx_herkx_restricted_kernelIldLi16ELi32ELi8ELb1ELb0ELc67ELc76EKddEviT_T0_PT8_S1_lS4_S1_lS2_PT9_S1_li.num_vgpr, 38
	.set _ZL37rocblas_syrkx_herkx_restricted_kernelIldLi16ELi32ELi8ELb1ELb0ELc67ELc76EKddEviT_T0_PT8_S1_lS4_S1_lS2_PT9_S1_li.num_agpr, 0
	.set _ZL37rocblas_syrkx_herkx_restricted_kernelIldLi16ELi32ELi8ELb1ELb0ELc67ELc76EKddEviT_T0_PT8_S1_lS4_S1_lS2_PT9_S1_li.numbered_sgpr, 28
	.set _ZL37rocblas_syrkx_herkx_restricted_kernelIldLi16ELi32ELi8ELb1ELb0ELc67ELc76EKddEviT_T0_PT8_S1_lS4_S1_lS2_PT9_S1_li.num_named_barrier, 0
	.set _ZL37rocblas_syrkx_herkx_restricted_kernelIldLi16ELi32ELi8ELb1ELb0ELc67ELc76EKddEviT_T0_PT8_S1_lS4_S1_lS2_PT9_S1_li.private_seg_size, 0
	.set _ZL37rocblas_syrkx_herkx_restricted_kernelIldLi16ELi32ELi8ELb1ELb0ELc67ELc76EKddEviT_T0_PT8_S1_lS4_S1_lS2_PT9_S1_li.uses_vcc, 1
	.set _ZL37rocblas_syrkx_herkx_restricted_kernelIldLi16ELi32ELi8ELb1ELb0ELc67ELc76EKddEviT_T0_PT8_S1_lS4_S1_lS2_PT9_S1_li.uses_flat_scratch, 0
	.set _ZL37rocblas_syrkx_herkx_restricted_kernelIldLi16ELi32ELi8ELb1ELb0ELc67ELc76EKddEviT_T0_PT8_S1_lS4_S1_lS2_PT9_S1_li.has_dyn_sized_stack, 0
	.set _ZL37rocblas_syrkx_herkx_restricted_kernelIldLi16ELi32ELi8ELb1ELb0ELc67ELc76EKddEviT_T0_PT8_S1_lS4_S1_lS2_PT9_S1_li.has_recursion, 0
	.set _ZL37rocblas_syrkx_herkx_restricted_kernelIldLi16ELi32ELi8ELb1ELb0ELc67ELc76EKddEviT_T0_PT8_S1_lS4_S1_lS2_PT9_S1_li.has_indirect_call, 0
	.section	.AMDGPU.csdata,"",@progbits
; Kernel info:
; codeLenInByte = 1344
; TotalNumSgprs: 32
; NumVgprs: 38
; ScratchSize: 0
; MemoryBound: 0
; FloatMode: 240
; IeeeMode: 1
; LDSByteSize: 4096 bytes/workgroup (compile time only)
; SGPRBlocks: 3
; VGPRBlocks: 9
; NumSGPRsForWavesPerEU: 32
; NumVGPRsForWavesPerEU: 38
; Occupancy: 6
; WaveLimiterHint : 1
; COMPUTE_PGM_RSRC2:SCRATCH_EN: 0
; COMPUTE_PGM_RSRC2:USER_SGPR: 6
; COMPUTE_PGM_RSRC2:TRAP_HANDLER: 0
; COMPUTE_PGM_RSRC2:TGID_X_EN: 1
; COMPUTE_PGM_RSRC2:TGID_Y_EN: 1
; COMPUTE_PGM_RSRC2:TGID_Z_EN: 1
; COMPUTE_PGM_RSRC2:TIDIG_COMP_CNT: 1
	.section	.text._ZL37rocblas_syrkx_herkx_restricted_kernelIldLi16ELi32ELi8ELb1ELb0ELc78ELc76EKddEviT_T0_PT8_S1_lS4_S1_lS2_PT9_S1_li,"axG",@progbits,_ZL37rocblas_syrkx_herkx_restricted_kernelIldLi16ELi32ELi8ELb1ELb0ELc78ELc76EKddEviT_T0_PT8_S1_lS4_S1_lS2_PT9_S1_li,comdat
	.globl	_ZL37rocblas_syrkx_herkx_restricted_kernelIldLi16ELi32ELi8ELb1ELb0ELc78ELc76EKddEviT_T0_PT8_S1_lS4_S1_lS2_PT9_S1_li ; -- Begin function _ZL37rocblas_syrkx_herkx_restricted_kernelIldLi16ELi32ELi8ELb1ELb0ELc78ELc76EKddEviT_T0_PT8_S1_lS4_S1_lS2_PT9_S1_li
	.p2align	8
	.type	_ZL37rocblas_syrkx_herkx_restricted_kernelIldLi16ELi32ELi8ELb1ELb0ELc78ELc76EKddEviT_T0_PT8_S1_lS4_S1_lS2_PT9_S1_li,@function
_ZL37rocblas_syrkx_herkx_restricted_kernelIldLi16ELi32ELi8ELb1ELb0ELc78ELc76EKddEviT_T0_PT8_S1_lS4_S1_lS2_PT9_S1_li: ; @_ZL37rocblas_syrkx_herkx_restricted_kernelIldLi16ELi32ELi8ELb1ELb0ELc78ELc76EKddEviT_T0_PT8_S1_lS4_S1_lS2_PT9_S1_li
; %bb.0:
	s_load_dwordx16 s[12:27], s[4:5], 0x8
	s_lshl_b32 s9, s6, 5
	s_lshl_b32 s10, s7, 5
	s_waitcnt lgkmcnt(0)
	v_cmp_lt_i64_e64 s[0:1], s[12:13], 1
	s_and_b64 vcc, exec, s[0:1]
	s_cbranch_vccnz .LBB1029_3
; %bb.1:
	v_lshl_add_u32 v2, v1, 4, v0
	v_lshrrev_b32_e32 v4, 3, v2
	v_lshrrev_b32_e32 v6, 5, v2
	v_and_b32_e32 v7, 31, v2
	v_add_u32_e32 v2, s10, v4
	v_and_b32_e32 v5, 7, v0
	v_ashrrev_i32_e32 v3, 31, v2
	v_lshlrev_b32_e32 v8, 3, v7
	v_mad_u64_u32 v[2:3], s[0:1], s24, v5, v[2:3]
	v_lshl_or_b32 v14, v6, 8, v8
	v_lshlrev_b32_e32 v8, 3, v5
	v_lshl_or_b32 v4, v4, 6, v8
	v_add_u32_e32 v15, 0x800, v4
	v_mov_b32_e32 v4, 0x800
	v_lshl_add_u32 v17, v1, 6, v4
	v_mad_u64_u32 v[3:4], s[0:1], s25, v5, v[3:4]
	s_mul_i32 s2, s27, s8
	s_mul_hi_u32 s3, s26, s8
	s_add_i32 s1, s3, s2
	s_mul_i32 s0, s26, s8
	s_lshl_b64 s[0:1], s[0:1], 3
	v_lshlrev_b64 v[2:3], 3, v[2:3]
	s_add_u32 s0, s22, s0
	s_addc_u32 s1, s23, s1
	v_mov_b32_e32 v4, s1
	v_add_co_u32_e32 v2, vcc, s0, v2
	v_addc_co_u32_e32 v3, vcc, v4, v3, vcc
	v_add_u32_e32 v4, s9, v7
	v_ashrrev_i32_e32 v5, 31, v4
	v_mad_u64_u32 v[4:5], s[0:1], s18, v6, v[4:5]
	s_mul_i32 s6, s21, s8
	s_mul_hi_u32 s7, s20, s8
	v_mad_u64_u32 v[5:6], s[2:3], s19, v6, v[5:6]
	s_add_i32 s3, s7, s6
	s_mul_i32 s2, s20, s8
	s_lshl_b64 s[0:1], s[24:25], 6
	s_lshl_b64 s[2:3], s[2:3], 3
	v_lshlrev_b64 v[4:5], 3, v[4:5]
	s_add_u32 s2, s16, s2
	s_addc_u32 s3, s17, s3
	v_mov_b32_e32 v7, s3
	v_add_co_u32_e32 v6, vcc, s2, v4
	v_addc_co_u32_e32 v7, vcc, v7, v5, vcc
	s_lshl_b64 s[2:3], s[18:19], 6
	v_mov_b32_e32 v4, 0
	v_mov_b32_e32 v8, 0
	;; [unrolled: 1-line block ×4, first 2 shown]
	v_lshlrev_b32_e32 v16, 3, v0
	v_mov_b32_e32 v5, 0
	s_mov_b64 s[6:7], 0
	v_mov_b32_e32 v18, s1
	v_mov_b32_e32 v9, 0
	;; [unrolled: 1-line block ×5, first 2 shown]
.LBB1029_2:                             ; =>This Inner Loop Header: Depth=1
	global_load_dwordx2 v[20:21], v[6:7], off
	global_load_dwordx2 v[22:23], v[2:3], off
	s_add_u32 s6, s6, 8
	v_add_co_u32_e32 v2, vcc, s0, v2
	v_addc_co_u32_e32 v3, vcc, v3, v18, vcc
	s_addc_u32 s7, s7, 0
	v_add_co_u32_e32 v6, vcc, s2, v6
	v_addc_co_u32_e32 v7, vcc, v7, v19, vcc
	s_waitcnt vmcnt(1)
	ds_write_b64 v14, v[20:21]
	s_waitcnt vmcnt(0)
	ds_write_b64 v15, v[22:23]
	s_waitcnt lgkmcnt(0)
	s_barrier
	ds_read2_b64 v[20:23], v16 offset1:16
	ds_read_b128 v[24:27], v17
	ds_read_b128 v[28:31], v17 offset:16
	s_waitcnt lgkmcnt(1)
	v_fma_f64 v[36:37], v[20:21], v[24:25], v[12:13]
	v_fma_f64 v[24:25], v[22:23], v[24:25], v[10:11]
	ds_read_b128 v[10:13], v17 offset:1024
	ds_read_b128 v[32:35], v17 offset:1040
	s_waitcnt lgkmcnt(1)
	v_fma_f64 v[20:21], v[20:21], v[10:11], v[8:9]
	v_fma_f64 v[4:5], v[22:23], v[10:11], v[4:5]
	ds_read2_b64 v[8:11], v16 offset0:32 offset1:48
	s_waitcnt lgkmcnt(0)
	v_fma_f64 v[22:23], v[8:9], v[26:27], v[36:37]
	v_fma_f64 v[24:25], v[10:11], v[26:27], v[24:25]
	v_fma_f64 v[20:21], v[8:9], v[12:13], v[20:21]
	v_fma_f64 v[4:5], v[10:11], v[12:13], v[4:5]
	ds_read2_b64 v[8:11], v16 offset0:64 offset1:80
	s_waitcnt lgkmcnt(0)
	v_fma_f64 v[12:13], v[8:9], v[28:29], v[22:23]
	v_fma_f64 v[22:23], v[10:11], v[28:29], v[24:25]
	;; [unrolled: 6-line block ×3, first 2 shown]
	ds_read2_b64 v[20:23], v16 offset0:128 offset1:144
	v_fma_f64 v[36:37], v[8:9], v[34:35], v[24:25]
	v_fma_f64 v[4:5], v[10:11], v[34:35], v[4:5]
	ds_read_b128 v[8:11], v17 offset:32
	ds_read_b128 v[24:27], v17 offset:48
	s_waitcnt lgkmcnt(1)
	v_fma_f64 v[12:13], v[20:21], v[8:9], v[12:13]
	v_fma_f64 v[8:9], v[22:23], v[8:9], v[28:29]
	ds_read_b128 v[28:31], v17 offset:1056
	ds_read_b128 v[32:35], v17 offset:1072
	s_waitcnt lgkmcnt(1)
	v_fma_f64 v[36:37], v[20:21], v[28:29], v[36:37]
	v_fma_f64 v[4:5], v[22:23], v[28:29], v[4:5]
	ds_read2_b64 v[20:23], v16 offset0:160 offset1:176
	s_waitcnt lgkmcnt(0)
	v_fma_f64 v[12:13], v[20:21], v[10:11], v[12:13]
	v_fma_f64 v[28:29], v[22:23], v[10:11], v[8:9]
	;; [unrolled: 1-line block ×4, first 2 shown]
	ds_read2_b64 v[8:11], v16 offset0:192 offset1:208
	v_mov_b32_e32 v31, s7
	v_mov_b32_e32 v30, s6
	v_cmp_le_u64_e32 vcc, s[12:13], v[30:31]
	s_waitcnt lgkmcnt(0)
	v_fma_f64 v[12:13], v[8:9], v[24:25], v[12:13]
	v_fma_f64 v[24:25], v[10:11], v[24:25], v[28:29]
	;; [unrolled: 1-line block ×4, first 2 shown]
	ds_read2_b64 v[20:23], v16 offset0:224 offset1:240
	s_and_b64 vcc, exec, vcc
	s_waitcnt lgkmcnt(0)
	s_barrier
	v_fma_f64 v[12:13], v[20:21], v[26:27], v[12:13]
	v_fma_f64 v[10:11], v[22:23], v[26:27], v[24:25]
	;; [unrolled: 1-line block ×4, first 2 shown]
	s_cbranch_vccz .LBB1029_2
	s_branch .LBB1029_4
.LBB1029_3:
	v_mov_b32_e32 v12, 0
	v_mov_b32_e32 v10, 0
	;; [unrolled: 1-line block ×8, first 2 shown]
.LBB1029_4:
	s_load_dwordx2 s[0:1], s[4:5], 0x60
	s_load_dword s11, s[4:5], 0x0
	s_load_dwordx4 s[16:19], s[4:5], 0x50
	v_add_u32_e32 v6, s10, v1
	v_ashrrev_i32_e32 v1, 31, v6
	s_waitcnt lgkmcnt(0)
	s_mul_i32 s1, s1, s8
	s_mul_hi_u32 s2, s0, s8
	s_add_i32 s1, s2, s1
	v_mul_lo_u32 v3, s18, v1
	v_mul_lo_u32 v7, s19, v6
	v_mad_u64_u32 v[1:2], s[2:3], s18, v6, 0
	s_mul_i32 s0, s0, s8
	s_lshl_b64 s[0:1], s[0:1], 3
	v_add3_u32 v2, v2, v3, v7
	s_add_u32 s6, s16, s0
	v_lshlrev_b64 v[1:2], 3, v[1:2]
	s_addc_u32 s7, s17, s1
	v_mov_b32_e32 v3, s7
	v_add_co_u32_e32 v7, vcc, s6, v1
	v_add_u32_e32 v0, s9, v0
	v_addc_co_u32_e32 v14, vcc, v3, v2, vcc
	v_cmp_le_i32_e64 s[0:1], v6, v0
	v_cmp_gt_i32_e32 vcc, s11, v0
	s_and_b64 s[0:1], s[0:1], vcc
	s_and_saveexec_b64 s[2:3], s[0:1]
	s_cbranch_execz .LBB1029_6
; %bb.5:
	v_mul_f64 v[2:3], s[14:15], v[12:13]
	v_ashrrev_i32_e32 v1, 31, v0
	v_lshlrev_b64 v[12:13], 3, v[0:1]
	v_add_co_u32_e64 v12, s[0:1], v7, v12
	v_addc_co_u32_e64 v13, s[0:1], v14, v13, s[0:1]
	global_store_dwordx2 v[12:13], v[2:3], off
.LBB1029_6:
	s_or_b64 exec, exec, s[2:3]
	v_add_u32_e32 v2, 16, v0
	v_cmp_le_i32_e64 s[2:3], v6, v2
	v_cmp_gt_i32_e64 s[0:1], s11, v2
	s_and_b64 s[2:3], s[2:3], s[0:1]
	s_and_saveexec_b64 s[4:5], s[2:3]
	s_cbranch_execz .LBB1029_8
; %bb.7:
	v_mul_f64 v[10:11], s[14:15], v[10:11]
	v_ashrrev_i32_e32 v3, 31, v2
	v_lshlrev_b64 v[12:13], 3, v[2:3]
	v_add_co_u32_e64 v12, s[2:3], v7, v12
	v_addc_co_u32_e64 v13, s[2:3], v14, v13, s[2:3]
	global_store_dwordx2 v[12:13], v[10:11], off
.LBB1029_8:
	s_or_b64 exec, exec, s[4:5]
	v_add_u32_e32 v3, 16, v6
	v_ashrrev_i32_e32 v1, 31, v3
	v_mul_lo_u32 v10, s19, v3
	v_mad_u64_u32 v[6:7], s[2:3], s18, v3, 0
	v_mul_lo_u32 v1, s18, v1
	v_add3_u32 v7, v7, v1, v10
	v_lshlrev_b64 v[6:7], 3, v[6:7]
	v_mov_b32_e32 v1, s7
	v_add_co_u32_e64 v6, s[2:3], s6, v6
	v_addc_co_u32_e64 v7, s[2:3], v1, v7, s[2:3]
	v_cmp_le_i32_e64 s[2:3], v3, v0
	s_and_b64 s[4:5], s[2:3], vcc
	s_and_saveexec_b64 s[2:3], s[4:5]
	s_cbranch_execz .LBB1029_10
; %bb.9:
	v_mul_f64 v[8:9], s[14:15], v[8:9]
	v_ashrrev_i32_e32 v1, 31, v0
	v_lshlrev_b64 v[0:1], 3, v[0:1]
	v_add_co_u32_e32 v0, vcc, v6, v0
	v_addc_co_u32_e32 v1, vcc, v7, v1, vcc
	global_store_dwordx2 v[0:1], v[8:9], off
.LBB1029_10:
	s_or_b64 exec, exec, s[2:3]
	v_cmp_le_i32_e32 vcc, v3, v2
	s_and_b64 s[0:1], vcc, s[0:1]
	s_and_saveexec_b64 s[2:3], s[0:1]
	s_cbranch_execz .LBB1029_12
; %bb.11:
	v_mul_f64 v[0:1], s[14:15], v[4:5]
	v_ashrrev_i32_e32 v3, 31, v2
	v_lshlrev_b64 v[2:3], 3, v[2:3]
	v_add_co_u32_e32 v2, vcc, v6, v2
	v_addc_co_u32_e32 v3, vcc, v7, v3, vcc
	global_store_dwordx2 v[2:3], v[0:1], off
.LBB1029_12:
	s_endpgm
	.section	.rodata,"a",@progbits
	.p2align	6, 0x0
	.amdhsa_kernel _ZL37rocblas_syrkx_herkx_restricted_kernelIldLi16ELi32ELi8ELb1ELb0ELc78ELc76EKddEviT_T0_PT8_S1_lS4_S1_lS2_PT9_S1_li
		.amdhsa_group_segment_fixed_size 4096
		.amdhsa_private_segment_fixed_size 0
		.amdhsa_kernarg_size 108
		.amdhsa_user_sgpr_count 6
		.amdhsa_user_sgpr_private_segment_buffer 1
		.amdhsa_user_sgpr_dispatch_ptr 0
		.amdhsa_user_sgpr_queue_ptr 0
		.amdhsa_user_sgpr_kernarg_segment_ptr 1
		.amdhsa_user_sgpr_dispatch_id 0
		.amdhsa_user_sgpr_flat_scratch_init 0
		.amdhsa_user_sgpr_private_segment_size 0
		.amdhsa_uses_dynamic_stack 0
		.amdhsa_system_sgpr_private_segment_wavefront_offset 0
		.amdhsa_system_sgpr_workgroup_id_x 1
		.amdhsa_system_sgpr_workgroup_id_y 1
		.amdhsa_system_sgpr_workgroup_id_z 1
		.amdhsa_system_sgpr_workgroup_info 0
		.amdhsa_system_vgpr_workitem_id 1
		.amdhsa_next_free_vgpr 38
		.amdhsa_next_free_sgpr 28
		.amdhsa_reserve_vcc 1
		.amdhsa_reserve_flat_scratch 0
		.amdhsa_float_round_mode_32 0
		.amdhsa_float_round_mode_16_64 0
		.amdhsa_float_denorm_mode_32 3
		.amdhsa_float_denorm_mode_16_64 3
		.amdhsa_dx10_clamp 1
		.amdhsa_ieee_mode 1
		.amdhsa_fp16_overflow 0
		.amdhsa_exception_fp_ieee_invalid_op 0
		.amdhsa_exception_fp_denorm_src 0
		.amdhsa_exception_fp_ieee_div_zero 0
		.amdhsa_exception_fp_ieee_overflow 0
		.amdhsa_exception_fp_ieee_underflow 0
		.amdhsa_exception_fp_ieee_inexact 0
		.amdhsa_exception_int_div_zero 0
	.end_amdhsa_kernel
	.section	.text._ZL37rocblas_syrkx_herkx_restricted_kernelIldLi16ELi32ELi8ELb1ELb0ELc78ELc76EKddEviT_T0_PT8_S1_lS4_S1_lS2_PT9_S1_li,"axG",@progbits,_ZL37rocblas_syrkx_herkx_restricted_kernelIldLi16ELi32ELi8ELb1ELb0ELc78ELc76EKddEviT_T0_PT8_S1_lS4_S1_lS2_PT9_S1_li,comdat
.Lfunc_end1029:
	.size	_ZL37rocblas_syrkx_herkx_restricted_kernelIldLi16ELi32ELi8ELb1ELb0ELc78ELc76EKddEviT_T0_PT8_S1_lS4_S1_lS2_PT9_S1_li, .Lfunc_end1029-_ZL37rocblas_syrkx_herkx_restricted_kernelIldLi16ELi32ELi8ELb1ELb0ELc78ELc76EKddEviT_T0_PT8_S1_lS4_S1_lS2_PT9_S1_li
                                        ; -- End function
	.set _ZL37rocblas_syrkx_herkx_restricted_kernelIldLi16ELi32ELi8ELb1ELb0ELc78ELc76EKddEviT_T0_PT8_S1_lS4_S1_lS2_PT9_S1_li.num_vgpr, 38
	.set _ZL37rocblas_syrkx_herkx_restricted_kernelIldLi16ELi32ELi8ELb1ELb0ELc78ELc76EKddEviT_T0_PT8_S1_lS4_S1_lS2_PT9_S1_li.num_agpr, 0
	.set _ZL37rocblas_syrkx_herkx_restricted_kernelIldLi16ELi32ELi8ELb1ELb0ELc78ELc76EKddEviT_T0_PT8_S1_lS4_S1_lS2_PT9_S1_li.numbered_sgpr, 28
	.set _ZL37rocblas_syrkx_herkx_restricted_kernelIldLi16ELi32ELi8ELb1ELb0ELc78ELc76EKddEviT_T0_PT8_S1_lS4_S1_lS2_PT9_S1_li.num_named_barrier, 0
	.set _ZL37rocblas_syrkx_herkx_restricted_kernelIldLi16ELi32ELi8ELb1ELb0ELc78ELc76EKddEviT_T0_PT8_S1_lS4_S1_lS2_PT9_S1_li.private_seg_size, 0
	.set _ZL37rocblas_syrkx_herkx_restricted_kernelIldLi16ELi32ELi8ELb1ELb0ELc78ELc76EKddEviT_T0_PT8_S1_lS4_S1_lS2_PT9_S1_li.uses_vcc, 1
	.set _ZL37rocblas_syrkx_herkx_restricted_kernelIldLi16ELi32ELi8ELb1ELb0ELc78ELc76EKddEviT_T0_PT8_S1_lS4_S1_lS2_PT9_S1_li.uses_flat_scratch, 0
	.set _ZL37rocblas_syrkx_herkx_restricted_kernelIldLi16ELi32ELi8ELb1ELb0ELc78ELc76EKddEviT_T0_PT8_S1_lS4_S1_lS2_PT9_S1_li.has_dyn_sized_stack, 0
	.set _ZL37rocblas_syrkx_herkx_restricted_kernelIldLi16ELi32ELi8ELb1ELb0ELc78ELc76EKddEviT_T0_PT8_S1_lS4_S1_lS2_PT9_S1_li.has_recursion, 0
	.set _ZL37rocblas_syrkx_herkx_restricted_kernelIldLi16ELi32ELi8ELb1ELb0ELc78ELc76EKddEviT_T0_PT8_S1_lS4_S1_lS2_PT9_S1_li.has_indirect_call, 0
	.section	.AMDGPU.csdata,"",@progbits
; Kernel info:
; codeLenInByte = 1320
; TotalNumSgprs: 32
; NumVgprs: 38
; ScratchSize: 0
; MemoryBound: 0
; FloatMode: 240
; IeeeMode: 1
; LDSByteSize: 4096 bytes/workgroup (compile time only)
; SGPRBlocks: 3
; VGPRBlocks: 9
; NumSGPRsForWavesPerEU: 32
; NumVGPRsForWavesPerEU: 38
; Occupancy: 6
; WaveLimiterHint : 1
; COMPUTE_PGM_RSRC2:SCRATCH_EN: 0
; COMPUTE_PGM_RSRC2:USER_SGPR: 6
; COMPUTE_PGM_RSRC2:TRAP_HANDLER: 0
; COMPUTE_PGM_RSRC2:TGID_X_EN: 1
; COMPUTE_PGM_RSRC2:TGID_Y_EN: 1
; COMPUTE_PGM_RSRC2:TGID_Z_EN: 1
; COMPUTE_PGM_RSRC2:TIDIG_COMP_CNT: 1
	.section	.text._ZL37rocblas_syrkx_herkx_restricted_kernelIldLi16ELi32ELi8ELb1ELb0ELc84ELc85EKddEviT_T0_PT8_S1_lS4_S1_lS2_PT9_S1_li,"axG",@progbits,_ZL37rocblas_syrkx_herkx_restricted_kernelIldLi16ELi32ELi8ELb1ELb0ELc84ELc85EKddEviT_T0_PT8_S1_lS4_S1_lS2_PT9_S1_li,comdat
	.globl	_ZL37rocblas_syrkx_herkx_restricted_kernelIldLi16ELi32ELi8ELb1ELb0ELc84ELc85EKddEviT_T0_PT8_S1_lS4_S1_lS2_PT9_S1_li ; -- Begin function _ZL37rocblas_syrkx_herkx_restricted_kernelIldLi16ELi32ELi8ELb1ELb0ELc84ELc85EKddEviT_T0_PT8_S1_lS4_S1_lS2_PT9_S1_li
	.p2align	8
	.type	_ZL37rocblas_syrkx_herkx_restricted_kernelIldLi16ELi32ELi8ELb1ELb0ELc84ELc85EKddEviT_T0_PT8_S1_lS4_S1_lS2_PT9_S1_li,@function
_ZL37rocblas_syrkx_herkx_restricted_kernelIldLi16ELi32ELi8ELb1ELb0ELc84ELc85EKddEviT_T0_PT8_S1_lS4_S1_lS2_PT9_S1_li: ; @_ZL37rocblas_syrkx_herkx_restricted_kernelIldLi16ELi32ELi8ELb1ELb0ELc84ELc85EKddEviT_T0_PT8_S1_lS4_S1_lS2_PT9_S1_li
; %bb.0:
	s_load_dwordx16 s[12:27], s[4:5], 0x8
	s_lshl_b32 s6, s6, 5
	s_lshl_b32 s7, s7, 5
	s_waitcnt lgkmcnt(0)
	v_cmp_lt_i64_e64 s[0:1], s[12:13], 1
	s_and_b64 vcc, exec, s[0:1]
	s_cbranch_vccnz .LBB1030_3
; %bb.1:
	v_lshl_add_u32 v3, v1, 4, v0
	v_and_b32_e32 v7, 31, v3
	v_lshrrev_b32_e32 v4, 5, v3
	v_and_b32_e32 v2, 7, v0
	v_lshlrev_b32_e32 v10, 3, v7
	v_lshrrev_b32_e32 v6, 3, v3
	v_lshl_or_b32 v14, v4, 8, v10
	v_lshlrev_b32_e32 v10, 3, v2
	v_add_u32_e32 v8, s7, v6
	v_lshl_or_b32 v6, v6, 6, v10
	v_ashrrev_i32_e32 v9, 31, v8
	v_mov_b32_e32 v3, 0
	v_add_u32_e32 v15, 0x800, v6
	v_mov_b32_e32 v6, 0x800
	v_mov_b32_e32 v5, v3
	v_lshl_add_u32 v17, v1, 6, v6
	v_mul_lo_u32 v6, s24, v9
	v_mul_lo_u32 v9, s25, v8
	v_mad_u64_u32 v[2:3], s[0:1], s24, v8, v[2:3]
	s_mul_i32 s2, s27, s8
	s_mul_hi_u32 s3, s26, s8
	s_add_i32 s1, s3, s2
	s_mul_i32 s0, s26, s8
	s_lshl_b64 s[0:1], s[0:1], 3
	v_add3_u32 v3, v9, v3, v6
	v_lshlrev_b64 v[2:3], 3, v[2:3]
	s_add_u32 s0, s22, s0
	s_addc_u32 s1, s23, s1
	v_mov_b32_e32 v6, s1
	v_add_co_u32_e32 v2, vcc, s0, v2
	v_addc_co_u32_e32 v3, vcc, v6, v3, vcc
	v_add_u32_e32 v6, s6, v7
	v_ashrrev_i32_e32 v7, 31, v6
	v_mul_lo_u32 v7, s18, v7
	v_mad_u64_u32 v[4:5], s[0:1], s18, v6, v[4:5]
	v_mul_lo_u32 v6, s19, v6
	s_mul_i32 s2, s21, s8
	s_mul_hi_u32 s3, s20, s8
	s_add_i32 s1, s3, s2
	s_mul_i32 s0, s20, s8
	s_lshl_b64 s[0:1], s[0:1], 3
	v_add3_u32 v5, v6, v5, v7
	v_lshlrev_b64 v[4:5], 3, v[4:5]
	s_add_u32 s0, s16, s0
	s_addc_u32 s1, s17, s1
	v_mov_b32_e32 v7, s1
	v_add_co_u32_e32 v6, vcc, s0, v4
	v_addc_co_u32_e32 v7, vcc, v7, v5, vcc
	v_mov_b32_e32 v4, 0
	v_mov_b32_e32 v8, 0
	;; [unrolled: 1-line block ×4, first 2 shown]
	v_lshlrev_b32_e32 v16, 3, v0
	v_mov_b32_e32 v5, 0
	v_mov_b32_e32 v9, 0
	;; [unrolled: 1-line block ×4, first 2 shown]
	s_mov_b64 s[0:1], 0
.LBB1030_2:                             ; =>This Inner Loop Header: Depth=1
	global_load_dwordx2 v[18:19], v[6:7], off
	global_load_dwordx2 v[20:21], v[2:3], off
	s_add_u32 s0, s0, 8
	v_add_co_u32_e32 v2, vcc, 64, v2
	v_addc_co_u32_e32 v3, vcc, 0, v3, vcc
	s_addc_u32 s1, s1, 0
	v_add_co_u32_e32 v6, vcc, 64, v6
	v_addc_co_u32_e32 v7, vcc, 0, v7, vcc
	s_waitcnt vmcnt(1)
	ds_write_b64 v14, v[18:19]
	s_waitcnt vmcnt(0)
	ds_write_b64 v15, v[20:21]
	s_waitcnt lgkmcnt(0)
	s_barrier
	ds_read2_b64 v[18:21], v16 offset1:16
	ds_read_b128 v[22:25], v17
	ds_read_b128 v[26:29], v17 offset:1024
	ds_read_b128 v[30:33], v17 offset:16
	s_waitcnt lgkmcnt(2)
	v_fma_f64 v[34:35], v[18:19], v[22:23], v[12:13]
	v_fma_f64 v[22:23], v[20:21], v[22:23], v[10:11]
	s_waitcnt lgkmcnt(1)
	v_fma_f64 v[8:9], v[18:19], v[26:27], v[8:9]
	v_fma_f64 v[4:5], v[20:21], v[26:27], v[4:5]
	ds_read2_b64 v[18:21], v16 offset0:32 offset1:48
	ds_read_b128 v[10:13], v17 offset:1040
	s_waitcnt lgkmcnt(1)
	v_fma_f64 v[26:27], v[18:19], v[24:25], v[34:35]
	v_fma_f64 v[34:35], v[20:21], v[24:25], v[22:23]
	;; [unrolled: 1-line block ×4, first 2 shown]
	ds_read2_b64 v[18:21], v16 offset0:64 offset1:80
	ds_read2_b64 v[22:25], v16 offset0:96 offset1:112
	s_waitcnt lgkmcnt(1)
	v_fma_f64 v[26:27], v[18:19], v[30:31], v[26:27]
	v_fma_f64 v[28:29], v[20:21], v[30:31], v[34:35]
	;; [unrolled: 1-line block ×4, first 2 shown]
	ds_read2_b64 v[8:11], v16 offset0:128 offset1:144
	ds_read_b128 v[18:21], v17 offset:32
	s_waitcnt lgkmcnt(2)
	v_fma_f64 v[34:35], v[22:23], v[32:33], v[26:27]
	v_fma_f64 v[32:33], v[24:25], v[32:33], v[28:29]
	v_fma_f64 v[36:37], v[22:23], v[12:13], v[30:31]
	v_fma_f64 v[4:5], v[24:25], v[12:13], v[4:5]
	ds_read_b128 v[22:25], v17 offset:1056
	ds_read_b128 v[26:29], v17 offset:48
	s_waitcnt lgkmcnt(2)
	v_fma_f64 v[12:13], v[8:9], v[18:19], v[34:35]
	v_fma_f64 v[18:19], v[10:11], v[18:19], v[32:33]
	s_waitcnt lgkmcnt(1)
	v_fma_f64 v[34:35], v[8:9], v[22:23], v[36:37]
	v_fma_f64 v[4:5], v[10:11], v[22:23], v[4:5]
	ds_read2_b64 v[8:11], v16 offset0:160 offset1:176
	ds_read_b128 v[30:33], v17 offset:1072
	v_mov_b32_e32 v23, s1
	v_mov_b32_e32 v22, s0
	v_cmp_le_u64_e32 vcc, s[12:13], v[22:23]
	s_waitcnt lgkmcnt(1)
	v_fma_f64 v[12:13], v[8:9], v[20:21], v[12:13]
	v_fma_f64 v[18:19], v[10:11], v[20:21], v[18:19]
	;; [unrolled: 1-line block ×4, first 2 shown]
	ds_read2_b64 v[8:11], v16 offset0:192 offset1:208
	s_and_b64 vcc, exec, vcc
	s_waitcnt lgkmcnt(0)
	v_fma_f64 v[12:13], v[8:9], v[26:27], v[12:13]
	v_fma_f64 v[24:25], v[10:11], v[26:27], v[18:19]
	;; [unrolled: 1-line block ×4, first 2 shown]
	ds_read2_b64 v[18:21], v16 offset0:224 offset1:240
	s_waitcnt lgkmcnt(0)
	s_barrier
	v_fma_f64 v[12:13], v[18:19], v[28:29], v[12:13]
	v_fma_f64 v[10:11], v[20:21], v[28:29], v[24:25]
	;; [unrolled: 1-line block ×4, first 2 shown]
	s_cbranch_vccz .LBB1030_2
	s_branch .LBB1030_4
.LBB1030_3:
	v_mov_b32_e32 v12, 0
	v_mov_b32_e32 v10, 0
	;; [unrolled: 1-line block ×8, first 2 shown]
.LBB1030_4:
	s_load_dwordx2 s[10:11], s[4:5], 0x60
	s_load_dword s9, s[4:5], 0x0
	s_load_dwordx4 s[0:3], s[4:5], 0x50
	v_add_u32_e32 v6, s7, v1
	v_ashrrev_i32_e32 v1, 31, v6
	s_waitcnt lgkmcnt(0)
	s_mul_i32 s5, s11, s8
	s_mul_hi_u32 s11, s10, s8
	s_mul_i32 s4, s10, s8
	s_add_i32 s5, s11, s5
	v_mul_lo_u32 v3, s2, v1
	v_mul_lo_u32 v7, s3, v6
	v_mad_u64_u32 v[1:2], s[10:11], s2, v6, 0
	s_lshl_b64 s[4:5], s[4:5], 3
	s_add_u32 s8, s0, s4
	v_add3_u32 v2, v2, v3, v7
	v_lshlrev_b64 v[1:2], 3, v[1:2]
	s_addc_u32 s7, s1, s5
	v_mov_b32_e32 v3, s7
	v_add_co_u32_e64 v7, s[0:1], s8, v1
	v_add_u32_e32 v0, s6, v0
	v_addc_co_u32_e64 v14, s[0:1], v3, v2, s[0:1]
	v_cmp_gt_i32_e32 vcc, s9, v6
	v_cmp_le_i32_e64 s[0:1], v0, v6
	s_and_b64 s[0:1], vcc, s[0:1]
	s_and_saveexec_b64 s[4:5], s[0:1]
	s_cbranch_execz .LBB1030_6
; %bb.5:
	v_mul_f64 v[2:3], s[14:15], v[12:13]
	v_ashrrev_i32_e32 v1, 31, v0
	v_lshlrev_b64 v[12:13], 3, v[0:1]
	v_add_co_u32_e64 v12, s[0:1], v7, v12
	v_addc_co_u32_e64 v13, s[0:1], v14, v13, s[0:1]
	global_store_dwordx2 v[12:13], v[2:3], off
.LBB1030_6:
	s_or_b64 exec, exec, s[4:5]
	v_add_u32_e32 v2, 16, v0
	v_cmp_le_i32_e64 s[0:1], v2, v6
	s_and_b64 s[4:5], vcc, s[0:1]
	s_and_saveexec_b64 s[0:1], s[4:5]
	s_cbranch_execz .LBB1030_8
; %bb.7:
	v_mul_f64 v[10:11], s[14:15], v[10:11]
	v_ashrrev_i32_e32 v3, 31, v2
	v_lshlrev_b64 v[12:13], 3, v[2:3]
	v_add_co_u32_e32 v12, vcc, v7, v12
	v_addc_co_u32_e32 v13, vcc, v14, v13, vcc
	global_store_dwordx2 v[12:13], v[10:11], off
.LBB1030_8:
	s_or_b64 exec, exec, s[0:1]
	v_add_u32_e32 v3, 16, v6
	v_ashrrev_i32_e32 v1, 31, v3
	v_mul_lo_u32 v1, s2, v1
	v_mul_lo_u32 v10, s3, v3
	v_mad_u64_u32 v[6:7], s[0:1], s2, v3, 0
	v_cmp_gt_i32_e32 vcc, s9, v3
	v_add3_u32 v7, v7, v1, v10
	v_lshlrev_b64 v[6:7], 3, v[6:7]
	v_mov_b32_e32 v1, s7
	v_add_co_u32_e64 v6, s[0:1], s8, v6
	v_addc_co_u32_e64 v7, s[0:1], v1, v7, s[0:1]
	v_cmp_le_i32_e64 s[0:1], v0, v3
	s_and_b64 s[0:1], vcc, s[0:1]
	s_and_saveexec_b64 s[2:3], s[0:1]
	s_cbranch_execz .LBB1030_10
; %bb.9:
	v_mul_f64 v[8:9], s[14:15], v[8:9]
	v_ashrrev_i32_e32 v1, 31, v0
	v_lshlrev_b64 v[0:1], 3, v[0:1]
	v_add_co_u32_e64 v0, s[0:1], v6, v0
	v_addc_co_u32_e64 v1, s[0:1], v7, v1, s[0:1]
	global_store_dwordx2 v[0:1], v[8:9], off
.LBB1030_10:
	s_or_b64 exec, exec, s[2:3]
	v_cmp_le_i32_e64 s[0:1], v2, v3
	s_and_b64 s[0:1], vcc, s[0:1]
	s_and_saveexec_b64 s[2:3], s[0:1]
	s_cbranch_execz .LBB1030_12
; %bb.11:
	v_mul_f64 v[0:1], s[14:15], v[4:5]
	v_ashrrev_i32_e32 v3, 31, v2
	v_lshlrev_b64 v[2:3], 3, v[2:3]
	v_add_co_u32_e32 v2, vcc, v6, v2
	v_addc_co_u32_e32 v3, vcc, v7, v3, vcc
	global_store_dwordx2 v[2:3], v[0:1], off
.LBB1030_12:
	s_endpgm
	.section	.rodata,"a",@progbits
	.p2align	6, 0x0
	.amdhsa_kernel _ZL37rocblas_syrkx_herkx_restricted_kernelIldLi16ELi32ELi8ELb1ELb0ELc84ELc85EKddEviT_T0_PT8_S1_lS4_S1_lS2_PT9_S1_li
		.amdhsa_group_segment_fixed_size 4096
		.amdhsa_private_segment_fixed_size 0
		.amdhsa_kernarg_size 108
		.amdhsa_user_sgpr_count 6
		.amdhsa_user_sgpr_private_segment_buffer 1
		.amdhsa_user_sgpr_dispatch_ptr 0
		.amdhsa_user_sgpr_queue_ptr 0
		.amdhsa_user_sgpr_kernarg_segment_ptr 1
		.amdhsa_user_sgpr_dispatch_id 0
		.amdhsa_user_sgpr_flat_scratch_init 0
		.amdhsa_user_sgpr_private_segment_size 0
		.amdhsa_uses_dynamic_stack 0
		.amdhsa_system_sgpr_private_segment_wavefront_offset 0
		.amdhsa_system_sgpr_workgroup_id_x 1
		.amdhsa_system_sgpr_workgroup_id_y 1
		.amdhsa_system_sgpr_workgroup_id_z 1
		.amdhsa_system_sgpr_workgroup_info 0
		.amdhsa_system_vgpr_workitem_id 1
		.amdhsa_next_free_vgpr 38
		.amdhsa_next_free_sgpr 28
		.amdhsa_reserve_vcc 1
		.amdhsa_reserve_flat_scratch 0
		.amdhsa_float_round_mode_32 0
		.amdhsa_float_round_mode_16_64 0
		.amdhsa_float_denorm_mode_32 3
		.amdhsa_float_denorm_mode_16_64 3
		.amdhsa_dx10_clamp 1
		.amdhsa_ieee_mode 1
		.amdhsa_fp16_overflow 0
		.amdhsa_exception_fp_ieee_invalid_op 0
		.amdhsa_exception_fp_denorm_src 0
		.amdhsa_exception_fp_ieee_div_zero 0
		.amdhsa_exception_fp_ieee_overflow 0
		.amdhsa_exception_fp_ieee_underflow 0
		.amdhsa_exception_fp_ieee_inexact 0
		.amdhsa_exception_int_div_zero 0
	.end_amdhsa_kernel
	.section	.text._ZL37rocblas_syrkx_herkx_restricted_kernelIldLi16ELi32ELi8ELb1ELb0ELc84ELc85EKddEviT_T0_PT8_S1_lS4_S1_lS2_PT9_S1_li,"axG",@progbits,_ZL37rocblas_syrkx_herkx_restricted_kernelIldLi16ELi32ELi8ELb1ELb0ELc84ELc85EKddEviT_T0_PT8_S1_lS4_S1_lS2_PT9_S1_li,comdat
.Lfunc_end1030:
	.size	_ZL37rocblas_syrkx_herkx_restricted_kernelIldLi16ELi32ELi8ELb1ELb0ELc84ELc85EKddEviT_T0_PT8_S1_lS4_S1_lS2_PT9_S1_li, .Lfunc_end1030-_ZL37rocblas_syrkx_herkx_restricted_kernelIldLi16ELi32ELi8ELb1ELb0ELc84ELc85EKddEviT_T0_PT8_S1_lS4_S1_lS2_PT9_S1_li
                                        ; -- End function
	.set _ZL37rocblas_syrkx_herkx_restricted_kernelIldLi16ELi32ELi8ELb1ELb0ELc84ELc85EKddEviT_T0_PT8_S1_lS4_S1_lS2_PT9_S1_li.num_vgpr, 38
	.set _ZL37rocblas_syrkx_herkx_restricted_kernelIldLi16ELi32ELi8ELb1ELb0ELc84ELc85EKddEviT_T0_PT8_S1_lS4_S1_lS2_PT9_S1_li.num_agpr, 0
	.set _ZL37rocblas_syrkx_herkx_restricted_kernelIldLi16ELi32ELi8ELb1ELb0ELc84ELc85EKddEviT_T0_PT8_S1_lS4_S1_lS2_PT9_S1_li.numbered_sgpr, 28
	.set _ZL37rocblas_syrkx_herkx_restricted_kernelIldLi16ELi32ELi8ELb1ELb0ELc84ELc85EKddEviT_T0_PT8_S1_lS4_S1_lS2_PT9_S1_li.num_named_barrier, 0
	.set _ZL37rocblas_syrkx_herkx_restricted_kernelIldLi16ELi32ELi8ELb1ELb0ELc84ELc85EKddEviT_T0_PT8_S1_lS4_S1_lS2_PT9_S1_li.private_seg_size, 0
	.set _ZL37rocblas_syrkx_herkx_restricted_kernelIldLi16ELi32ELi8ELb1ELb0ELc84ELc85EKddEviT_T0_PT8_S1_lS4_S1_lS2_PT9_S1_li.uses_vcc, 1
	.set _ZL37rocblas_syrkx_herkx_restricted_kernelIldLi16ELi32ELi8ELb1ELb0ELc84ELc85EKddEviT_T0_PT8_S1_lS4_S1_lS2_PT9_S1_li.uses_flat_scratch, 0
	.set _ZL37rocblas_syrkx_herkx_restricted_kernelIldLi16ELi32ELi8ELb1ELb0ELc84ELc85EKddEviT_T0_PT8_S1_lS4_S1_lS2_PT9_S1_li.has_dyn_sized_stack, 0
	.set _ZL37rocblas_syrkx_herkx_restricted_kernelIldLi16ELi32ELi8ELb1ELb0ELc84ELc85EKddEviT_T0_PT8_S1_lS4_S1_lS2_PT9_S1_li.has_recursion, 0
	.set _ZL37rocblas_syrkx_herkx_restricted_kernelIldLi16ELi32ELi8ELb1ELb0ELc84ELc85EKddEviT_T0_PT8_S1_lS4_S1_lS2_PT9_S1_li.has_indirect_call, 0
	.section	.AMDGPU.csdata,"",@progbits
; Kernel info:
; codeLenInByte = 1352
; TotalNumSgprs: 32
; NumVgprs: 38
; ScratchSize: 0
; MemoryBound: 0
; FloatMode: 240
; IeeeMode: 1
; LDSByteSize: 4096 bytes/workgroup (compile time only)
; SGPRBlocks: 3
; VGPRBlocks: 9
; NumSGPRsForWavesPerEU: 32
; NumVGPRsForWavesPerEU: 38
; Occupancy: 6
; WaveLimiterHint : 1
; COMPUTE_PGM_RSRC2:SCRATCH_EN: 0
; COMPUTE_PGM_RSRC2:USER_SGPR: 6
; COMPUTE_PGM_RSRC2:TRAP_HANDLER: 0
; COMPUTE_PGM_RSRC2:TGID_X_EN: 1
; COMPUTE_PGM_RSRC2:TGID_Y_EN: 1
; COMPUTE_PGM_RSRC2:TGID_Z_EN: 1
; COMPUTE_PGM_RSRC2:TIDIG_COMP_CNT: 1
	.section	.text._ZL37rocblas_syrkx_herkx_restricted_kernelIldLi16ELi32ELi8ELb1ELb0ELc67ELc85EKddEviT_T0_PT8_S1_lS4_S1_lS2_PT9_S1_li,"axG",@progbits,_ZL37rocblas_syrkx_herkx_restricted_kernelIldLi16ELi32ELi8ELb1ELb0ELc67ELc85EKddEviT_T0_PT8_S1_lS4_S1_lS2_PT9_S1_li,comdat
	.globl	_ZL37rocblas_syrkx_herkx_restricted_kernelIldLi16ELi32ELi8ELb1ELb0ELc67ELc85EKddEviT_T0_PT8_S1_lS4_S1_lS2_PT9_S1_li ; -- Begin function _ZL37rocblas_syrkx_herkx_restricted_kernelIldLi16ELi32ELi8ELb1ELb0ELc67ELc85EKddEviT_T0_PT8_S1_lS4_S1_lS2_PT9_S1_li
	.p2align	8
	.type	_ZL37rocblas_syrkx_herkx_restricted_kernelIldLi16ELi32ELi8ELb1ELb0ELc67ELc85EKddEviT_T0_PT8_S1_lS4_S1_lS2_PT9_S1_li,@function
_ZL37rocblas_syrkx_herkx_restricted_kernelIldLi16ELi32ELi8ELb1ELb0ELc67ELc85EKddEviT_T0_PT8_S1_lS4_S1_lS2_PT9_S1_li: ; @_ZL37rocblas_syrkx_herkx_restricted_kernelIldLi16ELi32ELi8ELb1ELb0ELc67ELc85EKddEviT_T0_PT8_S1_lS4_S1_lS2_PT9_S1_li
; %bb.0:
	s_load_dwordx16 s[12:27], s[4:5], 0x8
	s_lshl_b32 s6, s6, 5
	s_lshl_b32 s7, s7, 5
	s_waitcnt lgkmcnt(0)
	v_cmp_lt_i64_e64 s[0:1], s[12:13], 1
	s_and_b64 vcc, exec, s[0:1]
	s_cbranch_vccnz .LBB1031_3
; %bb.1:
	v_lshl_add_u32 v3, v1, 4, v0
	v_and_b32_e32 v7, 31, v3
	v_lshrrev_b32_e32 v4, 5, v3
	v_and_b32_e32 v2, 7, v0
	v_lshlrev_b32_e32 v10, 3, v7
	v_lshrrev_b32_e32 v6, 3, v3
	v_lshl_or_b32 v14, v4, 8, v10
	v_lshlrev_b32_e32 v10, 3, v2
	v_add_u32_e32 v8, s7, v6
	v_lshl_or_b32 v6, v6, 6, v10
	v_ashrrev_i32_e32 v9, 31, v8
	v_mov_b32_e32 v3, 0
	v_add_u32_e32 v15, 0x800, v6
	v_mov_b32_e32 v6, 0x800
	v_mov_b32_e32 v5, v3
	v_lshl_add_u32 v17, v1, 6, v6
	v_mul_lo_u32 v6, s24, v9
	v_mul_lo_u32 v9, s25, v8
	v_mad_u64_u32 v[2:3], s[0:1], s24, v8, v[2:3]
	s_mul_i32 s2, s27, s8
	s_mul_hi_u32 s3, s26, s8
	s_add_i32 s1, s3, s2
	s_mul_i32 s0, s26, s8
	s_lshl_b64 s[0:1], s[0:1], 3
	v_add3_u32 v3, v9, v3, v6
	v_lshlrev_b64 v[2:3], 3, v[2:3]
	s_add_u32 s0, s22, s0
	s_addc_u32 s1, s23, s1
	v_mov_b32_e32 v6, s1
	v_add_co_u32_e32 v2, vcc, s0, v2
	v_addc_co_u32_e32 v3, vcc, v6, v3, vcc
	v_add_u32_e32 v6, s6, v7
	v_ashrrev_i32_e32 v7, 31, v6
	v_mul_lo_u32 v7, s18, v7
	v_mad_u64_u32 v[4:5], s[0:1], s18, v6, v[4:5]
	v_mul_lo_u32 v6, s19, v6
	s_mul_i32 s2, s21, s8
	s_mul_hi_u32 s3, s20, s8
	s_add_i32 s1, s3, s2
	s_mul_i32 s0, s20, s8
	s_lshl_b64 s[0:1], s[0:1], 3
	v_add3_u32 v5, v6, v5, v7
	v_lshlrev_b64 v[4:5], 3, v[4:5]
	s_add_u32 s0, s16, s0
	s_addc_u32 s1, s17, s1
	v_mov_b32_e32 v7, s1
	v_add_co_u32_e32 v6, vcc, s0, v4
	v_addc_co_u32_e32 v7, vcc, v7, v5, vcc
	v_mov_b32_e32 v4, 0
	v_mov_b32_e32 v8, 0
	;; [unrolled: 1-line block ×4, first 2 shown]
	v_lshlrev_b32_e32 v16, 3, v0
	v_mov_b32_e32 v5, 0
	v_mov_b32_e32 v9, 0
	v_mov_b32_e32 v11, 0
	v_mov_b32_e32 v13, 0
	s_mov_b64 s[0:1], 0
.LBB1031_2:                             ; =>This Inner Loop Header: Depth=1
	global_load_dwordx2 v[18:19], v[6:7], off
	global_load_dwordx2 v[20:21], v[2:3], off
	s_add_u32 s0, s0, 8
	v_add_co_u32_e32 v2, vcc, 64, v2
	v_addc_co_u32_e32 v3, vcc, 0, v3, vcc
	s_addc_u32 s1, s1, 0
	v_add_co_u32_e32 v6, vcc, 64, v6
	v_addc_co_u32_e32 v7, vcc, 0, v7, vcc
	s_waitcnt vmcnt(1)
	ds_write_b64 v14, v[18:19]
	s_waitcnt vmcnt(0)
	ds_write_b64 v15, v[20:21]
	s_waitcnt lgkmcnt(0)
	s_barrier
	ds_read2_b64 v[18:21], v16 offset1:16
	ds_read_b128 v[22:25], v17
	ds_read_b128 v[26:29], v17 offset:1024
	ds_read_b128 v[30:33], v17 offset:16
	s_waitcnt lgkmcnt(2)
	v_fma_f64 v[34:35], v[18:19], v[22:23], v[12:13]
	v_fma_f64 v[22:23], v[20:21], v[22:23], v[10:11]
	s_waitcnt lgkmcnt(1)
	v_fma_f64 v[8:9], v[18:19], v[26:27], v[8:9]
	v_fma_f64 v[4:5], v[20:21], v[26:27], v[4:5]
	ds_read2_b64 v[18:21], v16 offset0:32 offset1:48
	ds_read_b128 v[10:13], v17 offset:1040
	s_waitcnt lgkmcnt(1)
	v_fma_f64 v[26:27], v[18:19], v[24:25], v[34:35]
	v_fma_f64 v[34:35], v[20:21], v[24:25], v[22:23]
	;; [unrolled: 1-line block ×4, first 2 shown]
	ds_read2_b64 v[18:21], v16 offset0:64 offset1:80
	ds_read2_b64 v[22:25], v16 offset0:96 offset1:112
	s_waitcnt lgkmcnt(1)
	v_fma_f64 v[26:27], v[18:19], v[30:31], v[26:27]
	v_fma_f64 v[28:29], v[20:21], v[30:31], v[34:35]
	;; [unrolled: 1-line block ×4, first 2 shown]
	ds_read2_b64 v[8:11], v16 offset0:128 offset1:144
	ds_read_b128 v[18:21], v17 offset:32
	s_waitcnt lgkmcnt(2)
	v_fma_f64 v[34:35], v[22:23], v[32:33], v[26:27]
	v_fma_f64 v[32:33], v[24:25], v[32:33], v[28:29]
	;; [unrolled: 1-line block ×4, first 2 shown]
	ds_read_b128 v[22:25], v17 offset:1056
	ds_read_b128 v[26:29], v17 offset:48
	s_waitcnt lgkmcnt(2)
	v_fma_f64 v[12:13], v[8:9], v[18:19], v[34:35]
	v_fma_f64 v[18:19], v[10:11], v[18:19], v[32:33]
	s_waitcnt lgkmcnt(1)
	v_fma_f64 v[34:35], v[8:9], v[22:23], v[36:37]
	v_fma_f64 v[4:5], v[10:11], v[22:23], v[4:5]
	ds_read2_b64 v[8:11], v16 offset0:160 offset1:176
	ds_read_b128 v[30:33], v17 offset:1072
	v_mov_b32_e32 v23, s1
	v_mov_b32_e32 v22, s0
	v_cmp_le_u64_e32 vcc, s[12:13], v[22:23]
	s_waitcnt lgkmcnt(1)
	v_fma_f64 v[12:13], v[8:9], v[20:21], v[12:13]
	v_fma_f64 v[18:19], v[10:11], v[20:21], v[18:19]
	;; [unrolled: 1-line block ×4, first 2 shown]
	ds_read2_b64 v[8:11], v16 offset0:192 offset1:208
	s_and_b64 vcc, exec, vcc
	s_waitcnt lgkmcnt(0)
	v_fma_f64 v[12:13], v[8:9], v[26:27], v[12:13]
	v_fma_f64 v[24:25], v[10:11], v[26:27], v[18:19]
	;; [unrolled: 1-line block ×4, first 2 shown]
	ds_read2_b64 v[18:21], v16 offset0:224 offset1:240
	s_waitcnt lgkmcnt(0)
	s_barrier
	v_fma_f64 v[12:13], v[18:19], v[28:29], v[12:13]
	v_fma_f64 v[10:11], v[20:21], v[28:29], v[24:25]
	;; [unrolled: 1-line block ×4, first 2 shown]
	s_cbranch_vccz .LBB1031_2
	s_branch .LBB1031_4
.LBB1031_3:
	v_mov_b32_e32 v12, 0
	v_mov_b32_e32 v10, 0
	;; [unrolled: 1-line block ×8, first 2 shown]
.LBB1031_4:
	s_load_dwordx2 s[10:11], s[4:5], 0x60
	s_load_dword s9, s[4:5], 0x0
	s_load_dwordx4 s[0:3], s[4:5], 0x50
	v_add_u32_e32 v6, s7, v1
	v_ashrrev_i32_e32 v1, 31, v6
	s_waitcnt lgkmcnt(0)
	s_mul_i32 s5, s11, s8
	s_mul_hi_u32 s11, s10, s8
	s_mul_i32 s4, s10, s8
	s_add_i32 s5, s11, s5
	v_mul_lo_u32 v3, s2, v1
	v_mul_lo_u32 v7, s3, v6
	v_mad_u64_u32 v[1:2], s[10:11], s2, v6, 0
	s_lshl_b64 s[4:5], s[4:5], 3
	s_add_u32 s8, s0, s4
	v_add3_u32 v2, v2, v3, v7
	v_lshlrev_b64 v[1:2], 3, v[1:2]
	s_addc_u32 s7, s1, s5
	v_mov_b32_e32 v3, s7
	v_add_co_u32_e64 v7, s[0:1], s8, v1
	v_add_u32_e32 v0, s6, v0
	v_addc_co_u32_e64 v14, s[0:1], v3, v2, s[0:1]
	v_cmp_gt_i32_e32 vcc, s9, v6
	v_cmp_le_i32_e64 s[0:1], v0, v6
	s_and_b64 s[0:1], vcc, s[0:1]
	s_and_saveexec_b64 s[4:5], s[0:1]
	s_cbranch_execz .LBB1031_6
; %bb.5:
	v_mul_f64 v[2:3], s[14:15], v[12:13]
	v_ashrrev_i32_e32 v1, 31, v0
	v_lshlrev_b64 v[12:13], 3, v[0:1]
	v_add_co_u32_e64 v12, s[0:1], v7, v12
	v_addc_co_u32_e64 v13, s[0:1], v14, v13, s[0:1]
	global_store_dwordx2 v[12:13], v[2:3], off
.LBB1031_6:
	s_or_b64 exec, exec, s[4:5]
	v_add_u32_e32 v2, 16, v0
	v_cmp_le_i32_e64 s[0:1], v2, v6
	s_and_b64 s[4:5], vcc, s[0:1]
	s_and_saveexec_b64 s[0:1], s[4:5]
	s_cbranch_execz .LBB1031_8
; %bb.7:
	v_mul_f64 v[10:11], s[14:15], v[10:11]
	v_ashrrev_i32_e32 v3, 31, v2
	v_lshlrev_b64 v[12:13], 3, v[2:3]
	v_add_co_u32_e32 v12, vcc, v7, v12
	v_addc_co_u32_e32 v13, vcc, v14, v13, vcc
	global_store_dwordx2 v[12:13], v[10:11], off
.LBB1031_8:
	s_or_b64 exec, exec, s[0:1]
	v_add_u32_e32 v3, 16, v6
	v_ashrrev_i32_e32 v1, 31, v3
	v_mul_lo_u32 v1, s2, v1
	v_mul_lo_u32 v10, s3, v3
	v_mad_u64_u32 v[6:7], s[0:1], s2, v3, 0
	v_cmp_gt_i32_e32 vcc, s9, v3
	v_add3_u32 v7, v7, v1, v10
	v_lshlrev_b64 v[6:7], 3, v[6:7]
	v_mov_b32_e32 v1, s7
	v_add_co_u32_e64 v6, s[0:1], s8, v6
	v_addc_co_u32_e64 v7, s[0:1], v1, v7, s[0:1]
	v_cmp_le_i32_e64 s[0:1], v0, v3
	s_and_b64 s[0:1], vcc, s[0:1]
	s_and_saveexec_b64 s[2:3], s[0:1]
	s_cbranch_execz .LBB1031_10
; %bb.9:
	v_mul_f64 v[8:9], s[14:15], v[8:9]
	v_ashrrev_i32_e32 v1, 31, v0
	v_lshlrev_b64 v[0:1], 3, v[0:1]
	v_add_co_u32_e64 v0, s[0:1], v6, v0
	v_addc_co_u32_e64 v1, s[0:1], v7, v1, s[0:1]
	global_store_dwordx2 v[0:1], v[8:9], off
.LBB1031_10:
	s_or_b64 exec, exec, s[2:3]
	v_cmp_le_i32_e64 s[0:1], v2, v3
	s_and_b64 s[0:1], vcc, s[0:1]
	s_and_saveexec_b64 s[2:3], s[0:1]
	s_cbranch_execz .LBB1031_12
; %bb.11:
	v_mul_f64 v[0:1], s[14:15], v[4:5]
	v_ashrrev_i32_e32 v3, 31, v2
	v_lshlrev_b64 v[2:3], 3, v[2:3]
	v_add_co_u32_e32 v2, vcc, v6, v2
	v_addc_co_u32_e32 v3, vcc, v7, v3, vcc
	global_store_dwordx2 v[2:3], v[0:1], off
.LBB1031_12:
	s_endpgm
	.section	.rodata,"a",@progbits
	.p2align	6, 0x0
	.amdhsa_kernel _ZL37rocblas_syrkx_herkx_restricted_kernelIldLi16ELi32ELi8ELb1ELb0ELc67ELc85EKddEviT_T0_PT8_S1_lS4_S1_lS2_PT9_S1_li
		.amdhsa_group_segment_fixed_size 4096
		.amdhsa_private_segment_fixed_size 0
		.amdhsa_kernarg_size 108
		.amdhsa_user_sgpr_count 6
		.amdhsa_user_sgpr_private_segment_buffer 1
		.amdhsa_user_sgpr_dispatch_ptr 0
		.amdhsa_user_sgpr_queue_ptr 0
		.amdhsa_user_sgpr_kernarg_segment_ptr 1
		.amdhsa_user_sgpr_dispatch_id 0
		.amdhsa_user_sgpr_flat_scratch_init 0
		.amdhsa_user_sgpr_private_segment_size 0
		.amdhsa_uses_dynamic_stack 0
		.amdhsa_system_sgpr_private_segment_wavefront_offset 0
		.amdhsa_system_sgpr_workgroup_id_x 1
		.amdhsa_system_sgpr_workgroup_id_y 1
		.amdhsa_system_sgpr_workgroup_id_z 1
		.amdhsa_system_sgpr_workgroup_info 0
		.amdhsa_system_vgpr_workitem_id 1
		.amdhsa_next_free_vgpr 38
		.amdhsa_next_free_sgpr 28
		.amdhsa_reserve_vcc 1
		.amdhsa_reserve_flat_scratch 0
		.amdhsa_float_round_mode_32 0
		.amdhsa_float_round_mode_16_64 0
		.amdhsa_float_denorm_mode_32 3
		.amdhsa_float_denorm_mode_16_64 3
		.amdhsa_dx10_clamp 1
		.amdhsa_ieee_mode 1
		.amdhsa_fp16_overflow 0
		.amdhsa_exception_fp_ieee_invalid_op 0
		.amdhsa_exception_fp_denorm_src 0
		.amdhsa_exception_fp_ieee_div_zero 0
		.amdhsa_exception_fp_ieee_overflow 0
		.amdhsa_exception_fp_ieee_underflow 0
		.amdhsa_exception_fp_ieee_inexact 0
		.amdhsa_exception_int_div_zero 0
	.end_amdhsa_kernel
	.section	.text._ZL37rocblas_syrkx_herkx_restricted_kernelIldLi16ELi32ELi8ELb1ELb0ELc67ELc85EKddEviT_T0_PT8_S1_lS4_S1_lS2_PT9_S1_li,"axG",@progbits,_ZL37rocblas_syrkx_herkx_restricted_kernelIldLi16ELi32ELi8ELb1ELb0ELc67ELc85EKddEviT_T0_PT8_S1_lS4_S1_lS2_PT9_S1_li,comdat
.Lfunc_end1031:
	.size	_ZL37rocblas_syrkx_herkx_restricted_kernelIldLi16ELi32ELi8ELb1ELb0ELc67ELc85EKddEviT_T0_PT8_S1_lS4_S1_lS2_PT9_S1_li, .Lfunc_end1031-_ZL37rocblas_syrkx_herkx_restricted_kernelIldLi16ELi32ELi8ELb1ELb0ELc67ELc85EKddEviT_T0_PT8_S1_lS4_S1_lS2_PT9_S1_li
                                        ; -- End function
	.set _ZL37rocblas_syrkx_herkx_restricted_kernelIldLi16ELi32ELi8ELb1ELb0ELc67ELc85EKddEviT_T0_PT8_S1_lS4_S1_lS2_PT9_S1_li.num_vgpr, 38
	.set _ZL37rocblas_syrkx_herkx_restricted_kernelIldLi16ELi32ELi8ELb1ELb0ELc67ELc85EKddEviT_T0_PT8_S1_lS4_S1_lS2_PT9_S1_li.num_agpr, 0
	.set _ZL37rocblas_syrkx_herkx_restricted_kernelIldLi16ELi32ELi8ELb1ELb0ELc67ELc85EKddEviT_T0_PT8_S1_lS4_S1_lS2_PT9_S1_li.numbered_sgpr, 28
	.set _ZL37rocblas_syrkx_herkx_restricted_kernelIldLi16ELi32ELi8ELb1ELb0ELc67ELc85EKddEviT_T0_PT8_S1_lS4_S1_lS2_PT9_S1_li.num_named_barrier, 0
	.set _ZL37rocblas_syrkx_herkx_restricted_kernelIldLi16ELi32ELi8ELb1ELb0ELc67ELc85EKddEviT_T0_PT8_S1_lS4_S1_lS2_PT9_S1_li.private_seg_size, 0
	.set _ZL37rocblas_syrkx_herkx_restricted_kernelIldLi16ELi32ELi8ELb1ELb0ELc67ELc85EKddEviT_T0_PT8_S1_lS4_S1_lS2_PT9_S1_li.uses_vcc, 1
	.set _ZL37rocblas_syrkx_herkx_restricted_kernelIldLi16ELi32ELi8ELb1ELb0ELc67ELc85EKddEviT_T0_PT8_S1_lS4_S1_lS2_PT9_S1_li.uses_flat_scratch, 0
	.set _ZL37rocblas_syrkx_herkx_restricted_kernelIldLi16ELi32ELi8ELb1ELb0ELc67ELc85EKddEviT_T0_PT8_S1_lS4_S1_lS2_PT9_S1_li.has_dyn_sized_stack, 0
	.set _ZL37rocblas_syrkx_herkx_restricted_kernelIldLi16ELi32ELi8ELb1ELb0ELc67ELc85EKddEviT_T0_PT8_S1_lS4_S1_lS2_PT9_S1_li.has_recursion, 0
	.set _ZL37rocblas_syrkx_herkx_restricted_kernelIldLi16ELi32ELi8ELb1ELb0ELc67ELc85EKddEviT_T0_PT8_S1_lS4_S1_lS2_PT9_S1_li.has_indirect_call, 0
	.section	.AMDGPU.csdata,"",@progbits
; Kernel info:
; codeLenInByte = 1352
; TotalNumSgprs: 32
; NumVgprs: 38
; ScratchSize: 0
; MemoryBound: 0
; FloatMode: 240
; IeeeMode: 1
; LDSByteSize: 4096 bytes/workgroup (compile time only)
; SGPRBlocks: 3
; VGPRBlocks: 9
; NumSGPRsForWavesPerEU: 32
; NumVGPRsForWavesPerEU: 38
; Occupancy: 6
; WaveLimiterHint : 1
; COMPUTE_PGM_RSRC2:SCRATCH_EN: 0
; COMPUTE_PGM_RSRC2:USER_SGPR: 6
; COMPUTE_PGM_RSRC2:TRAP_HANDLER: 0
; COMPUTE_PGM_RSRC2:TGID_X_EN: 1
; COMPUTE_PGM_RSRC2:TGID_Y_EN: 1
; COMPUTE_PGM_RSRC2:TGID_Z_EN: 1
; COMPUTE_PGM_RSRC2:TIDIG_COMP_CNT: 1
	.section	.text._ZL37rocblas_syrkx_herkx_restricted_kernelIldLi16ELi32ELi8ELb1ELb0ELc78ELc85EKddEviT_T0_PT8_S1_lS4_S1_lS2_PT9_S1_li,"axG",@progbits,_ZL37rocblas_syrkx_herkx_restricted_kernelIldLi16ELi32ELi8ELb1ELb0ELc78ELc85EKddEviT_T0_PT8_S1_lS4_S1_lS2_PT9_S1_li,comdat
	.globl	_ZL37rocblas_syrkx_herkx_restricted_kernelIldLi16ELi32ELi8ELb1ELb0ELc78ELc85EKddEviT_T0_PT8_S1_lS4_S1_lS2_PT9_S1_li ; -- Begin function _ZL37rocblas_syrkx_herkx_restricted_kernelIldLi16ELi32ELi8ELb1ELb0ELc78ELc85EKddEviT_T0_PT8_S1_lS4_S1_lS2_PT9_S1_li
	.p2align	8
	.type	_ZL37rocblas_syrkx_herkx_restricted_kernelIldLi16ELi32ELi8ELb1ELb0ELc78ELc85EKddEviT_T0_PT8_S1_lS4_S1_lS2_PT9_S1_li,@function
_ZL37rocblas_syrkx_herkx_restricted_kernelIldLi16ELi32ELi8ELb1ELb0ELc78ELc85EKddEviT_T0_PT8_S1_lS4_S1_lS2_PT9_S1_li: ; @_ZL37rocblas_syrkx_herkx_restricted_kernelIldLi16ELi32ELi8ELb1ELb0ELc78ELc85EKddEviT_T0_PT8_S1_lS4_S1_lS2_PT9_S1_li
; %bb.0:
	s_load_dwordx16 s[12:27], s[4:5], 0x8
	s_lshl_b32 s9, s6, 5
	s_lshl_b32 s10, s7, 5
	s_waitcnt lgkmcnt(0)
	v_cmp_lt_i64_e64 s[0:1], s[12:13], 1
	s_and_b64 vcc, exec, s[0:1]
	s_cbranch_vccnz .LBB1032_3
; %bb.1:
	v_lshl_add_u32 v2, v1, 4, v0
	v_lshrrev_b32_e32 v4, 3, v2
	v_lshrrev_b32_e32 v6, 5, v2
	v_and_b32_e32 v7, 31, v2
	v_add_u32_e32 v2, s10, v4
	v_and_b32_e32 v5, 7, v0
	v_ashrrev_i32_e32 v3, 31, v2
	v_lshlrev_b32_e32 v8, 3, v7
	v_mad_u64_u32 v[2:3], s[0:1], s24, v5, v[2:3]
	v_lshl_or_b32 v14, v6, 8, v8
	v_lshlrev_b32_e32 v8, 3, v5
	v_lshl_or_b32 v4, v4, 6, v8
	v_add_u32_e32 v15, 0x800, v4
	v_mov_b32_e32 v4, 0x800
	v_lshl_add_u32 v17, v1, 6, v4
	v_mad_u64_u32 v[3:4], s[0:1], s25, v5, v[3:4]
	s_mul_i32 s2, s27, s8
	s_mul_hi_u32 s3, s26, s8
	s_add_i32 s1, s3, s2
	s_mul_i32 s0, s26, s8
	s_lshl_b64 s[0:1], s[0:1], 3
	v_lshlrev_b64 v[2:3], 3, v[2:3]
	s_add_u32 s0, s22, s0
	s_addc_u32 s1, s23, s1
	v_mov_b32_e32 v4, s1
	v_add_co_u32_e32 v2, vcc, s0, v2
	v_addc_co_u32_e32 v3, vcc, v4, v3, vcc
	v_add_u32_e32 v4, s9, v7
	v_ashrrev_i32_e32 v5, 31, v4
	v_mad_u64_u32 v[4:5], s[0:1], s18, v6, v[4:5]
	s_mul_i32 s6, s21, s8
	s_mul_hi_u32 s7, s20, s8
	v_mad_u64_u32 v[5:6], s[2:3], s19, v6, v[5:6]
	s_add_i32 s3, s7, s6
	s_mul_i32 s2, s20, s8
	s_lshl_b64 s[0:1], s[24:25], 6
	s_lshl_b64 s[2:3], s[2:3], 3
	v_lshlrev_b64 v[4:5], 3, v[4:5]
	s_add_u32 s2, s16, s2
	s_addc_u32 s3, s17, s3
	v_mov_b32_e32 v7, s3
	v_add_co_u32_e32 v6, vcc, s2, v4
	v_addc_co_u32_e32 v7, vcc, v7, v5, vcc
	s_lshl_b64 s[2:3], s[18:19], 6
	v_mov_b32_e32 v4, 0
	v_mov_b32_e32 v8, 0
	;; [unrolled: 1-line block ×4, first 2 shown]
	v_lshlrev_b32_e32 v16, 3, v0
	v_mov_b32_e32 v5, 0
	s_mov_b64 s[6:7], 0
	v_mov_b32_e32 v18, s1
	v_mov_b32_e32 v9, 0
	;; [unrolled: 1-line block ×5, first 2 shown]
.LBB1032_2:                             ; =>This Inner Loop Header: Depth=1
	global_load_dwordx2 v[20:21], v[6:7], off
	global_load_dwordx2 v[22:23], v[2:3], off
	s_add_u32 s6, s6, 8
	v_add_co_u32_e32 v2, vcc, s0, v2
	v_addc_co_u32_e32 v3, vcc, v3, v18, vcc
	s_addc_u32 s7, s7, 0
	v_add_co_u32_e32 v6, vcc, s2, v6
	v_addc_co_u32_e32 v7, vcc, v7, v19, vcc
	s_waitcnt vmcnt(1)
	ds_write_b64 v14, v[20:21]
	s_waitcnt vmcnt(0)
	ds_write_b64 v15, v[22:23]
	s_waitcnt lgkmcnt(0)
	s_barrier
	ds_read2_b64 v[20:23], v16 offset1:16
	ds_read_b128 v[24:27], v17
	ds_read_b128 v[28:31], v17 offset:16
	s_waitcnt lgkmcnt(1)
	v_fma_f64 v[36:37], v[20:21], v[24:25], v[12:13]
	v_fma_f64 v[24:25], v[22:23], v[24:25], v[10:11]
	ds_read_b128 v[10:13], v17 offset:1024
	ds_read_b128 v[32:35], v17 offset:1040
	s_waitcnt lgkmcnt(1)
	v_fma_f64 v[20:21], v[20:21], v[10:11], v[8:9]
	v_fma_f64 v[4:5], v[22:23], v[10:11], v[4:5]
	ds_read2_b64 v[8:11], v16 offset0:32 offset1:48
	s_waitcnt lgkmcnt(0)
	v_fma_f64 v[22:23], v[8:9], v[26:27], v[36:37]
	v_fma_f64 v[24:25], v[10:11], v[26:27], v[24:25]
	v_fma_f64 v[20:21], v[8:9], v[12:13], v[20:21]
	v_fma_f64 v[4:5], v[10:11], v[12:13], v[4:5]
	ds_read2_b64 v[8:11], v16 offset0:64 offset1:80
	s_waitcnt lgkmcnt(0)
	v_fma_f64 v[12:13], v[8:9], v[28:29], v[22:23]
	v_fma_f64 v[22:23], v[10:11], v[28:29], v[24:25]
	;; [unrolled: 6-line block ×3, first 2 shown]
	ds_read2_b64 v[20:23], v16 offset0:128 offset1:144
	v_fma_f64 v[36:37], v[8:9], v[34:35], v[24:25]
	v_fma_f64 v[4:5], v[10:11], v[34:35], v[4:5]
	ds_read_b128 v[8:11], v17 offset:32
	ds_read_b128 v[24:27], v17 offset:48
	s_waitcnt lgkmcnt(1)
	v_fma_f64 v[12:13], v[20:21], v[8:9], v[12:13]
	v_fma_f64 v[8:9], v[22:23], v[8:9], v[28:29]
	ds_read_b128 v[28:31], v17 offset:1056
	ds_read_b128 v[32:35], v17 offset:1072
	s_waitcnt lgkmcnt(1)
	v_fma_f64 v[36:37], v[20:21], v[28:29], v[36:37]
	v_fma_f64 v[4:5], v[22:23], v[28:29], v[4:5]
	ds_read2_b64 v[20:23], v16 offset0:160 offset1:176
	s_waitcnt lgkmcnt(0)
	v_fma_f64 v[12:13], v[20:21], v[10:11], v[12:13]
	v_fma_f64 v[28:29], v[22:23], v[10:11], v[8:9]
	;; [unrolled: 1-line block ×4, first 2 shown]
	ds_read2_b64 v[8:11], v16 offset0:192 offset1:208
	v_mov_b32_e32 v31, s7
	v_mov_b32_e32 v30, s6
	v_cmp_le_u64_e32 vcc, s[12:13], v[30:31]
	s_waitcnt lgkmcnt(0)
	v_fma_f64 v[12:13], v[8:9], v[24:25], v[12:13]
	v_fma_f64 v[24:25], v[10:11], v[24:25], v[28:29]
	;; [unrolled: 1-line block ×4, first 2 shown]
	ds_read2_b64 v[20:23], v16 offset0:224 offset1:240
	s_and_b64 vcc, exec, vcc
	s_waitcnt lgkmcnt(0)
	s_barrier
	v_fma_f64 v[12:13], v[20:21], v[26:27], v[12:13]
	v_fma_f64 v[10:11], v[22:23], v[26:27], v[24:25]
	;; [unrolled: 1-line block ×4, first 2 shown]
	s_cbranch_vccz .LBB1032_2
	s_branch .LBB1032_4
.LBB1032_3:
	v_mov_b32_e32 v12, 0
	v_mov_b32_e32 v10, 0
	;; [unrolled: 1-line block ×8, first 2 shown]
.LBB1032_4:
	s_load_dwordx2 s[12:13], s[4:5], 0x60
	s_load_dword s6, s[4:5], 0x0
	s_load_dwordx4 s[0:3], s[4:5], 0x50
	v_add_u32_e32 v6, s10, v1
	v_ashrrev_i32_e32 v1, 31, v6
	s_waitcnt lgkmcnt(0)
	s_mul_i32 s5, s13, s8
	s_mul_hi_u32 s7, s12, s8
	v_mul_lo_u32 v3, s2, v1
	v_mul_lo_u32 v7, s3, v6
	v_mad_u64_u32 v[1:2], s[10:11], s2, v6, 0
	s_mul_i32 s4, s12, s8
	s_add_i32 s5, s7, s5
	s_lshl_b64 s[4:5], s[4:5], 3
	v_add3_u32 v2, v2, v3, v7
	s_add_u32 s7, s0, s4
	v_lshlrev_b64 v[1:2], 3, v[1:2]
	s_addc_u32 s8, s1, s5
	v_mov_b32_e32 v3, s8
	v_add_co_u32_e64 v7, s[0:1], s7, v1
	v_add_u32_e32 v0, s9, v0
	v_addc_co_u32_e64 v14, s[0:1], v3, v2, s[0:1]
	v_cmp_gt_i32_e32 vcc, s6, v6
	v_cmp_le_i32_e64 s[0:1], v0, v6
	s_and_b64 s[0:1], vcc, s[0:1]
	s_and_saveexec_b64 s[4:5], s[0:1]
	s_cbranch_execz .LBB1032_6
; %bb.5:
	v_mul_f64 v[2:3], s[14:15], v[12:13]
	v_ashrrev_i32_e32 v1, 31, v0
	v_lshlrev_b64 v[12:13], 3, v[0:1]
	v_add_co_u32_e64 v12, s[0:1], v7, v12
	v_addc_co_u32_e64 v13, s[0:1], v14, v13, s[0:1]
	global_store_dwordx2 v[12:13], v[2:3], off
.LBB1032_6:
	s_or_b64 exec, exec, s[4:5]
	v_add_u32_e32 v2, 16, v0
	v_cmp_le_i32_e64 s[0:1], v2, v6
	s_and_b64 s[4:5], vcc, s[0:1]
	s_and_saveexec_b64 s[0:1], s[4:5]
	s_cbranch_execz .LBB1032_8
; %bb.7:
	v_mul_f64 v[10:11], s[14:15], v[10:11]
	v_ashrrev_i32_e32 v3, 31, v2
	v_lshlrev_b64 v[12:13], 3, v[2:3]
	v_add_co_u32_e32 v12, vcc, v7, v12
	v_addc_co_u32_e32 v13, vcc, v14, v13, vcc
	global_store_dwordx2 v[12:13], v[10:11], off
.LBB1032_8:
	s_or_b64 exec, exec, s[0:1]
	v_add_u32_e32 v3, 16, v6
	v_ashrrev_i32_e32 v1, 31, v3
	v_mul_lo_u32 v1, s2, v1
	v_mul_lo_u32 v10, s3, v3
	v_mad_u64_u32 v[6:7], s[0:1], s2, v3, 0
	v_cmp_gt_i32_e32 vcc, s6, v3
	v_add3_u32 v7, v7, v1, v10
	v_lshlrev_b64 v[6:7], 3, v[6:7]
	v_mov_b32_e32 v1, s8
	v_add_co_u32_e64 v6, s[0:1], s7, v6
	v_addc_co_u32_e64 v7, s[0:1], v1, v7, s[0:1]
	v_cmp_le_i32_e64 s[0:1], v0, v3
	s_and_b64 s[0:1], vcc, s[0:1]
	s_and_saveexec_b64 s[2:3], s[0:1]
	s_cbranch_execz .LBB1032_10
; %bb.9:
	v_mul_f64 v[8:9], s[14:15], v[8:9]
	v_ashrrev_i32_e32 v1, 31, v0
	v_lshlrev_b64 v[0:1], 3, v[0:1]
	v_add_co_u32_e64 v0, s[0:1], v6, v0
	v_addc_co_u32_e64 v1, s[0:1], v7, v1, s[0:1]
	global_store_dwordx2 v[0:1], v[8:9], off
.LBB1032_10:
	s_or_b64 exec, exec, s[2:3]
	v_cmp_le_i32_e64 s[0:1], v2, v3
	s_and_b64 s[0:1], vcc, s[0:1]
	s_and_saveexec_b64 s[2:3], s[0:1]
	s_cbranch_execz .LBB1032_12
; %bb.11:
	v_mul_f64 v[0:1], s[14:15], v[4:5]
	v_ashrrev_i32_e32 v3, 31, v2
	v_lshlrev_b64 v[2:3], 3, v[2:3]
	v_add_co_u32_e32 v2, vcc, v6, v2
	v_addc_co_u32_e32 v3, vcc, v7, v3, vcc
	global_store_dwordx2 v[2:3], v[0:1], off
.LBB1032_12:
	s_endpgm
	.section	.rodata,"a",@progbits
	.p2align	6, 0x0
	.amdhsa_kernel _ZL37rocblas_syrkx_herkx_restricted_kernelIldLi16ELi32ELi8ELb1ELb0ELc78ELc85EKddEviT_T0_PT8_S1_lS4_S1_lS2_PT9_S1_li
		.amdhsa_group_segment_fixed_size 4096
		.amdhsa_private_segment_fixed_size 0
		.amdhsa_kernarg_size 108
		.amdhsa_user_sgpr_count 6
		.amdhsa_user_sgpr_private_segment_buffer 1
		.amdhsa_user_sgpr_dispatch_ptr 0
		.amdhsa_user_sgpr_queue_ptr 0
		.amdhsa_user_sgpr_kernarg_segment_ptr 1
		.amdhsa_user_sgpr_dispatch_id 0
		.amdhsa_user_sgpr_flat_scratch_init 0
		.amdhsa_user_sgpr_private_segment_size 0
		.amdhsa_uses_dynamic_stack 0
		.amdhsa_system_sgpr_private_segment_wavefront_offset 0
		.amdhsa_system_sgpr_workgroup_id_x 1
		.amdhsa_system_sgpr_workgroup_id_y 1
		.amdhsa_system_sgpr_workgroup_id_z 1
		.amdhsa_system_sgpr_workgroup_info 0
		.amdhsa_system_vgpr_workitem_id 1
		.amdhsa_next_free_vgpr 38
		.amdhsa_next_free_sgpr 28
		.amdhsa_reserve_vcc 1
		.amdhsa_reserve_flat_scratch 0
		.amdhsa_float_round_mode_32 0
		.amdhsa_float_round_mode_16_64 0
		.amdhsa_float_denorm_mode_32 3
		.amdhsa_float_denorm_mode_16_64 3
		.amdhsa_dx10_clamp 1
		.amdhsa_ieee_mode 1
		.amdhsa_fp16_overflow 0
		.amdhsa_exception_fp_ieee_invalid_op 0
		.amdhsa_exception_fp_denorm_src 0
		.amdhsa_exception_fp_ieee_div_zero 0
		.amdhsa_exception_fp_ieee_overflow 0
		.amdhsa_exception_fp_ieee_underflow 0
		.amdhsa_exception_fp_ieee_inexact 0
		.amdhsa_exception_int_div_zero 0
	.end_amdhsa_kernel
	.section	.text._ZL37rocblas_syrkx_herkx_restricted_kernelIldLi16ELi32ELi8ELb1ELb0ELc78ELc85EKddEviT_T0_PT8_S1_lS4_S1_lS2_PT9_S1_li,"axG",@progbits,_ZL37rocblas_syrkx_herkx_restricted_kernelIldLi16ELi32ELi8ELb1ELb0ELc78ELc85EKddEviT_T0_PT8_S1_lS4_S1_lS2_PT9_S1_li,comdat
.Lfunc_end1032:
	.size	_ZL37rocblas_syrkx_herkx_restricted_kernelIldLi16ELi32ELi8ELb1ELb0ELc78ELc85EKddEviT_T0_PT8_S1_lS4_S1_lS2_PT9_S1_li, .Lfunc_end1032-_ZL37rocblas_syrkx_herkx_restricted_kernelIldLi16ELi32ELi8ELb1ELb0ELc78ELc85EKddEviT_T0_PT8_S1_lS4_S1_lS2_PT9_S1_li
                                        ; -- End function
	.set _ZL37rocblas_syrkx_herkx_restricted_kernelIldLi16ELi32ELi8ELb1ELb0ELc78ELc85EKddEviT_T0_PT8_S1_lS4_S1_lS2_PT9_S1_li.num_vgpr, 38
	.set _ZL37rocblas_syrkx_herkx_restricted_kernelIldLi16ELi32ELi8ELb1ELb0ELc78ELc85EKddEviT_T0_PT8_S1_lS4_S1_lS2_PT9_S1_li.num_agpr, 0
	.set _ZL37rocblas_syrkx_herkx_restricted_kernelIldLi16ELi32ELi8ELb1ELb0ELc78ELc85EKddEviT_T0_PT8_S1_lS4_S1_lS2_PT9_S1_li.numbered_sgpr, 28
	.set _ZL37rocblas_syrkx_herkx_restricted_kernelIldLi16ELi32ELi8ELb1ELb0ELc78ELc85EKddEviT_T0_PT8_S1_lS4_S1_lS2_PT9_S1_li.num_named_barrier, 0
	.set _ZL37rocblas_syrkx_herkx_restricted_kernelIldLi16ELi32ELi8ELb1ELb0ELc78ELc85EKddEviT_T0_PT8_S1_lS4_S1_lS2_PT9_S1_li.private_seg_size, 0
	.set _ZL37rocblas_syrkx_herkx_restricted_kernelIldLi16ELi32ELi8ELb1ELb0ELc78ELc85EKddEviT_T0_PT8_S1_lS4_S1_lS2_PT9_S1_li.uses_vcc, 1
	.set _ZL37rocblas_syrkx_herkx_restricted_kernelIldLi16ELi32ELi8ELb1ELb0ELc78ELc85EKddEviT_T0_PT8_S1_lS4_S1_lS2_PT9_S1_li.uses_flat_scratch, 0
	.set _ZL37rocblas_syrkx_herkx_restricted_kernelIldLi16ELi32ELi8ELb1ELb0ELc78ELc85EKddEviT_T0_PT8_S1_lS4_S1_lS2_PT9_S1_li.has_dyn_sized_stack, 0
	.set _ZL37rocblas_syrkx_herkx_restricted_kernelIldLi16ELi32ELi8ELb1ELb0ELc78ELc85EKddEviT_T0_PT8_S1_lS4_S1_lS2_PT9_S1_li.has_recursion, 0
	.set _ZL37rocblas_syrkx_herkx_restricted_kernelIldLi16ELi32ELi8ELb1ELb0ELc78ELc85EKddEviT_T0_PT8_S1_lS4_S1_lS2_PT9_S1_li.has_indirect_call, 0
	.section	.AMDGPU.csdata,"",@progbits
; Kernel info:
; codeLenInByte = 1328
; TotalNumSgprs: 32
; NumVgprs: 38
; ScratchSize: 0
; MemoryBound: 0
; FloatMode: 240
; IeeeMode: 1
; LDSByteSize: 4096 bytes/workgroup (compile time only)
; SGPRBlocks: 3
; VGPRBlocks: 9
; NumSGPRsForWavesPerEU: 32
; NumVGPRsForWavesPerEU: 38
; Occupancy: 6
; WaveLimiterHint : 1
; COMPUTE_PGM_RSRC2:SCRATCH_EN: 0
; COMPUTE_PGM_RSRC2:USER_SGPR: 6
; COMPUTE_PGM_RSRC2:TRAP_HANDLER: 0
; COMPUTE_PGM_RSRC2:TGID_X_EN: 1
; COMPUTE_PGM_RSRC2:TGID_Y_EN: 1
; COMPUTE_PGM_RSRC2:TGID_Z_EN: 1
; COMPUTE_PGM_RSRC2:TIDIG_COMP_CNT: 1
	.section	.text._ZL37rocblas_syrkx_herkx_restricted_kernelIldLi16ELi32ELi8ELb0ELb0ELc84ELc76EKddEviT_T0_PT8_S1_lS4_S1_lS2_PT9_S1_li,"axG",@progbits,_ZL37rocblas_syrkx_herkx_restricted_kernelIldLi16ELi32ELi8ELb0ELb0ELc84ELc76EKddEviT_T0_PT8_S1_lS4_S1_lS2_PT9_S1_li,comdat
	.globl	_ZL37rocblas_syrkx_herkx_restricted_kernelIldLi16ELi32ELi8ELb0ELb0ELc84ELc76EKddEviT_T0_PT8_S1_lS4_S1_lS2_PT9_S1_li ; -- Begin function _ZL37rocblas_syrkx_herkx_restricted_kernelIldLi16ELi32ELi8ELb0ELb0ELc84ELc76EKddEviT_T0_PT8_S1_lS4_S1_lS2_PT9_S1_li
	.p2align	8
	.type	_ZL37rocblas_syrkx_herkx_restricted_kernelIldLi16ELi32ELi8ELb0ELb0ELc84ELc76EKddEviT_T0_PT8_S1_lS4_S1_lS2_PT9_S1_li,@function
_ZL37rocblas_syrkx_herkx_restricted_kernelIldLi16ELi32ELi8ELb0ELb0ELc84ELc76EKddEviT_T0_PT8_S1_lS4_S1_lS2_PT9_S1_li: ; @_ZL37rocblas_syrkx_herkx_restricted_kernelIldLi16ELi32ELi8ELb0ELb0ELc84ELc76EKddEviT_T0_PT8_S1_lS4_S1_lS2_PT9_S1_li
; %bb.0:
	s_load_dwordx16 s[12:27], s[4:5], 0x8
	s_lshl_b32 s2, s6, 5
	s_lshl_b32 s3, s7, 5
	s_waitcnt lgkmcnt(0)
	v_cmp_lt_i64_e64 s[0:1], s[12:13], 1
	s_and_b64 vcc, exec, s[0:1]
	s_cbranch_vccnz .LBB1033_3
; %bb.1:
	v_lshl_add_u32 v3, v1, 4, v0
	v_and_b32_e32 v7, 31, v3
	v_lshrrev_b32_e32 v2, 5, v3
	v_and_b32_e32 v4, 7, v0
	v_lshlrev_b32_e32 v10, 3, v7
	v_lshrrev_b32_e32 v6, 3, v3
	v_lshl_or_b32 v14, v2, 8, v10
	v_lshlrev_b32_e32 v10, 3, v4
	v_add_u32_e32 v8, s3, v6
	v_lshl_or_b32 v6, v6, 6, v10
	v_ashrrev_i32_e32 v9, 31, v8
	v_mov_b32_e32 v5, 0
	v_add_u32_e32 v15, 0x800, v6
	v_mov_b32_e32 v6, 0x800
	v_mov_b32_e32 v3, v5
	v_lshl_add_u32 v17, v1, 6, v6
	v_mul_lo_u32 v6, s24, v9
	v_mul_lo_u32 v9, s25, v8
	v_mad_u64_u32 v[4:5], s[0:1], s24, v8, v[4:5]
	s_mul_i32 s6, s27, s8
	s_mul_hi_u32 s7, s26, s8
	s_add_i32 s1, s7, s6
	s_mul_i32 s0, s26, s8
	s_lshl_b64 s[0:1], s[0:1], 3
	v_add3_u32 v5, v9, v5, v6
	v_lshlrev_b64 v[4:5], 3, v[4:5]
	s_add_u32 s0, s22, s0
	s_addc_u32 s1, s23, s1
	v_mov_b32_e32 v6, s1
	v_add_co_u32_e32 v4, vcc, s0, v4
	v_addc_co_u32_e32 v5, vcc, v6, v5, vcc
	v_add_u32_e32 v6, s2, v7
	v_ashrrev_i32_e32 v7, 31, v6
	v_mul_lo_u32 v7, s18, v7
	v_mad_u64_u32 v[2:3], s[0:1], s18, v6, v[2:3]
	v_mul_lo_u32 v6, s19, v6
	s_mul_i32 s6, s21, s8
	s_mul_hi_u32 s7, s20, s8
	s_add_i32 s1, s7, s6
	s_mul_i32 s0, s20, s8
	s_lshl_b64 s[0:1], s[0:1], 3
	v_add3_u32 v3, v6, v3, v7
	v_lshlrev_b64 v[2:3], 3, v[2:3]
	s_add_u32 s0, s16, s0
	s_addc_u32 s1, s17, s1
	v_mov_b32_e32 v6, s1
	v_add_co_u32_e32 v8, vcc, s0, v2
	v_addc_co_u32_e32 v9, vcc, v6, v3, vcc
	v_mov_b32_e32 v2, 0
	v_mov_b32_e32 v6, 0
	;; [unrolled: 1-line block ×4, first 2 shown]
	v_lshlrev_b32_e32 v16, 3, v0
	v_mov_b32_e32 v3, 0
	v_mov_b32_e32 v7, 0
	;; [unrolled: 1-line block ×4, first 2 shown]
	s_mov_b64 s[0:1], 0
.LBB1033_2:                             ; =>This Inner Loop Header: Depth=1
	global_load_dwordx2 v[18:19], v[8:9], off
	global_load_dwordx2 v[20:21], v[4:5], off
	s_add_u32 s0, s0, 8
	v_add_co_u32_e32 v4, vcc, 64, v4
	v_addc_co_u32_e32 v5, vcc, 0, v5, vcc
	s_addc_u32 s1, s1, 0
	v_add_co_u32_e32 v8, vcc, 64, v8
	v_addc_co_u32_e32 v9, vcc, 0, v9, vcc
	s_waitcnt vmcnt(1)
	ds_write_b64 v14, v[18:19]
	s_waitcnt vmcnt(0)
	ds_write_b64 v15, v[20:21]
	s_waitcnt lgkmcnt(0)
	s_barrier
	ds_read2_b64 v[18:21], v16 offset1:16
	ds_read_b128 v[22:25], v17
	ds_read_b128 v[26:29], v17 offset:1024
	ds_read_b128 v[30:33], v17 offset:16
	s_waitcnt lgkmcnt(2)
	v_fma_f64 v[34:35], v[18:19], v[22:23], v[12:13]
	v_fma_f64 v[22:23], v[20:21], v[22:23], v[10:11]
	s_waitcnt lgkmcnt(1)
	v_fma_f64 v[6:7], v[18:19], v[26:27], v[6:7]
	v_fma_f64 v[2:3], v[20:21], v[26:27], v[2:3]
	ds_read2_b64 v[18:21], v16 offset0:32 offset1:48
	ds_read_b128 v[10:13], v17 offset:1040
	s_waitcnt lgkmcnt(1)
	v_fma_f64 v[26:27], v[18:19], v[24:25], v[34:35]
	v_fma_f64 v[34:35], v[20:21], v[24:25], v[22:23]
	;; [unrolled: 1-line block ×4, first 2 shown]
	ds_read2_b64 v[18:21], v16 offset0:64 offset1:80
	ds_read2_b64 v[22:25], v16 offset0:96 offset1:112
	s_waitcnt lgkmcnt(1)
	v_fma_f64 v[26:27], v[18:19], v[30:31], v[26:27]
	v_fma_f64 v[28:29], v[20:21], v[30:31], v[34:35]
	;; [unrolled: 1-line block ×4, first 2 shown]
	ds_read2_b64 v[18:21], v16 offset0:128 offset1:144
	s_waitcnt lgkmcnt(1)
	v_fma_f64 v[30:31], v[22:23], v[32:33], v[26:27]
	v_fma_f64 v[32:33], v[24:25], v[32:33], v[28:29]
	;; [unrolled: 1-line block ×4, first 2 shown]
	ds_read_b128 v[26:29], v17 offset:32
	ds_read_b128 v[10:13], v17 offset:1056
	;; [unrolled: 1-line block ×3, first 2 shown]
	s_waitcnt lgkmcnt(2)
	v_fma_f64 v[34:35], v[18:19], v[26:27], v[30:31]
	v_fma_f64 v[26:27], v[20:21], v[26:27], v[32:33]
	s_waitcnt lgkmcnt(1)
	v_fma_f64 v[6:7], v[18:19], v[10:11], v[6:7]
	v_fma_f64 v[2:3], v[20:21], v[10:11], v[2:3]
	ds_read2_b64 v[18:21], v16 offset0:160 offset1:176
	ds_read_b128 v[30:33], v17 offset:1072
	s_waitcnt lgkmcnt(1)
	v_fma_f64 v[34:35], v[18:19], v[28:29], v[34:35]
	v_fma_f64 v[26:27], v[20:21], v[28:29], v[26:27]
	;; [unrolled: 1-line block ×4, first 2 shown]
	ds_read2_b64 v[10:13], v16 offset0:192 offset1:208
	ds_read2_b64 v[18:21], v16 offset0:224 offset1:240
	v_mov_b32_e32 v29, s1
	v_mov_b32_e32 v28, s0
	v_cmp_le_u64_e32 vcc, s[12:13], v[28:29]
	s_waitcnt lgkmcnt(1)
	v_fma_f64 v[34:35], v[10:11], v[22:23], v[34:35]
	v_fma_f64 v[22:23], v[12:13], v[22:23], v[26:27]
	;; [unrolled: 1-line block ×4, first 2 shown]
	s_and_b64 vcc, exec, vcc
	s_waitcnt lgkmcnt(0)
	s_barrier
	v_fma_f64 v[12:13], v[18:19], v[24:25], v[34:35]
	v_fma_f64 v[10:11], v[20:21], v[24:25], v[22:23]
	v_fma_f64 v[6:7], v[18:19], v[32:33], v[6:7]
	v_fma_f64 v[2:3], v[20:21], v[32:33], v[2:3]
	s_cbranch_vccz .LBB1033_2
	s_branch .LBB1033_4
.LBB1033_3:
	v_mov_b32_e32 v12, 0
	v_mov_b32_e32 v10, 0
	;; [unrolled: 1-line block ×8, first 2 shown]
.LBB1033_4:
	s_load_dwordx8 s[16:23], s[4:5], 0x48
	s_load_dword s9, s[4:5], 0x0
	v_add_u32_e32 v8, s3, v1
	v_ashrrev_i32_e32 v1, 31, v8
	v_add_u32_e32 v0, s2, v0
	s_waitcnt lgkmcnt(0)
	v_mul_lo_u32 v1, s20, v1
	v_mul_lo_u32 v9, s21, v8
	v_mad_u64_u32 v[4:5], s[4:5], s20, v8, 0
	s_mul_i32 s1, s23, s8
	s_mul_hi_u32 s3, s22, s8
	s_mul_i32 s0, s22, s8
	s_add_i32 s1, s3, s1
	s_lshl_b64 s[0:1], s[0:1], 3
	v_add3_u32 v5, v5, v1, v9
	s_add_u32 s6, s18, s0
	v_lshlrev_b64 v[4:5], 3, v[4:5]
	s_addc_u32 s7, s19, s1
	v_mov_b32_e32 v1, s7
	v_add_co_u32_e32 v9, vcc, s6, v4
	v_addc_co_u32_e32 v14, vcc, v1, v5, vcc
	v_cmp_le_i32_e64 s[0:1], v8, v0
	v_cmp_gt_i32_e32 vcc, s9, v0
	s_and_b64 s[0:1], s[0:1], vcc
	s_and_saveexec_b64 s[2:3], s[0:1]
	s_cbranch_execz .LBB1033_6
; %bb.5:
	v_ashrrev_i32_e32 v1, 31, v0
	v_lshlrev_b64 v[4:5], 3, v[0:1]
	v_add_co_u32_e64 v4, s[0:1], v9, v4
	v_addc_co_u32_e64 v5, s[0:1], v14, v5, s[0:1]
	global_load_dwordx2 v[15:16], v[4:5], off
	s_waitcnt vmcnt(0)
	v_mul_f64 v[15:16], s[16:17], v[15:16]
	v_fma_f64 v[12:13], s[14:15], v[12:13], v[15:16]
	global_store_dwordx2 v[4:5], v[12:13], off
.LBB1033_6:
	s_or_b64 exec, exec, s[2:3]
	v_add_u32_e32 v4, 16, v0
	v_cmp_le_i32_e64 s[2:3], v8, v4
	v_cmp_gt_i32_e64 s[0:1], s9, v4
	s_and_b64 s[2:3], s[2:3], s[0:1]
	s_and_saveexec_b64 s[4:5], s[2:3]
	s_cbranch_execz .LBB1033_8
; %bb.7:
	v_ashrrev_i32_e32 v5, 31, v4
	v_lshlrev_b64 v[12:13], 3, v[4:5]
	v_add_co_u32_e64 v12, s[2:3], v9, v12
	v_addc_co_u32_e64 v13, s[2:3], v14, v13, s[2:3]
	global_load_dwordx2 v[14:15], v[12:13], off
	s_waitcnt vmcnt(0)
	v_mul_f64 v[14:15], s[16:17], v[14:15]
	v_fma_f64 v[9:10], s[14:15], v[10:11], v[14:15]
	global_store_dwordx2 v[12:13], v[9:10], off
.LBB1033_8:
	s_or_b64 exec, exec, s[4:5]
	v_add_u32_e32 v5, 16, v8
	v_ashrrev_i32_e32 v1, 31, v5
	v_mul_lo_u32 v10, s21, v5
	v_mad_u64_u32 v[8:9], s[2:3], s20, v5, 0
	v_mul_lo_u32 v1, s20, v1
	v_add3_u32 v9, v9, v1, v10
	v_lshlrev_b64 v[8:9], 3, v[8:9]
	v_mov_b32_e32 v1, s7
	v_add_co_u32_e64 v8, s[2:3], s6, v8
	v_addc_co_u32_e64 v9, s[2:3], v1, v9, s[2:3]
	v_cmp_le_i32_e64 s[2:3], v5, v0
	s_and_b64 s[4:5], s[2:3], vcc
	s_and_saveexec_b64 s[2:3], s[4:5]
	s_cbranch_execz .LBB1033_10
; %bb.9:
	v_ashrrev_i32_e32 v1, 31, v0
	v_lshlrev_b64 v[0:1], 3, v[0:1]
	v_add_co_u32_e32 v0, vcc, v8, v0
	v_addc_co_u32_e32 v1, vcc, v9, v1, vcc
	global_load_dwordx2 v[10:11], v[0:1], off
	s_waitcnt vmcnt(0)
	v_mul_f64 v[10:11], s[16:17], v[10:11]
	v_fma_f64 v[6:7], s[14:15], v[6:7], v[10:11]
	global_store_dwordx2 v[0:1], v[6:7], off
.LBB1033_10:
	s_or_b64 exec, exec, s[2:3]
	v_cmp_le_i32_e32 vcc, v5, v4
	s_and_b64 s[0:1], vcc, s[0:1]
	s_and_saveexec_b64 s[2:3], s[0:1]
	s_cbranch_execz .LBB1033_12
; %bb.11:
	v_ashrrev_i32_e32 v5, 31, v4
	v_lshlrev_b64 v[0:1], 3, v[4:5]
	v_add_co_u32_e32 v0, vcc, v8, v0
	v_addc_co_u32_e32 v1, vcc, v9, v1, vcc
	global_load_dwordx2 v[4:5], v[0:1], off
	s_waitcnt vmcnt(0)
	v_mul_f64 v[4:5], s[16:17], v[4:5]
	v_fma_f64 v[2:3], s[14:15], v[2:3], v[4:5]
	global_store_dwordx2 v[0:1], v[2:3], off
.LBB1033_12:
	s_endpgm
	.section	.rodata,"a",@progbits
	.p2align	6, 0x0
	.amdhsa_kernel _ZL37rocblas_syrkx_herkx_restricted_kernelIldLi16ELi32ELi8ELb0ELb0ELc84ELc76EKddEviT_T0_PT8_S1_lS4_S1_lS2_PT9_S1_li
		.amdhsa_group_segment_fixed_size 4096
		.amdhsa_private_segment_fixed_size 0
		.amdhsa_kernarg_size 108
		.amdhsa_user_sgpr_count 6
		.amdhsa_user_sgpr_private_segment_buffer 1
		.amdhsa_user_sgpr_dispatch_ptr 0
		.amdhsa_user_sgpr_queue_ptr 0
		.amdhsa_user_sgpr_kernarg_segment_ptr 1
		.amdhsa_user_sgpr_dispatch_id 0
		.amdhsa_user_sgpr_flat_scratch_init 0
		.amdhsa_user_sgpr_private_segment_size 0
		.amdhsa_uses_dynamic_stack 0
		.amdhsa_system_sgpr_private_segment_wavefront_offset 0
		.amdhsa_system_sgpr_workgroup_id_x 1
		.amdhsa_system_sgpr_workgroup_id_y 1
		.amdhsa_system_sgpr_workgroup_id_z 1
		.amdhsa_system_sgpr_workgroup_info 0
		.amdhsa_system_vgpr_workitem_id 1
		.amdhsa_next_free_vgpr 36
		.amdhsa_next_free_sgpr 28
		.amdhsa_reserve_vcc 1
		.amdhsa_reserve_flat_scratch 0
		.amdhsa_float_round_mode_32 0
		.amdhsa_float_round_mode_16_64 0
		.amdhsa_float_denorm_mode_32 3
		.amdhsa_float_denorm_mode_16_64 3
		.amdhsa_dx10_clamp 1
		.amdhsa_ieee_mode 1
		.amdhsa_fp16_overflow 0
		.amdhsa_exception_fp_ieee_invalid_op 0
		.amdhsa_exception_fp_denorm_src 0
		.amdhsa_exception_fp_ieee_div_zero 0
		.amdhsa_exception_fp_ieee_overflow 0
		.amdhsa_exception_fp_ieee_underflow 0
		.amdhsa_exception_fp_ieee_inexact 0
		.amdhsa_exception_int_div_zero 0
	.end_amdhsa_kernel
	.section	.text._ZL37rocblas_syrkx_herkx_restricted_kernelIldLi16ELi32ELi8ELb0ELb0ELc84ELc76EKddEviT_T0_PT8_S1_lS4_S1_lS2_PT9_S1_li,"axG",@progbits,_ZL37rocblas_syrkx_herkx_restricted_kernelIldLi16ELi32ELi8ELb0ELb0ELc84ELc76EKddEviT_T0_PT8_S1_lS4_S1_lS2_PT9_S1_li,comdat
.Lfunc_end1033:
	.size	_ZL37rocblas_syrkx_herkx_restricted_kernelIldLi16ELi32ELi8ELb0ELb0ELc84ELc76EKddEviT_T0_PT8_S1_lS4_S1_lS2_PT9_S1_li, .Lfunc_end1033-_ZL37rocblas_syrkx_herkx_restricted_kernelIldLi16ELi32ELi8ELb0ELb0ELc84ELc76EKddEviT_T0_PT8_S1_lS4_S1_lS2_PT9_S1_li
                                        ; -- End function
	.set _ZL37rocblas_syrkx_herkx_restricted_kernelIldLi16ELi32ELi8ELb0ELb0ELc84ELc76EKddEviT_T0_PT8_S1_lS4_S1_lS2_PT9_S1_li.num_vgpr, 36
	.set _ZL37rocblas_syrkx_herkx_restricted_kernelIldLi16ELi32ELi8ELb0ELb0ELc84ELc76EKddEviT_T0_PT8_S1_lS4_S1_lS2_PT9_S1_li.num_agpr, 0
	.set _ZL37rocblas_syrkx_herkx_restricted_kernelIldLi16ELi32ELi8ELb0ELb0ELc84ELc76EKddEviT_T0_PT8_S1_lS4_S1_lS2_PT9_S1_li.numbered_sgpr, 28
	.set _ZL37rocblas_syrkx_herkx_restricted_kernelIldLi16ELi32ELi8ELb0ELb0ELc84ELc76EKddEviT_T0_PT8_S1_lS4_S1_lS2_PT9_S1_li.num_named_barrier, 0
	.set _ZL37rocblas_syrkx_herkx_restricted_kernelIldLi16ELi32ELi8ELb0ELb0ELc84ELc76EKddEviT_T0_PT8_S1_lS4_S1_lS2_PT9_S1_li.private_seg_size, 0
	.set _ZL37rocblas_syrkx_herkx_restricted_kernelIldLi16ELi32ELi8ELb0ELb0ELc84ELc76EKddEviT_T0_PT8_S1_lS4_S1_lS2_PT9_S1_li.uses_vcc, 1
	.set _ZL37rocblas_syrkx_herkx_restricted_kernelIldLi16ELi32ELi8ELb0ELb0ELc84ELc76EKddEviT_T0_PT8_S1_lS4_S1_lS2_PT9_S1_li.uses_flat_scratch, 0
	.set _ZL37rocblas_syrkx_herkx_restricted_kernelIldLi16ELi32ELi8ELb0ELb0ELc84ELc76EKddEviT_T0_PT8_S1_lS4_S1_lS2_PT9_S1_li.has_dyn_sized_stack, 0
	.set _ZL37rocblas_syrkx_herkx_restricted_kernelIldLi16ELi32ELi8ELb0ELb0ELc84ELc76EKddEviT_T0_PT8_S1_lS4_S1_lS2_PT9_S1_li.has_recursion, 0
	.set _ZL37rocblas_syrkx_herkx_restricted_kernelIldLi16ELi32ELi8ELb0ELb0ELc84ELc76EKddEviT_T0_PT8_S1_lS4_S1_lS2_PT9_S1_li.has_indirect_call, 0
	.section	.AMDGPU.csdata,"",@progbits
; Kernel info:
; codeLenInByte = 1416
; TotalNumSgprs: 32
; NumVgprs: 36
; ScratchSize: 0
; MemoryBound: 0
; FloatMode: 240
; IeeeMode: 1
; LDSByteSize: 4096 bytes/workgroup (compile time only)
; SGPRBlocks: 3
; VGPRBlocks: 8
; NumSGPRsForWavesPerEU: 32
; NumVGPRsForWavesPerEU: 36
; Occupancy: 7
; WaveLimiterHint : 1
; COMPUTE_PGM_RSRC2:SCRATCH_EN: 0
; COMPUTE_PGM_RSRC2:USER_SGPR: 6
; COMPUTE_PGM_RSRC2:TRAP_HANDLER: 0
; COMPUTE_PGM_RSRC2:TGID_X_EN: 1
; COMPUTE_PGM_RSRC2:TGID_Y_EN: 1
; COMPUTE_PGM_RSRC2:TGID_Z_EN: 1
; COMPUTE_PGM_RSRC2:TIDIG_COMP_CNT: 1
	.section	.text._ZL37rocblas_syrkx_herkx_restricted_kernelIldLi16ELi32ELi8ELb0ELb0ELc67ELc76EKddEviT_T0_PT8_S1_lS4_S1_lS2_PT9_S1_li,"axG",@progbits,_ZL37rocblas_syrkx_herkx_restricted_kernelIldLi16ELi32ELi8ELb0ELb0ELc67ELc76EKddEviT_T0_PT8_S1_lS4_S1_lS2_PT9_S1_li,comdat
	.globl	_ZL37rocblas_syrkx_herkx_restricted_kernelIldLi16ELi32ELi8ELb0ELb0ELc67ELc76EKddEviT_T0_PT8_S1_lS4_S1_lS2_PT9_S1_li ; -- Begin function _ZL37rocblas_syrkx_herkx_restricted_kernelIldLi16ELi32ELi8ELb0ELb0ELc67ELc76EKddEviT_T0_PT8_S1_lS4_S1_lS2_PT9_S1_li
	.p2align	8
	.type	_ZL37rocblas_syrkx_herkx_restricted_kernelIldLi16ELi32ELi8ELb0ELb0ELc67ELc76EKddEviT_T0_PT8_S1_lS4_S1_lS2_PT9_S1_li,@function
_ZL37rocblas_syrkx_herkx_restricted_kernelIldLi16ELi32ELi8ELb0ELb0ELc67ELc76EKddEviT_T0_PT8_S1_lS4_S1_lS2_PT9_S1_li: ; @_ZL37rocblas_syrkx_herkx_restricted_kernelIldLi16ELi32ELi8ELb0ELb0ELc67ELc76EKddEviT_T0_PT8_S1_lS4_S1_lS2_PT9_S1_li
; %bb.0:
	s_load_dwordx16 s[12:27], s[4:5], 0x8
	s_lshl_b32 s2, s6, 5
	s_lshl_b32 s3, s7, 5
	s_waitcnt lgkmcnt(0)
	v_cmp_lt_i64_e64 s[0:1], s[12:13], 1
	s_and_b64 vcc, exec, s[0:1]
	s_cbranch_vccnz .LBB1034_3
; %bb.1:
	v_lshl_add_u32 v3, v1, 4, v0
	v_and_b32_e32 v7, 31, v3
	v_lshrrev_b32_e32 v2, 5, v3
	v_and_b32_e32 v4, 7, v0
	v_lshlrev_b32_e32 v10, 3, v7
	v_lshrrev_b32_e32 v6, 3, v3
	v_lshl_or_b32 v14, v2, 8, v10
	v_lshlrev_b32_e32 v10, 3, v4
	v_add_u32_e32 v8, s3, v6
	v_lshl_or_b32 v6, v6, 6, v10
	v_ashrrev_i32_e32 v9, 31, v8
	v_mov_b32_e32 v5, 0
	v_add_u32_e32 v15, 0x800, v6
	v_mov_b32_e32 v6, 0x800
	v_mov_b32_e32 v3, v5
	v_lshl_add_u32 v17, v1, 6, v6
	v_mul_lo_u32 v6, s24, v9
	v_mul_lo_u32 v9, s25, v8
	v_mad_u64_u32 v[4:5], s[0:1], s24, v8, v[4:5]
	s_mul_i32 s6, s27, s8
	s_mul_hi_u32 s7, s26, s8
	s_add_i32 s1, s7, s6
	s_mul_i32 s0, s26, s8
	s_lshl_b64 s[0:1], s[0:1], 3
	v_add3_u32 v5, v9, v5, v6
	v_lshlrev_b64 v[4:5], 3, v[4:5]
	s_add_u32 s0, s22, s0
	s_addc_u32 s1, s23, s1
	v_mov_b32_e32 v6, s1
	v_add_co_u32_e32 v4, vcc, s0, v4
	v_addc_co_u32_e32 v5, vcc, v6, v5, vcc
	v_add_u32_e32 v6, s2, v7
	v_ashrrev_i32_e32 v7, 31, v6
	v_mul_lo_u32 v7, s18, v7
	v_mad_u64_u32 v[2:3], s[0:1], s18, v6, v[2:3]
	v_mul_lo_u32 v6, s19, v6
	s_mul_i32 s6, s21, s8
	s_mul_hi_u32 s7, s20, s8
	s_add_i32 s1, s7, s6
	s_mul_i32 s0, s20, s8
	s_lshl_b64 s[0:1], s[0:1], 3
	v_add3_u32 v3, v6, v3, v7
	v_lshlrev_b64 v[2:3], 3, v[2:3]
	s_add_u32 s0, s16, s0
	s_addc_u32 s1, s17, s1
	v_mov_b32_e32 v6, s1
	v_add_co_u32_e32 v8, vcc, s0, v2
	v_addc_co_u32_e32 v9, vcc, v6, v3, vcc
	v_mov_b32_e32 v2, 0
	v_mov_b32_e32 v6, 0
	;; [unrolled: 1-line block ×4, first 2 shown]
	v_lshlrev_b32_e32 v16, 3, v0
	v_mov_b32_e32 v3, 0
	v_mov_b32_e32 v7, 0
	;; [unrolled: 1-line block ×4, first 2 shown]
	s_mov_b64 s[0:1], 0
.LBB1034_2:                             ; =>This Inner Loop Header: Depth=1
	global_load_dwordx2 v[18:19], v[8:9], off
	global_load_dwordx2 v[20:21], v[4:5], off
	s_add_u32 s0, s0, 8
	v_add_co_u32_e32 v4, vcc, 64, v4
	v_addc_co_u32_e32 v5, vcc, 0, v5, vcc
	s_addc_u32 s1, s1, 0
	v_add_co_u32_e32 v8, vcc, 64, v8
	v_addc_co_u32_e32 v9, vcc, 0, v9, vcc
	s_waitcnt vmcnt(1)
	ds_write_b64 v14, v[18:19]
	s_waitcnt vmcnt(0)
	ds_write_b64 v15, v[20:21]
	s_waitcnt lgkmcnt(0)
	s_barrier
	ds_read2_b64 v[18:21], v16 offset1:16
	ds_read_b128 v[22:25], v17
	ds_read_b128 v[26:29], v17 offset:1024
	ds_read_b128 v[30:33], v17 offset:16
	s_waitcnt lgkmcnt(2)
	v_fma_f64 v[34:35], v[18:19], v[22:23], v[12:13]
	v_fma_f64 v[22:23], v[20:21], v[22:23], v[10:11]
	s_waitcnt lgkmcnt(1)
	v_fma_f64 v[6:7], v[18:19], v[26:27], v[6:7]
	v_fma_f64 v[2:3], v[20:21], v[26:27], v[2:3]
	ds_read2_b64 v[18:21], v16 offset0:32 offset1:48
	ds_read_b128 v[10:13], v17 offset:1040
	s_waitcnt lgkmcnt(1)
	v_fma_f64 v[26:27], v[18:19], v[24:25], v[34:35]
	v_fma_f64 v[34:35], v[20:21], v[24:25], v[22:23]
	;; [unrolled: 1-line block ×4, first 2 shown]
	ds_read2_b64 v[18:21], v16 offset0:64 offset1:80
	ds_read2_b64 v[22:25], v16 offset0:96 offset1:112
	s_waitcnt lgkmcnt(1)
	v_fma_f64 v[26:27], v[18:19], v[30:31], v[26:27]
	v_fma_f64 v[28:29], v[20:21], v[30:31], v[34:35]
	;; [unrolled: 1-line block ×4, first 2 shown]
	ds_read2_b64 v[18:21], v16 offset0:128 offset1:144
	s_waitcnt lgkmcnt(1)
	v_fma_f64 v[30:31], v[22:23], v[32:33], v[26:27]
	v_fma_f64 v[32:33], v[24:25], v[32:33], v[28:29]
	;; [unrolled: 1-line block ×4, first 2 shown]
	ds_read_b128 v[26:29], v17 offset:32
	ds_read_b128 v[10:13], v17 offset:1056
	;; [unrolled: 1-line block ×3, first 2 shown]
	s_waitcnt lgkmcnt(2)
	v_fma_f64 v[34:35], v[18:19], v[26:27], v[30:31]
	v_fma_f64 v[26:27], v[20:21], v[26:27], v[32:33]
	s_waitcnt lgkmcnt(1)
	v_fma_f64 v[6:7], v[18:19], v[10:11], v[6:7]
	v_fma_f64 v[2:3], v[20:21], v[10:11], v[2:3]
	ds_read2_b64 v[18:21], v16 offset0:160 offset1:176
	ds_read_b128 v[30:33], v17 offset:1072
	s_waitcnt lgkmcnt(1)
	v_fma_f64 v[34:35], v[18:19], v[28:29], v[34:35]
	v_fma_f64 v[26:27], v[20:21], v[28:29], v[26:27]
	;; [unrolled: 1-line block ×4, first 2 shown]
	ds_read2_b64 v[10:13], v16 offset0:192 offset1:208
	ds_read2_b64 v[18:21], v16 offset0:224 offset1:240
	v_mov_b32_e32 v29, s1
	v_mov_b32_e32 v28, s0
	v_cmp_le_u64_e32 vcc, s[12:13], v[28:29]
	s_waitcnt lgkmcnt(1)
	v_fma_f64 v[34:35], v[10:11], v[22:23], v[34:35]
	v_fma_f64 v[22:23], v[12:13], v[22:23], v[26:27]
	;; [unrolled: 1-line block ×4, first 2 shown]
	s_and_b64 vcc, exec, vcc
	s_waitcnt lgkmcnt(0)
	s_barrier
	v_fma_f64 v[12:13], v[18:19], v[24:25], v[34:35]
	v_fma_f64 v[10:11], v[20:21], v[24:25], v[22:23]
	;; [unrolled: 1-line block ×4, first 2 shown]
	s_cbranch_vccz .LBB1034_2
	s_branch .LBB1034_4
.LBB1034_3:
	v_mov_b32_e32 v12, 0
	v_mov_b32_e32 v10, 0
	;; [unrolled: 1-line block ×8, first 2 shown]
.LBB1034_4:
	s_load_dwordx8 s[16:23], s[4:5], 0x48
	s_load_dword s9, s[4:5], 0x0
	v_add_u32_e32 v8, s3, v1
	v_ashrrev_i32_e32 v1, 31, v8
	v_add_u32_e32 v0, s2, v0
	s_waitcnt lgkmcnt(0)
	v_mul_lo_u32 v1, s20, v1
	v_mul_lo_u32 v9, s21, v8
	v_mad_u64_u32 v[4:5], s[4:5], s20, v8, 0
	s_mul_i32 s1, s23, s8
	s_mul_hi_u32 s3, s22, s8
	s_mul_i32 s0, s22, s8
	s_add_i32 s1, s3, s1
	s_lshl_b64 s[0:1], s[0:1], 3
	v_add3_u32 v5, v5, v1, v9
	s_add_u32 s6, s18, s0
	v_lshlrev_b64 v[4:5], 3, v[4:5]
	s_addc_u32 s7, s19, s1
	v_mov_b32_e32 v1, s7
	v_add_co_u32_e32 v9, vcc, s6, v4
	v_addc_co_u32_e32 v14, vcc, v1, v5, vcc
	v_cmp_le_i32_e64 s[0:1], v8, v0
	v_cmp_gt_i32_e32 vcc, s9, v0
	s_and_b64 s[0:1], s[0:1], vcc
	s_and_saveexec_b64 s[2:3], s[0:1]
	s_cbranch_execz .LBB1034_6
; %bb.5:
	v_ashrrev_i32_e32 v1, 31, v0
	v_lshlrev_b64 v[4:5], 3, v[0:1]
	v_add_co_u32_e64 v4, s[0:1], v9, v4
	v_addc_co_u32_e64 v5, s[0:1], v14, v5, s[0:1]
	global_load_dwordx2 v[15:16], v[4:5], off
	s_waitcnt vmcnt(0)
	v_mul_f64 v[15:16], s[16:17], v[15:16]
	v_fma_f64 v[12:13], s[14:15], v[12:13], v[15:16]
	global_store_dwordx2 v[4:5], v[12:13], off
.LBB1034_6:
	s_or_b64 exec, exec, s[2:3]
	v_add_u32_e32 v4, 16, v0
	v_cmp_le_i32_e64 s[2:3], v8, v4
	v_cmp_gt_i32_e64 s[0:1], s9, v4
	s_and_b64 s[2:3], s[2:3], s[0:1]
	s_and_saveexec_b64 s[4:5], s[2:3]
	s_cbranch_execz .LBB1034_8
; %bb.7:
	v_ashrrev_i32_e32 v5, 31, v4
	v_lshlrev_b64 v[12:13], 3, v[4:5]
	v_add_co_u32_e64 v12, s[2:3], v9, v12
	v_addc_co_u32_e64 v13, s[2:3], v14, v13, s[2:3]
	global_load_dwordx2 v[14:15], v[12:13], off
	s_waitcnt vmcnt(0)
	v_mul_f64 v[14:15], s[16:17], v[14:15]
	v_fma_f64 v[9:10], s[14:15], v[10:11], v[14:15]
	global_store_dwordx2 v[12:13], v[9:10], off
.LBB1034_8:
	s_or_b64 exec, exec, s[4:5]
	v_add_u32_e32 v5, 16, v8
	v_ashrrev_i32_e32 v1, 31, v5
	v_mul_lo_u32 v10, s21, v5
	v_mad_u64_u32 v[8:9], s[2:3], s20, v5, 0
	v_mul_lo_u32 v1, s20, v1
	v_add3_u32 v9, v9, v1, v10
	v_lshlrev_b64 v[8:9], 3, v[8:9]
	v_mov_b32_e32 v1, s7
	v_add_co_u32_e64 v8, s[2:3], s6, v8
	v_addc_co_u32_e64 v9, s[2:3], v1, v9, s[2:3]
	v_cmp_le_i32_e64 s[2:3], v5, v0
	s_and_b64 s[4:5], s[2:3], vcc
	s_and_saveexec_b64 s[2:3], s[4:5]
	s_cbranch_execz .LBB1034_10
; %bb.9:
	v_ashrrev_i32_e32 v1, 31, v0
	v_lshlrev_b64 v[0:1], 3, v[0:1]
	v_add_co_u32_e32 v0, vcc, v8, v0
	v_addc_co_u32_e32 v1, vcc, v9, v1, vcc
	global_load_dwordx2 v[10:11], v[0:1], off
	s_waitcnt vmcnt(0)
	v_mul_f64 v[10:11], s[16:17], v[10:11]
	v_fma_f64 v[6:7], s[14:15], v[6:7], v[10:11]
	global_store_dwordx2 v[0:1], v[6:7], off
.LBB1034_10:
	s_or_b64 exec, exec, s[2:3]
	v_cmp_le_i32_e32 vcc, v5, v4
	s_and_b64 s[0:1], vcc, s[0:1]
	s_and_saveexec_b64 s[2:3], s[0:1]
	s_cbranch_execz .LBB1034_12
; %bb.11:
	v_ashrrev_i32_e32 v5, 31, v4
	v_lshlrev_b64 v[0:1], 3, v[4:5]
	v_add_co_u32_e32 v0, vcc, v8, v0
	v_addc_co_u32_e32 v1, vcc, v9, v1, vcc
	global_load_dwordx2 v[4:5], v[0:1], off
	s_waitcnt vmcnt(0)
	v_mul_f64 v[4:5], s[16:17], v[4:5]
	v_fma_f64 v[2:3], s[14:15], v[2:3], v[4:5]
	global_store_dwordx2 v[0:1], v[2:3], off
.LBB1034_12:
	s_endpgm
	.section	.rodata,"a",@progbits
	.p2align	6, 0x0
	.amdhsa_kernel _ZL37rocblas_syrkx_herkx_restricted_kernelIldLi16ELi32ELi8ELb0ELb0ELc67ELc76EKddEviT_T0_PT8_S1_lS4_S1_lS2_PT9_S1_li
		.amdhsa_group_segment_fixed_size 4096
		.amdhsa_private_segment_fixed_size 0
		.amdhsa_kernarg_size 108
		.amdhsa_user_sgpr_count 6
		.amdhsa_user_sgpr_private_segment_buffer 1
		.amdhsa_user_sgpr_dispatch_ptr 0
		.amdhsa_user_sgpr_queue_ptr 0
		.amdhsa_user_sgpr_kernarg_segment_ptr 1
		.amdhsa_user_sgpr_dispatch_id 0
		.amdhsa_user_sgpr_flat_scratch_init 0
		.amdhsa_user_sgpr_private_segment_size 0
		.amdhsa_uses_dynamic_stack 0
		.amdhsa_system_sgpr_private_segment_wavefront_offset 0
		.amdhsa_system_sgpr_workgroup_id_x 1
		.amdhsa_system_sgpr_workgroup_id_y 1
		.amdhsa_system_sgpr_workgroup_id_z 1
		.amdhsa_system_sgpr_workgroup_info 0
		.amdhsa_system_vgpr_workitem_id 1
		.amdhsa_next_free_vgpr 36
		.amdhsa_next_free_sgpr 28
		.amdhsa_reserve_vcc 1
		.amdhsa_reserve_flat_scratch 0
		.amdhsa_float_round_mode_32 0
		.amdhsa_float_round_mode_16_64 0
		.amdhsa_float_denorm_mode_32 3
		.amdhsa_float_denorm_mode_16_64 3
		.amdhsa_dx10_clamp 1
		.amdhsa_ieee_mode 1
		.amdhsa_fp16_overflow 0
		.amdhsa_exception_fp_ieee_invalid_op 0
		.amdhsa_exception_fp_denorm_src 0
		.amdhsa_exception_fp_ieee_div_zero 0
		.amdhsa_exception_fp_ieee_overflow 0
		.amdhsa_exception_fp_ieee_underflow 0
		.amdhsa_exception_fp_ieee_inexact 0
		.amdhsa_exception_int_div_zero 0
	.end_amdhsa_kernel
	.section	.text._ZL37rocblas_syrkx_herkx_restricted_kernelIldLi16ELi32ELi8ELb0ELb0ELc67ELc76EKddEviT_T0_PT8_S1_lS4_S1_lS2_PT9_S1_li,"axG",@progbits,_ZL37rocblas_syrkx_herkx_restricted_kernelIldLi16ELi32ELi8ELb0ELb0ELc67ELc76EKddEviT_T0_PT8_S1_lS4_S1_lS2_PT9_S1_li,comdat
.Lfunc_end1034:
	.size	_ZL37rocblas_syrkx_herkx_restricted_kernelIldLi16ELi32ELi8ELb0ELb0ELc67ELc76EKddEviT_T0_PT8_S1_lS4_S1_lS2_PT9_S1_li, .Lfunc_end1034-_ZL37rocblas_syrkx_herkx_restricted_kernelIldLi16ELi32ELi8ELb0ELb0ELc67ELc76EKddEviT_T0_PT8_S1_lS4_S1_lS2_PT9_S1_li
                                        ; -- End function
	.set _ZL37rocblas_syrkx_herkx_restricted_kernelIldLi16ELi32ELi8ELb0ELb0ELc67ELc76EKddEviT_T0_PT8_S1_lS4_S1_lS2_PT9_S1_li.num_vgpr, 36
	.set _ZL37rocblas_syrkx_herkx_restricted_kernelIldLi16ELi32ELi8ELb0ELb0ELc67ELc76EKddEviT_T0_PT8_S1_lS4_S1_lS2_PT9_S1_li.num_agpr, 0
	.set _ZL37rocblas_syrkx_herkx_restricted_kernelIldLi16ELi32ELi8ELb0ELb0ELc67ELc76EKddEviT_T0_PT8_S1_lS4_S1_lS2_PT9_S1_li.numbered_sgpr, 28
	.set _ZL37rocblas_syrkx_herkx_restricted_kernelIldLi16ELi32ELi8ELb0ELb0ELc67ELc76EKddEviT_T0_PT8_S1_lS4_S1_lS2_PT9_S1_li.num_named_barrier, 0
	.set _ZL37rocblas_syrkx_herkx_restricted_kernelIldLi16ELi32ELi8ELb0ELb0ELc67ELc76EKddEviT_T0_PT8_S1_lS4_S1_lS2_PT9_S1_li.private_seg_size, 0
	.set _ZL37rocblas_syrkx_herkx_restricted_kernelIldLi16ELi32ELi8ELb0ELb0ELc67ELc76EKddEviT_T0_PT8_S1_lS4_S1_lS2_PT9_S1_li.uses_vcc, 1
	.set _ZL37rocblas_syrkx_herkx_restricted_kernelIldLi16ELi32ELi8ELb0ELb0ELc67ELc76EKddEviT_T0_PT8_S1_lS4_S1_lS2_PT9_S1_li.uses_flat_scratch, 0
	.set _ZL37rocblas_syrkx_herkx_restricted_kernelIldLi16ELi32ELi8ELb0ELb0ELc67ELc76EKddEviT_T0_PT8_S1_lS4_S1_lS2_PT9_S1_li.has_dyn_sized_stack, 0
	.set _ZL37rocblas_syrkx_herkx_restricted_kernelIldLi16ELi32ELi8ELb0ELb0ELc67ELc76EKddEviT_T0_PT8_S1_lS4_S1_lS2_PT9_S1_li.has_recursion, 0
	.set _ZL37rocblas_syrkx_herkx_restricted_kernelIldLi16ELi32ELi8ELb0ELb0ELc67ELc76EKddEviT_T0_PT8_S1_lS4_S1_lS2_PT9_S1_li.has_indirect_call, 0
	.section	.AMDGPU.csdata,"",@progbits
; Kernel info:
; codeLenInByte = 1416
; TotalNumSgprs: 32
; NumVgprs: 36
; ScratchSize: 0
; MemoryBound: 0
; FloatMode: 240
; IeeeMode: 1
; LDSByteSize: 4096 bytes/workgroup (compile time only)
; SGPRBlocks: 3
; VGPRBlocks: 8
; NumSGPRsForWavesPerEU: 32
; NumVGPRsForWavesPerEU: 36
; Occupancy: 7
; WaveLimiterHint : 1
; COMPUTE_PGM_RSRC2:SCRATCH_EN: 0
; COMPUTE_PGM_RSRC2:USER_SGPR: 6
; COMPUTE_PGM_RSRC2:TRAP_HANDLER: 0
; COMPUTE_PGM_RSRC2:TGID_X_EN: 1
; COMPUTE_PGM_RSRC2:TGID_Y_EN: 1
; COMPUTE_PGM_RSRC2:TGID_Z_EN: 1
; COMPUTE_PGM_RSRC2:TIDIG_COMP_CNT: 1
	.section	.text._ZL37rocblas_syrkx_herkx_restricted_kernelIldLi16ELi32ELi8ELb0ELb0ELc78ELc76EKddEviT_T0_PT8_S1_lS4_S1_lS2_PT9_S1_li,"axG",@progbits,_ZL37rocblas_syrkx_herkx_restricted_kernelIldLi16ELi32ELi8ELb0ELb0ELc78ELc76EKddEviT_T0_PT8_S1_lS4_S1_lS2_PT9_S1_li,comdat
	.globl	_ZL37rocblas_syrkx_herkx_restricted_kernelIldLi16ELi32ELi8ELb0ELb0ELc78ELc76EKddEviT_T0_PT8_S1_lS4_S1_lS2_PT9_S1_li ; -- Begin function _ZL37rocblas_syrkx_herkx_restricted_kernelIldLi16ELi32ELi8ELb0ELb0ELc78ELc76EKddEviT_T0_PT8_S1_lS4_S1_lS2_PT9_S1_li
	.p2align	8
	.type	_ZL37rocblas_syrkx_herkx_restricted_kernelIldLi16ELi32ELi8ELb0ELb0ELc78ELc76EKddEviT_T0_PT8_S1_lS4_S1_lS2_PT9_S1_li,@function
_ZL37rocblas_syrkx_herkx_restricted_kernelIldLi16ELi32ELi8ELb0ELb0ELc78ELc76EKddEviT_T0_PT8_S1_lS4_S1_lS2_PT9_S1_li: ; @_ZL37rocblas_syrkx_herkx_restricted_kernelIldLi16ELi32ELi8ELb0ELb0ELc78ELc76EKddEviT_T0_PT8_S1_lS4_S1_lS2_PT9_S1_li
; %bb.0:
	s_load_dwordx16 s[12:27], s[4:5], 0x8
	s_lshl_b32 s9, s6, 5
	s_lshl_b32 s10, s7, 5
	s_waitcnt lgkmcnt(0)
	v_cmp_lt_i64_e64 s[0:1], s[12:13], 1
	s_and_b64 vcc, exec, s[0:1]
	s_cbranch_vccnz .LBB1035_3
; %bb.1:
	v_lshl_add_u32 v2, v1, 4, v0
	v_lshrrev_b32_e32 v4, 3, v2
	v_lshrrev_b32_e32 v6, 5, v2
	v_and_b32_e32 v7, 31, v2
	v_add_u32_e32 v2, s10, v4
	v_and_b32_e32 v5, 7, v0
	v_ashrrev_i32_e32 v3, 31, v2
	v_lshlrev_b32_e32 v8, 3, v7
	v_mad_u64_u32 v[2:3], s[0:1], s24, v5, v[2:3]
	v_lshl_or_b32 v14, v6, 8, v8
	v_lshlrev_b32_e32 v8, 3, v5
	v_lshl_or_b32 v4, v4, 6, v8
	v_add_u32_e32 v15, 0x800, v4
	v_mov_b32_e32 v4, 0x800
	v_lshl_add_u32 v17, v1, 6, v4
	v_mad_u64_u32 v[3:4], s[0:1], s25, v5, v[3:4]
	s_mul_i32 s2, s27, s8
	s_mul_hi_u32 s3, s26, s8
	s_add_i32 s1, s3, s2
	s_mul_i32 s0, s26, s8
	s_lshl_b64 s[0:1], s[0:1], 3
	v_lshlrev_b64 v[2:3], 3, v[2:3]
	s_add_u32 s0, s22, s0
	s_addc_u32 s1, s23, s1
	v_mov_b32_e32 v5, s1
	v_add_co_u32_e32 v4, vcc, s0, v2
	v_add_u32_e32 v2, s9, v7
	v_addc_co_u32_e32 v5, vcc, v5, v3, vcc
	v_ashrrev_i32_e32 v3, 31, v2
	v_mad_u64_u32 v[2:3], s[0:1], s18, v6, v[2:3]
	s_mul_i32 s6, s21, s8
	s_mul_hi_u32 s7, s20, s8
	v_mad_u64_u32 v[6:7], s[2:3], s19, v6, v[3:4]
	s_add_i32 s3, s7, s6
	s_mul_i32 s2, s20, s8
	s_lshl_b64 s[0:1], s[24:25], 6
	s_lshl_b64 s[2:3], s[2:3], 3
	v_mov_b32_e32 v3, v6
	v_lshlrev_b64 v[2:3], 3, v[2:3]
	s_add_u32 s2, s16, s2
	s_addc_u32 s3, s17, s3
	v_mov_b32_e32 v6, s3
	v_add_co_u32_e32 v8, vcc, s2, v2
	v_addc_co_u32_e32 v9, vcc, v6, v3, vcc
	s_lshl_b64 s[2:3], s[18:19], 6
	v_mov_b32_e32 v2, 0
	v_mov_b32_e32 v6, 0
	;; [unrolled: 1-line block ×4, first 2 shown]
	v_lshlrev_b32_e32 v16, 3, v0
	v_mov_b32_e32 v3, 0
	s_mov_b64 s[6:7], 0
	v_mov_b32_e32 v18, s1
	v_mov_b32_e32 v7, 0
	v_mov_b32_e32 v11, 0
	v_mov_b32_e32 v13, 0
	v_mov_b32_e32 v19, s3
.LBB1035_2:                             ; =>This Inner Loop Header: Depth=1
	global_load_dwordx2 v[20:21], v[8:9], off
	global_load_dwordx2 v[22:23], v[4:5], off
	s_add_u32 s6, s6, 8
	v_add_co_u32_e32 v4, vcc, s0, v4
	v_addc_co_u32_e32 v5, vcc, v5, v18, vcc
	s_addc_u32 s7, s7, 0
	v_add_co_u32_e32 v8, vcc, s2, v8
	v_addc_co_u32_e32 v9, vcc, v9, v19, vcc
	s_waitcnt vmcnt(1)
	ds_write_b64 v14, v[20:21]
	s_waitcnt vmcnt(0)
	ds_write_b64 v15, v[22:23]
	s_waitcnt lgkmcnt(0)
	s_barrier
	ds_read2_b64 v[20:23], v16 offset1:16
	ds_read_b128 v[24:27], v17
	ds_read_b128 v[28:31], v17 offset:16
	s_waitcnt lgkmcnt(1)
	v_fma_f64 v[36:37], v[20:21], v[24:25], v[12:13]
	v_fma_f64 v[24:25], v[22:23], v[24:25], v[10:11]
	ds_read_b128 v[10:13], v17 offset:1024
	ds_read_b128 v[32:35], v17 offset:1040
	s_waitcnt lgkmcnt(1)
	v_fma_f64 v[6:7], v[20:21], v[10:11], v[6:7]
	v_fma_f64 v[2:3], v[22:23], v[10:11], v[2:3]
	ds_read2_b64 v[20:23], v16 offset0:32 offset1:48
	s_waitcnt lgkmcnt(0)
	v_fma_f64 v[36:37], v[20:21], v[26:27], v[36:37]
	v_fma_f64 v[24:25], v[22:23], v[26:27], v[24:25]
	v_fma_f64 v[6:7], v[20:21], v[12:13], v[6:7]
	v_fma_f64 v[2:3], v[22:23], v[12:13], v[2:3]
	ds_read2_b64 v[10:13], v16 offset0:64 offset1:80
	s_waitcnt lgkmcnt(0)
	v_fma_f64 v[20:21], v[10:11], v[28:29], v[36:37]
	v_fma_f64 v[22:23], v[12:13], v[28:29], v[24:25]
	;; [unrolled: 6-line block ×3, first 2 shown]
	ds_read2_b64 v[20:23], v16 offset0:128 offset1:144
	v_fma_f64 v[6:7], v[10:11], v[34:35], v[6:7]
	v_fma_f64 v[2:3], v[12:13], v[34:35], v[2:3]
	ds_read_b128 v[10:13], v17 offset:32
	ds_read_b128 v[24:27], v17 offset:48
	s_waitcnt lgkmcnt(1)
	v_fma_f64 v[36:37], v[20:21], v[10:11], v[28:29]
	v_fma_f64 v[10:11], v[22:23], v[10:11], v[30:31]
	ds_read_b128 v[28:31], v17 offset:1056
	ds_read_b128 v[32:35], v17 offset:1072
	s_waitcnt lgkmcnt(1)
	v_fma_f64 v[6:7], v[20:21], v[28:29], v[6:7]
	v_fma_f64 v[2:3], v[22:23], v[28:29], v[2:3]
	ds_read2_b64 v[20:23], v16 offset0:160 offset1:176
	s_waitcnt lgkmcnt(0)
	v_fma_f64 v[28:29], v[20:21], v[12:13], v[36:37]
	v_fma_f64 v[36:37], v[22:23], v[12:13], v[10:11]
	;; [unrolled: 1-line block ×4, first 2 shown]
	ds_read2_b64 v[10:13], v16 offset0:192 offset1:208
	ds_read2_b64 v[20:23], v16 offset0:224 offset1:240
	v_mov_b32_e32 v31, s7
	v_mov_b32_e32 v30, s6
	v_cmp_le_u64_e32 vcc, s[12:13], v[30:31]
	s_waitcnt lgkmcnt(1)
	v_fma_f64 v[28:29], v[10:11], v[24:25], v[28:29]
	v_fma_f64 v[24:25], v[12:13], v[24:25], v[36:37]
	;; [unrolled: 1-line block ×4, first 2 shown]
	s_and_b64 vcc, exec, vcc
	s_waitcnt lgkmcnt(0)
	s_barrier
	v_fma_f64 v[12:13], v[20:21], v[26:27], v[28:29]
	v_fma_f64 v[10:11], v[22:23], v[26:27], v[24:25]
	;; [unrolled: 1-line block ×4, first 2 shown]
	s_cbranch_vccz .LBB1035_2
	s_branch .LBB1035_4
.LBB1035_3:
	v_mov_b32_e32 v12, 0
	v_mov_b32_e32 v10, 0
	;; [unrolled: 1-line block ×8, first 2 shown]
.LBB1035_4:
	s_load_dwordx8 s[16:23], s[4:5], 0x48
	s_load_dword s11, s[4:5], 0x0
	v_add_u32_e32 v8, s10, v1
	v_ashrrev_i32_e32 v1, 31, v8
	v_add_u32_e32 v0, s9, v0
	s_waitcnt lgkmcnt(0)
	s_mul_i32 s1, s23, s8
	s_mul_hi_u32 s2, s22, s8
	s_add_i32 s1, s2, s1
	v_mul_lo_u32 v1, s20, v1
	v_mul_lo_u32 v9, s21, v8
	v_mad_u64_u32 v[4:5], s[2:3], s20, v8, 0
	s_mul_i32 s0, s22, s8
	s_lshl_b64 s[0:1], s[0:1], 3
	v_add3_u32 v5, v5, v1, v9
	s_add_u32 s6, s18, s0
	v_lshlrev_b64 v[4:5], 3, v[4:5]
	s_addc_u32 s7, s19, s1
	v_mov_b32_e32 v1, s7
	v_add_co_u32_e32 v9, vcc, s6, v4
	v_addc_co_u32_e32 v14, vcc, v1, v5, vcc
	v_cmp_le_i32_e64 s[0:1], v8, v0
	v_cmp_gt_i32_e32 vcc, s11, v0
	s_and_b64 s[0:1], s[0:1], vcc
	s_and_saveexec_b64 s[2:3], s[0:1]
	s_cbranch_execz .LBB1035_6
; %bb.5:
	v_ashrrev_i32_e32 v1, 31, v0
	v_lshlrev_b64 v[4:5], 3, v[0:1]
	v_add_co_u32_e64 v4, s[0:1], v9, v4
	v_addc_co_u32_e64 v5, s[0:1], v14, v5, s[0:1]
	global_load_dwordx2 v[15:16], v[4:5], off
	s_waitcnt vmcnt(0)
	v_mul_f64 v[15:16], s[16:17], v[15:16]
	v_fma_f64 v[12:13], s[14:15], v[12:13], v[15:16]
	global_store_dwordx2 v[4:5], v[12:13], off
.LBB1035_6:
	s_or_b64 exec, exec, s[2:3]
	v_add_u32_e32 v4, 16, v0
	v_cmp_le_i32_e64 s[2:3], v8, v4
	v_cmp_gt_i32_e64 s[0:1], s11, v4
	s_and_b64 s[2:3], s[2:3], s[0:1]
	s_and_saveexec_b64 s[4:5], s[2:3]
	s_cbranch_execz .LBB1035_8
; %bb.7:
	v_ashrrev_i32_e32 v5, 31, v4
	v_lshlrev_b64 v[12:13], 3, v[4:5]
	v_add_co_u32_e64 v12, s[2:3], v9, v12
	v_addc_co_u32_e64 v13, s[2:3], v14, v13, s[2:3]
	global_load_dwordx2 v[14:15], v[12:13], off
	s_waitcnt vmcnt(0)
	v_mul_f64 v[14:15], s[16:17], v[14:15]
	v_fma_f64 v[9:10], s[14:15], v[10:11], v[14:15]
	global_store_dwordx2 v[12:13], v[9:10], off
.LBB1035_8:
	s_or_b64 exec, exec, s[4:5]
	v_add_u32_e32 v5, 16, v8
	v_ashrrev_i32_e32 v1, 31, v5
	v_mul_lo_u32 v10, s21, v5
	v_mad_u64_u32 v[8:9], s[2:3], s20, v5, 0
	v_mul_lo_u32 v1, s20, v1
	v_add3_u32 v9, v9, v1, v10
	v_lshlrev_b64 v[8:9], 3, v[8:9]
	v_mov_b32_e32 v1, s7
	v_add_co_u32_e64 v8, s[2:3], s6, v8
	v_addc_co_u32_e64 v9, s[2:3], v1, v9, s[2:3]
	v_cmp_le_i32_e64 s[2:3], v5, v0
	s_and_b64 s[4:5], s[2:3], vcc
	s_and_saveexec_b64 s[2:3], s[4:5]
	s_cbranch_execz .LBB1035_10
; %bb.9:
	v_ashrrev_i32_e32 v1, 31, v0
	v_lshlrev_b64 v[0:1], 3, v[0:1]
	v_add_co_u32_e32 v0, vcc, v8, v0
	v_addc_co_u32_e32 v1, vcc, v9, v1, vcc
	global_load_dwordx2 v[10:11], v[0:1], off
	s_waitcnt vmcnt(0)
	v_mul_f64 v[10:11], s[16:17], v[10:11]
	v_fma_f64 v[6:7], s[14:15], v[6:7], v[10:11]
	global_store_dwordx2 v[0:1], v[6:7], off
.LBB1035_10:
	s_or_b64 exec, exec, s[2:3]
	v_cmp_le_i32_e32 vcc, v5, v4
	s_and_b64 s[0:1], vcc, s[0:1]
	s_and_saveexec_b64 s[2:3], s[0:1]
	s_cbranch_execz .LBB1035_12
; %bb.11:
	v_ashrrev_i32_e32 v5, 31, v4
	v_lshlrev_b64 v[0:1], 3, v[4:5]
	v_add_co_u32_e32 v0, vcc, v8, v0
	v_addc_co_u32_e32 v1, vcc, v9, v1, vcc
	global_load_dwordx2 v[4:5], v[0:1], off
	s_waitcnt vmcnt(0)
	v_mul_f64 v[4:5], s[16:17], v[4:5]
	v_fma_f64 v[2:3], s[14:15], v[2:3], v[4:5]
	global_store_dwordx2 v[0:1], v[2:3], off
.LBB1035_12:
	s_endpgm
	.section	.rodata,"a",@progbits
	.p2align	6, 0x0
	.amdhsa_kernel _ZL37rocblas_syrkx_herkx_restricted_kernelIldLi16ELi32ELi8ELb0ELb0ELc78ELc76EKddEviT_T0_PT8_S1_lS4_S1_lS2_PT9_S1_li
		.amdhsa_group_segment_fixed_size 4096
		.amdhsa_private_segment_fixed_size 0
		.amdhsa_kernarg_size 108
		.amdhsa_user_sgpr_count 6
		.amdhsa_user_sgpr_private_segment_buffer 1
		.amdhsa_user_sgpr_dispatch_ptr 0
		.amdhsa_user_sgpr_queue_ptr 0
		.amdhsa_user_sgpr_kernarg_segment_ptr 1
		.amdhsa_user_sgpr_dispatch_id 0
		.amdhsa_user_sgpr_flat_scratch_init 0
		.amdhsa_user_sgpr_private_segment_size 0
		.amdhsa_uses_dynamic_stack 0
		.amdhsa_system_sgpr_private_segment_wavefront_offset 0
		.amdhsa_system_sgpr_workgroup_id_x 1
		.amdhsa_system_sgpr_workgroup_id_y 1
		.amdhsa_system_sgpr_workgroup_id_z 1
		.amdhsa_system_sgpr_workgroup_info 0
		.amdhsa_system_vgpr_workitem_id 1
		.amdhsa_next_free_vgpr 38
		.amdhsa_next_free_sgpr 28
		.amdhsa_reserve_vcc 1
		.amdhsa_reserve_flat_scratch 0
		.amdhsa_float_round_mode_32 0
		.amdhsa_float_round_mode_16_64 0
		.amdhsa_float_denorm_mode_32 3
		.amdhsa_float_denorm_mode_16_64 3
		.amdhsa_dx10_clamp 1
		.amdhsa_ieee_mode 1
		.amdhsa_fp16_overflow 0
		.amdhsa_exception_fp_ieee_invalid_op 0
		.amdhsa_exception_fp_denorm_src 0
		.amdhsa_exception_fp_ieee_div_zero 0
		.amdhsa_exception_fp_ieee_overflow 0
		.amdhsa_exception_fp_ieee_underflow 0
		.amdhsa_exception_fp_ieee_inexact 0
		.amdhsa_exception_int_div_zero 0
	.end_amdhsa_kernel
	.section	.text._ZL37rocblas_syrkx_herkx_restricted_kernelIldLi16ELi32ELi8ELb0ELb0ELc78ELc76EKddEviT_T0_PT8_S1_lS4_S1_lS2_PT9_S1_li,"axG",@progbits,_ZL37rocblas_syrkx_herkx_restricted_kernelIldLi16ELi32ELi8ELb0ELb0ELc78ELc76EKddEviT_T0_PT8_S1_lS4_S1_lS2_PT9_S1_li,comdat
.Lfunc_end1035:
	.size	_ZL37rocblas_syrkx_herkx_restricted_kernelIldLi16ELi32ELi8ELb0ELb0ELc78ELc76EKddEviT_T0_PT8_S1_lS4_S1_lS2_PT9_S1_li, .Lfunc_end1035-_ZL37rocblas_syrkx_herkx_restricted_kernelIldLi16ELi32ELi8ELb0ELb0ELc78ELc76EKddEviT_T0_PT8_S1_lS4_S1_lS2_PT9_S1_li
                                        ; -- End function
	.set _ZL37rocblas_syrkx_herkx_restricted_kernelIldLi16ELi32ELi8ELb0ELb0ELc78ELc76EKddEviT_T0_PT8_S1_lS4_S1_lS2_PT9_S1_li.num_vgpr, 38
	.set _ZL37rocblas_syrkx_herkx_restricted_kernelIldLi16ELi32ELi8ELb0ELb0ELc78ELc76EKddEviT_T0_PT8_S1_lS4_S1_lS2_PT9_S1_li.num_agpr, 0
	.set _ZL37rocblas_syrkx_herkx_restricted_kernelIldLi16ELi32ELi8ELb0ELb0ELc78ELc76EKddEviT_T0_PT8_S1_lS4_S1_lS2_PT9_S1_li.numbered_sgpr, 28
	.set _ZL37rocblas_syrkx_herkx_restricted_kernelIldLi16ELi32ELi8ELb0ELb0ELc78ELc76EKddEviT_T0_PT8_S1_lS4_S1_lS2_PT9_S1_li.num_named_barrier, 0
	.set _ZL37rocblas_syrkx_herkx_restricted_kernelIldLi16ELi32ELi8ELb0ELb0ELc78ELc76EKddEviT_T0_PT8_S1_lS4_S1_lS2_PT9_S1_li.private_seg_size, 0
	.set _ZL37rocblas_syrkx_herkx_restricted_kernelIldLi16ELi32ELi8ELb0ELb0ELc78ELc76EKddEviT_T0_PT8_S1_lS4_S1_lS2_PT9_S1_li.uses_vcc, 1
	.set _ZL37rocblas_syrkx_herkx_restricted_kernelIldLi16ELi32ELi8ELb0ELb0ELc78ELc76EKddEviT_T0_PT8_S1_lS4_S1_lS2_PT9_S1_li.uses_flat_scratch, 0
	.set _ZL37rocblas_syrkx_herkx_restricted_kernelIldLi16ELi32ELi8ELb0ELb0ELc78ELc76EKddEviT_T0_PT8_S1_lS4_S1_lS2_PT9_S1_li.has_dyn_sized_stack, 0
	.set _ZL37rocblas_syrkx_herkx_restricted_kernelIldLi16ELi32ELi8ELb0ELb0ELc78ELc76EKddEviT_T0_PT8_S1_lS4_S1_lS2_PT9_S1_li.has_recursion, 0
	.set _ZL37rocblas_syrkx_herkx_restricted_kernelIldLi16ELi32ELi8ELb0ELb0ELc78ELc76EKddEviT_T0_PT8_S1_lS4_S1_lS2_PT9_S1_li.has_indirect_call, 0
	.section	.AMDGPU.csdata,"",@progbits
; Kernel info:
; codeLenInByte = 1396
; TotalNumSgprs: 32
; NumVgprs: 38
; ScratchSize: 0
; MemoryBound: 0
; FloatMode: 240
; IeeeMode: 1
; LDSByteSize: 4096 bytes/workgroup (compile time only)
; SGPRBlocks: 3
; VGPRBlocks: 9
; NumSGPRsForWavesPerEU: 32
; NumVGPRsForWavesPerEU: 38
; Occupancy: 6
; WaveLimiterHint : 1
; COMPUTE_PGM_RSRC2:SCRATCH_EN: 0
; COMPUTE_PGM_RSRC2:USER_SGPR: 6
; COMPUTE_PGM_RSRC2:TRAP_HANDLER: 0
; COMPUTE_PGM_RSRC2:TGID_X_EN: 1
; COMPUTE_PGM_RSRC2:TGID_Y_EN: 1
; COMPUTE_PGM_RSRC2:TGID_Z_EN: 1
; COMPUTE_PGM_RSRC2:TIDIG_COMP_CNT: 1
	.section	.text._ZL37rocblas_syrkx_herkx_restricted_kernelIldLi16ELi32ELi8ELb0ELb0ELc84ELc85EKddEviT_T0_PT8_S1_lS4_S1_lS2_PT9_S1_li,"axG",@progbits,_ZL37rocblas_syrkx_herkx_restricted_kernelIldLi16ELi32ELi8ELb0ELb0ELc84ELc85EKddEviT_T0_PT8_S1_lS4_S1_lS2_PT9_S1_li,comdat
	.globl	_ZL37rocblas_syrkx_herkx_restricted_kernelIldLi16ELi32ELi8ELb0ELb0ELc84ELc85EKddEviT_T0_PT8_S1_lS4_S1_lS2_PT9_S1_li ; -- Begin function _ZL37rocblas_syrkx_herkx_restricted_kernelIldLi16ELi32ELi8ELb0ELb0ELc84ELc85EKddEviT_T0_PT8_S1_lS4_S1_lS2_PT9_S1_li
	.p2align	8
	.type	_ZL37rocblas_syrkx_herkx_restricted_kernelIldLi16ELi32ELi8ELb0ELb0ELc84ELc85EKddEviT_T0_PT8_S1_lS4_S1_lS2_PT9_S1_li,@function
_ZL37rocblas_syrkx_herkx_restricted_kernelIldLi16ELi32ELi8ELb0ELb0ELc84ELc85EKddEviT_T0_PT8_S1_lS4_S1_lS2_PT9_S1_li: ; @_ZL37rocblas_syrkx_herkx_restricted_kernelIldLi16ELi32ELi8ELb0ELb0ELc84ELc85EKddEviT_T0_PT8_S1_lS4_S1_lS2_PT9_S1_li
; %bb.0:
	s_load_dwordx16 s[12:27], s[4:5], 0x8
	s_lshl_b32 s2, s6, 5
	s_lshl_b32 s3, s7, 5
	s_waitcnt lgkmcnt(0)
	v_cmp_lt_i64_e64 s[0:1], s[12:13], 1
	s_and_b64 vcc, exec, s[0:1]
	s_cbranch_vccnz .LBB1036_3
; %bb.1:
	v_lshl_add_u32 v3, v1, 4, v0
	v_and_b32_e32 v7, 31, v3
	v_lshrrev_b32_e32 v2, 5, v3
	v_and_b32_e32 v4, 7, v0
	v_lshlrev_b32_e32 v10, 3, v7
	v_lshrrev_b32_e32 v6, 3, v3
	v_lshl_or_b32 v14, v2, 8, v10
	v_lshlrev_b32_e32 v10, 3, v4
	v_add_u32_e32 v8, s3, v6
	v_lshl_or_b32 v6, v6, 6, v10
	v_ashrrev_i32_e32 v9, 31, v8
	v_mov_b32_e32 v5, 0
	v_add_u32_e32 v15, 0x800, v6
	v_mov_b32_e32 v6, 0x800
	v_mov_b32_e32 v3, v5
	v_lshl_add_u32 v17, v1, 6, v6
	v_mul_lo_u32 v6, s24, v9
	v_mul_lo_u32 v9, s25, v8
	v_mad_u64_u32 v[4:5], s[0:1], s24, v8, v[4:5]
	s_mul_i32 s6, s27, s8
	s_mul_hi_u32 s7, s26, s8
	s_add_i32 s1, s7, s6
	s_mul_i32 s0, s26, s8
	s_lshl_b64 s[0:1], s[0:1], 3
	v_add3_u32 v5, v9, v5, v6
	v_lshlrev_b64 v[4:5], 3, v[4:5]
	s_add_u32 s0, s22, s0
	s_addc_u32 s1, s23, s1
	v_mov_b32_e32 v6, s1
	v_add_co_u32_e32 v4, vcc, s0, v4
	v_addc_co_u32_e32 v5, vcc, v6, v5, vcc
	v_add_u32_e32 v6, s2, v7
	v_ashrrev_i32_e32 v7, 31, v6
	v_mul_lo_u32 v7, s18, v7
	v_mad_u64_u32 v[2:3], s[0:1], s18, v6, v[2:3]
	v_mul_lo_u32 v6, s19, v6
	s_mul_i32 s6, s21, s8
	s_mul_hi_u32 s7, s20, s8
	s_add_i32 s1, s7, s6
	s_mul_i32 s0, s20, s8
	s_lshl_b64 s[0:1], s[0:1], 3
	v_add3_u32 v3, v6, v3, v7
	v_lshlrev_b64 v[2:3], 3, v[2:3]
	s_add_u32 s0, s16, s0
	s_addc_u32 s1, s17, s1
	v_mov_b32_e32 v6, s1
	v_add_co_u32_e32 v8, vcc, s0, v2
	v_addc_co_u32_e32 v9, vcc, v6, v3, vcc
	v_mov_b32_e32 v2, 0
	v_mov_b32_e32 v6, 0
	;; [unrolled: 1-line block ×4, first 2 shown]
	v_lshlrev_b32_e32 v16, 3, v0
	v_mov_b32_e32 v3, 0
	v_mov_b32_e32 v7, 0
	;; [unrolled: 1-line block ×4, first 2 shown]
	s_mov_b64 s[0:1], 0
.LBB1036_2:                             ; =>This Inner Loop Header: Depth=1
	global_load_dwordx2 v[18:19], v[8:9], off
	global_load_dwordx2 v[20:21], v[4:5], off
	s_add_u32 s0, s0, 8
	v_add_co_u32_e32 v4, vcc, 64, v4
	v_addc_co_u32_e32 v5, vcc, 0, v5, vcc
	s_addc_u32 s1, s1, 0
	v_add_co_u32_e32 v8, vcc, 64, v8
	v_addc_co_u32_e32 v9, vcc, 0, v9, vcc
	s_waitcnt vmcnt(1)
	ds_write_b64 v14, v[18:19]
	s_waitcnt vmcnt(0)
	ds_write_b64 v15, v[20:21]
	s_waitcnt lgkmcnt(0)
	s_barrier
	ds_read2_b64 v[18:21], v16 offset1:16
	ds_read_b128 v[22:25], v17
	ds_read_b128 v[26:29], v17 offset:1024
	ds_read_b128 v[30:33], v17 offset:16
	s_waitcnt lgkmcnt(2)
	v_fma_f64 v[34:35], v[18:19], v[22:23], v[12:13]
	v_fma_f64 v[22:23], v[20:21], v[22:23], v[10:11]
	s_waitcnt lgkmcnt(1)
	v_fma_f64 v[6:7], v[18:19], v[26:27], v[6:7]
	v_fma_f64 v[2:3], v[20:21], v[26:27], v[2:3]
	ds_read2_b64 v[18:21], v16 offset0:32 offset1:48
	ds_read_b128 v[10:13], v17 offset:1040
	s_waitcnt lgkmcnt(1)
	v_fma_f64 v[26:27], v[18:19], v[24:25], v[34:35]
	v_fma_f64 v[34:35], v[20:21], v[24:25], v[22:23]
	;; [unrolled: 1-line block ×4, first 2 shown]
	ds_read2_b64 v[18:21], v16 offset0:64 offset1:80
	ds_read2_b64 v[22:25], v16 offset0:96 offset1:112
	s_waitcnt lgkmcnt(1)
	v_fma_f64 v[26:27], v[18:19], v[30:31], v[26:27]
	v_fma_f64 v[28:29], v[20:21], v[30:31], v[34:35]
	;; [unrolled: 1-line block ×4, first 2 shown]
	ds_read2_b64 v[18:21], v16 offset0:128 offset1:144
	s_waitcnt lgkmcnt(1)
	v_fma_f64 v[30:31], v[22:23], v[32:33], v[26:27]
	v_fma_f64 v[32:33], v[24:25], v[32:33], v[28:29]
	v_fma_f64 v[6:7], v[22:23], v[12:13], v[6:7]
	v_fma_f64 v[2:3], v[24:25], v[12:13], v[2:3]
	ds_read_b128 v[26:29], v17 offset:32
	ds_read_b128 v[10:13], v17 offset:1056
	;; [unrolled: 1-line block ×3, first 2 shown]
	s_waitcnt lgkmcnt(2)
	v_fma_f64 v[34:35], v[18:19], v[26:27], v[30:31]
	v_fma_f64 v[26:27], v[20:21], v[26:27], v[32:33]
	s_waitcnt lgkmcnt(1)
	v_fma_f64 v[6:7], v[18:19], v[10:11], v[6:7]
	v_fma_f64 v[2:3], v[20:21], v[10:11], v[2:3]
	ds_read2_b64 v[18:21], v16 offset0:160 offset1:176
	ds_read_b128 v[30:33], v17 offset:1072
	s_waitcnt lgkmcnt(1)
	v_fma_f64 v[34:35], v[18:19], v[28:29], v[34:35]
	v_fma_f64 v[26:27], v[20:21], v[28:29], v[26:27]
	;; [unrolled: 1-line block ×4, first 2 shown]
	ds_read2_b64 v[10:13], v16 offset0:192 offset1:208
	ds_read2_b64 v[18:21], v16 offset0:224 offset1:240
	v_mov_b32_e32 v29, s1
	v_mov_b32_e32 v28, s0
	v_cmp_le_u64_e32 vcc, s[12:13], v[28:29]
	s_waitcnt lgkmcnt(1)
	v_fma_f64 v[34:35], v[10:11], v[22:23], v[34:35]
	v_fma_f64 v[22:23], v[12:13], v[22:23], v[26:27]
	;; [unrolled: 1-line block ×4, first 2 shown]
	s_and_b64 vcc, exec, vcc
	s_waitcnt lgkmcnt(0)
	s_barrier
	v_fma_f64 v[12:13], v[18:19], v[24:25], v[34:35]
	v_fma_f64 v[10:11], v[20:21], v[24:25], v[22:23]
	;; [unrolled: 1-line block ×4, first 2 shown]
	s_cbranch_vccz .LBB1036_2
	s_branch .LBB1036_4
.LBB1036_3:
	v_mov_b32_e32 v12, 0
	v_mov_b32_e32 v10, 0
	;; [unrolled: 1-line block ×8, first 2 shown]
.LBB1036_4:
	s_load_dwordx8 s[16:23], s[4:5], 0x48
	s_load_dword s6, s[4:5], 0x0
	v_add_u32_e32 v8, s3, v1
	v_ashrrev_i32_e32 v1, 31, v8
	v_add_u32_e32 v0, s2, v0
	s_waitcnt lgkmcnt(0)
	s_mul_i32 s1, s23, s8
	s_mul_hi_u32 s3, s22, s8
	s_mul_i32 s0, s22, s8
	v_mul_lo_u32 v1, s20, v1
	v_mul_lo_u32 v9, s21, v8
	v_mad_u64_u32 v[4:5], s[8:9], s20, v8, 0
	s_add_i32 s1, s3, s1
	s_lshl_b64 s[0:1], s[0:1], 3
	v_add3_u32 v5, v5, v1, v9
	s_add_u32 s4, s18, s0
	v_lshlrev_b64 v[4:5], 3, v[4:5]
	s_addc_u32 s5, s19, s1
	v_mov_b32_e32 v1, s5
	v_add_co_u32_e64 v9, s[0:1], s4, v4
	v_addc_co_u32_e64 v14, s[0:1], v1, v5, s[0:1]
	v_cmp_gt_i32_e32 vcc, s6, v8
	v_cmp_le_i32_e64 s[0:1], v0, v8
	s_and_b64 s[0:1], vcc, s[0:1]
	s_and_saveexec_b64 s[2:3], s[0:1]
	s_cbranch_execz .LBB1036_6
; %bb.5:
	v_ashrrev_i32_e32 v1, 31, v0
	v_lshlrev_b64 v[4:5], 3, v[0:1]
	v_add_co_u32_e64 v4, s[0:1], v9, v4
	v_addc_co_u32_e64 v5, s[0:1], v14, v5, s[0:1]
	global_load_dwordx2 v[15:16], v[4:5], off
	s_waitcnt vmcnt(0)
	v_mul_f64 v[15:16], s[16:17], v[15:16]
	v_fma_f64 v[12:13], s[14:15], v[12:13], v[15:16]
	global_store_dwordx2 v[4:5], v[12:13], off
.LBB1036_6:
	s_or_b64 exec, exec, s[2:3]
	v_add_u32_e32 v4, 16, v0
	v_cmp_le_i32_e64 s[0:1], v4, v8
	s_and_b64 s[2:3], vcc, s[0:1]
	s_and_saveexec_b64 s[0:1], s[2:3]
	s_cbranch_execz .LBB1036_8
; %bb.7:
	v_ashrrev_i32_e32 v5, 31, v4
	v_lshlrev_b64 v[12:13], 3, v[4:5]
	v_add_co_u32_e32 v12, vcc, v9, v12
	v_addc_co_u32_e32 v13, vcc, v14, v13, vcc
	global_load_dwordx2 v[14:15], v[12:13], off
	s_waitcnt vmcnt(0)
	v_mul_f64 v[14:15], s[16:17], v[14:15]
	v_fma_f64 v[9:10], s[14:15], v[10:11], v[14:15]
	global_store_dwordx2 v[12:13], v[9:10], off
.LBB1036_8:
	s_or_b64 exec, exec, s[0:1]
	v_add_u32_e32 v5, 16, v8
	v_ashrrev_i32_e32 v1, 31, v5
	v_mul_lo_u32 v1, s20, v1
	v_mul_lo_u32 v10, s21, v5
	v_mad_u64_u32 v[8:9], s[0:1], s20, v5, 0
	v_cmp_gt_i32_e32 vcc, s6, v5
	v_add3_u32 v9, v9, v1, v10
	v_lshlrev_b64 v[8:9], 3, v[8:9]
	v_mov_b32_e32 v1, s5
	v_add_co_u32_e64 v8, s[0:1], s4, v8
	v_addc_co_u32_e64 v9, s[0:1], v1, v9, s[0:1]
	v_cmp_le_i32_e64 s[0:1], v0, v5
	s_and_b64 s[0:1], vcc, s[0:1]
	s_and_saveexec_b64 s[2:3], s[0:1]
	s_cbranch_execz .LBB1036_10
; %bb.9:
	v_ashrrev_i32_e32 v1, 31, v0
	v_lshlrev_b64 v[0:1], 3, v[0:1]
	v_add_co_u32_e64 v0, s[0:1], v8, v0
	v_addc_co_u32_e64 v1, s[0:1], v9, v1, s[0:1]
	global_load_dwordx2 v[10:11], v[0:1], off
	s_waitcnt vmcnt(0)
	v_mul_f64 v[10:11], s[16:17], v[10:11]
	v_fma_f64 v[6:7], s[14:15], v[6:7], v[10:11]
	global_store_dwordx2 v[0:1], v[6:7], off
.LBB1036_10:
	s_or_b64 exec, exec, s[2:3]
	v_cmp_le_i32_e64 s[0:1], v4, v5
	s_and_b64 s[0:1], vcc, s[0:1]
	s_and_saveexec_b64 s[2:3], s[0:1]
	s_cbranch_execz .LBB1036_12
; %bb.11:
	v_ashrrev_i32_e32 v5, 31, v4
	v_lshlrev_b64 v[0:1], 3, v[4:5]
	v_add_co_u32_e32 v0, vcc, v8, v0
	v_addc_co_u32_e32 v1, vcc, v9, v1, vcc
	global_load_dwordx2 v[4:5], v[0:1], off
	s_waitcnt vmcnt(0)
	v_mul_f64 v[4:5], s[16:17], v[4:5]
	v_fma_f64 v[2:3], s[14:15], v[2:3], v[4:5]
	global_store_dwordx2 v[0:1], v[2:3], off
.LBB1036_12:
	s_endpgm
	.section	.rodata,"a",@progbits
	.p2align	6, 0x0
	.amdhsa_kernel _ZL37rocblas_syrkx_herkx_restricted_kernelIldLi16ELi32ELi8ELb0ELb0ELc84ELc85EKddEviT_T0_PT8_S1_lS4_S1_lS2_PT9_S1_li
		.amdhsa_group_segment_fixed_size 4096
		.amdhsa_private_segment_fixed_size 0
		.amdhsa_kernarg_size 108
		.amdhsa_user_sgpr_count 6
		.amdhsa_user_sgpr_private_segment_buffer 1
		.amdhsa_user_sgpr_dispatch_ptr 0
		.amdhsa_user_sgpr_queue_ptr 0
		.amdhsa_user_sgpr_kernarg_segment_ptr 1
		.amdhsa_user_sgpr_dispatch_id 0
		.amdhsa_user_sgpr_flat_scratch_init 0
		.amdhsa_user_sgpr_private_segment_size 0
		.amdhsa_uses_dynamic_stack 0
		.amdhsa_system_sgpr_private_segment_wavefront_offset 0
		.amdhsa_system_sgpr_workgroup_id_x 1
		.amdhsa_system_sgpr_workgroup_id_y 1
		.amdhsa_system_sgpr_workgroup_id_z 1
		.amdhsa_system_sgpr_workgroup_info 0
		.amdhsa_system_vgpr_workitem_id 1
		.amdhsa_next_free_vgpr 36
		.amdhsa_next_free_sgpr 28
		.amdhsa_reserve_vcc 1
		.amdhsa_reserve_flat_scratch 0
		.amdhsa_float_round_mode_32 0
		.amdhsa_float_round_mode_16_64 0
		.amdhsa_float_denorm_mode_32 3
		.amdhsa_float_denorm_mode_16_64 3
		.amdhsa_dx10_clamp 1
		.amdhsa_ieee_mode 1
		.amdhsa_fp16_overflow 0
		.amdhsa_exception_fp_ieee_invalid_op 0
		.amdhsa_exception_fp_denorm_src 0
		.amdhsa_exception_fp_ieee_div_zero 0
		.amdhsa_exception_fp_ieee_overflow 0
		.amdhsa_exception_fp_ieee_underflow 0
		.amdhsa_exception_fp_ieee_inexact 0
		.amdhsa_exception_int_div_zero 0
	.end_amdhsa_kernel
	.section	.text._ZL37rocblas_syrkx_herkx_restricted_kernelIldLi16ELi32ELi8ELb0ELb0ELc84ELc85EKddEviT_T0_PT8_S1_lS4_S1_lS2_PT9_S1_li,"axG",@progbits,_ZL37rocblas_syrkx_herkx_restricted_kernelIldLi16ELi32ELi8ELb0ELb0ELc84ELc85EKddEviT_T0_PT8_S1_lS4_S1_lS2_PT9_S1_li,comdat
.Lfunc_end1036:
	.size	_ZL37rocblas_syrkx_herkx_restricted_kernelIldLi16ELi32ELi8ELb0ELb0ELc84ELc85EKddEviT_T0_PT8_S1_lS4_S1_lS2_PT9_S1_li, .Lfunc_end1036-_ZL37rocblas_syrkx_herkx_restricted_kernelIldLi16ELi32ELi8ELb0ELb0ELc84ELc85EKddEviT_T0_PT8_S1_lS4_S1_lS2_PT9_S1_li
                                        ; -- End function
	.set _ZL37rocblas_syrkx_herkx_restricted_kernelIldLi16ELi32ELi8ELb0ELb0ELc84ELc85EKddEviT_T0_PT8_S1_lS4_S1_lS2_PT9_S1_li.num_vgpr, 36
	.set _ZL37rocblas_syrkx_herkx_restricted_kernelIldLi16ELi32ELi8ELb0ELb0ELc84ELc85EKddEviT_T0_PT8_S1_lS4_S1_lS2_PT9_S1_li.num_agpr, 0
	.set _ZL37rocblas_syrkx_herkx_restricted_kernelIldLi16ELi32ELi8ELb0ELb0ELc84ELc85EKddEviT_T0_PT8_S1_lS4_S1_lS2_PT9_S1_li.numbered_sgpr, 28
	.set _ZL37rocblas_syrkx_herkx_restricted_kernelIldLi16ELi32ELi8ELb0ELb0ELc84ELc85EKddEviT_T0_PT8_S1_lS4_S1_lS2_PT9_S1_li.num_named_barrier, 0
	.set _ZL37rocblas_syrkx_herkx_restricted_kernelIldLi16ELi32ELi8ELb0ELb0ELc84ELc85EKddEviT_T0_PT8_S1_lS4_S1_lS2_PT9_S1_li.private_seg_size, 0
	.set _ZL37rocblas_syrkx_herkx_restricted_kernelIldLi16ELi32ELi8ELb0ELb0ELc84ELc85EKddEviT_T0_PT8_S1_lS4_S1_lS2_PT9_S1_li.uses_vcc, 1
	.set _ZL37rocblas_syrkx_herkx_restricted_kernelIldLi16ELi32ELi8ELb0ELb0ELc84ELc85EKddEviT_T0_PT8_S1_lS4_S1_lS2_PT9_S1_li.uses_flat_scratch, 0
	.set _ZL37rocblas_syrkx_herkx_restricted_kernelIldLi16ELi32ELi8ELb0ELb0ELc84ELc85EKddEviT_T0_PT8_S1_lS4_S1_lS2_PT9_S1_li.has_dyn_sized_stack, 0
	.set _ZL37rocblas_syrkx_herkx_restricted_kernelIldLi16ELi32ELi8ELb0ELb0ELc84ELc85EKddEviT_T0_PT8_S1_lS4_S1_lS2_PT9_S1_li.has_recursion, 0
	.set _ZL37rocblas_syrkx_herkx_restricted_kernelIldLi16ELi32ELi8ELb0ELb0ELc84ELc85EKddEviT_T0_PT8_S1_lS4_S1_lS2_PT9_S1_li.has_indirect_call, 0
	.section	.AMDGPU.csdata,"",@progbits
; Kernel info:
; codeLenInByte = 1424
; TotalNumSgprs: 32
; NumVgprs: 36
; ScratchSize: 0
; MemoryBound: 0
; FloatMode: 240
; IeeeMode: 1
; LDSByteSize: 4096 bytes/workgroup (compile time only)
; SGPRBlocks: 3
; VGPRBlocks: 8
; NumSGPRsForWavesPerEU: 32
; NumVGPRsForWavesPerEU: 36
; Occupancy: 7
; WaveLimiterHint : 1
; COMPUTE_PGM_RSRC2:SCRATCH_EN: 0
; COMPUTE_PGM_RSRC2:USER_SGPR: 6
; COMPUTE_PGM_RSRC2:TRAP_HANDLER: 0
; COMPUTE_PGM_RSRC2:TGID_X_EN: 1
; COMPUTE_PGM_RSRC2:TGID_Y_EN: 1
; COMPUTE_PGM_RSRC2:TGID_Z_EN: 1
; COMPUTE_PGM_RSRC2:TIDIG_COMP_CNT: 1
	.section	.text._ZL37rocblas_syrkx_herkx_restricted_kernelIldLi16ELi32ELi8ELb0ELb0ELc67ELc85EKddEviT_T0_PT8_S1_lS4_S1_lS2_PT9_S1_li,"axG",@progbits,_ZL37rocblas_syrkx_herkx_restricted_kernelIldLi16ELi32ELi8ELb0ELb0ELc67ELc85EKddEviT_T0_PT8_S1_lS4_S1_lS2_PT9_S1_li,comdat
	.globl	_ZL37rocblas_syrkx_herkx_restricted_kernelIldLi16ELi32ELi8ELb0ELb0ELc67ELc85EKddEviT_T0_PT8_S1_lS4_S1_lS2_PT9_S1_li ; -- Begin function _ZL37rocblas_syrkx_herkx_restricted_kernelIldLi16ELi32ELi8ELb0ELb0ELc67ELc85EKddEviT_T0_PT8_S1_lS4_S1_lS2_PT9_S1_li
	.p2align	8
	.type	_ZL37rocblas_syrkx_herkx_restricted_kernelIldLi16ELi32ELi8ELb0ELb0ELc67ELc85EKddEviT_T0_PT8_S1_lS4_S1_lS2_PT9_S1_li,@function
_ZL37rocblas_syrkx_herkx_restricted_kernelIldLi16ELi32ELi8ELb0ELb0ELc67ELc85EKddEviT_T0_PT8_S1_lS4_S1_lS2_PT9_S1_li: ; @_ZL37rocblas_syrkx_herkx_restricted_kernelIldLi16ELi32ELi8ELb0ELb0ELc67ELc85EKddEviT_T0_PT8_S1_lS4_S1_lS2_PT9_S1_li
; %bb.0:
	s_load_dwordx16 s[12:27], s[4:5], 0x8
	s_lshl_b32 s2, s6, 5
	s_lshl_b32 s3, s7, 5
	s_waitcnt lgkmcnt(0)
	v_cmp_lt_i64_e64 s[0:1], s[12:13], 1
	s_and_b64 vcc, exec, s[0:1]
	s_cbranch_vccnz .LBB1037_3
; %bb.1:
	v_lshl_add_u32 v3, v1, 4, v0
	v_and_b32_e32 v7, 31, v3
	v_lshrrev_b32_e32 v2, 5, v3
	v_and_b32_e32 v4, 7, v0
	v_lshlrev_b32_e32 v10, 3, v7
	v_lshrrev_b32_e32 v6, 3, v3
	v_lshl_or_b32 v14, v2, 8, v10
	v_lshlrev_b32_e32 v10, 3, v4
	v_add_u32_e32 v8, s3, v6
	v_lshl_or_b32 v6, v6, 6, v10
	v_ashrrev_i32_e32 v9, 31, v8
	v_mov_b32_e32 v5, 0
	v_add_u32_e32 v15, 0x800, v6
	v_mov_b32_e32 v6, 0x800
	v_mov_b32_e32 v3, v5
	v_lshl_add_u32 v17, v1, 6, v6
	v_mul_lo_u32 v6, s24, v9
	v_mul_lo_u32 v9, s25, v8
	v_mad_u64_u32 v[4:5], s[0:1], s24, v8, v[4:5]
	s_mul_i32 s6, s27, s8
	s_mul_hi_u32 s7, s26, s8
	s_add_i32 s1, s7, s6
	s_mul_i32 s0, s26, s8
	s_lshl_b64 s[0:1], s[0:1], 3
	v_add3_u32 v5, v9, v5, v6
	v_lshlrev_b64 v[4:5], 3, v[4:5]
	s_add_u32 s0, s22, s0
	s_addc_u32 s1, s23, s1
	v_mov_b32_e32 v6, s1
	v_add_co_u32_e32 v4, vcc, s0, v4
	v_addc_co_u32_e32 v5, vcc, v6, v5, vcc
	v_add_u32_e32 v6, s2, v7
	v_ashrrev_i32_e32 v7, 31, v6
	v_mul_lo_u32 v7, s18, v7
	v_mad_u64_u32 v[2:3], s[0:1], s18, v6, v[2:3]
	v_mul_lo_u32 v6, s19, v6
	s_mul_i32 s6, s21, s8
	s_mul_hi_u32 s7, s20, s8
	s_add_i32 s1, s7, s6
	s_mul_i32 s0, s20, s8
	s_lshl_b64 s[0:1], s[0:1], 3
	v_add3_u32 v3, v6, v3, v7
	v_lshlrev_b64 v[2:3], 3, v[2:3]
	s_add_u32 s0, s16, s0
	s_addc_u32 s1, s17, s1
	v_mov_b32_e32 v6, s1
	v_add_co_u32_e32 v8, vcc, s0, v2
	v_addc_co_u32_e32 v9, vcc, v6, v3, vcc
	v_mov_b32_e32 v2, 0
	v_mov_b32_e32 v6, 0
	v_mov_b32_e32 v10, 0
	v_mov_b32_e32 v12, 0
	v_lshlrev_b32_e32 v16, 3, v0
	v_mov_b32_e32 v3, 0
	v_mov_b32_e32 v7, 0
	;; [unrolled: 1-line block ×4, first 2 shown]
	s_mov_b64 s[0:1], 0
.LBB1037_2:                             ; =>This Inner Loop Header: Depth=1
	global_load_dwordx2 v[18:19], v[8:9], off
	global_load_dwordx2 v[20:21], v[4:5], off
	s_add_u32 s0, s0, 8
	v_add_co_u32_e32 v4, vcc, 64, v4
	v_addc_co_u32_e32 v5, vcc, 0, v5, vcc
	s_addc_u32 s1, s1, 0
	v_add_co_u32_e32 v8, vcc, 64, v8
	v_addc_co_u32_e32 v9, vcc, 0, v9, vcc
	s_waitcnt vmcnt(1)
	ds_write_b64 v14, v[18:19]
	s_waitcnt vmcnt(0)
	ds_write_b64 v15, v[20:21]
	s_waitcnt lgkmcnt(0)
	s_barrier
	ds_read2_b64 v[18:21], v16 offset1:16
	ds_read_b128 v[22:25], v17
	ds_read_b128 v[26:29], v17 offset:1024
	ds_read_b128 v[30:33], v17 offset:16
	s_waitcnt lgkmcnt(2)
	v_fma_f64 v[34:35], v[18:19], v[22:23], v[12:13]
	v_fma_f64 v[22:23], v[20:21], v[22:23], v[10:11]
	s_waitcnt lgkmcnt(1)
	v_fma_f64 v[6:7], v[18:19], v[26:27], v[6:7]
	v_fma_f64 v[2:3], v[20:21], v[26:27], v[2:3]
	ds_read2_b64 v[18:21], v16 offset0:32 offset1:48
	ds_read_b128 v[10:13], v17 offset:1040
	s_waitcnt lgkmcnt(1)
	v_fma_f64 v[26:27], v[18:19], v[24:25], v[34:35]
	v_fma_f64 v[34:35], v[20:21], v[24:25], v[22:23]
	;; [unrolled: 1-line block ×4, first 2 shown]
	ds_read2_b64 v[18:21], v16 offset0:64 offset1:80
	ds_read2_b64 v[22:25], v16 offset0:96 offset1:112
	s_waitcnt lgkmcnt(1)
	v_fma_f64 v[26:27], v[18:19], v[30:31], v[26:27]
	v_fma_f64 v[28:29], v[20:21], v[30:31], v[34:35]
	;; [unrolled: 1-line block ×4, first 2 shown]
	ds_read2_b64 v[18:21], v16 offset0:128 offset1:144
	s_waitcnt lgkmcnt(1)
	v_fma_f64 v[30:31], v[22:23], v[32:33], v[26:27]
	v_fma_f64 v[32:33], v[24:25], v[32:33], v[28:29]
	;; [unrolled: 1-line block ×4, first 2 shown]
	ds_read_b128 v[26:29], v17 offset:32
	ds_read_b128 v[10:13], v17 offset:1056
	;; [unrolled: 1-line block ×3, first 2 shown]
	s_waitcnt lgkmcnt(2)
	v_fma_f64 v[34:35], v[18:19], v[26:27], v[30:31]
	v_fma_f64 v[26:27], v[20:21], v[26:27], v[32:33]
	s_waitcnt lgkmcnt(1)
	v_fma_f64 v[6:7], v[18:19], v[10:11], v[6:7]
	v_fma_f64 v[2:3], v[20:21], v[10:11], v[2:3]
	ds_read2_b64 v[18:21], v16 offset0:160 offset1:176
	ds_read_b128 v[30:33], v17 offset:1072
	s_waitcnt lgkmcnt(1)
	v_fma_f64 v[34:35], v[18:19], v[28:29], v[34:35]
	v_fma_f64 v[26:27], v[20:21], v[28:29], v[26:27]
	;; [unrolled: 1-line block ×4, first 2 shown]
	ds_read2_b64 v[10:13], v16 offset0:192 offset1:208
	ds_read2_b64 v[18:21], v16 offset0:224 offset1:240
	v_mov_b32_e32 v29, s1
	v_mov_b32_e32 v28, s0
	v_cmp_le_u64_e32 vcc, s[12:13], v[28:29]
	s_waitcnt lgkmcnt(1)
	v_fma_f64 v[34:35], v[10:11], v[22:23], v[34:35]
	v_fma_f64 v[22:23], v[12:13], v[22:23], v[26:27]
	;; [unrolled: 1-line block ×4, first 2 shown]
	s_and_b64 vcc, exec, vcc
	s_waitcnt lgkmcnt(0)
	s_barrier
	v_fma_f64 v[12:13], v[18:19], v[24:25], v[34:35]
	v_fma_f64 v[10:11], v[20:21], v[24:25], v[22:23]
	;; [unrolled: 1-line block ×4, first 2 shown]
	s_cbranch_vccz .LBB1037_2
	s_branch .LBB1037_4
.LBB1037_3:
	v_mov_b32_e32 v12, 0
	v_mov_b32_e32 v10, 0
	;; [unrolled: 1-line block ×8, first 2 shown]
.LBB1037_4:
	s_load_dwordx8 s[16:23], s[4:5], 0x48
	s_load_dword s6, s[4:5], 0x0
	v_add_u32_e32 v8, s3, v1
	v_ashrrev_i32_e32 v1, 31, v8
	v_add_u32_e32 v0, s2, v0
	s_waitcnt lgkmcnt(0)
	s_mul_i32 s1, s23, s8
	s_mul_hi_u32 s3, s22, s8
	s_mul_i32 s0, s22, s8
	v_mul_lo_u32 v1, s20, v1
	v_mul_lo_u32 v9, s21, v8
	v_mad_u64_u32 v[4:5], s[8:9], s20, v8, 0
	s_add_i32 s1, s3, s1
	s_lshl_b64 s[0:1], s[0:1], 3
	v_add3_u32 v5, v5, v1, v9
	s_add_u32 s4, s18, s0
	v_lshlrev_b64 v[4:5], 3, v[4:5]
	s_addc_u32 s5, s19, s1
	v_mov_b32_e32 v1, s5
	v_add_co_u32_e64 v9, s[0:1], s4, v4
	v_addc_co_u32_e64 v14, s[0:1], v1, v5, s[0:1]
	v_cmp_gt_i32_e32 vcc, s6, v8
	v_cmp_le_i32_e64 s[0:1], v0, v8
	s_and_b64 s[0:1], vcc, s[0:1]
	s_and_saveexec_b64 s[2:3], s[0:1]
	s_cbranch_execz .LBB1037_6
; %bb.5:
	v_ashrrev_i32_e32 v1, 31, v0
	v_lshlrev_b64 v[4:5], 3, v[0:1]
	v_add_co_u32_e64 v4, s[0:1], v9, v4
	v_addc_co_u32_e64 v5, s[0:1], v14, v5, s[0:1]
	global_load_dwordx2 v[15:16], v[4:5], off
	s_waitcnt vmcnt(0)
	v_mul_f64 v[15:16], s[16:17], v[15:16]
	v_fma_f64 v[12:13], s[14:15], v[12:13], v[15:16]
	global_store_dwordx2 v[4:5], v[12:13], off
.LBB1037_6:
	s_or_b64 exec, exec, s[2:3]
	v_add_u32_e32 v4, 16, v0
	v_cmp_le_i32_e64 s[0:1], v4, v8
	s_and_b64 s[2:3], vcc, s[0:1]
	s_and_saveexec_b64 s[0:1], s[2:3]
	s_cbranch_execz .LBB1037_8
; %bb.7:
	v_ashrrev_i32_e32 v5, 31, v4
	v_lshlrev_b64 v[12:13], 3, v[4:5]
	v_add_co_u32_e32 v12, vcc, v9, v12
	v_addc_co_u32_e32 v13, vcc, v14, v13, vcc
	global_load_dwordx2 v[14:15], v[12:13], off
	s_waitcnt vmcnt(0)
	v_mul_f64 v[14:15], s[16:17], v[14:15]
	v_fma_f64 v[9:10], s[14:15], v[10:11], v[14:15]
	global_store_dwordx2 v[12:13], v[9:10], off
.LBB1037_8:
	s_or_b64 exec, exec, s[0:1]
	v_add_u32_e32 v5, 16, v8
	v_ashrrev_i32_e32 v1, 31, v5
	v_mul_lo_u32 v1, s20, v1
	v_mul_lo_u32 v10, s21, v5
	v_mad_u64_u32 v[8:9], s[0:1], s20, v5, 0
	v_cmp_gt_i32_e32 vcc, s6, v5
	v_add3_u32 v9, v9, v1, v10
	v_lshlrev_b64 v[8:9], 3, v[8:9]
	v_mov_b32_e32 v1, s5
	v_add_co_u32_e64 v8, s[0:1], s4, v8
	v_addc_co_u32_e64 v9, s[0:1], v1, v9, s[0:1]
	v_cmp_le_i32_e64 s[0:1], v0, v5
	s_and_b64 s[0:1], vcc, s[0:1]
	s_and_saveexec_b64 s[2:3], s[0:1]
	s_cbranch_execz .LBB1037_10
; %bb.9:
	v_ashrrev_i32_e32 v1, 31, v0
	v_lshlrev_b64 v[0:1], 3, v[0:1]
	v_add_co_u32_e64 v0, s[0:1], v8, v0
	v_addc_co_u32_e64 v1, s[0:1], v9, v1, s[0:1]
	global_load_dwordx2 v[10:11], v[0:1], off
	s_waitcnt vmcnt(0)
	v_mul_f64 v[10:11], s[16:17], v[10:11]
	v_fma_f64 v[6:7], s[14:15], v[6:7], v[10:11]
	global_store_dwordx2 v[0:1], v[6:7], off
.LBB1037_10:
	s_or_b64 exec, exec, s[2:3]
	v_cmp_le_i32_e64 s[0:1], v4, v5
	s_and_b64 s[0:1], vcc, s[0:1]
	s_and_saveexec_b64 s[2:3], s[0:1]
	s_cbranch_execz .LBB1037_12
; %bb.11:
	v_ashrrev_i32_e32 v5, 31, v4
	v_lshlrev_b64 v[0:1], 3, v[4:5]
	v_add_co_u32_e32 v0, vcc, v8, v0
	v_addc_co_u32_e32 v1, vcc, v9, v1, vcc
	global_load_dwordx2 v[4:5], v[0:1], off
	s_waitcnt vmcnt(0)
	v_mul_f64 v[4:5], s[16:17], v[4:5]
	v_fma_f64 v[2:3], s[14:15], v[2:3], v[4:5]
	global_store_dwordx2 v[0:1], v[2:3], off
.LBB1037_12:
	s_endpgm
	.section	.rodata,"a",@progbits
	.p2align	6, 0x0
	.amdhsa_kernel _ZL37rocblas_syrkx_herkx_restricted_kernelIldLi16ELi32ELi8ELb0ELb0ELc67ELc85EKddEviT_T0_PT8_S1_lS4_S1_lS2_PT9_S1_li
		.amdhsa_group_segment_fixed_size 4096
		.amdhsa_private_segment_fixed_size 0
		.amdhsa_kernarg_size 108
		.amdhsa_user_sgpr_count 6
		.amdhsa_user_sgpr_private_segment_buffer 1
		.amdhsa_user_sgpr_dispatch_ptr 0
		.amdhsa_user_sgpr_queue_ptr 0
		.amdhsa_user_sgpr_kernarg_segment_ptr 1
		.amdhsa_user_sgpr_dispatch_id 0
		.amdhsa_user_sgpr_flat_scratch_init 0
		.amdhsa_user_sgpr_private_segment_size 0
		.amdhsa_uses_dynamic_stack 0
		.amdhsa_system_sgpr_private_segment_wavefront_offset 0
		.amdhsa_system_sgpr_workgroup_id_x 1
		.amdhsa_system_sgpr_workgroup_id_y 1
		.amdhsa_system_sgpr_workgroup_id_z 1
		.amdhsa_system_sgpr_workgroup_info 0
		.amdhsa_system_vgpr_workitem_id 1
		.amdhsa_next_free_vgpr 36
		.amdhsa_next_free_sgpr 28
		.amdhsa_reserve_vcc 1
		.amdhsa_reserve_flat_scratch 0
		.amdhsa_float_round_mode_32 0
		.amdhsa_float_round_mode_16_64 0
		.amdhsa_float_denorm_mode_32 3
		.amdhsa_float_denorm_mode_16_64 3
		.amdhsa_dx10_clamp 1
		.amdhsa_ieee_mode 1
		.amdhsa_fp16_overflow 0
		.amdhsa_exception_fp_ieee_invalid_op 0
		.amdhsa_exception_fp_denorm_src 0
		.amdhsa_exception_fp_ieee_div_zero 0
		.amdhsa_exception_fp_ieee_overflow 0
		.amdhsa_exception_fp_ieee_underflow 0
		.amdhsa_exception_fp_ieee_inexact 0
		.amdhsa_exception_int_div_zero 0
	.end_amdhsa_kernel
	.section	.text._ZL37rocblas_syrkx_herkx_restricted_kernelIldLi16ELi32ELi8ELb0ELb0ELc67ELc85EKddEviT_T0_PT8_S1_lS4_S1_lS2_PT9_S1_li,"axG",@progbits,_ZL37rocblas_syrkx_herkx_restricted_kernelIldLi16ELi32ELi8ELb0ELb0ELc67ELc85EKddEviT_T0_PT8_S1_lS4_S1_lS2_PT9_S1_li,comdat
.Lfunc_end1037:
	.size	_ZL37rocblas_syrkx_herkx_restricted_kernelIldLi16ELi32ELi8ELb0ELb0ELc67ELc85EKddEviT_T0_PT8_S1_lS4_S1_lS2_PT9_S1_li, .Lfunc_end1037-_ZL37rocblas_syrkx_herkx_restricted_kernelIldLi16ELi32ELi8ELb0ELb0ELc67ELc85EKddEviT_T0_PT8_S1_lS4_S1_lS2_PT9_S1_li
                                        ; -- End function
	.set _ZL37rocblas_syrkx_herkx_restricted_kernelIldLi16ELi32ELi8ELb0ELb0ELc67ELc85EKddEviT_T0_PT8_S1_lS4_S1_lS2_PT9_S1_li.num_vgpr, 36
	.set _ZL37rocblas_syrkx_herkx_restricted_kernelIldLi16ELi32ELi8ELb0ELb0ELc67ELc85EKddEviT_T0_PT8_S1_lS4_S1_lS2_PT9_S1_li.num_agpr, 0
	.set _ZL37rocblas_syrkx_herkx_restricted_kernelIldLi16ELi32ELi8ELb0ELb0ELc67ELc85EKddEviT_T0_PT8_S1_lS4_S1_lS2_PT9_S1_li.numbered_sgpr, 28
	.set _ZL37rocblas_syrkx_herkx_restricted_kernelIldLi16ELi32ELi8ELb0ELb0ELc67ELc85EKddEviT_T0_PT8_S1_lS4_S1_lS2_PT9_S1_li.num_named_barrier, 0
	.set _ZL37rocblas_syrkx_herkx_restricted_kernelIldLi16ELi32ELi8ELb0ELb0ELc67ELc85EKddEviT_T0_PT8_S1_lS4_S1_lS2_PT9_S1_li.private_seg_size, 0
	.set _ZL37rocblas_syrkx_herkx_restricted_kernelIldLi16ELi32ELi8ELb0ELb0ELc67ELc85EKddEviT_T0_PT8_S1_lS4_S1_lS2_PT9_S1_li.uses_vcc, 1
	.set _ZL37rocblas_syrkx_herkx_restricted_kernelIldLi16ELi32ELi8ELb0ELb0ELc67ELc85EKddEviT_T0_PT8_S1_lS4_S1_lS2_PT9_S1_li.uses_flat_scratch, 0
	.set _ZL37rocblas_syrkx_herkx_restricted_kernelIldLi16ELi32ELi8ELb0ELb0ELc67ELc85EKddEviT_T0_PT8_S1_lS4_S1_lS2_PT9_S1_li.has_dyn_sized_stack, 0
	.set _ZL37rocblas_syrkx_herkx_restricted_kernelIldLi16ELi32ELi8ELb0ELb0ELc67ELc85EKddEviT_T0_PT8_S1_lS4_S1_lS2_PT9_S1_li.has_recursion, 0
	.set _ZL37rocblas_syrkx_herkx_restricted_kernelIldLi16ELi32ELi8ELb0ELb0ELc67ELc85EKddEviT_T0_PT8_S1_lS4_S1_lS2_PT9_S1_li.has_indirect_call, 0
	.section	.AMDGPU.csdata,"",@progbits
; Kernel info:
; codeLenInByte = 1424
; TotalNumSgprs: 32
; NumVgprs: 36
; ScratchSize: 0
; MemoryBound: 0
; FloatMode: 240
; IeeeMode: 1
; LDSByteSize: 4096 bytes/workgroup (compile time only)
; SGPRBlocks: 3
; VGPRBlocks: 8
; NumSGPRsForWavesPerEU: 32
; NumVGPRsForWavesPerEU: 36
; Occupancy: 7
; WaveLimiterHint : 1
; COMPUTE_PGM_RSRC2:SCRATCH_EN: 0
; COMPUTE_PGM_RSRC2:USER_SGPR: 6
; COMPUTE_PGM_RSRC2:TRAP_HANDLER: 0
; COMPUTE_PGM_RSRC2:TGID_X_EN: 1
; COMPUTE_PGM_RSRC2:TGID_Y_EN: 1
; COMPUTE_PGM_RSRC2:TGID_Z_EN: 1
; COMPUTE_PGM_RSRC2:TIDIG_COMP_CNT: 1
	.section	.text._ZL37rocblas_syrkx_herkx_restricted_kernelIldLi16ELi32ELi8ELb0ELb0ELc78ELc85EKddEviT_T0_PT8_S1_lS4_S1_lS2_PT9_S1_li,"axG",@progbits,_ZL37rocblas_syrkx_herkx_restricted_kernelIldLi16ELi32ELi8ELb0ELb0ELc78ELc85EKddEviT_T0_PT8_S1_lS4_S1_lS2_PT9_S1_li,comdat
	.globl	_ZL37rocblas_syrkx_herkx_restricted_kernelIldLi16ELi32ELi8ELb0ELb0ELc78ELc85EKddEviT_T0_PT8_S1_lS4_S1_lS2_PT9_S1_li ; -- Begin function _ZL37rocblas_syrkx_herkx_restricted_kernelIldLi16ELi32ELi8ELb0ELb0ELc78ELc85EKddEviT_T0_PT8_S1_lS4_S1_lS2_PT9_S1_li
	.p2align	8
	.type	_ZL37rocblas_syrkx_herkx_restricted_kernelIldLi16ELi32ELi8ELb0ELb0ELc78ELc85EKddEviT_T0_PT8_S1_lS4_S1_lS2_PT9_S1_li,@function
_ZL37rocblas_syrkx_herkx_restricted_kernelIldLi16ELi32ELi8ELb0ELb0ELc78ELc85EKddEviT_T0_PT8_S1_lS4_S1_lS2_PT9_S1_li: ; @_ZL37rocblas_syrkx_herkx_restricted_kernelIldLi16ELi32ELi8ELb0ELb0ELc78ELc85EKddEviT_T0_PT8_S1_lS4_S1_lS2_PT9_S1_li
; %bb.0:
	s_load_dwordx16 s[12:27], s[4:5], 0x8
	s_lshl_b32 s9, s6, 5
	s_lshl_b32 s10, s7, 5
	s_waitcnt lgkmcnt(0)
	v_cmp_lt_i64_e64 s[0:1], s[12:13], 1
	s_and_b64 vcc, exec, s[0:1]
	s_cbranch_vccnz .LBB1038_3
; %bb.1:
	v_lshl_add_u32 v2, v1, 4, v0
	v_lshrrev_b32_e32 v4, 3, v2
	v_lshrrev_b32_e32 v6, 5, v2
	v_and_b32_e32 v7, 31, v2
	v_add_u32_e32 v2, s10, v4
	v_and_b32_e32 v5, 7, v0
	v_ashrrev_i32_e32 v3, 31, v2
	v_lshlrev_b32_e32 v8, 3, v7
	v_mad_u64_u32 v[2:3], s[0:1], s24, v5, v[2:3]
	v_lshl_or_b32 v14, v6, 8, v8
	v_lshlrev_b32_e32 v8, 3, v5
	v_lshl_or_b32 v4, v4, 6, v8
	v_add_u32_e32 v15, 0x800, v4
	v_mov_b32_e32 v4, 0x800
	v_lshl_add_u32 v17, v1, 6, v4
	v_mad_u64_u32 v[3:4], s[0:1], s25, v5, v[3:4]
	s_mul_i32 s2, s27, s8
	s_mul_hi_u32 s3, s26, s8
	s_add_i32 s1, s3, s2
	s_mul_i32 s0, s26, s8
	s_lshl_b64 s[0:1], s[0:1], 3
	v_lshlrev_b64 v[2:3], 3, v[2:3]
	s_add_u32 s0, s22, s0
	s_addc_u32 s1, s23, s1
	v_mov_b32_e32 v5, s1
	v_add_co_u32_e32 v4, vcc, s0, v2
	v_add_u32_e32 v2, s9, v7
	v_addc_co_u32_e32 v5, vcc, v5, v3, vcc
	v_ashrrev_i32_e32 v3, 31, v2
	v_mad_u64_u32 v[2:3], s[0:1], s18, v6, v[2:3]
	s_mul_i32 s6, s21, s8
	s_mul_hi_u32 s7, s20, s8
	v_mad_u64_u32 v[6:7], s[2:3], s19, v6, v[3:4]
	s_add_i32 s3, s7, s6
	s_mul_i32 s2, s20, s8
	s_lshl_b64 s[0:1], s[24:25], 6
	s_lshl_b64 s[2:3], s[2:3], 3
	v_mov_b32_e32 v3, v6
	v_lshlrev_b64 v[2:3], 3, v[2:3]
	s_add_u32 s2, s16, s2
	s_addc_u32 s3, s17, s3
	v_mov_b32_e32 v6, s3
	v_add_co_u32_e32 v8, vcc, s2, v2
	v_addc_co_u32_e32 v9, vcc, v6, v3, vcc
	s_lshl_b64 s[2:3], s[18:19], 6
	v_mov_b32_e32 v2, 0
	v_mov_b32_e32 v6, 0
	;; [unrolled: 1-line block ×4, first 2 shown]
	v_lshlrev_b32_e32 v16, 3, v0
	v_mov_b32_e32 v3, 0
	s_mov_b64 s[6:7], 0
	v_mov_b32_e32 v18, s1
	v_mov_b32_e32 v7, 0
	v_mov_b32_e32 v11, 0
	v_mov_b32_e32 v13, 0
	v_mov_b32_e32 v19, s3
.LBB1038_2:                             ; =>This Inner Loop Header: Depth=1
	global_load_dwordx2 v[20:21], v[8:9], off
	global_load_dwordx2 v[22:23], v[4:5], off
	s_add_u32 s6, s6, 8
	v_add_co_u32_e32 v4, vcc, s0, v4
	v_addc_co_u32_e32 v5, vcc, v5, v18, vcc
	s_addc_u32 s7, s7, 0
	v_add_co_u32_e32 v8, vcc, s2, v8
	v_addc_co_u32_e32 v9, vcc, v9, v19, vcc
	s_waitcnt vmcnt(1)
	ds_write_b64 v14, v[20:21]
	s_waitcnt vmcnt(0)
	ds_write_b64 v15, v[22:23]
	s_waitcnt lgkmcnt(0)
	s_barrier
	ds_read2_b64 v[20:23], v16 offset1:16
	ds_read_b128 v[24:27], v17
	ds_read_b128 v[28:31], v17 offset:16
	s_waitcnt lgkmcnt(1)
	v_fma_f64 v[36:37], v[20:21], v[24:25], v[12:13]
	v_fma_f64 v[24:25], v[22:23], v[24:25], v[10:11]
	ds_read_b128 v[10:13], v17 offset:1024
	ds_read_b128 v[32:35], v17 offset:1040
	s_waitcnt lgkmcnt(1)
	v_fma_f64 v[6:7], v[20:21], v[10:11], v[6:7]
	v_fma_f64 v[2:3], v[22:23], v[10:11], v[2:3]
	ds_read2_b64 v[20:23], v16 offset0:32 offset1:48
	s_waitcnt lgkmcnt(0)
	v_fma_f64 v[36:37], v[20:21], v[26:27], v[36:37]
	v_fma_f64 v[24:25], v[22:23], v[26:27], v[24:25]
	v_fma_f64 v[6:7], v[20:21], v[12:13], v[6:7]
	v_fma_f64 v[2:3], v[22:23], v[12:13], v[2:3]
	ds_read2_b64 v[10:13], v16 offset0:64 offset1:80
	s_waitcnt lgkmcnt(0)
	v_fma_f64 v[20:21], v[10:11], v[28:29], v[36:37]
	v_fma_f64 v[22:23], v[12:13], v[28:29], v[24:25]
	;; [unrolled: 6-line block ×3, first 2 shown]
	ds_read2_b64 v[20:23], v16 offset0:128 offset1:144
	v_fma_f64 v[6:7], v[10:11], v[34:35], v[6:7]
	v_fma_f64 v[2:3], v[12:13], v[34:35], v[2:3]
	ds_read_b128 v[10:13], v17 offset:32
	ds_read_b128 v[24:27], v17 offset:48
	s_waitcnt lgkmcnt(1)
	v_fma_f64 v[36:37], v[20:21], v[10:11], v[28:29]
	v_fma_f64 v[10:11], v[22:23], v[10:11], v[30:31]
	ds_read_b128 v[28:31], v17 offset:1056
	ds_read_b128 v[32:35], v17 offset:1072
	s_waitcnt lgkmcnt(1)
	v_fma_f64 v[6:7], v[20:21], v[28:29], v[6:7]
	v_fma_f64 v[2:3], v[22:23], v[28:29], v[2:3]
	ds_read2_b64 v[20:23], v16 offset0:160 offset1:176
	s_waitcnt lgkmcnt(0)
	v_fma_f64 v[28:29], v[20:21], v[12:13], v[36:37]
	v_fma_f64 v[36:37], v[22:23], v[12:13], v[10:11]
	;; [unrolled: 1-line block ×4, first 2 shown]
	ds_read2_b64 v[10:13], v16 offset0:192 offset1:208
	ds_read2_b64 v[20:23], v16 offset0:224 offset1:240
	v_mov_b32_e32 v31, s7
	v_mov_b32_e32 v30, s6
	v_cmp_le_u64_e32 vcc, s[12:13], v[30:31]
	s_waitcnt lgkmcnt(1)
	v_fma_f64 v[28:29], v[10:11], v[24:25], v[28:29]
	v_fma_f64 v[24:25], v[12:13], v[24:25], v[36:37]
	;; [unrolled: 1-line block ×4, first 2 shown]
	s_and_b64 vcc, exec, vcc
	s_waitcnt lgkmcnt(0)
	s_barrier
	v_fma_f64 v[12:13], v[20:21], v[26:27], v[28:29]
	v_fma_f64 v[10:11], v[22:23], v[26:27], v[24:25]
	;; [unrolled: 1-line block ×4, first 2 shown]
	s_cbranch_vccz .LBB1038_2
	s_branch .LBB1038_4
.LBB1038_3:
	v_mov_b32_e32 v12, 0
	v_mov_b32_e32 v10, 0
	;; [unrolled: 1-line block ×8, first 2 shown]
.LBB1038_4:
	s_load_dwordx8 s[16:23], s[4:5], 0x48
	s_load_dword s6, s[4:5], 0x0
	v_add_u32_e32 v8, s10, v1
	v_ashrrev_i32_e32 v1, 31, v8
	v_add_u32_e32 v0, s9, v0
	s_waitcnt lgkmcnt(0)
	s_mul_i32 s1, s23, s8
	s_mul_hi_u32 s2, s22, s8
	s_add_i32 s1, s2, s1
	v_mul_lo_u32 v1, s20, v1
	v_mul_lo_u32 v9, s21, v8
	v_mad_u64_u32 v[4:5], s[2:3], s20, v8, 0
	s_mul_i32 s0, s22, s8
	s_lshl_b64 s[0:1], s[0:1], 3
	v_add3_u32 v5, v5, v1, v9
	s_add_u32 s4, s18, s0
	v_lshlrev_b64 v[4:5], 3, v[4:5]
	s_addc_u32 s5, s19, s1
	v_mov_b32_e32 v1, s5
	v_add_co_u32_e64 v9, s[0:1], s4, v4
	v_addc_co_u32_e64 v14, s[0:1], v1, v5, s[0:1]
	v_cmp_gt_i32_e32 vcc, s6, v8
	v_cmp_le_i32_e64 s[0:1], v0, v8
	s_and_b64 s[0:1], vcc, s[0:1]
	s_and_saveexec_b64 s[2:3], s[0:1]
	s_cbranch_execz .LBB1038_6
; %bb.5:
	v_ashrrev_i32_e32 v1, 31, v0
	v_lshlrev_b64 v[4:5], 3, v[0:1]
	v_add_co_u32_e64 v4, s[0:1], v9, v4
	v_addc_co_u32_e64 v5, s[0:1], v14, v5, s[0:1]
	global_load_dwordx2 v[15:16], v[4:5], off
	s_waitcnt vmcnt(0)
	v_mul_f64 v[15:16], s[16:17], v[15:16]
	v_fma_f64 v[12:13], s[14:15], v[12:13], v[15:16]
	global_store_dwordx2 v[4:5], v[12:13], off
.LBB1038_6:
	s_or_b64 exec, exec, s[2:3]
	v_add_u32_e32 v4, 16, v0
	v_cmp_le_i32_e64 s[0:1], v4, v8
	s_and_b64 s[2:3], vcc, s[0:1]
	s_and_saveexec_b64 s[0:1], s[2:3]
	s_cbranch_execz .LBB1038_8
; %bb.7:
	v_ashrrev_i32_e32 v5, 31, v4
	v_lshlrev_b64 v[12:13], 3, v[4:5]
	v_add_co_u32_e32 v12, vcc, v9, v12
	v_addc_co_u32_e32 v13, vcc, v14, v13, vcc
	global_load_dwordx2 v[14:15], v[12:13], off
	s_waitcnt vmcnt(0)
	v_mul_f64 v[14:15], s[16:17], v[14:15]
	v_fma_f64 v[9:10], s[14:15], v[10:11], v[14:15]
	global_store_dwordx2 v[12:13], v[9:10], off
.LBB1038_8:
	s_or_b64 exec, exec, s[0:1]
	v_add_u32_e32 v5, 16, v8
	v_ashrrev_i32_e32 v1, 31, v5
	v_mul_lo_u32 v1, s20, v1
	v_mul_lo_u32 v10, s21, v5
	v_mad_u64_u32 v[8:9], s[0:1], s20, v5, 0
	v_cmp_gt_i32_e32 vcc, s6, v5
	v_add3_u32 v9, v9, v1, v10
	v_lshlrev_b64 v[8:9], 3, v[8:9]
	v_mov_b32_e32 v1, s5
	v_add_co_u32_e64 v8, s[0:1], s4, v8
	v_addc_co_u32_e64 v9, s[0:1], v1, v9, s[0:1]
	v_cmp_le_i32_e64 s[0:1], v0, v5
	s_and_b64 s[0:1], vcc, s[0:1]
	s_and_saveexec_b64 s[2:3], s[0:1]
	s_cbranch_execz .LBB1038_10
; %bb.9:
	v_ashrrev_i32_e32 v1, 31, v0
	v_lshlrev_b64 v[0:1], 3, v[0:1]
	v_add_co_u32_e64 v0, s[0:1], v8, v0
	v_addc_co_u32_e64 v1, s[0:1], v9, v1, s[0:1]
	global_load_dwordx2 v[10:11], v[0:1], off
	s_waitcnt vmcnt(0)
	v_mul_f64 v[10:11], s[16:17], v[10:11]
	v_fma_f64 v[6:7], s[14:15], v[6:7], v[10:11]
	global_store_dwordx2 v[0:1], v[6:7], off
.LBB1038_10:
	s_or_b64 exec, exec, s[2:3]
	v_cmp_le_i32_e64 s[0:1], v4, v5
	s_and_b64 s[0:1], vcc, s[0:1]
	s_and_saveexec_b64 s[2:3], s[0:1]
	s_cbranch_execz .LBB1038_12
; %bb.11:
	v_ashrrev_i32_e32 v5, 31, v4
	v_lshlrev_b64 v[0:1], 3, v[4:5]
	v_add_co_u32_e32 v0, vcc, v8, v0
	v_addc_co_u32_e32 v1, vcc, v9, v1, vcc
	global_load_dwordx2 v[4:5], v[0:1], off
	s_waitcnt vmcnt(0)
	v_mul_f64 v[4:5], s[16:17], v[4:5]
	v_fma_f64 v[2:3], s[14:15], v[2:3], v[4:5]
	global_store_dwordx2 v[0:1], v[2:3], off
.LBB1038_12:
	s_endpgm
	.section	.rodata,"a",@progbits
	.p2align	6, 0x0
	.amdhsa_kernel _ZL37rocblas_syrkx_herkx_restricted_kernelIldLi16ELi32ELi8ELb0ELb0ELc78ELc85EKddEviT_T0_PT8_S1_lS4_S1_lS2_PT9_S1_li
		.amdhsa_group_segment_fixed_size 4096
		.amdhsa_private_segment_fixed_size 0
		.amdhsa_kernarg_size 108
		.amdhsa_user_sgpr_count 6
		.amdhsa_user_sgpr_private_segment_buffer 1
		.amdhsa_user_sgpr_dispatch_ptr 0
		.amdhsa_user_sgpr_queue_ptr 0
		.amdhsa_user_sgpr_kernarg_segment_ptr 1
		.amdhsa_user_sgpr_dispatch_id 0
		.amdhsa_user_sgpr_flat_scratch_init 0
		.amdhsa_user_sgpr_private_segment_size 0
		.amdhsa_uses_dynamic_stack 0
		.amdhsa_system_sgpr_private_segment_wavefront_offset 0
		.amdhsa_system_sgpr_workgroup_id_x 1
		.amdhsa_system_sgpr_workgroup_id_y 1
		.amdhsa_system_sgpr_workgroup_id_z 1
		.amdhsa_system_sgpr_workgroup_info 0
		.amdhsa_system_vgpr_workitem_id 1
		.amdhsa_next_free_vgpr 38
		.amdhsa_next_free_sgpr 28
		.amdhsa_reserve_vcc 1
		.amdhsa_reserve_flat_scratch 0
		.amdhsa_float_round_mode_32 0
		.amdhsa_float_round_mode_16_64 0
		.amdhsa_float_denorm_mode_32 3
		.amdhsa_float_denorm_mode_16_64 3
		.amdhsa_dx10_clamp 1
		.amdhsa_ieee_mode 1
		.amdhsa_fp16_overflow 0
		.amdhsa_exception_fp_ieee_invalid_op 0
		.amdhsa_exception_fp_denorm_src 0
		.amdhsa_exception_fp_ieee_div_zero 0
		.amdhsa_exception_fp_ieee_overflow 0
		.amdhsa_exception_fp_ieee_underflow 0
		.amdhsa_exception_fp_ieee_inexact 0
		.amdhsa_exception_int_div_zero 0
	.end_amdhsa_kernel
	.section	.text._ZL37rocblas_syrkx_herkx_restricted_kernelIldLi16ELi32ELi8ELb0ELb0ELc78ELc85EKddEviT_T0_PT8_S1_lS4_S1_lS2_PT9_S1_li,"axG",@progbits,_ZL37rocblas_syrkx_herkx_restricted_kernelIldLi16ELi32ELi8ELb0ELb0ELc78ELc85EKddEviT_T0_PT8_S1_lS4_S1_lS2_PT9_S1_li,comdat
.Lfunc_end1038:
	.size	_ZL37rocblas_syrkx_herkx_restricted_kernelIldLi16ELi32ELi8ELb0ELb0ELc78ELc85EKddEviT_T0_PT8_S1_lS4_S1_lS2_PT9_S1_li, .Lfunc_end1038-_ZL37rocblas_syrkx_herkx_restricted_kernelIldLi16ELi32ELi8ELb0ELb0ELc78ELc85EKddEviT_T0_PT8_S1_lS4_S1_lS2_PT9_S1_li
                                        ; -- End function
	.set _ZL37rocblas_syrkx_herkx_restricted_kernelIldLi16ELi32ELi8ELb0ELb0ELc78ELc85EKddEviT_T0_PT8_S1_lS4_S1_lS2_PT9_S1_li.num_vgpr, 38
	.set _ZL37rocblas_syrkx_herkx_restricted_kernelIldLi16ELi32ELi8ELb0ELb0ELc78ELc85EKddEviT_T0_PT8_S1_lS4_S1_lS2_PT9_S1_li.num_agpr, 0
	.set _ZL37rocblas_syrkx_herkx_restricted_kernelIldLi16ELi32ELi8ELb0ELb0ELc78ELc85EKddEviT_T0_PT8_S1_lS4_S1_lS2_PT9_S1_li.numbered_sgpr, 28
	.set _ZL37rocblas_syrkx_herkx_restricted_kernelIldLi16ELi32ELi8ELb0ELb0ELc78ELc85EKddEviT_T0_PT8_S1_lS4_S1_lS2_PT9_S1_li.num_named_barrier, 0
	.set _ZL37rocblas_syrkx_herkx_restricted_kernelIldLi16ELi32ELi8ELb0ELb0ELc78ELc85EKddEviT_T0_PT8_S1_lS4_S1_lS2_PT9_S1_li.private_seg_size, 0
	.set _ZL37rocblas_syrkx_herkx_restricted_kernelIldLi16ELi32ELi8ELb0ELb0ELc78ELc85EKddEviT_T0_PT8_S1_lS4_S1_lS2_PT9_S1_li.uses_vcc, 1
	.set _ZL37rocblas_syrkx_herkx_restricted_kernelIldLi16ELi32ELi8ELb0ELb0ELc78ELc85EKddEviT_T0_PT8_S1_lS4_S1_lS2_PT9_S1_li.uses_flat_scratch, 0
	.set _ZL37rocblas_syrkx_herkx_restricted_kernelIldLi16ELi32ELi8ELb0ELb0ELc78ELc85EKddEviT_T0_PT8_S1_lS4_S1_lS2_PT9_S1_li.has_dyn_sized_stack, 0
	.set _ZL37rocblas_syrkx_herkx_restricted_kernelIldLi16ELi32ELi8ELb0ELb0ELc78ELc85EKddEviT_T0_PT8_S1_lS4_S1_lS2_PT9_S1_li.has_recursion, 0
	.set _ZL37rocblas_syrkx_herkx_restricted_kernelIldLi16ELi32ELi8ELb0ELb0ELc78ELc85EKddEviT_T0_PT8_S1_lS4_S1_lS2_PT9_S1_li.has_indirect_call, 0
	.section	.AMDGPU.csdata,"",@progbits
; Kernel info:
; codeLenInByte = 1404
; TotalNumSgprs: 32
; NumVgprs: 38
; ScratchSize: 0
; MemoryBound: 0
; FloatMode: 240
; IeeeMode: 1
; LDSByteSize: 4096 bytes/workgroup (compile time only)
; SGPRBlocks: 3
; VGPRBlocks: 9
; NumSGPRsForWavesPerEU: 32
; NumVGPRsForWavesPerEU: 38
; Occupancy: 6
; WaveLimiterHint : 1
; COMPUTE_PGM_RSRC2:SCRATCH_EN: 0
; COMPUTE_PGM_RSRC2:USER_SGPR: 6
; COMPUTE_PGM_RSRC2:TRAP_HANDLER: 0
; COMPUTE_PGM_RSRC2:TGID_X_EN: 1
; COMPUTE_PGM_RSRC2:TGID_Y_EN: 1
; COMPUTE_PGM_RSRC2:TGID_Z_EN: 1
; COMPUTE_PGM_RSRC2:TIDIG_COMP_CNT: 1
	.section	.text._ZL41rocblas_syrkx_herkx_small_restrict_kernelIldLi16ELb1ELb0ELc84ELc76EKddEviT_T0_PT6_S1_lS4_S1_lS2_PT7_S1_li,"axG",@progbits,_ZL41rocblas_syrkx_herkx_small_restrict_kernelIldLi16ELb1ELb0ELc84ELc76EKddEviT_T0_PT6_S1_lS4_S1_lS2_PT7_S1_li,comdat
	.globl	_ZL41rocblas_syrkx_herkx_small_restrict_kernelIldLi16ELb1ELb0ELc84ELc76EKddEviT_T0_PT6_S1_lS4_S1_lS2_PT7_S1_li ; -- Begin function _ZL41rocblas_syrkx_herkx_small_restrict_kernelIldLi16ELb1ELb0ELc84ELc76EKddEviT_T0_PT6_S1_lS4_S1_lS2_PT7_S1_li
	.p2align	8
	.type	_ZL41rocblas_syrkx_herkx_small_restrict_kernelIldLi16ELb1ELb0ELc84ELc76EKddEviT_T0_PT6_S1_lS4_S1_lS2_PT7_S1_li,@function
_ZL41rocblas_syrkx_herkx_small_restrict_kernelIldLi16ELb1ELb0ELc84ELc76EKddEviT_T0_PT6_S1_lS4_S1_lS2_PT7_S1_li: ; @_ZL41rocblas_syrkx_herkx_small_restrict_kernelIldLi16ELb1ELb0ELc84ELc76EKddEviT_T0_PT6_S1_lS4_S1_lS2_PT7_S1_li
; %bb.0:
	s_load_dwordx16 s[12:27], s[4:5], 0x8
	v_lshl_add_u32 v2, s6, 4, v0
	v_lshl_add_u32 v10, s7, 4, v1
	v_ashrrev_i32_e32 v3, 31, v2
	v_ashrrev_i32_e32 v11, 31, v10
	s_waitcnt lgkmcnt(0)
	v_cmp_lt_i64_e64 s[0:1], s[12:13], 1
	s_and_b64 vcc, exec, s[0:1]
	s_cbranch_vccnz .LBB1039_6
; %bb.1:
	v_lshlrev_b32_e32 v12, 3, v0
	v_mul_lo_u32 v0, s25, v10
	v_mul_lo_u32 v7, s24, v11
	v_mad_u64_u32 v[4:5], s[0:1], s24, v10, 0
	s_mul_i32 s0, s27, s8
	s_mul_hi_u32 s1, s26, s8
	v_add3_u32 v5, v5, v7, v0
	v_lshlrev_b64 v[4:5], 3, v[4:5]
	s_add_i32 s1, s1, s0
	s_mul_i32 s0, s26, s8
	v_lshlrev_b32_e32 v6, 7, v1
	s_lshl_b64 s[0:1], s[0:1], 3
	v_add_u32_e32 v13, v12, v6
	v_add_u32_e32 v14, 0x800, v6
	v_mov_b32_e32 v0, s1
	v_add_co_u32_e32 v4, vcc, s0, v4
	v_mul_lo_u32 v8, s19, v2
	v_mul_lo_u32 v9, s18, v3
	v_mad_u64_u32 v[6:7], s[0:1], s18, v2, 0
	v_addc_co_u32_e32 v0, vcc, v5, v0, vcc
	v_add_co_u32_e32 v4, vcc, v4, v12
	v_addc_co_u32_e32 v0, vcc, 0, v0, vcc
	v_add3_u32 v7, v7, v9, v8
	s_mul_i32 s0, s21, s8
	s_mul_hi_u32 s1, s20, s8
	v_mov_b32_e32 v5, s23
	v_add_co_u32_e32 v4, vcc, s22, v4
	v_lshlrev_b64 v[6:7], 3, v[6:7]
	s_add_i32 s1, s1, s0
	s_mul_i32 s0, s20, s8
	v_addc_co_u32_e32 v5, vcc, v5, v0, vcc
	s_lshl_b64 s[0:1], s[0:1], 3
	v_mov_b32_e32 v0, s1
	v_add_co_u32_e32 v6, vcc, s0, v6
	v_addc_co_u32_e32 v0, vcc, v7, v0, vcc
	v_lshlrev_b32_e32 v1, 3, v1
	v_add_co_u32_e32 v1, vcc, v6, v1
	v_addc_co_u32_e32 v6, vcc, 0, v0, vcc
	v_mov_b32_e32 v7, s17
	v_add_co_u32_e32 v0, vcc, s16, v1
	v_addc_co_u32_e32 v1, vcc, v7, v6, vcc
	v_mov_b32_e32 v8, 0
	v_mov_b32_e32 v6, s12
	v_add_u32_e32 v15, v14, v12
	v_mov_b32_e32 v9, 0
	s_mov_b64 s[2:3], 0
	v_mov_b32_e32 v7, s13
.LBB1039_2:                             ; =>This Inner Loop Header: Depth=1
	global_load_dwordx2 v[16:17], v[0:1], off
	global_load_dwordx2 v[18:19], v[4:5], off
	v_add_co_u32_e32 v4, vcc, 0x80, v4
	s_add_u32 s2, s2, 16
	s_mov_b64 s[0:1], vcc
	s_addc_u32 s3, s3, 0
	v_addc_co_u32_e64 v5, s[0:1], 0, v5, s[0:1]
	v_add_co_u32_e32 v0, vcc, 0x80, v0
	v_cmp_lt_i64_e64 s[0:1], s[2:3], v[6:7]
	v_addc_co_u32_e32 v1, vcc, 0, v1, vcc
	s_and_b64 vcc, exec, s[0:1]
	s_waitcnt vmcnt(1)
	ds_write_b64 v13, v[16:17]
	s_waitcnt vmcnt(0)
	ds_write_b64 v15, v[18:19]
	s_waitcnt lgkmcnt(0)
	s_barrier
	ds_read2_b64 v[16:19], v12 offset1:16
	ds_read_b128 v[20:23], v14
	s_waitcnt lgkmcnt(0)
	v_fma_f64 v[8:9], v[16:17], v[20:21], v[8:9]
	v_fma_f64 v[8:9], v[18:19], v[22:23], v[8:9]
	ds_read_b128 v[16:19], v14 offset:16
	ds_read2_b64 v[20:23], v12 offset0:32 offset1:48
	s_waitcnt lgkmcnt(0)
	v_fma_f64 v[8:9], v[20:21], v[16:17], v[8:9]
	v_fma_f64 v[8:9], v[22:23], v[18:19], v[8:9]
	ds_read2_b64 v[16:19], v12 offset0:64 offset1:80
	ds_read_b128 v[20:23], v14 offset:32
	s_waitcnt lgkmcnt(0)
	v_fma_f64 v[8:9], v[16:17], v[20:21], v[8:9]
	v_fma_f64 v[8:9], v[18:19], v[22:23], v[8:9]
	ds_read_b128 v[16:19], v14 offset:48
	ds_read2_b64 v[20:23], v12 offset0:96 offset1:112
	s_waitcnt lgkmcnt(0)
	v_fma_f64 v[8:9], v[20:21], v[16:17], v[8:9]
	v_fma_f64 v[8:9], v[22:23], v[18:19], v[8:9]
	ds_read2_b64 v[16:19], v12 offset0:128 offset1:144
	ds_read_b128 v[20:23], v14 offset:64
	;; [unrolled: 10-line block ×3, first 2 shown]
	s_waitcnt lgkmcnt(0)
	v_fma_f64 v[8:9], v[16:17], v[20:21], v[8:9]
	v_fma_f64 v[8:9], v[18:19], v[22:23], v[8:9]
	ds_read_b128 v[16:19], v14 offset:112
	ds_read2_b64 v[20:23], v12 offset0:224 offset1:240
	s_waitcnt lgkmcnt(0)
	s_barrier
	v_fma_f64 v[8:9], v[20:21], v[16:17], v[8:9]
	v_fma_f64 v[8:9], v[22:23], v[18:19], v[8:9]
	s_cbranch_vccnz .LBB1039_2
; %bb.3:
	v_cmp_le_i32_e32 vcc, v10, v2
	s_and_saveexec_b64 s[0:1], vcc
	s_cbranch_execz .LBB1039_5
.LBB1039_4:
	s_load_dwordx2 s[6:7], s[4:5], 0x60
	s_load_dwordx4 s[0:3], s[4:5], 0x50
	v_mul_f64 v[4:5], s[14:15], v[8:9]
	s_waitcnt lgkmcnt(0)
	s_mul_i32 s5, s7, s8
	v_mul_lo_u32 v6, s3, v10
	v_mul_lo_u32 v7, s2, v11
	v_mad_u64_u32 v[0:1], s[2:3], s2, v10, 0
	s_mul_hi_u32 s7, s6, s8
	s_mul_i32 s4, s6, s8
	s_add_i32 s5, s7, s5
	s_lshl_b64 s[4:5], s[4:5], 3
	v_add3_u32 v1, v1, v7, v6
	s_add_u32 s0, s0, s4
	v_lshlrev_b64 v[0:1], 3, v[0:1]
	s_addc_u32 s1, s1, s5
	v_mov_b32_e32 v6, s1
	v_add_co_u32_e32 v7, vcc, s0, v0
	v_addc_co_u32_e32 v6, vcc, v6, v1, vcc
	v_lshlrev_b64 v[0:1], 3, v[2:3]
	v_add_co_u32_e32 v0, vcc, v7, v0
	v_addc_co_u32_e32 v1, vcc, v6, v1, vcc
	global_store_dwordx2 v[0:1], v[4:5], off
.LBB1039_5:
	s_endpgm
.LBB1039_6:
	v_mov_b32_e32 v8, 0
	v_mov_b32_e32 v9, 0
	v_cmp_le_i32_e32 vcc, v10, v2
	s_and_saveexec_b64 s[0:1], vcc
	s_cbranch_execnz .LBB1039_4
	s_branch .LBB1039_5
	.section	.rodata,"a",@progbits
	.p2align	6, 0x0
	.amdhsa_kernel _ZL41rocblas_syrkx_herkx_small_restrict_kernelIldLi16ELb1ELb0ELc84ELc76EKddEviT_T0_PT6_S1_lS4_S1_lS2_PT7_S1_li
		.amdhsa_group_segment_fixed_size 4096
		.amdhsa_private_segment_fixed_size 0
		.amdhsa_kernarg_size 108
		.amdhsa_user_sgpr_count 6
		.amdhsa_user_sgpr_private_segment_buffer 1
		.amdhsa_user_sgpr_dispatch_ptr 0
		.amdhsa_user_sgpr_queue_ptr 0
		.amdhsa_user_sgpr_kernarg_segment_ptr 1
		.amdhsa_user_sgpr_dispatch_id 0
		.amdhsa_user_sgpr_flat_scratch_init 0
		.amdhsa_user_sgpr_private_segment_size 0
		.amdhsa_uses_dynamic_stack 0
		.amdhsa_system_sgpr_private_segment_wavefront_offset 0
		.amdhsa_system_sgpr_workgroup_id_x 1
		.amdhsa_system_sgpr_workgroup_id_y 1
		.amdhsa_system_sgpr_workgroup_id_z 1
		.amdhsa_system_sgpr_workgroup_info 0
		.amdhsa_system_vgpr_workitem_id 1
		.amdhsa_next_free_vgpr 24
		.amdhsa_next_free_sgpr 28
		.amdhsa_reserve_vcc 1
		.amdhsa_reserve_flat_scratch 0
		.amdhsa_float_round_mode_32 0
		.amdhsa_float_round_mode_16_64 0
		.amdhsa_float_denorm_mode_32 3
		.amdhsa_float_denorm_mode_16_64 3
		.amdhsa_dx10_clamp 1
		.amdhsa_ieee_mode 1
		.amdhsa_fp16_overflow 0
		.amdhsa_exception_fp_ieee_invalid_op 0
		.amdhsa_exception_fp_denorm_src 0
		.amdhsa_exception_fp_ieee_div_zero 0
		.amdhsa_exception_fp_ieee_overflow 0
		.amdhsa_exception_fp_ieee_underflow 0
		.amdhsa_exception_fp_ieee_inexact 0
		.amdhsa_exception_int_div_zero 0
	.end_amdhsa_kernel
	.section	.text._ZL41rocblas_syrkx_herkx_small_restrict_kernelIldLi16ELb1ELb0ELc84ELc76EKddEviT_T0_PT6_S1_lS4_S1_lS2_PT7_S1_li,"axG",@progbits,_ZL41rocblas_syrkx_herkx_small_restrict_kernelIldLi16ELb1ELb0ELc84ELc76EKddEviT_T0_PT6_S1_lS4_S1_lS2_PT7_S1_li,comdat
.Lfunc_end1039:
	.size	_ZL41rocblas_syrkx_herkx_small_restrict_kernelIldLi16ELb1ELb0ELc84ELc76EKddEviT_T0_PT6_S1_lS4_S1_lS2_PT7_S1_li, .Lfunc_end1039-_ZL41rocblas_syrkx_herkx_small_restrict_kernelIldLi16ELb1ELb0ELc84ELc76EKddEviT_T0_PT6_S1_lS4_S1_lS2_PT7_S1_li
                                        ; -- End function
	.set _ZL41rocblas_syrkx_herkx_small_restrict_kernelIldLi16ELb1ELb0ELc84ELc76EKddEviT_T0_PT6_S1_lS4_S1_lS2_PT7_S1_li.num_vgpr, 24
	.set _ZL41rocblas_syrkx_herkx_small_restrict_kernelIldLi16ELb1ELb0ELc84ELc76EKddEviT_T0_PT6_S1_lS4_S1_lS2_PT7_S1_li.num_agpr, 0
	.set _ZL41rocblas_syrkx_herkx_small_restrict_kernelIldLi16ELb1ELb0ELc84ELc76EKddEviT_T0_PT6_S1_lS4_S1_lS2_PT7_S1_li.numbered_sgpr, 28
	.set _ZL41rocblas_syrkx_herkx_small_restrict_kernelIldLi16ELb1ELb0ELc84ELc76EKddEviT_T0_PT6_S1_lS4_S1_lS2_PT7_S1_li.num_named_barrier, 0
	.set _ZL41rocblas_syrkx_herkx_small_restrict_kernelIldLi16ELb1ELb0ELc84ELc76EKddEviT_T0_PT6_S1_lS4_S1_lS2_PT7_S1_li.private_seg_size, 0
	.set _ZL41rocblas_syrkx_herkx_small_restrict_kernelIldLi16ELb1ELb0ELc84ELc76EKddEviT_T0_PT6_S1_lS4_S1_lS2_PT7_S1_li.uses_vcc, 1
	.set _ZL41rocblas_syrkx_herkx_small_restrict_kernelIldLi16ELb1ELb0ELc84ELc76EKddEviT_T0_PT6_S1_lS4_S1_lS2_PT7_S1_li.uses_flat_scratch, 0
	.set _ZL41rocblas_syrkx_herkx_small_restrict_kernelIldLi16ELb1ELb0ELc84ELc76EKddEviT_T0_PT6_S1_lS4_S1_lS2_PT7_S1_li.has_dyn_sized_stack, 0
	.set _ZL41rocblas_syrkx_herkx_small_restrict_kernelIldLi16ELb1ELb0ELc84ELc76EKddEviT_T0_PT6_S1_lS4_S1_lS2_PT7_S1_li.has_recursion, 0
	.set _ZL41rocblas_syrkx_herkx_small_restrict_kernelIldLi16ELb1ELb0ELc84ELc76EKddEviT_T0_PT6_S1_lS4_S1_lS2_PT7_S1_li.has_indirect_call, 0
	.section	.AMDGPU.csdata,"",@progbits
; Kernel info:
; codeLenInByte = 852
; TotalNumSgprs: 32
; NumVgprs: 24
; ScratchSize: 0
; MemoryBound: 0
; FloatMode: 240
; IeeeMode: 1
; LDSByteSize: 4096 bytes/workgroup (compile time only)
; SGPRBlocks: 3
; VGPRBlocks: 5
; NumSGPRsForWavesPerEU: 32
; NumVGPRsForWavesPerEU: 24
; Occupancy: 10
; WaveLimiterHint : 0
; COMPUTE_PGM_RSRC2:SCRATCH_EN: 0
; COMPUTE_PGM_RSRC2:USER_SGPR: 6
; COMPUTE_PGM_RSRC2:TRAP_HANDLER: 0
; COMPUTE_PGM_RSRC2:TGID_X_EN: 1
; COMPUTE_PGM_RSRC2:TGID_Y_EN: 1
; COMPUTE_PGM_RSRC2:TGID_Z_EN: 1
; COMPUTE_PGM_RSRC2:TIDIG_COMP_CNT: 1
	.section	.text._ZL41rocblas_syrkx_herkx_small_restrict_kernelIldLi16ELb1ELb0ELc67ELc76EKddEviT_T0_PT6_S1_lS4_S1_lS2_PT7_S1_li,"axG",@progbits,_ZL41rocblas_syrkx_herkx_small_restrict_kernelIldLi16ELb1ELb0ELc67ELc76EKddEviT_T0_PT6_S1_lS4_S1_lS2_PT7_S1_li,comdat
	.globl	_ZL41rocblas_syrkx_herkx_small_restrict_kernelIldLi16ELb1ELb0ELc67ELc76EKddEviT_T0_PT6_S1_lS4_S1_lS2_PT7_S1_li ; -- Begin function _ZL41rocblas_syrkx_herkx_small_restrict_kernelIldLi16ELb1ELb0ELc67ELc76EKddEviT_T0_PT6_S1_lS4_S1_lS2_PT7_S1_li
	.p2align	8
	.type	_ZL41rocblas_syrkx_herkx_small_restrict_kernelIldLi16ELb1ELb0ELc67ELc76EKddEviT_T0_PT6_S1_lS4_S1_lS2_PT7_S1_li,@function
_ZL41rocblas_syrkx_herkx_small_restrict_kernelIldLi16ELb1ELb0ELc67ELc76EKddEviT_T0_PT6_S1_lS4_S1_lS2_PT7_S1_li: ; @_ZL41rocblas_syrkx_herkx_small_restrict_kernelIldLi16ELb1ELb0ELc67ELc76EKddEviT_T0_PT6_S1_lS4_S1_lS2_PT7_S1_li
; %bb.0:
	s_load_dwordx16 s[12:27], s[4:5], 0x8
	v_lshl_add_u32 v2, s6, 4, v0
	v_lshl_add_u32 v10, s7, 4, v1
	v_ashrrev_i32_e32 v3, 31, v2
	v_ashrrev_i32_e32 v11, 31, v10
	s_waitcnt lgkmcnt(0)
	v_cmp_lt_i64_e64 s[0:1], s[12:13], 1
	s_and_b64 vcc, exec, s[0:1]
	s_cbranch_vccnz .LBB1040_6
; %bb.1:
	v_lshlrev_b32_e32 v12, 3, v0
	v_mul_lo_u32 v0, s25, v10
	v_mul_lo_u32 v7, s24, v11
	v_mad_u64_u32 v[4:5], s[0:1], s24, v10, 0
	s_mul_i32 s0, s27, s8
	s_mul_hi_u32 s1, s26, s8
	v_add3_u32 v5, v5, v7, v0
	v_lshlrev_b64 v[4:5], 3, v[4:5]
	s_add_i32 s1, s1, s0
	s_mul_i32 s0, s26, s8
	v_lshlrev_b32_e32 v6, 7, v1
	s_lshl_b64 s[0:1], s[0:1], 3
	v_add_u32_e32 v13, v12, v6
	v_add_u32_e32 v14, 0x800, v6
	v_mov_b32_e32 v0, s1
	v_add_co_u32_e32 v4, vcc, s0, v4
	v_mul_lo_u32 v8, s19, v2
	v_mul_lo_u32 v9, s18, v3
	v_mad_u64_u32 v[6:7], s[0:1], s18, v2, 0
	v_addc_co_u32_e32 v0, vcc, v5, v0, vcc
	v_add_co_u32_e32 v4, vcc, v4, v12
	v_addc_co_u32_e32 v0, vcc, 0, v0, vcc
	v_add3_u32 v7, v7, v9, v8
	s_mul_i32 s0, s21, s8
	s_mul_hi_u32 s1, s20, s8
	v_mov_b32_e32 v5, s23
	v_add_co_u32_e32 v4, vcc, s22, v4
	v_lshlrev_b64 v[6:7], 3, v[6:7]
	s_add_i32 s1, s1, s0
	s_mul_i32 s0, s20, s8
	v_addc_co_u32_e32 v5, vcc, v5, v0, vcc
	s_lshl_b64 s[0:1], s[0:1], 3
	v_mov_b32_e32 v0, s1
	v_add_co_u32_e32 v6, vcc, s0, v6
	v_addc_co_u32_e32 v0, vcc, v7, v0, vcc
	v_lshlrev_b32_e32 v1, 3, v1
	v_add_co_u32_e32 v1, vcc, v6, v1
	v_addc_co_u32_e32 v6, vcc, 0, v0, vcc
	v_mov_b32_e32 v7, s17
	v_add_co_u32_e32 v0, vcc, s16, v1
	v_addc_co_u32_e32 v1, vcc, v7, v6, vcc
	v_mov_b32_e32 v8, 0
	v_mov_b32_e32 v6, s12
	v_add_u32_e32 v15, v14, v12
	v_mov_b32_e32 v9, 0
	s_mov_b64 s[2:3], 0
	v_mov_b32_e32 v7, s13
.LBB1040_2:                             ; =>This Inner Loop Header: Depth=1
	global_load_dwordx2 v[16:17], v[0:1], off
	global_load_dwordx2 v[18:19], v[4:5], off
	v_add_co_u32_e32 v4, vcc, 0x80, v4
	s_add_u32 s2, s2, 16
	s_mov_b64 s[0:1], vcc
	s_addc_u32 s3, s3, 0
	v_addc_co_u32_e64 v5, s[0:1], 0, v5, s[0:1]
	v_add_co_u32_e32 v0, vcc, 0x80, v0
	v_cmp_lt_i64_e64 s[0:1], s[2:3], v[6:7]
	v_addc_co_u32_e32 v1, vcc, 0, v1, vcc
	s_and_b64 vcc, exec, s[0:1]
	s_waitcnt vmcnt(1)
	ds_write_b64 v13, v[16:17]
	s_waitcnt vmcnt(0)
	ds_write_b64 v15, v[18:19]
	s_waitcnt lgkmcnt(0)
	s_barrier
	ds_read2_b64 v[16:19], v12 offset1:16
	ds_read_b128 v[20:23], v14
	s_waitcnt lgkmcnt(0)
	v_fma_f64 v[8:9], v[16:17], v[20:21], v[8:9]
	v_fma_f64 v[8:9], v[18:19], v[22:23], v[8:9]
	ds_read_b128 v[16:19], v14 offset:16
	ds_read2_b64 v[20:23], v12 offset0:32 offset1:48
	s_waitcnt lgkmcnt(0)
	v_fma_f64 v[8:9], v[20:21], v[16:17], v[8:9]
	v_fma_f64 v[8:9], v[22:23], v[18:19], v[8:9]
	ds_read2_b64 v[16:19], v12 offset0:64 offset1:80
	ds_read_b128 v[20:23], v14 offset:32
	s_waitcnt lgkmcnt(0)
	v_fma_f64 v[8:9], v[16:17], v[20:21], v[8:9]
	v_fma_f64 v[8:9], v[18:19], v[22:23], v[8:9]
	ds_read_b128 v[16:19], v14 offset:48
	ds_read2_b64 v[20:23], v12 offset0:96 offset1:112
	s_waitcnt lgkmcnt(0)
	v_fma_f64 v[8:9], v[20:21], v[16:17], v[8:9]
	v_fma_f64 v[8:9], v[22:23], v[18:19], v[8:9]
	ds_read2_b64 v[16:19], v12 offset0:128 offset1:144
	ds_read_b128 v[20:23], v14 offset:64
	;; [unrolled: 10-line block ×3, first 2 shown]
	s_waitcnt lgkmcnt(0)
	v_fma_f64 v[8:9], v[16:17], v[20:21], v[8:9]
	v_fma_f64 v[8:9], v[18:19], v[22:23], v[8:9]
	ds_read_b128 v[16:19], v14 offset:112
	ds_read2_b64 v[20:23], v12 offset0:224 offset1:240
	s_waitcnt lgkmcnt(0)
	s_barrier
	v_fma_f64 v[8:9], v[20:21], v[16:17], v[8:9]
	v_fma_f64 v[8:9], v[22:23], v[18:19], v[8:9]
	s_cbranch_vccnz .LBB1040_2
; %bb.3:
	v_cmp_le_i32_e32 vcc, v10, v2
	s_and_saveexec_b64 s[0:1], vcc
	s_cbranch_execz .LBB1040_5
.LBB1040_4:
	s_load_dwordx2 s[6:7], s[4:5], 0x60
	s_load_dwordx4 s[0:3], s[4:5], 0x50
	v_mul_f64 v[4:5], s[14:15], v[8:9]
	s_waitcnt lgkmcnt(0)
	s_mul_i32 s5, s7, s8
	v_mul_lo_u32 v6, s3, v10
	v_mul_lo_u32 v7, s2, v11
	v_mad_u64_u32 v[0:1], s[2:3], s2, v10, 0
	s_mul_hi_u32 s7, s6, s8
	s_mul_i32 s4, s6, s8
	s_add_i32 s5, s7, s5
	s_lshl_b64 s[4:5], s[4:5], 3
	v_add3_u32 v1, v1, v7, v6
	s_add_u32 s0, s0, s4
	v_lshlrev_b64 v[0:1], 3, v[0:1]
	s_addc_u32 s1, s1, s5
	v_mov_b32_e32 v6, s1
	v_add_co_u32_e32 v7, vcc, s0, v0
	v_addc_co_u32_e32 v6, vcc, v6, v1, vcc
	v_lshlrev_b64 v[0:1], 3, v[2:3]
	v_add_co_u32_e32 v0, vcc, v7, v0
	v_addc_co_u32_e32 v1, vcc, v6, v1, vcc
	global_store_dwordx2 v[0:1], v[4:5], off
.LBB1040_5:
	s_endpgm
.LBB1040_6:
	v_mov_b32_e32 v8, 0
	v_mov_b32_e32 v9, 0
	v_cmp_le_i32_e32 vcc, v10, v2
	s_and_saveexec_b64 s[0:1], vcc
	s_cbranch_execnz .LBB1040_4
	s_branch .LBB1040_5
	.section	.rodata,"a",@progbits
	.p2align	6, 0x0
	.amdhsa_kernel _ZL41rocblas_syrkx_herkx_small_restrict_kernelIldLi16ELb1ELb0ELc67ELc76EKddEviT_T0_PT6_S1_lS4_S1_lS2_PT7_S1_li
		.amdhsa_group_segment_fixed_size 4096
		.amdhsa_private_segment_fixed_size 0
		.amdhsa_kernarg_size 108
		.amdhsa_user_sgpr_count 6
		.amdhsa_user_sgpr_private_segment_buffer 1
		.amdhsa_user_sgpr_dispatch_ptr 0
		.amdhsa_user_sgpr_queue_ptr 0
		.amdhsa_user_sgpr_kernarg_segment_ptr 1
		.amdhsa_user_sgpr_dispatch_id 0
		.amdhsa_user_sgpr_flat_scratch_init 0
		.amdhsa_user_sgpr_private_segment_size 0
		.amdhsa_uses_dynamic_stack 0
		.amdhsa_system_sgpr_private_segment_wavefront_offset 0
		.amdhsa_system_sgpr_workgroup_id_x 1
		.amdhsa_system_sgpr_workgroup_id_y 1
		.amdhsa_system_sgpr_workgroup_id_z 1
		.amdhsa_system_sgpr_workgroup_info 0
		.amdhsa_system_vgpr_workitem_id 1
		.amdhsa_next_free_vgpr 24
		.amdhsa_next_free_sgpr 28
		.amdhsa_reserve_vcc 1
		.amdhsa_reserve_flat_scratch 0
		.amdhsa_float_round_mode_32 0
		.amdhsa_float_round_mode_16_64 0
		.amdhsa_float_denorm_mode_32 3
		.amdhsa_float_denorm_mode_16_64 3
		.amdhsa_dx10_clamp 1
		.amdhsa_ieee_mode 1
		.amdhsa_fp16_overflow 0
		.amdhsa_exception_fp_ieee_invalid_op 0
		.amdhsa_exception_fp_denorm_src 0
		.amdhsa_exception_fp_ieee_div_zero 0
		.amdhsa_exception_fp_ieee_overflow 0
		.amdhsa_exception_fp_ieee_underflow 0
		.amdhsa_exception_fp_ieee_inexact 0
		.amdhsa_exception_int_div_zero 0
	.end_amdhsa_kernel
	.section	.text._ZL41rocblas_syrkx_herkx_small_restrict_kernelIldLi16ELb1ELb0ELc67ELc76EKddEviT_T0_PT6_S1_lS4_S1_lS2_PT7_S1_li,"axG",@progbits,_ZL41rocblas_syrkx_herkx_small_restrict_kernelIldLi16ELb1ELb0ELc67ELc76EKddEviT_T0_PT6_S1_lS4_S1_lS2_PT7_S1_li,comdat
.Lfunc_end1040:
	.size	_ZL41rocblas_syrkx_herkx_small_restrict_kernelIldLi16ELb1ELb0ELc67ELc76EKddEviT_T0_PT6_S1_lS4_S1_lS2_PT7_S1_li, .Lfunc_end1040-_ZL41rocblas_syrkx_herkx_small_restrict_kernelIldLi16ELb1ELb0ELc67ELc76EKddEviT_T0_PT6_S1_lS4_S1_lS2_PT7_S1_li
                                        ; -- End function
	.set _ZL41rocblas_syrkx_herkx_small_restrict_kernelIldLi16ELb1ELb0ELc67ELc76EKddEviT_T0_PT6_S1_lS4_S1_lS2_PT7_S1_li.num_vgpr, 24
	.set _ZL41rocblas_syrkx_herkx_small_restrict_kernelIldLi16ELb1ELb0ELc67ELc76EKddEviT_T0_PT6_S1_lS4_S1_lS2_PT7_S1_li.num_agpr, 0
	.set _ZL41rocblas_syrkx_herkx_small_restrict_kernelIldLi16ELb1ELb0ELc67ELc76EKddEviT_T0_PT6_S1_lS4_S1_lS2_PT7_S1_li.numbered_sgpr, 28
	.set _ZL41rocblas_syrkx_herkx_small_restrict_kernelIldLi16ELb1ELb0ELc67ELc76EKddEviT_T0_PT6_S1_lS4_S1_lS2_PT7_S1_li.num_named_barrier, 0
	.set _ZL41rocblas_syrkx_herkx_small_restrict_kernelIldLi16ELb1ELb0ELc67ELc76EKddEviT_T0_PT6_S1_lS4_S1_lS2_PT7_S1_li.private_seg_size, 0
	.set _ZL41rocblas_syrkx_herkx_small_restrict_kernelIldLi16ELb1ELb0ELc67ELc76EKddEviT_T0_PT6_S1_lS4_S1_lS2_PT7_S1_li.uses_vcc, 1
	.set _ZL41rocblas_syrkx_herkx_small_restrict_kernelIldLi16ELb1ELb0ELc67ELc76EKddEviT_T0_PT6_S1_lS4_S1_lS2_PT7_S1_li.uses_flat_scratch, 0
	.set _ZL41rocblas_syrkx_herkx_small_restrict_kernelIldLi16ELb1ELb0ELc67ELc76EKddEviT_T0_PT6_S1_lS4_S1_lS2_PT7_S1_li.has_dyn_sized_stack, 0
	.set _ZL41rocblas_syrkx_herkx_small_restrict_kernelIldLi16ELb1ELb0ELc67ELc76EKddEviT_T0_PT6_S1_lS4_S1_lS2_PT7_S1_li.has_recursion, 0
	.set _ZL41rocblas_syrkx_herkx_small_restrict_kernelIldLi16ELb1ELb0ELc67ELc76EKddEviT_T0_PT6_S1_lS4_S1_lS2_PT7_S1_li.has_indirect_call, 0
	.section	.AMDGPU.csdata,"",@progbits
; Kernel info:
; codeLenInByte = 852
; TotalNumSgprs: 32
; NumVgprs: 24
; ScratchSize: 0
; MemoryBound: 0
; FloatMode: 240
; IeeeMode: 1
; LDSByteSize: 4096 bytes/workgroup (compile time only)
; SGPRBlocks: 3
; VGPRBlocks: 5
; NumSGPRsForWavesPerEU: 32
; NumVGPRsForWavesPerEU: 24
; Occupancy: 10
; WaveLimiterHint : 0
; COMPUTE_PGM_RSRC2:SCRATCH_EN: 0
; COMPUTE_PGM_RSRC2:USER_SGPR: 6
; COMPUTE_PGM_RSRC2:TRAP_HANDLER: 0
; COMPUTE_PGM_RSRC2:TGID_X_EN: 1
; COMPUTE_PGM_RSRC2:TGID_Y_EN: 1
; COMPUTE_PGM_RSRC2:TGID_Z_EN: 1
; COMPUTE_PGM_RSRC2:TIDIG_COMP_CNT: 1
	.section	.text._ZL41rocblas_syrkx_herkx_small_restrict_kernelIldLi16ELb1ELb0ELc78ELc76EKddEviT_T0_PT6_S1_lS4_S1_lS2_PT7_S1_li,"axG",@progbits,_ZL41rocblas_syrkx_herkx_small_restrict_kernelIldLi16ELb1ELb0ELc78ELc76EKddEviT_T0_PT6_S1_lS4_S1_lS2_PT7_S1_li,comdat
	.globl	_ZL41rocblas_syrkx_herkx_small_restrict_kernelIldLi16ELb1ELb0ELc78ELc76EKddEviT_T0_PT6_S1_lS4_S1_lS2_PT7_S1_li ; -- Begin function _ZL41rocblas_syrkx_herkx_small_restrict_kernelIldLi16ELb1ELb0ELc78ELc76EKddEviT_T0_PT6_S1_lS4_S1_lS2_PT7_S1_li
	.p2align	8
	.type	_ZL41rocblas_syrkx_herkx_small_restrict_kernelIldLi16ELb1ELb0ELc78ELc76EKddEviT_T0_PT6_S1_lS4_S1_lS2_PT7_S1_li,@function
_ZL41rocblas_syrkx_herkx_small_restrict_kernelIldLi16ELb1ELb0ELc78ELc76EKddEviT_T0_PT6_S1_lS4_S1_lS2_PT7_S1_li: ; @_ZL41rocblas_syrkx_herkx_small_restrict_kernelIldLi16ELb1ELb0ELc78ELc76EKddEviT_T0_PT6_S1_lS4_S1_lS2_PT7_S1_li
; %bb.0:
	s_load_dwordx16 s[12:27], s[4:5], 0x8
	v_lshl_add_u32 v2, s6, 4, v0
	v_lshl_add_u32 v4, s7, 4, v1
	v_ashrrev_i32_e32 v3, 31, v2
	v_ashrrev_i32_e32 v5, 31, v4
	s_waitcnt lgkmcnt(0)
	v_cmp_lt_i64_e64 s[0:1], s[12:13], 1
	s_and_b64 vcc, exec, s[0:1]
	s_cbranch_vccnz .LBB1041_6
; %bb.1:
	v_lshlrev_b32_e32 v6, 7, v1
	v_lshlrev_b32_e32 v12, 3, v0
	v_add_u32_e32 v13, v12, v6
	v_add_u32_e32 v14, 0x800, v6
	v_mad_u64_u32 v[6:7], s[0:1], s24, v0, 0
	s_mul_i32 s2, s27, s8
	s_mul_hi_u32 s3, s26, s8
	v_mad_u64_u32 v[7:8], s[0:1], s25, v0, v[7:8]
	s_add_i32 s1, s3, s2
	s_mul_i32 s0, s26, s8
	v_lshlrev_b64 v[6:7], 3, v[6:7]
	s_lshl_b64 s[0:1], s[0:1], 3
	v_mov_b32_e32 v0, s1
	v_add_co_u32_e32 v8, vcc, s0, v6
	v_addc_co_u32_e32 v0, vcc, v0, v7, vcc
	v_lshlrev_b64 v[6:7], 3, v[4:5]
	s_mul_i32 s6, s21, s8
	v_add_co_u32_e32 v6, vcc, v8, v6
	v_mad_u64_u32 v[8:9], s[0:1], s18, v1, 0
	v_addc_co_u32_e32 v0, vcc, v0, v7, vcc
	v_mov_b32_e32 v7, s23
	v_add_co_u32_e32 v6, vcc, s22, v6
	v_addc_co_u32_e32 v7, vcc, v7, v0, vcc
	v_mov_b32_e32 v0, v9
	v_mad_u64_u32 v[0:1], s[0:1], s19, v1, v[0:1]
	s_mul_hi_u32 s7, s20, s8
	s_add_i32 s1, s7, s6
	v_mov_b32_e32 v9, v0
	s_mul_i32 s0, s20, s8
	v_lshlrev_b64 v[0:1], 3, v[8:9]
	s_lshl_b64 s[0:1], s[0:1], 3
	v_mov_b32_e32 v8, s1
	v_add_co_u32_e32 v9, vcc, s0, v0
	v_addc_co_u32_e32 v8, vcc, v8, v1, vcc
	v_lshlrev_b64 v[0:1], 3, v[2:3]
	s_lshl_b64 s[2:3], s[24:25], 7
	v_add_co_u32_e32 v0, vcc, v9, v0
	v_addc_co_u32_e32 v1, vcc, v8, v1, vcc
	v_mov_b32_e32 v8, s17
	v_add_co_u32_e32 v0, vcc, s16, v0
	v_addc_co_u32_e32 v1, vcc, v8, v1, vcc
	s_lshl_b64 s[6:7], s[18:19], 7
	v_mov_b32_e32 v10, 0
	v_mov_b32_e32 v8, s12
	v_add_u32_e32 v15, v14, v12
	v_mov_b32_e32 v11, 0
	s_mov_b64 s[10:11], 0
	v_mov_b32_e32 v16, s3
	v_mov_b32_e32 v17, s7
	;; [unrolled: 1-line block ×3, first 2 shown]
.LBB1041_2:                             ; =>This Inner Loop Header: Depth=1
	global_load_dwordx2 v[18:19], v[0:1], off
	s_add_u32 s10, s10, 16
	v_add_co_u32_e64 v0, s[0:1], s6, v0
	s_addc_u32 s11, s11, 0
	s_waitcnt vmcnt(0)
	ds_write_b64 v13, v[18:19]
	global_load_dwordx2 v[18:19], v[6:7], off
	v_add_co_u32_e32 v6, vcc, s2, v6
	v_addc_co_u32_e32 v7, vcc, v7, v16, vcc
	v_addc_co_u32_e64 v1, vcc, v1, v17, s[0:1]
	v_cmp_lt_i64_e32 vcc, s[10:11], v[8:9]
	s_and_b64 vcc, exec, vcc
	s_waitcnt vmcnt(0)
	ds_write_b64 v15, v[18:19]
	s_waitcnt lgkmcnt(0)
	s_barrier
	ds_read2_b64 v[18:21], v12 offset1:16
	ds_read_b128 v[22:25], v14
	s_waitcnt lgkmcnt(0)
	v_fma_f64 v[10:11], v[18:19], v[22:23], v[10:11]
	v_fma_f64 v[10:11], v[20:21], v[24:25], v[10:11]
	ds_read_b128 v[18:21], v14 offset:16
	ds_read2_b64 v[22:25], v12 offset0:32 offset1:48
	s_waitcnt lgkmcnt(0)
	v_fma_f64 v[10:11], v[22:23], v[18:19], v[10:11]
	v_fma_f64 v[10:11], v[24:25], v[20:21], v[10:11]
	ds_read2_b64 v[18:21], v12 offset0:64 offset1:80
	ds_read_b128 v[22:25], v14 offset:32
	s_waitcnt lgkmcnt(0)
	v_fma_f64 v[10:11], v[18:19], v[22:23], v[10:11]
	v_fma_f64 v[10:11], v[20:21], v[24:25], v[10:11]
	ds_read_b128 v[18:21], v14 offset:48
	ds_read2_b64 v[22:25], v12 offset0:96 offset1:112
	s_waitcnt lgkmcnt(0)
	v_fma_f64 v[10:11], v[22:23], v[18:19], v[10:11]
	v_fma_f64 v[10:11], v[24:25], v[20:21], v[10:11]
	ds_read2_b64 v[18:21], v12 offset0:128 offset1:144
	ds_read_b128 v[22:25], v14 offset:64
	;; [unrolled: 10-line block ×3, first 2 shown]
	s_waitcnt lgkmcnt(0)
	v_fma_f64 v[10:11], v[18:19], v[22:23], v[10:11]
	v_fma_f64 v[10:11], v[20:21], v[24:25], v[10:11]
	ds_read_b128 v[18:21], v14 offset:112
	ds_read2_b64 v[22:25], v12 offset0:224 offset1:240
	s_waitcnt lgkmcnt(0)
	s_barrier
	v_fma_f64 v[10:11], v[22:23], v[18:19], v[10:11]
	v_fma_f64 v[10:11], v[24:25], v[20:21], v[10:11]
	s_cbranch_vccnz .LBB1041_2
; %bb.3:
	v_cmp_le_i32_e32 vcc, v4, v2
	s_and_saveexec_b64 s[0:1], vcc
	s_cbranch_execz .LBB1041_5
.LBB1041_4:
	s_load_dwordx2 s[6:7], s[4:5], 0x60
	s_load_dwordx4 s[0:3], s[4:5], 0x50
	s_waitcnt lgkmcnt(0)
	s_mul_i32 s5, s7, s8
	v_mul_lo_u32 v6, s3, v4
	v_mul_lo_u32 v7, s2, v5
	v_mad_u64_u32 v[0:1], s[2:3], s2, v4, 0
	s_mul_hi_u32 s7, s6, s8
	s_mul_i32 s4, s6, s8
	s_add_i32 s5, s7, s5
	s_lshl_b64 s[4:5], s[4:5], 3
	v_mul_f64 v[4:5], s[14:15], v[10:11]
	v_add3_u32 v1, v1, v7, v6
	s_add_u32 s0, s0, s4
	v_lshlrev_b64 v[0:1], 3, v[0:1]
	s_addc_u32 s1, s1, s5
	v_mov_b32_e32 v6, s1
	v_add_co_u32_e32 v7, vcc, s0, v0
	v_addc_co_u32_e32 v6, vcc, v6, v1, vcc
	v_lshlrev_b64 v[0:1], 3, v[2:3]
	v_add_co_u32_e32 v0, vcc, v7, v0
	v_addc_co_u32_e32 v1, vcc, v6, v1, vcc
	global_store_dwordx2 v[0:1], v[4:5], off
.LBB1041_5:
	s_endpgm
.LBB1041_6:
	v_mov_b32_e32 v10, 0
	v_mov_b32_e32 v11, 0
	v_cmp_le_i32_e32 vcc, v4, v2
	s_and_saveexec_b64 s[0:1], vcc
	s_cbranch_execnz .LBB1041_4
	s_branch .LBB1041_5
	.section	.rodata,"a",@progbits
	.p2align	6, 0x0
	.amdhsa_kernel _ZL41rocblas_syrkx_herkx_small_restrict_kernelIldLi16ELb1ELb0ELc78ELc76EKddEviT_T0_PT6_S1_lS4_S1_lS2_PT7_S1_li
		.amdhsa_group_segment_fixed_size 4096
		.amdhsa_private_segment_fixed_size 0
		.amdhsa_kernarg_size 108
		.amdhsa_user_sgpr_count 6
		.amdhsa_user_sgpr_private_segment_buffer 1
		.amdhsa_user_sgpr_dispatch_ptr 0
		.amdhsa_user_sgpr_queue_ptr 0
		.amdhsa_user_sgpr_kernarg_segment_ptr 1
		.amdhsa_user_sgpr_dispatch_id 0
		.amdhsa_user_sgpr_flat_scratch_init 0
		.amdhsa_user_sgpr_private_segment_size 0
		.amdhsa_uses_dynamic_stack 0
		.amdhsa_system_sgpr_private_segment_wavefront_offset 0
		.amdhsa_system_sgpr_workgroup_id_x 1
		.amdhsa_system_sgpr_workgroup_id_y 1
		.amdhsa_system_sgpr_workgroup_id_z 1
		.amdhsa_system_sgpr_workgroup_info 0
		.amdhsa_system_vgpr_workitem_id 1
		.amdhsa_next_free_vgpr 26
		.amdhsa_next_free_sgpr 28
		.amdhsa_reserve_vcc 1
		.amdhsa_reserve_flat_scratch 0
		.amdhsa_float_round_mode_32 0
		.amdhsa_float_round_mode_16_64 0
		.amdhsa_float_denorm_mode_32 3
		.amdhsa_float_denorm_mode_16_64 3
		.amdhsa_dx10_clamp 1
		.amdhsa_ieee_mode 1
		.amdhsa_fp16_overflow 0
		.amdhsa_exception_fp_ieee_invalid_op 0
		.amdhsa_exception_fp_denorm_src 0
		.amdhsa_exception_fp_ieee_div_zero 0
		.amdhsa_exception_fp_ieee_overflow 0
		.amdhsa_exception_fp_ieee_underflow 0
		.amdhsa_exception_fp_ieee_inexact 0
		.amdhsa_exception_int_div_zero 0
	.end_amdhsa_kernel
	.section	.text._ZL41rocblas_syrkx_herkx_small_restrict_kernelIldLi16ELb1ELb0ELc78ELc76EKddEviT_T0_PT6_S1_lS4_S1_lS2_PT7_S1_li,"axG",@progbits,_ZL41rocblas_syrkx_herkx_small_restrict_kernelIldLi16ELb1ELb0ELc78ELc76EKddEviT_T0_PT6_S1_lS4_S1_lS2_PT7_S1_li,comdat
.Lfunc_end1041:
	.size	_ZL41rocblas_syrkx_herkx_small_restrict_kernelIldLi16ELb1ELb0ELc78ELc76EKddEviT_T0_PT6_S1_lS4_S1_lS2_PT7_S1_li, .Lfunc_end1041-_ZL41rocblas_syrkx_herkx_small_restrict_kernelIldLi16ELb1ELb0ELc78ELc76EKddEviT_T0_PT6_S1_lS4_S1_lS2_PT7_S1_li
                                        ; -- End function
	.set _ZL41rocblas_syrkx_herkx_small_restrict_kernelIldLi16ELb1ELb0ELc78ELc76EKddEviT_T0_PT6_S1_lS4_S1_lS2_PT7_S1_li.num_vgpr, 26
	.set _ZL41rocblas_syrkx_herkx_small_restrict_kernelIldLi16ELb1ELb0ELc78ELc76EKddEviT_T0_PT6_S1_lS4_S1_lS2_PT7_S1_li.num_agpr, 0
	.set _ZL41rocblas_syrkx_herkx_small_restrict_kernelIldLi16ELb1ELb0ELc78ELc76EKddEviT_T0_PT6_S1_lS4_S1_lS2_PT7_S1_li.numbered_sgpr, 28
	.set _ZL41rocblas_syrkx_herkx_small_restrict_kernelIldLi16ELb1ELb0ELc78ELc76EKddEviT_T0_PT6_S1_lS4_S1_lS2_PT7_S1_li.num_named_barrier, 0
	.set _ZL41rocblas_syrkx_herkx_small_restrict_kernelIldLi16ELb1ELb0ELc78ELc76EKddEviT_T0_PT6_S1_lS4_S1_lS2_PT7_S1_li.private_seg_size, 0
	.set _ZL41rocblas_syrkx_herkx_small_restrict_kernelIldLi16ELb1ELb0ELc78ELc76EKddEviT_T0_PT6_S1_lS4_S1_lS2_PT7_S1_li.uses_vcc, 1
	.set _ZL41rocblas_syrkx_herkx_small_restrict_kernelIldLi16ELb1ELb0ELc78ELc76EKddEviT_T0_PT6_S1_lS4_S1_lS2_PT7_S1_li.uses_flat_scratch, 0
	.set _ZL41rocblas_syrkx_herkx_small_restrict_kernelIldLi16ELb1ELb0ELc78ELc76EKddEviT_T0_PT6_S1_lS4_S1_lS2_PT7_S1_li.has_dyn_sized_stack, 0
	.set _ZL41rocblas_syrkx_herkx_small_restrict_kernelIldLi16ELb1ELb0ELc78ELc76EKddEviT_T0_PT6_S1_lS4_S1_lS2_PT7_S1_li.has_recursion, 0
	.set _ZL41rocblas_syrkx_herkx_small_restrict_kernelIldLi16ELb1ELb0ELc78ELc76EKddEviT_T0_PT6_S1_lS4_S1_lS2_PT7_S1_li.has_indirect_call, 0
	.section	.AMDGPU.csdata,"",@progbits
; Kernel info:
; codeLenInByte = 844
; TotalNumSgprs: 32
; NumVgprs: 26
; ScratchSize: 0
; MemoryBound: 0
; FloatMode: 240
; IeeeMode: 1
; LDSByteSize: 4096 bytes/workgroup (compile time only)
; SGPRBlocks: 3
; VGPRBlocks: 6
; NumSGPRsForWavesPerEU: 32
; NumVGPRsForWavesPerEU: 26
; Occupancy: 9
; WaveLimiterHint : 0
; COMPUTE_PGM_RSRC2:SCRATCH_EN: 0
; COMPUTE_PGM_RSRC2:USER_SGPR: 6
; COMPUTE_PGM_RSRC2:TRAP_HANDLER: 0
; COMPUTE_PGM_RSRC2:TGID_X_EN: 1
; COMPUTE_PGM_RSRC2:TGID_Y_EN: 1
; COMPUTE_PGM_RSRC2:TGID_Z_EN: 1
; COMPUTE_PGM_RSRC2:TIDIG_COMP_CNT: 1
	.section	.text._ZL41rocblas_syrkx_herkx_small_restrict_kernelIldLi16ELb1ELb0ELc84ELc85EKddEviT_T0_PT6_S1_lS4_S1_lS2_PT7_S1_li,"axG",@progbits,_ZL41rocblas_syrkx_herkx_small_restrict_kernelIldLi16ELb1ELb0ELc84ELc85EKddEviT_T0_PT6_S1_lS4_S1_lS2_PT7_S1_li,comdat
	.globl	_ZL41rocblas_syrkx_herkx_small_restrict_kernelIldLi16ELb1ELb0ELc84ELc85EKddEviT_T0_PT6_S1_lS4_S1_lS2_PT7_S1_li ; -- Begin function _ZL41rocblas_syrkx_herkx_small_restrict_kernelIldLi16ELb1ELb0ELc84ELc85EKddEviT_T0_PT6_S1_lS4_S1_lS2_PT7_S1_li
	.p2align	8
	.type	_ZL41rocblas_syrkx_herkx_small_restrict_kernelIldLi16ELb1ELb0ELc84ELc85EKddEviT_T0_PT6_S1_lS4_S1_lS2_PT7_S1_li,@function
_ZL41rocblas_syrkx_herkx_small_restrict_kernelIldLi16ELb1ELb0ELc84ELc85EKddEviT_T0_PT6_S1_lS4_S1_lS2_PT7_S1_li: ; @_ZL41rocblas_syrkx_herkx_small_restrict_kernelIldLi16ELb1ELb0ELc84ELc85EKddEviT_T0_PT6_S1_lS4_S1_lS2_PT7_S1_li
; %bb.0:
	s_load_dwordx16 s[12:27], s[4:5], 0x8
	v_lshl_add_u32 v2, s6, 4, v0
	v_lshl_add_u32 v10, s7, 4, v1
	v_ashrrev_i32_e32 v3, 31, v2
	v_ashrrev_i32_e32 v11, 31, v10
	s_waitcnt lgkmcnt(0)
	v_cmp_lt_i64_e64 s[0:1], s[12:13], 1
	s_and_b64 vcc, exec, s[0:1]
	s_cbranch_vccnz .LBB1042_6
; %bb.1:
	v_lshlrev_b32_e32 v12, 3, v0
	v_mul_lo_u32 v0, s25, v10
	v_mul_lo_u32 v7, s24, v11
	v_mad_u64_u32 v[4:5], s[0:1], s24, v10, 0
	s_mul_i32 s0, s27, s8
	s_mul_hi_u32 s1, s26, s8
	v_add3_u32 v5, v5, v7, v0
	v_lshlrev_b64 v[4:5], 3, v[4:5]
	s_add_i32 s1, s1, s0
	s_mul_i32 s0, s26, s8
	v_lshlrev_b32_e32 v6, 7, v1
	s_lshl_b64 s[0:1], s[0:1], 3
	v_add_u32_e32 v13, v12, v6
	v_add_u32_e32 v14, 0x800, v6
	v_mov_b32_e32 v0, s1
	v_add_co_u32_e32 v4, vcc, s0, v4
	v_mul_lo_u32 v8, s19, v2
	v_mul_lo_u32 v9, s18, v3
	v_mad_u64_u32 v[6:7], s[0:1], s18, v2, 0
	v_addc_co_u32_e32 v0, vcc, v5, v0, vcc
	v_add_co_u32_e32 v4, vcc, v4, v12
	v_addc_co_u32_e32 v0, vcc, 0, v0, vcc
	v_add3_u32 v7, v7, v9, v8
	s_mul_i32 s0, s21, s8
	s_mul_hi_u32 s1, s20, s8
	v_mov_b32_e32 v5, s23
	v_add_co_u32_e32 v4, vcc, s22, v4
	v_lshlrev_b64 v[6:7], 3, v[6:7]
	s_add_i32 s1, s1, s0
	s_mul_i32 s0, s20, s8
	v_addc_co_u32_e32 v5, vcc, v5, v0, vcc
	s_lshl_b64 s[0:1], s[0:1], 3
	v_mov_b32_e32 v0, s1
	v_add_co_u32_e32 v6, vcc, s0, v6
	v_addc_co_u32_e32 v0, vcc, v7, v0, vcc
	v_lshlrev_b32_e32 v1, 3, v1
	v_add_co_u32_e32 v1, vcc, v6, v1
	v_addc_co_u32_e32 v6, vcc, 0, v0, vcc
	v_mov_b32_e32 v7, s17
	v_add_co_u32_e32 v0, vcc, s16, v1
	v_addc_co_u32_e32 v1, vcc, v7, v6, vcc
	v_mov_b32_e32 v8, 0
	v_mov_b32_e32 v6, s12
	v_add_u32_e32 v15, v14, v12
	v_mov_b32_e32 v9, 0
	s_mov_b64 s[2:3], 0
	v_mov_b32_e32 v7, s13
.LBB1042_2:                             ; =>This Inner Loop Header: Depth=1
	global_load_dwordx2 v[16:17], v[0:1], off
	global_load_dwordx2 v[18:19], v[4:5], off
	v_add_co_u32_e32 v4, vcc, 0x80, v4
	s_add_u32 s2, s2, 16
	s_mov_b64 s[0:1], vcc
	s_addc_u32 s3, s3, 0
	v_addc_co_u32_e64 v5, s[0:1], 0, v5, s[0:1]
	v_add_co_u32_e32 v0, vcc, 0x80, v0
	v_cmp_lt_i64_e64 s[0:1], s[2:3], v[6:7]
	v_addc_co_u32_e32 v1, vcc, 0, v1, vcc
	s_and_b64 vcc, exec, s[0:1]
	s_waitcnt vmcnt(1)
	ds_write_b64 v13, v[16:17]
	s_waitcnt vmcnt(0)
	ds_write_b64 v15, v[18:19]
	s_waitcnt lgkmcnt(0)
	s_barrier
	ds_read2_b64 v[16:19], v12 offset1:16
	ds_read_b128 v[20:23], v14
	s_waitcnt lgkmcnt(0)
	v_fma_f64 v[8:9], v[16:17], v[20:21], v[8:9]
	v_fma_f64 v[8:9], v[18:19], v[22:23], v[8:9]
	ds_read_b128 v[16:19], v14 offset:16
	ds_read2_b64 v[20:23], v12 offset0:32 offset1:48
	s_waitcnt lgkmcnt(0)
	v_fma_f64 v[8:9], v[20:21], v[16:17], v[8:9]
	v_fma_f64 v[8:9], v[22:23], v[18:19], v[8:9]
	ds_read2_b64 v[16:19], v12 offset0:64 offset1:80
	ds_read_b128 v[20:23], v14 offset:32
	s_waitcnt lgkmcnt(0)
	v_fma_f64 v[8:9], v[16:17], v[20:21], v[8:9]
	v_fma_f64 v[8:9], v[18:19], v[22:23], v[8:9]
	ds_read_b128 v[16:19], v14 offset:48
	ds_read2_b64 v[20:23], v12 offset0:96 offset1:112
	s_waitcnt lgkmcnt(0)
	v_fma_f64 v[8:9], v[20:21], v[16:17], v[8:9]
	v_fma_f64 v[8:9], v[22:23], v[18:19], v[8:9]
	ds_read2_b64 v[16:19], v12 offset0:128 offset1:144
	ds_read_b128 v[20:23], v14 offset:64
	;; [unrolled: 10-line block ×3, first 2 shown]
	s_waitcnt lgkmcnt(0)
	v_fma_f64 v[8:9], v[16:17], v[20:21], v[8:9]
	v_fma_f64 v[8:9], v[18:19], v[22:23], v[8:9]
	ds_read_b128 v[16:19], v14 offset:112
	ds_read2_b64 v[20:23], v12 offset0:224 offset1:240
	s_waitcnt lgkmcnt(0)
	s_barrier
	v_fma_f64 v[8:9], v[20:21], v[16:17], v[8:9]
	v_fma_f64 v[8:9], v[22:23], v[18:19], v[8:9]
	s_cbranch_vccnz .LBB1042_2
; %bb.3:
	v_cmp_le_i32_e32 vcc, v2, v10
	s_and_saveexec_b64 s[0:1], vcc
	s_cbranch_execz .LBB1042_5
.LBB1042_4:
	s_load_dwordx2 s[6:7], s[4:5], 0x60
	s_load_dwordx4 s[0:3], s[4:5], 0x50
	v_mul_f64 v[4:5], s[14:15], v[8:9]
	s_waitcnt lgkmcnt(0)
	s_mul_i32 s5, s7, s8
	v_mul_lo_u32 v6, s3, v10
	v_mul_lo_u32 v7, s2, v11
	v_mad_u64_u32 v[0:1], s[2:3], s2, v10, 0
	s_mul_hi_u32 s7, s6, s8
	s_mul_i32 s4, s6, s8
	s_add_i32 s5, s7, s5
	s_lshl_b64 s[4:5], s[4:5], 3
	v_add3_u32 v1, v1, v7, v6
	s_add_u32 s0, s0, s4
	v_lshlrev_b64 v[0:1], 3, v[0:1]
	s_addc_u32 s1, s1, s5
	v_mov_b32_e32 v6, s1
	v_add_co_u32_e32 v7, vcc, s0, v0
	v_addc_co_u32_e32 v6, vcc, v6, v1, vcc
	v_lshlrev_b64 v[0:1], 3, v[2:3]
	v_add_co_u32_e32 v0, vcc, v7, v0
	v_addc_co_u32_e32 v1, vcc, v6, v1, vcc
	global_store_dwordx2 v[0:1], v[4:5], off
.LBB1042_5:
	s_endpgm
.LBB1042_6:
	v_mov_b32_e32 v8, 0
	v_mov_b32_e32 v9, 0
	v_cmp_le_i32_e32 vcc, v2, v10
	s_and_saveexec_b64 s[0:1], vcc
	s_cbranch_execnz .LBB1042_4
	s_branch .LBB1042_5
	.section	.rodata,"a",@progbits
	.p2align	6, 0x0
	.amdhsa_kernel _ZL41rocblas_syrkx_herkx_small_restrict_kernelIldLi16ELb1ELb0ELc84ELc85EKddEviT_T0_PT6_S1_lS4_S1_lS2_PT7_S1_li
		.amdhsa_group_segment_fixed_size 4096
		.amdhsa_private_segment_fixed_size 0
		.amdhsa_kernarg_size 108
		.amdhsa_user_sgpr_count 6
		.amdhsa_user_sgpr_private_segment_buffer 1
		.amdhsa_user_sgpr_dispatch_ptr 0
		.amdhsa_user_sgpr_queue_ptr 0
		.amdhsa_user_sgpr_kernarg_segment_ptr 1
		.amdhsa_user_sgpr_dispatch_id 0
		.amdhsa_user_sgpr_flat_scratch_init 0
		.amdhsa_user_sgpr_private_segment_size 0
		.amdhsa_uses_dynamic_stack 0
		.amdhsa_system_sgpr_private_segment_wavefront_offset 0
		.amdhsa_system_sgpr_workgroup_id_x 1
		.amdhsa_system_sgpr_workgroup_id_y 1
		.amdhsa_system_sgpr_workgroup_id_z 1
		.amdhsa_system_sgpr_workgroup_info 0
		.amdhsa_system_vgpr_workitem_id 1
		.amdhsa_next_free_vgpr 24
		.amdhsa_next_free_sgpr 28
		.amdhsa_reserve_vcc 1
		.amdhsa_reserve_flat_scratch 0
		.amdhsa_float_round_mode_32 0
		.amdhsa_float_round_mode_16_64 0
		.amdhsa_float_denorm_mode_32 3
		.amdhsa_float_denorm_mode_16_64 3
		.amdhsa_dx10_clamp 1
		.amdhsa_ieee_mode 1
		.amdhsa_fp16_overflow 0
		.amdhsa_exception_fp_ieee_invalid_op 0
		.amdhsa_exception_fp_denorm_src 0
		.amdhsa_exception_fp_ieee_div_zero 0
		.amdhsa_exception_fp_ieee_overflow 0
		.amdhsa_exception_fp_ieee_underflow 0
		.amdhsa_exception_fp_ieee_inexact 0
		.amdhsa_exception_int_div_zero 0
	.end_amdhsa_kernel
	.section	.text._ZL41rocblas_syrkx_herkx_small_restrict_kernelIldLi16ELb1ELb0ELc84ELc85EKddEviT_T0_PT6_S1_lS4_S1_lS2_PT7_S1_li,"axG",@progbits,_ZL41rocblas_syrkx_herkx_small_restrict_kernelIldLi16ELb1ELb0ELc84ELc85EKddEviT_T0_PT6_S1_lS4_S1_lS2_PT7_S1_li,comdat
.Lfunc_end1042:
	.size	_ZL41rocblas_syrkx_herkx_small_restrict_kernelIldLi16ELb1ELb0ELc84ELc85EKddEviT_T0_PT6_S1_lS4_S1_lS2_PT7_S1_li, .Lfunc_end1042-_ZL41rocblas_syrkx_herkx_small_restrict_kernelIldLi16ELb1ELb0ELc84ELc85EKddEviT_T0_PT6_S1_lS4_S1_lS2_PT7_S1_li
                                        ; -- End function
	.set _ZL41rocblas_syrkx_herkx_small_restrict_kernelIldLi16ELb1ELb0ELc84ELc85EKddEviT_T0_PT6_S1_lS4_S1_lS2_PT7_S1_li.num_vgpr, 24
	.set _ZL41rocblas_syrkx_herkx_small_restrict_kernelIldLi16ELb1ELb0ELc84ELc85EKddEviT_T0_PT6_S1_lS4_S1_lS2_PT7_S1_li.num_agpr, 0
	.set _ZL41rocblas_syrkx_herkx_small_restrict_kernelIldLi16ELb1ELb0ELc84ELc85EKddEviT_T0_PT6_S1_lS4_S1_lS2_PT7_S1_li.numbered_sgpr, 28
	.set _ZL41rocblas_syrkx_herkx_small_restrict_kernelIldLi16ELb1ELb0ELc84ELc85EKddEviT_T0_PT6_S1_lS4_S1_lS2_PT7_S1_li.num_named_barrier, 0
	.set _ZL41rocblas_syrkx_herkx_small_restrict_kernelIldLi16ELb1ELb0ELc84ELc85EKddEviT_T0_PT6_S1_lS4_S1_lS2_PT7_S1_li.private_seg_size, 0
	.set _ZL41rocblas_syrkx_herkx_small_restrict_kernelIldLi16ELb1ELb0ELc84ELc85EKddEviT_T0_PT6_S1_lS4_S1_lS2_PT7_S1_li.uses_vcc, 1
	.set _ZL41rocblas_syrkx_herkx_small_restrict_kernelIldLi16ELb1ELb0ELc84ELc85EKddEviT_T0_PT6_S1_lS4_S1_lS2_PT7_S1_li.uses_flat_scratch, 0
	.set _ZL41rocblas_syrkx_herkx_small_restrict_kernelIldLi16ELb1ELb0ELc84ELc85EKddEviT_T0_PT6_S1_lS4_S1_lS2_PT7_S1_li.has_dyn_sized_stack, 0
	.set _ZL41rocblas_syrkx_herkx_small_restrict_kernelIldLi16ELb1ELb0ELc84ELc85EKddEviT_T0_PT6_S1_lS4_S1_lS2_PT7_S1_li.has_recursion, 0
	.set _ZL41rocblas_syrkx_herkx_small_restrict_kernelIldLi16ELb1ELb0ELc84ELc85EKddEviT_T0_PT6_S1_lS4_S1_lS2_PT7_S1_li.has_indirect_call, 0
	.section	.AMDGPU.csdata,"",@progbits
; Kernel info:
; codeLenInByte = 852
; TotalNumSgprs: 32
; NumVgprs: 24
; ScratchSize: 0
; MemoryBound: 0
; FloatMode: 240
; IeeeMode: 1
; LDSByteSize: 4096 bytes/workgroup (compile time only)
; SGPRBlocks: 3
; VGPRBlocks: 5
; NumSGPRsForWavesPerEU: 32
; NumVGPRsForWavesPerEU: 24
; Occupancy: 10
; WaveLimiterHint : 0
; COMPUTE_PGM_RSRC2:SCRATCH_EN: 0
; COMPUTE_PGM_RSRC2:USER_SGPR: 6
; COMPUTE_PGM_RSRC2:TRAP_HANDLER: 0
; COMPUTE_PGM_RSRC2:TGID_X_EN: 1
; COMPUTE_PGM_RSRC2:TGID_Y_EN: 1
; COMPUTE_PGM_RSRC2:TGID_Z_EN: 1
; COMPUTE_PGM_RSRC2:TIDIG_COMP_CNT: 1
	.section	.text._ZL41rocblas_syrkx_herkx_small_restrict_kernelIldLi16ELb1ELb0ELc67ELc85EKddEviT_T0_PT6_S1_lS4_S1_lS2_PT7_S1_li,"axG",@progbits,_ZL41rocblas_syrkx_herkx_small_restrict_kernelIldLi16ELb1ELb0ELc67ELc85EKddEviT_T0_PT6_S1_lS4_S1_lS2_PT7_S1_li,comdat
	.globl	_ZL41rocblas_syrkx_herkx_small_restrict_kernelIldLi16ELb1ELb0ELc67ELc85EKddEviT_T0_PT6_S1_lS4_S1_lS2_PT7_S1_li ; -- Begin function _ZL41rocblas_syrkx_herkx_small_restrict_kernelIldLi16ELb1ELb0ELc67ELc85EKddEviT_T0_PT6_S1_lS4_S1_lS2_PT7_S1_li
	.p2align	8
	.type	_ZL41rocblas_syrkx_herkx_small_restrict_kernelIldLi16ELb1ELb0ELc67ELc85EKddEviT_T0_PT6_S1_lS4_S1_lS2_PT7_S1_li,@function
_ZL41rocblas_syrkx_herkx_small_restrict_kernelIldLi16ELb1ELb0ELc67ELc85EKddEviT_T0_PT6_S1_lS4_S1_lS2_PT7_S1_li: ; @_ZL41rocblas_syrkx_herkx_small_restrict_kernelIldLi16ELb1ELb0ELc67ELc85EKddEviT_T0_PT6_S1_lS4_S1_lS2_PT7_S1_li
; %bb.0:
	s_load_dwordx16 s[12:27], s[4:5], 0x8
	v_lshl_add_u32 v2, s6, 4, v0
	v_lshl_add_u32 v10, s7, 4, v1
	v_ashrrev_i32_e32 v3, 31, v2
	v_ashrrev_i32_e32 v11, 31, v10
	s_waitcnt lgkmcnt(0)
	v_cmp_lt_i64_e64 s[0:1], s[12:13], 1
	s_and_b64 vcc, exec, s[0:1]
	s_cbranch_vccnz .LBB1043_6
; %bb.1:
	v_lshlrev_b32_e32 v12, 3, v0
	v_mul_lo_u32 v0, s25, v10
	v_mul_lo_u32 v7, s24, v11
	v_mad_u64_u32 v[4:5], s[0:1], s24, v10, 0
	s_mul_i32 s0, s27, s8
	s_mul_hi_u32 s1, s26, s8
	v_add3_u32 v5, v5, v7, v0
	v_lshlrev_b64 v[4:5], 3, v[4:5]
	s_add_i32 s1, s1, s0
	s_mul_i32 s0, s26, s8
	v_lshlrev_b32_e32 v6, 7, v1
	s_lshl_b64 s[0:1], s[0:1], 3
	v_add_u32_e32 v13, v12, v6
	v_add_u32_e32 v14, 0x800, v6
	v_mov_b32_e32 v0, s1
	v_add_co_u32_e32 v4, vcc, s0, v4
	v_mul_lo_u32 v8, s19, v2
	v_mul_lo_u32 v9, s18, v3
	v_mad_u64_u32 v[6:7], s[0:1], s18, v2, 0
	v_addc_co_u32_e32 v0, vcc, v5, v0, vcc
	v_add_co_u32_e32 v4, vcc, v4, v12
	v_addc_co_u32_e32 v0, vcc, 0, v0, vcc
	v_add3_u32 v7, v7, v9, v8
	s_mul_i32 s0, s21, s8
	s_mul_hi_u32 s1, s20, s8
	v_mov_b32_e32 v5, s23
	v_add_co_u32_e32 v4, vcc, s22, v4
	v_lshlrev_b64 v[6:7], 3, v[6:7]
	s_add_i32 s1, s1, s0
	s_mul_i32 s0, s20, s8
	v_addc_co_u32_e32 v5, vcc, v5, v0, vcc
	s_lshl_b64 s[0:1], s[0:1], 3
	v_mov_b32_e32 v0, s1
	v_add_co_u32_e32 v6, vcc, s0, v6
	v_addc_co_u32_e32 v0, vcc, v7, v0, vcc
	v_lshlrev_b32_e32 v1, 3, v1
	v_add_co_u32_e32 v1, vcc, v6, v1
	v_addc_co_u32_e32 v6, vcc, 0, v0, vcc
	v_mov_b32_e32 v7, s17
	v_add_co_u32_e32 v0, vcc, s16, v1
	v_addc_co_u32_e32 v1, vcc, v7, v6, vcc
	v_mov_b32_e32 v8, 0
	v_mov_b32_e32 v6, s12
	v_add_u32_e32 v15, v14, v12
	v_mov_b32_e32 v9, 0
	s_mov_b64 s[2:3], 0
	v_mov_b32_e32 v7, s13
.LBB1043_2:                             ; =>This Inner Loop Header: Depth=1
	global_load_dwordx2 v[16:17], v[0:1], off
	global_load_dwordx2 v[18:19], v[4:5], off
	v_add_co_u32_e32 v4, vcc, 0x80, v4
	s_add_u32 s2, s2, 16
	s_mov_b64 s[0:1], vcc
	s_addc_u32 s3, s3, 0
	v_addc_co_u32_e64 v5, s[0:1], 0, v5, s[0:1]
	v_add_co_u32_e32 v0, vcc, 0x80, v0
	v_cmp_lt_i64_e64 s[0:1], s[2:3], v[6:7]
	v_addc_co_u32_e32 v1, vcc, 0, v1, vcc
	s_and_b64 vcc, exec, s[0:1]
	s_waitcnt vmcnt(1)
	ds_write_b64 v13, v[16:17]
	s_waitcnt vmcnt(0)
	ds_write_b64 v15, v[18:19]
	s_waitcnt lgkmcnt(0)
	s_barrier
	ds_read2_b64 v[16:19], v12 offset1:16
	ds_read_b128 v[20:23], v14
	s_waitcnt lgkmcnt(0)
	v_fma_f64 v[8:9], v[16:17], v[20:21], v[8:9]
	v_fma_f64 v[8:9], v[18:19], v[22:23], v[8:9]
	ds_read_b128 v[16:19], v14 offset:16
	ds_read2_b64 v[20:23], v12 offset0:32 offset1:48
	s_waitcnt lgkmcnt(0)
	v_fma_f64 v[8:9], v[20:21], v[16:17], v[8:9]
	v_fma_f64 v[8:9], v[22:23], v[18:19], v[8:9]
	ds_read2_b64 v[16:19], v12 offset0:64 offset1:80
	ds_read_b128 v[20:23], v14 offset:32
	s_waitcnt lgkmcnt(0)
	v_fma_f64 v[8:9], v[16:17], v[20:21], v[8:9]
	v_fma_f64 v[8:9], v[18:19], v[22:23], v[8:9]
	ds_read_b128 v[16:19], v14 offset:48
	ds_read2_b64 v[20:23], v12 offset0:96 offset1:112
	s_waitcnt lgkmcnt(0)
	v_fma_f64 v[8:9], v[20:21], v[16:17], v[8:9]
	v_fma_f64 v[8:9], v[22:23], v[18:19], v[8:9]
	ds_read2_b64 v[16:19], v12 offset0:128 offset1:144
	ds_read_b128 v[20:23], v14 offset:64
	;; [unrolled: 10-line block ×3, first 2 shown]
	s_waitcnt lgkmcnt(0)
	v_fma_f64 v[8:9], v[16:17], v[20:21], v[8:9]
	v_fma_f64 v[8:9], v[18:19], v[22:23], v[8:9]
	ds_read_b128 v[16:19], v14 offset:112
	ds_read2_b64 v[20:23], v12 offset0:224 offset1:240
	s_waitcnt lgkmcnt(0)
	s_barrier
	v_fma_f64 v[8:9], v[20:21], v[16:17], v[8:9]
	v_fma_f64 v[8:9], v[22:23], v[18:19], v[8:9]
	s_cbranch_vccnz .LBB1043_2
; %bb.3:
	v_cmp_le_i32_e32 vcc, v2, v10
	s_and_saveexec_b64 s[0:1], vcc
	s_cbranch_execz .LBB1043_5
.LBB1043_4:
	s_load_dwordx2 s[6:7], s[4:5], 0x60
	s_load_dwordx4 s[0:3], s[4:5], 0x50
	v_mul_f64 v[4:5], s[14:15], v[8:9]
	s_waitcnt lgkmcnt(0)
	s_mul_i32 s5, s7, s8
	v_mul_lo_u32 v6, s3, v10
	v_mul_lo_u32 v7, s2, v11
	v_mad_u64_u32 v[0:1], s[2:3], s2, v10, 0
	s_mul_hi_u32 s7, s6, s8
	s_mul_i32 s4, s6, s8
	s_add_i32 s5, s7, s5
	s_lshl_b64 s[4:5], s[4:5], 3
	v_add3_u32 v1, v1, v7, v6
	s_add_u32 s0, s0, s4
	v_lshlrev_b64 v[0:1], 3, v[0:1]
	s_addc_u32 s1, s1, s5
	v_mov_b32_e32 v6, s1
	v_add_co_u32_e32 v7, vcc, s0, v0
	v_addc_co_u32_e32 v6, vcc, v6, v1, vcc
	v_lshlrev_b64 v[0:1], 3, v[2:3]
	v_add_co_u32_e32 v0, vcc, v7, v0
	v_addc_co_u32_e32 v1, vcc, v6, v1, vcc
	global_store_dwordx2 v[0:1], v[4:5], off
.LBB1043_5:
	s_endpgm
.LBB1043_6:
	v_mov_b32_e32 v8, 0
	v_mov_b32_e32 v9, 0
	v_cmp_le_i32_e32 vcc, v2, v10
	s_and_saveexec_b64 s[0:1], vcc
	s_cbranch_execnz .LBB1043_4
	s_branch .LBB1043_5
	.section	.rodata,"a",@progbits
	.p2align	6, 0x0
	.amdhsa_kernel _ZL41rocblas_syrkx_herkx_small_restrict_kernelIldLi16ELb1ELb0ELc67ELc85EKddEviT_T0_PT6_S1_lS4_S1_lS2_PT7_S1_li
		.amdhsa_group_segment_fixed_size 4096
		.amdhsa_private_segment_fixed_size 0
		.amdhsa_kernarg_size 108
		.amdhsa_user_sgpr_count 6
		.amdhsa_user_sgpr_private_segment_buffer 1
		.amdhsa_user_sgpr_dispatch_ptr 0
		.amdhsa_user_sgpr_queue_ptr 0
		.amdhsa_user_sgpr_kernarg_segment_ptr 1
		.amdhsa_user_sgpr_dispatch_id 0
		.amdhsa_user_sgpr_flat_scratch_init 0
		.amdhsa_user_sgpr_private_segment_size 0
		.amdhsa_uses_dynamic_stack 0
		.amdhsa_system_sgpr_private_segment_wavefront_offset 0
		.amdhsa_system_sgpr_workgroup_id_x 1
		.amdhsa_system_sgpr_workgroup_id_y 1
		.amdhsa_system_sgpr_workgroup_id_z 1
		.amdhsa_system_sgpr_workgroup_info 0
		.amdhsa_system_vgpr_workitem_id 1
		.amdhsa_next_free_vgpr 24
		.amdhsa_next_free_sgpr 28
		.amdhsa_reserve_vcc 1
		.amdhsa_reserve_flat_scratch 0
		.amdhsa_float_round_mode_32 0
		.amdhsa_float_round_mode_16_64 0
		.amdhsa_float_denorm_mode_32 3
		.amdhsa_float_denorm_mode_16_64 3
		.amdhsa_dx10_clamp 1
		.amdhsa_ieee_mode 1
		.amdhsa_fp16_overflow 0
		.amdhsa_exception_fp_ieee_invalid_op 0
		.amdhsa_exception_fp_denorm_src 0
		.amdhsa_exception_fp_ieee_div_zero 0
		.amdhsa_exception_fp_ieee_overflow 0
		.amdhsa_exception_fp_ieee_underflow 0
		.amdhsa_exception_fp_ieee_inexact 0
		.amdhsa_exception_int_div_zero 0
	.end_amdhsa_kernel
	.section	.text._ZL41rocblas_syrkx_herkx_small_restrict_kernelIldLi16ELb1ELb0ELc67ELc85EKddEviT_T0_PT6_S1_lS4_S1_lS2_PT7_S1_li,"axG",@progbits,_ZL41rocblas_syrkx_herkx_small_restrict_kernelIldLi16ELb1ELb0ELc67ELc85EKddEviT_T0_PT6_S1_lS4_S1_lS2_PT7_S1_li,comdat
.Lfunc_end1043:
	.size	_ZL41rocblas_syrkx_herkx_small_restrict_kernelIldLi16ELb1ELb0ELc67ELc85EKddEviT_T0_PT6_S1_lS4_S1_lS2_PT7_S1_li, .Lfunc_end1043-_ZL41rocblas_syrkx_herkx_small_restrict_kernelIldLi16ELb1ELb0ELc67ELc85EKddEviT_T0_PT6_S1_lS4_S1_lS2_PT7_S1_li
                                        ; -- End function
	.set _ZL41rocblas_syrkx_herkx_small_restrict_kernelIldLi16ELb1ELb0ELc67ELc85EKddEviT_T0_PT6_S1_lS4_S1_lS2_PT7_S1_li.num_vgpr, 24
	.set _ZL41rocblas_syrkx_herkx_small_restrict_kernelIldLi16ELb1ELb0ELc67ELc85EKddEviT_T0_PT6_S1_lS4_S1_lS2_PT7_S1_li.num_agpr, 0
	.set _ZL41rocblas_syrkx_herkx_small_restrict_kernelIldLi16ELb1ELb0ELc67ELc85EKddEviT_T0_PT6_S1_lS4_S1_lS2_PT7_S1_li.numbered_sgpr, 28
	.set _ZL41rocblas_syrkx_herkx_small_restrict_kernelIldLi16ELb1ELb0ELc67ELc85EKddEviT_T0_PT6_S1_lS4_S1_lS2_PT7_S1_li.num_named_barrier, 0
	.set _ZL41rocblas_syrkx_herkx_small_restrict_kernelIldLi16ELb1ELb0ELc67ELc85EKddEviT_T0_PT6_S1_lS4_S1_lS2_PT7_S1_li.private_seg_size, 0
	.set _ZL41rocblas_syrkx_herkx_small_restrict_kernelIldLi16ELb1ELb0ELc67ELc85EKddEviT_T0_PT6_S1_lS4_S1_lS2_PT7_S1_li.uses_vcc, 1
	.set _ZL41rocblas_syrkx_herkx_small_restrict_kernelIldLi16ELb1ELb0ELc67ELc85EKddEviT_T0_PT6_S1_lS4_S1_lS2_PT7_S1_li.uses_flat_scratch, 0
	.set _ZL41rocblas_syrkx_herkx_small_restrict_kernelIldLi16ELb1ELb0ELc67ELc85EKddEviT_T0_PT6_S1_lS4_S1_lS2_PT7_S1_li.has_dyn_sized_stack, 0
	.set _ZL41rocblas_syrkx_herkx_small_restrict_kernelIldLi16ELb1ELb0ELc67ELc85EKddEviT_T0_PT6_S1_lS4_S1_lS2_PT7_S1_li.has_recursion, 0
	.set _ZL41rocblas_syrkx_herkx_small_restrict_kernelIldLi16ELb1ELb0ELc67ELc85EKddEviT_T0_PT6_S1_lS4_S1_lS2_PT7_S1_li.has_indirect_call, 0
	.section	.AMDGPU.csdata,"",@progbits
; Kernel info:
; codeLenInByte = 852
; TotalNumSgprs: 32
; NumVgprs: 24
; ScratchSize: 0
; MemoryBound: 0
; FloatMode: 240
; IeeeMode: 1
; LDSByteSize: 4096 bytes/workgroup (compile time only)
; SGPRBlocks: 3
; VGPRBlocks: 5
; NumSGPRsForWavesPerEU: 32
; NumVGPRsForWavesPerEU: 24
; Occupancy: 10
; WaveLimiterHint : 0
; COMPUTE_PGM_RSRC2:SCRATCH_EN: 0
; COMPUTE_PGM_RSRC2:USER_SGPR: 6
; COMPUTE_PGM_RSRC2:TRAP_HANDLER: 0
; COMPUTE_PGM_RSRC2:TGID_X_EN: 1
; COMPUTE_PGM_RSRC2:TGID_Y_EN: 1
; COMPUTE_PGM_RSRC2:TGID_Z_EN: 1
; COMPUTE_PGM_RSRC2:TIDIG_COMP_CNT: 1
	.section	.text._ZL41rocblas_syrkx_herkx_small_restrict_kernelIldLi16ELb1ELb0ELc78ELc85EKddEviT_T0_PT6_S1_lS4_S1_lS2_PT7_S1_li,"axG",@progbits,_ZL41rocblas_syrkx_herkx_small_restrict_kernelIldLi16ELb1ELb0ELc78ELc85EKddEviT_T0_PT6_S1_lS4_S1_lS2_PT7_S1_li,comdat
	.globl	_ZL41rocblas_syrkx_herkx_small_restrict_kernelIldLi16ELb1ELb0ELc78ELc85EKddEviT_T0_PT6_S1_lS4_S1_lS2_PT7_S1_li ; -- Begin function _ZL41rocblas_syrkx_herkx_small_restrict_kernelIldLi16ELb1ELb0ELc78ELc85EKddEviT_T0_PT6_S1_lS4_S1_lS2_PT7_S1_li
	.p2align	8
	.type	_ZL41rocblas_syrkx_herkx_small_restrict_kernelIldLi16ELb1ELb0ELc78ELc85EKddEviT_T0_PT6_S1_lS4_S1_lS2_PT7_S1_li,@function
_ZL41rocblas_syrkx_herkx_small_restrict_kernelIldLi16ELb1ELb0ELc78ELc85EKddEviT_T0_PT6_S1_lS4_S1_lS2_PT7_S1_li: ; @_ZL41rocblas_syrkx_herkx_small_restrict_kernelIldLi16ELb1ELb0ELc78ELc85EKddEviT_T0_PT6_S1_lS4_S1_lS2_PT7_S1_li
; %bb.0:
	s_load_dwordx16 s[12:27], s[4:5], 0x8
	v_lshl_add_u32 v2, s6, 4, v0
	v_lshl_add_u32 v4, s7, 4, v1
	v_ashrrev_i32_e32 v3, 31, v2
	v_ashrrev_i32_e32 v5, 31, v4
	s_waitcnt lgkmcnt(0)
	v_cmp_lt_i64_e64 s[0:1], s[12:13], 1
	s_and_b64 vcc, exec, s[0:1]
	s_cbranch_vccnz .LBB1044_6
; %bb.1:
	v_lshlrev_b32_e32 v6, 7, v1
	v_lshlrev_b32_e32 v12, 3, v0
	v_add_u32_e32 v13, v12, v6
	v_add_u32_e32 v14, 0x800, v6
	v_mad_u64_u32 v[6:7], s[0:1], s24, v0, 0
	s_mul_i32 s2, s27, s8
	s_mul_hi_u32 s3, s26, s8
	v_mad_u64_u32 v[7:8], s[0:1], s25, v0, v[7:8]
	s_add_i32 s1, s3, s2
	s_mul_i32 s0, s26, s8
	v_lshlrev_b64 v[6:7], 3, v[6:7]
	s_lshl_b64 s[0:1], s[0:1], 3
	v_mov_b32_e32 v0, s1
	v_add_co_u32_e32 v8, vcc, s0, v6
	v_addc_co_u32_e32 v0, vcc, v0, v7, vcc
	v_lshlrev_b64 v[6:7], 3, v[4:5]
	s_mul_i32 s6, s21, s8
	v_add_co_u32_e32 v6, vcc, v8, v6
	v_mad_u64_u32 v[8:9], s[0:1], s18, v1, 0
	v_addc_co_u32_e32 v0, vcc, v0, v7, vcc
	v_mov_b32_e32 v7, s23
	v_add_co_u32_e32 v6, vcc, s22, v6
	v_addc_co_u32_e32 v7, vcc, v7, v0, vcc
	v_mov_b32_e32 v0, v9
	v_mad_u64_u32 v[0:1], s[0:1], s19, v1, v[0:1]
	s_mul_hi_u32 s7, s20, s8
	s_add_i32 s1, s7, s6
	v_mov_b32_e32 v9, v0
	s_mul_i32 s0, s20, s8
	v_lshlrev_b64 v[0:1], 3, v[8:9]
	s_lshl_b64 s[0:1], s[0:1], 3
	v_mov_b32_e32 v8, s1
	v_add_co_u32_e32 v9, vcc, s0, v0
	v_addc_co_u32_e32 v8, vcc, v8, v1, vcc
	v_lshlrev_b64 v[0:1], 3, v[2:3]
	s_lshl_b64 s[2:3], s[24:25], 7
	v_add_co_u32_e32 v0, vcc, v9, v0
	v_addc_co_u32_e32 v1, vcc, v8, v1, vcc
	v_mov_b32_e32 v8, s17
	v_add_co_u32_e32 v0, vcc, s16, v0
	v_addc_co_u32_e32 v1, vcc, v8, v1, vcc
	s_lshl_b64 s[6:7], s[18:19], 7
	v_mov_b32_e32 v10, 0
	v_mov_b32_e32 v8, s12
	v_add_u32_e32 v15, v14, v12
	v_mov_b32_e32 v11, 0
	s_mov_b64 s[10:11], 0
	v_mov_b32_e32 v16, s3
	v_mov_b32_e32 v17, s7
	;; [unrolled: 1-line block ×3, first 2 shown]
.LBB1044_2:                             ; =>This Inner Loop Header: Depth=1
	global_load_dwordx2 v[18:19], v[0:1], off
	s_add_u32 s10, s10, 16
	v_add_co_u32_e64 v0, s[0:1], s6, v0
	s_addc_u32 s11, s11, 0
	s_waitcnt vmcnt(0)
	ds_write_b64 v13, v[18:19]
	global_load_dwordx2 v[18:19], v[6:7], off
	v_add_co_u32_e32 v6, vcc, s2, v6
	v_addc_co_u32_e32 v7, vcc, v7, v16, vcc
	v_addc_co_u32_e64 v1, vcc, v1, v17, s[0:1]
	v_cmp_lt_i64_e32 vcc, s[10:11], v[8:9]
	s_and_b64 vcc, exec, vcc
	s_waitcnt vmcnt(0)
	ds_write_b64 v15, v[18:19]
	s_waitcnt lgkmcnt(0)
	s_barrier
	ds_read2_b64 v[18:21], v12 offset1:16
	ds_read_b128 v[22:25], v14
	s_waitcnt lgkmcnt(0)
	v_fma_f64 v[10:11], v[18:19], v[22:23], v[10:11]
	v_fma_f64 v[10:11], v[20:21], v[24:25], v[10:11]
	ds_read_b128 v[18:21], v14 offset:16
	ds_read2_b64 v[22:25], v12 offset0:32 offset1:48
	s_waitcnt lgkmcnt(0)
	v_fma_f64 v[10:11], v[22:23], v[18:19], v[10:11]
	v_fma_f64 v[10:11], v[24:25], v[20:21], v[10:11]
	ds_read2_b64 v[18:21], v12 offset0:64 offset1:80
	ds_read_b128 v[22:25], v14 offset:32
	s_waitcnt lgkmcnt(0)
	v_fma_f64 v[10:11], v[18:19], v[22:23], v[10:11]
	v_fma_f64 v[10:11], v[20:21], v[24:25], v[10:11]
	ds_read_b128 v[18:21], v14 offset:48
	ds_read2_b64 v[22:25], v12 offset0:96 offset1:112
	s_waitcnt lgkmcnt(0)
	v_fma_f64 v[10:11], v[22:23], v[18:19], v[10:11]
	v_fma_f64 v[10:11], v[24:25], v[20:21], v[10:11]
	ds_read2_b64 v[18:21], v12 offset0:128 offset1:144
	ds_read_b128 v[22:25], v14 offset:64
	;; [unrolled: 10-line block ×3, first 2 shown]
	s_waitcnt lgkmcnt(0)
	v_fma_f64 v[10:11], v[18:19], v[22:23], v[10:11]
	v_fma_f64 v[10:11], v[20:21], v[24:25], v[10:11]
	ds_read_b128 v[18:21], v14 offset:112
	ds_read2_b64 v[22:25], v12 offset0:224 offset1:240
	s_waitcnt lgkmcnt(0)
	s_barrier
	v_fma_f64 v[10:11], v[22:23], v[18:19], v[10:11]
	v_fma_f64 v[10:11], v[24:25], v[20:21], v[10:11]
	s_cbranch_vccnz .LBB1044_2
; %bb.3:
	v_cmp_le_i32_e32 vcc, v2, v4
	s_and_saveexec_b64 s[0:1], vcc
	s_cbranch_execz .LBB1044_5
.LBB1044_4:
	s_load_dwordx2 s[6:7], s[4:5], 0x60
	s_load_dwordx4 s[0:3], s[4:5], 0x50
	s_waitcnt lgkmcnt(0)
	s_mul_i32 s5, s7, s8
	v_mul_lo_u32 v6, s3, v4
	v_mul_lo_u32 v7, s2, v5
	v_mad_u64_u32 v[0:1], s[2:3], s2, v4, 0
	s_mul_hi_u32 s7, s6, s8
	s_mul_i32 s4, s6, s8
	s_add_i32 s5, s7, s5
	s_lshl_b64 s[4:5], s[4:5], 3
	v_mul_f64 v[4:5], s[14:15], v[10:11]
	v_add3_u32 v1, v1, v7, v6
	s_add_u32 s0, s0, s4
	v_lshlrev_b64 v[0:1], 3, v[0:1]
	s_addc_u32 s1, s1, s5
	v_mov_b32_e32 v6, s1
	v_add_co_u32_e32 v7, vcc, s0, v0
	v_addc_co_u32_e32 v6, vcc, v6, v1, vcc
	v_lshlrev_b64 v[0:1], 3, v[2:3]
	v_add_co_u32_e32 v0, vcc, v7, v0
	v_addc_co_u32_e32 v1, vcc, v6, v1, vcc
	global_store_dwordx2 v[0:1], v[4:5], off
.LBB1044_5:
	s_endpgm
.LBB1044_6:
	v_mov_b32_e32 v10, 0
	v_mov_b32_e32 v11, 0
	v_cmp_le_i32_e32 vcc, v2, v4
	s_and_saveexec_b64 s[0:1], vcc
	s_cbranch_execnz .LBB1044_4
	s_branch .LBB1044_5
	.section	.rodata,"a",@progbits
	.p2align	6, 0x0
	.amdhsa_kernel _ZL41rocblas_syrkx_herkx_small_restrict_kernelIldLi16ELb1ELb0ELc78ELc85EKddEviT_T0_PT6_S1_lS4_S1_lS2_PT7_S1_li
		.amdhsa_group_segment_fixed_size 4096
		.amdhsa_private_segment_fixed_size 0
		.amdhsa_kernarg_size 108
		.amdhsa_user_sgpr_count 6
		.amdhsa_user_sgpr_private_segment_buffer 1
		.amdhsa_user_sgpr_dispatch_ptr 0
		.amdhsa_user_sgpr_queue_ptr 0
		.amdhsa_user_sgpr_kernarg_segment_ptr 1
		.amdhsa_user_sgpr_dispatch_id 0
		.amdhsa_user_sgpr_flat_scratch_init 0
		.amdhsa_user_sgpr_private_segment_size 0
		.amdhsa_uses_dynamic_stack 0
		.amdhsa_system_sgpr_private_segment_wavefront_offset 0
		.amdhsa_system_sgpr_workgroup_id_x 1
		.amdhsa_system_sgpr_workgroup_id_y 1
		.amdhsa_system_sgpr_workgroup_id_z 1
		.amdhsa_system_sgpr_workgroup_info 0
		.amdhsa_system_vgpr_workitem_id 1
		.amdhsa_next_free_vgpr 26
		.amdhsa_next_free_sgpr 28
		.amdhsa_reserve_vcc 1
		.amdhsa_reserve_flat_scratch 0
		.amdhsa_float_round_mode_32 0
		.amdhsa_float_round_mode_16_64 0
		.amdhsa_float_denorm_mode_32 3
		.amdhsa_float_denorm_mode_16_64 3
		.amdhsa_dx10_clamp 1
		.amdhsa_ieee_mode 1
		.amdhsa_fp16_overflow 0
		.amdhsa_exception_fp_ieee_invalid_op 0
		.amdhsa_exception_fp_denorm_src 0
		.amdhsa_exception_fp_ieee_div_zero 0
		.amdhsa_exception_fp_ieee_overflow 0
		.amdhsa_exception_fp_ieee_underflow 0
		.amdhsa_exception_fp_ieee_inexact 0
		.amdhsa_exception_int_div_zero 0
	.end_amdhsa_kernel
	.section	.text._ZL41rocblas_syrkx_herkx_small_restrict_kernelIldLi16ELb1ELb0ELc78ELc85EKddEviT_T0_PT6_S1_lS4_S1_lS2_PT7_S1_li,"axG",@progbits,_ZL41rocblas_syrkx_herkx_small_restrict_kernelIldLi16ELb1ELb0ELc78ELc85EKddEviT_T0_PT6_S1_lS4_S1_lS2_PT7_S1_li,comdat
.Lfunc_end1044:
	.size	_ZL41rocblas_syrkx_herkx_small_restrict_kernelIldLi16ELb1ELb0ELc78ELc85EKddEviT_T0_PT6_S1_lS4_S1_lS2_PT7_S1_li, .Lfunc_end1044-_ZL41rocblas_syrkx_herkx_small_restrict_kernelIldLi16ELb1ELb0ELc78ELc85EKddEviT_T0_PT6_S1_lS4_S1_lS2_PT7_S1_li
                                        ; -- End function
	.set _ZL41rocblas_syrkx_herkx_small_restrict_kernelIldLi16ELb1ELb0ELc78ELc85EKddEviT_T0_PT6_S1_lS4_S1_lS2_PT7_S1_li.num_vgpr, 26
	.set _ZL41rocblas_syrkx_herkx_small_restrict_kernelIldLi16ELb1ELb0ELc78ELc85EKddEviT_T0_PT6_S1_lS4_S1_lS2_PT7_S1_li.num_agpr, 0
	.set _ZL41rocblas_syrkx_herkx_small_restrict_kernelIldLi16ELb1ELb0ELc78ELc85EKddEviT_T0_PT6_S1_lS4_S1_lS2_PT7_S1_li.numbered_sgpr, 28
	.set _ZL41rocblas_syrkx_herkx_small_restrict_kernelIldLi16ELb1ELb0ELc78ELc85EKddEviT_T0_PT6_S1_lS4_S1_lS2_PT7_S1_li.num_named_barrier, 0
	.set _ZL41rocblas_syrkx_herkx_small_restrict_kernelIldLi16ELb1ELb0ELc78ELc85EKddEviT_T0_PT6_S1_lS4_S1_lS2_PT7_S1_li.private_seg_size, 0
	.set _ZL41rocblas_syrkx_herkx_small_restrict_kernelIldLi16ELb1ELb0ELc78ELc85EKddEviT_T0_PT6_S1_lS4_S1_lS2_PT7_S1_li.uses_vcc, 1
	.set _ZL41rocblas_syrkx_herkx_small_restrict_kernelIldLi16ELb1ELb0ELc78ELc85EKddEviT_T0_PT6_S1_lS4_S1_lS2_PT7_S1_li.uses_flat_scratch, 0
	.set _ZL41rocblas_syrkx_herkx_small_restrict_kernelIldLi16ELb1ELb0ELc78ELc85EKddEviT_T0_PT6_S1_lS4_S1_lS2_PT7_S1_li.has_dyn_sized_stack, 0
	.set _ZL41rocblas_syrkx_herkx_small_restrict_kernelIldLi16ELb1ELb0ELc78ELc85EKddEviT_T0_PT6_S1_lS4_S1_lS2_PT7_S1_li.has_recursion, 0
	.set _ZL41rocblas_syrkx_herkx_small_restrict_kernelIldLi16ELb1ELb0ELc78ELc85EKddEviT_T0_PT6_S1_lS4_S1_lS2_PT7_S1_li.has_indirect_call, 0
	.section	.AMDGPU.csdata,"",@progbits
; Kernel info:
; codeLenInByte = 844
; TotalNumSgprs: 32
; NumVgprs: 26
; ScratchSize: 0
; MemoryBound: 0
; FloatMode: 240
; IeeeMode: 1
; LDSByteSize: 4096 bytes/workgroup (compile time only)
; SGPRBlocks: 3
; VGPRBlocks: 6
; NumSGPRsForWavesPerEU: 32
; NumVGPRsForWavesPerEU: 26
; Occupancy: 9
; WaveLimiterHint : 0
; COMPUTE_PGM_RSRC2:SCRATCH_EN: 0
; COMPUTE_PGM_RSRC2:USER_SGPR: 6
; COMPUTE_PGM_RSRC2:TRAP_HANDLER: 0
; COMPUTE_PGM_RSRC2:TGID_X_EN: 1
; COMPUTE_PGM_RSRC2:TGID_Y_EN: 1
; COMPUTE_PGM_RSRC2:TGID_Z_EN: 1
; COMPUTE_PGM_RSRC2:TIDIG_COMP_CNT: 1
	.section	.text._ZL41rocblas_syrkx_herkx_small_restrict_kernelIldLi16ELb0ELb0ELc84ELc76EKddEviT_T0_PT6_S1_lS4_S1_lS2_PT7_S1_li,"axG",@progbits,_ZL41rocblas_syrkx_herkx_small_restrict_kernelIldLi16ELb0ELb0ELc84ELc76EKddEviT_T0_PT6_S1_lS4_S1_lS2_PT7_S1_li,comdat
	.globl	_ZL41rocblas_syrkx_herkx_small_restrict_kernelIldLi16ELb0ELb0ELc84ELc76EKddEviT_T0_PT6_S1_lS4_S1_lS2_PT7_S1_li ; -- Begin function _ZL41rocblas_syrkx_herkx_small_restrict_kernelIldLi16ELb0ELb0ELc84ELc76EKddEviT_T0_PT6_S1_lS4_S1_lS2_PT7_S1_li
	.p2align	8
	.type	_ZL41rocblas_syrkx_herkx_small_restrict_kernelIldLi16ELb0ELb0ELc84ELc76EKddEviT_T0_PT6_S1_lS4_S1_lS2_PT7_S1_li,@function
_ZL41rocblas_syrkx_herkx_small_restrict_kernelIldLi16ELb0ELb0ELc84ELc76EKddEviT_T0_PT6_S1_lS4_S1_lS2_PT7_S1_li: ; @_ZL41rocblas_syrkx_herkx_small_restrict_kernelIldLi16ELb0ELb0ELc84ELc76EKddEviT_T0_PT6_S1_lS4_S1_lS2_PT7_S1_li
; %bb.0:
	s_load_dwordx16 s[12:27], s[4:5], 0x8
	v_lshl_add_u32 v2, s6, 4, v0
	v_lshl_add_u32 v10, s7, 4, v1
	v_ashrrev_i32_e32 v3, 31, v2
	v_ashrrev_i32_e32 v11, 31, v10
	s_waitcnt lgkmcnt(0)
	v_cmp_lt_i64_e64 s[0:1], s[12:13], 1
	s_and_b64 vcc, exec, s[0:1]
	s_cbranch_vccnz .LBB1045_6
; %bb.1:
	v_lshlrev_b32_e32 v12, 3, v0
	v_mul_lo_u32 v0, s25, v10
	v_mul_lo_u32 v7, s24, v11
	v_mad_u64_u32 v[4:5], s[0:1], s24, v10, 0
	s_mul_i32 s0, s27, s8
	s_mul_hi_u32 s1, s26, s8
	v_add3_u32 v5, v5, v7, v0
	v_lshlrev_b64 v[4:5], 3, v[4:5]
	s_add_i32 s1, s1, s0
	s_mul_i32 s0, s26, s8
	v_lshlrev_b32_e32 v6, 7, v1
	s_lshl_b64 s[0:1], s[0:1], 3
	v_add_u32_e32 v13, v12, v6
	v_add_u32_e32 v14, 0x800, v6
	v_mov_b32_e32 v0, s1
	v_add_co_u32_e32 v4, vcc, s0, v4
	v_mul_lo_u32 v8, s19, v2
	v_mul_lo_u32 v9, s18, v3
	v_mad_u64_u32 v[6:7], s[0:1], s18, v2, 0
	v_addc_co_u32_e32 v0, vcc, v5, v0, vcc
	v_add_co_u32_e32 v4, vcc, v4, v12
	v_addc_co_u32_e32 v0, vcc, 0, v0, vcc
	v_add3_u32 v7, v7, v9, v8
	s_mul_i32 s0, s21, s8
	s_mul_hi_u32 s1, s20, s8
	v_mov_b32_e32 v5, s23
	v_add_co_u32_e32 v4, vcc, s22, v4
	v_lshlrev_b64 v[6:7], 3, v[6:7]
	s_add_i32 s1, s1, s0
	s_mul_i32 s0, s20, s8
	v_addc_co_u32_e32 v5, vcc, v5, v0, vcc
	s_lshl_b64 s[0:1], s[0:1], 3
	v_mov_b32_e32 v0, s1
	v_add_co_u32_e32 v6, vcc, s0, v6
	v_addc_co_u32_e32 v0, vcc, v7, v0, vcc
	v_lshlrev_b32_e32 v1, 3, v1
	v_add_co_u32_e32 v1, vcc, v6, v1
	v_addc_co_u32_e32 v6, vcc, 0, v0, vcc
	v_mov_b32_e32 v7, s17
	v_add_co_u32_e32 v0, vcc, s16, v1
	v_addc_co_u32_e32 v1, vcc, v7, v6, vcc
	v_mov_b32_e32 v8, 0
	v_mov_b32_e32 v6, s12
	v_add_u32_e32 v15, v14, v12
	v_mov_b32_e32 v9, 0
	s_mov_b64 s[2:3], 0
	v_mov_b32_e32 v7, s13
.LBB1045_2:                             ; =>This Inner Loop Header: Depth=1
	global_load_dwordx2 v[16:17], v[0:1], off
	global_load_dwordx2 v[18:19], v[4:5], off
	v_add_co_u32_e32 v4, vcc, 0x80, v4
	s_add_u32 s2, s2, 16
	s_mov_b64 s[0:1], vcc
	s_addc_u32 s3, s3, 0
	v_addc_co_u32_e64 v5, s[0:1], 0, v5, s[0:1]
	v_add_co_u32_e32 v0, vcc, 0x80, v0
	v_cmp_lt_i64_e64 s[0:1], s[2:3], v[6:7]
	v_addc_co_u32_e32 v1, vcc, 0, v1, vcc
	s_and_b64 vcc, exec, s[0:1]
	s_waitcnt vmcnt(1)
	ds_write_b64 v13, v[16:17]
	s_waitcnt vmcnt(0)
	ds_write_b64 v15, v[18:19]
	s_waitcnt lgkmcnt(0)
	s_barrier
	ds_read2_b64 v[16:19], v12 offset1:16
	ds_read_b128 v[20:23], v14
	s_waitcnt lgkmcnt(0)
	v_fma_f64 v[8:9], v[16:17], v[20:21], v[8:9]
	v_fma_f64 v[8:9], v[18:19], v[22:23], v[8:9]
	ds_read_b128 v[16:19], v14 offset:16
	ds_read2_b64 v[20:23], v12 offset0:32 offset1:48
	s_waitcnt lgkmcnt(0)
	v_fma_f64 v[8:9], v[20:21], v[16:17], v[8:9]
	v_fma_f64 v[8:9], v[22:23], v[18:19], v[8:9]
	ds_read2_b64 v[16:19], v12 offset0:64 offset1:80
	ds_read_b128 v[20:23], v14 offset:32
	s_waitcnt lgkmcnt(0)
	v_fma_f64 v[8:9], v[16:17], v[20:21], v[8:9]
	v_fma_f64 v[8:9], v[18:19], v[22:23], v[8:9]
	ds_read_b128 v[16:19], v14 offset:48
	ds_read2_b64 v[20:23], v12 offset0:96 offset1:112
	s_waitcnt lgkmcnt(0)
	v_fma_f64 v[8:9], v[20:21], v[16:17], v[8:9]
	v_fma_f64 v[8:9], v[22:23], v[18:19], v[8:9]
	ds_read2_b64 v[16:19], v12 offset0:128 offset1:144
	ds_read_b128 v[20:23], v14 offset:64
	;; [unrolled: 10-line block ×3, first 2 shown]
	s_waitcnt lgkmcnt(0)
	v_fma_f64 v[8:9], v[16:17], v[20:21], v[8:9]
	v_fma_f64 v[8:9], v[18:19], v[22:23], v[8:9]
	ds_read_b128 v[16:19], v14 offset:112
	ds_read2_b64 v[20:23], v12 offset0:224 offset1:240
	s_waitcnt lgkmcnt(0)
	s_barrier
	v_fma_f64 v[8:9], v[20:21], v[16:17], v[8:9]
	v_fma_f64 v[8:9], v[22:23], v[18:19], v[8:9]
	s_cbranch_vccnz .LBB1045_2
; %bb.3:
	v_cmp_le_i32_e32 vcc, v10, v2
	s_and_saveexec_b64 s[0:1], vcc
	s_cbranch_execz .LBB1045_5
.LBB1045_4:
	s_load_dwordx8 s[16:23], s[4:5], 0x48
	s_waitcnt lgkmcnt(0)
	s_mul_i32 s1, s23, s8
	s_mul_hi_u32 s2, s22, s8
	v_mul_lo_u32 v4, s21, v10
	v_mul_lo_u32 v5, s20, v11
	s_add_i32 s1, s2, s1
	v_mad_u64_u32 v[0:1], s[2:3], s20, v10, 0
	s_mul_i32 s0, s22, s8
	s_lshl_b64 s[0:1], s[0:1], 3
	v_add3_u32 v1, v1, v5, v4
	s_add_u32 s0, s18, s0
	v_lshlrev_b64 v[0:1], 3, v[0:1]
	s_addc_u32 s1, s19, s1
	v_mov_b32_e32 v4, s1
	v_add_co_u32_e32 v5, vcc, s0, v0
	v_addc_co_u32_e32 v4, vcc, v4, v1, vcc
	v_lshlrev_b64 v[0:1], 3, v[2:3]
	v_add_co_u32_e32 v0, vcc, v5, v0
	v_addc_co_u32_e32 v1, vcc, v4, v1, vcc
	global_load_dwordx2 v[2:3], v[0:1], off
	s_waitcnt vmcnt(0)
	v_mul_f64 v[2:3], s[16:17], v[2:3]
	v_fma_f64 v[2:3], s[14:15], v[8:9], v[2:3]
	global_store_dwordx2 v[0:1], v[2:3], off
.LBB1045_5:
	s_endpgm
.LBB1045_6:
	v_mov_b32_e32 v8, 0
	v_mov_b32_e32 v9, 0
	v_cmp_le_i32_e32 vcc, v10, v2
	s_and_saveexec_b64 s[0:1], vcc
	s_cbranch_execnz .LBB1045_4
	s_branch .LBB1045_5
	.section	.rodata,"a",@progbits
	.p2align	6, 0x0
	.amdhsa_kernel _ZL41rocblas_syrkx_herkx_small_restrict_kernelIldLi16ELb0ELb0ELc84ELc76EKddEviT_T0_PT6_S1_lS4_S1_lS2_PT7_S1_li
		.amdhsa_group_segment_fixed_size 4096
		.amdhsa_private_segment_fixed_size 0
		.amdhsa_kernarg_size 108
		.amdhsa_user_sgpr_count 6
		.amdhsa_user_sgpr_private_segment_buffer 1
		.amdhsa_user_sgpr_dispatch_ptr 0
		.amdhsa_user_sgpr_queue_ptr 0
		.amdhsa_user_sgpr_kernarg_segment_ptr 1
		.amdhsa_user_sgpr_dispatch_id 0
		.amdhsa_user_sgpr_flat_scratch_init 0
		.amdhsa_user_sgpr_private_segment_size 0
		.amdhsa_uses_dynamic_stack 0
		.amdhsa_system_sgpr_private_segment_wavefront_offset 0
		.amdhsa_system_sgpr_workgroup_id_x 1
		.amdhsa_system_sgpr_workgroup_id_y 1
		.amdhsa_system_sgpr_workgroup_id_z 1
		.amdhsa_system_sgpr_workgroup_info 0
		.amdhsa_system_vgpr_workitem_id 1
		.amdhsa_next_free_vgpr 24
		.amdhsa_next_free_sgpr 28
		.amdhsa_reserve_vcc 1
		.amdhsa_reserve_flat_scratch 0
		.amdhsa_float_round_mode_32 0
		.amdhsa_float_round_mode_16_64 0
		.amdhsa_float_denorm_mode_32 3
		.amdhsa_float_denorm_mode_16_64 3
		.amdhsa_dx10_clamp 1
		.amdhsa_ieee_mode 1
		.amdhsa_fp16_overflow 0
		.amdhsa_exception_fp_ieee_invalid_op 0
		.amdhsa_exception_fp_denorm_src 0
		.amdhsa_exception_fp_ieee_div_zero 0
		.amdhsa_exception_fp_ieee_overflow 0
		.amdhsa_exception_fp_ieee_underflow 0
		.amdhsa_exception_fp_ieee_inexact 0
		.amdhsa_exception_int_div_zero 0
	.end_amdhsa_kernel
	.section	.text._ZL41rocblas_syrkx_herkx_small_restrict_kernelIldLi16ELb0ELb0ELc84ELc76EKddEviT_T0_PT6_S1_lS4_S1_lS2_PT7_S1_li,"axG",@progbits,_ZL41rocblas_syrkx_herkx_small_restrict_kernelIldLi16ELb0ELb0ELc84ELc76EKddEviT_T0_PT6_S1_lS4_S1_lS2_PT7_S1_li,comdat
.Lfunc_end1045:
	.size	_ZL41rocblas_syrkx_herkx_small_restrict_kernelIldLi16ELb0ELb0ELc84ELc76EKddEviT_T0_PT6_S1_lS4_S1_lS2_PT7_S1_li, .Lfunc_end1045-_ZL41rocblas_syrkx_herkx_small_restrict_kernelIldLi16ELb0ELb0ELc84ELc76EKddEviT_T0_PT6_S1_lS4_S1_lS2_PT7_S1_li
                                        ; -- End function
	.set _ZL41rocblas_syrkx_herkx_small_restrict_kernelIldLi16ELb0ELb0ELc84ELc76EKddEviT_T0_PT6_S1_lS4_S1_lS2_PT7_S1_li.num_vgpr, 24
	.set _ZL41rocblas_syrkx_herkx_small_restrict_kernelIldLi16ELb0ELb0ELc84ELc76EKddEviT_T0_PT6_S1_lS4_S1_lS2_PT7_S1_li.num_agpr, 0
	.set _ZL41rocblas_syrkx_herkx_small_restrict_kernelIldLi16ELb0ELb0ELc84ELc76EKddEviT_T0_PT6_S1_lS4_S1_lS2_PT7_S1_li.numbered_sgpr, 28
	.set _ZL41rocblas_syrkx_herkx_small_restrict_kernelIldLi16ELb0ELb0ELc84ELc76EKddEviT_T0_PT6_S1_lS4_S1_lS2_PT7_S1_li.num_named_barrier, 0
	.set _ZL41rocblas_syrkx_herkx_small_restrict_kernelIldLi16ELb0ELb0ELc84ELc76EKddEviT_T0_PT6_S1_lS4_S1_lS2_PT7_S1_li.private_seg_size, 0
	.set _ZL41rocblas_syrkx_herkx_small_restrict_kernelIldLi16ELb0ELb0ELc84ELc76EKddEviT_T0_PT6_S1_lS4_S1_lS2_PT7_S1_li.uses_vcc, 1
	.set _ZL41rocblas_syrkx_herkx_small_restrict_kernelIldLi16ELb0ELb0ELc84ELc76EKddEviT_T0_PT6_S1_lS4_S1_lS2_PT7_S1_li.uses_flat_scratch, 0
	.set _ZL41rocblas_syrkx_herkx_small_restrict_kernelIldLi16ELb0ELb0ELc84ELc76EKddEviT_T0_PT6_S1_lS4_S1_lS2_PT7_S1_li.has_dyn_sized_stack, 0
	.set _ZL41rocblas_syrkx_herkx_small_restrict_kernelIldLi16ELb0ELb0ELc84ELc76EKddEviT_T0_PT6_S1_lS4_S1_lS2_PT7_S1_li.has_recursion, 0
	.set _ZL41rocblas_syrkx_herkx_small_restrict_kernelIldLi16ELb0ELb0ELc84ELc76EKddEviT_T0_PT6_S1_lS4_S1_lS2_PT7_S1_li.has_indirect_call, 0
	.section	.AMDGPU.csdata,"",@progbits
; Kernel info:
; codeLenInByte = 864
; TotalNumSgprs: 32
; NumVgprs: 24
; ScratchSize: 0
; MemoryBound: 0
; FloatMode: 240
; IeeeMode: 1
; LDSByteSize: 4096 bytes/workgroup (compile time only)
; SGPRBlocks: 3
; VGPRBlocks: 5
; NumSGPRsForWavesPerEU: 32
; NumVGPRsForWavesPerEU: 24
; Occupancy: 10
; WaveLimiterHint : 0
; COMPUTE_PGM_RSRC2:SCRATCH_EN: 0
; COMPUTE_PGM_RSRC2:USER_SGPR: 6
; COMPUTE_PGM_RSRC2:TRAP_HANDLER: 0
; COMPUTE_PGM_RSRC2:TGID_X_EN: 1
; COMPUTE_PGM_RSRC2:TGID_Y_EN: 1
; COMPUTE_PGM_RSRC2:TGID_Z_EN: 1
; COMPUTE_PGM_RSRC2:TIDIG_COMP_CNT: 1
	.section	.text._ZL41rocblas_syrkx_herkx_small_restrict_kernelIldLi16ELb0ELb0ELc67ELc76EKddEviT_T0_PT6_S1_lS4_S1_lS2_PT7_S1_li,"axG",@progbits,_ZL41rocblas_syrkx_herkx_small_restrict_kernelIldLi16ELb0ELb0ELc67ELc76EKddEviT_T0_PT6_S1_lS4_S1_lS2_PT7_S1_li,comdat
	.globl	_ZL41rocblas_syrkx_herkx_small_restrict_kernelIldLi16ELb0ELb0ELc67ELc76EKddEviT_T0_PT6_S1_lS4_S1_lS2_PT7_S1_li ; -- Begin function _ZL41rocblas_syrkx_herkx_small_restrict_kernelIldLi16ELb0ELb0ELc67ELc76EKddEviT_T0_PT6_S1_lS4_S1_lS2_PT7_S1_li
	.p2align	8
	.type	_ZL41rocblas_syrkx_herkx_small_restrict_kernelIldLi16ELb0ELb0ELc67ELc76EKddEviT_T0_PT6_S1_lS4_S1_lS2_PT7_S1_li,@function
_ZL41rocblas_syrkx_herkx_small_restrict_kernelIldLi16ELb0ELb0ELc67ELc76EKddEviT_T0_PT6_S1_lS4_S1_lS2_PT7_S1_li: ; @_ZL41rocblas_syrkx_herkx_small_restrict_kernelIldLi16ELb0ELb0ELc67ELc76EKddEviT_T0_PT6_S1_lS4_S1_lS2_PT7_S1_li
; %bb.0:
	s_load_dwordx16 s[12:27], s[4:5], 0x8
	v_lshl_add_u32 v2, s6, 4, v0
	v_lshl_add_u32 v10, s7, 4, v1
	v_ashrrev_i32_e32 v3, 31, v2
	v_ashrrev_i32_e32 v11, 31, v10
	s_waitcnt lgkmcnt(0)
	v_cmp_lt_i64_e64 s[0:1], s[12:13], 1
	s_and_b64 vcc, exec, s[0:1]
	s_cbranch_vccnz .LBB1046_6
; %bb.1:
	v_lshlrev_b32_e32 v12, 3, v0
	v_mul_lo_u32 v0, s25, v10
	v_mul_lo_u32 v7, s24, v11
	v_mad_u64_u32 v[4:5], s[0:1], s24, v10, 0
	s_mul_i32 s0, s27, s8
	s_mul_hi_u32 s1, s26, s8
	v_add3_u32 v5, v5, v7, v0
	v_lshlrev_b64 v[4:5], 3, v[4:5]
	s_add_i32 s1, s1, s0
	s_mul_i32 s0, s26, s8
	v_lshlrev_b32_e32 v6, 7, v1
	s_lshl_b64 s[0:1], s[0:1], 3
	v_add_u32_e32 v13, v12, v6
	v_add_u32_e32 v14, 0x800, v6
	v_mov_b32_e32 v0, s1
	v_add_co_u32_e32 v4, vcc, s0, v4
	v_mul_lo_u32 v8, s19, v2
	v_mul_lo_u32 v9, s18, v3
	v_mad_u64_u32 v[6:7], s[0:1], s18, v2, 0
	v_addc_co_u32_e32 v0, vcc, v5, v0, vcc
	v_add_co_u32_e32 v4, vcc, v4, v12
	v_addc_co_u32_e32 v0, vcc, 0, v0, vcc
	v_add3_u32 v7, v7, v9, v8
	s_mul_i32 s0, s21, s8
	s_mul_hi_u32 s1, s20, s8
	v_mov_b32_e32 v5, s23
	v_add_co_u32_e32 v4, vcc, s22, v4
	v_lshlrev_b64 v[6:7], 3, v[6:7]
	s_add_i32 s1, s1, s0
	s_mul_i32 s0, s20, s8
	v_addc_co_u32_e32 v5, vcc, v5, v0, vcc
	s_lshl_b64 s[0:1], s[0:1], 3
	v_mov_b32_e32 v0, s1
	v_add_co_u32_e32 v6, vcc, s0, v6
	v_addc_co_u32_e32 v0, vcc, v7, v0, vcc
	v_lshlrev_b32_e32 v1, 3, v1
	v_add_co_u32_e32 v1, vcc, v6, v1
	v_addc_co_u32_e32 v6, vcc, 0, v0, vcc
	v_mov_b32_e32 v7, s17
	v_add_co_u32_e32 v0, vcc, s16, v1
	v_addc_co_u32_e32 v1, vcc, v7, v6, vcc
	v_mov_b32_e32 v8, 0
	v_mov_b32_e32 v6, s12
	v_add_u32_e32 v15, v14, v12
	v_mov_b32_e32 v9, 0
	s_mov_b64 s[2:3], 0
	v_mov_b32_e32 v7, s13
.LBB1046_2:                             ; =>This Inner Loop Header: Depth=1
	global_load_dwordx2 v[16:17], v[0:1], off
	global_load_dwordx2 v[18:19], v[4:5], off
	v_add_co_u32_e32 v4, vcc, 0x80, v4
	s_add_u32 s2, s2, 16
	s_mov_b64 s[0:1], vcc
	s_addc_u32 s3, s3, 0
	v_addc_co_u32_e64 v5, s[0:1], 0, v5, s[0:1]
	v_add_co_u32_e32 v0, vcc, 0x80, v0
	v_cmp_lt_i64_e64 s[0:1], s[2:3], v[6:7]
	v_addc_co_u32_e32 v1, vcc, 0, v1, vcc
	s_and_b64 vcc, exec, s[0:1]
	s_waitcnt vmcnt(1)
	ds_write_b64 v13, v[16:17]
	s_waitcnt vmcnt(0)
	ds_write_b64 v15, v[18:19]
	s_waitcnt lgkmcnt(0)
	s_barrier
	ds_read2_b64 v[16:19], v12 offset1:16
	ds_read_b128 v[20:23], v14
	s_waitcnt lgkmcnt(0)
	v_fma_f64 v[8:9], v[16:17], v[20:21], v[8:9]
	v_fma_f64 v[8:9], v[18:19], v[22:23], v[8:9]
	ds_read_b128 v[16:19], v14 offset:16
	ds_read2_b64 v[20:23], v12 offset0:32 offset1:48
	s_waitcnt lgkmcnt(0)
	v_fma_f64 v[8:9], v[20:21], v[16:17], v[8:9]
	v_fma_f64 v[8:9], v[22:23], v[18:19], v[8:9]
	ds_read2_b64 v[16:19], v12 offset0:64 offset1:80
	ds_read_b128 v[20:23], v14 offset:32
	s_waitcnt lgkmcnt(0)
	v_fma_f64 v[8:9], v[16:17], v[20:21], v[8:9]
	v_fma_f64 v[8:9], v[18:19], v[22:23], v[8:9]
	ds_read_b128 v[16:19], v14 offset:48
	ds_read2_b64 v[20:23], v12 offset0:96 offset1:112
	s_waitcnt lgkmcnt(0)
	v_fma_f64 v[8:9], v[20:21], v[16:17], v[8:9]
	v_fma_f64 v[8:9], v[22:23], v[18:19], v[8:9]
	ds_read2_b64 v[16:19], v12 offset0:128 offset1:144
	ds_read_b128 v[20:23], v14 offset:64
	;; [unrolled: 10-line block ×3, first 2 shown]
	s_waitcnt lgkmcnt(0)
	v_fma_f64 v[8:9], v[16:17], v[20:21], v[8:9]
	v_fma_f64 v[8:9], v[18:19], v[22:23], v[8:9]
	ds_read_b128 v[16:19], v14 offset:112
	ds_read2_b64 v[20:23], v12 offset0:224 offset1:240
	s_waitcnt lgkmcnt(0)
	s_barrier
	v_fma_f64 v[8:9], v[20:21], v[16:17], v[8:9]
	v_fma_f64 v[8:9], v[22:23], v[18:19], v[8:9]
	s_cbranch_vccnz .LBB1046_2
; %bb.3:
	v_cmp_le_i32_e32 vcc, v10, v2
	s_and_saveexec_b64 s[0:1], vcc
	s_cbranch_execz .LBB1046_5
.LBB1046_4:
	s_load_dwordx8 s[16:23], s[4:5], 0x48
	s_waitcnt lgkmcnt(0)
	s_mul_i32 s1, s23, s8
	s_mul_hi_u32 s2, s22, s8
	v_mul_lo_u32 v4, s21, v10
	v_mul_lo_u32 v5, s20, v11
	s_add_i32 s1, s2, s1
	v_mad_u64_u32 v[0:1], s[2:3], s20, v10, 0
	s_mul_i32 s0, s22, s8
	s_lshl_b64 s[0:1], s[0:1], 3
	v_add3_u32 v1, v1, v5, v4
	s_add_u32 s0, s18, s0
	v_lshlrev_b64 v[0:1], 3, v[0:1]
	s_addc_u32 s1, s19, s1
	v_mov_b32_e32 v4, s1
	v_add_co_u32_e32 v5, vcc, s0, v0
	v_addc_co_u32_e32 v4, vcc, v4, v1, vcc
	v_lshlrev_b64 v[0:1], 3, v[2:3]
	v_add_co_u32_e32 v0, vcc, v5, v0
	v_addc_co_u32_e32 v1, vcc, v4, v1, vcc
	global_load_dwordx2 v[2:3], v[0:1], off
	s_waitcnt vmcnt(0)
	v_mul_f64 v[2:3], s[16:17], v[2:3]
	v_fma_f64 v[2:3], s[14:15], v[8:9], v[2:3]
	global_store_dwordx2 v[0:1], v[2:3], off
.LBB1046_5:
	s_endpgm
.LBB1046_6:
	v_mov_b32_e32 v8, 0
	v_mov_b32_e32 v9, 0
	v_cmp_le_i32_e32 vcc, v10, v2
	s_and_saveexec_b64 s[0:1], vcc
	s_cbranch_execnz .LBB1046_4
	s_branch .LBB1046_5
	.section	.rodata,"a",@progbits
	.p2align	6, 0x0
	.amdhsa_kernel _ZL41rocblas_syrkx_herkx_small_restrict_kernelIldLi16ELb0ELb0ELc67ELc76EKddEviT_T0_PT6_S1_lS4_S1_lS2_PT7_S1_li
		.amdhsa_group_segment_fixed_size 4096
		.amdhsa_private_segment_fixed_size 0
		.amdhsa_kernarg_size 108
		.amdhsa_user_sgpr_count 6
		.amdhsa_user_sgpr_private_segment_buffer 1
		.amdhsa_user_sgpr_dispatch_ptr 0
		.amdhsa_user_sgpr_queue_ptr 0
		.amdhsa_user_sgpr_kernarg_segment_ptr 1
		.amdhsa_user_sgpr_dispatch_id 0
		.amdhsa_user_sgpr_flat_scratch_init 0
		.amdhsa_user_sgpr_private_segment_size 0
		.amdhsa_uses_dynamic_stack 0
		.amdhsa_system_sgpr_private_segment_wavefront_offset 0
		.amdhsa_system_sgpr_workgroup_id_x 1
		.amdhsa_system_sgpr_workgroup_id_y 1
		.amdhsa_system_sgpr_workgroup_id_z 1
		.amdhsa_system_sgpr_workgroup_info 0
		.amdhsa_system_vgpr_workitem_id 1
		.amdhsa_next_free_vgpr 24
		.amdhsa_next_free_sgpr 28
		.amdhsa_reserve_vcc 1
		.amdhsa_reserve_flat_scratch 0
		.amdhsa_float_round_mode_32 0
		.amdhsa_float_round_mode_16_64 0
		.amdhsa_float_denorm_mode_32 3
		.amdhsa_float_denorm_mode_16_64 3
		.amdhsa_dx10_clamp 1
		.amdhsa_ieee_mode 1
		.amdhsa_fp16_overflow 0
		.amdhsa_exception_fp_ieee_invalid_op 0
		.amdhsa_exception_fp_denorm_src 0
		.amdhsa_exception_fp_ieee_div_zero 0
		.amdhsa_exception_fp_ieee_overflow 0
		.amdhsa_exception_fp_ieee_underflow 0
		.amdhsa_exception_fp_ieee_inexact 0
		.amdhsa_exception_int_div_zero 0
	.end_amdhsa_kernel
	.section	.text._ZL41rocblas_syrkx_herkx_small_restrict_kernelIldLi16ELb0ELb0ELc67ELc76EKddEviT_T0_PT6_S1_lS4_S1_lS2_PT7_S1_li,"axG",@progbits,_ZL41rocblas_syrkx_herkx_small_restrict_kernelIldLi16ELb0ELb0ELc67ELc76EKddEviT_T0_PT6_S1_lS4_S1_lS2_PT7_S1_li,comdat
.Lfunc_end1046:
	.size	_ZL41rocblas_syrkx_herkx_small_restrict_kernelIldLi16ELb0ELb0ELc67ELc76EKddEviT_T0_PT6_S1_lS4_S1_lS2_PT7_S1_li, .Lfunc_end1046-_ZL41rocblas_syrkx_herkx_small_restrict_kernelIldLi16ELb0ELb0ELc67ELc76EKddEviT_T0_PT6_S1_lS4_S1_lS2_PT7_S1_li
                                        ; -- End function
	.set _ZL41rocblas_syrkx_herkx_small_restrict_kernelIldLi16ELb0ELb0ELc67ELc76EKddEviT_T0_PT6_S1_lS4_S1_lS2_PT7_S1_li.num_vgpr, 24
	.set _ZL41rocblas_syrkx_herkx_small_restrict_kernelIldLi16ELb0ELb0ELc67ELc76EKddEviT_T0_PT6_S1_lS4_S1_lS2_PT7_S1_li.num_agpr, 0
	.set _ZL41rocblas_syrkx_herkx_small_restrict_kernelIldLi16ELb0ELb0ELc67ELc76EKddEviT_T0_PT6_S1_lS4_S1_lS2_PT7_S1_li.numbered_sgpr, 28
	.set _ZL41rocblas_syrkx_herkx_small_restrict_kernelIldLi16ELb0ELb0ELc67ELc76EKddEviT_T0_PT6_S1_lS4_S1_lS2_PT7_S1_li.num_named_barrier, 0
	.set _ZL41rocblas_syrkx_herkx_small_restrict_kernelIldLi16ELb0ELb0ELc67ELc76EKddEviT_T0_PT6_S1_lS4_S1_lS2_PT7_S1_li.private_seg_size, 0
	.set _ZL41rocblas_syrkx_herkx_small_restrict_kernelIldLi16ELb0ELb0ELc67ELc76EKddEviT_T0_PT6_S1_lS4_S1_lS2_PT7_S1_li.uses_vcc, 1
	.set _ZL41rocblas_syrkx_herkx_small_restrict_kernelIldLi16ELb0ELb0ELc67ELc76EKddEviT_T0_PT6_S1_lS4_S1_lS2_PT7_S1_li.uses_flat_scratch, 0
	.set _ZL41rocblas_syrkx_herkx_small_restrict_kernelIldLi16ELb0ELb0ELc67ELc76EKddEviT_T0_PT6_S1_lS4_S1_lS2_PT7_S1_li.has_dyn_sized_stack, 0
	.set _ZL41rocblas_syrkx_herkx_small_restrict_kernelIldLi16ELb0ELb0ELc67ELc76EKddEviT_T0_PT6_S1_lS4_S1_lS2_PT7_S1_li.has_recursion, 0
	.set _ZL41rocblas_syrkx_herkx_small_restrict_kernelIldLi16ELb0ELb0ELc67ELc76EKddEviT_T0_PT6_S1_lS4_S1_lS2_PT7_S1_li.has_indirect_call, 0
	.section	.AMDGPU.csdata,"",@progbits
; Kernel info:
; codeLenInByte = 864
; TotalNumSgprs: 32
; NumVgprs: 24
; ScratchSize: 0
; MemoryBound: 0
; FloatMode: 240
; IeeeMode: 1
; LDSByteSize: 4096 bytes/workgroup (compile time only)
; SGPRBlocks: 3
; VGPRBlocks: 5
; NumSGPRsForWavesPerEU: 32
; NumVGPRsForWavesPerEU: 24
; Occupancy: 10
; WaveLimiterHint : 0
; COMPUTE_PGM_RSRC2:SCRATCH_EN: 0
; COMPUTE_PGM_RSRC2:USER_SGPR: 6
; COMPUTE_PGM_RSRC2:TRAP_HANDLER: 0
; COMPUTE_PGM_RSRC2:TGID_X_EN: 1
; COMPUTE_PGM_RSRC2:TGID_Y_EN: 1
; COMPUTE_PGM_RSRC2:TGID_Z_EN: 1
; COMPUTE_PGM_RSRC2:TIDIG_COMP_CNT: 1
	.section	.text._ZL41rocblas_syrkx_herkx_small_restrict_kernelIldLi16ELb0ELb0ELc78ELc76EKddEviT_T0_PT6_S1_lS4_S1_lS2_PT7_S1_li,"axG",@progbits,_ZL41rocblas_syrkx_herkx_small_restrict_kernelIldLi16ELb0ELb0ELc78ELc76EKddEviT_T0_PT6_S1_lS4_S1_lS2_PT7_S1_li,comdat
	.globl	_ZL41rocblas_syrkx_herkx_small_restrict_kernelIldLi16ELb0ELb0ELc78ELc76EKddEviT_T0_PT6_S1_lS4_S1_lS2_PT7_S1_li ; -- Begin function _ZL41rocblas_syrkx_herkx_small_restrict_kernelIldLi16ELb0ELb0ELc78ELc76EKddEviT_T0_PT6_S1_lS4_S1_lS2_PT7_S1_li
	.p2align	8
	.type	_ZL41rocblas_syrkx_herkx_small_restrict_kernelIldLi16ELb0ELb0ELc78ELc76EKddEviT_T0_PT6_S1_lS4_S1_lS2_PT7_S1_li,@function
_ZL41rocblas_syrkx_herkx_small_restrict_kernelIldLi16ELb0ELb0ELc78ELc76EKddEviT_T0_PT6_S1_lS4_S1_lS2_PT7_S1_li: ; @_ZL41rocblas_syrkx_herkx_small_restrict_kernelIldLi16ELb0ELb0ELc78ELc76EKddEviT_T0_PT6_S1_lS4_S1_lS2_PT7_S1_li
; %bb.0:
	s_load_dwordx16 s[12:27], s[4:5], 0x8
	v_lshl_add_u32 v2, s6, 4, v0
	v_lshl_add_u32 v4, s7, 4, v1
	v_ashrrev_i32_e32 v3, 31, v2
	v_ashrrev_i32_e32 v5, 31, v4
	s_waitcnt lgkmcnt(0)
	v_cmp_lt_i64_e64 s[0:1], s[12:13], 1
	s_and_b64 vcc, exec, s[0:1]
	s_cbranch_vccnz .LBB1047_6
; %bb.1:
	v_lshlrev_b32_e32 v6, 7, v1
	v_lshlrev_b32_e32 v12, 3, v0
	v_add_u32_e32 v13, v12, v6
	v_add_u32_e32 v14, 0x800, v6
	v_mad_u64_u32 v[6:7], s[0:1], s24, v0, 0
	s_mul_i32 s2, s27, s8
	s_mul_hi_u32 s3, s26, s8
	v_mad_u64_u32 v[7:8], s[0:1], s25, v0, v[7:8]
	s_add_i32 s1, s3, s2
	s_mul_i32 s0, s26, s8
	v_lshlrev_b64 v[6:7], 3, v[6:7]
	s_lshl_b64 s[0:1], s[0:1], 3
	v_mov_b32_e32 v0, s1
	v_add_co_u32_e32 v8, vcc, s0, v6
	v_addc_co_u32_e32 v0, vcc, v0, v7, vcc
	v_lshlrev_b64 v[6:7], 3, v[4:5]
	s_mul_i32 s6, s21, s8
	v_add_co_u32_e32 v6, vcc, v8, v6
	v_mad_u64_u32 v[8:9], s[0:1], s18, v1, 0
	v_addc_co_u32_e32 v0, vcc, v0, v7, vcc
	v_mov_b32_e32 v7, s23
	v_add_co_u32_e32 v6, vcc, s22, v6
	v_addc_co_u32_e32 v7, vcc, v7, v0, vcc
	v_mov_b32_e32 v0, v9
	v_mad_u64_u32 v[0:1], s[0:1], s19, v1, v[0:1]
	s_mul_hi_u32 s7, s20, s8
	s_add_i32 s1, s7, s6
	v_mov_b32_e32 v9, v0
	s_mul_i32 s0, s20, s8
	v_lshlrev_b64 v[0:1], 3, v[8:9]
	s_lshl_b64 s[0:1], s[0:1], 3
	v_mov_b32_e32 v8, s1
	v_add_co_u32_e32 v9, vcc, s0, v0
	v_addc_co_u32_e32 v8, vcc, v8, v1, vcc
	v_lshlrev_b64 v[0:1], 3, v[2:3]
	s_lshl_b64 s[2:3], s[24:25], 7
	v_add_co_u32_e32 v0, vcc, v9, v0
	v_addc_co_u32_e32 v1, vcc, v8, v1, vcc
	v_mov_b32_e32 v8, s17
	v_add_co_u32_e32 v0, vcc, s16, v0
	v_addc_co_u32_e32 v1, vcc, v8, v1, vcc
	s_lshl_b64 s[6:7], s[18:19], 7
	v_mov_b32_e32 v10, 0
	v_mov_b32_e32 v8, s12
	v_add_u32_e32 v15, v14, v12
	v_mov_b32_e32 v11, 0
	s_mov_b64 s[10:11], 0
	v_mov_b32_e32 v16, s3
	v_mov_b32_e32 v17, s7
	;; [unrolled: 1-line block ×3, first 2 shown]
.LBB1047_2:                             ; =>This Inner Loop Header: Depth=1
	global_load_dwordx2 v[18:19], v[0:1], off
	s_add_u32 s10, s10, 16
	v_add_co_u32_e64 v0, s[0:1], s6, v0
	s_addc_u32 s11, s11, 0
	s_waitcnt vmcnt(0)
	ds_write_b64 v13, v[18:19]
	global_load_dwordx2 v[18:19], v[6:7], off
	v_add_co_u32_e32 v6, vcc, s2, v6
	v_addc_co_u32_e32 v7, vcc, v7, v16, vcc
	v_addc_co_u32_e64 v1, vcc, v1, v17, s[0:1]
	v_cmp_lt_i64_e32 vcc, s[10:11], v[8:9]
	s_and_b64 vcc, exec, vcc
	s_waitcnt vmcnt(0)
	ds_write_b64 v15, v[18:19]
	s_waitcnt lgkmcnt(0)
	s_barrier
	ds_read2_b64 v[18:21], v12 offset1:16
	ds_read_b128 v[22:25], v14
	s_waitcnt lgkmcnt(0)
	v_fma_f64 v[10:11], v[18:19], v[22:23], v[10:11]
	v_fma_f64 v[10:11], v[20:21], v[24:25], v[10:11]
	ds_read_b128 v[18:21], v14 offset:16
	ds_read2_b64 v[22:25], v12 offset0:32 offset1:48
	s_waitcnt lgkmcnt(0)
	v_fma_f64 v[10:11], v[22:23], v[18:19], v[10:11]
	v_fma_f64 v[10:11], v[24:25], v[20:21], v[10:11]
	ds_read2_b64 v[18:21], v12 offset0:64 offset1:80
	ds_read_b128 v[22:25], v14 offset:32
	s_waitcnt lgkmcnt(0)
	v_fma_f64 v[10:11], v[18:19], v[22:23], v[10:11]
	v_fma_f64 v[10:11], v[20:21], v[24:25], v[10:11]
	ds_read_b128 v[18:21], v14 offset:48
	ds_read2_b64 v[22:25], v12 offset0:96 offset1:112
	s_waitcnt lgkmcnt(0)
	v_fma_f64 v[10:11], v[22:23], v[18:19], v[10:11]
	v_fma_f64 v[10:11], v[24:25], v[20:21], v[10:11]
	ds_read2_b64 v[18:21], v12 offset0:128 offset1:144
	ds_read_b128 v[22:25], v14 offset:64
	;; [unrolled: 10-line block ×3, first 2 shown]
	s_waitcnt lgkmcnt(0)
	v_fma_f64 v[10:11], v[18:19], v[22:23], v[10:11]
	v_fma_f64 v[10:11], v[20:21], v[24:25], v[10:11]
	ds_read_b128 v[18:21], v14 offset:112
	ds_read2_b64 v[22:25], v12 offset0:224 offset1:240
	s_waitcnt lgkmcnt(0)
	s_barrier
	v_fma_f64 v[10:11], v[22:23], v[18:19], v[10:11]
	v_fma_f64 v[10:11], v[24:25], v[20:21], v[10:11]
	s_cbranch_vccnz .LBB1047_2
; %bb.3:
	v_cmp_le_i32_e32 vcc, v4, v2
	s_and_saveexec_b64 s[0:1], vcc
	s_cbranch_execz .LBB1047_5
.LBB1047_4:
	s_load_dwordx8 s[16:23], s[4:5], 0x48
	s_waitcnt lgkmcnt(0)
	s_mul_i32 s1, s23, s8
	s_mul_hi_u32 s2, s22, s8
	v_mul_lo_u32 v6, s21, v4
	v_mul_lo_u32 v5, s20, v5
	s_add_i32 s1, s2, s1
	v_mad_u64_u32 v[0:1], s[2:3], s20, v4, 0
	s_mul_i32 s0, s22, s8
	s_lshl_b64 s[0:1], s[0:1], 3
	v_add3_u32 v1, v1, v5, v6
	s_add_u32 s0, s18, s0
	v_lshlrev_b64 v[0:1], 3, v[0:1]
	s_addc_u32 s1, s19, s1
	v_mov_b32_e32 v4, s1
	v_add_co_u32_e32 v5, vcc, s0, v0
	v_addc_co_u32_e32 v4, vcc, v4, v1, vcc
	v_lshlrev_b64 v[0:1], 3, v[2:3]
	v_add_co_u32_e32 v0, vcc, v5, v0
	v_addc_co_u32_e32 v1, vcc, v4, v1, vcc
	global_load_dwordx2 v[2:3], v[0:1], off
	s_waitcnt vmcnt(0)
	v_mul_f64 v[2:3], s[16:17], v[2:3]
	v_fma_f64 v[2:3], s[14:15], v[10:11], v[2:3]
	global_store_dwordx2 v[0:1], v[2:3], off
.LBB1047_5:
	s_endpgm
.LBB1047_6:
	v_mov_b32_e32 v10, 0
	v_mov_b32_e32 v11, 0
	v_cmp_le_i32_e32 vcc, v4, v2
	s_and_saveexec_b64 s[0:1], vcc
	s_cbranch_execnz .LBB1047_4
	s_branch .LBB1047_5
	.section	.rodata,"a",@progbits
	.p2align	6, 0x0
	.amdhsa_kernel _ZL41rocblas_syrkx_herkx_small_restrict_kernelIldLi16ELb0ELb0ELc78ELc76EKddEviT_T0_PT6_S1_lS4_S1_lS2_PT7_S1_li
		.amdhsa_group_segment_fixed_size 4096
		.amdhsa_private_segment_fixed_size 0
		.amdhsa_kernarg_size 108
		.amdhsa_user_sgpr_count 6
		.amdhsa_user_sgpr_private_segment_buffer 1
		.amdhsa_user_sgpr_dispatch_ptr 0
		.amdhsa_user_sgpr_queue_ptr 0
		.amdhsa_user_sgpr_kernarg_segment_ptr 1
		.amdhsa_user_sgpr_dispatch_id 0
		.amdhsa_user_sgpr_flat_scratch_init 0
		.amdhsa_user_sgpr_private_segment_size 0
		.amdhsa_uses_dynamic_stack 0
		.amdhsa_system_sgpr_private_segment_wavefront_offset 0
		.amdhsa_system_sgpr_workgroup_id_x 1
		.amdhsa_system_sgpr_workgroup_id_y 1
		.amdhsa_system_sgpr_workgroup_id_z 1
		.amdhsa_system_sgpr_workgroup_info 0
		.amdhsa_system_vgpr_workitem_id 1
		.amdhsa_next_free_vgpr 26
		.amdhsa_next_free_sgpr 28
		.amdhsa_reserve_vcc 1
		.amdhsa_reserve_flat_scratch 0
		.amdhsa_float_round_mode_32 0
		.amdhsa_float_round_mode_16_64 0
		.amdhsa_float_denorm_mode_32 3
		.amdhsa_float_denorm_mode_16_64 3
		.amdhsa_dx10_clamp 1
		.amdhsa_ieee_mode 1
		.amdhsa_fp16_overflow 0
		.amdhsa_exception_fp_ieee_invalid_op 0
		.amdhsa_exception_fp_denorm_src 0
		.amdhsa_exception_fp_ieee_div_zero 0
		.amdhsa_exception_fp_ieee_overflow 0
		.amdhsa_exception_fp_ieee_underflow 0
		.amdhsa_exception_fp_ieee_inexact 0
		.amdhsa_exception_int_div_zero 0
	.end_amdhsa_kernel
	.section	.text._ZL41rocblas_syrkx_herkx_small_restrict_kernelIldLi16ELb0ELb0ELc78ELc76EKddEviT_T0_PT6_S1_lS4_S1_lS2_PT7_S1_li,"axG",@progbits,_ZL41rocblas_syrkx_herkx_small_restrict_kernelIldLi16ELb0ELb0ELc78ELc76EKddEviT_T0_PT6_S1_lS4_S1_lS2_PT7_S1_li,comdat
.Lfunc_end1047:
	.size	_ZL41rocblas_syrkx_herkx_small_restrict_kernelIldLi16ELb0ELb0ELc78ELc76EKddEviT_T0_PT6_S1_lS4_S1_lS2_PT7_S1_li, .Lfunc_end1047-_ZL41rocblas_syrkx_herkx_small_restrict_kernelIldLi16ELb0ELb0ELc78ELc76EKddEviT_T0_PT6_S1_lS4_S1_lS2_PT7_S1_li
                                        ; -- End function
	.set _ZL41rocblas_syrkx_herkx_small_restrict_kernelIldLi16ELb0ELb0ELc78ELc76EKddEviT_T0_PT6_S1_lS4_S1_lS2_PT7_S1_li.num_vgpr, 26
	.set _ZL41rocblas_syrkx_herkx_small_restrict_kernelIldLi16ELb0ELb0ELc78ELc76EKddEviT_T0_PT6_S1_lS4_S1_lS2_PT7_S1_li.num_agpr, 0
	.set _ZL41rocblas_syrkx_herkx_small_restrict_kernelIldLi16ELb0ELb0ELc78ELc76EKddEviT_T0_PT6_S1_lS4_S1_lS2_PT7_S1_li.numbered_sgpr, 28
	.set _ZL41rocblas_syrkx_herkx_small_restrict_kernelIldLi16ELb0ELb0ELc78ELc76EKddEviT_T0_PT6_S1_lS4_S1_lS2_PT7_S1_li.num_named_barrier, 0
	.set _ZL41rocblas_syrkx_herkx_small_restrict_kernelIldLi16ELb0ELb0ELc78ELc76EKddEviT_T0_PT6_S1_lS4_S1_lS2_PT7_S1_li.private_seg_size, 0
	.set _ZL41rocblas_syrkx_herkx_small_restrict_kernelIldLi16ELb0ELb0ELc78ELc76EKddEviT_T0_PT6_S1_lS4_S1_lS2_PT7_S1_li.uses_vcc, 1
	.set _ZL41rocblas_syrkx_herkx_small_restrict_kernelIldLi16ELb0ELb0ELc78ELc76EKddEviT_T0_PT6_S1_lS4_S1_lS2_PT7_S1_li.uses_flat_scratch, 0
	.set _ZL41rocblas_syrkx_herkx_small_restrict_kernelIldLi16ELb0ELb0ELc78ELc76EKddEviT_T0_PT6_S1_lS4_S1_lS2_PT7_S1_li.has_dyn_sized_stack, 0
	.set _ZL41rocblas_syrkx_herkx_small_restrict_kernelIldLi16ELb0ELb0ELc78ELc76EKddEviT_T0_PT6_S1_lS4_S1_lS2_PT7_S1_li.has_recursion, 0
	.set _ZL41rocblas_syrkx_herkx_small_restrict_kernelIldLi16ELb0ELb0ELc78ELc76EKddEviT_T0_PT6_S1_lS4_S1_lS2_PT7_S1_li.has_indirect_call, 0
	.section	.AMDGPU.csdata,"",@progbits
; Kernel info:
; codeLenInByte = 856
; TotalNumSgprs: 32
; NumVgprs: 26
; ScratchSize: 0
; MemoryBound: 0
; FloatMode: 240
; IeeeMode: 1
; LDSByteSize: 4096 bytes/workgroup (compile time only)
; SGPRBlocks: 3
; VGPRBlocks: 6
; NumSGPRsForWavesPerEU: 32
; NumVGPRsForWavesPerEU: 26
; Occupancy: 9
; WaveLimiterHint : 0
; COMPUTE_PGM_RSRC2:SCRATCH_EN: 0
; COMPUTE_PGM_RSRC2:USER_SGPR: 6
; COMPUTE_PGM_RSRC2:TRAP_HANDLER: 0
; COMPUTE_PGM_RSRC2:TGID_X_EN: 1
; COMPUTE_PGM_RSRC2:TGID_Y_EN: 1
; COMPUTE_PGM_RSRC2:TGID_Z_EN: 1
; COMPUTE_PGM_RSRC2:TIDIG_COMP_CNT: 1
	.section	.text._ZL41rocblas_syrkx_herkx_small_restrict_kernelIldLi16ELb0ELb0ELc84ELc85EKddEviT_T0_PT6_S1_lS4_S1_lS2_PT7_S1_li,"axG",@progbits,_ZL41rocblas_syrkx_herkx_small_restrict_kernelIldLi16ELb0ELb0ELc84ELc85EKddEviT_T0_PT6_S1_lS4_S1_lS2_PT7_S1_li,comdat
	.globl	_ZL41rocblas_syrkx_herkx_small_restrict_kernelIldLi16ELb0ELb0ELc84ELc85EKddEviT_T0_PT6_S1_lS4_S1_lS2_PT7_S1_li ; -- Begin function _ZL41rocblas_syrkx_herkx_small_restrict_kernelIldLi16ELb0ELb0ELc84ELc85EKddEviT_T0_PT6_S1_lS4_S1_lS2_PT7_S1_li
	.p2align	8
	.type	_ZL41rocblas_syrkx_herkx_small_restrict_kernelIldLi16ELb0ELb0ELc84ELc85EKddEviT_T0_PT6_S1_lS4_S1_lS2_PT7_S1_li,@function
_ZL41rocblas_syrkx_herkx_small_restrict_kernelIldLi16ELb0ELb0ELc84ELc85EKddEviT_T0_PT6_S1_lS4_S1_lS2_PT7_S1_li: ; @_ZL41rocblas_syrkx_herkx_small_restrict_kernelIldLi16ELb0ELb0ELc84ELc85EKddEviT_T0_PT6_S1_lS4_S1_lS2_PT7_S1_li
; %bb.0:
	s_load_dwordx16 s[12:27], s[4:5], 0x8
	v_lshl_add_u32 v2, s6, 4, v0
	v_lshl_add_u32 v10, s7, 4, v1
	v_ashrrev_i32_e32 v3, 31, v2
	v_ashrrev_i32_e32 v11, 31, v10
	s_waitcnt lgkmcnt(0)
	v_cmp_lt_i64_e64 s[0:1], s[12:13], 1
	s_and_b64 vcc, exec, s[0:1]
	s_cbranch_vccnz .LBB1048_6
; %bb.1:
	v_lshlrev_b32_e32 v12, 3, v0
	v_mul_lo_u32 v0, s25, v10
	v_mul_lo_u32 v7, s24, v11
	v_mad_u64_u32 v[4:5], s[0:1], s24, v10, 0
	s_mul_i32 s0, s27, s8
	s_mul_hi_u32 s1, s26, s8
	v_add3_u32 v5, v5, v7, v0
	v_lshlrev_b64 v[4:5], 3, v[4:5]
	s_add_i32 s1, s1, s0
	s_mul_i32 s0, s26, s8
	v_lshlrev_b32_e32 v6, 7, v1
	s_lshl_b64 s[0:1], s[0:1], 3
	v_add_u32_e32 v13, v12, v6
	v_add_u32_e32 v14, 0x800, v6
	v_mov_b32_e32 v0, s1
	v_add_co_u32_e32 v4, vcc, s0, v4
	v_mul_lo_u32 v8, s19, v2
	v_mul_lo_u32 v9, s18, v3
	v_mad_u64_u32 v[6:7], s[0:1], s18, v2, 0
	v_addc_co_u32_e32 v0, vcc, v5, v0, vcc
	v_add_co_u32_e32 v4, vcc, v4, v12
	v_addc_co_u32_e32 v0, vcc, 0, v0, vcc
	v_add3_u32 v7, v7, v9, v8
	s_mul_i32 s0, s21, s8
	s_mul_hi_u32 s1, s20, s8
	v_mov_b32_e32 v5, s23
	v_add_co_u32_e32 v4, vcc, s22, v4
	v_lshlrev_b64 v[6:7], 3, v[6:7]
	s_add_i32 s1, s1, s0
	s_mul_i32 s0, s20, s8
	v_addc_co_u32_e32 v5, vcc, v5, v0, vcc
	s_lshl_b64 s[0:1], s[0:1], 3
	v_mov_b32_e32 v0, s1
	v_add_co_u32_e32 v6, vcc, s0, v6
	v_addc_co_u32_e32 v0, vcc, v7, v0, vcc
	v_lshlrev_b32_e32 v1, 3, v1
	v_add_co_u32_e32 v1, vcc, v6, v1
	v_addc_co_u32_e32 v6, vcc, 0, v0, vcc
	v_mov_b32_e32 v7, s17
	v_add_co_u32_e32 v0, vcc, s16, v1
	v_addc_co_u32_e32 v1, vcc, v7, v6, vcc
	v_mov_b32_e32 v8, 0
	v_mov_b32_e32 v6, s12
	v_add_u32_e32 v15, v14, v12
	v_mov_b32_e32 v9, 0
	s_mov_b64 s[2:3], 0
	v_mov_b32_e32 v7, s13
.LBB1048_2:                             ; =>This Inner Loop Header: Depth=1
	global_load_dwordx2 v[16:17], v[0:1], off
	global_load_dwordx2 v[18:19], v[4:5], off
	v_add_co_u32_e32 v4, vcc, 0x80, v4
	s_add_u32 s2, s2, 16
	s_mov_b64 s[0:1], vcc
	s_addc_u32 s3, s3, 0
	v_addc_co_u32_e64 v5, s[0:1], 0, v5, s[0:1]
	v_add_co_u32_e32 v0, vcc, 0x80, v0
	v_cmp_lt_i64_e64 s[0:1], s[2:3], v[6:7]
	v_addc_co_u32_e32 v1, vcc, 0, v1, vcc
	s_and_b64 vcc, exec, s[0:1]
	s_waitcnt vmcnt(1)
	ds_write_b64 v13, v[16:17]
	s_waitcnt vmcnt(0)
	ds_write_b64 v15, v[18:19]
	s_waitcnt lgkmcnt(0)
	s_barrier
	ds_read2_b64 v[16:19], v12 offset1:16
	ds_read_b128 v[20:23], v14
	s_waitcnt lgkmcnt(0)
	v_fma_f64 v[8:9], v[16:17], v[20:21], v[8:9]
	v_fma_f64 v[8:9], v[18:19], v[22:23], v[8:9]
	ds_read_b128 v[16:19], v14 offset:16
	ds_read2_b64 v[20:23], v12 offset0:32 offset1:48
	s_waitcnt lgkmcnt(0)
	v_fma_f64 v[8:9], v[20:21], v[16:17], v[8:9]
	v_fma_f64 v[8:9], v[22:23], v[18:19], v[8:9]
	ds_read2_b64 v[16:19], v12 offset0:64 offset1:80
	ds_read_b128 v[20:23], v14 offset:32
	s_waitcnt lgkmcnt(0)
	v_fma_f64 v[8:9], v[16:17], v[20:21], v[8:9]
	v_fma_f64 v[8:9], v[18:19], v[22:23], v[8:9]
	ds_read_b128 v[16:19], v14 offset:48
	ds_read2_b64 v[20:23], v12 offset0:96 offset1:112
	s_waitcnt lgkmcnt(0)
	v_fma_f64 v[8:9], v[20:21], v[16:17], v[8:9]
	v_fma_f64 v[8:9], v[22:23], v[18:19], v[8:9]
	ds_read2_b64 v[16:19], v12 offset0:128 offset1:144
	ds_read_b128 v[20:23], v14 offset:64
	;; [unrolled: 10-line block ×3, first 2 shown]
	s_waitcnt lgkmcnt(0)
	v_fma_f64 v[8:9], v[16:17], v[20:21], v[8:9]
	v_fma_f64 v[8:9], v[18:19], v[22:23], v[8:9]
	ds_read_b128 v[16:19], v14 offset:112
	ds_read2_b64 v[20:23], v12 offset0:224 offset1:240
	s_waitcnt lgkmcnt(0)
	s_barrier
	v_fma_f64 v[8:9], v[20:21], v[16:17], v[8:9]
	v_fma_f64 v[8:9], v[22:23], v[18:19], v[8:9]
	s_cbranch_vccnz .LBB1048_2
; %bb.3:
	v_cmp_le_i32_e32 vcc, v2, v10
	s_and_saveexec_b64 s[0:1], vcc
	s_cbranch_execz .LBB1048_5
.LBB1048_4:
	s_load_dwordx8 s[16:23], s[4:5], 0x48
	s_waitcnt lgkmcnt(0)
	s_mul_i32 s1, s23, s8
	s_mul_hi_u32 s2, s22, s8
	v_mul_lo_u32 v4, s21, v10
	v_mul_lo_u32 v5, s20, v11
	s_add_i32 s1, s2, s1
	v_mad_u64_u32 v[0:1], s[2:3], s20, v10, 0
	s_mul_i32 s0, s22, s8
	s_lshl_b64 s[0:1], s[0:1], 3
	v_add3_u32 v1, v1, v5, v4
	s_add_u32 s0, s18, s0
	v_lshlrev_b64 v[0:1], 3, v[0:1]
	s_addc_u32 s1, s19, s1
	v_mov_b32_e32 v4, s1
	v_add_co_u32_e32 v5, vcc, s0, v0
	v_addc_co_u32_e32 v4, vcc, v4, v1, vcc
	v_lshlrev_b64 v[0:1], 3, v[2:3]
	v_add_co_u32_e32 v0, vcc, v5, v0
	v_addc_co_u32_e32 v1, vcc, v4, v1, vcc
	global_load_dwordx2 v[2:3], v[0:1], off
	s_waitcnt vmcnt(0)
	v_mul_f64 v[2:3], s[16:17], v[2:3]
	v_fma_f64 v[2:3], s[14:15], v[8:9], v[2:3]
	global_store_dwordx2 v[0:1], v[2:3], off
.LBB1048_5:
	s_endpgm
.LBB1048_6:
	v_mov_b32_e32 v8, 0
	v_mov_b32_e32 v9, 0
	v_cmp_le_i32_e32 vcc, v2, v10
	s_and_saveexec_b64 s[0:1], vcc
	s_cbranch_execnz .LBB1048_4
	s_branch .LBB1048_5
	.section	.rodata,"a",@progbits
	.p2align	6, 0x0
	.amdhsa_kernel _ZL41rocblas_syrkx_herkx_small_restrict_kernelIldLi16ELb0ELb0ELc84ELc85EKddEviT_T0_PT6_S1_lS4_S1_lS2_PT7_S1_li
		.amdhsa_group_segment_fixed_size 4096
		.amdhsa_private_segment_fixed_size 0
		.amdhsa_kernarg_size 108
		.amdhsa_user_sgpr_count 6
		.amdhsa_user_sgpr_private_segment_buffer 1
		.amdhsa_user_sgpr_dispatch_ptr 0
		.amdhsa_user_sgpr_queue_ptr 0
		.amdhsa_user_sgpr_kernarg_segment_ptr 1
		.amdhsa_user_sgpr_dispatch_id 0
		.amdhsa_user_sgpr_flat_scratch_init 0
		.amdhsa_user_sgpr_private_segment_size 0
		.amdhsa_uses_dynamic_stack 0
		.amdhsa_system_sgpr_private_segment_wavefront_offset 0
		.amdhsa_system_sgpr_workgroup_id_x 1
		.amdhsa_system_sgpr_workgroup_id_y 1
		.amdhsa_system_sgpr_workgroup_id_z 1
		.amdhsa_system_sgpr_workgroup_info 0
		.amdhsa_system_vgpr_workitem_id 1
		.amdhsa_next_free_vgpr 24
		.amdhsa_next_free_sgpr 28
		.amdhsa_reserve_vcc 1
		.amdhsa_reserve_flat_scratch 0
		.amdhsa_float_round_mode_32 0
		.amdhsa_float_round_mode_16_64 0
		.amdhsa_float_denorm_mode_32 3
		.amdhsa_float_denorm_mode_16_64 3
		.amdhsa_dx10_clamp 1
		.amdhsa_ieee_mode 1
		.amdhsa_fp16_overflow 0
		.amdhsa_exception_fp_ieee_invalid_op 0
		.amdhsa_exception_fp_denorm_src 0
		.amdhsa_exception_fp_ieee_div_zero 0
		.amdhsa_exception_fp_ieee_overflow 0
		.amdhsa_exception_fp_ieee_underflow 0
		.amdhsa_exception_fp_ieee_inexact 0
		.amdhsa_exception_int_div_zero 0
	.end_amdhsa_kernel
	.section	.text._ZL41rocblas_syrkx_herkx_small_restrict_kernelIldLi16ELb0ELb0ELc84ELc85EKddEviT_T0_PT6_S1_lS4_S1_lS2_PT7_S1_li,"axG",@progbits,_ZL41rocblas_syrkx_herkx_small_restrict_kernelIldLi16ELb0ELb0ELc84ELc85EKddEviT_T0_PT6_S1_lS4_S1_lS2_PT7_S1_li,comdat
.Lfunc_end1048:
	.size	_ZL41rocblas_syrkx_herkx_small_restrict_kernelIldLi16ELb0ELb0ELc84ELc85EKddEviT_T0_PT6_S1_lS4_S1_lS2_PT7_S1_li, .Lfunc_end1048-_ZL41rocblas_syrkx_herkx_small_restrict_kernelIldLi16ELb0ELb0ELc84ELc85EKddEviT_T0_PT6_S1_lS4_S1_lS2_PT7_S1_li
                                        ; -- End function
	.set _ZL41rocblas_syrkx_herkx_small_restrict_kernelIldLi16ELb0ELb0ELc84ELc85EKddEviT_T0_PT6_S1_lS4_S1_lS2_PT7_S1_li.num_vgpr, 24
	.set _ZL41rocblas_syrkx_herkx_small_restrict_kernelIldLi16ELb0ELb0ELc84ELc85EKddEviT_T0_PT6_S1_lS4_S1_lS2_PT7_S1_li.num_agpr, 0
	.set _ZL41rocblas_syrkx_herkx_small_restrict_kernelIldLi16ELb0ELb0ELc84ELc85EKddEviT_T0_PT6_S1_lS4_S1_lS2_PT7_S1_li.numbered_sgpr, 28
	.set _ZL41rocblas_syrkx_herkx_small_restrict_kernelIldLi16ELb0ELb0ELc84ELc85EKddEviT_T0_PT6_S1_lS4_S1_lS2_PT7_S1_li.num_named_barrier, 0
	.set _ZL41rocblas_syrkx_herkx_small_restrict_kernelIldLi16ELb0ELb0ELc84ELc85EKddEviT_T0_PT6_S1_lS4_S1_lS2_PT7_S1_li.private_seg_size, 0
	.set _ZL41rocblas_syrkx_herkx_small_restrict_kernelIldLi16ELb0ELb0ELc84ELc85EKddEviT_T0_PT6_S1_lS4_S1_lS2_PT7_S1_li.uses_vcc, 1
	.set _ZL41rocblas_syrkx_herkx_small_restrict_kernelIldLi16ELb0ELb0ELc84ELc85EKddEviT_T0_PT6_S1_lS4_S1_lS2_PT7_S1_li.uses_flat_scratch, 0
	.set _ZL41rocblas_syrkx_herkx_small_restrict_kernelIldLi16ELb0ELb0ELc84ELc85EKddEviT_T0_PT6_S1_lS4_S1_lS2_PT7_S1_li.has_dyn_sized_stack, 0
	.set _ZL41rocblas_syrkx_herkx_small_restrict_kernelIldLi16ELb0ELb0ELc84ELc85EKddEviT_T0_PT6_S1_lS4_S1_lS2_PT7_S1_li.has_recursion, 0
	.set _ZL41rocblas_syrkx_herkx_small_restrict_kernelIldLi16ELb0ELb0ELc84ELc85EKddEviT_T0_PT6_S1_lS4_S1_lS2_PT7_S1_li.has_indirect_call, 0
	.section	.AMDGPU.csdata,"",@progbits
; Kernel info:
; codeLenInByte = 864
; TotalNumSgprs: 32
; NumVgprs: 24
; ScratchSize: 0
; MemoryBound: 0
; FloatMode: 240
; IeeeMode: 1
; LDSByteSize: 4096 bytes/workgroup (compile time only)
; SGPRBlocks: 3
; VGPRBlocks: 5
; NumSGPRsForWavesPerEU: 32
; NumVGPRsForWavesPerEU: 24
; Occupancy: 10
; WaveLimiterHint : 0
; COMPUTE_PGM_RSRC2:SCRATCH_EN: 0
; COMPUTE_PGM_RSRC2:USER_SGPR: 6
; COMPUTE_PGM_RSRC2:TRAP_HANDLER: 0
; COMPUTE_PGM_RSRC2:TGID_X_EN: 1
; COMPUTE_PGM_RSRC2:TGID_Y_EN: 1
; COMPUTE_PGM_RSRC2:TGID_Z_EN: 1
; COMPUTE_PGM_RSRC2:TIDIG_COMP_CNT: 1
	.section	.text._ZL41rocblas_syrkx_herkx_small_restrict_kernelIldLi16ELb0ELb0ELc67ELc85EKddEviT_T0_PT6_S1_lS4_S1_lS2_PT7_S1_li,"axG",@progbits,_ZL41rocblas_syrkx_herkx_small_restrict_kernelIldLi16ELb0ELb0ELc67ELc85EKddEviT_T0_PT6_S1_lS4_S1_lS2_PT7_S1_li,comdat
	.globl	_ZL41rocblas_syrkx_herkx_small_restrict_kernelIldLi16ELb0ELb0ELc67ELc85EKddEviT_T0_PT6_S1_lS4_S1_lS2_PT7_S1_li ; -- Begin function _ZL41rocblas_syrkx_herkx_small_restrict_kernelIldLi16ELb0ELb0ELc67ELc85EKddEviT_T0_PT6_S1_lS4_S1_lS2_PT7_S1_li
	.p2align	8
	.type	_ZL41rocblas_syrkx_herkx_small_restrict_kernelIldLi16ELb0ELb0ELc67ELc85EKddEviT_T0_PT6_S1_lS4_S1_lS2_PT7_S1_li,@function
_ZL41rocblas_syrkx_herkx_small_restrict_kernelIldLi16ELb0ELb0ELc67ELc85EKddEviT_T0_PT6_S1_lS4_S1_lS2_PT7_S1_li: ; @_ZL41rocblas_syrkx_herkx_small_restrict_kernelIldLi16ELb0ELb0ELc67ELc85EKddEviT_T0_PT6_S1_lS4_S1_lS2_PT7_S1_li
; %bb.0:
	s_load_dwordx16 s[12:27], s[4:5], 0x8
	v_lshl_add_u32 v2, s6, 4, v0
	v_lshl_add_u32 v10, s7, 4, v1
	v_ashrrev_i32_e32 v3, 31, v2
	v_ashrrev_i32_e32 v11, 31, v10
	s_waitcnt lgkmcnt(0)
	v_cmp_lt_i64_e64 s[0:1], s[12:13], 1
	s_and_b64 vcc, exec, s[0:1]
	s_cbranch_vccnz .LBB1049_6
; %bb.1:
	v_lshlrev_b32_e32 v12, 3, v0
	v_mul_lo_u32 v0, s25, v10
	v_mul_lo_u32 v7, s24, v11
	v_mad_u64_u32 v[4:5], s[0:1], s24, v10, 0
	s_mul_i32 s0, s27, s8
	s_mul_hi_u32 s1, s26, s8
	v_add3_u32 v5, v5, v7, v0
	v_lshlrev_b64 v[4:5], 3, v[4:5]
	s_add_i32 s1, s1, s0
	s_mul_i32 s0, s26, s8
	v_lshlrev_b32_e32 v6, 7, v1
	s_lshl_b64 s[0:1], s[0:1], 3
	v_add_u32_e32 v13, v12, v6
	v_add_u32_e32 v14, 0x800, v6
	v_mov_b32_e32 v0, s1
	v_add_co_u32_e32 v4, vcc, s0, v4
	v_mul_lo_u32 v8, s19, v2
	v_mul_lo_u32 v9, s18, v3
	v_mad_u64_u32 v[6:7], s[0:1], s18, v2, 0
	v_addc_co_u32_e32 v0, vcc, v5, v0, vcc
	v_add_co_u32_e32 v4, vcc, v4, v12
	v_addc_co_u32_e32 v0, vcc, 0, v0, vcc
	v_add3_u32 v7, v7, v9, v8
	s_mul_i32 s0, s21, s8
	s_mul_hi_u32 s1, s20, s8
	v_mov_b32_e32 v5, s23
	v_add_co_u32_e32 v4, vcc, s22, v4
	v_lshlrev_b64 v[6:7], 3, v[6:7]
	s_add_i32 s1, s1, s0
	s_mul_i32 s0, s20, s8
	v_addc_co_u32_e32 v5, vcc, v5, v0, vcc
	s_lshl_b64 s[0:1], s[0:1], 3
	v_mov_b32_e32 v0, s1
	v_add_co_u32_e32 v6, vcc, s0, v6
	v_addc_co_u32_e32 v0, vcc, v7, v0, vcc
	v_lshlrev_b32_e32 v1, 3, v1
	v_add_co_u32_e32 v1, vcc, v6, v1
	v_addc_co_u32_e32 v6, vcc, 0, v0, vcc
	v_mov_b32_e32 v7, s17
	v_add_co_u32_e32 v0, vcc, s16, v1
	v_addc_co_u32_e32 v1, vcc, v7, v6, vcc
	v_mov_b32_e32 v8, 0
	v_mov_b32_e32 v6, s12
	v_add_u32_e32 v15, v14, v12
	v_mov_b32_e32 v9, 0
	s_mov_b64 s[2:3], 0
	v_mov_b32_e32 v7, s13
.LBB1049_2:                             ; =>This Inner Loop Header: Depth=1
	global_load_dwordx2 v[16:17], v[0:1], off
	global_load_dwordx2 v[18:19], v[4:5], off
	v_add_co_u32_e32 v4, vcc, 0x80, v4
	s_add_u32 s2, s2, 16
	s_mov_b64 s[0:1], vcc
	s_addc_u32 s3, s3, 0
	v_addc_co_u32_e64 v5, s[0:1], 0, v5, s[0:1]
	v_add_co_u32_e32 v0, vcc, 0x80, v0
	v_cmp_lt_i64_e64 s[0:1], s[2:3], v[6:7]
	v_addc_co_u32_e32 v1, vcc, 0, v1, vcc
	s_and_b64 vcc, exec, s[0:1]
	s_waitcnt vmcnt(1)
	ds_write_b64 v13, v[16:17]
	s_waitcnt vmcnt(0)
	ds_write_b64 v15, v[18:19]
	s_waitcnt lgkmcnt(0)
	s_barrier
	ds_read2_b64 v[16:19], v12 offset1:16
	ds_read_b128 v[20:23], v14
	s_waitcnt lgkmcnt(0)
	v_fma_f64 v[8:9], v[16:17], v[20:21], v[8:9]
	v_fma_f64 v[8:9], v[18:19], v[22:23], v[8:9]
	ds_read_b128 v[16:19], v14 offset:16
	ds_read2_b64 v[20:23], v12 offset0:32 offset1:48
	s_waitcnt lgkmcnt(0)
	v_fma_f64 v[8:9], v[20:21], v[16:17], v[8:9]
	v_fma_f64 v[8:9], v[22:23], v[18:19], v[8:9]
	ds_read2_b64 v[16:19], v12 offset0:64 offset1:80
	ds_read_b128 v[20:23], v14 offset:32
	s_waitcnt lgkmcnt(0)
	v_fma_f64 v[8:9], v[16:17], v[20:21], v[8:9]
	v_fma_f64 v[8:9], v[18:19], v[22:23], v[8:9]
	ds_read_b128 v[16:19], v14 offset:48
	ds_read2_b64 v[20:23], v12 offset0:96 offset1:112
	s_waitcnt lgkmcnt(0)
	v_fma_f64 v[8:9], v[20:21], v[16:17], v[8:9]
	v_fma_f64 v[8:9], v[22:23], v[18:19], v[8:9]
	ds_read2_b64 v[16:19], v12 offset0:128 offset1:144
	ds_read_b128 v[20:23], v14 offset:64
	;; [unrolled: 10-line block ×3, first 2 shown]
	s_waitcnt lgkmcnt(0)
	v_fma_f64 v[8:9], v[16:17], v[20:21], v[8:9]
	v_fma_f64 v[8:9], v[18:19], v[22:23], v[8:9]
	ds_read_b128 v[16:19], v14 offset:112
	ds_read2_b64 v[20:23], v12 offset0:224 offset1:240
	s_waitcnt lgkmcnt(0)
	s_barrier
	v_fma_f64 v[8:9], v[20:21], v[16:17], v[8:9]
	v_fma_f64 v[8:9], v[22:23], v[18:19], v[8:9]
	s_cbranch_vccnz .LBB1049_2
; %bb.3:
	v_cmp_le_i32_e32 vcc, v2, v10
	s_and_saveexec_b64 s[0:1], vcc
	s_cbranch_execz .LBB1049_5
.LBB1049_4:
	s_load_dwordx8 s[16:23], s[4:5], 0x48
	s_waitcnt lgkmcnt(0)
	s_mul_i32 s1, s23, s8
	s_mul_hi_u32 s2, s22, s8
	v_mul_lo_u32 v4, s21, v10
	v_mul_lo_u32 v5, s20, v11
	s_add_i32 s1, s2, s1
	v_mad_u64_u32 v[0:1], s[2:3], s20, v10, 0
	s_mul_i32 s0, s22, s8
	s_lshl_b64 s[0:1], s[0:1], 3
	v_add3_u32 v1, v1, v5, v4
	s_add_u32 s0, s18, s0
	v_lshlrev_b64 v[0:1], 3, v[0:1]
	s_addc_u32 s1, s19, s1
	v_mov_b32_e32 v4, s1
	v_add_co_u32_e32 v5, vcc, s0, v0
	v_addc_co_u32_e32 v4, vcc, v4, v1, vcc
	v_lshlrev_b64 v[0:1], 3, v[2:3]
	v_add_co_u32_e32 v0, vcc, v5, v0
	v_addc_co_u32_e32 v1, vcc, v4, v1, vcc
	global_load_dwordx2 v[2:3], v[0:1], off
	s_waitcnt vmcnt(0)
	v_mul_f64 v[2:3], s[16:17], v[2:3]
	v_fma_f64 v[2:3], s[14:15], v[8:9], v[2:3]
	global_store_dwordx2 v[0:1], v[2:3], off
.LBB1049_5:
	s_endpgm
.LBB1049_6:
	v_mov_b32_e32 v8, 0
	v_mov_b32_e32 v9, 0
	v_cmp_le_i32_e32 vcc, v2, v10
	s_and_saveexec_b64 s[0:1], vcc
	s_cbranch_execnz .LBB1049_4
	s_branch .LBB1049_5
	.section	.rodata,"a",@progbits
	.p2align	6, 0x0
	.amdhsa_kernel _ZL41rocblas_syrkx_herkx_small_restrict_kernelIldLi16ELb0ELb0ELc67ELc85EKddEviT_T0_PT6_S1_lS4_S1_lS2_PT7_S1_li
		.amdhsa_group_segment_fixed_size 4096
		.amdhsa_private_segment_fixed_size 0
		.amdhsa_kernarg_size 108
		.amdhsa_user_sgpr_count 6
		.amdhsa_user_sgpr_private_segment_buffer 1
		.amdhsa_user_sgpr_dispatch_ptr 0
		.amdhsa_user_sgpr_queue_ptr 0
		.amdhsa_user_sgpr_kernarg_segment_ptr 1
		.amdhsa_user_sgpr_dispatch_id 0
		.amdhsa_user_sgpr_flat_scratch_init 0
		.amdhsa_user_sgpr_private_segment_size 0
		.amdhsa_uses_dynamic_stack 0
		.amdhsa_system_sgpr_private_segment_wavefront_offset 0
		.amdhsa_system_sgpr_workgroup_id_x 1
		.amdhsa_system_sgpr_workgroup_id_y 1
		.amdhsa_system_sgpr_workgroup_id_z 1
		.amdhsa_system_sgpr_workgroup_info 0
		.amdhsa_system_vgpr_workitem_id 1
		.amdhsa_next_free_vgpr 24
		.amdhsa_next_free_sgpr 28
		.amdhsa_reserve_vcc 1
		.amdhsa_reserve_flat_scratch 0
		.amdhsa_float_round_mode_32 0
		.amdhsa_float_round_mode_16_64 0
		.amdhsa_float_denorm_mode_32 3
		.amdhsa_float_denorm_mode_16_64 3
		.amdhsa_dx10_clamp 1
		.amdhsa_ieee_mode 1
		.amdhsa_fp16_overflow 0
		.amdhsa_exception_fp_ieee_invalid_op 0
		.amdhsa_exception_fp_denorm_src 0
		.amdhsa_exception_fp_ieee_div_zero 0
		.amdhsa_exception_fp_ieee_overflow 0
		.amdhsa_exception_fp_ieee_underflow 0
		.amdhsa_exception_fp_ieee_inexact 0
		.amdhsa_exception_int_div_zero 0
	.end_amdhsa_kernel
	.section	.text._ZL41rocblas_syrkx_herkx_small_restrict_kernelIldLi16ELb0ELb0ELc67ELc85EKddEviT_T0_PT6_S1_lS4_S1_lS2_PT7_S1_li,"axG",@progbits,_ZL41rocblas_syrkx_herkx_small_restrict_kernelIldLi16ELb0ELb0ELc67ELc85EKddEviT_T0_PT6_S1_lS4_S1_lS2_PT7_S1_li,comdat
.Lfunc_end1049:
	.size	_ZL41rocblas_syrkx_herkx_small_restrict_kernelIldLi16ELb0ELb0ELc67ELc85EKddEviT_T0_PT6_S1_lS4_S1_lS2_PT7_S1_li, .Lfunc_end1049-_ZL41rocblas_syrkx_herkx_small_restrict_kernelIldLi16ELb0ELb0ELc67ELc85EKddEviT_T0_PT6_S1_lS4_S1_lS2_PT7_S1_li
                                        ; -- End function
	.set _ZL41rocblas_syrkx_herkx_small_restrict_kernelIldLi16ELb0ELb0ELc67ELc85EKddEviT_T0_PT6_S1_lS4_S1_lS2_PT7_S1_li.num_vgpr, 24
	.set _ZL41rocblas_syrkx_herkx_small_restrict_kernelIldLi16ELb0ELb0ELc67ELc85EKddEviT_T0_PT6_S1_lS4_S1_lS2_PT7_S1_li.num_agpr, 0
	.set _ZL41rocblas_syrkx_herkx_small_restrict_kernelIldLi16ELb0ELb0ELc67ELc85EKddEviT_T0_PT6_S1_lS4_S1_lS2_PT7_S1_li.numbered_sgpr, 28
	.set _ZL41rocblas_syrkx_herkx_small_restrict_kernelIldLi16ELb0ELb0ELc67ELc85EKddEviT_T0_PT6_S1_lS4_S1_lS2_PT7_S1_li.num_named_barrier, 0
	.set _ZL41rocblas_syrkx_herkx_small_restrict_kernelIldLi16ELb0ELb0ELc67ELc85EKddEviT_T0_PT6_S1_lS4_S1_lS2_PT7_S1_li.private_seg_size, 0
	.set _ZL41rocblas_syrkx_herkx_small_restrict_kernelIldLi16ELb0ELb0ELc67ELc85EKddEviT_T0_PT6_S1_lS4_S1_lS2_PT7_S1_li.uses_vcc, 1
	.set _ZL41rocblas_syrkx_herkx_small_restrict_kernelIldLi16ELb0ELb0ELc67ELc85EKddEviT_T0_PT6_S1_lS4_S1_lS2_PT7_S1_li.uses_flat_scratch, 0
	.set _ZL41rocblas_syrkx_herkx_small_restrict_kernelIldLi16ELb0ELb0ELc67ELc85EKddEviT_T0_PT6_S1_lS4_S1_lS2_PT7_S1_li.has_dyn_sized_stack, 0
	.set _ZL41rocblas_syrkx_herkx_small_restrict_kernelIldLi16ELb0ELb0ELc67ELc85EKddEviT_T0_PT6_S1_lS4_S1_lS2_PT7_S1_li.has_recursion, 0
	.set _ZL41rocblas_syrkx_herkx_small_restrict_kernelIldLi16ELb0ELb0ELc67ELc85EKddEviT_T0_PT6_S1_lS4_S1_lS2_PT7_S1_li.has_indirect_call, 0
	.section	.AMDGPU.csdata,"",@progbits
; Kernel info:
; codeLenInByte = 864
; TotalNumSgprs: 32
; NumVgprs: 24
; ScratchSize: 0
; MemoryBound: 0
; FloatMode: 240
; IeeeMode: 1
; LDSByteSize: 4096 bytes/workgroup (compile time only)
; SGPRBlocks: 3
; VGPRBlocks: 5
; NumSGPRsForWavesPerEU: 32
; NumVGPRsForWavesPerEU: 24
; Occupancy: 10
; WaveLimiterHint : 0
; COMPUTE_PGM_RSRC2:SCRATCH_EN: 0
; COMPUTE_PGM_RSRC2:USER_SGPR: 6
; COMPUTE_PGM_RSRC2:TRAP_HANDLER: 0
; COMPUTE_PGM_RSRC2:TGID_X_EN: 1
; COMPUTE_PGM_RSRC2:TGID_Y_EN: 1
; COMPUTE_PGM_RSRC2:TGID_Z_EN: 1
; COMPUTE_PGM_RSRC2:TIDIG_COMP_CNT: 1
	.section	.text._ZL41rocblas_syrkx_herkx_small_restrict_kernelIldLi16ELb0ELb0ELc78ELc85EKddEviT_T0_PT6_S1_lS4_S1_lS2_PT7_S1_li,"axG",@progbits,_ZL41rocblas_syrkx_herkx_small_restrict_kernelIldLi16ELb0ELb0ELc78ELc85EKddEviT_T0_PT6_S1_lS4_S1_lS2_PT7_S1_li,comdat
	.globl	_ZL41rocblas_syrkx_herkx_small_restrict_kernelIldLi16ELb0ELb0ELc78ELc85EKddEviT_T0_PT6_S1_lS4_S1_lS2_PT7_S1_li ; -- Begin function _ZL41rocblas_syrkx_herkx_small_restrict_kernelIldLi16ELb0ELb0ELc78ELc85EKddEviT_T0_PT6_S1_lS4_S1_lS2_PT7_S1_li
	.p2align	8
	.type	_ZL41rocblas_syrkx_herkx_small_restrict_kernelIldLi16ELb0ELb0ELc78ELc85EKddEviT_T0_PT6_S1_lS4_S1_lS2_PT7_S1_li,@function
_ZL41rocblas_syrkx_herkx_small_restrict_kernelIldLi16ELb0ELb0ELc78ELc85EKddEviT_T0_PT6_S1_lS4_S1_lS2_PT7_S1_li: ; @_ZL41rocblas_syrkx_herkx_small_restrict_kernelIldLi16ELb0ELb0ELc78ELc85EKddEviT_T0_PT6_S1_lS4_S1_lS2_PT7_S1_li
; %bb.0:
	s_load_dwordx16 s[12:27], s[4:5], 0x8
	v_lshl_add_u32 v2, s6, 4, v0
	v_lshl_add_u32 v4, s7, 4, v1
	v_ashrrev_i32_e32 v3, 31, v2
	v_ashrrev_i32_e32 v5, 31, v4
	s_waitcnt lgkmcnt(0)
	v_cmp_lt_i64_e64 s[0:1], s[12:13], 1
	s_and_b64 vcc, exec, s[0:1]
	s_cbranch_vccnz .LBB1050_6
; %bb.1:
	v_lshlrev_b32_e32 v6, 7, v1
	v_lshlrev_b32_e32 v12, 3, v0
	v_add_u32_e32 v13, v12, v6
	v_add_u32_e32 v14, 0x800, v6
	v_mad_u64_u32 v[6:7], s[0:1], s24, v0, 0
	s_mul_i32 s2, s27, s8
	s_mul_hi_u32 s3, s26, s8
	v_mad_u64_u32 v[7:8], s[0:1], s25, v0, v[7:8]
	s_add_i32 s1, s3, s2
	s_mul_i32 s0, s26, s8
	v_lshlrev_b64 v[6:7], 3, v[6:7]
	s_lshl_b64 s[0:1], s[0:1], 3
	v_mov_b32_e32 v0, s1
	v_add_co_u32_e32 v8, vcc, s0, v6
	v_addc_co_u32_e32 v0, vcc, v0, v7, vcc
	v_lshlrev_b64 v[6:7], 3, v[4:5]
	s_mul_i32 s6, s21, s8
	v_add_co_u32_e32 v6, vcc, v8, v6
	v_mad_u64_u32 v[8:9], s[0:1], s18, v1, 0
	v_addc_co_u32_e32 v0, vcc, v0, v7, vcc
	v_mov_b32_e32 v7, s23
	v_add_co_u32_e32 v6, vcc, s22, v6
	v_addc_co_u32_e32 v7, vcc, v7, v0, vcc
	v_mov_b32_e32 v0, v9
	v_mad_u64_u32 v[0:1], s[0:1], s19, v1, v[0:1]
	s_mul_hi_u32 s7, s20, s8
	s_add_i32 s1, s7, s6
	v_mov_b32_e32 v9, v0
	s_mul_i32 s0, s20, s8
	v_lshlrev_b64 v[0:1], 3, v[8:9]
	s_lshl_b64 s[0:1], s[0:1], 3
	v_mov_b32_e32 v8, s1
	v_add_co_u32_e32 v9, vcc, s0, v0
	v_addc_co_u32_e32 v8, vcc, v8, v1, vcc
	v_lshlrev_b64 v[0:1], 3, v[2:3]
	s_lshl_b64 s[2:3], s[24:25], 7
	v_add_co_u32_e32 v0, vcc, v9, v0
	v_addc_co_u32_e32 v1, vcc, v8, v1, vcc
	v_mov_b32_e32 v8, s17
	v_add_co_u32_e32 v0, vcc, s16, v0
	v_addc_co_u32_e32 v1, vcc, v8, v1, vcc
	s_lshl_b64 s[6:7], s[18:19], 7
	v_mov_b32_e32 v10, 0
	v_mov_b32_e32 v8, s12
	v_add_u32_e32 v15, v14, v12
	v_mov_b32_e32 v11, 0
	s_mov_b64 s[10:11], 0
	v_mov_b32_e32 v16, s3
	v_mov_b32_e32 v17, s7
	v_mov_b32_e32 v9, s13
.LBB1050_2:                             ; =>This Inner Loop Header: Depth=1
	global_load_dwordx2 v[18:19], v[0:1], off
	s_add_u32 s10, s10, 16
	v_add_co_u32_e64 v0, s[0:1], s6, v0
	s_addc_u32 s11, s11, 0
	s_waitcnt vmcnt(0)
	ds_write_b64 v13, v[18:19]
	global_load_dwordx2 v[18:19], v[6:7], off
	v_add_co_u32_e32 v6, vcc, s2, v6
	v_addc_co_u32_e32 v7, vcc, v7, v16, vcc
	v_addc_co_u32_e64 v1, vcc, v1, v17, s[0:1]
	v_cmp_lt_i64_e32 vcc, s[10:11], v[8:9]
	s_and_b64 vcc, exec, vcc
	s_waitcnt vmcnt(0)
	ds_write_b64 v15, v[18:19]
	s_waitcnt lgkmcnt(0)
	s_barrier
	ds_read2_b64 v[18:21], v12 offset1:16
	ds_read_b128 v[22:25], v14
	s_waitcnt lgkmcnt(0)
	v_fma_f64 v[10:11], v[18:19], v[22:23], v[10:11]
	v_fma_f64 v[10:11], v[20:21], v[24:25], v[10:11]
	ds_read_b128 v[18:21], v14 offset:16
	ds_read2_b64 v[22:25], v12 offset0:32 offset1:48
	s_waitcnt lgkmcnt(0)
	v_fma_f64 v[10:11], v[22:23], v[18:19], v[10:11]
	v_fma_f64 v[10:11], v[24:25], v[20:21], v[10:11]
	ds_read2_b64 v[18:21], v12 offset0:64 offset1:80
	ds_read_b128 v[22:25], v14 offset:32
	s_waitcnt lgkmcnt(0)
	v_fma_f64 v[10:11], v[18:19], v[22:23], v[10:11]
	v_fma_f64 v[10:11], v[20:21], v[24:25], v[10:11]
	ds_read_b128 v[18:21], v14 offset:48
	ds_read2_b64 v[22:25], v12 offset0:96 offset1:112
	s_waitcnt lgkmcnt(0)
	v_fma_f64 v[10:11], v[22:23], v[18:19], v[10:11]
	v_fma_f64 v[10:11], v[24:25], v[20:21], v[10:11]
	ds_read2_b64 v[18:21], v12 offset0:128 offset1:144
	ds_read_b128 v[22:25], v14 offset:64
	;; [unrolled: 10-line block ×3, first 2 shown]
	s_waitcnt lgkmcnt(0)
	v_fma_f64 v[10:11], v[18:19], v[22:23], v[10:11]
	v_fma_f64 v[10:11], v[20:21], v[24:25], v[10:11]
	ds_read_b128 v[18:21], v14 offset:112
	ds_read2_b64 v[22:25], v12 offset0:224 offset1:240
	s_waitcnt lgkmcnt(0)
	s_barrier
	v_fma_f64 v[10:11], v[22:23], v[18:19], v[10:11]
	v_fma_f64 v[10:11], v[24:25], v[20:21], v[10:11]
	s_cbranch_vccnz .LBB1050_2
; %bb.3:
	v_cmp_le_i32_e32 vcc, v2, v4
	s_and_saveexec_b64 s[0:1], vcc
	s_cbranch_execz .LBB1050_5
.LBB1050_4:
	s_load_dwordx8 s[16:23], s[4:5], 0x48
	s_waitcnt lgkmcnt(0)
	s_mul_i32 s1, s23, s8
	s_mul_hi_u32 s2, s22, s8
	v_mul_lo_u32 v6, s21, v4
	v_mul_lo_u32 v5, s20, v5
	s_add_i32 s1, s2, s1
	v_mad_u64_u32 v[0:1], s[2:3], s20, v4, 0
	s_mul_i32 s0, s22, s8
	s_lshl_b64 s[0:1], s[0:1], 3
	v_add3_u32 v1, v1, v5, v6
	s_add_u32 s0, s18, s0
	v_lshlrev_b64 v[0:1], 3, v[0:1]
	s_addc_u32 s1, s19, s1
	v_mov_b32_e32 v4, s1
	v_add_co_u32_e32 v5, vcc, s0, v0
	v_addc_co_u32_e32 v4, vcc, v4, v1, vcc
	v_lshlrev_b64 v[0:1], 3, v[2:3]
	v_add_co_u32_e32 v0, vcc, v5, v0
	v_addc_co_u32_e32 v1, vcc, v4, v1, vcc
	global_load_dwordx2 v[2:3], v[0:1], off
	s_waitcnt vmcnt(0)
	v_mul_f64 v[2:3], s[16:17], v[2:3]
	v_fma_f64 v[2:3], s[14:15], v[10:11], v[2:3]
	global_store_dwordx2 v[0:1], v[2:3], off
.LBB1050_5:
	s_endpgm
.LBB1050_6:
	v_mov_b32_e32 v10, 0
	v_mov_b32_e32 v11, 0
	v_cmp_le_i32_e32 vcc, v2, v4
	s_and_saveexec_b64 s[0:1], vcc
	s_cbranch_execnz .LBB1050_4
	s_branch .LBB1050_5
	.section	.rodata,"a",@progbits
	.p2align	6, 0x0
	.amdhsa_kernel _ZL41rocblas_syrkx_herkx_small_restrict_kernelIldLi16ELb0ELb0ELc78ELc85EKddEviT_T0_PT6_S1_lS4_S1_lS2_PT7_S1_li
		.amdhsa_group_segment_fixed_size 4096
		.amdhsa_private_segment_fixed_size 0
		.amdhsa_kernarg_size 108
		.amdhsa_user_sgpr_count 6
		.amdhsa_user_sgpr_private_segment_buffer 1
		.amdhsa_user_sgpr_dispatch_ptr 0
		.amdhsa_user_sgpr_queue_ptr 0
		.amdhsa_user_sgpr_kernarg_segment_ptr 1
		.amdhsa_user_sgpr_dispatch_id 0
		.amdhsa_user_sgpr_flat_scratch_init 0
		.amdhsa_user_sgpr_private_segment_size 0
		.amdhsa_uses_dynamic_stack 0
		.amdhsa_system_sgpr_private_segment_wavefront_offset 0
		.amdhsa_system_sgpr_workgroup_id_x 1
		.amdhsa_system_sgpr_workgroup_id_y 1
		.amdhsa_system_sgpr_workgroup_id_z 1
		.amdhsa_system_sgpr_workgroup_info 0
		.amdhsa_system_vgpr_workitem_id 1
		.amdhsa_next_free_vgpr 26
		.amdhsa_next_free_sgpr 28
		.amdhsa_reserve_vcc 1
		.amdhsa_reserve_flat_scratch 0
		.amdhsa_float_round_mode_32 0
		.amdhsa_float_round_mode_16_64 0
		.amdhsa_float_denorm_mode_32 3
		.amdhsa_float_denorm_mode_16_64 3
		.amdhsa_dx10_clamp 1
		.amdhsa_ieee_mode 1
		.amdhsa_fp16_overflow 0
		.amdhsa_exception_fp_ieee_invalid_op 0
		.amdhsa_exception_fp_denorm_src 0
		.amdhsa_exception_fp_ieee_div_zero 0
		.amdhsa_exception_fp_ieee_overflow 0
		.amdhsa_exception_fp_ieee_underflow 0
		.amdhsa_exception_fp_ieee_inexact 0
		.amdhsa_exception_int_div_zero 0
	.end_amdhsa_kernel
	.section	.text._ZL41rocblas_syrkx_herkx_small_restrict_kernelIldLi16ELb0ELb0ELc78ELc85EKddEviT_T0_PT6_S1_lS4_S1_lS2_PT7_S1_li,"axG",@progbits,_ZL41rocblas_syrkx_herkx_small_restrict_kernelIldLi16ELb0ELb0ELc78ELc85EKddEviT_T0_PT6_S1_lS4_S1_lS2_PT7_S1_li,comdat
.Lfunc_end1050:
	.size	_ZL41rocblas_syrkx_herkx_small_restrict_kernelIldLi16ELb0ELb0ELc78ELc85EKddEviT_T0_PT6_S1_lS4_S1_lS2_PT7_S1_li, .Lfunc_end1050-_ZL41rocblas_syrkx_herkx_small_restrict_kernelIldLi16ELb0ELb0ELc78ELc85EKddEviT_T0_PT6_S1_lS4_S1_lS2_PT7_S1_li
                                        ; -- End function
	.set _ZL41rocblas_syrkx_herkx_small_restrict_kernelIldLi16ELb0ELb0ELc78ELc85EKddEviT_T0_PT6_S1_lS4_S1_lS2_PT7_S1_li.num_vgpr, 26
	.set _ZL41rocblas_syrkx_herkx_small_restrict_kernelIldLi16ELb0ELb0ELc78ELc85EKddEviT_T0_PT6_S1_lS4_S1_lS2_PT7_S1_li.num_agpr, 0
	.set _ZL41rocblas_syrkx_herkx_small_restrict_kernelIldLi16ELb0ELb0ELc78ELc85EKddEviT_T0_PT6_S1_lS4_S1_lS2_PT7_S1_li.numbered_sgpr, 28
	.set _ZL41rocblas_syrkx_herkx_small_restrict_kernelIldLi16ELb0ELb0ELc78ELc85EKddEviT_T0_PT6_S1_lS4_S1_lS2_PT7_S1_li.num_named_barrier, 0
	.set _ZL41rocblas_syrkx_herkx_small_restrict_kernelIldLi16ELb0ELb0ELc78ELc85EKddEviT_T0_PT6_S1_lS4_S1_lS2_PT7_S1_li.private_seg_size, 0
	.set _ZL41rocblas_syrkx_herkx_small_restrict_kernelIldLi16ELb0ELb0ELc78ELc85EKddEviT_T0_PT6_S1_lS4_S1_lS2_PT7_S1_li.uses_vcc, 1
	.set _ZL41rocblas_syrkx_herkx_small_restrict_kernelIldLi16ELb0ELb0ELc78ELc85EKddEviT_T0_PT6_S1_lS4_S1_lS2_PT7_S1_li.uses_flat_scratch, 0
	.set _ZL41rocblas_syrkx_herkx_small_restrict_kernelIldLi16ELb0ELb0ELc78ELc85EKddEviT_T0_PT6_S1_lS4_S1_lS2_PT7_S1_li.has_dyn_sized_stack, 0
	.set _ZL41rocblas_syrkx_herkx_small_restrict_kernelIldLi16ELb0ELb0ELc78ELc85EKddEviT_T0_PT6_S1_lS4_S1_lS2_PT7_S1_li.has_recursion, 0
	.set _ZL41rocblas_syrkx_herkx_small_restrict_kernelIldLi16ELb0ELb0ELc78ELc85EKddEviT_T0_PT6_S1_lS4_S1_lS2_PT7_S1_li.has_indirect_call, 0
	.section	.AMDGPU.csdata,"",@progbits
; Kernel info:
; codeLenInByte = 856
; TotalNumSgprs: 32
; NumVgprs: 26
; ScratchSize: 0
; MemoryBound: 0
; FloatMode: 240
; IeeeMode: 1
; LDSByteSize: 4096 bytes/workgroup (compile time only)
; SGPRBlocks: 3
; VGPRBlocks: 6
; NumSGPRsForWavesPerEU: 32
; NumVGPRsForWavesPerEU: 26
; Occupancy: 9
; WaveLimiterHint : 0
; COMPUTE_PGM_RSRC2:SCRATCH_EN: 0
; COMPUTE_PGM_RSRC2:USER_SGPR: 6
; COMPUTE_PGM_RSRC2:TRAP_HANDLER: 0
; COMPUTE_PGM_RSRC2:TGID_X_EN: 1
; COMPUTE_PGM_RSRC2:TGID_Y_EN: 1
; COMPUTE_PGM_RSRC2:TGID_Z_EN: 1
; COMPUTE_PGM_RSRC2:TIDIG_COMP_CNT: 1
	.section	.text._ZL32rocblas_syrkx_herkx_small_kernelIldLi16ELb1ELb0ELc84ELc76EKddEviT_T0_PT6_S1_lS4_S1_lS2_PT7_S1_li,"axG",@progbits,_ZL32rocblas_syrkx_herkx_small_kernelIldLi16ELb1ELb0ELc84ELc76EKddEviT_T0_PT6_S1_lS4_S1_lS2_PT7_S1_li,comdat
	.globl	_ZL32rocblas_syrkx_herkx_small_kernelIldLi16ELb1ELb0ELc84ELc76EKddEviT_T0_PT6_S1_lS4_S1_lS2_PT7_S1_li ; -- Begin function _ZL32rocblas_syrkx_herkx_small_kernelIldLi16ELb1ELb0ELc84ELc76EKddEviT_T0_PT6_S1_lS4_S1_lS2_PT7_S1_li
	.p2align	8
	.type	_ZL32rocblas_syrkx_herkx_small_kernelIldLi16ELb1ELb0ELc84ELc76EKddEviT_T0_PT6_S1_lS4_S1_lS2_PT7_S1_li,@function
_ZL32rocblas_syrkx_herkx_small_kernelIldLi16ELb1ELb0ELc84ELc76EKddEviT_T0_PT6_S1_lS4_S1_lS2_PT7_S1_li: ; @_ZL32rocblas_syrkx_herkx_small_kernelIldLi16ELb1ELb0ELc84ELc76EKddEviT_T0_PT6_S1_lS4_S1_lS2_PT7_S1_li
; %bb.0:
	s_load_dwordx16 s[12:27], s[4:5], 0x8
	s_load_dword s9, s[4:5], 0x0
	v_lshl_add_u32 v2, s6, 4, v0
	v_lshl_add_u32 v14, s7, 4, v1
	v_ashrrev_i32_e32 v3, 31, v2
	s_waitcnt lgkmcnt(0)
	v_cmp_lt_i64_e64 s[0:1], s[12:13], 1
	v_ashrrev_i32_e32 v15, 31, v14
	s_and_b64 vcc, exec, s[0:1]
	v_cmp_gt_i32_e64 s[0:1], s9, v2
	s_cbranch_vccnz .LBB1051_7
; %bb.1:
	v_mul_lo_u32 v7, s25, v14
	v_mul_lo_u32 v8, s24, v15
	v_mad_u64_u32 v[4:5], s[2:3], s24, v14, 0
	s_mul_i32 s6, s27, s8
	s_mul_hi_u32 s7, s26, s8
	v_add3_u32 v5, v5, v8, v7
	v_lshlrev_b64 v[4:5], 3, v[4:5]
	s_add_i32 s7, s7, s6
	s_mul_i32 s6, s26, s8
	v_lshlrev_b32_e32 v6, 7, v1
	v_lshlrev_b32_e32 v16, 3, v0
	s_lshl_b64 s[6:7], s[6:7], 3
	v_add_u32_e32 v17, v16, v6
	v_add_u32_e32 v18, 0x800, v6
	v_mov_b32_e32 v6, s7
	v_add_co_u32_e32 v4, vcc, s6, v4
	v_addc_co_u32_e32 v5, vcc, v5, v6, vcc
	v_mul_lo_u32 v9, s19, v2
	v_mul_lo_u32 v10, s18, v3
	v_mad_u64_u32 v[6:7], s[6:7], s18, v2, 0
	v_add_co_u32_e32 v4, vcc, v4, v16
	v_addc_co_u32_e32 v5, vcc, 0, v5, vcc
	v_add3_u32 v7, v7, v10, v9
	s_mul_i32 s6, s21, s8
	s_mul_hi_u32 s7, s20, s8
	v_mov_b32_e32 v8, s23
	v_add_co_u32_e32 v4, vcc, s22, v4
	v_lshlrev_b64 v[6:7], 3, v[6:7]
	s_add_i32 s7, s7, s6
	s_mul_i32 s6, s20, s8
	v_addc_co_u32_e32 v5, vcc, v8, v5, vcc
	s_lshl_b64 s[6:7], s[6:7], 3
	v_mov_b32_e32 v8, s7
	v_add_co_u32_e32 v6, vcc, s6, v6
	v_addc_co_u32_e32 v7, vcc, v7, v8, vcc
	v_lshlrev_b32_e32 v8, 3, v1
	v_add_co_u32_e32 v6, vcc, v6, v8
	v_addc_co_u32_e32 v7, vcc, 0, v7, vcc
	v_mov_b32_e32 v8, s17
	v_add_co_u32_e32 v6, vcc, s16, v6
	v_addc_co_u32_e32 v7, vcc, v8, v7, vcc
	v_mov_b32_e32 v10, 0
	v_mov_b32_e32 v8, s12
	v_cmp_gt_i32_e64 s[2:3], s9, v14
	v_add_u32_e32 v19, v18, v16
	v_mov_b32_e32 v11, 0
	s_mov_b64 s[10:11], 0
	v_mov_b32_e32 v9, s13
	s_branch .LBB1051_3
.LBB1051_2:                             ;   in Loop: Header=BB1051_3 Depth=1
	s_or_b64 exec, exec, s[6:7]
	s_waitcnt vmcnt(0)
	ds_write_b64 v19, v[12:13]
	s_waitcnt lgkmcnt(0)
	s_barrier
	ds_read2_b64 v[20:23], v16 offset1:16
	ds_read_b128 v[24:27], v18
	s_add_u32 s10, s10, 16
	v_add_co_u32_e32 v4, vcc, 0x80, v4
	s_addc_u32 s11, s11, 0
	s_waitcnt lgkmcnt(0)
	v_fma_f64 v[10:11], v[20:21], v[24:25], v[10:11]
	v_addc_co_u32_e32 v5, vcc, 0, v5, vcc
	v_add_co_u32_e32 v6, vcc, 0x80, v6
	v_cmp_ge_i64_e64 s[6:7], s[10:11], v[8:9]
	v_addc_co_u32_e32 v7, vcc, 0, v7, vcc
	v_fma_f64 v[24:25], v[22:23], v[26:27], v[10:11]
	ds_read_b128 v[10:13], v18 offset:16
	ds_read2_b64 v[20:23], v16 offset0:32 offset1:48
	s_and_b64 vcc, exec, s[6:7]
	s_waitcnt lgkmcnt(0)
	v_fma_f64 v[10:11], v[20:21], v[10:11], v[24:25]
	v_fma_f64 v[24:25], v[22:23], v[12:13], v[10:11]
	ds_read2_b64 v[10:13], v16 offset0:64 offset1:80
	ds_read_b128 v[20:23], v18 offset:32
	s_waitcnt lgkmcnt(0)
	v_fma_f64 v[10:11], v[10:11], v[20:21], v[24:25]
	v_fma_f64 v[24:25], v[12:13], v[22:23], v[10:11]
	ds_read_b128 v[10:13], v18 offset:48
	ds_read2_b64 v[20:23], v16 offset0:96 offset1:112
	s_waitcnt lgkmcnt(0)
	v_fma_f64 v[10:11], v[20:21], v[10:11], v[24:25]
	v_fma_f64 v[24:25], v[22:23], v[12:13], v[10:11]
	ds_read2_b64 v[10:13], v16 offset0:128 offset1:144
	ds_read_b128 v[20:23], v18 offset:64
	s_waitcnt lgkmcnt(0)
	v_fma_f64 v[10:11], v[10:11], v[20:21], v[24:25]
	v_fma_f64 v[24:25], v[12:13], v[22:23], v[10:11]
	ds_read_b128 v[10:13], v18 offset:80
	ds_read2_b64 v[20:23], v16 offset0:160 offset1:176
	;; [unrolled: 10-line block ×3, first 2 shown]
	s_waitcnt lgkmcnt(0)
	s_barrier
	v_fma_f64 v[10:11], v[20:21], v[10:11], v[24:25]
	v_fma_f64 v[10:11], v[22:23], v[12:13], v[10:11]
	s_cbranch_vccnz .LBB1051_8
.LBB1051_3:                             ; =>This Inner Loop Header: Depth=1
	v_mov_b32_e32 v13, s11
	v_add_co_u32_e32 v12, vcc, s10, v1
	v_addc_co_u32_e32 v13, vcc, 0, v13, vcc
	v_cmp_gt_i64_e32 vcc, s[12:13], v[12:13]
	v_mov_b32_e32 v12, 0
	v_mov_b32_e32 v13, 0
	s_and_b64 s[16:17], s[0:1], vcc
	s_and_saveexec_b64 s[6:7], s[16:17]
	s_cbranch_execz .LBB1051_5
; %bb.4:                                ;   in Loop: Header=BB1051_3 Depth=1
	global_load_dwordx2 v[12:13], v[6:7], off
.LBB1051_5:                             ;   in Loop: Header=BB1051_3 Depth=1
	s_or_b64 exec, exec, s[6:7]
	s_waitcnt vmcnt(0)
	ds_write_b64 v17, v[12:13]
	v_mov_b32_e32 v13, s11
	v_add_co_u32_e32 v12, vcc, s10, v0
	v_addc_co_u32_e32 v13, vcc, 0, v13, vcc
	v_cmp_gt_i64_e32 vcc, s[12:13], v[12:13]
	v_mov_b32_e32 v12, 0
	v_mov_b32_e32 v13, 0
	s_and_b64 s[16:17], s[2:3], vcc
	s_and_saveexec_b64 s[6:7], s[16:17]
	s_cbranch_execz .LBB1051_2
; %bb.6:                                ;   in Loop: Header=BB1051_3 Depth=1
	global_load_dwordx2 v[12:13], v[4:5], off
	s_branch .LBB1051_2
.LBB1051_7:
	v_mov_b32_e32 v10, 0
	v_mov_b32_e32 v11, 0
.LBB1051_8:
	v_cmp_le_i32_e32 vcc, v14, v2
	v_cmp_gt_i32_e64 s[0:1], s9, v2
	s_and_b64 s[0:1], vcc, s[0:1]
	s_and_saveexec_b64 s[2:3], s[0:1]
	s_cbranch_execz .LBB1051_10
; %bb.9:
	s_load_dwordx2 s[6:7], s[4:5], 0x60
	s_load_dwordx4 s[0:3], s[4:5], 0x50
	v_mul_f64 v[4:5], s[14:15], v[10:11]
	s_waitcnt lgkmcnt(0)
	s_mul_i32 s5, s7, s8
	v_mul_lo_u32 v6, s3, v14
	v_mul_lo_u32 v7, s2, v15
	v_mad_u64_u32 v[0:1], s[2:3], s2, v14, 0
	s_mul_hi_u32 s7, s6, s8
	s_mul_i32 s4, s6, s8
	s_add_i32 s5, s7, s5
	s_lshl_b64 s[4:5], s[4:5], 3
	v_add3_u32 v1, v1, v7, v6
	s_add_u32 s0, s0, s4
	v_lshlrev_b64 v[0:1], 3, v[0:1]
	s_addc_u32 s1, s1, s5
	v_mov_b32_e32 v6, s1
	v_add_co_u32_e32 v7, vcc, s0, v0
	v_addc_co_u32_e32 v6, vcc, v6, v1, vcc
	v_lshlrev_b64 v[0:1], 3, v[2:3]
	v_add_co_u32_e32 v0, vcc, v7, v0
	v_addc_co_u32_e32 v1, vcc, v6, v1, vcc
	global_store_dwordx2 v[0:1], v[4:5], off
.LBB1051_10:
	s_endpgm
	.section	.rodata,"a",@progbits
	.p2align	6, 0x0
	.amdhsa_kernel _ZL32rocblas_syrkx_herkx_small_kernelIldLi16ELb1ELb0ELc84ELc76EKddEviT_T0_PT6_S1_lS4_S1_lS2_PT7_S1_li
		.amdhsa_group_segment_fixed_size 4096
		.amdhsa_private_segment_fixed_size 0
		.amdhsa_kernarg_size 108
		.amdhsa_user_sgpr_count 6
		.amdhsa_user_sgpr_private_segment_buffer 1
		.amdhsa_user_sgpr_dispatch_ptr 0
		.amdhsa_user_sgpr_queue_ptr 0
		.amdhsa_user_sgpr_kernarg_segment_ptr 1
		.amdhsa_user_sgpr_dispatch_id 0
		.amdhsa_user_sgpr_flat_scratch_init 0
		.amdhsa_user_sgpr_private_segment_size 0
		.amdhsa_uses_dynamic_stack 0
		.amdhsa_system_sgpr_private_segment_wavefront_offset 0
		.amdhsa_system_sgpr_workgroup_id_x 1
		.amdhsa_system_sgpr_workgroup_id_y 1
		.amdhsa_system_sgpr_workgroup_id_z 1
		.amdhsa_system_sgpr_workgroup_info 0
		.amdhsa_system_vgpr_workitem_id 1
		.amdhsa_next_free_vgpr 28
		.amdhsa_next_free_sgpr 28
		.amdhsa_reserve_vcc 1
		.amdhsa_reserve_flat_scratch 0
		.amdhsa_float_round_mode_32 0
		.amdhsa_float_round_mode_16_64 0
		.amdhsa_float_denorm_mode_32 3
		.amdhsa_float_denorm_mode_16_64 3
		.amdhsa_dx10_clamp 1
		.amdhsa_ieee_mode 1
		.amdhsa_fp16_overflow 0
		.amdhsa_exception_fp_ieee_invalid_op 0
		.amdhsa_exception_fp_denorm_src 0
		.amdhsa_exception_fp_ieee_div_zero 0
		.amdhsa_exception_fp_ieee_overflow 0
		.amdhsa_exception_fp_ieee_underflow 0
		.amdhsa_exception_fp_ieee_inexact 0
		.amdhsa_exception_int_div_zero 0
	.end_amdhsa_kernel
	.section	.text._ZL32rocblas_syrkx_herkx_small_kernelIldLi16ELb1ELb0ELc84ELc76EKddEviT_T0_PT6_S1_lS4_S1_lS2_PT7_S1_li,"axG",@progbits,_ZL32rocblas_syrkx_herkx_small_kernelIldLi16ELb1ELb0ELc84ELc76EKddEviT_T0_PT6_S1_lS4_S1_lS2_PT7_S1_li,comdat
.Lfunc_end1051:
	.size	_ZL32rocblas_syrkx_herkx_small_kernelIldLi16ELb1ELb0ELc84ELc76EKddEviT_T0_PT6_S1_lS4_S1_lS2_PT7_S1_li, .Lfunc_end1051-_ZL32rocblas_syrkx_herkx_small_kernelIldLi16ELb1ELb0ELc84ELc76EKddEviT_T0_PT6_S1_lS4_S1_lS2_PT7_S1_li
                                        ; -- End function
	.set _ZL32rocblas_syrkx_herkx_small_kernelIldLi16ELb1ELb0ELc84ELc76EKddEviT_T0_PT6_S1_lS4_S1_lS2_PT7_S1_li.num_vgpr, 28
	.set _ZL32rocblas_syrkx_herkx_small_kernelIldLi16ELb1ELb0ELc84ELc76EKddEviT_T0_PT6_S1_lS4_S1_lS2_PT7_S1_li.num_agpr, 0
	.set _ZL32rocblas_syrkx_herkx_small_kernelIldLi16ELb1ELb0ELc84ELc76EKddEviT_T0_PT6_S1_lS4_S1_lS2_PT7_S1_li.numbered_sgpr, 28
	.set _ZL32rocblas_syrkx_herkx_small_kernelIldLi16ELb1ELb0ELc84ELc76EKddEviT_T0_PT6_S1_lS4_S1_lS2_PT7_S1_li.num_named_barrier, 0
	.set _ZL32rocblas_syrkx_herkx_small_kernelIldLi16ELb1ELb0ELc84ELc76EKddEviT_T0_PT6_S1_lS4_S1_lS2_PT7_S1_li.private_seg_size, 0
	.set _ZL32rocblas_syrkx_herkx_small_kernelIldLi16ELb1ELb0ELc84ELc76EKddEviT_T0_PT6_S1_lS4_S1_lS2_PT7_S1_li.uses_vcc, 1
	.set _ZL32rocblas_syrkx_herkx_small_kernelIldLi16ELb1ELb0ELc84ELc76EKddEviT_T0_PT6_S1_lS4_S1_lS2_PT7_S1_li.uses_flat_scratch, 0
	.set _ZL32rocblas_syrkx_herkx_small_kernelIldLi16ELb1ELb0ELc84ELc76EKddEviT_T0_PT6_S1_lS4_S1_lS2_PT7_S1_li.has_dyn_sized_stack, 0
	.set _ZL32rocblas_syrkx_herkx_small_kernelIldLi16ELb1ELb0ELc84ELc76EKddEviT_T0_PT6_S1_lS4_S1_lS2_PT7_S1_li.has_recursion, 0
	.set _ZL32rocblas_syrkx_herkx_small_kernelIldLi16ELb1ELb0ELc84ELc76EKddEviT_T0_PT6_S1_lS4_S1_lS2_PT7_S1_li.has_indirect_call, 0
	.section	.AMDGPU.csdata,"",@progbits
; Kernel info:
; codeLenInByte = 952
; TotalNumSgprs: 32
; NumVgprs: 28
; ScratchSize: 0
; MemoryBound: 0
; FloatMode: 240
; IeeeMode: 1
; LDSByteSize: 4096 bytes/workgroup (compile time only)
; SGPRBlocks: 3
; VGPRBlocks: 6
; NumSGPRsForWavesPerEU: 32
; NumVGPRsForWavesPerEU: 28
; Occupancy: 9
; WaveLimiterHint : 0
; COMPUTE_PGM_RSRC2:SCRATCH_EN: 0
; COMPUTE_PGM_RSRC2:USER_SGPR: 6
; COMPUTE_PGM_RSRC2:TRAP_HANDLER: 0
; COMPUTE_PGM_RSRC2:TGID_X_EN: 1
; COMPUTE_PGM_RSRC2:TGID_Y_EN: 1
; COMPUTE_PGM_RSRC2:TGID_Z_EN: 1
; COMPUTE_PGM_RSRC2:TIDIG_COMP_CNT: 1
	.section	.text._ZL32rocblas_syrkx_herkx_small_kernelIldLi16ELb1ELb0ELc67ELc76EKddEviT_T0_PT6_S1_lS4_S1_lS2_PT7_S1_li,"axG",@progbits,_ZL32rocblas_syrkx_herkx_small_kernelIldLi16ELb1ELb0ELc67ELc76EKddEviT_T0_PT6_S1_lS4_S1_lS2_PT7_S1_li,comdat
	.globl	_ZL32rocblas_syrkx_herkx_small_kernelIldLi16ELb1ELb0ELc67ELc76EKddEviT_T0_PT6_S1_lS4_S1_lS2_PT7_S1_li ; -- Begin function _ZL32rocblas_syrkx_herkx_small_kernelIldLi16ELb1ELb0ELc67ELc76EKddEviT_T0_PT6_S1_lS4_S1_lS2_PT7_S1_li
	.p2align	8
	.type	_ZL32rocblas_syrkx_herkx_small_kernelIldLi16ELb1ELb0ELc67ELc76EKddEviT_T0_PT6_S1_lS4_S1_lS2_PT7_S1_li,@function
_ZL32rocblas_syrkx_herkx_small_kernelIldLi16ELb1ELb0ELc67ELc76EKddEviT_T0_PT6_S1_lS4_S1_lS2_PT7_S1_li: ; @_ZL32rocblas_syrkx_herkx_small_kernelIldLi16ELb1ELb0ELc67ELc76EKddEviT_T0_PT6_S1_lS4_S1_lS2_PT7_S1_li
; %bb.0:
	s_load_dwordx16 s[12:27], s[4:5], 0x8
	s_load_dword s9, s[4:5], 0x0
	v_lshl_add_u32 v2, s6, 4, v0
	v_lshl_add_u32 v14, s7, 4, v1
	v_ashrrev_i32_e32 v3, 31, v2
	s_waitcnt lgkmcnt(0)
	v_cmp_lt_i64_e64 s[0:1], s[12:13], 1
	v_ashrrev_i32_e32 v15, 31, v14
	s_and_b64 vcc, exec, s[0:1]
	v_cmp_gt_i32_e64 s[0:1], s9, v2
	s_cbranch_vccnz .LBB1052_7
; %bb.1:
	v_mul_lo_u32 v7, s25, v14
	v_mul_lo_u32 v8, s24, v15
	v_mad_u64_u32 v[4:5], s[2:3], s24, v14, 0
	s_mul_i32 s6, s27, s8
	s_mul_hi_u32 s7, s26, s8
	v_add3_u32 v5, v5, v8, v7
	v_lshlrev_b64 v[4:5], 3, v[4:5]
	s_add_i32 s7, s7, s6
	s_mul_i32 s6, s26, s8
	v_lshlrev_b32_e32 v6, 7, v1
	v_lshlrev_b32_e32 v16, 3, v0
	s_lshl_b64 s[6:7], s[6:7], 3
	v_add_u32_e32 v17, v16, v6
	v_add_u32_e32 v18, 0x800, v6
	v_mov_b32_e32 v6, s7
	v_add_co_u32_e32 v4, vcc, s6, v4
	v_addc_co_u32_e32 v5, vcc, v5, v6, vcc
	v_mul_lo_u32 v9, s19, v2
	v_mul_lo_u32 v10, s18, v3
	v_mad_u64_u32 v[6:7], s[6:7], s18, v2, 0
	v_add_co_u32_e32 v4, vcc, v4, v16
	v_addc_co_u32_e32 v5, vcc, 0, v5, vcc
	v_add3_u32 v7, v7, v10, v9
	s_mul_i32 s6, s21, s8
	s_mul_hi_u32 s7, s20, s8
	v_mov_b32_e32 v8, s23
	v_add_co_u32_e32 v4, vcc, s22, v4
	v_lshlrev_b64 v[6:7], 3, v[6:7]
	s_add_i32 s7, s7, s6
	s_mul_i32 s6, s20, s8
	v_addc_co_u32_e32 v5, vcc, v8, v5, vcc
	s_lshl_b64 s[6:7], s[6:7], 3
	v_mov_b32_e32 v8, s7
	v_add_co_u32_e32 v6, vcc, s6, v6
	v_addc_co_u32_e32 v7, vcc, v7, v8, vcc
	v_lshlrev_b32_e32 v8, 3, v1
	v_add_co_u32_e32 v6, vcc, v6, v8
	v_addc_co_u32_e32 v7, vcc, 0, v7, vcc
	v_mov_b32_e32 v8, s17
	v_add_co_u32_e32 v6, vcc, s16, v6
	v_addc_co_u32_e32 v7, vcc, v8, v7, vcc
	v_mov_b32_e32 v10, 0
	v_mov_b32_e32 v8, s12
	v_cmp_gt_i32_e64 s[2:3], s9, v14
	v_add_u32_e32 v19, v18, v16
	v_mov_b32_e32 v11, 0
	s_mov_b64 s[10:11], 0
	v_mov_b32_e32 v9, s13
	s_branch .LBB1052_3
.LBB1052_2:                             ;   in Loop: Header=BB1052_3 Depth=1
	s_or_b64 exec, exec, s[6:7]
	s_waitcnt vmcnt(0)
	ds_write_b64 v19, v[12:13]
	s_waitcnt lgkmcnt(0)
	s_barrier
	ds_read2_b64 v[20:23], v16 offset1:16
	ds_read_b128 v[24:27], v18
	s_add_u32 s10, s10, 16
	v_add_co_u32_e32 v4, vcc, 0x80, v4
	s_addc_u32 s11, s11, 0
	s_waitcnt lgkmcnt(0)
	v_fma_f64 v[10:11], v[20:21], v[24:25], v[10:11]
	v_addc_co_u32_e32 v5, vcc, 0, v5, vcc
	v_add_co_u32_e32 v6, vcc, 0x80, v6
	v_cmp_ge_i64_e64 s[6:7], s[10:11], v[8:9]
	v_addc_co_u32_e32 v7, vcc, 0, v7, vcc
	v_fma_f64 v[24:25], v[22:23], v[26:27], v[10:11]
	ds_read_b128 v[10:13], v18 offset:16
	ds_read2_b64 v[20:23], v16 offset0:32 offset1:48
	s_and_b64 vcc, exec, s[6:7]
	s_waitcnt lgkmcnt(0)
	v_fma_f64 v[10:11], v[20:21], v[10:11], v[24:25]
	v_fma_f64 v[24:25], v[22:23], v[12:13], v[10:11]
	ds_read2_b64 v[10:13], v16 offset0:64 offset1:80
	ds_read_b128 v[20:23], v18 offset:32
	s_waitcnt lgkmcnt(0)
	v_fma_f64 v[10:11], v[10:11], v[20:21], v[24:25]
	v_fma_f64 v[24:25], v[12:13], v[22:23], v[10:11]
	ds_read_b128 v[10:13], v18 offset:48
	ds_read2_b64 v[20:23], v16 offset0:96 offset1:112
	s_waitcnt lgkmcnt(0)
	v_fma_f64 v[10:11], v[20:21], v[10:11], v[24:25]
	v_fma_f64 v[24:25], v[22:23], v[12:13], v[10:11]
	ds_read2_b64 v[10:13], v16 offset0:128 offset1:144
	ds_read_b128 v[20:23], v18 offset:64
	s_waitcnt lgkmcnt(0)
	v_fma_f64 v[10:11], v[10:11], v[20:21], v[24:25]
	v_fma_f64 v[24:25], v[12:13], v[22:23], v[10:11]
	ds_read_b128 v[10:13], v18 offset:80
	ds_read2_b64 v[20:23], v16 offset0:160 offset1:176
	;; [unrolled: 10-line block ×3, first 2 shown]
	s_waitcnt lgkmcnt(0)
	s_barrier
	v_fma_f64 v[10:11], v[20:21], v[10:11], v[24:25]
	v_fma_f64 v[10:11], v[22:23], v[12:13], v[10:11]
	s_cbranch_vccnz .LBB1052_8
.LBB1052_3:                             ; =>This Inner Loop Header: Depth=1
	v_mov_b32_e32 v13, s11
	v_add_co_u32_e32 v12, vcc, s10, v1
	v_addc_co_u32_e32 v13, vcc, 0, v13, vcc
	v_cmp_gt_i64_e32 vcc, s[12:13], v[12:13]
	v_mov_b32_e32 v12, 0
	v_mov_b32_e32 v13, 0
	s_and_b64 s[16:17], s[0:1], vcc
	s_and_saveexec_b64 s[6:7], s[16:17]
	s_cbranch_execz .LBB1052_5
; %bb.4:                                ;   in Loop: Header=BB1052_3 Depth=1
	global_load_dwordx2 v[12:13], v[6:7], off
.LBB1052_5:                             ;   in Loop: Header=BB1052_3 Depth=1
	s_or_b64 exec, exec, s[6:7]
	s_waitcnt vmcnt(0)
	ds_write_b64 v17, v[12:13]
	v_mov_b32_e32 v13, s11
	v_add_co_u32_e32 v12, vcc, s10, v0
	v_addc_co_u32_e32 v13, vcc, 0, v13, vcc
	v_cmp_gt_i64_e32 vcc, s[12:13], v[12:13]
	v_mov_b32_e32 v12, 0
	v_mov_b32_e32 v13, 0
	s_and_b64 s[16:17], s[2:3], vcc
	s_and_saveexec_b64 s[6:7], s[16:17]
	s_cbranch_execz .LBB1052_2
; %bb.6:                                ;   in Loop: Header=BB1052_3 Depth=1
	global_load_dwordx2 v[12:13], v[4:5], off
	s_branch .LBB1052_2
.LBB1052_7:
	v_mov_b32_e32 v10, 0
	v_mov_b32_e32 v11, 0
.LBB1052_8:
	v_cmp_le_i32_e32 vcc, v14, v2
	v_cmp_gt_i32_e64 s[0:1], s9, v2
	s_and_b64 s[0:1], vcc, s[0:1]
	s_and_saveexec_b64 s[2:3], s[0:1]
	s_cbranch_execz .LBB1052_10
; %bb.9:
	s_load_dwordx2 s[6:7], s[4:5], 0x60
	s_load_dwordx4 s[0:3], s[4:5], 0x50
	v_mul_f64 v[4:5], s[14:15], v[10:11]
	s_waitcnt lgkmcnt(0)
	s_mul_i32 s5, s7, s8
	v_mul_lo_u32 v6, s3, v14
	v_mul_lo_u32 v7, s2, v15
	v_mad_u64_u32 v[0:1], s[2:3], s2, v14, 0
	s_mul_hi_u32 s7, s6, s8
	s_mul_i32 s4, s6, s8
	s_add_i32 s5, s7, s5
	s_lshl_b64 s[4:5], s[4:5], 3
	v_add3_u32 v1, v1, v7, v6
	s_add_u32 s0, s0, s4
	v_lshlrev_b64 v[0:1], 3, v[0:1]
	s_addc_u32 s1, s1, s5
	v_mov_b32_e32 v6, s1
	v_add_co_u32_e32 v7, vcc, s0, v0
	v_addc_co_u32_e32 v6, vcc, v6, v1, vcc
	v_lshlrev_b64 v[0:1], 3, v[2:3]
	v_add_co_u32_e32 v0, vcc, v7, v0
	v_addc_co_u32_e32 v1, vcc, v6, v1, vcc
	global_store_dwordx2 v[0:1], v[4:5], off
.LBB1052_10:
	s_endpgm
	.section	.rodata,"a",@progbits
	.p2align	6, 0x0
	.amdhsa_kernel _ZL32rocblas_syrkx_herkx_small_kernelIldLi16ELb1ELb0ELc67ELc76EKddEviT_T0_PT6_S1_lS4_S1_lS2_PT7_S1_li
		.amdhsa_group_segment_fixed_size 4096
		.amdhsa_private_segment_fixed_size 0
		.amdhsa_kernarg_size 108
		.amdhsa_user_sgpr_count 6
		.amdhsa_user_sgpr_private_segment_buffer 1
		.amdhsa_user_sgpr_dispatch_ptr 0
		.amdhsa_user_sgpr_queue_ptr 0
		.amdhsa_user_sgpr_kernarg_segment_ptr 1
		.amdhsa_user_sgpr_dispatch_id 0
		.amdhsa_user_sgpr_flat_scratch_init 0
		.amdhsa_user_sgpr_private_segment_size 0
		.amdhsa_uses_dynamic_stack 0
		.amdhsa_system_sgpr_private_segment_wavefront_offset 0
		.amdhsa_system_sgpr_workgroup_id_x 1
		.amdhsa_system_sgpr_workgroup_id_y 1
		.amdhsa_system_sgpr_workgroup_id_z 1
		.amdhsa_system_sgpr_workgroup_info 0
		.amdhsa_system_vgpr_workitem_id 1
		.amdhsa_next_free_vgpr 28
		.amdhsa_next_free_sgpr 28
		.amdhsa_reserve_vcc 1
		.amdhsa_reserve_flat_scratch 0
		.amdhsa_float_round_mode_32 0
		.amdhsa_float_round_mode_16_64 0
		.amdhsa_float_denorm_mode_32 3
		.amdhsa_float_denorm_mode_16_64 3
		.amdhsa_dx10_clamp 1
		.amdhsa_ieee_mode 1
		.amdhsa_fp16_overflow 0
		.amdhsa_exception_fp_ieee_invalid_op 0
		.amdhsa_exception_fp_denorm_src 0
		.amdhsa_exception_fp_ieee_div_zero 0
		.amdhsa_exception_fp_ieee_overflow 0
		.amdhsa_exception_fp_ieee_underflow 0
		.amdhsa_exception_fp_ieee_inexact 0
		.amdhsa_exception_int_div_zero 0
	.end_amdhsa_kernel
	.section	.text._ZL32rocblas_syrkx_herkx_small_kernelIldLi16ELb1ELb0ELc67ELc76EKddEviT_T0_PT6_S1_lS4_S1_lS2_PT7_S1_li,"axG",@progbits,_ZL32rocblas_syrkx_herkx_small_kernelIldLi16ELb1ELb0ELc67ELc76EKddEviT_T0_PT6_S1_lS4_S1_lS2_PT7_S1_li,comdat
.Lfunc_end1052:
	.size	_ZL32rocblas_syrkx_herkx_small_kernelIldLi16ELb1ELb0ELc67ELc76EKddEviT_T0_PT6_S1_lS4_S1_lS2_PT7_S1_li, .Lfunc_end1052-_ZL32rocblas_syrkx_herkx_small_kernelIldLi16ELb1ELb0ELc67ELc76EKddEviT_T0_PT6_S1_lS4_S1_lS2_PT7_S1_li
                                        ; -- End function
	.set _ZL32rocblas_syrkx_herkx_small_kernelIldLi16ELb1ELb0ELc67ELc76EKddEviT_T0_PT6_S1_lS4_S1_lS2_PT7_S1_li.num_vgpr, 28
	.set _ZL32rocblas_syrkx_herkx_small_kernelIldLi16ELb1ELb0ELc67ELc76EKddEviT_T0_PT6_S1_lS4_S1_lS2_PT7_S1_li.num_agpr, 0
	.set _ZL32rocblas_syrkx_herkx_small_kernelIldLi16ELb1ELb0ELc67ELc76EKddEviT_T0_PT6_S1_lS4_S1_lS2_PT7_S1_li.numbered_sgpr, 28
	.set _ZL32rocblas_syrkx_herkx_small_kernelIldLi16ELb1ELb0ELc67ELc76EKddEviT_T0_PT6_S1_lS4_S1_lS2_PT7_S1_li.num_named_barrier, 0
	.set _ZL32rocblas_syrkx_herkx_small_kernelIldLi16ELb1ELb0ELc67ELc76EKddEviT_T0_PT6_S1_lS4_S1_lS2_PT7_S1_li.private_seg_size, 0
	.set _ZL32rocblas_syrkx_herkx_small_kernelIldLi16ELb1ELb0ELc67ELc76EKddEviT_T0_PT6_S1_lS4_S1_lS2_PT7_S1_li.uses_vcc, 1
	.set _ZL32rocblas_syrkx_herkx_small_kernelIldLi16ELb1ELb0ELc67ELc76EKddEviT_T0_PT6_S1_lS4_S1_lS2_PT7_S1_li.uses_flat_scratch, 0
	.set _ZL32rocblas_syrkx_herkx_small_kernelIldLi16ELb1ELb0ELc67ELc76EKddEviT_T0_PT6_S1_lS4_S1_lS2_PT7_S1_li.has_dyn_sized_stack, 0
	.set _ZL32rocblas_syrkx_herkx_small_kernelIldLi16ELb1ELb0ELc67ELc76EKddEviT_T0_PT6_S1_lS4_S1_lS2_PT7_S1_li.has_recursion, 0
	.set _ZL32rocblas_syrkx_herkx_small_kernelIldLi16ELb1ELb0ELc67ELc76EKddEviT_T0_PT6_S1_lS4_S1_lS2_PT7_S1_li.has_indirect_call, 0
	.section	.AMDGPU.csdata,"",@progbits
; Kernel info:
; codeLenInByte = 952
; TotalNumSgprs: 32
; NumVgprs: 28
; ScratchSize: 0
; MemoryBound: 0
; FloatMode: 240
; IeeeMode: 1
; LDSByteSize: 4096 bytes/workgroup (compile time only)
; SGPRBlocks: 3
; VGPRBlocks: 6
; NumSGPRsForWavesPerEU: 32
; NumVGPRsForWavesPerEU: 28
; Occupancy: 9
; WaveLimiterHint : 0
; COMPUTE_PGM_RSRC2:SCRATCH_EN: 0
; COMPUTE_PGM_RSRC2:USER_SGPR: 6
; COMPUTE_PGM_RSRC2:TRAP_HANDLER: 0
; COMPUTE_PGM_RSRC2:TGID_X_EN: 1
; COMPUTE_PGM_RSRC2:TGID_Y_EN: 1
; COMPUTE_PGM_RSRC2:TGID_Z_EN: 1
; COMPUTE_PGM_RSRC2:TIDIG_COMP_CNT: 1
	.section	.text._ZL32rocblas_syrkx_herkx_small_kernelIldLi16ELb1ELb0ELc78ELc76EKddEviT_T0_PT6_S1_lS4_S1_lS2_PT7_S1_li,"axG",@progbits,_ZL32rocblas_syrkx_herkx_small_kernelIldLi16ELb1ELb0ELc78ELc76EKddEviT_T0_PT6_S1_lS4_S1_lS2_PT7_S1_li,comdat
	.globl	_ZL32rocblas_syrkx_herkx_small_kernelIldLi16ELb1ELb0ELc78ELc76EKddEviT_T0_PT6_S1_lS4_S1_lS2_PT7_S1_li ; -- Begin function _ZL32rocblas_syrkx_herkx_small_kernelIldLi16ELb1ELb0ELc78ELc76EKddEviT_T0_PT6_S1_lS4_S1_lS2_PT7_S1_li
	.p2align	8
	.type	_ZL32rocblas_syrkx_herkx_small_kernelIldLi16ELb1ELb0ELc78ELc76EKddEviT_T0_PT6_S1_lS4_S1_lS2_PT7_S1_li,@function
_ZL32rocblas_syrkx_herkx_small_kernelIldLi16ELb1ELb0ELc78ELc76EKddEviT_T0_PT6_S1_lS4_S1_lS2_PT7_S1_li: ; @_ZL32rocblas_syrkx_herkx_small_kernelIldLi16ELb1ELb0ELc78ELc76EKddEviT_T0_PT6_S1_lS4_S1_lS2_PT7_S1_li
; %bb.0:
	s_load_dwordx16 s[12:27], s[4:5], 0x8
	s_load_dword s9, s[4:5], 0x0
	v_lshl_add_u32 v2, s6, 4, v0
	v_lshl_add_u32 v4, s7, 4, v1
	v_ashrrev_i32_e32 v3, 31, v2
	s_waitcnt lgkmcnt(0)
	v_cmp_lt_i64_e64 s[0:1], s[12:13], 1
	v_ashrrev_i32_e32 v5, 31, v4
	s_and_b64 vcc, exec, s[0:1]
	v_cmp_gt_i32_e64 s[0:1], s9, v2
	s_cbranch_vccnz .LBB1053_7
; %bb.1:
	v_lshlrev_b32_e32 v6, 7, v1
	v_lshlrev_b32_e32 v16, 3, v0
	v_add_u32_e32 v17, v16, v6
	v_add_u32_e32 v18, 0x800, v6
	v_mad_u64_u32 v[6:7], s[6:7], s24, v0, 0
	s_mul_i32 s10, s27, s8
	s_mul_hi_u32 s11, s26, s8
	v_mad_u64_u32 v[7:8], s[6:7], s25, v0, v[7:8]
	s_add_i32 s7, s11, s10
	s_mul_i32 s6, s26, s8
	v_lshlrev_b64 v[6:7], 3, v[6:7]
	s_lshl_b64 s[6:7], s[6:7], 3
	v_mov_b32_e32 v8, s7
	v_add_co_u32_e32 v9, vcc, s6, v6
	v_addc_co_u32_e32 v8, vcc, v8, v7, vcc
	v_lshlrev_b64 v[6:7], 3, v[4:5]
	s_mul_i32 s21, s21, s8
	v_add_co_u32_e32 v6, vcc, v9, v6
	v_addc_co_u32_e32 v7, vcc, v8, v7, vcc
	v_mov_b32_e32 v8, s23
	v_add_co_u32_e32 v6, vcc, s22, v6
	v_addc_co_u32_e32 v7, vcc, v8, v7, vcc
	v_mad_u64_u32 v[8:9], s[6:7], s18, v1, 0
	s_mul_hi_u32 s22, s20, s8
	s_lshl_b64 s[10:11], s[24:25], 7
	v_mad_u64_u32 v[9:10], s[6:7], s19, v1, v[9:10]
	s_add_i32 s7, s22, s21
	s_mul_i32 s6, s20, s8
	v_lshlrev_b64 v[8:9], 3, v[8:9]
	s_lshl_b64 s[6:7], s[6:7], 3
	v_mov_b32_e32 v10, s7
	v_add_co_u32_e32 v11, vcc, s6, v8
	v_addc_co_u32_e32 v10, vcc, v10, v9, vcc
	v_lshlrev_b64 v[8:9], 3, v[2:3]
	v_mov_b32_e32 v12, 0
	v_add_co_u32_e32 v8, vcc, v11, v8
	v_addc_co_u32_e32 v9, vcc, v10, v9, vcc
	v_mov_b32_e32 v10, s17
	v_add_co_u32_e32 v8, vcc, s16, v8
	v_addc_co_u32_e32 v9, vcc, v10, v9, vcc
	s_lshl_b64 s[16:17], s[18:19], 7
	v_mov_b32_e32 v10, s12
	v_cmp_gt_i32_e64 s[2:3], s9, v4
	v_add_u32_e32 v19, v18, v16
	v_mov_b32_e32 v13, 0
	s_mov_b64 s[18:19], 0
	v_mov_b32_e32 v20, s11
	v_mov_b32_e32 v21, s17
	;; [unrolled: 1-line block ×3, first 2 shown]
	s_branch .LBB1053_3
.LBB1053_2:                             ;   in Loop: Header=BB1053_3 Depth=1
	s_or_b64 exec, exec, s[6:7]
	s_waitcnt vmcnt(0)
	ds_write_b64 v19, v[14:15]
	s_waitcnt lgkmcnt(0)
	s_barrier
	ds_read2_b64 v[22:25], v16 offset1:16
	ds_read_b128 v[26:29], v18
	s_add_u32 s18, s18, 16
	v_add_co_u32_e32 v6, vcc, s10, v6
	v_addc_co_u32_e32 v7, vcc, v7, v20, vcc
	s_waitcnt lgkmcnt(0)
	v_fma_f64 v[12:13], v[22:23], v[26:27], v[12:13]
	s_addc_u32 s19, s19, 0
	v_cmp_ge_i64_e32 vcc, s[18:19], v[10:11]
	v_add_co_u32_e64 v8, s[6:7], s16, v8
	v_addc_co_u32_e64 v9, s[6:7], v9, v21, s[6:7]
	s_and_b64 vcc, exec, vcc
	v_fma_f64 v[26:27], v[24:25], v[28:29], v[12:13]
	ds_read_b128 v[12:15], v18 offset:16
	ds_read2_b64 v[22:25], v16 offset0:32 offset1:48
	s_waitcnt lgkmcnt(0)
	v_fma_f64 v[12:13], v[22:23], v[12:13], v[26:27]
	v_fma_f64 v[26:27], v[24:25], v[14:15], v[12:13]
	ds_read2_b64 v[12:15], v16 offset0:64 offset1:80
	ds_read_b128 v[22:25], v18 offset:32
	s_waitcnt lgkmcnt(0)
	v_fma_f64 v[12:13], v[12:13], v[22:23], v[26:27]
	v_fma_f64 v[26:27], v[14:15], v[24:25], v[12:13]
	ds_read_b128 v[12:15], v18 offset:48
	ds_read2_b64 v[22:25], v16 offset0:96 offset1:112
	s_waitcnt lgkmcnt(0)
	v_fma_f64 v[12:13], v[22:23], v[12:13], v[26:27]
	v_fma_f64 v[26:27], v[24:25], v[14:15], v[12:13]
	ds_read2_b64 v[12:15], v16 offset0:128 offset1:144
	ds_read_b128 v[22:25], v18 offset:64
	s_waitcnt lgkmcnt(0)
	v_fma_f64 v[12:13], v[12:13], v[22:23], v[26:27]
	;; [unrolled: 10-line block ×3, first 2 shown]
	v_fma_f64 v[26:27], v[14:15], v[24:25], v[12:13]
	ds_read_b128 v[12:15], v18 offset:112
	ds_read2_b64 v[22:25], v16 offset0:224 offset1:240
	s_waitcnt lgkmcnt(0)
	s_barrier
	v_fma_f64 v[12:13], v[22:23], v[12:13], v[26:27]
	v_fma_f64 v[12:13], v[24:25], v[14:15], v[12:13]
	s_cbranch_vccnz .LBB1053_8
.LBB1053_3:                             ; =>This Inner Loop Header: Depth=1
	v_mov_b32_e32 v15, s19
	v_add_co_u32_e32 v14, vcc, s18, v1
	v_addc_co_u32_e32 v15, vcc, 0, v15, vcc
	v_cmp_gt_i64_e32 vcc, s[12:13], v[14:15]
	v_mov_b32_e32 v14, 0
	v_mov_b32_e32 v15, 0
	s_and_b64 s[20:21], s[0:1], vcc
	s_and_saveexec_b64 s[6:7], s[20:21]
	s_cbranch_execz .LBB1053_5
; %bb.4:                                ;   in Loop: Header=BB1053_3 Depth=1
	global_load_dwordx2 v[14:15], v[8:9], off
.LBB1053_5:                             ;   in Loop: Header=BB1053_3 Depth=1
	s_or_b64 exec, exec, s[6:7]
	s_waitcnt vmcnt(0)
	ds_write_b64 v17, v[14:15]
	v_mov_b32_e32 v15, s19
	v_add_co_u32_e32 v14, vcc, s18, v0
	v_addc_co_u32_e32 v15, vcc, 0, v15, vcc
	v_cmp_gt_i64_e32 vcc, s[12:13], v[14:15]
	v_mov_b32_e32 v14, 0
	v_mov_b32_e32 v15, 0
	s_and_b64 s[20:21], s[2:3], vcc
	s_and_saveexec_b64 s[6:7], s[20:21]
	s_cbranch_execz .LBB1053_2
; %bb.6:                                ;   in Loop: Header=BB1053_3 Depth=1
	global_load_dwordx2 v[14:15], v[6:7], off
	s_branch .LBB1053_2
.LBB1053_7:
	v_mov_b32_e32 v12, 0
	v_mov_b32_e32 v13, 0
.LBB1053_8:
	v_cmp_le_i32_e32 vcc, v4, v2
	v_cmp_gt_i32_e64 s[0:1], s9, v2
	s_and_b64 s[0:1], vcc, s[0:1]
	s_and_saveexec_b64 s[2:3], s[0:1]
	s_cbranch_execz .LBB1053_10
; %bb.9:
	s_load_dwordx2 s[6:7], s[4:5], 0x60
	s_load_dwordx4 s[0:3], s[4:5], 0x50
	s_waitcnt lgkmcnt(0)
	s_mul_i32 s5, s7, s8
	v_mul_lo_u32 v6, s3, v4
	v_mul_lo_u32 v7, s2, v5
	v_mad_u64_u32 v[0:1], s[2:3], s2, v4, 0
	s_mul_hi_u32 s7, s6, s8
	s_mul_i32 s4, s6, s8
	s_add_i32 s5, s7, s5
	s_lshl_b64 s[4:5], s[4:5], 3
	v_mul_f64 v[4:5], s[14:15], v[12:13]
	v_add3_u32 v1, v1, v7, v6
	s_add_u32 s0, s0, s4
	v_lshlrev_b64 v[0:1], 3, v[0:1]
	s_addc_u32 s1, s1, s5
	v_mov_b32_e32 v6, s1
	v_add_co_u32_e32 v7, vcc, s0, v0
	v_addc_co_u32_e32 v6, vcc, v6, v1, vcc
	v_lshlrev_b64 v[0:1], 3, v[2:3]
	v_add_co_u32_e32 v0, vcc, v7, v0
	v_addc_co_u32_e32 v1, vcc, v6, v1, vcc
	global_store_dwordx2 v[0:1], v[4:5], off
.LBB1053_10:
	s_endpgm
	.section	.rodata,"a",@progbits
	.p2align	6, 0x0
	.amdhsa_kernel _ZL32rocblas_syrkx_herkx_small_kernelIldLi16ELb1ELb0ELc78ELc76EKddEviT_T0_PT6_S1_lS4_S1_lS2_PT7_S1_li
		.amdhsa_group_segment_fixed_size 4096
		.amdhsa_private_segment_fixed_size 0
		.amdhsa_kernarg_size 108
		.amdhsa_user_sgpr_count 6
		.amdhsa_user_sgpr_private_segment_buffer 1
		.amdhsa_user_sgpr_dispatch_ptr 0
		.amdhsa_user_sgpr_queue_ptr 0
		.amdhsa_user_sgpr_kernarg_segment_ptr 1
		.amdhsa_user_sgpr_dispatch_id 0
		.amdhsa_user_sgpr_flat_scratch_init 0
		.amdhsa_user_sgpr_private_segment_size 0
		.amdhsa_uses_dynamic_stack 0
		.amdhsa_system_sgpr_private_segment_wavefront_offset 0
		.amdhsa_system_sgpr_workgroup_id_x 1
		.amdhsa_system_sgpr_workgroup_id_y 1
		.amdhsa_system_sgpr_workgroup_id_z 1
		.amdhsa_system_sgpr_workgroup_info 0
		.amdhsa_system_vgpr_workitem_id 1
		.amdhsa_next_free_vgpr 30
		.amdhsa_next_free_sgpr 28
		.amdhsa_reserve_vcc 1
		.amdhsa_reserve_flat_scratch 0
		.amdhsa_float_round_mode_32 0
		.amdhsa_float_round_mode_16_64 0
		.amdhsa_float_denorm_mode_32 3
		.amdhsa_float_denorm_mode_16_64 3
		.amdhsa_dx10_clamp 1
		.amdhsa_ieee_mode 1
		.amdhsa_fp16_overflow 0
		.amdhsa_exception_fp_ieee_invalid_op 0
		.amdhsa_exception_fp_denorm_src 0
		.amdhsa_exception_fp_ieee_div_zero 0
		.amdhsa_exception_fp_ieee_overflow 0
		.amdhsa_exception_fp_ieee_underflow 0
		.amdhsa_exception_fp_ieee_inexact 0
		.amdhsa_exception_int_div_zero 0
	.end_amdhsa_kernel
	.section	.text._ZL32rocblas_syrkx_herkx_small_kernelIldLi16ELb1ELb0ELc78ELc76EKddEviT_T0_PT6_S1_lS4_S1_lS2_PT7_S1_li,"axG",@progbits,_ZL32rocblas_syrkx_herkx_small_kernelIldLi16ELb1ELb0ELc78ELc76EKddEviT_T0_PT6_S1_lS4_S1_lS2_PT7_S1_li,comdat
.Lfunc_end1053:
	.size	_ZL32rocblas_syrkx_herkx_small_kernelIldLi16ELb1ELb0ELc78ELc76EKddEviT_T0_PT6_S1_lS4_S1_lS2_PT7_S1_li, .Lfunc_end1053-_ZL32rocblas_syrkx_herkx_small_kernelIldLi16ELb1ELb0ELc78ELc76EKddEviT_T0_PT6_S1_lS4_S1_lS2_PT7_S1_li
                                        ; -- End function
	.set _ZL32rocblas_syrkx_herkx_small_kernelIldLi16ELb1ELb0ELc78ELc76EKddEviT_T0_PT6_S1_lS4_S1_lS2_PT7_S1_li.num_vgpr, 30
	.set _ZL32rocblas_syrkx_herkx_small_kernelIldLi16ELb1ELb0ELc78ELc76EKddEviT_T0_PT6_S1_lS4_S1_lS2_PT7_S1_li.num_agpr, 0
	.set _ZL32rocblas_syrkx_herkx_small_kernelIldLi16ELb1ELb0ELc78ELc76EKddEviT_T0_PT6_S1_lS4_S1_lS2_PT7_S1_li.numbered_sgpr, 28
	.set _ZL32rocblas_syrkx_herkx_small_kernelIldLi16ELb1ELb0ELc78ELc76EKddEviT_T0_PT6_S1_lS4_S1_lS2_PT7_S1_li.num_named_barrier, 0
	.set _ZL32rocblas_syrkx_herkx_small_kernelIldLi16ELb1ELb0ELc78ELc76EKddEviT_T0_PT6_S1_lS4_S1_lS2_PT7_S1_li.private_seg_size, 0
	.set _ZL32rocblas_syrkx_herkx_small_kernelIldLi16ELb1ELb0ELc78ELc76EKddEviT_T0_PT6_S1_lS4_S1_lS2_PT7_S1_li.uses_vcc, 1
	.set _ZL32rocblas_syrkx_herkx_small_kernelIldLi16ELb1ELb0ELc78ELc76EKddEviT_T0_PT6_S1_lS4_S1_lS2_PT7_S1_li.uses_flat_scratch, 0
	.set _ZL32rocblas_syrkx_herkx_small_kernelIldLi16ELb1ELb0ELc78ELc76EKddEviT_T0_PT6_S1_lS4_S1_lS2_PT7_S1_li.has_dyn_sized_stack, 0
	.set _ZL32rocblas_syrkx_herkx_small_kernelIldLi16ELb1ELb0ELc78ELc76EKddEviT_T0_PT6_S1_lS4_S1_lS2_PT7_S1_li.has_recursion, 0
	.set _ZL32rocblas_syrkx_herkx_small_kernelIldLi16ELb1ELb0ELc78ELc76EKddEviT_T0_PT6_S1_lS4_S1_lS2_PT7_S1_li.has_indirect_call, 0
	.section	.AMDGPU.csdata,"",@progbits
; Kernel info:
; codeLenInByte = 944
; TotalNumSgprs: 32
; NumVgprs: 30
; ScratchSize: 0
; MemoryBound: 0
; FloatMode: 240
; IeeeMode: 1
; LDSByteSize: 4096 bytes/workgroup (compile time only)
; SGPRBlocks: 3
; VGPRBlocks: 7
; NumSGPRsForWavesPerEU: 32
; NumVGPRsForWavesPerEU: 30
; Occupancy: 8
; WaveLimiterHint : 0
; COMPUTE_PGM_RSRC2:SCRATCH_EN: 0
; COMPUTE_PGM_RSRC2:USER_SGPR: 6
; COMPUTE_PGM_RSRC2:TRAP_HANDLER: 0
; COMPUTE_PGM_RSRC2:TGID_X_EN: 1
; COMPUTE_PGM_RSRC2:TGID_Y_EN: 1
; COMPUTE_PGM_RSRC2:TGID_Z_EN: 1
; COMPUTE_PGM_RSRC2:TIDIG_COMP_CNT: 1
	.section	.text._ZL32rocblas_syrkx_herkx_small_kernelIldLi16ELb1ELb0ELc84ELc85EKddEviT_T0_PT6_S1_lS4_S1_lS2_PT7_S1_li,"axG",@progbits,_ZL32rocblas_syrkx_herkx_small_kernelIldLi16ELb1ELb0ELc84ELc85EKddEviT_T0_PT6_S1_lS4_S1_lS2_PT7_S1_li,comdat
	.globl	_ZL32rocblas_syrkx_herkx_small_kernelIldLi16ELb1ELb0ELc84ELc85EKddEviT_T0_PT6_S1_lS4_S1_lS2_PT7_S1_li ; -- Begin function _ZL32rocblas_syrkx_herkx_small_kernelIldLi16ELb1ELb0ELc84ELc85EKddEviT_T0_PT6_S1_lS4_S1_lS2_PT7_S1_li
	.p2align	8
	.type	_ZL32rocblas_syrkx_herkx_small_kernelIldLi16ELb1ELb0ELc84ELc85EKddEviT_T0_PT6_S1_lS4_S1_lS2_PT7_S1_li,@function
_ZL32rocblas_syrkx_herkx_small_kernelIldLi16ELb1ELb0ELc84ELc85EKddEviT_T0_PT6_S1_lS4_S1_lS2_PT7_S1_li: ; @_ZL32rocblas_syrkx_herkx_small_kernelIldLi16ELb1ELb0ELc84ELc85EKddEviT_T0_PT6_S1_lS4_S1_lS2_PT7_S1_li
; %bb.0:
	s_load_dwordx16 s[12:27], s[4:5], 0x8
	s_load_dword s9, s[4:5], 0x0
	v_lshl_add_u32 v2, s6, 4, v0
	v_lshl_add_u32 v14, s7, 4, v1
	v_ashrrev_i32_e32 v3, 31, v2
	s_waitcnt lgkmcnt(0)
	v_cmp_lt_i64_e64 s[0:1], s[12:13], 1
	v_ashrrev_i32_e32 v15, 31, v14
	s_and_b64 vcc, exec, s[0:1]
	v_cmp_gt_i32_e64 s[0:1], s9, v14
	s_cbranch_vccnz .LBB1054_7
; %bb.1:
	v_mul_lo_u32 v7, s25, v14
	v_mul_lo_u32 v8, s24, v15
	v_mad_u64_u32 v[4:5], s[6:7], s24, v14, 0
	s_mul_i32 s6, s27, s8
	s_mul_hi_u32 s7, s26, s8
	v_add3_u32 v5, v5, v8, v7
	v_lshlrev_b64 v[4:5], 3, v[4:5]
	s_add_i32 s7, s7, s6
	s_mul_i32 s6, s26, s8
	v_lshlrev_b32_e32 v6, 7, v1
	v_lshlrev_b32_e32 v16, 3, v0
	s_lshl_b64 s[6:7], s[6:7], 3
	v_add_u32_e32 v17, v16, v6
	v_add_u32_e32 v18, 0x800, v6
	v_mov_b32_e32 v6, s7
	v_add_co_u32_e32 v4, vcc, s6, v4
	v_addc_co_u32_e32 v5, vcc, v5, v6, vcc
	v_mul_lo_u32 v9, s19, v2
	v_mul_lo_u32 v10, s18, v3
	v_mad_u64_u32 v[6:7], s[6:7], s18, v2, 0
	v_add_co_u32_e32 v4, vcc, v4, v16
	v_addc_co_u32_e32 v5, vcc, 0, v5, vcc
	v_add3_u32 v7, v7, v10, v9
	s_mul_i32 s6, s21, s8
	s_mul_hi_u32 s7, s20, s8
	v_mov_b32_e32 v8, s23
	v_add_co_u32_e32 v4, vcc, s22, v4
	v_lshlrev_b64 v[6:7], 3, v[6:7]
	s_add_i32 s7, s7, s6
	s_mul_i32 s6, s20, s8
	v_addc_co_u32_e32 v5, vcc, v8, v5, vcc
	s_lshl_b64 s[6:7], s[6:7], 3
	v_mov_b32_e32 v8, s7
	v_add_co_u32_e32 v6, vcc, s6, v6
	v_addc_co_u32_e32 v7, vcc, v7, v8, vcc
	v_lshlrev_b32_e32 v8, 3, v1
	v_add_co_u32_e32 v6, vcc, v6, v8
	v_addc_co_u32_e32 v7, vcc, 0, v7, vcc
	v_mov_b32_e32 v8, s17
	v_add_co_u32_e32 v6, vcc, s16, v6
	v_addc_co_u32_e32 v7, vcc, v8, v7, vcc
	v_mov_b32_e32 v10, 0
	v_mov_b32_e32 v8, s12
	v_cmp_gt_i32_e64 s[2:3], s9, v2
	v_add_u32_e32 v19, v18, v16
	v_mov_b32_e32 v11, 0
	s_mov_b64 s[10:11], 0
	v_mov_b32_e32 v9, s13
	s_branch .LBB1054_3
.LBB1054_2:                             ;   in Loop: Header=BB1054_3 Depth=1
	s_or_b64 exec, exec, s[6:7]
	s_waitcnt vmcnt(0)
	ds_write_b64 v19, v[12:13]
	s_waitcnt lgkmcnt(0)
	s_barrier
	ds_read2_b64 v[20:23], v16 offset1:16
	ds_read_b128 v[24:27], v18
	s_add_u32 s10, s10, 16
	v_add_co_u32_e32 v4, vcc, 0x80, v4
	s_addc_u32 s11, s11, 0
	s_waitcnt lgkmcnt(0)
	v_fma_f64 v[10:11], v[20:21], v[24:25], v[10:11]
	v_addc_co_u32_e32 v5, vcc, 0, v5, vcc
	v_add_co_u32_e32 v6, vcc, 0x80, v6
	v_cmp_ge_i64_e64 s[6:7], s[10:11], v[8:9]
	v_addc_co_u32_e32 v7, vcc, 0, v7, vcc
	v_fma_f64 v[24:25], v[22:23], v[26:27], v[10:11]
	ds_read_b128 v[10:13], v18 offset:16
	ds_read2_b64 v[20:23], v16 offset0:32 offset1:48
	s_and_b64 vcc, exec, s[6:7]
	s_waitcnt lgkmcnt(0)
	v_fma_f64 v[10:11], v[20:21], v[10:11], v[24:25]
	v_fma_f64 v[24:25], v[22:23], v[12:13], v[10:11]
	ds_read2_b64 v[10:13], v16 offset0:64 offset1:80
	ds_read_b128 v[20:23], v18 offset:32
	s_waitcnt lgkmcnt(0)
	v_fma_f64 v[10:11], v[10:11], v[20:21], v[24:25]
	v_fma_f64 v[24:25], v[12:13], v[22:23], v[10:11]
	ds_read_b128 v[10:13], v18 offset:48
	ds_read2_b64 v[20:23], v16 offset0:96 offset1:112
	s_waitcnt lgkmcnt(0)
	v_fma_f64 v[10:11], v[20:21], v[10:11], v[24:25]
	v_fma_f64 v[24:25], v[22:23], v[12:13], v[10:11]
	ds_read2_b64 v[10:13], v16 offset0:128 offset1:144
	ds_read_b128 v[20:23], v18 offset:64
	s_waitcnt lgkmcnt(0)
	v_fma_f64 v[10:11], v[10:11], v[20:21], v[24:25]
	v_fma_f64 v[24:25], v[12:13], v[22:23], v[10:11]
	ds_read_b128 v[10:13], v18 offset:80
	ds_read2_b64 v[20:23], v16 offset0:160 offset1:176
	;; [unrolled: 10-line block ×3, first 2 shown]
	s_waitcnt lgkmcnt(0)
	s_barrier
	v_fma_f64 v[10:11], v[20:21], v[10:11], v[24:25]
	v_fma_f64 v[10:11], v[22:23], v[12:13], v[10:11]
	s_cbranch_vccnz .LBB1054_8
.LBB1054_3:                             ; =>This Inner Loop Header: Depth=1
	v_mov_b32_e32 v13, s11
	v_add_co_u32_e32 v12, vcc, s10, v1
	v_addc_co_u32_e32 v13, vcc, 0, v13, vcc
	v_cmp_gt_i64_e32 vcc, s[12:13], v[12:13]
	v_mov_b32_e32 v12, 0
	v_mov_b32_e32 v13, 0
	s_and_b64 s[16:17], s[2:3], vcc
	s_and_saveexec_b64 s[6:7], s[16:17]
	s_cbranch_execz .LBB1054_5
; %bb.4:                                ;   in Loop: Header=BB1054_3 Depth=1
	global_load_dwordx2 v[12:13], v[6:7], off
.LBB1054_5:                             ;   in Loop: Header=BB1054_3 Depth=1
	s_or_b64 exec, exec, s[6:7]
	s_waitcnt vmcnt(0)
	ds_write_b64 v17, v[12:13]
	v_mov_b32_e32 v13, s11
	v_add_co_u32_e32 v12, vcc, s10, v0
	v_addc_co_u32_e32 v13, vcc, 0, v13, vcc
	v_cmp_gt_i64_e32 vcc, s[12:13], v[12:13]
	v_mov_b32_e32 v12, 0
	v_mov_b32_e32 v13, 0
	s_and_b64 s[16:17], s[0:1], vcc
	s_and_saveexec_b64 s[6:7], s[16:17]
	s_cbranch_execz .LBB1054_2
; %bb.6:                                ;   in Loop: Header=BB1054_3 Depth=1
	global_load_dwordx2 v[12:13], v[4:5], off
	s_branch .LBB1054_2
.LBB1054_7:
	v_mov_b32_e32 v10, 0
	v_mov_b32_e32 v11, 0
.LBB1054_8:
	v_cmp_le_i32_e32 vcc, v2, v14
	v_cmp_gt_i32_e64 s[0:1], s9, v14
	s_and_b64 s[0:1], vcc, s[0:1]
	s_and_saveexec_b64 s[2:3], s[0:1]
	s_cbranch_execz .LBB1054_10
; %bb.9:
	s_load_dwordx2 s[6:7], s[4:5], 0x60
	s_load_dwordx4 s[0:3], s[4:5], 0x50
	v_mul_f64 v[4:5], s[14:15], v[10:11]
	s_waitcnt lgkmcnt(0)
	s_mul_i32 s5, s7, s8
	v_mul_lo_u32 v6, s3, v14
	v_mul_lo_u32 v7, s2, v15
	v_mad_u64_u32 v[0:1], s[2:3], s2, v14, 0
	s_mul_hi_u32 s7, s6, s8
	s_mul_i32 s4, s6, s8
	s_add_i32 s5, s7, s5
	s_lshl_b64 s[4:5], s[4:5], 3
	v_add3_u32 v1, v1, v7, v6
	s_add_u32 s0, s0, s4
	v_lshlrev_b64 v[0:1], 3, v[0:1]
	s_addc_u32 s1, s1, s5
	v_mov_b32_e32 v6, s1
	v_add_co_u32_e32 v7, vcc, s0, v0
	v_addc_co_u32_e32 v6, vcc, v6, v1, vcc
	v_lshlrev_b64 v[0:1], 3, v[2:3]
	v_add_co_u32_e32 v0, vcc, v7, v0
	v_addc_co_u32_e32 v1, vcc, v6, v1, vcc
	global_store_dwordx2 v[0:1], v[4:5], off
.LBB1054_10:
	s_endpgm
	.section	.rodata,"a",@progbits
	.p2align	6, 0x0
	.amdhsa_kernel _ZL32rocblas_syrkx_herkx_small_kernelIldLi16ELb1ELb0ELc84ELc85EKddEviT_T0_PT6_S1_lS4_S1_lS2_PT7_S1_li
		.amdhsa_group_segment_fixed_size 4096
		.amdhsa_private_segment_fixed_size 0
		.amdhsa_kernarg_size 108
		.amdhsa_user_sgpr_count 6
		.amdhsa_user_sgpr_private_segment_buffer 1
		.amdhsa_user_sgpr_dispatch_ptr 0
		.amdhsa_user_sgpr_queue_ptr 0
		.amdhsa_user_sgpr_kernarg_segment_ptr 1
		.amdhsa_user_sgpr_dispatch_id 0
		.amdhsa_user_sgpr_flat_scratch_init 0
		.amdhsa_user_sgpr_private_segment_size 0
		.amdhsa_uses_dynamic_stack 0
		.amdhsa_system_sgpr_private_segment_wavefront_offset 0
		.amdhsa_system_sgpr_workgroup_id_x 1
		.amdhsa_system_sgpr_workgroup_id_y 1
		.amdhsa_system_sgpr_workgroup_id_z 1
		.amdhsa_system_sgpr_workgroup_info 0
		.amdhsa_system_vgpr_workitem_id 1
		.amdhsa_next_free_vgpr 28
		.amdhsa_next_free_sgpr 28
		.amdhsa_reserve_vcc 1
		.amdhsa_reserve_flat_scratch 0
		.amdhsa_float_round_mode_32 0
		.amdhsa_float_round_mode_16_64 0
		.amdhsa_float_denorm_mode_32 3
		.amdhsa_float_denorm_mode_16_64 3
		.amdhsa_dx10_clamp 1
		.amdhsa_ieee_mode 1
		.amdhsa_fp16_overflow 0
		.amdhsa_exception_fp_ieee_invalid_op 0
		.amdhsa_exception_fp_denorm_src 0
		.amdhsa_exception_fp_ieee_div_zero 0
		.amdhsa_exception_fp_ieee_overflow 0
		.amdhsa_exception_fp_ieee_underflow 0
		.amdhsa_exception_fp_ieee_inexact 0
		.amdhsa_exception_int_div_zero 0
	.end_amdhsa_kernel
	.section	.text._ZL32rocblas_syrkx_herkx_small_kernelIldLi16ELb1ELb0ELc84ELc85EKddEviT_T0_PT6_S1_lS4_S1_lS2_PT7_S1_li,"axG",@progbits,_ZL32rocblas_syrkx_herkx_small_kernelIldLi16ELb1ELb0ELc84ELc85EKddEviT_T0_PT6_S1_lS4_S1_lS2_PT7_S1_li,comdat
.Lfunc_end1054:
	.size	_ZL32rocblas_syrkx_herkx_small_kernelIldLi16ELb1ELb0ELc84ELc85EKddEviT_T0_PT6_S1_lS4_S1_lS2_PT7_S1_li, .Lfunc_end1054-_ZL32rocblas_syrkx_herkx_small_kernelIldLi16ELb1ELb0ELc84ELc85EKddEviT_T0_PT6_S1_lS4_S1_lS2_PT7_S1_li
                                        ; -- End function
	.set _ZL32rocblas_syrkx_herkx_small_kernelIldLi16ELb1ELb0ELc84ELc85EKddEviT_T0_PT6_S1_lS4_S1_lS2_PT7_S1_li.num_vgpr, 28
	.set _ZL32rocblas_syrkx_herkx_small_kernelIldLi16ELb1ELb0ELc84ELc85EKddEviT_T0_PT6_S1_lS4_S1_lS2_PT7_S1_li.num_agpr, 0
	.set _ZL32rocblas_syrkx_herkx_small_kernelIldLi16ELb1ELb0ELc84ELc85EKddEviT_T0_PT6_S1_lS4_S1_lS2_PT7_S1_li.numbered_sgpr, 28
	.set _ZL32rocblas_syrkx_herkx_small_kernelIldLi16ELb1ELb0ELc84ELc85EKddEviT_T0_PT6_S1_lS4_S1_lS2_PT7_S1_li.num_named_barrier, 0
	.set _ZL32rocblas_syrkx_herkx_small_kernelIldLi16ELb1ELb0ELc84ELc85EKddEviT_T0_PT6_S1_lS4_S1_lS2_PT7_S1_li.private_seg_size, 0
	.set _ZL32rocblas_syrkx_herkx_small_kernelIldLi16ELb1ELb0ELc84ELc85EKddEviT_T0_PT6_S1_lS4_S1_lS2_PT7_S1_li.uses_vcc, 1
	.set _ZL32rocblas_syrkx_herkx_small_kernelIldLi16ELb1ELb0ELc84ELc85EKddEviT_T0_PT6_S1_lS4_S1_lS2_PT7_S1_li.uses_flat_scratch, 0
	.set _ZL32rocblas_syrkx_herkx_small_kernelIldLi16ELb1ELb0ELc84ELc85EKddEviT_T0_PT6_S1_lS4_S1_lS2_PT7_S1_li.has_dyn_sized_stack, 0
	.set _ZL32rocblas_syrkx_herkx_small_kernelIldLi16ELb1ELb0ELc84ELc85EKddEviT_T0_PT6_S1_lS4_S1_lS2_PT7_S1_li.has_recursion, 0
	.set _ZL32rocblas_syrkx_herkx_small_kernelIldLi16ELb1ELb0ELc84ELc85EKddEviT_T0_PT6_S1_lS4_S1_lS2_PT7_S1_li.has_indirect_call, 0
	.section	.AMDGPU.csdata,"",@progbits
; Kernel info:
; codeLenInByte = 952
; TotalNumSgprs: 32
; NumVgprs: 28
; ScratchSize: 0
; MemoryBound: 0
; FloatMode: 240
; IeeeMode: 1
; LDSByteSize: 4096 bytes/workgroup (compile time only)
; SGPRBlocks: 3
; VGPRBlocks: 6
; NumSGPRsForWavesPerEU: 32
; NumVGPRsForWavesPerEU: 28
; Occupancy: 9
; WaveLimiterHint : 0
; COMPUTE_PGM_RSRC2:SCRATCH_EN: 0
; COMPUTE_PGM_RSRC2:USER_SGPR: 6
; COMPUTE_PGM_RSRC2:TRAP_HANDLER: 0
; COMPUTE_PGM_RSRC2:TGID_X_EN: 1
; COMPUTE_PGM_RSRC2:TGID_Y_EN: 1
; COMPUTE_PGM_RSRC2:TGID_Z_EN: 1
; COMPUTE_PGM_RSRC2:TIDIG_COMP_CNT: 1
	.section	.text._ZL32rocblas_syrkx_herkx_small_kernelIldLi16ELb1ELb0ELc67ELc85EKddEviT_T0_PT6_S1_lS4_S1_lS2_PT7_S1_li,"axG",@progbits,_ZL32rocblas_syrkx_herkx_small_kernelIldLi16ELb1ELb0ELc67ELc85EKddEviT_T0_PT6_S1_lS4_S1_lS2_PT7_S1_li,comdat
	.globl	_ZL32rocblas_syrkx_herkx_small_kernelIldLi16ELb1ELb0ELc67ELc85EKddEviT_T0_PT6_S1_lS4_S1_lS2_PT7_S1_li ; -- Begin function _ZL32rocblas_syrkx_herkx_small_kernelIldLi16ELb1ELb0ELc67ELc85EKddEviT_T0_PT6_S1_lS4_S1_lS2_PT7_S1_li
	.p2align	8
	.type	_ZL32rocblas_syrkx_herkx_small_kernelIldLi16ELb1ELb0ELc67ELc85EKddEviT_T0_PT6_S1_lS4_S1_lS2_PT7_S1_li,@function
_ZL32rocblas_syrkx_herkx_small_kernelIldLi16ELb1ELb0ELc67ELc85EKddEviT_T0_PT6_S1_lS4_S1_lS2_PT7_S1_li: ; @_ZL32rocblas_syrkx_herkx_small_kernelIldLi16ELb1ELb0ELc67ELc85EKddEviT_T0_PT6_S1_lS4_S1_lS2_PT7_S1_li
; %bb.0:
	s_load_dwordx16 s[12:27], s[4:5], 0x8
	s_load_dword s9, s[4:5], 0x0
	v_lshl_add_u32 v2, s6, 4, v0
	v_lshl_add_u32 v14, s7, 4, v1
	v_ashrrev_i32_e32 v3, 31, v2
	s_waitcnt lgkmcnt(0)
	v_cmp_lt_i64_e64 s[0:1], s[12:13], 1
	v_ashrrev_i32_e32 v15, 31, v14
	s_and_b64 vcc, exec, s[0:1]
	v_cmp_gt_i32_e64 s[0:1], s9, v14
	s_cbranch_vccnz .LBB1055_7
; %bb.1:
	v_mul_lo_u32 v7, s25, v14
	v_mul_lo_u32 v8, s24, v15
	v_mad_u64_u32 v[4:5], s[6:7], s24, v14, 0
	s_mul_i32 s6, s27, s8
	s_mul_hi_u32 s7, s26, s8
	v_add3_u32 v5, v5, v8, v7
	v_lshlrev_b64 v[4:5], 3, v[4:5]
	s_add_i32 s7, s7, s6
	s_mul_i32 s6, s26, s8
	v_lshlrev_b32_e32 v6, 7, v1
	v_lshlrev_b32_e32 v16, 3, v0
	s_lshl_b64 s[6:7], s[6:7], 3
	v_add_u32_e32 v17, v16, v6
	v_add_u32_e32 v18, 0x800, v6
	v_mov_b32_e32 v6, s7
	v_add_co_u32_e32 v4, vcc, s6, v4
	v_addc_co_u32_e32 v5, vcc, v5, v6, vcc
	v_mul_lo_u32 v9, s19, v2
	v_mul_lo_u32 v10, s18, v3
	v_mad_u64_u32 v[6:7], s[6:7], s18, v2, 0
	v_add_co_u32_e32 v4, vcc, v4, v16
	v_addc_co_u32_e32 v5, vcc, 0, v5, vcc
	v_add3_u32 v7, v7, v10, v9
	s_mul_i32 s6, s21, s8
	s_mul_hi_u32 s7, s20, s8
	v_mov_b32_e32 v8, s23
	v_add_co_u32_e32 v4, vcc, s22, v4
	v_lshlrev_b64 v[6:7], 3, v[6:7]
	s_add_i32 s7, s7, s6
	s_mul_i32 s6, s20, s8
	v_addc_co_u32_e32 v5, vcc, v8, v5, vcc
	s_lshl_b64 s[6:7], s[6:7], 3
	v_mov_b32_e32 v8, s7
	v_add_co_u32_e32 v6, vcc, s6, v6
	v_addc_co_u32_e32 v7, vcc, v7, v8, vcc
	v_lshlrev_b32_e32 v8, 3, v1
	v_add_co_u32_e32 v6, vcc, v6, v8
	v_addc_co_u32_e32 v7, vcc, 0, v7, vcc
	v_mov_b32_e32 v8, s17
	v_add_co_u32_e32 v6, vcc, s16, v6
	v_addc_co_u32_e32 v7, vcc, v8, v7, vcc
	v_mov_b32_e32 v10, 0
	v_mov_b32_e32 v8, s12
	v_cmp_gt_i32_e64 s[2:3], s9, v2
	v_add_u32_e32 v19, v18, v16
	v_mov_b32_e32 v11, 0
	s_mov_b64 s[10:11], 0
	v_mov_b32_e32 v9, s13
	s_branch .LBB1055_3
.LBB1055_2:                             ;   in Loop: Header=BB1055_3 Depth=1
	s_or_b64 exec, exec, s[6:7]
	s_waitcnt vmcnt(0)
	ds_write_b64 v19, v[12:13]
	s_waitcnt lgkmcnt(0)
	s_barrier
	ds_read2_b64 v[20:23], v16 offset1:16
	ds_read_b128 v[24:27], v18
	s_add_u32 s10, s10, 16
	v_add_co_u32_e32 v4, vcc, 0x80, v4
	s_addc_u32 s11, s11, 0
	s_waitcnt lgkmcnt(0)
	v_fma_f64 v[10:11], v[20:21], v[24:25], v[10:11]
	v_addc_co_u32_e32 v5, vcc, 0, v5, vcc
	v_add_co_u32_e32 v6, vcc, 0x80, v6
	v_cmp_ge_i64_e64 s[6:7], s[10:11], v[8:9]
	v_addc_co_u32_e32 v7, vcc, 0, v7, vcc
	v_fma_f64 v[24:25], v[22:23], v[26:27], v[10:11]
	ds_read_b128 v[10:13], v18 offset:16
	ds_read2_b64 v[20:23], v16 offset0:32 offset1:48
	s_and_b64 vcc, exec, s[6:7]
	s_waitcnt lgkmcnt(0)
	v_fma_f64 v[10:11], v[20:21], v[10:11], v[24:25]
	v_fma_f64 v[24:25], v[22:23], v[12:13], v[10:11]
	ds_read2_b64 v[10:13], v16 offset0:64 offset1:80
	ds_read_b128 v[20:23], v18 offset:32
	s_waitcnt lgkmcnt(0)
	v_fma_f64 v[10:11], v[10:11], v[20:21], v[24:25]
	v_fma_f64 v[24:25], v[12:13], v[22:23], v[10:11]
	ds_read_b128 v[10:13], v18 offset:48
	ds_read2_b64 v[20:23], v16 offset0:96 offset1:112
	s_waitcnt lgkmcnt(0)
	v_fma_f64 v[10:11], v[20:21], v[10:11], v[24:25]
	v_fma_f64 v[24:25], v[22:23], v[12:13], v[10:11]
	ds_read2_b64 v[10:13], v16 offset0:128 offset1:144
	ds_read_b128 v[20:23], v18 offset:64
	s_waitcnt lgkmcnt(0)
	v_fma_f64 v[10:11], v[10:11], v[20:21], v[24:25]
	v_fma_f64 v[24:25], v[12:13], v[22:23], v[10:11]
	ds_read_b128 v[10:13], v18 offset:80
	ds_read2_b64 v[20:23], v16 offset0:160 offset1:176
	;; [unrolled: 10-line block ×3, first 2 shown]
	s_waitcnt lgkmcnt(0)
	s_barrier
	v_fma_f64 v[10:11], v[20:21], v[10:11], v[24:25]
	v_fma_f64 v[10:11], v[22:23], v[12:13], v[10:11]
	s_cbranch_vccnz .LBB1055_8
.LBB1055_3:                             ; =>This Inner Loop Header: Depth=1
	v_mov_b32_e32 v13, s11
	v_add_co_u32_e32 v12, vcc, s10, v1
	v_addc_co_u32_e32 v13, vcc, 0, v13, vcc
	v_cmp_gt_i64_e32 vcc, s[12:13], v[12:13]
	v_mov_b32_e32 v12, 0
	v_mov_b32_e32 v13, 0
	s_and_b64 s[16:17], s[2:3], vcc
	s_and_saveexec_b64 s[6:7], s[16:17]
	s_cbranch_execz .LBB1055_5
; %bb.4:                                ;   in Loop: Header=BB1055_3 Depth=1
	global_load_dwordx2 v[12:13], v[6:7], off
.LBB1055_5:                             ;   in Loop: Header=BB1055_3 Depth=1
	s_or_b64 exec, exec, s[6:7]
	s_waitcnt vmcnt(0)
	ds_write_b64 v17, v[12:13]
	v_mov_b32_e32 v13, s11
	v_add_co_u32_e32 v12, vcc, s10, v0
	v_addc_co_u32_e32 v13, vcc, 0, v13, vcc
	v_cmp_gt_i64_e32 vcc, s[12:13], v[12:13]
	v_mov_b32_e32 v12, 0
	v_mov_b32_e32 v13, 0
	s_and_b64 s[16:17], s[0:1], vcc
	s_and_saveexec_b64 s[6:7], s[16:17]
	s_cbranch_execz .LBB1055_2
; %bb.6:                                ;   in Loop: Header=BB1055_3 Depth=1
	global_load_dwordx2 v[12:13], v[4:5], off
	s_branch .LBB1055_2
.LBB1055_7:
	v_mov_b32_e32 v10, 0
	v_mov_b32_e32 v11, 0
.LBB1055_8:
	v_cmp_le_i32_e32 vcc, v2, v14
	v_cmp_gt_i32_e64 s[0:1], s9, v14
	s_and_b64 s[0:1], vcc, s[0:1]
	s_and_saveexec_b64 s[2:3], s[0:1]
	s_cbranch_execz .LBB1055_10
; %bb.9:
	s_load_dwordx2 s[6:7], s[4:5], 0x60
	s_load_dwordx4 s[0:3], s[4:5], 0x50
	v_mul_f64 v[4:5], s[14:15], v[10:11]
	s_waitcnt lgkmcnt(0)
	s_mul_i32 s5, s7, s8
	v_mul_lo_u32 v6, s3, v14
	v_mul_lo_u32 v7, s2, v15
	v_mad_u64_u32 v[0:1], s[2:3], s2, v14, 0
	s_mul_hi_u32 s7, s6, s8
	s_mul_i32 s4, s6, s8
	s_add_i32 s5, s7, s5
	s_lshl_b64 s[4:5], s[4:5], 3
	v_add3_u32 v1, v1, v7, v6
	s_add_u32 s0, s0, s4
	v_lshlrev_b64 v[0:1], 3, v[0:1]
	s_addc_u32 s1, s1, s5
	v_mov_b32_e32 v6, s1
	v_add_co_u32_e32 v7, vcc, s0, v0
	v_addc_co_u32_e32 v6, vcc, v6, v1, vcc
	v_lshlrev_b64 v[0:1], 3, v[2:3]
	v_add_co_u32_e32 v0, vcc, v7, v0
	v_addc_co_u32_e32 v1, vcc, v6, v1, vcc
	global_store_dwordx2 v[0:1], v[4:5], off
.LBB1055_10:
	s_endpgm
	.section	.rodata,"a",@progbits
	.p2align	6, 0x0
	.amdhsa_kernel _ZL32rocblas_syrkx_herkx_small_kernelIldLi16ELb1ELb0ELc67ELc85EKddEviT_T0_PT6_S1_lS4_S1_lS2_PT7_S1_li
		.amdhsa_group_segment_fixed_size 4096
		.amdhsa_private_segment_fixed_size 0
		.amdhsa_kernarg_size 108
		.amdhsa_user_sgpr_count 6
		.amdhsa_user_sgpr_private_segment_buffer 1
		.amdhsa_user_sgpr_dispatch_ptr 0
		.amdhsa_user_sgpr_queue_ptr 0
		.amdhsa_user_sgpr_kernarg_segment_ptr 1
		.amdhsa_user_sgpr_dispatch_id 0
		.amdhsa_user_sgpr_flat_scratch_init 0
		.amdhsa_user_sgpr_private_segment_size 0
		.amdhsa_uses_dynamic_stack 0
		.amdhsa_system_sgpr_private_segment_wavefront_offset 0
		.amdhsa_system_sgpr_workgroup_id_x 1
		.amdhsa_system_sgpr_workgroup_id_y 1
		.amdhsa_system_sgpr_workgroup_id_z 1
		.amdhsa_system_sgpr_workgroup_info 0
		.amdhsa_system_vgpr_workitem_id 1
		.amdhsa_next_free_vgpr 28
		.amdhsa_next_free_sgpr 28
		.amdhsa_reserve_vcc 1
		.amdhsa_reserve_flat_scratch 0
		.amdhsa_float_round_mode_32 0
		.amdhsa_float_round_mode_16_64 0
		.amdhsa_float_denorm_mode_32 3
		.amdhsa_float_denorm_mode_16_64 3
		.amdhsa_dx10_clamp 1
		.amdhsa_ieee_mode 1
		.amdhsa_fp16_overflow 0
		.amdhsa_exception_fp_ieee_invalid_op 0
		.amdhsa_exception_fp_denorm_src 0
		.amdhsa_exception_fp_ieee_div_zero 0
		.amdhsa_exception_fp_ieee_overflow 0
		.amdhsa_exception_fp_ieee_underflow 0
		.amdhsa_exception_fp_ieee_inexact 0
		.amdhsa_exception_int_div_zero 0
	.end_amdhsa_kernel
	.section	.text._ZL32rocblas_syrkx_herkx_small_kernelIldLi16ELb1ELb0ELc67ELc85EKddEviT_T0_PT6_S1_lS4_S1_lS2_PT7_S1_li,"axG",@progbits,_ZL32rocblas_syrkx_herkx_small_kernelIldLi16ELb1ELb0ELc67ELc85EKddEviT_T0_PT6_S1_lS4_S1_lS2_PT7_S1_li,comdat
.Lfunc_end1055:
	.size	_ZL32rocblas_syrkx_herkx_small_kernelIldLi16ELb1ELb0ELc67ELc85EKddEviT_T0_PT6_S1_lS4_S1_lS2_PT7_S1_li, .Lfunc_end1055-_ZL32rocblas_syrkx_herkx_small_kernelIldLi16ELb1ELb0ELc67ELc85EKddEviT_T0_PT6_S1_lS4_S1_lS2_PT7_S1_li
                                        ; -- End function
	.set _ZL32rocblas_syrkx_herkx_small_kernelIldLi16ELb1ELb0ELc67ELc85EKddEviT_T0_PT6_S1_lS4_S1_lS2_PT7_S1_li.num_vgpr, 28
	.set _ZL32rocblas_syrkx_herkx_small_kernelIldLi16ELb1ELb0ELc67ELc85EKddEviT_T0_PT6_S1_lS4_S1_lS2_PT7_S1_li.num_agpr, 0
	.set _ZL32rocblas_syrkx_herkx_small_kernelIldLi16ELb1ELb0ELc67ELc85EKddEviT_T0_PT6_S1_lS4_S1_lS2_PT7_S1_li.numbered_sgpr, 28
	.set _ZL32rocblas_syrkx_herkx_small_kernelIldLi16ELb1ELb0ELc67ELc85EKddEviT_T0_PT6_S1_lS4_S1_lS2_PT7_S1_li.num_named_barrier, 0
	.set _ZL32rocblas_syrkx_herkx_small_kernelIldLi16ELb1ELb0ELc67ELc85EKddEviT_T0_PT6_S1_lS4_S1_lS2_PT7_S1_li.private_seg_size, 0
	.set _ZL32rocblas_syrkx_herkx_small_kernelIldLi16ELb1ELb0ELc67ELc85EKddEviT_T0_PT6_S1_lS4_S1_lS2_PT7_S1_li.uses_vcc, 1
	.set _ZL32rocblas_syrkx_herkx_small_kernelIldLi16ELb1ELb0ELc67ELc85EKddEviT_T0_PT6_S1_lS4_S1_lS2_PT7_S1_li.uses_flat_scratch, 0
	.set _ZL32rocblas_syrkx_herkx_small_kernelIldLi16ELb1ELb0ELc67ELc85EKddEviT_T0_PT6_S1_lS4_S1_lS2_PT7_S1_li.has_dyn_sized_stack, 0
	.set _ZL32rocblas_syrkx_herkx_small_kernelIldLi16ELb1ELb0ELc67ELc85EKddEviT_T0_PT6_S1_lS4_S1_lS2_PT7_S1_li.has_recursion, 0
	.set _ZL32rocblas_syrkx_herkx_small_kernelIldLi16ELb1ELb0ELc67ELc85EKddEviT_T0_PT6_S1_lS4_S1_lS2_PT7_S1_li.has_indirect_call, 0
	.section	.AMDGPU.csdata,"",@progbits
; Kernel info:
; codeLenInByte = 952
; TotalNumSgprs: 32
; NumVgprs: 28
; ScratchSize: 0
; MemoryBound: 0
; FloatMode: 240
; IeeeMode: 1
; LDSByteSize: 4096 bytes/workgroup (compile time only)
; SGPRBlocks: 3
; VGPRBlocks: 6
; NumSGPRsForWavesPerEU: 32
; NumVGPRsForWavesPerEU: 28
; Occupancy: 9
; WaveLimiterHint : 0
; COMPUTE_PGM_RSRC2:SCRATCH_EN: 0
; COMPUTE_PGM_RSRC2:USER_SGPR: 6
; COMPUTE_PGM_RSRC2:TRAP_HANDLER: 0
; COMPUTE_PGM_RSRC2:TGID_X_EN: 1
; COMPUTE_PGM_RSRC2:TGID_Y_EN: 1
; COMPUTE_PGM_RSRC2:TGID_Z_EN: 1
; COMPUTE_PGM_RSRC2:TIDIG_COMP_CNT: 1
	.section	.text._ZL32rocblas_syrkx_herkx_small_kernelIldLi16ELb1ELb0ELc78ELc85EKddEviT_T0_PT6_S1_lS4_S1_lS2_PT7_S1_li,"axG",@progbits,_ZL32rocblas_syrkx_herkx_small_kernelIldLi16ELb1ELb0ELc78ELc85EKddEviT_T0_PT6_S1_lS4_S1_lS2_PT7_S1_li,comdat
	.globl	_ZL32rocblas_syrkx_herkx_small_kernelIldLi16ELb1ELb0ELc78ELc85EKddEviT_T0_PT6_S1_lS4_S1_lS2_PT7_S1_li ; -- Begin function _ZL32rocblas_syrkx_herkx_small_kernelIldLi16ELb1ELb0ELc78ELc85EKddEviT_T0_PT6_S1_lS4_S1_lS2_PT7_S1_li
	.p2align	8
	.type	_ZL32rocblas_syrkx_herkx_small_kernelIldLi16ELb1ELb0ELc78ELc85EKddEviT_T0_PT6_S1_lS4_S1_lS2_PT7_S1_li,@function
_ZL32rocblas_syrkx_herkx_small_kernelIldLi16ELb1ELb0ELc78ELc85EKddEviT_T0_PT6_S1_lS4_S1_lS2_PT7_S1_li: ; @_ZL32rocblas_syrkx_herkx_small_kernelIldLi16ELb1ELb0ELc78ELc85EKddEviT_T0_PT6_S1_lS4_S1_lS2_PT7_S1_li
; %bb.0:
	s_load_dwordx16 s[12:27], s[4:5], 0x8
	s_load_dword s9, s[4:5], 0x0
	v_lshl_add_u32 v2, s6, 4, v0
	v_lshl_add_u32 v4, s7, 4, v1
	v_ashrrev_i32_e32 v3, 31, v2
	s_waitcnt lgkmcnt(0)
	v_cmp_lt_i64_e64 s[0:1], s[12:13], 1
	v_ashrrev_i32_e32 v5, 31, v4
	s_and_b64 vcc, exec, s[0:1]
	v_cmp_gt_i32_e64 s[0:1], s9, v4
	s_cbranch_vccnz .LBB1056_7
; %bb.1:
	v_lshlrev_b32_e32 v6, 7, v1
	v_lshlrev_b32_e32 v16, 3, v0
	v_add_u32_e32 v17, v16, v6
	v_add_u32_e32 v18, 0x800, v6
	v_mad_u64_u32 v[6:7], s[6:7], s24, v0, 0
	s_mul_i32 s10, s27, s8
	s_mul_hi_u32 s11, s26, s8
	v_mad_u64_u32 v[7:8], s[6:7], s25, v0, v[7:8]
	s_add_i32 s7, s11, s10
	s_mul_i32 s6, s26, s8
	v_lshlrev_b64 v[6:7], 3, v[6:7]
	s_lshl_b64 s[6:7], s[6:7], 3
	v_mov_b32_e32 v8, s7
	v_add_co_u32_e32 v9, vcc, s6, v6
	v_addc_co_u32_e32 v8, vcc, v8, v7, vcc
	v_lshlrev_b64 v[6:7], 3, v[4:5]
	s_mul_i32 s21, s21, s8
	v_add_co_u32_e32 v6, vcc, v9, v6
	v_addc_co_u32_e32 v7, vcc, v8, v7, vcc
	v_mov_b32_e32 v8, s23
	v_add_co_u32_e32 v6, vcc, s22, v6
	v_addc_co_u32_e32 v7, vcc, v8, v7, vcc
	v_mad_u64_u32 v[8:9], s[6:7], s18, v1, 0
	s_mul_hi_u32 s22, s20, s8
	s_lshl_b64 s[10:11], s[24:25], 7
	v_mad_u64_u32 v[9:10], s[6:7], s19, v1, v[9:10]
	s_add_i32 s7, s22, s21
	s_mul_i32 s6, s20, s8
	v_lshlrev_b64 v[8:9], 3, v[8:9]
	s_lshl_b64 s[6:7], s[6:7], 3
	v_mov_b32_e32 v10, s7
	v_add_co_u32_e32 v11, vcc, s6, v8
	v_addc_co_u32_e32 v10, vcc, v10, v9, vcc
	v_lshlrev_b64 v[8:9], 3, v[2:3]
	v_mov_b32_e32 v12, 0
	v_add_co_u32_e32 v8, vcc, v11, v8
	v_addc_co_u32_e32 v9, vcc, v10, v9, vcc
	v_mov_b32_e32 v10, s17
	v_add_co_u32_e32 v8, vcc, s16, v8
	v_addc_co_u32_e32 v9, vcc, v10, v9, vcc
	s_lshl_b64 s[16:17], s[18:19], 7
	v_mov_b32_e32 v10, s12
	v_cmp_gt_i32_e64 s[2:3], s9, v2
	v_add_u32_e32 v19, v18, v16
	v_mov_b32_e32 v13, 0
	s_mov_b64 s[18:19], 0
	v_mov_b32_e32 v20, s11
	v_mov_b32_e32 v21, s17
	;; [unrolled: 1-line block ×3, first 2 shown]
	s_branch .LBB1056_3
.LBB1056_2:                             ;   in Loop: Header=BB1056_3 Depth=1
	s_or_b64 exec, exec, s[6:7]
	s_waitcnt vmcnt(0)
	ds_write_b64 v19, v[14:15]
	s_waitcnt lgkmcnt(0)
	s_barrier
	ds_read2_b64 v[22:25], v16 offset1:16
	ds_read_b128 v[26:29], v18
	s_add_u32 s18, s18, 16
	v_add_co_u32_e32 v6, vcc, s10, v6
	v_addc_co_u32_e32 v7, vcc, v7, v20, vcc
	s_waitcnt lgkmcnt(0)
	v_fma_f64 v[12:13], v[22:23], v[26:27], v[12:13]
	s_addc_u32 s19, s19, 0
	v_cmp_ge_i64_e32 vcc, s[18:19], v[10:11]
	v_add_co_u32_e64 v8, s[6:7], s16, v8
	v_addc_co_u32_e64 v9, s[6:7], v9, v21, s[6:7]
	s_and_b64 vcc, exec, vcc
	v_fma_f64 v[26:27], v[24:25], v[28:29], v[12:13]
	ds_read_b128 v[12:15], v18 offset:16
	ds_read2_b64 v[22:25], v16 offset0:32 offset1:48
	s_waitcnt lgkmcnt(0)
	v_fma_f64 v[12:13], v[22:23], v[12:13], v[26:27]
	v_fma_f64 v[26:27], v[24:25], v[14:15], v[12:13]
	ds_read2_b64 v[12:15], v16 offset0:64 offset1:80
	ds_read_b128 v[22:25], v18 offset:32
	s_waitcnt lgkmcnt(0)
	v_fma_f64 v[12:13], v[12:13], v[22:23], v[26:27]
	v_fma_f64 v[26:27], v[14:15], v[24:25], v[12:13]
	ds_read_b128 v[12:15], v18 offset:48
	ds_read2_b64 v[22:25], v16 offset0:96 offset1:112
	s_waitcnt lgkmcnt(0)
	v_fma_f64 v[12:13], v[22:23], v[12:13], v[26:27]
	v_fma_f64 v[26:27], v[24:25], v[14:15], v[12:13]
	ds_read2_b64 v[12:15], v16 offset0:128 offset1:144
	ds_read_b128 v[22:25], v18 offset:64
	s_waitcnt lgkmcnt(0)
	v_fma_f64 v[12:13], v[12:13], v[22:23], v[26:27]
	;; [unrolled: 10-line block ×3, first 2 shown]
	v_fma_f64 v[26:27], v[14:15], v[24:25], v[12:13]
	ds_read_b128 v[12:15], v18 offset:112
	ds_read2_b64 v[22:25], v16 offset0:224 offset1:240
	s_waitcnt lgkmcnt(0)
	s_barrier
	v_fma_f64 v[12:13], v[22:23], v[12:13], v[26:27]
	v_fma_f64 v[12:13], v[24:25], v[14:15], v[12:13]
	s_cbranch_vccnz .LBB1056_8
.LBB1056_3:                             ; =>This Inner Loop Header: Depth=1
	v_mov_b32_e32 v15, s19
	v_add_co_u32_e32 v14, vcc, s18, v1
	v_addc_co_u32_e32 v15, vcc, 0, v15, vcc
	v_cmp_gt_i64_e32 vcc, s[12:13], v[14:15]
	v_mov_b32_e32 v14, 0
	v_mov_b32_e32 v15, 0
	s_and_b64 s[20:21], s[2:3], vcc
	s_and_saveexec_b64 s[6:7], s[20:21]
	s_cbranch_execz .LBB1056_5
; %bb.4:                                ;   in Loop: Header=BB1056_3 Depth=1
	global_load_dwordx2 v[14:15], v[8:9], off
.LBB1056_5:                             ;   in Loop: Header=BB1056_3 Depth=1
	s_or_b64 exec, exec, s[6:7]
	s_waitcnt vmcnt(0)
	ds_write_b64 v17, v[14:15]
	v_mov_b32_e32 v15, s19
	v_add_co_u32_e32 v14, vcc, s18, v0
	v_addc_co_u32_e32 v15, vcc, 0, v15, vcc
	v_cmp_gt_i64_e32 vcc, s[12:13], v[14:15]
	v_mov_b32_e32 v14, 0
	v_mov_b32_e32 v15, 0
	s_and_b64 s[20:21], s[0:1], vcc
	s_and_saveexec_b64 s[6:7], s[20:21]
	s_cbranch_execz .LBB1056_2
; %bb.6:                                ;   in Loop: Header=BB1056_3 Depth=1
	global_load_dwordx2 v[14:15], v[6:7], off
	s_branch .LBB1056_2
.LBB1056_7:
	v_mov_b32_e32 v12, 0
	v_mov_b32_e32 v13, 0
.LBB1056_8:
	v_cmp_le_i32_e32 vcc, v2, v4
	v_cmp_gt_i32_e64 s[0:1], s9, v4
	s_and_b64 s[0:1], vcc, s[0:1]
	s_and_saveexec_b64 s[2:3], s[0:1]
	s_cbranch_execz .LBB1056_10
; %bb.9:
	s_load_dwordx2 s[6:7], s[4:5], 0x60
	s_load_dwordx4 s[0:3], s[4:5], 0x50
	s_waitcnt lgkmcnt(0)
	s_mul_i32 s5, s7, s8
	v_mul_lo_u32 v6, s3, v4
	v_mul_lo_u32 v7, s2, v5
	v_mad_u64_u32 v[0:1], s[2:3], s2, v4, 0
	s_mul_hi_u32 s7, s6, s8
	s_mul_i32 s4, s6, s8
	s_add_i32 s5, s7, s5
	s_lshl_b64 s[4:5], s[4:5], 3
	v_mul_f64 v[4:5], s[14:15], v[12:13]
	v_add3_u32 v1, v1, v7, v6
	s_add_u32 s0, s0, s4
	v_lshlrev_b64 v[0:1], 3, v[0:1]
	s_addc_u32 s1, s1, s5
	v_mov_b32_e32 v6, s1
	v_add_co_u32_e32 v7, vcc, s0, v0
	v_addc_co_u32_e32 v6, vcc, v6, v1, vcc
	v_lshlrev_b64 v[0:1], 3, v[2:3]
	v_add_co_u32_e32 v0, vcc, v7, v0
	v_addc_co_u32_e32 v1, vcc, v6, v1, vcc
	global_store_dwordx2 v[0:1], v[4:5], off
.LBB1056_10:
	s_endpgm
	.section	.rodata,"a",@progbits
	.p2align	6, 0x0
	.amdhsa_kernel _ZL32rocblas_syrkx_herkx_small_kernelIldLi16ELb1ELb0ELc78ELc85EKddEviT_T0_PT6_S1_lS4_S1_lS2_PT7_S1_li
		.amdhsa_group_segment_fixed_size 4096
		.amdhsa_private_segment_fixed_size 0
		.amdhsa_kernarg_size 108
		.amdhsa_user_sgpr_count 6
		.amdhsa_user_sgpr_private_segment_buffer 1
		.amdhsa_user_sgpr_dispatch_ptr 0
		.amdhsa_user_sgpr_queue_ptr 0
		.amdhsa_user_sgpr_kernarg_segment_ptr 1
		.amdhsa_user_sgpr_dispatch_id 0
		.amdhsa_user_sgpr_flat_scratch_init 0
		.amdhsa_user_sgpr_private_segment_size 0
		.amdhsa_uses_dynamic_stack 0
		.amdhsa_system_sgpr_private_segment_wavefront_offset 0
		.amdhsa_system_sgpr_workgroup_id_x 1
		.amdhsa_system_sgpr_workgroup_id_y 1
		.amdhsa_system_sgpr_workgroup_id_z 1
		.amdhsa_system_sgpr_workgroup_info 0
		.amdhsa_system_vgpr_workitem_id 1
		.amdhsa_next_free_vgpr 30
		.amdhsa_next_free_sgpr 28
		.amdhsa_reserve_vcc 1
		.amdhsa_reserve_flat_scratch 0
		.amdhsa_float_round_mode_32 0
		.amdhsa_float_round_mode_16_64 0
		.amdhsa_float_denorm_mode_32 3
		.amdhsa_float_denorm_mode_16_64 3
		.amdhsa_dx10_clamp 1
		.amdhsa_ieee_mode 1
		.amdhsa_fp16_overflow 0
		.amdhsa_exception_fp_ieee_invalid_op 0
		.amdhsa_exception_fp_denorm_src 0
		.amdhsa_exception_fp_ieee_div_zero 0
		.amdhsa_exception_fp_ieee_overflow 0
		.amdhsa_exception_fp_ieee_underflow 0
		.amdhsa_exception_fp_ieee_inexact 0
		.amdhsa_exception_int_div_zero 0
	.end_amdhsa_kernel
	.section	.text._ZL32rocblas_syrkx_herkx_small_kernelIldLi16ELb1ELb0ELc78ELc85EKddEviT_T0_PT6_S1_lS4_S1_lS2_PT7_S1_li,"axG",@progbits,_ZL32rocblas_syrkx_herkx_small_kernelIldLi16ELb1ELb0ELc78ELc85EKddEviT_T0_PT6_S1_lS4_S1_lS2_PT7_S1_li,comdat
.Lfunc_end1056:
	.size	_ZL32rocblas_syrkx_herkx_small_kernelIldLi16ELb1ELb0ELc78ELc85EKddEviT_T0_PT6_S1_lS4_S1_lS2_PT7_S1_li, .Lfunc_end1056-_ZL32rocblas_syrkx_herkx_small_kernelIldLi16ELb1ELb0ELc78ELc85EKddEviT_T0_PT6_S1_lS4_S1_lS2_PT7_S1_li
                                        ; -- End function
	.set _ZL32rocblas_syrkx_herkx_small_kernelIldLi16ELb1ELb0ELc78ELc85EKddEviT_T0_PT6_S1_lS4_S1_lS2_PT7_S1_li.num_vgpr, 30
	.set _ZL32rocblas_syrkx_herkx_small_kernelIldLi16ELb1ELb0ELc78ELc85EKddEviT_T0_PT6_S1_lS4_S1_lS2_PT7_S1_li.num_agpr, 0
	.set _ZL32rocblas_syrkx_herkx_small_kernelIldLi16ELb1ELb0ELc78ELc85EKddEviT_T0_PT6_S1_lS4_S1_lS2_PT7_S1_li.numbered_sgpr, 28
	.set _ZL32rocblas_syrkx_herkx_small_kernelIldLi16ELb1ELb0ELc78ELc85EKddEviT_T0_PT6_S1_lS4_S1_lS2_PT7_S1_li.num_named_barrier, 0
	.set _ZL32rocblas_syrkx_herkx_small_kernelIldLi16ELb1ELb0ELc78ELc85EKddEviT_T0_PT6_S1_lS4_S1_lS2_PT7_S1_li.private_seg_size, 0
	.set _ZL32rocblas_syrkx_herkx_small_kernelIldLi16ELb1ELb0ELc78ELc85EKddEviT_T0_PT6_S1_lS4_S1_lS2_PT7_S1_li.uses_vcc, 1
	.set _ZL32rocblas_syrkx_herkx_small_kernelIldLi16ELb1ELb0ELc78ELc85EKddEviT_T0_PT6_S1_lS4_S1_lS2_PT7_S1_li.uses_flat_scratch, 0
	.set _ZL32rocblas_syrkx_herkx_small_kernelIldLi16ELb1ELb0ELc78ELc85EKddEviT_T0_PT6_S1_lS4_S1_lS2_PT7_S1_li.has_dyn_sized_stack, 0
	.set _ZL32rocblas_syrkx_herkx_small_kernelIldLi16ELb1ELb0ELc78ELc85EKddEviT_T0_PT6_S1_lS4_S1_lS2_PT7_S1_li.has_recursion, 0
	.set _ZL32rocblas_syrkx_herkx_small_kernelIldLi16ELb1ELb0ELc78ELc85EKddEviT_T0_PT6_S1_lS4_S1_lS2_PT7_S1_li.has_indirect_call, 0
	.section	.AMDGPU.csdata,"",@progbits
; Kernel info:
; codeLenInByte = 944
; TotalNumSgprs: 32
; NumVgprs: 30
; ScratchSize: 0
; MemoryBound: 0
; FloatMode: 240
; IeeeMode: 1
; LDSByteSize: 4096 bytes/workgroup (compile time only)
; SGPRBlocks: 3
; VGPRBlocks: 7
; NumSGPRsForWavesPerEU: 32
; NumVGPRsForWavesPerEU: 30
; Occupancy: 8
; WaveLimiterHint : 0
; COMPUTE_PGM_RSRC2:SCRATCH_EN: 0
; COMPUTE_PGM_RSRC2:USER_SGPR: 6
; COMPUTE_PGM_RSRC2:TRAP_HANDLER: 0
; COMPUTE_PGM_RSRC2:TGID_X_EN: 1
; COMPUTE_PGM_RSRC2:TGID_Y_EN: 1
; COMPUTE_PGM_RSRC2:TGID_Z_EN: 1
; COMPUTE_PGM_RSRC2:TIDIG_COMP_CNT: 1
	.section	.text._ZL32rocblas_syrkx_herkx_small_kernelIldLi16ELb0ELb0ELc84ELc76EKddEviT_T0_PT6_S1_lS4_S1_lS2_PT7_S1_li,"axG",@progbits,_ZL32rocblas_syrkx_herkx_small_kernelIldLi16ELb0ELb0ELc84ELc76EKddEviT_T0_PT6_S1_lS4_S1_lS2_PT7_S1_li,comdat
	.globl	_ZL32rocblas_syrkx_herkx_small_kernelIldLi16ELb0ELb0ELc84ELc76EKddEviT_T0_PT6_S1_lS4_S1_lS2_PT7_S1_li ; -- Begin function _ZL32rocblas_syrkx_herkx_small_kernelIldLi16ELb0ELb0ELc84ELc76EKddEviT_T0_PT6_S1_lS4_S1_lS2_PT7_S1_li
	.p2align	8
	.type	_ZL32rocblas_syrkx_herkx_small_kernelIldLi16ELb0ELb0ELc84ELc76EKddEviT_T0_PT6_S1_lS4_S1_lS2_PT7_S1_li,@function
_ZL32rocblas_syrkx_herkx_small_kernelIldLi16ELb0ELb0ELc84ELc76EKddEviT_T0_PT6_S1_lS4_S1_lS2_PT7_S1_li: ; @_ZL32rocblas_syrkx_herkx_small_kernelIldLi16ELb0ELb0ELc84ELc76EKddEviT_T0_PT6_S1_lS4_S1_lS2_PT7_S1_li
; %bb.0:
	s_load_dwordx16 s[12:27], s[4:5], 0x8
	s_load_dword s9, s[4:5], 0x0
	v_lshl_add_u32 v2, s6, 4, v0
	v_lshl_add_u32 v14, s7, 4, v1
	v_ashrrev_i32_e32 v3, 31, v2
	s_waitcnt lgkmcnt(0)
	v_cmp_lt_i64_e64 s[0:1], s[12:13], 1
	v_ashrrev_i32_e32 v15, 31, v14
	s_and_b64 vcc, exec, s[0:1]
	v_cmp_gt_i32_e64 s[0:1], s9, v2
	s_cbranch_vccnz .LBB1057_7
; %bb.1:
	v_mul_lo_u32 v7, s25, v14
	v_mul_lo_u32 v8, s24, v15
	v_mad_u64_u32 v[4:5], s[2:3], s24, v14, 0
	s_mul_i32 s6, s27, s8
	s_mul_hi_u32 s7, s26, s8
	v_add3_u32 v5, v5, v8, v7
	v_lshlrev_b64 v[4:5], 3, v[4:5]
	s_add_i32 s7, s7, s6
	s_mul_i32 s6, s26, s8
	v_lshlrev_b32_e32 v6, 7, v1
	v_lshlrev_b32_e32 v16, 3, v0
	s_lshl_b64 s[6:7], s[6:7], 3
	v_add_u32_e32 v17, v16, v6
	v_add_u32_e32 v18, 0x800, v6
	v_mov_b32_e32 v6, s7
	v_add_co_u32_e32 v4, vcc, s6, v4
	v_addc_co_u32_e32 v5, vcc, v5, v6, vcc
	v_mul_lo_u32 v9, s19, v2
	v_mul_lo_u32 v10, s18, v3
	v_mad_u64_u32 v[6:7], s[6:7], s18, v2, 0
	v_add_co_u32_e32 v4, vcc, v4, v16
	v_addc_co_u32_e32 v5, vcc, 0, v5, vcc
	v_add3_u32 v7, v7, v10, v9
	s_mul_i32 s6, s21, s8
	s_mul_hi_u32 s7, s20, s8
	v_mov_b32_e32 v8, s23
	v_add_co_u32_e32 v4, vcc, s22, v4
	v_lshlrev_b64 v[6:7], 3, v[6:7]
	s_add_i32 s7, s7, s6
	s_mul_i32 s6, s20, s8
	v_addc_co_u32_e32 v5, vcc, v8, v5, vcc
	s_lshl_b64 s[6:7], s[6:7], 3
	v_mov_b32_e32 v8, s7
	v_add_co_u32_e32 v6, vcc, s6, v6
	v_addc_co_u32_e32 v7, vcc, v7, v8, vcc
	v_lshlrev_b32_e32 v8, 3, v1
	v_add_co_u32_e32 v6, vcc, v6, v8
	v_addc_co_u32_e32 v7, vcc, 0, v7, vcc
	v_mov_b32_e32 v8, s17
	v_add_co_u32_e32 v6, vcc, s16, v6
	v_addc_co_u32_e32 v7, vcc, v8, v7, vcc
	v_mov_b32_e32 v10, 0
	v_mov_b32_e32 v8, s12
	v_cmp_gt_i32_e64 s[2:3], s9, v14
	v_add_u32_e32 v19, v18, v16
	v_mov_b32_e32 v11, 0
	s_mov_b64 s[10:11], 0
	v_mov_b32_e32 v9, s13
	s_branch .LBB1057_3
.LBB1057_2:                             ;   in Loop: Header=BB1057_3 Depth=1
	s_or_b64 exec, exec, s[6:7]
	s_waitcnt vmcnt(0)
	ds_write_b64 v19, v[12:13]
	s_waitcnt lgkmcnt(0)
	s_barrier
	ds_read2_b64 v[20:23], v16 offset1:16
	ds_read_b128 v[24:27], v18
	s_add_u32 s10, s10, 16
	v_add_co_u32_e32 v4, vcc, 0x80, v4
	s_addc_u32 s11, s11, 0
	s_waitcnt lgkmcnt(0)
	v_fma_f64 v[10:11], v[20:21], v[24:25], v[10:11]
	v_addc_co_u32_e32 v5, vcc, 0, v5, vcc
	v_add_co_u32_e32 v6, vcc, 0x80, v6
	v_cmp_ge_i64_e64 s[6:7], s[10:11], v[8:9]
	v_addc_co_u32_e32 v7, vcc, 0, v7, vcc
	v_fma_f64 v[24:25], v[22:23], v[26:27], v[10:11]
	ds_read_b128 v[10:13], v18 offset:16
	ds_read2_b64 v[20:23], v16 offset0:32 offset1:48
	s_and_b64 vcc, exec, s[6:7]
	s_waitcnt lgkmcnt(0)
	v_fma_f64 v[10:11], v[20:21], v[10:11], v[24:25]
	v_fma_f64 v[24:25], v[22:23], v[12:13], v[10:11]
	ds_read2_b64 v[10:13], v16 offset0:64 offset1:80
	ds_read_b128 v[20:23], v18 offset:32
	s_waitcnt lgkmcnt(0)
	v_fma_f64 v[10:11], v[10:11], v[20:21], v[24:25]
	v_fma_f64 v[24:25], v[12:13], v[22:23], v[10:11]
	ds_read_b128 v[10:13], v18 offset:48
	ds_read2_b64 v[20:23], v16 offset0:96 offset1:112
	s_waitcnt lgkmcnt(0)
	v_fma_f64 v[10:11], v[20:21], v[10:11], v[24:25]
	v_fma_f64 v[24:25], v[22:23], v[12:13], v[10:11]
	ds_read2_b64 v[10:13], v16 offset0:128 offset1:144
	ds_read_b128 v[20:23], v18 offset:64
	s_waitcnt lgkmcnt(0)
	v_fma_f64 v[10:11], v[10:11], v[20:21], v[24:25]
	v_fma_f64 v[24:25], v[12:13], v[22:23], v[10:11]
	ds_read_b128 v[10:13], v18 offset:80
	ds_read2_b64 v[20:23], v16 offset0:160 offset1:176
	;; [unrolled: 10-line block ×3, first 2 shown]
	s_waitcnt lgkmcnt(0)
	s_barrier
	v_fma_f64 v[10:11], v[20:21], v[10:11], v[24:25]
	v_fma_f64 v[10:11], v[22:23], v[12:13], v[10:11]
	s_cbranch_vccnz .LBB1057_8
.LBB1057_3:                             ; =>This Inner Loop Header: Depth=1
	v_mov_b32_e32 v13, s11
	v_add_co_u32_e32 v12, vcc, s10, v1
	v_addc_co_u32_e32 v13, vcc, 0, v13, vcc
	v_cmp_gt_i64_e32 vcc, s[12:13], v[12:13]
	v_mov_b32_e32 v12, 0
	v_mov_b32_e32 v13, 0
	s_and_b64 s[16:17], s[0:1], vcc
	s_and_saveexec_b64 s[6:7], s[16:17]
	s_cbranch_execz .LBB1057_5
; %bb.4:                                ;   in Loop: Header=BB1057_3 Depth=1
	global_load_dwordx2 v[12:13], v[6:7], off
.LBB1057_5:                             ;   in Loop: Header=BB1057_3 Depth=1
	s_or_b64 exec, exec, s[6:7]
	s_waitcnt vmcnt(0)
	ds_write_b64 v17, v[12:13]
	v_mov_b32_e32 v13, s11
	v_add_co_u32_e32 v12, vcc, s10, v0
	v_addc_co_u32_e32 v13, vcc, 0, v13, vcc
	v_cmp_gt_i64_e32 vcc, s[12:13], v[12:13]
	v_mov_b32_e32 v12, 0
	v_mov_b32_e32 v13, 0
	s_and_b64 s[16:17], s[2:3], vcc
	s_and_saveexec_b64 s[6:7], s[16:17]
	s_cbranch_execz .LBB1057_2
; %bb.6:                                ;   in Loop: Header=BB1057_3 Depth=1
	global_load_dwordx2 v[12:13], v[4:5], off
	s_branch .LBB1057_2
.LBB1057_7:
	v_mov_b32_e32 v10, 0
	v_mov_b32_e32 v11, 0
.LBB1057_8:
	v_cmp_le_i32_e32 vcc, v14, v2
	v_cmp_gt_i32_e64 s[0:1], s9, v2
	s_and_b64 s[0:1], vcc, s[0:1]
	s_and_saveexec_b64 s[2:3], s[0:1]
	s_cbranch_execz .LBB1057_10
; %bb.9:
	s_load_dwordx8 s[16:23], s[4:5], 0x48
	s_waitcnt lgkmcnt(0)
	s_mul_i32 s1, s23, s8
	s_mul_hi_u32 s2, s22, s8
	v_mul_lo_u32 v4, s21, v14
	v_mul_lo_u32 v5, s20, v15
	s_add_i32 s1, s2, s1
	v_mad_u64_u32 v[0:1], s[2:3], s20, v14, 0
	s_mul_i32 s0, s22, s8
	s_lshl_b64 s[0:1], s[0:1], 3
	v_add3_u32 v1, v1, v5, v4
	s_add_u32 s0, s18, s0
	v_lshlrev_b64 v[0:1], 3, v[0:1]
	s_addc_u32 s1, s19, s1
	v_mov_b32_e32 v4, s1
	v_add_co_u32_e32 v5, vcc, s0, v0
	v_addc_co_u32_e32 v4, vcc, v4, v1, vcc
	v_lshlrev_b64 v[0:1], 3, v[2:3]
	v_add_co_u32_e32 v0, vcc, v5, v0
	v_addc_co_u32_e32 v1, vcc, v4, v1, vcc
	global_load_dwordx2 v[2:3], v[0:1], off
	s_waitcnt vmcnt(0)
	v_mul_f64 v[2:3], s[16:17], v[2:3]
	v_fma_f64 v[2:3], s[14:15], v[10:11], v[2:3]
	global_store_dwordx2 v[0:1], v[2:3], off
.LBB1057_10:
	s_endpgm
	.section	.rodata,"a",@progbits
	.p2align	6, 0x0
	.amdhsa_kernel _ZL32rocblas_syrkx_herkx_small_kernelIldLi16ELb0ELb0ELc84ELc76EKddEviT_T0_PT6_S1_lS4_S1_lS2_PT7_S1_li
		.amdhsa_group_segment_fixed_size 4096
		.amdhsa_private_segment_fixed_size 0
		.amdhsa_kernarg_size 108
		.amdhsa_user_sgpr_count 6
		.amdhsa_user_sgpr_private_segment_buffer 1
		.amdhsa_user_sgpr_dispatch_ptr 0
		.amdhsa_user_sgpr_queue_ptr 0
		.amdhsa_user_sgpr_kernarg_segment_ptr 1
		.amdhsa_user_sgpr_dispatch_id 0
		.amdhsa_user_sgpr_flat_scratch_init 0
		.amdhsa_user_sgpr_private_segment_size 0
		.amdhsa_uses_dynamic_stack 0
		.amdhsa_system_sgpr_private_segment_wavefront_offset 0
		.amdhsa_system_sgpr_workgroup_id_x 1
		.amdhsa_system_sgpr_workgroup_id_y 1
		.amdhsa_system_sgpr_workgroup_id_z 1
		.amdhsa_system_sgpr_workgroup_info 0
		.amdhsa_system_vgpr_workitem_id 1
		.amdhsa_next_free_vgpr 28
		.amdhsa_next_free_sgpr 28
		.amdhsa_reserve_vcc 1
		.amdhsa_reserve_flat_scratch 0
		.amdhsa_float_round_mode_32 0
		.amdhsa_float_round_mode_16_64 0
		.amdhsa_float_denorm_mode_32 3
		.amdhsa_float_denorm_mode_16_64 3
		.amdhsa_dx10_clamp 1
		.amdhsa_ieee_mode 1
		.amdhsa_fp16_overflow 0
		.amdhsa_exception_fp_ieee_invalid_op 0
		.amdhsa_exception_fp_denorm_src 0
		.amdhsa_exception_fp_ieee_div_zero 0
		.amdhsa_exception_fp_ieee_overflow 0
		.amdhsa_exception_fp_ieee_underflow 0
		.amdhsa_exception_fp_ieee_inexact 0
		.amdhsa_exception_int_div_zero 0
	.end_amdhsa_kernel
	.section	.text._ZL32rocblas_syrkx_herkx_small_kernelIldLi16ELb0ELb0ELc84ELc76EKddEviT_T0_PT6_S1_lS4_S1_lS2_PT7_S1_li,"axG",@progbits,_ZL32rocblas_syrkx_herkx_small_kernelIldLi16ELb0ELb0ELc84ELc76EKddEviT_T0_PT6_S1_lS4_S1_lS2_PT7_S1_li,comdat
.Lfunc_end1057:
	.size	_ZL32rocblas_syrkx_herkx_small_kernelIldLi16ELb0ELb0ELc84ELc76EKddEviT_T0_PT6_S1_lS4_S1_lS2_PT7_S1_li, .Lfunc_end1057-_ZL32rocblas_syrkx_herkx_small_kernelIldLi16ELb0ELb0ELc84ELc76EKddEviT_T0_PT6_S1_lS4_S1_lS2_PT7_S1_li
                                        ; -- End function
	.set _ZL32rocblas_syrkx_herkx_small_kernelIldLi16ELb0ELb0ELc84ELc76EKddEviT_T0_PT6_S1_lS4_S1_lS2_PT7_S1_li.num_vgpr, 28
	.set _ZL32rocblas_syrkx_herkx_small_kernelIldLi16ELb0ELb0ELc84ELc76EKddEviT_T0_PT6_S1_lS4_S1_lS2_PT7_S1_li.num_agpr, 0
	.set _ZL32rocblas_syrkx_herkx_small_kernelIldLi16ELb0ELb0ELc84ELc76EKddEviT_T0_PT6_S1_lS4_S1_lS2_PT7_S1_li.numbered_sgpr, 28
	.set _ZL32rocblas_syrkx_herkx_small_kernelIldLi16ELb0ELb0ELc84ELc76EKddEviT_T0_PT6_S1_lS4_S1_lS2_PT7_S1_li.num_named_barrier, 0
	.set _ZL32rocblas_syrkx_herkx_small_kernelIldLi16ELb0ELb0ELc84ELc76EKddEviT_T0_PT6_S1_lS4_S1_lS2_PT7_S1_li.private_seg_size, 0
	.set _ZL32rocblas_syrkx_herkx_small_kernelIldLi16ELb0ELb0ELc84ELc76EKddEviT_T0_PT6_S1_lS4_S1_lS2_PT7_S1_li.uses_vcc, 1
	.set _ZL32rocblas_syrkx_herkx_small_kernelIldLi16ELb0ELb0ELc84ELc76EKddEviT_T0_PT6_S1_lS4_S1_lS2_PT7_S1_li.uses_flat_scratch, 0
	.set _ZL32rocblas_syrkx_herkx_small_kernelIldLi16ELb0ELb0ELc84ELc76EKddEviT_T0_PT6_S1_lS4_S1_lS2_PT7_S1_li.has_dyn_sized_stack, 0
	.set _ZL32rocblas_syrkx_herkx_small_kernelIldLi16ELb0ELb0ELc84ELc76EKddEviT_T0_PT6_S1_lS4_S1_lS2_PT7_S1_li.has_recursion, 0
	.set _ZL32rocblas_syrkx_herkx_small_kernelIldLi16ELb0ELb0ELc84ELc76EKddEviT_T0_PT6_S1_lS4_S1_lS2_PT7_S1_li.has_indirect_call, 0
	.section	.AMDGPU.csdata,"",@progbits
; Kernel info:
; codeLenInByte = 964
; TotalNumSgprs: 32
; NumVgprs: 28
; ScratchSize: 0
; MemoryBound: 0
; FloatMode: 240
; IeeeMode: 1
; LDSByteSize: 4096 bytes/workgroup (compile time only)
; SGPRBlocks: 3
; VGPRBlocks: 6
; NumSGPRsForWavesPerEU: 32
; NumVGPRsForWavesPerEU: 28
; Occupancy: 9
; WaveLimiterHint : 0
; COMPUTE_PGM_RSRC2:SCRATCH_EN: 0
; COMPUTE_PGM_RSRC2:USER_SGPR: 6
; COMPUTE_PGM_RSRC2:TRAP_HANDLER: 0
; COMPUTE_PGM_RSRC2:TGID_X_EN: 1
; COMPUTE_PGM_RSRC2:TGID_Y_EN: 1
; COMPUTE_PGM_RSRC2:TGID_Z_EN: 1
; COMPUTE_PGM_RSRC2:TIDIG_COMP_CNT: 1
	.section	.text._ZL32rocblas_syrkx_herkx_small_kernelIldLi16ELb0ELb0ELc67ELc76EKddEviT_T0_PT6_S1_lS4_S1_lS2_PT7_S1_li,"axG",@progbits,_ZL32rocblas_syrkx_herkx_small_kernelIldLi16ELb0ELb0ELc67ELc76EKddEviT_T0_PT6_S1_lS4_S1_lS2_PT7_S1_li,comdat
	.globl	_ZL32rocblas_syrkx_herkx_small_kernelIldLi16ELb0ELb0ELc67ELc76EKddEviT_T0_PT6_S1_lS4_S1_lS2_PT7_S1_li ; -- Begin function _ZL32rocblas_syrkx_herkx_small_kernelIldLi16ELb0ELb0ELc67ELc76EKddEviT_T0_PT6_S1_lS4_S1_lS2_PT7_S1_li
	.p2align	8
	.type	_ZL32rocblas_syrkx_herkx_small_kernelIldLi16ELb0ELb0ELc67ELc76EKddEviT_T0_PT6_S1_lS4_S1_lS2_PT7_S1_li,@function
_ZL32rocblas_syrkx_herkx_small_kernelIldLi16ELb0ELb0ELc67ELc76EKddEviT_T0_PT6_S1_lS4_S1_lS2_PT7_S1_li: ; @_ZL32rocblas_syrkx_herkx_small_kernelIldLi16ELb0ELb0ELc67ELc76EKddEviT_T0_PT6_S1_lS4_S1_lS2_PT7_S1_li
; %bb.0:
	s_load_dwordx16 s[12:27], s[4:5], 0x8
	s_load_dword s9, s[4:5], 0x0
	v_lshl_add_u32 v2, s6, 4, v0
	v_lshl_add_u32 v14, s7, 4, v1
	v_ashrrev_i32_e32 v3, 31, v2
	s_waitcnt lgkmcnt(0)
	v_cmp_lt_i64_e64 s[0:1], s[12:13], 1
	v_ashrrev_i32_e32 v15, 31, v14
	s_and_b64 vcc, exec, s[0:1]
	v_cmp_gt_i32_e64 s[0:1], s9, v2
	s_cbranch_vccnz .LBB1058_7
; %bb.1:
	v_mul_lo_u32 v7, s25, v14
	v_mul_lo_u32 v8, s24, v15
	v_mad_u64_u32 v[4:5], s[2:3], s24, v14, 0
	s_mul_i32 s6, s27, s8
	s_mul_hi_u32 s7, s26, s8
	v_add3_u32 v5, v5, v8, v7
	v_lshlrev_b64 v[4:5], 3, v[4:5]
	s_add_i32 s7, s7, s6
	s_mul_i32 s6, s26, s8
	v_lshlrev_b32_e32 v6, 7, v1
	v_lshlrev_b32_e32 v16, 3, v0
	s_lshl_b64 s[6:7], s[6:7], 3
	v_add_u32_e32 v17, v16, v6
	v_add_u32_e32 v18, 0x800, v6
	v_mov_b32_e32 v6, s7
	v_add_co_u32_e32 v4, vcc, s6, v4
	v_addc_co_u32_e32 v5, vcc, v5, v6, vcc
	v_mul_lo_u32 v9, s19, v2
	v_mul_lo_u32 v10, s18, v3
	v_mad_u64_u32 v[6:7], s[6:7], s18, v2, 0
	v_add_co_u32_e32 v4, vcc, v4, v16
	v_addc_co_u32_e32 v5, vcc, 0, v5, vcc
	v_add3_u32 v7, v7, v10, v9
	s_mul_i32 s6, s21, s8
	s_mul_hi_u32 s7, s20, s8
	v_mov_b32_e32 v8, s23
	v_add_co_u32_e32 v4, vcc, s22, v4
	v_lshlrev_b64 v[6:7], 3, v[6:7]
	s_add_i32 s7, s7, s6
	s_mul_i32 s6, s20, s8
	v_addc_co_u32_e32 v5, vcc, v8, v5, vcc
	s_lshl_b64 s[6:7], s[6:7], 3
	v_mov_b32_e32 v8, s7
	v_add_co_u32_e32 v6, vcc, s6, v6
	v_addc_co_u32_e32 v7, vcc, v7, v8, vcc
	v_lshlrev_b32_e32 v8, 3, v1
	v_add_co_u32_e32 v6, vcc, v6, v8
	v_addc_co_u32_e32 v7, vcc, 0, v7, vcc
	v_mov_b32_e32 v8, s17
	v_add_co_u32_e32 v6, vcc, s16, v6
	v_addc_co_u32_e32 v7, vcc, v8, v7, vcc
	v_mov_b32_e32 v10, 0
	v_mov_b32_e32 v8, s12
	v_cmp_gt_i32_e64 s[2:3], s9, v14
	v_add_u32_e32 v19, v18, v16
	v_mov_b32_e32 v11, 0
	s_mov_b64 s[10:11], 0
	v_mov_b32_e32 v9, s13
	s_branch .LBB1058_3
.LBB1058_2:                             ;   in Loop: Header=BB1058_3 Depth=1
	s_or_b64 exec, exec, s[6:7]
	s_waitcnt vmcnt(0)
	ds_write_b64 v19, v[12:13]
	s_waitcnt lgkmcnt(0)
	s_barrier
	ds_read2_b64 v[20:23], v16 offset1:16
	ds_read_b128 v[24:27], v18
	s_add_u32 s10, s10, 16
	v_add_co_u32_e32 v4, vcc, 0x80, v4
	s_addc_u32 s11, s11, 0
	s_waitcnt lgkmcnt(0)
	v_fma_f64 v[10:11], v[20:21], v[24:25], v[10:11]
	v_addc_co_u32_e32 v5, vcc, 0, v5, vcc
	v_add_co_u32_e32 v6, vcc, 0x80, v6
	v_cmp_ge_i64_e64 s[6:7], s[10:11], v[8:9]
	v_addc_co_u32_e32 v7, vcc, 0, v7, vcc
	v_fma_f64 v[24:25], v[22:23], v[26:27], v[10:11]
	ds_read_b128 v[10:13], v18 offset:16
	ds_read2_b64 v[20:23], v16 offset0:32 offset1:48
	s_and_b64 vcc, exec, s[6:7]
	s_waitcnt lgkmcnt(0)
	v_fma_f64 v[10:11], v[20:21], v[10:11], v[24:25]
	v_fma_f64 v[24:25], v[22:23], v[12:13], v[10:11]
	ds_read2_b64 v[10:13], v16 offset0:64 offset1:80
	ds_read_b128 v[20:23], v18 offset:32
	s_waitcnt lgkmcnt(0)
	v_fma_f64 v[10:11], v[10:11], v[20:21], v[24:25]
	v_fma_f64 v[24:25], v[12:13], v[22:23], v[10:11]
	ds_read_b128 v[10:13], v18 offset:48
	ds_read2_b64 v[20:23], v16 offset0:96 offset1:112
	s_waitcnt lgkmcnt(0)
	v_fma_f64 v[10:11], v[20:21], v[10:11], v[24:25]
	v_fma_f64 v[24:25], v[22:23], v[12:13], v[10:11]
	ds_read2_b64 v[10:13], v16 offset0:128 offset1:144
	ds_read_b128 v[20:23], v18 offset:64
	s_waitcnt lgkmcnt(0)
	v_fma_f64 v[10:11], v[10:11], v[20:21], v[24:25]
	v_fma_f64 v[24:25], v[12:13], v[22:23], v[10:11]
	ds_read_b128 v[10:13], v18 offset:80
	ds_read2_b64 v[20:23], v16 offset0:160 offset1:176
	;; [unrolled: 10-line block ×3, first 2 shown]
	s_waitcnt lgkmcnt(0)
	s_barrier
	v_fma_f64 v[10:11], v[20:21], v[10:11], v[24:25]
	v_fma_f64 v[10:11], v[22:23], v[12:13], v[10:11]
	s_cbranch_vccnz .LBB1058_8
.LBB1058_3:                             ; =>This Inner Loop Header: Depth=1
	v_mov_b32_e32 v13, s11
	v_add_co_u32_e32 v12, vcc, s10, v1
	v_addc_co_u32_e32 v13, vcc, 0, v13, vcc
	v_cmp_gt_i64_e32 vcc, s[12:13], v[12:13]
	v_mov_b32_e32 v12, 0
	v_mov_b32_e32 v13, 0
	s_and_b64 s[16:17], s[0:1], vcc
	s_and_saveexec_b64 s[6:7], s[16:17]
	s_cbranch_execz .LBB1058_5
; %bb.4:                                ;   in Loop: Header=BB1058_3 Depth=1
	global_load_dwordx2 v[12:13], v[6:7], off
.LBB1058_5:                             ;   in Loop: Header=BB1058_3 Depth=1
	s_or_b64 exec, exec, s[6:7]
	s_waitcnt vmcnt(0)
	ds_write_b64 v17, v[12:13]
	v_mov_b32_e32 v13, s11
	v_add_co_u32_e32 v12, vcc, s10, v0
	v_addc_co_u32_e32 v13, vcc, 0, v13, vcc
	v_cmp_gt_i64_e32 vcc, s[12:13], v[12:13]
	v_mov_b32_e32 v12, 0
	v_mov_b32_e32 v13, 0
	s_and_b64 s[16:17], s[2:3], vcc
	s_and_saveexec_b64 s[6:7], s[16:17]
	s_cbranch_execz .LBB1058_2
; %bb.6:                                ;   in Loop: Header=BB1058_3 Depth=1
	global_load_dwordx2 v[12:13], v[4:5], off
	s_branch .LBB1058_2
.LBB1058_7:
	v_mov_b32_e32 v10, 0
	v_mov_b32_e32 v11, 0
.LBB1058_8:
	v_cmp_le_i32_e32 vcc, v14, v2
	v_cmp_gt_i32_e64 s[0:1], s9, v2
	s_and_b64 s[0:1], vcc, s[0:1]
	s_and_saveexec_b64 s[2:3], s[0:1]
	s_cbranch_execz .LBB1058_10
; %bb.9:
	s_load_dwordx8 s[16:23], s[4:5], 0x48
	s_waitcnt lgkmcnt(0)
	s_mul_i32 s1, s23, s8
	s_mul_hi_u32 s2, s22, s8
	v_mul_lo_u32 v4, s21, v14
	v_mul_lo_u32 v5, s20, v15
	s_add_i32 s1, s2, s1
	v_mad_u64_u32 v[0:1], s[2:3], s20, v14, 0
	s_mul_i32 s0, s22, s8
	s_lshl_b64 s[0:1], s[0:1], 3
	v_add3_u32 v1, v1, v5, v4
	s_add_u32 s0, s18, s0
	v_lshlrev_b64 v[0:1], 3, v[0:1]
	s_addc_u32 s1, s19, s1
	v_mov_b32_e32 v4, s1
	v_add_co_u32_e32 v5, vcc, s0, v0
	v_addc_co_u32_e32 v4, vcc, v4, v1, vcc
	v_lshlrev_b64 v[0:1], 3, v[2:3]
	v_add_co_u32_e32 v0, vcc, v5, v0
	v_addc_co_u32_e32 v1, vcc, v4, v1, vcc
	global_load_dwordx2 v[2:3], v[0:1], off
	s_waitcnt vmcnt(0)
	v_mul_f64 v[2:3], s[16:17], v[2:3]
	v_fma_f64 v[2:3], s[14:15], v[10:11], v[2:3]
	global_store_dwordx2 v[0:1], v[2:3], off
.LBB1058_10:
	s_endpgm
	.section	.rodata,"a",@progbits
	.p2align	6, 0x0
	.amdhsa_kernel _ZL32rocblas_syrkx_herkx_small_kernelIldLi16ELb0ELb0ELc67ELc76EKddEviT_T0_PT6_S1_lS4_S1_lS2_PT7_S1_li
		.amdhsa_group_segment_fixed_size 4096
		.amdhsa_private_segment_fixed_size 0
		.amdhsa_kernarg_size 108
		.amdhsa_user_sgpr_count 6
		.amdhsa_user_sgpr_private_segment_buffer 1
		.amdhsa_user_sgpr_dispatch_ptr 0
		.amdhsa_user_sgpr_queue_ptr 0
		.amdhsa_user_sgpr_kernarg_segment_ptr 1
		.amdhsa_user_sgpr_dispatch_id 0
		.amdhsa_user_sgpr_flat_scratch_init 0
		.amdhsa_user_sgpr_private_segment_size 0
		.amdhsa_uses_dynamic_stack 0
		.amdhsa_system_sgpr_private_segment_wavefront_offset 0
		.amdhsa_system_sgpr_workgroup_id_x 1
		.amdhsa_system_sgpr_workgroup_id_y 1
		.amdhsa_system_sgpr_workgroup_id_z 1
		.amdhsa_system_sgpr_workgroup_info 0
		.amdhsa_system_vgpr_workitem_id 1
		.amdhsa_next_free_vgpr 28
		.amdhsa_next_free_sgpr 28
		.amdhsa_reserve_vcc 1
		.amdhsa_reserve_flat_scratch 0
		.amdhsa_float_round_mode_32 0
		.amdhsa_float_round_mode_16_64 0
		.amdhsa_float_denorm_mode_32 3
		.amdhsa_float_denorm_mode_16_64 3
		.amdhsa_dx10_clamp 1
		.amdhsa_ieee_mode 1
		.amdhsa_fp16_overflow 0
		.amdhsa_exception_fp_ieee_invalid_op 0
		.amdhsa_exception_fp_denorm_src 0
		.amdhsa_exception_fp_ieee_div_zero 0
		.amdhsa_exception_fp_ieee_overflow 0
		.amdhsa_exception_fp_ieee_underflow 0
		.amdhsa_exception_fp_ieee_inexact 0
		.amdhsa_exception_int_div_zero 0
	.end_amdhsa_kernel
	.section	.text._ZL32rocblas_syrkx_herkx_small_kernelIldLi16ELb0ELb0ELc67ELc76EKddEviT_T0_PT6_S1_lS4_S1_lS2_PT7_S1_li,"axG",@progbits,_ZL32rocblas_syrkx_herkx_small_kernelIldLi16ELb0ELb0ELc67ELc76EKddEviT_T0_PT6_S1_lS4_S1_lS2_PT7_S1_li,comdat
.Lfunc_end1058:
	.size	_ZL32rocblas_syrkx_herkx_small_kernelIldLi16ELb0ELb0ELc67ELc76EKddEviT_T0_PT6_S1_lS4_S1_lS2_PT7_S1_li, .Lfunc_end1058-_ZL32rocblas_syrkx_herkx_small_kernelIldLi16ELb0ELb0ELc67ELc76EKddEviT_T0_PT6_S1_lS4_S1_lS2_PT7_S1_li
                                        ; -- End function
	.set _ZL32rocblas_syrkx_herkx_small_kernelIldLi16ELb0ELb0ELc67ELc76EKddEviT_T0_PT6_S1_lS4_S1_lS2_PT7_S1_li.num_vgpr, 28
	.set _ZL32rocblas_syrkx_herkx_small_kernelIldLi16ELb0ELb0ELc67ELc76EKddEviT_T0_PT6_S1_lS4_S1_lS2_PT7_S1_li.num_agpr, 0
	.set _ZL32rocblas_syrkx_herkx_small_kernelIldLi16ELb0ELb0ELc67ELc76EKddEviT_T0_PT6_S1_lS4_S1_lS2_PT7_S1_li.numbered_sgpr, 28
	.set _ZL32rocblas_syrkx_herkx_small_kernelIldLi16ELb0ELb0ELc67ELc76EKddEviT_T0_PT6_S1_lS4_S1_lS2_PT7_S1_li.num_named_barrier, 0
	.set _ZL32rocblas_syrkx_herkx_small_kernelIldLi16ELb0ELb0ELc67ELc76EKddEviT_T0_PT6_S1_lS4_S1_lS2_PT7_S1_li.private_seg_size, 0
	.set _ZL32rocblas_syrkx_herkx_small_kernelIldLi16ELb0ELb0ELc67ELc76EKddEviT_T0_PT6_S1_lS4_S1_lS2_PT7_S1_li.uses_vcc, 1
	.set _ZL32rocblas_syrkx_herkx_small_kernelIldLi16ELb0ELb0ELc67ELc76EKddEviT_T0_PT6_S1_lS4_S1_lS2_PT7_S1_li.uses_flat_scratch, 0
	.set _ZL32rocblas_syrkx_herkx_small_kernelIldLi16ELb0ELb0ELc67ELc76EKddEviT_T0_PT6_S1_lS4_S1_lS2_PT7_S1_li.has_dyn_sized_stack, 0
	.set _ZL32rocblas_syrkx_herkx_small_kernelIldLi16ELb0ELb0ELc67ELc76EKddEviT_T0_PT6_S1_lS4_S1_lS2_PT7_S1_li.has_recursion, 0
	.set _ZL32rocblas_syrkx_herkx_small_kernelIldLi16ELb0ELb0ELc67ELc76EKddEviT_T0_PT6_S1_lS4_S1_lS2_PT7_S1_li.has_indirect_call, 0
	.section	.AMDGPU.csdata,"",@progbits
; Kernel info:
; codeLenInByte = 964
; TotalNumSgprs: 32
; NumVgprs: 28
; ScratchSize: 0
; MemoryBound: 0
; FloatMode: 240
; IeeeMode: 1
; LDSByteSize: 4096 bytes/workgroup (compile time only)
; SGPRBlocks: 3
; VGPRBlocks: 6
; NumSGPRsForWavesPerEU: 32
; NumVGPRsForWavesPerEU: 28
; Occupancy: 9
; WaveLimiterHint : 0
; COMPUTE_PGM_RSRC2:SCRATCH_EN: 0
; COMPUTE_PGM_RSRC2:USER_SGPR: 6
; COMPUTE_PGM_RSRC2:TRAP_HANDLER: 0
; COMPUTE_PGM_RSRC2:TGID_X_EN: 1
; COMPUTE_PGM_RSRC2:TGID_Y_EN: 1
; COMPUTE_PGM_RSRC2:TGID_Z_EN: 1
; COMPUTE_PGM_RSRC2:TIDIG_COMP_CNT: 1
	.section	.text._ZL32rocblas_syrkx_herkx_small_kernelIldLi16ELb0ELb0ELc78ELc76EKddEviT_T0_PT6_S1_lS4_S1_lS2_PT7_S1_li,"axG",@progbits,_ZL32rocblas_syrkx_herkx_small_kernelIldLi16ELb0ELb0ELc78ELc76EKddEviT_T0_PT6_S1_lS4_S1_lS2_PT7_S1_li,comdat
	.globl	_ZL32rocblas_syrkx_herkx_small_kernelIldLi16ELb0ELb0ELc78ELc76EKddEviT_T0_PT6_S1_lS4_S1_lS2_PT7_S1_li ; -- Begin function _ZL32rocblas_syrkx_herkx_small_kernelIldLi16ELb0ELb0ELc78ELc76EKddEviT_T0_PT6_S1_lS4_S1_lS2_PT7_S1_li
	.p2align	8
	.type	_ZL32rocblas_syrkx_herkx_small_kernelIldLi16ELb0ELb0ELc78ELc76EKddEviT_T0_PT6_S1_lS4_S1_lS2_PT7_S1_li,@function
_ZL32rocblas_syrkx_herkx_small_kernelIldLi16ELb0ELb0ELc78ELc76EKddEviT_T0_PT6_S1_lS4_S1_lS2_PT7_S1_li: ; @_ZL32rocblas_syrkx_herkx_small_kernelIldLi16ELb0ELb0ELc78ELc76EKddEviT_T0_PT6_S1_lS4_S1_lS2_PT7_S1_li
; %bb.0:
	s_load_dwordx16 s[12:27], s[4:5], 0x8
	s_load_dword s9, s[4:5], 0x0
	v_lshl_add_u32 v2, s6, 4, v0
	v_lshl_add_u32 v4, s7, 4, v1
	v_ashrrev_i32_e32 v3, 31, v2
	s_waitcnt lgkmcnt(0)
	v_cmp_lt_i64_e64 s[0:1], s[12:13], 1
	v_ashrrev_i32_e32 v5, 31, v4
	s_and_b64 vcc, exec, s[0:1]
	v_cmp_gt_i32_e64 s[0:1], s9, v2
	s_cbranch_vccnz .LBB1059_7
; %bb.1:
	v_lshlrev_b32_e32 v6, 7, v1
	v_lshlrev_b32_e32 v16, 3, v0
	v_add_u32_e32 v17, v16, v6
	v_add_u32_e32 v18, 0x800, v6
	v_mad_u64_u32 v[6:7], s[6:7], s24, v0, 0
	s_mul_i32 s10, s27, s8
	s_mul_hi_u32 s11, s26, s8
	v_mad_u64_u32 v[7:8], s[6:7], s25, v0, v[7:8]
	s_add_i32 s7, s11, s10
	s_mul_i32 s6, s26, s8
	v_lshlrev_b64 v[6:7], 3, v[6:7]
	s_lshl_b64 s[6:7], s[6:7], 3
	v_mov_b32_e32 v8, s7
	v_add_co_u32_e32 v9, vcc, s6, v6
	v_addc_co_u32_e32 v8, vcc, v8, v7, vcc
	v_lshlrev_b64 v[6:7], 3, v[4:5]
	s_mul_i32 s21, s21, s8
	v_add_co_u32_e32 v6, vcc, v9, v6
	v_addc_co_u32_e32 v7, vcc, v8, v7, vcc
	v_mov_b32_e32 v8, s23
	v_add_co_u32_e32 v6, vcc, s22, v6
	v_addc_co_u32_e32 v7, vcc, v8, v7, vcc
	v_mad_u64_u32 v[8:9], s[6:7], s18, v1, 0
	s_mul_hi_u32 s22, s20, s8
	s_lshl_b64 s[10:11], s[24:25], 7
	v_mad_u64_u32 v[9:10], s[6:7], s19, v1, v[9:10]
	s_add_i32 s7, s22, s21
	s_mul_i32 s6, s20, s8
	v_lshlrev_b64 v[8:9], 3, v[8:9]
	s_lshl_b64 s[6:7], s[6:7], 3
	v_mov_b32_e32 v10, s7
	v_add_co_u32_e32 v11, vcc, s6, v8
	v_addc_co_u32_e32 v10, vcc, v10, v9, vcc
	v_lshlrev_b64 v[8:9], 3, v[2:3]
	v_mov_b32_e32 v12, 0
	v_add_co_u32_e32 v8, vcc, v11, v8
	v_addc_co_u32_e32 v9, vcc, v10, v9, vcc
	v_mov_b32_e32 v10, s17
	v_add_co_u32_e32 v8, vcc, s16, v8
	v_addc_co_u32_e32 v9, vcc, v10, v9, vcc
	s_lshl_b64 s[16:17], s[18:19], 7
	v_mov_b32_e32 v10, s12
	v_cmp_gt_i32_e64 s[2:3], s9, v4
	v_add_u32_e32 v19, v18, v16
	v_mov_b32_e32 v13, 0
	s_mov_b64 s[18:19], 0
	v_mov_b32_e32 v20, s11
	v_mov_b32_e32 v21, s17
	;; [unrolled: 1-line block ×3, first 2 shown]
	s_branch .LBB1059_3
.LBB1059_2:                             ;   in Loop: Header=BB1059_3 Depth=1
	s_or_b64 exec, exec, s[6:7]
	s_waitcnt vmcnt(0)
	ds_write_b64 v19, v[14:15]
	s_waitcnt lgkmcnt(0)
	s_barrier
	ds_read2_b64 v[22:25], v16 offset1:16
	ds_read_b128 v[26:29], v18
	s_add_u32 s18, s18, 16
	v_add_co_u32_e32 v6, vcc, s10, v6
	v_addc_co_u32_e32 v7, vcc, v7, v20, vcc
	s_waitcnt lgkmcnt(0)
	v_fma_f64 v[12:13], v[22:23], v[26:27], v[12:13]
	s_addc_u32 s19, s19, 0
	v_cmp_ge_i64_e32 vcc, s[18:19], v[10:11]
	v_add_co_u32_e64 v8, s[6:7], s16, v8
	v_addc_co_u32_e64 v9, s[6:7], v9, v21, s[6:7]
	s_and_b64 vcc, exec, vcc
	v_fma_f64 v[26:27], v[24:25], v[28:29], v[12:13]
	ds_read_b128 v[12:15], v18 offset:16
	ds_read2_b64 v[22:25], v16 offset0:32 offset1:48
	s_waitcnt lgkmcnt(0)
	v_fma_f64 v[12:13], v[22:23], v[12:13], v[26:27]
	v_fma_f64 v[26:27], v[24:25], v[14:15], v[12:13]
	ds_read2_b64 v[12:15], v16 offset0:64 offset1:80
	ds_read_b128 v[22:25], v18 offset:32
	s_waitcnt lgkmcnt(0)
	v_fma_f64 v[12:13], v[12:13], v[22:23], v[26:27]
	v_fma_f64 v[26:27], v[14:15], v[24:25], v[12:13]
	ds_read_b128 v[12:15], v18 offset:48
	ds_read2_b64 v[22:25], v16 offset0:96 offset1:112
	s_waitcnt lgkmcnt(0)
	v_fma_f64 v[12:13], v[22:23], v[12:13], v[26:27]
	v_fma_f64 v[26:27], v[24:25], v[14:15], v[12:13]
	ds_read2_b64 v[12:15], v16 offset0:128 offset1:144
	ds_read_b128 v[22:25], v18 offset:64
	s_waitcnt lgkmcnt(0)
	v_fma_f64 v[12:13], v[12:13], v[22:23], v[26:27]
	;; [unrolled: 10-line block ×3, first 2 shown]
	v_fma_f64 v[26:27], v[14:15], v[24:25], v[12:13]
	ds_read_b128 v[12:15], v18 offset:112
	ds_read2_b64 v[22:25], v16 offset0:224 offset1:240
	s_waitcnt lgkmcnt(0)
	s_barrier
	v_fma_f64 v[12:13], v[22:23], v[12:13], v[26:27]
	v_fma_f64 v[12:13], v[24:25], v[14:15], v[12:13]
	s_cbranch_vccnz .LBB1059_8
.LBB1059_3:                             ; =>This Inner Loop Header: Depth=1
	v_mov_b32_e32 v15, s19
	v_add_co_u32_e32 v14, vcc, s18, v1
	v_addc_co_u32_e32 v15, vcc, 0, v15, vcc
	v_cmp_gt_i64_e32 vcc, s[12:13], v[14:15]
	v_mov_b32_e32 v14, 0
	v_mov_b32_e32 v15, 0
	s_and_b64 s[20:21], s[0:1], vcc
	s_and_saveexec_b64 s[6:7], s[20:21]
	s_cbranch_execz .LBB1059_5
; %bb.4:                                ;   in Loop: Header=BB1059_3 Depth=1
	global_load_dwordx2 v[14:15], v[8:9], off
.LBB1059_5:                             ;   in Loop: Header=BB1059_3 Depth=1
	s_or_b64 exec, exec, s[6:7]
	s_waitcnt vmcnt(0)
	ds_write_b64 v17, v[14:15]
	v_mov_b32_e32 v15, s19
	v_add_co_u32_e32 v14, vcc, s18, v0
	v_addc_co_u32_e32 v15, vcc, 0, v15, vcc
	v_cmp_gt_i64_e32 vcc, s[12:13], v[14:15]
	v_mov_b32_e32 v14, 0
	v_mov_b32_e32 v15, 0
	s_and_b64 s[20:21], s[2:3], vcc
	s_and_saveexec_b64 s[6:7], s[20:21]
	s_cbranch_execz .LBB1059_2
; %bb.6:                                ;   in Loop: Header=BB1059_3 Depth=1
	global_load_dwordx2 v[14:15], v[6:7], off
	s_branch .LBB1059_2
.LBB1059_7:
	v_mov_b32_e32 v12, 0
	v_mov_b32_e32 v13, 0
.LBB1059_8:
	v_cmp_le_i32_e32 vcc, v4, v2
	v_cmp_gt_i32_e64 s[0:1], s9, v2
	s_and_b64 s[0:1], vcc, s[0:1]
	s_and_saveexec_b64 s[2:3], s[0:1]
	s_cbranch_execz .LBB1059_10
; %bb.9:
	s_load_dwordx8 s[16:23], s[4:5], 0x48
	s_waitcnt lgkmcnt(0)
	s_mul_i32 s1, s23, s8
	s_mul_hi_u32 s2, s22, s8
	v_mul_lo_u32 v6, s21, v4
	v_mul_lo_u32 v5, s20, v5
	s_add_i32 s1, s2, s1
	v_mad_u64_u32 v[0:1], s[2:3], s20, v4, 0
	s_mul_i32 s0, s22, s8
	s_lshl_b64 s[0:1], s[0:1], 3
	v_add3_u32 v1, v1, v5, v6
	s_add_u32 s0, s18, s0
	v_lshlrev_b64 v[0:1], 3, v[0:1]
	s_addc_u32 s1, s19, s1
	v_mov_b32_e32 v4, s1
	v_add_co_u32_e32 v5, vcc, s0, v0
	v_addc_co_u32_e32 v4, vcc, v4, v1, vcc
	v_lshlrev_b64 v[0:1], 3, v[2:3]
	v_add_co_u32_e32 v0, vcc, v5, v0
	v_addc_co_u32_e32 v1, vcc, v4, v1, vcc
	global_load_dwordx2 v[2:3], v[0:1], off
	s_waitcnt vmcnt(0)
	v_mul_f64 v[2:3], s[16:17], v[2:3]
	v_fma_f64 v[2:3], s[14:15], v[12:13], v[2:3]
	global_store_dwordx2 v[0:1], v[2:3], off
.LBB1059_10:
	s_endpgm
	.section	.rodata,"a",@progbits
	.p2align	6, 0x0
	.amdhsa_kernel _ZL32rocblas_syrkx_herkx_small_kernelIldLi16ELb0ELb0ELc78ELc76EKddEviT_T0_PT6_S1_lS4_S1_lS2_PT7_S1_li
		.amdhsa_group_segment_fixed_size 4096
		.amdhsa_private_segment_fixed_size 0
		.amdhsa_kernarg_size 108
		.amdhsa_user_sgpr_count 6
		.amdhsa_user_sgpr_private_segment_buffer 1
		.amdhsa_user_sgpr_dispatch_ptr 0
		.amdhsa_user_sgpr_queue_ptr 0
		.amdhsa_user_sgpr_kernarg_segment_ptr 1
		.amdhsa_user_sgpr_dispatch_id 0
		.amdhsa_user_sgpr_flat_scratch_init 0
		.amdhsa_user_sgpr_private_segment_size 0
		.amdhsa_uses_dynamic_stack 0
		.amdhsa_system_sgpr_private_segment_wavefront_offset 0
		.amdhsa_system_sgpr_workgroup_id_x 1
		.amdhsa_system_sgpr_workgroup_id_y 1
		.amdhsa_system_sgpr_workgroup_id_z 1
		.amdhsa_system_sgpr_workgroup_info 0
		.amdhsa_system_vgpr_workitem_id 1
		.amdhsa_next_free_vgpr 30
		.amdhsa_next_free_sgpr 28
		.amdhsa_reserve_vcc 1
		.amdhsa_reserve_flat_scratch 0
		.amdhsa_float_round_mode_32 0
		.amdhsa_float_round_mode_16_64 0
		.amdhsa_float_denorm_mode_32 3
		.amdhsa_float_denorm_mode_16_64 3
		.amdhsa_dx10_clamp 1
		.amdhsa_ieee_mode 1
		.amdhsa_fp16_overflow 0
		.amdhsa_exception_fp_ieee_invalid_op 0
		.amdhsa_exception_fp_denorm_src 0
		.amdhsa_exception_fp_ieee_div_zero 0
		.amdhsa_exception_fp_ieee_overflow 0
		.amdhsa_exception_fp_ieee_underflow 0
		.amdhsa_exception_fp_ieee_inexact 0
		.amdhsa_exception_int_div_zero 0
	.end_amdhsa_kernel
	.section	.text._ZL32rocblas_syrkx_herkx_small_kernelIldLi16ELb0ELb0ELc78ELc76EKddEviT_T0_PT6_S1_lS4_S1_lS2_PT7_S1_li,"axG",@progbits,_ZL32rocblas_syrkx_herkx_small_kernelIldLi16ELb0ELb0ELc78ELc76EKddEviT_T0_PT6_S1_lS4_S1_lS2_PT7_S1_li,comdat
.Lfunc_end1059:
	.size	_ZL32rocblas_syrkx_herkx_small_kernelIldLi16ELb0ELb0ELc78ELc76EKddEviT_T0_PT6_S1_lS4_S1_lS2_PT7_S1_li, .Lfunc_end1059-_ZL32rocblas_syrkx_herkx_small_kernelIldLi16ELb0ELb0ELc78ELc76EKddEviT_T0_PT6_S1_lS4_S1_lS2_PT7_S1_li
                                        ; -- End function
	.set _ZL32rocblas_syrkx_herkx_small_kernelIldLi16ELb0ELb0ELc78ELc76EKddEviT_T0_PT6_S1_lS4_S1_lS2_PT7_S1_li.num_vgpr, 30
	.set _ZL32rocblas_syrkx_herkx_small_kernelIldLi16ELb0ELb0ELc78ELc76EKddEviT_T0_PT6_S1_lS4_S1_lS2_PT7_S1_li.num_agpr, 0
	.set _ZL32rocblas_syrkx_herkx_small_kernelIldLi16ELb0ELb0ELc78ELc76EKddEviT_T0_PT6_S1_lS4_S1_lS2_PT7_S1_li.numbered_sgpr, 28
	.set _ZL32rocblas_syrkx_herkx_small_kernelIldLi16ELb0ELb0ELc78ELc76EKddEviT_T0_PT6_S1_lS4_S1_lS2_PT7_S1_li.num_named_barrier, 0
	.set _ZL32rocblas_syrkx_herkx_small_kernelIldLi16ELb0ELb0ELc78ELc76EKddEviT_T0_PT6_S1_lS4_S1_lS2_PT7_S1_li.private_seg_size, 0
	.set _ZL32rocblas_syrkx_herkx_small_kernelIldLi16ELb0ELb0ELc78ELc76EKddEviT_T0_PT6_S1_lS4_S1_lS2_PT7_S1_li.uses_vcc, 1
	.set _ZL32rocblas_syrkx_herkx_small_kernelIldLi16ELb0ELb0ELc78ELc76EKddEviT_T0_PT6_S1_lS4_S1_lS2_PT7_S1_li.uses_flat_scratch, 0
	.set _ZL32rocblas_syrkx_herkx_small_kernelIldLi16ELb0ELb0ELc78ELc76EKddEviT_T0_PT6_S1_lS4_S1_lS2_PT7_S1_li.has_dyn_sized_stack, 0
	.set _ZL32rocblas_syrkx_herkx_small_kernelIldLi16ELb0ELb0ELc78ELc76EKddEviT_T0_PT6_S1_lS4_S1_lS2_PT7_S1_li.has_recursion, 0
	.set _ZL32rocblas_syrkx_herkx_small_kernelIldLi16ELb0ELb0ELc78ELc76EKddEviT_T0_PT6_S1_lS4_S1_lS2_PT7_S1_li.has_indirect_call, 0
	.section	.AMDGPU.csdata,"",@progbits
; Kernel info:
; codeLenInByte = 956
; TotalNumSgprs: 32
; NumVgprs: 30
; ScratchSize: 0
; MemoryBound: 0
; FloatMode: 240
; IeeeMode: 1
; LDSByteSize: 4096 bytes/workgroup (compile time only)
; SGPRBlocks: 3
; VGPRBlocks: 7
; NumSGPRsForWavesPerEU: 32
; NumVGPRsForWavesPerEU: 30
; Occupancy: 8
; WaveLimiterHint : 0
; COMPUTE_PGM_RSRC2:SCRATCH_EN: 0
; COMPUTE_PGM_RSRC2:USER_SGPR: 6
; COMPUTE_PGM_RSRC2:TRAP_HANDLER: 0
; COMPUTE_PGM_RSRC2:TGID_X_EN: 1
; COMPUTE_PGM_RSRC2:TGID_Y_EN: 1
; COMPUTE_PGM_RSRC2:TGID_Z_EN: 1
; COMPUTE_PGM_RSRC2:TIDIG_COMP_CNT: 1
	.section	.text._ZL32rocblas_syrkx_herkx_small_kernelIldLi16ELb0ELb0ELc84ELc85EKddEviT_T0_PT6_S1_lS4_S1_lS2_PT7_S1_li,"axG",@progbits,_ZL32rocblas_syrkx_herkx_small_kernelIldLi16ELb0ELb0ELc84ELc85EKddEviT_T0_PT6_S1_lS4_S1_lS2_PT7_S1_li,comdat
	.globl	_ZL32rocblas_syrkx_herkx_small_kernelIldLi16ELb0ELb0ELc84ELc85EKddEviT_T0_PT6_S1_lS4_S1_lS2_PT7_S1_li ; -- Begin function _ZL32rocblas_syrkx_herkx_small_kernelIldLi16ELb0ELb0ELc84ELc85EKddEviT_T0_PT6_S1_lS4_S1_lS2_PT7_S1_li
	.p2align	8
	.type	_ZL32rocblas_syrkx_herkx_small_kernelIldLi16ELb0ELb0ELc84ELc85EKddEviT_T0_PT6_S1_lS4_S1_lS2_PT7_S1_li,@function
_ZL32rocblas_syrkx_herkx_small_kernelIldLi16ELb0ELb0ELc84ELc85EKddEviT_T0_PT6_S1_lS4_S1_lS2_PT7_S1_li: ; @_ZL32rocblas_syrkx_herkx_small_kernelIldLi16ELb0ELb0ELc84ELc85EKddEviT_T0_PT6_S1_lS4_S1_lS2_PT7_S1_li
; %bb.0:
	s_load_dwordx16 s[12:27], s[4:5], 0x8
	s_load_dword s9, s[4:5], 0x0
	v_lshl_add_u32 v2, s6, 4, v0
	v_lshl_add_u32 v14, s7, 4, v1
	v_ashrrev_i32_e32 v3, 31, v2
	s_waitcnt lgkmcnt(0)
	v_cmp_lt_i64_e64 s[0:1], s[12:13], 1
	v_ashrrev_i32_e32 v15, 31, v14
	s_and_b64 vcc, exec, s[0:1]
	v_cmp_gt_i32_e64 s[0:1], s9, v14
	s_cbranch_vccnz .LBB1060_7
; %bb.1:
	v_mul_lo_u32 v7, s25, v14
	v_mul_lo_u32 v8, s24, v15
	v_mad_u64_u32 v[4:5], s[6:7], s24, v14, 0
	s_mul_i32 s6, s27, s8
	s_mul_hi_u32 s7, s26, s8
	v_add3_u32 v5, v5, v8, v7
	v_lshlrev_b64 v[4:5], 3, v[4:5]
	s_add_i32 s7, s7, s6
	s_mul_i32 s6, s26, s8
	v_lshlrev_b32_e32 v6, 7, v1
	v_lshlrev_b32_e32 v16, 3, v0
	s_lshl_b64 s[6:7], s[6:7], 3
	v_add_u32_e32 v17, v16, v6
	v_add_u32_e32 v18, 0x800, v6
	v_mov_b32_e32 v6, s7
	v_add_co_u32_e32 v4, vcc, s6, v4
	v_addc_co_u32_e32 v5, vcc, v5, v6, vcc
	v_mul_lo_u32 v9, s19, v2
	v_mul_lo_u32 v10, s18, v3
	v_mad_u64_u32 v[6:7], s[6:7], s18, v2, 0
	v_add_co_u32_e32 v4, vcc, v4, v16
	v_addc_co_u32_e32 v5, vcc, 0, v5, vcc
	v_add3_u32 v7, v7, v10, v9
	s_mul_i32 s6, s21, s8
	s_mul_hi_u32 s7, s20, s8
	v_mov_b32_e32 v8, s23
	v_add_co_u32_e32 v4, vcc, s22, v4
	v_lshlrev_b64 v[6:7], 3, v[6:7]
	s_add_i32 s7, s7, s6
	s_mul_i32 s6, s20, s8
	v_addc_co_u32_e32 v5, vcc, v8, v5, vcc
	s_lshl_b64 s[6:7], s[6:7], 3
	v_mov_b32_e32 v8, s7
	v_add_co_u32_e32 v6, vcc, s6, v6
	v_addc_co_u32_e32 v7, vcc, v7, v8, vcc
	v_lshlrev_b32_e32 v8, 3, v1
	v_add_co_u32_e32 v6, vcc, v6, v8
	v_addc_co_u32_e32 v7, vcc, 0, v7, vcc
	v_mov_b32_e32 v8, s17
	v_add_co_u32_e32 v6, vcc, s16, v6
	v_addc_co_u32_e32 v7, vcc, v8, v7, vcc
	v_mov_b32_e32 v10, 0
	v_mov_b32_e32 v8, s12
	v_cmp_gt_i32_e64 s[2:3], s9, v2
	v_add_u32_e32 v19, v18, v16
	v_mov_b32_e32 v11, 0
	s_mov_b64 s[10:11], 0
	v_mov_b32_e32 v9, s13
	s_branch .LBB1060_3
.LBB1060_2:                             ;   in Loop: Header=BB1060_3 Depth=1
	s_or_b64 exec, exec, s[6:7]
	s_waitcnt vmcnt(0)
	ds_write_b64 v19, v[12:13]
	s_waitcnt lgkmcnt(0)
	s_barrier
	ds_read2_b64 v[20:23], v16 offset1:16
	ds_read_b128 v[24:27], v18
	s_add_u32 s10, s10, 16
	v_add_co_u32_e32 v4, vcc, 0x80, v4
	s_addc_u32 s11, s11, 0
	s_waitcnt lgkmcnt(0)
	v_fma_f64 v[10:11], v[20:21], v[24:25], v[10:11]
	v_addc_co_u32_e32 v5, vcc, 0, v5, vcc
	v_add_co_u32_e32 v6, vcc, 0x80, v6
	v_cmp_ge_i64_e64 s[6:7], s[10:11], v[8:9]
	v_addc_co_u32_e32 v7, vcc, 0, v7, vcc
	v_fma_f64 v[24:25], v[22:23], v[26:27], v[10:11]
	ds_read_b128 v[10:13], v18 offset:16
	ds_read2_b64 v[20:23], v16 offset0:32 offset1:48
	s_and_b64 vcc, exec, s[6:7]
	s_waitcnt lgkmcnt(0)
	v_fma_f64 v[10:11], v[20:21], v[10:11], v[24:25]
	v_fma_f64 v[24:25], v[22:23], v[12:13], v[10:11]
	ds_read2_b64 v[10:13], v16 offset0:64 offset1:80
	ds_read_b128 v[20:23], v18 offset:32
	s_waitcnt lgkmcnt(0)
	v_fma_f64 v[10:11], v[10:11], v[20:21], v[24:25]
	v_fma_f64 v[24:25], v[12:13], v[22:23], v[10:11]
	ds_read_b128 v[10:13], v18 offset:48
	ds_read2_b64 v[20:23], v16 offset0:96 offset1:112
	s_waitcnt lgkmcnt(0)
	v_fma_f64 v[10:11], v[20:21], v[10:11], v[24:25]
	v_fma_f64 v[24:25], v[22:23], v[12:13], v[10:11]
	ds_read2_b64 v[10:13], v16 offset0:128 offset1:144
	ds_read_b128 v[20:23], v18 offset:64
	s_waitcnt lgkmcnt(0)
	v_fma_f64 v[10:11], v[10:11], v[20:21], v[24:25]
	v_fma_f64 v[24:25], v[12:13], v[22:23], v[10:11]
	ds_read_b128 v[10:13], v18 offset:80
	ds_read2_b64 v[20:23], v16 offset0:160 offset1:176
	;; [unrolled: 10-line block ×3, first 2 shown]
	s_waitcnt lgkmcnt(0)
	s_barrier
	v_fma_f64 v[10:11], v[20:21], v[10:11], v[24:25]
	v_fma_f64 v[10:11], v[22:23], v[12:13], v[10:11]
	s_cbranch_vccnz .LBB1060_8
.LBB1060_3:                             ; =>This Inner Loop Header: Depth=1
	v_mov_b32_e32 v13, s11
	v_add_co_u32_e32 v12, vcc, s10, v1
	v_addc_co_u32_e32 v13, vcc, 0, v13, vcc
	v_cmp_gt_i64_e32 vcc, s[12:13], v[12:13]
	v_mov_b32_e32 v12, 0
	v_mov_b32_e32 v13, 0
	s_and_b64 s[16:17], s[2:3], vcc
	s_and_saveexec_b64 s[6:7], s[16:17]
	s_cbranch_execz .LBB1060_5
; %bb.4:                                ;   in Loop: Header=BB1060_3 Depth=1
	global_load_dwordx2 v[12:13], v[6:7], off
.LBB1060_5:                             ;   in Loop: Header=BB1060_3 Depth=1
	s_or_b64 exec, exec, s[6:7]
	s_waitcnt vmcnt(0)
	ds_write_b64 v17, v[12:13]
	v_mov_b32_e32 v13, s11
	v_add_co_u32_e32 v12, vcc, s10, v0
	v_addc_co_u32_e32 v13, vcc, 0, v13, vcc
	v_cmp_gt_i64_e32 vcc, s[12:13], v[12:13]
	v_mov_b32_e32 v12, 0
	v_mov_b32_e32 v13, 0
	s_and_b64 s[16:17], s[0:1], vcc
	s_and_saveexec_b64 s[6:7], s[16:17]
	s_cbranch_execz .LBB1060_2
; %bb.6:                                ;   in Loop: Header=BB1060_3 Depth=1
	global_load_dwordx2 v[12:13], v[4:5], off
	s_branch .LBB1060_2
.LBB1060_7:
	v_mov_b32_e32 v10, 0
	v_mov_b32_e32 v11, 0
.LBB1060_8:
	v_cmp_le_i32_e32 vcc, v2, v14
	v_cmp_gt_i32_e64 s[0:1], s9, v14
	s_and_b64 s[0:1], vcc, s[0:1]
	s_and_saveexec_b64 s[2:3], s[0:1]
	s_cbranch_execz .LBB1060_10
; %bb.9:
	s_load_dwordx8 s[16:23], s[4:5], 0x48
	s_waitcnt lgkmcnt(0)
	s_mul_i32 s1, s23, s8
	s_mul_hi_u32 s2, s22, s8
	v_mul_lo_u32 v4, s21, v14
	v_mul_lo_u32 v5, s20, v15
	s_add_i32 s1, s2, s1
	v_mad_u64_u32 v[0:1], s[2:3], s20, v14, 0
	s_mul_i32 s0, s22, s8
	s_lshl_b64 s[0:1], s[0:1], 3
	v_add3_u32 v1, v1, v5, v4
	s_add_u32 s0, s18, s0
	v_lshlrev_b64 v[0:1], 3, v[0:1]
	s_addc_u32 s1, s19, s1
	v_mov_b32_e32 v4, s1
	v_add_co_u32_e32 v5, vcc, s0, v0
	v_addc_co_u32_e32 v4, vcc, v4, v1, vcc
	v_lshlrev_b64 v[0:1], 3, v[2:3]
	v_add_co_u32_e32 v0, vcc, v5, v0
	v_addc_co_u32_e32 v1, vcc, v4, v1, vcc
	global_load_dwordx2 v[2:3], v[0:1], off
	s_waitcnt vmcnt(0)
	v_mul_f64 v[2:3], s[16:17], v[2:3]
	v_fma_f64 v[2:3], s[14:15], v[10:11], v[2:3]
	global_store_dwordx2 v[0:1], v[2:3], off
.LBB1060_10:
	s_endpgm
	.section	.rodata,"a",@progbits
	.p2align	6, 0x0
	.amdhsa_kernel _ZL32rocblas_syrkx_herkx_small_kernelIldLi16ELb0ELb0ELc84ELc85EKddEviT_T0_PT6_S1_lS4_S1_lS2_PT7_S1_li
		.amdhsa_group_segment_fixed_size 4096
		.amdhsa_private_segment_fixed_size 0
		.amdhsa_kernarg_size 108
		.amdhsa_user_sgpr_count 6
		.amdhsa_user_sgpr_private_segment_buffer 1
		.amdhsa_user_sgpr_dispatch_ptr 0
		.amdhsa_user_sgpr_queue_ptr 0
		.amdhsa_user_sgpr_kernarg_segment_ptr 1
		.amdhsa_user_sgpr_dispatch_id 0
		.amdhsa_user_sgpr_flat_scratch_init 0
		.amdhsa_user_sgpr_private_segment_size 0
		.amdhsa_uses_dynamic_stack 0
		.amdhsa_system_sgpr_private_segment_wavefront_offset 0
		.amdhsa_system_sgpr_workgroup_id_x 1
		.amdhsa_system_sgpr_workgroup_id_y 1
		.amdhsa_system_sgpr_workgroup_id_z 1
		.amdhsa_system_sgpr_workgroup_info 0
		.amdhsa_system_vgpr_workitem_id 1
		.amdhsa_next_free_vgpr 28
		.amdhsa_next_free_sgpr 28
		.amdhsa_reserve_vcc 1
		.amdhsa_reserve_flat_scratch 0
		.amdhsa_float_round_mode_32 0
		.amdhsa_float_round_mode_16_64 0
		.amdhsa_float_denorm_mode_32 3
		.amdhsa_float_denorm_mode_16_64 3
		.amdhsa_dx10_clamp 1
		.amdhsa_ieee_mode 1
		.amdhsa_fp16_overflow 0
		.amdhsa_exception_fp_ieee_invalid_op 0
		.amdhsa_exception_fp_denorm_src 0
		.amdhsa_exception_fp_ieee_div_zero 0
		.amdhsa_exception_fp_ieee_overflow 0
		.amdhsa_exception_fp_ieee_underflow 0
		.amdhsa_exception_fp_ieee_inexact 0
		.amdhsa_exception_int_div_zero 0
	.end_amdhsa_kernel
	.section	.text._ZL32rocblas_syrkx_herkx_small_kernelIldLi16ELb0ELb0ELc84ELc85EKddEviT_T0_PT6_S1_lS4_S1_lS2_PT7_S1_li,"axG",@progbits,_ZL32rocblas_syrkx_herkx_small_kernelIldLi16ELb0ELb0ELc84ELc85EKddEviT_T0_PT6_S1_lS4_S1_lS2_PT7_S1_li,comdat
.Lfunc_end1060:
	.size	_ZL32rocblas_syrkx_herkx_small_kernelIldLi16ELb0ELb0ELc84ELc85EKddEviT_T0_PT6_S1_lS4_S1_lS2_PT7_S1_li, .Lfunc_end1060-_ZL32rocblas_syrkx_herkx_small_kernelIldLi16ELb0ELb0ELc84ELc85EKddEviT_T0_PT6_S1_lS4_S1_lS2_PT7_S1_li
                                        ; -- End function
	.set _ZL32rocblas_syrkx_herkx_small_kernelIldLi16ELb0ELb0ELc84ELc85EKddEviT_T0_PT6_S1_lS4_S1_lS2_PT7_S1_li.num_vgpr, 28
	.set _ZL32rocblas_syrkx_herkx_small_kernelIldLi16ELb0ELb0ELc84ELc85EKddEviT_T0_PT6_S1_lS4_S1_lS2_PT7_S1_li.num_agpr, 0
	.set _ZL32rocblas_syrkx_herkx_small_kernelIldLi16ELb0ELb0ELc84ELc85EKddEviT_T0_PT6_S1_lS4_S1_lS2_PT7_S1_li.numbered_sgpr, 28
	.set _ZL32rocblas_syrkx_herkx_small_kernelIldLi16ELb0ELb0ELc84ELc85EKddEviT_T0_PT6_S1_lS4_S1_lS2_PT7_S1_li.num_named_barrier, 0
	.set _ZL32rocblas_syrkx_herkx_small_kernelIldLi16ELb0ELb0ELc84ELc85EKddEviT_T0_PT6_S1_lS4_S1_lS2_PT7_S1_li.private_seg_size, 0
	.set _ZL32rocblas_syrkx_herkx_small_kernelIldLi16ELb0ELb0ELc84ELc85EKddEviT_T0_PT6_S1_lS4_S1_lS2_PT7_S1_li.uses_vcc, 1
	.set _ZL32rocblas_syrkx_herkx_small_kernelIldLi16ELb0ELb0ELc84ELc85EKddEviT_T0_PT6_S1_lS4_S1_lS2_PT7_S1_li.uses_flat_scratch, 0
	.set _ZL32rocblas_syrkx_herkx_small_kernelIldLi16ELb0ELb0ELc84ELc85EKddEviT_T0_PT6_S1_lS4_S1_lS2_PT7_S1_li.has_dyn_sized_stack, 0
	.set _ZL32rocblas_syrkx_herkx_small_kernelIldLi16ELb0ELb0ELc84ELc85EKddEviT_T0_PT6_S1_lS4_S1_lS2_PT7_S1_li.has_recursion, 0
	.set _ZL32rocblas_syrkx_herkx_small_kernelIldLi16ELb0ELb0ELc84ELc85EKddEviT_T0_PT6_S1_lS4_S1_lS2_PT7_S1_li.has_indirect_call, 0
	.section	.AMDGPU.csdata,"",@progbits
; Kernel info:
; codeLenInByte = 964
; TotalNumSgprs: 32
; NumVgprs: 28
; ScratchSize: 0
; MemoryBound: 0
; FloatMode: 240
; IeeeMode: 1
; LDSByteSize: 4096 bytes/workgroup (compile time only)
; SGPRBlocks: 3
; VGPRBlocks: 6
; NumSGPRsForWavesPerEU: 32
; NumVGPRsForWavesPerEU: 28
; Occupancy: 9
; WaveLimiterHint : 0
; COMPUTE_PGM_RSRC2:SCRATCH_EN: 0
; COMPUTE_PGM_RSRC2:USER_SGPR: 6
; COMPUTE_PGM_RSRC2:TRAP_HANDLER: 0
; COMPUTE_PGM_RSRC2:TGID_X_EN: 1
; COMPUTE_PGM_RSRC2:TGID_Y_EN: 1
; COMPUTE_PGM_RSRC2:TGID_Z_EN: 1
; COMPUTE_PGM_RSRC2:TIDIG_COMP_CNT: 1
	.section	.text._ZL32rocblas_syrkx_herkx_small_kernelIldLi16ELb0ELb0ELc67ELc85EKddEviT_T0_PT6_S1_lS4_S1_lS2_PT7_S1_li,"axG",@progbits,_ZL32rocblas_syrkx_herkx_small_kernelIldLi16ELb0ELb0ELc67ELc85EKddEviT_T0_PT6_S1_lS4_S1_lS2_PT7_S1_li,comdat
	.globl	_ZL32rocblas_syrkx_herkx_small_kernelIldLi16ELb0ELb0ELc67ELc85EKddEviT_T0_PT6_S1_lS4_S1_lS2_PT7_S1_li ; -- Begin function _ZL32rocblas_syrkx_herkx_small_kernelIldLi16ELb0ELb0ELc67ELc85EKddEviT_T0_PT6_S1_lS4_S1_lS2_PT7_S1_li
	.p2align	8
	.type	_ZL32rocblas_syrkx_herkx_small_kernelIldLi16ELb0ELb0ELc67ELc85EKddEviT_T0_PT6_S1_lS4_S1_lS2_PT7_S1_li,@function
_ZL32rocblas_syrkx_herkx_small_kernelIldLi16ELb0ELb0ELc67ELc85EKddEviT_T0_PT6_S1_lS4_S1_lS2_PT7_S1_li: ; @_ZL32rocblas_syrkx_herkx_small_kernelIldLi16ELb0ELb0ELc67ELc85EKddEviT_T0_PT6_S1_lS4_S1_lS2_PT7_S1_li
; %bb.0:
	s_load_dwordx16 s[12:27], s[4:5], 0x8
	s_load_dword s9, s[4:5], 0x0
	v_lshl_add_u32 v2, s6, 4, v0
	v_lshl_add_u32 v14, s7, 4, v1
	v_ashrrev_i32_e32 v3, 31, v2
	s_waitcnt lgkmcnt(0)
	v_cmp_lt_i64_e64 s[0:1], s[12:13], 1
	v_ashrrev_i32_e32 v15, 31, v14
	s_and_b64 vcc, exec, s[0:1]
	v_cmp_gt_i32_e64 s[0:1], s9, v14
	s_cbranch_vccnz .LBB1061_7
; %bb.1:
	v_mul_lo_u32 v7, s25, v14
	v_mul_lo_u32 v8, s24, v15
	v_mad_u64_u32 v[4:5], s[6:7], s24, v14, 0
	s_mul_i32 s6, s27, s8
	s_mul_hi_u32 s7, s26, s8
	v_add3_u32 v5, v5, v8, v7
	v_lshlrev_b64 v[4:5], 3, v[4:5]
	s_add_i32 s7, s7, s6
	s_mul_i32 s6, s26, s8
	v_lshlrev_b32_e32 v6, 7, v1
	v_lshlrev_b32_e32 v16, 3, v0
	s_lshl_b64 s[6:7], s[6:7], 3
	v_add_u32_e32 v17, v16, v6
	v_add_u32_e32 v18, 0x800, v6
	v_mov_b32_e32 v6, s7
	v_add_co_u32_e32 v4, vcc, s6, v4
	v_addc_co_u32_e32 v5, vcc, v5, v6, vcc
	v_mul_lo_u32 v9, s19, v2
	v_mul_lo_u32 v10, s18, v3
	v_mad_u64_u32 v[6:7], s[6:7], s18, v2, 0
	v_add_co_u32_e32 v4, vcc, v4, v16
	v_addc_co_u32_e32 v5, vcc, 0, v5, vcc
	v_add3_u32 v7, v7, v10, v9
	s_mul_i32 s6, s21, s8
	s_mul_hi_u32 s7, s20, s8
	v_mov_b32_e32 v8, s23
	v_add_co_u32_e32 v4, vcc, s22, v4
	v_lshlrev_b64 v[6:7], 3, v[6:7]
	s_add_i32 s7, s7, s6
	s_mul_i32 s6, s20, s8
	v_addc_co_u32_e32 v5, vcc, v8, v5, vcc
	s_lshl_b64 s[6:7], s[6:7], 3
	v_mov_b32_e32 v8, s7
	v_add_co_u32_e32 v6, vcc, s6, v6
	v_addc_co_u32_e32 v7, vcc, v7, v8, vcc
	v_lshlrev_b32_e32 v8, 3, v1
	v_add_co_u32_e32 v6, vcc, v6, v8
	v_addc_co_u32_e32 v7, vcc, 0, v7, vcc
	v_mov_b32_e32 v8, s17
	v_add_co_u32_e32 v6, vcc, s16, v6
	v_addc_co_u32_e32 v7, vcc, v8, v7, vcc
	v_mov_b32_e32 v10, 0
	v_mov_b32_e32 v8, s12
	v_cmp_gt_i32_e64 s[2:3], s9, v2
	v_add_u32_e32 v19, v18, v16
	v_mov_b32_e32 v11, 0
	s_mov_b64 s[10:11], 0
	v_mov_b32_e32 v9, s13
	s_branch .LBB1061_3
.LBB1061_2:                             ;   in Loop: Header=BB1061_3 Depth=1
	s_or_b64 exec, exec, s[6:7]
	s_waitcnt vmcnt(0)
	ds_write_b64 v19, v[12:13]
	s_waitcnt lgkmcnt(0)
	s_barrier
	ds_read2_b64 v[20:23], v16 offset1:16
	ds_read_b128 v[24:27], v18
	s_add_u32 s10, s10, 16
	v_add_co_u32_e32 v4, vcc, 0x80, v4
	s_addc_u32 s11, s11, 0
	s_waitcnt lgkmcnt(0)
	v_fma_f64 v[10:11], v[20:21], v[24:25], v[10:11]
	v_addc_co_u32_e32 v5, vcc, 0, v5, vcc
	v_add_co_u32_e32 v6, vcc, 0x80, v6
	v_cmp_ge_i64_e64 s[6:7], s[10:11], v[8:9]
	v_addc_co_u32_e32 v7, vcc, 0, v7, vcc
	v_fma_f64 v[24:25], v[22:23], v[26:27], v[10:11]
	ds_read_b128 v[10:13], v18 offset:16
	ds_read2_b64 v[20:23], v16 offset0:32 offset1:48
	s_and_b64 vcc, exec, s[6:7]
	s_waitcnt lgkmcnt(0)
	v_fma_f64 v[10:11], v[20:21], v[10:11], v[24:25]
	v_fma_f64 v[24:25], v[22:23], v[12:13], v[10:11]
	ds_read2_b64 v[10:13], v16 offset0:64 offset1:80
	ds_read_b128 v[20:23], v18 offset:32
	s_waitcnt lgkmcnt(0)
	v_fma_f64 v[10:11], v[10:11], v[20:21], v[24:25]
	v_fma_f64 v[24:25], v[12:13], v[22:23], v[10:11]
	ds_read_b128 v[10:13], v18 offset:48
	ds_read2_b64 v[20:23], v16 offset0:96 offset1:112
	s_waitcnt lgkmcnt(0)
	v_fma_f64 v[10:11], v[20:21], v[10:11], v[24:25]
	v_fma_f64 v[24:25], v[22:23], v[12:13], v[10:11]
	ds_read2_b64 v[10:13], v16 offset0:128 offset1:144
	ds_read_b128 v[20:23], v18 offset:64
	s_waitcnt lgkmcnt(0)
	v_fma_f64 v[10:11], v[10:11], v[20:21], v[24:25]
	v_fma_f64 v[24:25], v[12:13], v[22:23], v[10:11]
	ds_read_b128 v[10:13], v18 offset:80
	ds_read2_b64 v[20:23], v16 offset0:160 offset1:176
	;; [unrolled: 10-line block ×3, first 2 shown]
	s_waitcnt lgkmcnt(0)
	s_barrier
	v_fma_f64 v[10:11], v[20:21], v[10:11], v[24:25]
	v_fma_f64 v[10:11], v[22:23], v[12:13], v[10:11]
	s_cbranch_vccnz .LBB1061_8
.LBB1061_3:                             ; =>This Inner Loop Header: Depth=1
	v_mov_b32_e32 v13, s11
	v_add_co_u32_e32 v12, vcc, s10, v1
	v_addc_co_u32_e32 v13, vcc, 0, v13, vcc
	v_cmp_gt_i64_e32 vcc, s[12:13], v[12:13]
	v_mov_b32_e32 v12, 0
	v_mov_b32_e32 v13, 0
	s_and_b64 s[16:17], s[2:3], vcc
	s_and_saveexec_b64 s[6:7], s[16:17]
	s_cbranch_execz .LBB1061_5
; %bb.4:                                ;   in Loop: Header=BB1061_3 Depth=1
	global_load_dwordx2 v[12:13], v[6:7], off
.LBB1061_5:                             ;   in Loop: Header=BB1061_3 Depth=1
	s_or_b64 exec, exec, s[6:7]
	s_waitcnt vmcnt(0)
	ds_write_b64 v17, v[12:13]
	v_mov_b32_e32 v13, s11
	v_add_co_u32_e32 v12, vcc, s10, v0
	v_addc_co_u32_e32 v13, vcc, 0, v13, vcc
	v_cmp_gt_i64_e32 vcc, s[12:13], v[12:13]
	v_mov_b32_e32 v12, 0
	v_mov_b32_e32 v13, 0
	s_and_b64 s[16:17], s[0:1], vcc
	s_and_saveexec_b64 s[6:7], s[16:17]
	s_cbranch_execz .LBB1061_2
; %bb.6:                                ;   in Loop: Header=BB1061_3 Depth=1
	global_load_dwordx2 v[12:13], v[4:5], off
	s_branch .LBB1061_2
.LBB1061_7:
	v_mov_b32_e32 v10, 0
	v_mov_b32_e32 v11, 0
.LBB1061_8:
	v_cmp_le_i32_e32 vcc, v2, v14
	v_cmp_gt_i32_e64 s[0:1], s9, v14
	s_and_b64 s[0:1], vcc, s[0:1]
	s_and_saveexec_b64 s[2:3], s[0:1]
	s_cbranch_execz .LBB1061_10
; %bb.9:
	s_load_dwordx8 s[16:23], s[4:5], 0x48
	s_waitcnt lgkmcnt(0)
	s_mul_i32 s1, s23, s8
	s_mul_hi_u32 s2, s22, s8
	v_mul_lo_u32 v4, s21, v14
	v_mul_lo_u32 v5, s20, v15
	s_add_i32 s1, s2, s1
	v_mad_u64_u32 v[0:1], s[2:3], s20, v14, 0
	s_mul_i32 s0, s22, s8
	s_lshl_b64 s[0:1], s[0:1], 3
	v_add3_u32 v1, v1, v5, v4
	s_add_u32 s0, s18, s0
	v_lshlrev_b64 v[0:1], 3, v[0:1]
	s_addc_u32 s1, s19, s1
	v_mov_b32_e32 v4, s1
	v_add_co_u32_e32 v5, vcc, s0, v0
	v_addc_co_u32_e32 v4, vcc, v4, v1, vcc
	v_lshlrev_b64 v[0:1], 3, v[2:3]
	v_add_co_u32_e32 v0, vcc, v5, v0
	v_addc_co_u32_e32 v1, vcc, v4, v1, vcc
	global_load_dwordx2 v[2:3], v[0:1], off
	s_waitcnt vmcnt(0)
	v_mul_f64 v[2:3], s[16:17], v[2:3]
	v_fma_f64 v[2:3], s[14:15], v[10:11], v[2:3]
	global_store_dwordx2 v[0:1], v[2:3], off
.LBB1061_10:
	s_endpgm
	.section	.rodata,"a",@progbits
	.p2align	6, 0x0
	.amdhsa_kernel _ZL32rocblas_syrkx_herkx_small_kernelIldLi16ELb0ELb0ELc67ELc85EKddEviT_T0_PT6_S1_lS4_S1_lS2_PT7_S1_li
		.amdhsa_group_segment_fixed_size 4096
		.amdhsa_private_segment_fixed_size 0
		.amdhsa_kernarg_size 108
		.amdhsa_user_sgpr_count 6
		.amdhsa_user_sgpr_private_segment_buffer 1
		.amdhsa_user_sgpr_dispatch_ptr 0
		.amdhsa_user_sgpr_queue_ptr 0
		.amdhsa_user_sgpr_kernarg_segment_ptr 1
		.amdhsa_user_sgpr_dispatch_id 0
		.amdhsa_user_sgpr_flat_scratch_init 0
		.amdhsa_user_sgpr_private_segment_size 0
		.amdhsa_uses_dynamic_stack 0
		.amdhsa_system_sgpr_private_segment_wavefront_offset 0
		.amdhsa_system_sgpr_workgroup_id_x 1
		.amdhsa_system_sgpr_workgroup_id_y 1
		.amdhsa_system_sgpr_workgroup_id_z 1
		.amdhsa_system_sgpr_workgroup_info 0
		.amdhsa_system_vgpr_workitem_id 1
		.amdhsa_next_free_vgpr 28
		.amdhsa_next_free_sgpr 28
		.amdhsa_reserve_vcc 1
		.amdhsa_reserve_flat_scratch 0
		.amdhsa_float_round_mode_32 0
		.amdhsa_float_round_mode_16_64 0
		.amdhsa_float_denorm_mode_32 3
		.amdhsa_float_denorm_mode_16_64 3
		.amdhsa_dx10_clamp 1
		.amdhsa_ieee_mode 1
		.amdhsa_fp16_overflow 0
		.amdhsa_exception_fp_ieee_invalid_op 0
		.amdhsa_exception_fp_denorm_src 0
		.amdhsa_exception_fp_ieee_div_zero 0
		.amdhsa_exception_fp_ieee_overflow 0
		.amdhsa_exception_fp_ieee_underflow 0
		.amdhsa_exception_fp_ieee_inexact 0
		.amdhsa_exception_int_div_zero 0
	.end_amdhsa_kernel
	.section	.text._ZL32rocblas_syrkx_herkx_small_kernelIldLi16ELb0ELb0ELc67ELc85EKddEviT_T0_PT6_S1_lS4_S1_lS2_PT7_S1_li,"axG",@progbits,_ZL32rocblas_syrkx_herkx_small_kernelIldLi16ELb0ELb0ELc67ELc85EKddEviT_T0_PT6_S1_lS4_S1_lS2_PT7_S1_li,comdat
.Lfunc_end1061:
	.size	_ZL32rocblas_syrkx_herkx_small_kernelIldLi16ELb0ELb0ELc67ELc85EKddEviT_T0_PT6_S1_lS4_S1_lS2_PT7_S1_li, .Lfunc_end1061-_ZL32rocblas_syrkx_herkx_small_kernelIldLi16ELb0ELb0ELc67ELc85EKddEviT_T0_PT6_S1_lS4_S1_lS2_PT7_S1_li
                                        ; -- End function
	.set _ZL32rocblas_syrkx_herkx_small_kernelIldLi16ELb0ELb0ELc67ELc85EKddEviT_T0_PT6_S1_lS4_S1_lS2_PT7_S1_li.num_vgpr, 28
	.set _ZL32rocblas_syrkx_herkx_small_kernelIldLi16ELb0ELb0ELc67ELc85EKddEviT_T0_PT6_S1_lS4_S1_lS2_PT7_S1_li.num_agpr, 0
	.set _ZL32rocblas_syrkx_herkx_small_kernelIldLi16ELb0ELb0ELc67ELc85EKddEviT_T0_PT6_S1_lS4_S1_lS2_PT7_S1_li.numbered_sgpr, 28
	.set _ZL32rocblas_syrkx_herkx_small_kernelIldLi16ELb0ELb0ELc67ELc85EKddEviT_T0_PT6_S1_lS4_S1_lS2_PT7_S1_li.num_named_barrier, 0
	.set _ZL32rocblas_syrkx_herkx_small_kernelIldLi16ELb0ELb0ELc67ELc85EKddEviT_T0_PT6_S1_lS4_S1_lS2_PT7_S1_li.private_seg_size, 0
	.set _ZL32rocblas_syrkx_herkx_small_kernelIldLi16ELb0ELb0ELc67ELc85EKddEviT_T0_PT6_S1_lS4_S1_lS2_PT7_S1_li.uses_vcc, 1
	.set _ZL32rocblas_syrkx_herkx_small_kernelIldLi16ELb0ELb0ELc67ELc85EKddEviT_T0_PT6_S1_lS4_S1_lS2_PT7_S1_li.uses_flat_scratch, 0
	.set _ZL32rocblas_syrkx_herkx_small_kernelIldLi16ELb0ELb0ELc67ELc85EKddEviT_T0_PT6_S1_lS4_S1_lS2_PT7_S1_li.has_dyn_sized_stack, 0
	.set _ZL32rocblas_syrkx_herkx_small_kernelIldLi16ELb0ELb0ELc67ELc85EKddEviT_T0_PT6_S1_lS4_S1_lS2_PT7_S1_li.has_recursion, 0
	.set _ZL32rocblas_syrkx_herkx_small_kernelIldLi16ELb0ELb0ELc67ELc85EKddEviT_T0_PT6_S1_lS4_S1_lS2_PT7_S1_li.has_indirect_call, 0
	.section	.AMDGPU.csdata,"",@progbits
; Kernel info:
; codeLenInByte = 964
; TotalNumSgprs: 32
; NumVgprs: 28
; ScratchSize: 0
; MemoryBound: 0
; FloatMode: 240
; IeeeMode: 1
; LDSByteSize: 4096 bytes/workgroup (compile time only)
; SGPRBlocks: 3
; VGPRBlocks: 6
; NumSGPRsForWavesPerEU: 32
; NumVGPRsForWavesPerEU: 28
; Occupancy: 9
; WaveLimiterHint : 0
; COMPUTE_PGM_RSRC2:SCRATCH_EN: 0
; COMPUTE_PGM_RSRC2:USER_SGPR: 6
; COMPUTE_PGM_RSRC2:TRAP_HANDLER: 0
; COMPUTE_PGM_RSRC2:TGID_X_EN: 1
; COMPUTE_PGM_RSRC2:TGID_Y_EN: 1
; COMPUTE_PGM_RSRC2:TGID_Z_EN: 1
; COMPUTE_PGM_RSRC2:TIDIG_COMP_CNT: 1
	.section	.text._ZL32rocblas_syrkx_herkx_small_kernelIldLi16ELb0ELb0ELc78ELc85EKddEviT_T0_PT6_S1_lS4_S1_lS2_PT7_S1_li,"axG",@progbits,_ZL32rocblas_syrkx_herkx_small_kernelIldLi16ELb0ELb0ELc78ELc85EKddEviT_T0_PT6_S1_lS4_S1_lS2_PT7_S1_li,comdat
	.globl	_ZL32rocblas_syrkx_herkx_small_kernelIldLi16ELb0ELb0ELc78ELc85EKddEviT_T0_PT6_S1_lS4_S1_lS2_PT7_S1_li ; -- Begin function _ZL32rocblas_syrkx_herkx_small_kernelIldLi16ELb0ELb0ELc78ELc85EKddEviT_T0_PT6_S1_lS4_S1_lS2_PT7_S1_li
	.p2align	8
	.type	_ZL32rocblas_syrkx_herkx_small_kernelIldLi16ELb0ELb0ELc78ELc85EKddEviT_T0_PT6_S1_lS4_S1_lS2_PT7_S1_li,@function
_ZL32rocblas_syrkx_herkx_small_kernelIldLi16ELb0ELb0ELc78ELc85EKddEviT_T0_PT6_S1_lS4_S1_lS2_PT7_S1_li: ; @_ZL32rocblas_syrkx_herkx_small_kernelIldLi16ELb0ELb0ELc78ELc85EKddEviT_T0_PT6_S1_lS4_S1_lS2_PT7_S1_li
; %bb.0:
	s_load_dwordx16 s[12:27], s[4:5], 0x8
	s_load_dword s9, s[4:5], 0x0
	v_lshl_add_u32 v2, s6, 4, v0
	v_lshl_add_u32 v4, s7, 4, v1
	v_ashrrev_i32_e32 v3, 31, v2
	s_waitcnt lgkmcnt(0)
	v_cmp_lt_i64_e64 s[0:1], s[12:13], 1
	v_ashrrev_i32_e32 v5, 31, v4
	s_and_b64 vcc, exec, s[0:1]
	v_cmp_gt_i32_e64 s[0:1], s9, v4
	s_cbranch_vccnz .LBB1062_7
; %bb.1:
	v_lshlrev_b32_e32 v6, 7, v1
	v_lshlrev_b32_e32 v16, 3, v0
	v_add_u32_e32 v17, v16, v6
	v_add_u32_e32 v18, 0x800, v6
	v_mad_u64_u32 v[6:7], s[6:7], s24, v0, 0
	s_mul_i32 s10, s27, s8
	s_mul_hi_u32 s11, s26, s8
	v_mad_u64_u32 v[7:8], s[6:7], s25, v0, v[7:8]
	s_add_i32 s7, s11, s10
	s_mul_i32 s6, s26, s8
	v_lshlrev_b64 v[6:7], 3, v[6:7]
	s_lshl_b64 s[6:7], s[6:7], 3
	v_mov_b32_e32 v8, s7
	v_add_co_u32_e32 v9, vcc, s6, v6
	v_addc_co_u32_e32 v8, vcc, v8, v7, vcc
	v_lshlrev_b64 v[6:7], 3, v[4:5]
	s_mul_i32 s21, s21, s8
	v_add_co_u32_e32 v6, vcc, v9, v6
	v_addc_co_u32_e32 v7, vcc, v8, v7, vcc
	v_mov_b32_e32 v8, s23
	v_add_co_u32_e32 v6, vcc, s22, v6
	v_addc_co_u32_e32 v7, vcc, v8, v7, vcc
	v_mad_u64_u32 v[8:9], s[6:7], s18, v1, 0
	s_mul_hi_u32 s22, s20, s8
	s_lshl_b64 s[10:11], s[24:25], 7
	v_mad_u64_u32 v[9:10], s[6:7], s19, v1, v[9:10]
	s_add_i32 s7, s22, s21
	s_mul_i32 s6, s20, s8
	v_lshlrev_b64 v[8:9], 3, v[8:9]
	s_lshl_b64 s[6:7], s[6:7], 3
	v_mov_b32_e32 v10, s7
	v_add_co_u32_e32 v11, vcc, s6, v8
	v_addc_co_u32_e32 v10, vcc, v10, v9, vcc
	v_lshlrev_b64 v[8:9], 3, v[2:3]
	v_mov_b32_e32 v12, 0
	v_add_co_u32_e32 v8, vcc, v11, v8
	v_addc_co_u32_e32 v9, vcc, v10, v9, vcc
	v_mov_b32_e32 v10, s17
	v_add_co_u32_e32 v8, vcc, s16, v8
	v_addc_co_u32_e32 v9, vcc, v10, v9, vcc
	s_lshl_b64 s[16:17], s[18:19], 7
	v_mov_b32_e32 v10, s12
	v_cmp_gt_i32_e64 s[2:3], s9, v2
	v_add_u32_e32 v19, v18, v16
	v_mov_b32_e32 v13, 0
	s_mov_b64 s[18:19], 0
	v_mov_b32_e32 v20, s11
	v_mov_b32_e32 v21, s17
	;; [unrolled: 1-line block ×3, first 2 shown]
	s_branch .LBB1062_3
.LBB1062_2:                             ;   in Loop: Header=BB1062_3 Depth=1
	s_or_b64 exec, exec, s[6:7]
	s_waitcnt vmcnt(0)
	ds_write_b64 v19, v[14:15]
	s_waitcnt lgkmcnt(0)
	s_barrier
	ds_read2_b64 v[22:25], v16 offset1:16
	ds_read_b128 v[26:29], v18
	s_add_u32 s18, s18, 16
	v_add_co_u32_e32 v6, vcc, s10, v6
	v_addc_co_u32_e32 v7, vcc, v7, v20, vcc
	s_waitcnt lgkmcnt(0)
	v_fma_f64 v[12:13], v[22:23], v[26:27], v[12:13]
	s_addc_u32 s19, s19, 0
	v_cmp_ge_i64_e32 vcc, s[18:19], v[10:11]
	v_add_co_u32_e64 v8, s[6:7], s16, v8
	v_addc_co_u32_e64 v9, s[6:7], v9, v21, s[6:7]
	s_and_b64 vcc, exec, vcc
	v_fma_f64 v[26:27], v[24:25], v[28:29], v[12:13]
	ds_read_b128 v[12:15], v18 offset:16
	ds_read2_b64 v[22:25], v16 offset0:32 offset1:48
	s_waitcnt lgkmcnt(0)
	v_fma_f64 v[12:13], v[22:23], v[12:13], v[26:27]
	v_fma_f64 v[26:27], v[24:25], v[14:15], v[12:13]
	ds_read2_b64 v[12:15], v16 offset0:64 offset1:80
	ds_read_b128 v[22:25], v18 offset:32
	s_waitcnt lgkmcnt(0)
	v_fma_f64 v[12:13], v[12:13], v[22:23], v[26:27]
	v_fma_f64 v[26:27], v[14:15], v[24:25], v[12:13]
	ds_read_b128 v[12:15], v18 offset:48
	ds_read2_b64 v[22:25], v16 offset0:96 offset1:112
	s_waitcnt lgkmcnt(0)
	v_fma_f64 v[12:13], v[22:23], v[12:13], v[26:27]
	v_fma_f64 v[26:27], v[24:25], v[14:15], v[12:13]
	ds_read2_b64 v[12:15], v16 offset0:128 offset1:144
	ds_read_b128 v[22:25], v18 offset:64
	s_waitcnt lgkmcnt(0)
	v_fma_f64 v[12:13], v[12:13], v[22:23], v[26:27]
	;; [unrolled: 10-line block ×3, first 2 shown]
	v_fma_f64 v[26:27], v[14:15], v[24:25], v[12:13]
	ds_read_b128 v[12:15], v18 offset:112
	ds_read2_b64 v[22:25], v16 offset0:224 offset1:240
	s_waitcnt lgkmcnt(0)
	s_barrier
	v_fma_f64 v[12:13], v[22:23], v[12:13], v[26:27]
	v_fma_f64 v[12:13], v[24:25], v[14:15], v[12:13]
	s_cbranch_vccnz .LBB1062_8
.LBB1062_3:                             ; =>This Inner Loop Header: Depth=1
	v_mov_b32_e32 v15, s19
	v_add_co_u32_e32 v14, vcc, s18, v1
	v_addc_co_u32_e32 v15, vcc, 0, v15, vcc
	v_cmp_gt_i64_e32 vcc, s[12:13], v[14:15]
	v_mov_b32_e32 v14, 0
	v_mov_b32_e32 v15, 0
	s_and_b64 s[20:21], s[2:3], vcc
	s_and_saveexec_b64 s[6:7], s[20:21]
	s_cbranch_execz .LBB1062_5
; %bb.4:                                ;   in Loop: Header=BB1062_3 Depth=1
	global_load_dwordx2 v[14:15], v[8:9], off
.LBB1062_5:                             ;   in Loop: Header=BB1062_3 Depth=1
	s_or_b64 exec, exec, s[6:7]
	s_waitcnt vmcnt(0)
	ds_write_b64 v17, v[14:15]
	v_mov_b32_e32 v15, s19
	v_add_co_u32_e32 v14, vcc, s18, v0
	v_addc_co_u32_e32 v15, vcc, 0, v15, vcc
	v_cmp_gt_i64_e32 vcc, s[12:13], v[14:15]
	v_mov_b32_e32 v14, 0
	v_mov_b32_e32 v15, 0
	s_and_b64 s[20:21], s[0:1], vcc
	s_and_saveexec_b64 s[6:7], s[20:21]
	s_cbranch_execz .LBB1062_2
; %bb.6:                                ;   in Loop: Header=BB1062_3 Depth=1
	global_load_dwordx2 v[14:15], v[6:7], off
	s_branch .LBB1062_2
.LBB1062_7:
	v_mov_b32_e32 v12, 0
	v_mov_b32_e32 v13, 0
.LBB1062_8:
	v_cmp_le_i32_e32 vcc, v2, v4
	v_cmp_gt_i32_e64 s[0:1], s9, v4
	s_and_b64 s[0:1], vcc, s[0:1]
	s_and_saveexec_b64 s[2:3], s[0:1]
	s_cbranch_execz .LBB1062_10
; %bb.9:
	s_load_dwordx8 s[16:23], s[4:5], 0x48
	s_waitcnt lgkmcnt(0)
	s_mul_i32 s1, s23, s8
	s_mul_hi_u32 s2, s22, s8
	v_mul_lo_u32 v6, s21, v4
	v_mul_lo_u32 v5, s20, v5
	s_add_i32 s1, s2, s1
	v_mad_u64_u32 v[0:1], s[2:3], s20, v4, 0
	s_mul_i32 s0, s22, s8
	s_lshl_b64 s[0:1], s[0:1], 3
	v_add3_u32 v1, v1, v5, v6
	s_add_u32 s0, s18, s0
	v_lshlrev_b64 v[0:1], 3, v[0:1]
	s_addc_u32 s1, s19, s1
	v_mov_b32_e32 v4, s1
	v_add_co_u32_e32 v5, vcc, s0, v0
	v_addc_co_u32_e32 v4, vcc, v4, v1, vcc
	v_lshlrev_b64 v[0:1], 3, v[2:3]
	v_add_co_u32_e32 v0, vcc, v5, v0
	v_addc_co_u32_e32 v1, vcc, v4, v1, vcc
	global_load_dwordx2 v[2:3], v[0:1], off
	s_waitcnt vmcnt(0)
	v_mul_f64 v[2:3], s[16:17], v[2:3]
	v_fma_f64 v[2:3], s[14:15], v[12:13], v[2:3]
	global_store_dwordx2 v[0:1], v[2:3], off
.LBB1062_10:
	s_endpgm
	.section	.rodata,"a",@progbits
	.p2align	6, 0x0
	.amdhsa_kernel _ZL32rocblas_syrkx_herkx_small_kernelIldLi16ELb0ELb0ELc78ELc85EKddEviT_T0_PT6_S1_lS4_S1_lS2_PT7_S1_li
		.amdhsa_group_segment_fixed_size 4096
		.amdhsa_private_segment_fixed_size 0
		.amdhsa_kernarg_size 108
		.amdhsa_user_sgpr_count 6
		.amdhsa_user_sgpr_private_segment_buffer 1
		.amdhsa_user_sgpr_dispatch_ptr 0
		.amdhsa_user_sgpr_queue_ptr 0
		.amdhsa_user_sgpr_kernarg_segment_ptr 1
		.amdhsa_user_sgpr_dispatch_id 0
		.amdhsa_user_sgpr_flat_scratch_init 0
		.amdhsa_user_sgpr_private_segment_size 0
		.amdhsa_uses_dynamic_stack 0
		.amdhsa_system_sgpr_private_segment_wavefront_offset 0
		.amdhsa_system_sgpr_workgroup_id_x 1
		.amdhsa_system_sgpr_workgroup_id_y 1
		.amdhsa_system_sgpr_workgroup_id_z 1
		.amdhsa_system_sgpr_workgroup_info 0
		.amdhsa_system_vgpr_workitem_id 1
		.amdhsa_next_free_vgpr 30
		.amdhsa_next_free_sgpr 28
		.amdhsa_reserve_vcc 1
		.amdhsa_reserve_flat_scratch 0
		.amdhsa_float_round_mode_32 0
		.amdhsa_float_round_mode_16_64 0
		.amdhsa_float_denorm_mode_32 3
		.amdhsa_float_denorm_mode_16_64 3
		.amdhsa_dx10_clamp 1
		.amdhsa_ieee_mode 1
		.amdhsa_fp16_overflow 0
		.amdhsa_exception_fp_ieee_invalid_op 0
		.amdhsa_exception_fp_denorm_src 0
		.amdhsa_exception_fp_ieee_div_zero 0
		.amdhsa_exception_fp_ieee_overflow 0
		.amdhsa_exception_fp_ieee_underflow 0
		.amdhsa_exception_fp_ieee_inexact 0
		.amdhsa_exception_int_div_zero 0
	.end_amdhsa_kernel
	.section	.text._ZL32rocblas_syrkx_herkx_small_kernelIldLi16ELb0ELb0ELc78ELc85EKddEviT_T0_PT6_S1_lS4_S1_lS2_PT7_S1_li,"axG",@progbits,_ZL32rocblas_syrkx_herkx_small_kernelIldLi16ELb0ELb0ELc78ELc85EKddEviT_T0_PT6_S1_lS4_S1_lS2_PT7_S1_li,comdat
.Lfunc_end1062:
	.size	_ZL32rocblas_syrkx_herkx_small_kernelIldLi16ELb0ELb0ELc78ELc85EKddEviT_T0_PT6_S1_lS4_S1_lS2_PT7_S1_li, .Lfunc_end1062-_ZL32rocblas_syrkx_herkx_small_kernelIldLi16ELb0ELb0ELc78ELc85EKddEviT_T0_PT6_S1_lS4_S1_lS2_PT7_S1_li
                                        ; -- End function
	.set _ZL32rocblas_syrkx_herkx_small_kernelIldLi16ELb0ELb0ELc78ELc85EKddEviT_T0_PT6_S1_lS4_S1_lS2_PT7_S1_li.num_vgpr, 30
	.set _ZL32rocblas_syrkx_herkx_small_kernelIldLi16ELb0ELb0ELc78ELc85EKddEviT_T0_PT6_S1_lS4_S1_lS2_PT7_S1_li.num_agpr, 0
	.set _ZL32rocblas_syrkx_herkx_small_kernelIldLi16ELb0ELb0ELc78ELc85EKddEviT_T0_PT6_S1_lS4_S1_lS2_PT7_S1_li.numbered_sgpr, 28
	.set _ZL32rocblas_syrkx_herkx_small_kernelIldLi16ELb0ELb0ELc78ELc85EKddEviT_T0_PT6_S1_lS4_S1_lS2_PT7_S1_li.num_named_barrier, 0
	.set _ZL32rocblas_syrkx_herkx_small_kernelIldLi16ELb0ELb0ELc78ELc85EKddEviT_T0_PT6_S1_lS4_S1_lS2_PT7_S1_li.private_seg_size, 0
	.set _ZL32rocblas_syrkx_herkx_small_kernelIldLi16ELb0ELb0ELc78ELc85EKddEviT_T0_PT6_S1_lS4_S1_lS2_PT7_S1_li.uses_vcc, 1
	.set _ZL32rocblas_syrkx_herkx_small_kernelIldLi16ELb0ELb0ELc78ELc85EKddEviT_T0_PT6_S1_lS4_S1_lS2_PT7_S1_li.uses_flat_scratch, 0
	.set _ZL32rocblas_syrkx_herkx_small_kernelIldLi16ELb0ELb0ELc78ELc85EKddEviT_T0_PT6_S1_lS4_S1_lS2_PT7_S1_li.has_dyn_sized_stack, 0
	.set _ZL32rocblas_syrkx_herkx_small_kernelIldLi16ELb0ELb0ELc78ELc85EKddEviT_T0_PT6_S1_lS4_S1_lS2_PT7_S1_li.has_recursion, 0
	.set _ZL32rocblas_syrkx_herkx_small_kernelIldLi16ELb0ELb0ELc78ELc85EKddEviT_T0_PT6_S1_lS4_S1_lS2_PT7_S1_li.has_indirect_call, 0
	.section	.AMDGPU.csdata,"",@progbits
; Kernel info:
; codeLenInByte = 956
; TotalNumSgprs: 32
; NumVgprs: 30
; ScratchSize: 0
; MemoryBound: 0
; FloatMode: 240
; IeeeMode: 1
; LDSByteSize: 4096 bytes/workgroup (compile time only)
; SGPRBlocks: 3
; VGPRBlocks: 7
; NumSGPRsForWavesPerEU: 32
; NumVGPRsForWavesPerEU: 30
; Occupancy: 8
; WaveLimiterHint : 0
; COMPUTE_PGM_RSRC2:SCRATCH_EN: 0
; COMPUTE_PGM_RSRC2:USER_SGPR: 6
; COMPUTE_PGM_RSRC2:TRAP_HANDLER: 0
; COMPUTE_PGM_RSRC2:TGID_X_EN: 1
; COMPUTE_PGM_RSRC2:TGID_Y_EN: 1
; COMPUTE_PGM_RSRC2:TGID_Z_EN: 1
; COMPUTE_PGM_RSRC2:TIDIG_COMP_CNT: 1
	.section	.text._ZL34rocblas_syrkx_herkx_general_kernelIldLi16ELi32ELi8ELb1ELb0ELc84ELc76EKddEviT_T0_PT8_S1_lS4_S1_lS2_PT9_S1_li,"axG",@progbits,_ZL34rocblas_syrkx_herkx_general_kernelIldLi16ELi32ELi8ELb1ELb0ELc84ELc76EKddEviT_T0_PT8_S1_lS4_S1_lS2_PT9_S1_li,comdat
	.globl	_ZL34rocblas_syrkx_herkx_general_kernelIldLi16ELi32ELi8ELb1ELb0ELc84ELc76EKddEviT_T0_PT8_S1_lS4_S1_lS2_PT9_S1_li ; -- Begin function _ZL34rocblas_syrkx_herkx_general_kernelIldLi16ELi32ELi8ELb1ELb0ELc84ELc76EKddEviT_T0_PT8_S1_lS4_S1_lS2_PT9_S1_li
	.p2align	8
	.type	_ZL34rocblas_syrkx_herkx_general_kernelIldLi16ELi32ELi8ELb1ELb0ELc84ELc76EKddEviT_T0_PT8_S1_lS4_S1_lS2_PT9_S1_li,@function
_ZL34rocblas_syrkx_herkx_general_kernelIldLi16ELi32ELi8ELb1ELb0ELc84ELc76EKddEviT_T0_PT8_S1_lS4_S1_lS2_PT9_S1_li: ; @_ZL34rocblas_syrkx_herkx_general_kernelIldLi16ELi32ELi8ELb1ELb0ELc84ELc76EKddEviT_T0_PT8_S1_lS4_S1_lS2_PT9_S1_li
; %bb.0:
	s_load_dwordx16 s[12:27], s[4:5], 0x8
	s_load_dword s9, s[4:5], 0x0
	s_lshl_b32 s28, s6, 5
	s_lshl_b32 s29, s7, 5
	s_waitcnt lgkmcnt(0)
	v_cmp_lt_i64_e64 s[0:1], s[12:13], 1
	s_and_b64 vcc, exec, s[0:1]
	s_cbranch_vccnz .LBB1063_7
; %bb.1:
	v_lshl_add_u32 v2, v1, 4, v0
	v_and_b32_e32 v5, 31, v2
	v_or_b32_e32 v6, s28, v5
	v_and_b32_e32 v19, 7, v0
	v_lshrrev_b32_e32 v3, 3, v2
	v_lshrrev_b32_e32 v18, 5, v2
	v_cmp_gt_i32_e64 s[0:1], s9, v6
	v_lshlrev_b32_e32 v2, 3, v5
	v_lshlrev_b32_e32 v6, 3, v19
	v_lshl_or_b32 v20, v18, 8, v2
	v_lshl_or_b32 v2, v3, 6, v6
	v_add_u32_e32 v21, 0x800, v2
	v_add_u32_e32 v2, s28, v5
	;; [unrolled: 1-line block ×3, first 2 shown]
	v_ashrrev_i32_e32 v3, 31, v2
	v_mul_lo_u32 v5, s18, v3
	v_mul_lo_u32 v8, s19, v2
	v_mad_u64_u32 v[2:3], s[6:7], s18, v2, 0
	s_mul_i32 s6, s21, s8
	s_mul_hi_u32 s7, s20, s8
	v_add3_u32 v3, v3, v5, v8
	v_lshlrev_b64 v[2:3], 3, v[2:3]
	s_add_i32 s7, s7, s6
	s_mul_i32 s6, s20, s8
	s_lshl_b64 s[6:7], s[6:7], 3
	v_mov_b32_e32 v5, s7
	v_add_co_u32_e32 v2, vcc, s6, v2
	v_ashrrev_i32_e32 v7, 31, v4
	v_mov_b32_e32 v9, 0x800
	v_addc_co_u32_e32 v3, vcc, v3, v5, vcc
	v_lshlrev_b32_e32 v5, 3, v18
	v_cmp_gt_i32_e64 s[2:3], s9, v4
	v_lshl_add_u32 v23, v1, 6, v9
	v_add_co_u32_e32 v2, vcc, v2, v5
	v_mul_lo_u32 v7, s24, v7
	v_mul_lo_u32 v9, s25, v4
	v_mad_u64_u32 v[4:5], s[6:7], s24, v4, 0
	v_addc_co_u32_e32 v3, vcc, 0, v3, vcc
	v_add3_u32 v5, v5, v7, v9
	s_mul_i32 s6, s27, s8
	s_mul_hi_u32 s7, s26, s8
	v_mov_b32_e32 v8, s17
	v_add_co_u32_e32 v2, vcc, s16, v2
	v_lshlrev_b64 v[4:5], 3, v[4:5]
	s_add_i32 s7, s7, s6
	s_mul_i32 s6, s26, s8
	v_addc_co_u32_e32 v3, vcc, v8, v3, vcc
	s_lshl_b64 s[6:7], s[6:7], 3
	v_mov_b32_e32 v7, s7
	v_add_co_u32_e32 v4, vcc, s6, v4
	v_addc_co_u32_e32 v5, vcc, v5, v7, vcc
	v_add_co_u32_e32 v4, vcc, v4, v6
	v_addc_co_u32_e32 v5, vcc, 0, v5, vcc
	v_mov_b32_e32 v6, s23
	v_add_co_u32_e32 v4, vcc, s22, v4
	v_addc_co_u32_e32 v5, vcc, v6, v5, vcc
	v_mov_b32_e32 v8, 0
	v_mov_b32_e32 v10, 0
	;; [unrolled: 1-line block ×5, first 2 shown]
	v_lshlrev_b32_e32 v22, 3, v0
	s_mov_b64 s[10:11], 0
	v_mov_b32_e32 v9, 0
	v_mov_b32_e32 v11, 0
	;; [unrolled: 1-line block ×5, first 2 shown]
	s_branch .LBB1063_3
.LBB1063_2:                             ;   in Loop: Header=BB1063_3 Depth=1
	s_or_b64 exec, exec, s[6:7]
	s_waitcnt vmcnt(0)
	ds_write_b64 v21, v[16:17]
	s_waitcnt lgkmcnt(0)
	s_barrier
	ds_read2_b64 v[24:27], v22 offset1:16
	ds_read_b128 v[28:31], v23
	ds_read_b128 v[32:35], v23 offset:1024
	s_add_u32 s10, s10, 8
	v_add_co_u32_e32 v2, vcc, 64, v2
	s_waitcnt lgkmcnt(1)
	v_fma_f64 v[14:15], v[24:25], v[28:29], v[14:15]
	v_fma_f64 v[12:13], v[26:27], v[28:29], v[12:13]
	s_waitcnt lgkmcnt(0)
	v_fma_f64 v[16:17], v[24:25], v[32:33], v[10:11]
	v_fma_f64 v[24:25], v[26:27], v[32:33], v[8:9]
	ds_read2_b64 v[8:11], v22 offset0:32 offset1:48
	v_addc_co_u32_e32 v3, vcc, 0, v3, vcc
	s_addc_u32 s11, s11, 0
	v_cmp_ge_i64_e32 vcc, s[10:11], v[6:7]
	s_waitcnt lgkmcnt(0)
	v_fma_f64 v[28:29], v[8:9], v[30:31], v[14:15]
	v_fma_f64 v[30:31], v[10:11], v[30:31], v[12:13]
	;; [unrolled: 1-line block ×4, first 2 shown]
	ds_read_b128 v[12:15], v23 offset:16
	ds_read2_b64 v[8:11], v22 offset0:64 offset1:80
	ds_read_b128 v[24:27], v23 offset:1040
	v_add_co_u32_e64 v4, s[6:7], 64, v4
	v_addc_co_u32_e64 v5, s[6:7], 0, v5, s[6:7]
	s_waitcnt lgkmcnt(1)
	v_fma_f64 v[28:29], v[8:9], v[12:13], v[28:29]
	v_fma_f64 v[12:13], v[10:11], v[12:13], v[30:31]
	s_waitcnt lgkmcnt(0)
	v_fma_f64 v[16:17], v[8:9], v[24:25], v[16:17]
	v_fma_f64 v[24:25], v[10:11], v[24:25], v[32:33]
	ds_read2_b64 v[8:11], v22 offset0:96 offset1:112
	s_and_b64 vcc, exec, vcc
	s_waitcnt lgkmcnt(0)
	v_fma_f64 v[28:29], v[8:9], v[14:15], v[28:29]
	v_fma_f64 v[30:31], v[10:11], v[14:15], v[12:13]
	;; [unrolled: 1-line block ×4, first 2 shown]
	ds_read2_b64 v[12:15], v22 offset0:128 offset1:144
	ds_read_b128 v[8:11], v23 offset:32
	ds_read_b128 v[24:27], v23 offset:1056
	s_waitcnt lgkmcnt(1)
	v_fma_f64 v[28:29], v[12:13], v[8:9], v[28:29]
	v_fma_f64 v[8:9], v[14:15], v[8:9], v[30:31]
	s_waitcnt lgkmcnt(0)
	v_fma_f64 v[16:17], v[12:13], v[24:25], v[16:17]
	v_fma_f64 v[24:25], v[14:15], v[24:25], v[32:33]
	ds_read2_b64 v[12:15], v22 offset0:160 offset1:176
	s_waitcnt lgkmcnt(0)
	v_fma_f64 v[28:29], v[12:13], v[10:11], v[28:29]
	v_fma_f64 v[30:31], v[14:15], v[10:11], v[8:9]
	;; [unrolled: 1-line block ×4, first 2 shown]
	ds_read_b128 v[8:11], v23 offset:48
	ds_read2_b64 v[12:15], v22 offset0:192 offset1:208
	ds_read_b128 v[24:27], v23 offset:1072
	s_waitcnt lgkmcnt(1)
	v_fma_f64 v[34:35], v[12:13], v[8:9], v[28:29]
	v_fma_f64 v[8:9], v[14:15], v[8:9], v[30:31]
	s_waitcnt lgkmcnt(0)
	v_fma_f64 v[16:17], v[12:13], v[24:25], v[16:17]
	v_fma_f64 v[24:25], v[14:15], v[24:25], v[32:33]
	ds_read2_b64 v[28:31], v22 offset0:224 offset1:240
	s_waitcnt lgkmcnt(0)
	s_barrier
	v_fma_f64 v[14:15], v[28:29], v[10:11], v[34:35]
	v_fma_f64 v[12:13], v[30:31], v[10:11], v[8:9]
	;; [unrolled: 1-line block ×4, first 2 shown]
	s_cbranch_vccnz .LBB1063_8
.LBB1063_3:                             ; =>This Inner Loop Header: Depth=1
	v_mov_b32_e32 v17, s11
	v_add_co_u32_e32 v16, vcc, s10, v18
	v_addc_co_u32_e32 v17, vcc, 0, v17, vcc
	v_cmp_gt_i64_e32 vcc, s[12:13], v[16:17]
	v_mov_b32_e32 v16, 0
	v_mov_b32_e32 v17, 0
	s_and_b64 s[16:17], s[0:1], vcc
	s_and_saveexec_b64 s[6:7], s[16:17]
	s_cbranch_execz .LBB1063_5
; %bb.4:                                ;   in Loop: Header=BB1063_3 Depth=1
	global_load_dwordx2 v[16:17], v[2:3], off
.LBB1063_5:                             ;   in Loop: Header=BB1063_3 Depth=1
	s_or_b64 exec, exec, s[6:7]
	s_waitcnt vmcnt(0)
	ds_write_b64 v20, v[16:17]
	v_mov_b32_e32 v17, s11
	v_add_co_u32_e32 v16, vcc, s10, v19
	v_addc_co_u32_e32 v17, vcc, 0, v17, vcc
	v_cmp_gt_i64_e32 vcc, s[12:13], v[16:17]
	v_mov_b32_e32 v16, 0
	v_mov_b32_e32 v17, 0
	s_and_b64 s[16:17], vcc, s[2:3]
	s_and_saveexec_b64 s[6:7], s[16:17]
	s_cbranch_execz .LBB1063_2
; %bb.6:                                ;   in Loop: Header=BB1063_3 Depth=1
	global_load_dwordx2 v[16:17], v[4:5], off
	s_branch .LBB1063_2
.LBB1063_7:
	v_mov_b32_e32 v14, 0
	v_mov_b32_e32 v12, 0
	;; [unrolled: 1-line block ×8, first 2 shown]
.LBB1063_8:
	s_load_dwordx2 s[0:1], s[4:5], 0x60
	s_load_dwordx4 s[16:19], s[4:5], 0x50
	v_add_u32_e32 v4, s29, v1
	v_ashrrev_i32_e32 v1, 31, v4
	v_add_u32_e32 v0, s28, v0
	s_waitcnt lgkmcnt(0)
	s_mul_i32 s1, s1, s8
	s_mul_hi_u32 s2, s0, s8
	s_add_i32 s1, s2, s1
	v_mul_lo_u32 v3, s18, v1
	v_mul_lo_u32 v5, s19, v4
	v_mad_u64_u32 v[1:2], s[2:3], s18, v4, 0
	s_mul_i32 s0, s0, s8
	s_lshl_b64 s[0:1], s[0:1], 3
	v_add3_u32 v2, v2, v3, v5
	s_add_u32 s6, s16, s0
	v_lshlrev_b64 v[1:2], 3, v[1:2]
	s_addc_u32 s7, s17, s1
	v_mov_b32_e32 v3, s7
	v_add_co_u32_e32 v5, vcc, s6, v1
	v_addc_co_u32_e32 v6, vcc, v3, v2, vcc
	v_cmp_le_i32_e64 s[0:1], v4, v0
	v_cmp_gt_i32_e32 vcc, s9, v0
	s_and_b64 s[0:1], s[0:1], vcc
	s_and_saveexec_b64 s[2:3], s[0:1]
	s_cbranch_execz .LBB1063_10
; %bb.9:
	v_mul_f64 v[2:3], s[14:15], v[14:15]
	v_ashrrev_i32_e32 v1, 31, v0
	v_lshlrev_b64 v[14:15], 3, v[0:1]
	v_add_co_u32_e64 v14, s[0:1], v5, v14
	v_addc_co_u32_e64 v15, s[0:1], v6, v15, s[0:1]
	global_store_dwordx2 v[14:15], v[2:3], off
.LBB1063_10:
	s_or_b64 exec, exec, s[2:3]
	v_add_u32_e32 v2, 16, v0
	v_cmp_le_i32_e64 s[2:3], v4, v2
	v_cmp_gt_i32_e64 s[0:1], s9, v2
	s_and_b64 s[2:3], s[2:3], s[0:1]
	s_and_saveexec_b64 s[4:5], s[2:3]
	s_cbranch_execz .LBB1063_12
; %bb.11:
	v_mul_f64 v[12:13], s[14:15], v[12:13]
	v_ashrrev_i32_e32 v3, 31, v2
	v_lshlrev_b64 v[14:15], 3, v[2:3]
	v_add_co_u32_e64 v5, s[2:3], v5, v14
	v_addc_co_u32_e64 v6, s[2:3], v6, v15, s[2:3]
	global_store_dwordx2 v[5:6], v[12:13], off
.LBB1063_12:
	s_or_b64 exec, exec, s[4:5]
	v_add_u32_e32 v3, 16, v4
	v_ashrrev_i32_e32 v1, 31, v3
	v_mul_lo_u32 v6, s19, v3
	v_mad_u64_u32 v[4:5], s[2:3], s18, v3, 0
	v_mul_lo_u32 v1, s18, v1
	v_add3_u32 v5, v5, v1, v6
	v_lshlrev_b64 v[4:5], 3, v[4:5]
	v_mov_b32_e32 v1, s7
	v_add_co_u32_e64 v4, s[2:3], s6, v4
	v_addc_co_u32_e64 v5, s[2:3], v1, v5, s[2:3]
	v_cmp_le_i32_e64 s[2:3], v3, v0
	s_and_b64 s[4:5], s[2:3], vcc
	s_and_saveexec_b64 s[2:3], s[4:5]
	s_cbranch_execz .LBB1063_14
; %bb.13:
	v_mul_f64 v[6:7], s[14:15], v[10:11]
	v_ashrrev_i32_e32 v1, 31, v0
	v_lshlrev_b64 v[0:1], 3, v[0:1]
	v_add_co_u32_e32 v0, vcc, v4, v0
	v_addc_co_u32_e32 v1, vcc, v5, v1, vcc
	global_store_dwordx2 v[0:1], v[6:7], off
.LBB1063_14:
	s_or_b64 exec, exec, s[2:3]
	v_cmp_le_i32_e32 vcc, v3, v2
	s_and_b64 s[0:1], vcc, s[0:1]
	s_and_saveexec_b64 s[2:3], s[0:1]
	s_cbranch_execz .LBB1063_16
; %bb.15:
	v_mul_f64 v[0:1], s[14:15], v[8:9]
	v_ashrrev_i32_e32 v3, 31, v2
	v_lshlrev_b64 v[2:3], 3, v[2:3]
	v_add_co_u32_e32 v2, vcc, v4, v2
	v_addc_co_u32_e32 v3, vcc, v5, v3, vcc
	global_store_dwordx2 v[2:3], v[0:1], off
.LBB1063_16:
	s_endpgm
	.section	.rodata,"a",@progbits
	.p2align	6, 0x0
	.amdhsa_kernel _ZL34rocblas_syrkx_herkx_general_kernelIldLi16ELi32ELi8ELb1ELb0ELc84ELc76EKddEviT_T0_PT8_S1_lS4_S1_lS2_PT9_S1_li
		.amdhsa_group_segment_fixed_size 4096
		.amdhsa_private_segment_fixed_size 0
		.amdhsa_kernarg_size 108
		.amdhsa_user_sgpr_count 6
		.amdhsa_user_sgpr_private_segment_buffer 1
		.amdhsa_user_sgpr_dispatch_ptr 0
		.amdhsa_user_sgpr_queue_ptr 0
		.amdhsa_user_sgpr_kernarg_segment_ptr 1
		.amdhsa_user_sgpr_dispatch_id 0
		.amdhsa_user_sgpr_flat_scratch_init 0
		.amdhsa_user_sgpr_private_segment_size 0
		.amdhsa_uses_dynamic_stack 0
		.amdhsa_system_sgpr_private_segment_wavefront_offset 0
		.amdhsa_system_sgpr_workgroup_id_x 1
		.amdhsa_system_sgpr_workgroup_id_y 1
		.amdhsa_system_sgpr_workgroup_id_z 1
		.amdhsa_system_sgpr_workgroup_info 0
		.amdhsa_system_vgpr_workitem_id 1
		.amdhsa_next_free_vgpr 36
		.amdhsa_next_free_sgpr 30
		.amdhsa_reserve_vcc 1
		.amdhsa_reserve_flat_scratch 0
		.amdhsa_float_round_mode_32 0
		.amdhsa_float_round_mode_16_64 0
		.amdhsa_float_denorm_mode_32 3
		.amdhsa_float_denorm_mode_16_64 3
		.amdhsa_dx10_clamp 1
		.amdhsa_ieee_mode 1
		.amdhsa_fp16_overflow 0
		.amdhsa_exception_fp_ieee_invalid_op 0
		.amdhsa_exception_fp_denorm_src 0
		.amdhsa_exception_fp_ieee_div_zero 0
		.amdhsa_exception_fp_ieee_overflow 0
		.amdhsa_exception_fp_ieee_underflow 0
		.amdhsa_exception_fp_ieee_inexact 0
		.amdhsa_exception_int_div_zero 0
	.end_amdhsa_kernel
	.section	.text._ZL34rocblas_syrkx_herkx_general_kernelIldLi16ELi32ELi8ELb1ELb0ELc84ELc76EKddEviT_T0_PT8_S1_lS4_S1_lS2_PT9_S1_li,"axG",@progbits,_ZL34rocblas_syrkx_herkx_general_kernelIldLi16ELi32ELi8ELb1ELb0ELc84ELc76EKddEviT_T0_PT8_S1_lS4_S1_lS2_PT9_S1_li,comdat
.Lfunc_end1063:
	.size	_ZL34rocblas_syrkx_herkx_general_kernelIldLi16ELi32ELi8ELb1ELb0ELc84ELc76EKddEviT_T0_PT8_S1_lS4_S1_lS2_PT9_S1_li, .Lfunc_end1063-_ZL34rocblas_syrkx_herkx_general_kernelIldLi16ELi32ELi8ELb1ELb0ELc84ELc76EKddEviT_T0_PT8_S1_lS4_S1_lS2_PT9_S1_li
                                        ; -- End function
	.set _ZL34rocblas_syrkx_herkx_general_kernelIldLi16ELi32ELi8ELb1ELb0ELc84ELc76EKddEviT_T0_PT8_S1_lS4_S1_lS2_PT9_S1_li.num_vgpr, 36
	.set _ZL34rocblas_syrkx_herkx_general_kernelIldLi16ELi32ELi8ELb1ELb0ELc84ELc76EKddEviT_T0_PT8_S1_lS4_S1_lS2_PT9_S1_li.num_agpr, 0
	.set _ZL34rocblas_syrkx_herkx_general_kernelIldLi16ELi32ELi8ELb1ELb0ELc84ELc76EKddEviT_T0_PT8_S1_lS4_S1_lS2_PT9_S1_li.numbered_sgpr, 30
	.set _ZL34rocblas_syrkx_herkx_general_kernelIldLi16ELi32ELi8ELb1ELb0ELc84ELc76EKddEviT_T0_PT8_S1_lS4_S1_lS2_PT9_S1_li.num_named_barrier, 0
	.set _ZL34rocblas_syrkx_herkx_general_kernelIldLi16ELi32ELi8ELb1ELb0ELc84ELc76EKddEviT_T0_PT8_S1_lS4_S1_lS2_PT9_S1_li.private_seg_size, 0
	.set _ZL34rocblas_syrkx_herkx_general_kernelIldLi16ELi32ELi8ELb1ELb0ELc84ELc76EKddEviT_T0_PT8_S1_lS4_S1_lS2_PT9_S1_li.uses_vcc, 1
	.set _ZL34rocblas_syrkx_herkx_general_kernelIldLi16ELi32ELi8ELb1ELb0ELc84ELc76EKddEviT_T0_PT8_S1_lS4_S1_lS2_PT9_S1_li.uses_flat_scratch, 0
	.set _ZL34rocblas_syrkx_herkx_general_kernelIldLi16ELi32ELi8ELb1ELb0ELc84ELc76EKddEviT_T0_PT8_S1_lS4_S1_lS2_PT9_S1_li.has_dyn_sized_stack, 0
	.set _ZL34rocblas_syrkx_herkx_general_kernelIldLi16ELi32ELi8ELb1ELb0ELc84ELc76EKddEviT_T0_PT8_S1_lS4_S1_lS2_PT9_S1_li.has_recursion, 0
	.set _ZL34rocblas_syrkx_herkx_general_kernelIldLi16ELi32ELi8ELb1ELb0ELc84ELc76EKddEviT_T0_PT8_S1_lS4_S1_lS2_PT9_S1_li.has_indirect_call, 0
	.section	.AMDGPU.csdata,"",@progbits
; Kernel info:
; codeLenInByte = 1484
; TotalNumSgprs: 34
; NumVgprs: 36
; ScratchSize: 0
; MemoryBound: 0
; FloatMode: 240
; IeeeMode: 1
; LDSByteSize: 4096 bytes/workgroup (compile time only)
; SGPRBlocks: 4
; VGPRBlocks: 8
; NumSGPRsForWavesPerEU: 34
; NumVGPRsForWavesPerEU: 36
; Occupancy: 7
; WaveLimiterHint : 0
; COMPUTE_PGM_RSRC2:SCRATCH_EN: 0
; COMPUTE_PGM_RSRC2:USER_SGPR: 6
; COMPUTE_PGM_RSRC2:TRAP_HANDLER: 0
; COMPUTE_PGM_RSRC2:TGID_X_EN: 1
; COMPUTE_PGM_RSRC2:TGID_Y_EN: 1
; COMPUTE_PGM_RSRC2:TGID_Z_EN: 1
; COMPUTE_PGM_RSRC2:TIDIG_COMP_CNT: 1
	.section	.text._ZL34rocblas_syrkx_herkx_general_kernelIldLi16ELi32ELi8ELb1ELb0ELc67ELc76EKddEviT_T0_PT8_S1_lS4_S1_lS2_PT9_S1_li,"axG",@progbits,_ZL34rocblas_syrkx_herkx_general_kernelIldLi16ELi32ELi8ELb1ELb0ELc67ELc76EKddEviT_T0_PT8_S1_lS4_S1_lS2_PT9_S1_li,comdat
	.globl	_ZL34rocblas_syrkx_herkx_general_kernelIldLi16ELi32ELi8ELb1ELb0ELc67ELc76EKddEviT_T0_PT8_S1_lS4_S1_lS2_PT9_S1_li ; -- Begin function _ZL34rocblas_syrkx_herkx_general_kernelIldLi16ELi32ELi8ELb1ELb0ELc67ELc76EKddEviT_T0_PT8_S1_lS4_S1_lS2_PT9_S1_li
	.p2align	8
	.type	_ZL34rocblas_syrkx_herkx_general_kernelIldLi16ELi32ELi8ELb1ELb0ELc67ELc76EKddEviT_T0_PT8_S1_lS4_S1_lS2_PT9_S1_li,@function
_ZL34rocblas_syrkx_herkx_general_kernelIldLi16ELi32ELi8ELb1ELb0ELc67ELc76EKddEviT_T0_PT8_S1_lS4_S1_lS2_PT9_S1_li: ; @_ZL34rocblas_syrkx_herkx_general_kernelIldLi16ELi32ELi8ELb1ELb0ELc67ELc76EKddEviT_T0_PT8_S1_lS4_S1_lS2_PT9_S1_li
; %bb.0:
	s_load_dwordx16 s[12:27], s[4:5], 0x8
	s_load_dword s9, s[4:5], 0x0
	s_lshl_b32 s28, s6, 5
	s_lshl_b32 s29, s7, 5
	s_waitcnt lgkmcnt(0)
	v_cmp_lt_i64_e64 s[0:1], s[12:13], 1
	s_and_b64 vcc, exec, s[0:1]
	s_cbranch_vccnz .LBB1064_7
; %bb.1:
	v_lshl_add_u32 v2, v1, 4, v0
	v_and_b32_e32 v5, 31, v2
	v_or_b32_e32 v6, s28, v5
	v_and_b32_e32 v19, 7, v0
	v_lshrrev_b32_e32 v3, 3, v2
	v_lshrrev_b32_e32 v18, 5, v2
	v_cmp_gt_i32_e64 s[0:1], s9, v6
	v_lshlrev_b32_e32 v2, 3, v5
	v_lshlrev_b32_e32 v6, 3, v19
	v_lshl_or_b32 v20, v18, 8, v2
	v_lshl_or_b32 v2, v3, 6, v6
	v_add_u32_e32 v21, 0x800, v2
	v_add_u32_e32 v2, s28, v5
	;; [unrolled: 1-line block ×3, first 2 shown]
	v_ashrrev_i32_e32 v3, 31, v2
	v_mul_lo_u32 v5, s18, v3
	v_mul_lo_u32 v8, s19, v2
	v_mad_u64_u32 v[2:3], s[6:7], s18, v2, 0
	s_mul_i32 s6, s21, s8
	s_mul_hi_u32 s7, s20, s8
	v_add3_u32 v3, v3, v5, v8
	v_lshlrev_b64 v[2:3], 3, v[2:3]
	s_add_i32 s7, s7, s6
	s_mul_i32 s6, s20, s8
	s_lshl_b64 s[6:7], s[6:7], 3
	v_mov_b32_e32 v5, s7
	v_add_co_u32_e32 v2, vcc, s6, v2
	v_ashrrev_i32_e32 v7, 31, v4
	v_mov_b32_e32 v9, 0x800
	v_addc_co_u32_e32 v3, vcc, v3, v5, vcc
	v_lshlrev_b32_e32 v5, 3, v18
	v_cmp_gt_i32_e64 s[2:3], s9, v4
	v_lshl_add_u32 v23, v1, 6, v9
	v_add_co_u32_e32 v2, vcc, v2, v5
	v_mul_lo_u32 v7, s24, v7
	v_mul_lo_u32 v9, s25, v4
	v_mad_u64_u32 v[4:5], s[6:7], s24, v4, 0
	v_addc_co_u32_e32 v3, vcc, 0, v3, vcc
	v_add3_u32 v5, v5, v7, v9
	s_mul_i32 s6, s27, s8
	s_mul_hi_u32 s7, s26, s8
	v_mov_b32_e32 v8, s17
	v_add_co_u32_e32 v2, vcc, s16, v2
	v_lshlrev_b64 v[4:5], 3, v[4:5]
	s_add_i32 s7, s7, s6
	s_mul_i32 s6, s26, s8
	v_addc_co_u32_e32 v3, vcc, v8, v3, vcc
	s_lshl_b64 s[6:7], s[6:7], 3
	v_mov_b32_e32 v7, s7
	v_add_co_u32_e32 v4, vcc, s6, v4
	v_addc_co_u32_e32 v5, vcc, v5, v7, vcc
	v_add_co_u32_e32 v4, vcc, v4, v6
	v_addc_co_u32_e32 v5, vcc, 0, v5, vcc
	v_mov_b32_e32 v6, s23
	v_add_co_u32_e32 v4, vcc, s22, v4
	v_addc_co_u32_e32 v5, vcc, v6, v5, vcc
	v_mov_b32_e32 v8, 0
	v_mov_b32_e32 v10, 0
	v_mov_b32_e32 v12, 0
	v_mov_b32_e32 v14, 0
	v_mov_b32_e32 v6, s12
	v_lshlrev_b32_e32 v22, 3, v0
	s_mov_b64 s[10:11], 0
	v_mov_b32_e32 v9, 0
	v_mov_b32_e32 v11, 0
	;; [unrolled: 1-line block ×5, first 2 shown]
	s_branch .LBB1064_3
.LBB1064_2:                             ;   in Loop: Header=BB1064_3 Depth=1
	s_or_b64 exec, exec, s[6:7]
	s_waitcnt vmcnt(0)
	ds_write_b64 v21, v[16:17]
	s_waitcnt lgkmcnt(0)
	s_barrier
	ds_read2_b64 v[24:27], v22 offset1:16
	ds_read_b128 v[28:31], v23
	ds_read_b128 v[32:35], v23 offset:1024
	s_add_u32 s10, s10, 8
	v_add_co_u32_e32 v2, vcc, 64, v2
	s_waitcnt lgkmcnt(1)
	v_fma_f64 v[14:15], v[24:25], v[28:29], v[14:15]
	v_fma_f64 v[12:13], v[26:27], v[28:29], v[12:13]
	s_waitcnt lgkmcnt(0)
	v_fma_f64 v[16:17], v[24:25], v[32:33], v[10:11]
	v_fma_f64 v[24:25], v[26:27], v[32:33], v[8:9]
	ds_read2_b64 v[8:11], v22 offset0:32 offset1:48
	v_addc_co_u32_e32 v3, vcc, 0, v3, vcc
	s_addc_u32 s11, s11, 0
	v_cmp_ge_i64_e32 vcc, s[10:11], v[6:7]
	s_waitcnt lgkmcnt(0)
	v_fma_f64 v[28:29], v[8:9], v[30:31], v[14:15]
	v_fma_f64 v[30:31], v[10:11], v[30:31], v[12:13]
	;; [unrolled: 1-line block ×4, first 2 shown]
	ds_read_b128 v[12:15], v23 offset:16
	ds_read2_b64 v[8:11], v22 offset0:64 offset1:80
	ds_read_b128 v[24:27], v23 offset:1040
	v_add_co_u32_e64 v4, s[6:7], 64, v4
	v_addc_co_u32_e64 v5, s[6:7], 0, v5, s[6:7]
	s_waitcnt lgkmcnt(1)
	v_fma_f64 v[28:29], v[8:9], v[12:13], v[28:29]
	v_fma_f64 v[12:13], v[10:11], v[12:13], v[30:31]
	s_waitcnt lgkmcnt(0)
	v_fma_f64 v[16:17], v[8:9], v[24:25], v[16:17]
	v_fma_f64 v[24:25], v[10:11], v[24:25], v[32:33]
	ds_read2_b64 v[8:11], v22 offset0:96 offset1:112
	s_and_b64 vcc, exec, vcc
	s_waitcnt lgkmcnt(0)
	v_fma_f64 v[28:29], v[8:9], v[14:15], v[28:29]
	v_fma_f64 v[30:31], v[10:11], v[14:15], v[12:13]
	;; [unrolled: 1-line block ×4, first 2 shown]
	ds_read2_b64 v[12:15], v22 offset0:128 offset1:144
	ds_read_b128 v[8:11], v23 offset:32
	ds_read_b128 v[24:27], v23 offset:1056
	s_waitcnt lgkmcnt(1)
	v_fma_f64 v[28:29], v[12:13], v[8:9], v[28:29]
	v_fma_f64 v[8:9], v[14:15], v[8:9], v[30:31]
	s_waitcnt lgkmcnt(0)
	v_fma_f64 v[16:17], v[12:13], v[24:25], v[16:17]
	v_fma_f64 v[24:25], v[14:15], v[24:25], v[32:33]
	ds_read2_b64 v[12:15], v22 offset0:160 offset1:176
	s_waitcnt lgkmcnt(0)
	v_fma_f64 v[28:29], v[12:13], v[10:11], v[28:29]
	v_fma_f64 v[30:31], v[14:15], v[10:11], v[8:9]
	;; [unrolled: 1-line block ×4, first 2 shown]
	ds_read_b128 v[8:11], v23 offset:48
	ds_read2_b64 v[12:15], v22 offset0:192 offset1:208
	ds_read_b128 v[24:27], v23 offset:1072
	s_waitcnt lgkmcnt(1)
	v_fma_f64 v[34:35], v[12:13], v[8:9], v[28:29]
	v_fma_f64 v[8:9], v[14:15], v[8:9], v[30:31]
	s_waitcnt lgkmcnt(0)
	v_fma_f64 v[16:17], v[12:13], v[24:25], v[16:17]
	v_fma_f64 v[24:25], v[14:15], v[24:25], v[32:33]
	ds_read2_b64 v[28:31], v22 offset0:224 offset1:240
	s_waitcnt lgkmcnt(0)
	s_barrier
	v_fma_f64 v[14:15], v[28:29], v[10:11], v[34:35]
	v_fma_f64 v[12:13], v[30:31], v[10:11], v[8:9]
	;; [unrolled: 1-line block ×4, first 2 shown]
	s_cbranch_vccnz .LBB1064_8
.LBB1064_3:                             ; =>This Inner Loop Header: Depth=1
	v_mov_b32_e32 v17, s11
	v_add_co_u32_e32 v16, vcc, s10, v18
	v_addc_co_u32_e32 v17, vcc, 0, v17, vcc
	v_cmp_gt_i64_e32 vcc, s[12:13], v[16:17]
	v_mov_b32_e32 v16, 0
	v_mov_b32_e32 v17, 0
	s_and_b64 s[16:17], s[0:1], vcc
	s_and_saveexec_b64 s[6:7], s[16:17]
	s_cbranch_execz .LBB1064_5
; %bb.4:                                ;   in Loop: Header=BB1064_3 Depth=1
	global_load_dwordx2 v[16:17], v[2:3], off
.LBB1064_5:                             ;   in Loop: Header=BB1064_3 Depth=1
	s_or_b64 exec, exec, s[6:7]
	s_waitcnt vmcnt(0)
	ds_write_b64 v20, v[16:17]
	v_mov_b32_e32 v17, s11
	v_add_co_u32_e32 v16, vcc, s10, v19
	v_addc_co_u32_e32 v17, vcc, 0, v17, vcc
	v_cmp_gt_i64_e32 vcc, s[12:13], v[16:17]
	v_mov_b32_e32 v16, 0
	v_mov_b32_e32 v17, 0
	s_and_b64 s[16:17], vcc, s[2:3]
	s_and_saveexec_b64 s[6:7], s[16:17]
	s_cbranch_execz .LBB1064_2
; %bb.6:                                ;   in Loop: Header=BB1064_3 Depth=1
	global_load_dwordx2 v[16:17], v[4:5], off
	s_branch .LBB1064_2
.LBB1064_7:
	v_mov_b32_e32 v14, 0
	v_mov_b32_e32 v12, 0
	;; [unrolled: 1-line block ×8, first 2 shown]
.LBB1064_8:
	s_load_dwordx2 s[0:1], s[4:5], 0x60
	s_load_dwordx4 s[16:19], s[4:5], 0x50
	v_add_u32_e32 v4, s29, v1
	v_ashrrev_i32_e32 v1, 31, v4
	v_add_u32_e32 v0, s28, v0
	s_waitcnt lgkmcnt(0)
	s_mul_i32 s1, s1, s8
	s_mul_hi_u32 s2, s0, s8
	s_add_i32 s1, s2, s1
	v_mul_lo_u32 v3, s18, v1
	v_mul_lo_u32 v5, s19, v4
	v_mad_u64_u32 v[1:2], s[2:3], s18, v4, 0
	s_mul_i32 s0, s0, s8
	s_lshl_b64 s[0:1], s[0:1], 3
	v_add3_u32 v2, v2, v3, v5
	s_add_u32 s6, s16, s0
	v_lshlrev_b64 v[1:2], 3, v[1:2]
	s_addc_u32 s7, s17, s1
	v_mov_b32_e32 v3, s7
	v_add_co_u32_e32 v5, vcc, s6, v1
	v_addc_co_u32_e32 v6, vcc, v3, v2, vcc
	v_cmp_le_i32_e64 s[0:1], v4, v0
	v_cmp_gt_i32_e32 vcc, s9, v0
	s_and_b64 s[0:1], s[0:1], vcc
	s_and_saveexec_b64 s[2:3], s[0:1]
	s_cbranch_execz .LBB1064_10
; %bb.9:
	v_mul_f64 v[2:3], s[14:15], v[14:15]
	v_ashrrev_i32_e32 v1, 31, v0
	v_lshlrev_b64 v[14:15], 3, v[0:1]
	v_add_co_u32_e64 v14, s[0:1], v5, v14
	v_addc_co_u32_e64 v15, s[0:1], v6, v15, s[0:1]
	global_store_dwordx2 v[14:15], v[2:3], off
.LBB1064_10:
	s_or_b64 exec, exec, s[2:3]
	v_add_u32_e32 v2, 16, v0
	v_cmp_le_i32_e64 s[2:3], v4, v2
	v_cmp_gt_i32_e64 s[0:1], s9, v2
	s_and_b64 s[2:3], s[2:3], s[0:1]
	s_and_saveexec_b64 s[4:5], s[2:3]
	s_cbranch_execz .LBB1064_12
; %bb.11:
	v_mul_f64 v[12:13], s[14:15], v[12:13]
	v_ashrrev_i32_e32 v3, 31, v2
	v_lshlrev_b64 v[14:15], 3, v[2:3]
	v_add_co_u32_e64 v5, s[2:3], v5, v14
	v_addc_co_u32_e64 v6, s[2:3], v6, v15, s[2:3]
	global_store_dwordx2 v[5:6], v[12:13], off
.LBB1064_12:
	s_or_b64 exec, exec, s[4:5]
	v_add_u32_e32 v3, 16, v4
	v_ashrrev_i32_e32 v1, 31, v3
	v_mul_lo_u32 v6, s19, v3
	v_mad_u64_u32 v[4:5], s[2:3], s18, v3, 0
	v_mul_lo_u32 v1, s18, v1
	v_add3_u32 v5, v5, v1, v6
	v_lshlrev_b64 v[4:5], 3, v[4:5]
	v_mov_b32_e32 v1, s7
	v_add_co_u32_e64 v4, s[2:3], s6, v4
	v_addc_co_u32_e64 v5, s[2:3], v1, v5, s[2:3]
	v_cmp_le_i32_e64 s[2:3], v3, v0
	s_and_b64 s[4:5], s[2:3], vcc
	s_and_saveexec_b64 s[2:3], s[4:5]
	s_cbranch_execz .LBB1064_14
; %bb.13:
	v_mul_f64 v[6:7], s[14:15], v[10:11]
	v_ashrrev_i32_e32 v1, 31, v0
	v_lshlrev_b64 v[0:1], 3, v[0:1]
	v_add_co_u32_e32 v0, vcc, v4, v0
	v_addc_co_u32_e32 v1, vcc, v5, v1, vcc
	global_store_dwordx2 v[0:1], v[6:7], off
.LBB1064_14:
	s_or_b64 exec, exec, s[2:3]
	v_cmp_le_i32_e32 vcc, v3, v2
	s_and_b64 s[0:1], vcc, s[0:1]
	s_and_saveexec_b64 s[2:3], s[0:1]
	s_cbranch_execz .LBB1064_16
; %bb.15:
	v_mul_f64 v[0:1], s[14:15], v[8:9]
	v_ashrrev_i32_e32 v3, 31, v2
	v_lshlrev_b64 v[2:3], 3, v[2:3]
	v_add_co_u32_e32 v2, vcc, v4, v2
	v_addc_co_u32_e32 v3, vcc, v5, v3, vcc
	global_store_dwordx2 v[2:3], v[0:1], off
.LBB1064_16:
	s_endpgm
	.section	.rodata,"a",@progbits
	.p2align	6, 0x0
	.amdhsa_kernel _ZL34rocblas_syrkx_herkx_general_kernelIldLi16ELi32ELi8ELb1ELb0ELc67ELc76EKddEviT_T0_PT8_S1_lS4_S1_lS2_PT9_S1_li
		.amdhsa_group_segment_fixed_size 4096
		.amdhsa_private_segment_fixed_size 0
		.amdhsa_kernarg_size 108
		.amdhsa_user_sgpr_count 6
		.amdhsa_user_sgpr_private_segment_buffer 1
		.amdhsa_user_sgpr_dispatch_ptr 0
		.amdhsa_user_sgpr_queue_ptr 0
		.amdhsa_user_sgpr_kernarg_segment_ptr 1
		.amdhsa_user_sgpr_dispatch_id 0
		.amdhsa_user_sgpr_flat_scratch_init 0
		.amdhsa_user_sgpr_private_segment_size 0
		.amdhsa_uses_dynamic_stack 0
		.amdhsa_system_sgpr_private_segment_wavefront_offset 0
		.amdhsa_system_sgpr_workgroup_id_x 1
		.amdhsa_system_sgpr_workgroup_id_y 1
		.amdhsa_system_sgpr_workgroup_id_z 1
		.amdhsa_system_sgpr_workgroup_info 0
		.amdhsa_system_vgpr_workitem_id 1
		.amdhsa_next_free_vgpr 36
		.amdhsa_next_free_sgpr 30
		.amdhsa_reserve_vcc 1
		.amdhsa_reserve_flat_scratch 0
		.amdhsa_float_round_mode_32 0
		.amdhsa_float_round_mode_16_64 0
		.amdhsa_float_denorm_mode_32 3
		.amdhsa_float_denorm_mode_16_64 3
		.amdhsa_dx10_clamp 1
		.amdhsa_ieee_mode 1
		.amdhsa_fp16_overflow 0
		.amdhsa_exception_fp_ieee_invalid_op 0
		.amdhsa_exception_fp_denorm_src 0
		.amdhsa_exception_fp_ieee_div_zero 0
		.amdhsa_exception_fp_ieee_overflow 0
		.amdhsa_exception_fp_ieee_underflow 0
		.amdhsa_exception_fp_ieee_inexact 0
		.amdhsa_exception_int_div_zero 0
	.end_amdhsa_kernel
	.section	.text._ZL34rocblas_syrkx_herkx_general_kernelIldLi16ELi32ELi8ELb1ELb0ELc67ELc76EKddEviT_T0_PT8_S1_lS4_S1_lS2_PT9_S1_li,"axG",@progbits,_ZL34rocblas_syrkx_herkx_general_kernelIldLi16ELi32ELi8ELb1ELb0ELc67ELc76EKddEviT_T0_PT8_S1_lS4_S1_lS2_PT9_S1_li,comdat
.Lfunc_end1064:
	.size	_ZL34rocblas_syrkx_herkx_general_kernelIldLi16ELi32ELi8ELb1ELb0ELc67ELc76EKddEviT_T0_PT8_S1_lS4_S1_lS2_PT9_S1_li, .Lfunc_end1064-_ZL34rocblas_syrkx_herkx_general_kernelIldLi16ELi32ELi8ELb1ELb0ELc67ELc76EKddEviT_T0_PT8_S1_lS4_S1_lS2_PT9_S1_li
                                        ; -- End function
	.set _ZL34rocblas_syrkx_herkx_general_kernelIldLi16ELi32ELi8ELb1ELb0ELc67ELc76EKddEviT_T0_PT8_S1_lS4_S1_lS2_PT9_S1_li.num_vgpr, 36
	.set _ZL34rocblas_syrkx_herkx_general_kernelIldLi16ELi32ELi8ELb1ELb0ELc67ELc76EKddEviT_T0_PT8_S1_lS4_S1_lS2_PT9_S1_li.num_agpr, 0
	.set _ZL34rocblas_syrkx_herkx_general_kernelIldLi16ELi32ELi8ELb1ELb0ELc67ELc76EKddEviT_T0_PT8_S1_lS4_S1_lS2_PT9_S1_li.numbered_sgpr, 30
	.set _ZL34rocblas_syrkx_herkx_general_kernelIldLi16ELi32ELi8ELb1ELb0ELc67ELc76EKddEviT_T0_PT8_S1_lS4_S1_lS2_PT9_S1_li.num_named_barrier, 0
	.set _ZL34rocblas_syrkx_herkx_general_kernelIldLi16ELi32ELi8ELb1ELb0ELc67ELc76EKddEviT_T0_PT8_S1_lS4_S1_lS2_PT9_S1_li.private_seg_size, 0
	.set _ZL34rocblas_syrkx_herkx_general_kernelIldLi16ELi32ELi8ELb1ELb0ELc67ELc76EKddEviT_T0_PT8_S1_lS4_S1_lS2_PT9_S1_li.uses_vcc, 1
	.set _ZL34rocblas_syrkx_herkx_general_kernelIldLi16ELi32ELi8ELb1ELb0ELc67ELc76EKddEviT_T0_PT8_S1_lS4_S1_lS2_PT9_S1_li.uses_flat_scratch, 0
	.set _ZL34rocblas_syrkx_herkx_general_kernelIldLi16ELi32ELi8ELb1ELb0ELc67ELc76EKddEviT_T0_PT8_S1_lS4_S1_lS2_PT9_S1_li.has_dyn_sized_stack, 0
	.set _ZL34rocblas_syrkx_herkx_general_kernelIldLi16ELi32ELi8ELb1ELb0ELc67ELc76EKddEviT_T0_PT8_S1_lS4_S1_lS2_PT9_S1_li.has_recursion, 0
	.set _ZL34rocblas_syrkx_herkx_general_kernelIldLi16ELi32ELi8ELb1ELb0ELc67ELc76EKddEviT_T0_PT8_S1_lS4_S1_lS2_PT9_S1_li.has_indirect_call, 0
	.section	.AMDGPU.csdata,"",@progbits
; Kernel info:
; codeLenInByte = 1484
; TotalNumSgprs: 34
; NumVgprs: 36
; ScratchSize: 0
; MemoryBound: 0
; FloatMode: 240
; IeeeMode: 1
; LDSByteSize: 4096 bytes/workgroup (compile time only)
; SGPRBlocks: 4
; VGPRBlocks: 8
; NumSGPRsForWavesPerEU: 34
; NumVGPRsForWavesPerEU: 36
; Occupancy: 7
; WaveLimiterHint : 0
; COMPUTE_PGM_RSRC2:SCRATCH_EN: 0
; COMPUTE_PGM_RSRC2:USER_SGPR: 6
; COMPUTE_PGM_RSRC2:TRAP_HANDLER: 0
; COMPUTE_PGM_RSRC2:TGID_X_EN: 1
; COMPUTE_PGM_RSRC2:TGID_Y_EN: 1
; COMPUTE_PGM_RSRC2:TGID_Z_EN: 1
; COMPUTE_PGM_RSRC2:TIDIG_COMP_CNT: 1
	.section	.text._ZL34rocblas_syrkx_herkx_general_kernelIldLi16ELi32ELi8ELb1ELb0ELc78ELc76EKddEviT_T0_PT8_S1_lS4_S1_lS2_PT9_S1_li,"axG",@progbits,_ZL34rocblas_syrkx_herkx_general_kernelIldLi16ELi32ELi8ELb1ELb0ELc78ELc76EKddEviT_T0_PT8_S1_lS4_S1_lS2_PT9_S1_li,comdat
	.globl	_ZL34rocblas_syrkx_herkx_general_kernelIldLi16ELi32ELi8ELb1ELb0ELc78ELc76EKddEviT_T0_PT8_S1_lS4_S1_lS2_PT9_S1_li ; -- Begin function _ZL34rocblas_syrkx_herkx_general_kernelIldLi16ELi32ELi8ELb1ELb0ELc78ELc76EKddEviT_T0_PT8_S1_lS4_S1_lS2_PT9_S1_li
	.p2align	8
	.type	_ZL34rocblas_syrkx_herkx_general_kernelIldLi16ELi32ELi8ELb1ELb0ELc78ELc76EKddEviT_T0_PT8_S1_lS4_S1_lS2_PT9_S1_li,@function
_ZL34rocblas_syrkx_herkx_general_kernelIldLi16ELi32ELi8ELb1ELb0ELc78ELc76EKddEviT_T0_PT8_S1_lS4_S1_lS2_PT9_S1_li: ; @_ZL34rocblas_syrkx_herkx_general_kernelIldLi16ELi32ELi8ELb1ELb0ELc78ELc76EKddEviT_T0_PT8_S1_lS4_S1_lS2_PT9_S1_li
; %bb.0:
	s_load_dwordx16 s[12:27], s[4:5], 0x8
	s_load_dword s9, s[4:5], 0x0
	s_lshl_b32 s28, s6, 5
	s_lshl_b32 s29, s7, 5
	s_waitcnt lgkmcnt(0)
	v_cmp_lt_i64_e64 s[0:1], s[12:13], 1
	s_and_b64 vcc, exec, s[0:1]
	s_cbranch_vccnz .LBB1065_7
; %bb.1:
	v_lshl_add_u32 v2, v1, 4, v0
	v_and_b32_e32 v8, 31, v2
	v_lshrrev_b32_e32 v5, 3, v2
	v_or_b32_e32 v3, s28, v8
	v_lshrrev_b32_e32 v16, 5, v2
	v_lshlrev_b32_e32 v2, 3, v8
	v_cmp_gt_i32_e64 s[0:1], s9, v3
	v_lshl_or_b32 v18, v16, 8, v2
	v_mad_u64_u32 v[2:3], s[6:7], s18, v16, 0
	v_and_b32_e32 v17, 7, v0
	v_add_u32_e32 v4, s29, v5
	v_lshlrev_b32_e32 v6, 3, v17
	v_lshl_or_b32 v5, v5, 6, v6
	v_mad_u64_u32 v[6:7], s[6:7], s19, v16, v[3:4]
	v_mov_b32_e32 v3, 0x800
	v_lshl_add_u32 v21, v1, 6, v3
	v_mov_b32_e32 v3, v6
	s_mul_i32 s6, s21, s8
	s_mul_hi_u32 s7, s20, s8
	v_lshlrev_b64 v[2:3], 3, v[2:3]
	s_add_i32 s7, s7, s6
	s_mul_i32 s6, s20, s8
	s_lshl_b64 s[6:7], s[6:7], 3
	v_mov_b32_e32 v6, s7
	v_add_co_u32_e32 v7, vcc, s6, v2
	v_add_u32_e32 v2, s28, v8
	v_addc_co_u32_e32 v6, vcc, v3, v6, vcc
	v_ashrrev_i32_e32 v3, 31, v2
	v_lshlrev_b64 v[2:3], 3, v[2:3]
	v_add_u32_e32 v19, 0x800, v5
	v_add_co_u32_e32 v2, vcc, v7, v2
	v_addc_co_u32_e32 v3, vcc, v6, v3, vcc
	v_mov_b32_e32 v6, s17
	v_add_co_u32_e32 v2, vcc, s16, v2
	v_addc_co_u32_e32 v3, vcc, v6, v3, vcc
	v_mad_u64_u32 v[6:7], s[6:7], s24, v17, 0
	s_mul_i32 s16, s27, s8
	s_mul_hi_u32 s17, s26, s8
	v_mad_u64_u32 v[7:8], s[6:7], s25, v17, v[7:8]
	s_add_i32 s7, s17, s16
	s_mul_i32 s6, s26, s8
	v_lshlrev_b64 v[6:7], 3, v[6:7]
	v_ashrrev_i32_e32 v5, 31, v4
	s_lshl_b64 s[6:7], s[6:7], 3
	v_cmp_gt_i32_e64 s[2:3], s9, v4
	v_mov_b32_e32 v8, s7
	v_add_co_u32_e32 v6, vcc, s6, v6
	v_lshlrev_b64 v[4:5], 3, v[4:5]
	v_addc_co_u32_e32 v7, vcc, v8, v7, vcc
	v_add_co_u32_e32 v4, vcc, v6, v4
	v_addc_co_u32_e32 v5, vcc, v7, v5, vcc
	v_mov_b32_e32 v6, s23
	v_add_co_u32_e32 v4, vcc, s22, v4
	s_lshl_b64 s[10:11], s[18:19], 6
	v_addc_co_u32_e32 v5, vcc, v6, v5, vcc
	s_lshl_b64 s[16:17], s[24:25], 6
	v_mov_b32_e32 v6, 0
	v_mov_b32_e32 v8, 0
	;; [unrolled: 1-line block ×4, first 2 shown]
	v_lshlrev_b32_e32 v20, 3, v0
	s_mov_b64 s[18:19], 0
	v_mov_b32_e32 v7, 0
	v_mov_b32_e32 v22, s11
	;; [unrolled: 1-line block ×6, first 2 shown]
	s_branch .LBB1065_3
.LBB1065_2:                             ;   in Loop: Header=BB1065_3 Depth=1
	s_or_b64 exec, exec, s[6:7]
	s_waitcnt vmcnt(0)
	ds_write_b64 v19, v[14:15]
	s_waitcnt lgkmcnt(0)
	s_barrier
	ds_read2_b64 v[24:27], v20 offset1:16
	ds_read_b128 v[28:31], v21
	ds_read_b128 v[32:35], v21 offset:1024
	s_add_u32 s18, s18, 8
	v_add_co_u32_e32 v2, vcc, s10, v2
	s_waitcnt lgkmcnt(1)
	v_fma_f64 v[12:13], v[24:25], v[28:29], v[12:13]
	v_fma_f64 v[10:11], v[26:27], v[28:29], v[10:11]
	s_waitcnt lgkmcnt(0)
	v_fma_f64 v[14:15], v[24:25], v[32:33], v[8:9]
	v_fma_f64 v[24:25], v[26:27], v[32:33], v[6:7]
	ds_read2_b64 v[6:9], v20 offset0:32 offset1:48
	v_addc_co_u32_e32 v3, vcc, v3, v22, vcc
	s_addc_u32 s19, s19, 0
	v_add_co_u32_e64 v4, s[6:7], s16, v4
	s_waitcnt lgkmcnt(0)
	v_fma_f64 v[28:29], v[6:7], v[30:31], v[12:13]
	v_fma_f64 v[30:31], v[8:9], v[30:31], v[10:11]
	;; [unrolled: 1-line block ×4, first 2 shown]
	ds_read_b128 v[10:13], v21 offset:16
	ds_read2_b64 v[6:9], v20 offset0:64 offset1:80
	ds_read_b128 v[24:27], v21 offset:1040
	v_addc_co_u32_e64 v5, s[6:7], v5, v23, s[6:7]
	s_waitcnt lgkmcnt(1)
	v_fma_f64 v[28:29], v[6:7], v[10:11], v[28:29]
	v_fma_f64 v[10:11], v[8:9], v[10:11], v[30:31]
	s_waitcnt lgkmcnt(0)
	v_fma_f64 v[14:15], v[6:7], v[24:25], v[14:15]
	v_fma_f64 v[24:25], v[8:9], v[24:25], v[32:33]
	ds_read2_b64 v[6:9], v20 offset0:96 offset1:112
	s_waitcnt lgkmcnt(0)
	v_fma_f64 v[28:29], v[6:7], v[12:13], v[28:29]
	v_fma_f64 v[30:31], v[8:9], v[12:13], v[10:11]
	;; [unrolled: 1-line block ×4, first 2 shown]
	ds_read2_b64 v[10:13], v20 offset0:128 offset1:144
	ds_read_b128 v[6:9], v21 offset:32
	ds_read_b128 v[24:27], v21 offset:1056
	s_waitcnt lgkmcnt(1)
	v_fma_f64 v[28:29], v[10:11], v[6:7], v[28:29]
	v_fma_f64 v[6:7], v[12:13], v[6:7], v[30:31]
	s_waitcnt lgkmcnt(0)
	v_fma_f64 v[14:15], v[10:11], v[24:25], v[14:15]
	v_fma_f64 v[24:25], v[12:13], v[24:25], v[32:33]
	ds_read2_b64 v[10:13], v20 offset0:160 offset1:176
	s_waitcnt lgkmcnt(0)
	v_fma_f64 v[28:29], v[10:11], v[8:9], v[28:29]
	v_fma_f64 v[30:31], v[12:13], v[8:9], v[6:7]
	;; [unrolled: 1-line block ×4, first 2 shown]
	ds_read_b128 v[6:9], v21 offset:48
	ds_read2_b64 v[10:13], v20 offset0:192 offset1:208
	ds_read_b128 v[24:27], v21 offset:1072
	s_waitcnt lgkmcnt(1)
	v_fma_f64 v[34:35], v[10:11], v[6:7], v[28:29]
	v_fma_f64 v[6:7], v[12:13], v[6:7], v[30:31]
	s_waitcnt lgkmcnt(0)
	v_fma_f64 v[14:15], v[10:11], v[24:25], v[14:15]
	v_fma_f64 v[24:25], v[12:13], v[24:25], v[32:33]
	ds_read2_b64 v[28:31], v20 offset0:224 offset1:240
	v_mov_b32_e32 v33, s13
	v_mov_b32_e32 v32, s12
	v_cmp_ge_i64_e32 vcc, s[18:19], v[32:33]
	s_waitcnt lgkmcnt(0)
	v_fma_f64 v[12:13], v[28:29], v[8:9], v[34:35]
	v_fma_f64 v[10:11], v[30:31], v[8:9], v[6:7]
	;; [unrolled: 1-line block ×4, first 2 shown]
	s_barrier
	s_cbranch_vccnz .LBB1065_8
.LBB1065_3:                             ; =>This Inner Loop Header: Depth=1
	v_mov_b32_e32 v15, s19
	v_add_co_u32_e32 v14, vcc, s18, v16
	v_addc_co_u32_e32 v15, vcc, 0, v15, vcc
	v_cmp_gt_i64_e32 vcc, s[12:13], v[14:15]
	v_mov_b32_e32 v14, 0
	v_mov_b32_e32 v15, 0
	s_and_b64 s[20:21], s[0:1], vcc
	s_and_saveexec_b64 s[6:7], s[20:21]
	s_cbranch_execz .LBB1065_5
; %bb.4:                                ;   in Loop: Header=BB1065_3 Depth=1
	global_load_dwordx2 v[14:15], v[2:3], off
.LBB1065_5:                             ;   in Loop: Header=BB1065_3 Depth=1
	s_or_b64 exec, exec, s[6:7]
	s_waitcnt vmcnt(0)
	ds_write_b64 v18, v[14:15]
	v_mov_b32_e32 v15, s19
	v_add_co_u32_e32 v14, vcc, s18, v17
	v_addc_co_u32_e32 v15, vcc, 0, v15, vcc
	v_cmp_gt_i64_e32 vcc, s[12:13], v[14:15]
	v_mov_b32_e32 v14, 0
	v_mov_b32_e32 v15, 0
	s_and_b64 s[20:21], vcc, s[2:3]
	s_and_saveexec_b64 s[6:7], s[20:21]
	s_cbranch_execz .LBB1065_2
; %bb.6:                                ;   in Loop: Header=BB1065_3 Depth=1
	global_load_dwordx2 v[14:15], v[4:5], off
	s_branch .LBB1065_2
.LBB1065_7:
	v_mov_b32_e32 v12, 0
	v_mov_b32_e32 v10, 0
	;; [unrolled: 1-line block ×8, first 2 shown]
.LBB1065_8:
	s_load_dwordx2 s[0:1], s[4:5], 0x60
	s_load_dwordx4 s[16:19], s[4:5], 0x50
	v_add_u32_e32 v4, s29, v1
	v_ashrrev_i32_e32 v1, 31, v4
	v_add_u32_e32 v0, s28, v0
	s_waitcnt lgkmcnt(0)
	s_mul_i32 s1, s1, s8
	s_mul_hi_u32 s2, s0, s8
	s_add_i32 s1, s2, s1
	v_mul_lo_u32 v3, s18, v1
	v_mul_lo_u32 v5, s19, v4
	v_mad_u64_u32 v[1:2], s[2:3], s18, v4, 0
	s_mul_i32 s0, s0, s8
	s_lshl_b64 s[0:1], s[0:1], 3
	v_add3_u32 v2, v2, v3, v5
	s_add_u32 s6, s16, s0
	v_lshlrev_b64 v[1:2], 3, v[1:2]
	s_addc_u32 s7, s17, s1
	v_mov_b32_e32 v3, s7
	v_add_co_u32_e32 v5, vcc, s6, v1
	v_addc_co_u32_e32 v14, vcc, v3, v2, vcc
	v_cmp_le_i32_e64 s[0:1], v4, v0
	v_cmp_gt_i32_e32 vcc, s9, v0
	s_and_b64 s[0:1], s[0:1], vcc
	s_and_saveexec_b64 s[2:3], s[0:1]
	s_cbranch_execz .LBB1065_10
; %bb.9:
	v_mul_f64 v[2:3], s[14:15], v[12:13]
	v_ashrrev_i32_e32 v1, 31, v0
	v_lshlrev_b64 v[12:13], 3, v[0:1]
	v_add_co_u32_e64 v12, s[0:1], v5, v12
	v_addc_co_u32_e64 v13, s[0:1], v14, v13, s[0:1]
	global_store_dwordx2 v[12:13], v[2:3], off
.LBB1065_10:
	s_or_b64 exec, exec, s[2:3]
	v_add_u32_e32 v2, 16, v0
	v_cmp_le_i32_e64 s[2:3], v4, v2
	v_cmp_gt_i32_e64 s[0:1], s9, v2
	s_and_b64 s[2:3], s[2:3], s[0:1]
	s_and_saveexec_b64 s[4:5], s[2:3]
	s_cbranch_execz .LBB1065_12
; %bb.11:
	v_mul_f64 v[10:11], s[14:15], v[10:11]
	v_ashrrev_i32_e32 v3, 31, v2
	v_lshlrev_b64 v[12:13], 3, v[2:3]
	v_add_co_u32_e64 v12, s[2:3], v5, v12
	v_addc_co_u32_e64 v13, s[2:3], v14, v13, s[2:3]
	global_store_dwordx2 v[12:13], v[10:11], off
.LBB1065_12:
	s_or_b64 exec, exec, s[4:5]
	v_add_u32_e32 v3, 16, v4
	v_ashrrev_i32_e32 v1, 31, v3
	v_mul_lo_u32 v10, s19, v3
	v_mad_u64_u32 v[4:5], s[2:3], s18, v3, 0
	v_mul_lo_u32 v1, s18, v1
	v_add3_u32 v5, v5, v1, v10
	v_lshlrev_b64 v[4:5], 3, v[4:5]
	v_mov_b32_e32 v1, s7
	v_add_co_u32_e64 v4, s[2:3], s6, v4
	v_addc_co_u32_e64 v5, s[2:3], v1, v5, s[2:3]
	v_cmp_le_i32_e64 s[2:3], v3, v0
	s_and_b64 s[4:5], s[2:3], vcc
	s_and_saveexec_b64 s[2:3], s[4:5]
	s_cbranch_execz .LBB1065_14
; %bb.13:
	v_mul_f64 v[8:9], s[14:15], v[8:9]
	v_ashrrev_i32_e32 v1, 31, v0
	v_lshlrev_b64 v[0:1], 3, v[0:1]
	v_add_co_u32_e32 v0, vcc, v4, v0
	v_addc_co_u32_e32 v1, vcc, v5, v1, vcc
	global_store_dwordx2 v[0:1], v[8:9], off
.LBB1065_14:
	s_or_b64 exec, exec, s[2:3]
	v_cmp_le_i32_e32 vcc, v3, v2
	s_and_b64 s[0:1], vcc, s[0:1]
	s_and_saveexec_b64 s[2:3], s[0:1]
	s_cbranch_execz .LBB1065_16
; %bb.15:
	v_mul_f64 v[0:1], s[14:15], v[6:7]
	v_ashrrev_i32_e32 v3, 31, v2
	v_lshlrev_b64 v[2:3], 3, v[2:3]
	v_add_co_u32_e32 v2, vcc, v4, v2
	v_addc_co_u32_e32 v3, vcc, v5, v3, vcc
	global_store_dwordx2 v[2:3], v[0:1], off
.LBB1065_16:
	s_endpgm
	.section	.rodata,"a",@progbits
	.p2align	6, 0x0
	.amdhsa_kernel _ZL34rocblas_syrkx_herkx_general_kernelIldLi16ELi32ELi8ELb1ELb0ELc78ELc76EKddEviT_T0_PT8_S1_lS4_S1_lS2_PT9_S1_li
		.amdhsa_group_segment_fixed_size 4096
		.amdhsa_private_segment_fixed_size 0
		.amdhsa_kernarg_size 108
		.amdhsa_user_sgpr_count 6
		.amdhsa_user_sgpr_private_segment_buffer 1
		.amdhsa_user_sgpr_dispatch_ptr 0
		.amdhsa_user_sgpr_queue_ptr 0
		.amdhsa_user_sgpr_kernarg_segment_ptr 1
		.amdhsa_user_sgpr_dispatch_id 0
		.amdhsa_user_sgpr_flat_scratch_init 0
		.amdhsa_user_sgpr_private_segment_size 0
		.amdhsa_uses_dynamic_stack 0
		.amdhsa_system_sgpr_private_segment_wavefront_offset 0
		.amdhsa_system_sgpr_workgroup_id_x 1
		.amdhsa_system_sgpr_workgroup_id_y 1
		.amdhsa_system_sgpr_workgroup_id_z 1
		.amdhsa_system_sgpr_workgroup_info 0
		.amdhsa_system_vgpr_workitem_id 1
		.amdhsa_next_free_vgpr 36
		.amdhsa_next_free_sgpr 30
		.amdhsa_reserve_vcc 1
		.amdhsa_reserve_flat_scratch 0
		.amdhsa_float_round_mode_32 0
		.amdhsa_float_round_mode_16_64 0
		.amdhsa_float_denorm_mode_32 3
		.amdhsa_float_denorm_mode_16_64 3
		.amdhsa_dx10_clamp 1
		.amdhsa_ieee_mode 1
		.amdhsa_fp16_overflow 0
		.amdhsa_exception_fp_ieee_invalid_op 0
		.amdhsa_exception_fp_denorm_src 0
		.amdhsa_exception_fp_ieee_div_zero 0
		.amdhsa_exception_fp_ieee_overflow 0
		.amdhsa_exception_fp_ieee_underflow 0
		.amdhsa_exception_fp_ieee_inexact 0
		.amdhsa_exception_int_div_zero 0
	.end_amdhsa_kernel
	.section	.text._ZL34rocblas_syrkx_herkx_general_kernelIldLi16ELi32ELi8ELb1ELb0ELc78ELc76EKddEviT_T0_PT8_S1_lS4_S1_lS2_PT9_S1_li,"axG",@progbits,_ZL34rocblas_syrkx_herkx_general_kernelIldLi16ELi32ELi8ELb1ELb0ELc78ELc76EKddEviT_T0_PT8_S1_lS4_S1_lS2_PT9_S1_li,comdat
.Lfunc_end1065:
	.size	_ZL34rocblas_syrkx_herkx_general_kernelIldLi16ELi32ELi8ELb1ELb0ELc78ELc76EKddEviT_T0_PT8_S1_lS4_S1_lS2_PT9_S1_li, .Lfunc_end1065-_ZL34rocblas_syrkx_herkx_general_kernelIldLi16ELi32ELi8ELb1ELb0ELc78ELc76EKddEviT_T0_PT8_S1_lS4_S1_lS2_PT9_S1_li
                                        ; -- End function
	.set _ZL34rocblas_syrkx_herkx_general_kernelIldLi16ELi32ELi8ELb1ELb0ELc78ELc76EKddEviT_T0_PT8_S1_lS4_S1_lS2_PT9_S1_li.num_vgpr, 36
	.set _ZL34rocblas_syrkx_herkx_general_kernelIldLi16ELi32ELi8ELb1ELb0ELc78ELc76EKddEviT_T0_PT8_S1_lS4_S1_lS2_PT9_S1_li.num_agpr, 0
	.set _ZL34rocblas_syrkx_herkx_general_kernelIldLi16ELi32ELi8ELb1ELb0ELc78ELc76EKddEviT_T0_PT8_S1_lS4_S1_lS2_PT9_S1_li.numbered_sgpr, 30
	.set _ZL34rocblas_syrkx_herkx_general_kernelIldLi16ELi32ELi8ELb1ELb0ELc78ELc76EKddEviT_T0_PT8_S1_lS4_S1_lS2_PT9_S1_li.num_named_barrier, 0
	.set _ZL34rocblas_syrkx_herkx_general_kernelIldLi16ELi32ELi8ELb1ELb0ELc78ELc76EKddEviT_T0_PT8_S1_lS4_S1_lS2_PT9_S1_li.private_seg_size, 0
	.set _ZL34rocblas_syrkx_herkx_general_kernelIldLi16ELi32ELi8ELb1ELb0ELc78ELc76EKddEviT_T0_PT8_S1_lS4_S1_lS2_PT9_S1_li.uses_vcc, 1
	.set _ZL34rocblas_syrkx_herkx_general_kernelIldLi16ELi32ELi8ELb1ELb0ELc78ELc76EKddEviT_T0_PT8_S1_lS4_S1_lS2_PT9_S1_li.uses_flat_scratch, 0
	.set _ZL34rocblas_syrkx_herkx_general_kernelIldLi16ELi32ELi8ELb1ELb0ELc78ELc76EKddEviT_T0_PT8_S1_lS4_S1_lS2_PT9_S1_li.has_dyn_sized_stack, 0
	.set _ZL34rocblas_syrkx_herkx_general_kernelIldLi16ELi32ELi8ELb1ELb0ELc78ELc76EKddEviT_T0_PT8_S1_lS4_S1_lS2_PT9_S1_li.has_recursion, 0
	.set _ZL34rocblas_syrkx_herkx_general_kernelIldLi16ELi32ELi8ELb1ELb0ELc78ELc76EKddEviT_T0_PT8_S1_lS4_S1_lS2_PT9_S1_li.has_indirect_call, 0
	.section	.AMDGPU.csdata,"",@progbits
; Kernel info:
; codeLenInByte = 1480
; TotalNumSgprs: 34
; NumVgprs: 36
; ScratchSize: 0
; MemoryBound: 0
; FloatMode: 240
; IeeeMode: 1
; LDSByteSize: 4096 bytes/workgroup (compile time only)
; SGPRBlocks: 4
; VGPRBlocks: 8
; NumSGPRsForWavesPerEU: 34
; NumVGPRsForWavesPerEU: 36
; Occupancy: 7
; WaveLimiterHint : 0
; COMPUTE_PGM_RSRC2:SCRATCH_EN: 0
; COMPUTE_PGM_RSRC2:USER_SGPR: 6
; COMPUTE_PGM_RSRC2:TRAP_HANDLER: 0
; COMPUTE_PGM_RSRC2:TGID_X_EN: 1
; COMPUTE_PGM_RSRC2:TGID_Y_EN: 1
; COMPUTE_PGM_RSRC2:TGID_Z_EN: 1
; COMPUTE_PGM_RSRC2:TIDIG_COMP_CNT: 1
	.section	.text._ZL34rocblas_syrkx_herkx_general_kernelIldLi16ELi32ELi8ELb1ELb0ELc84ELc85EKddEviT_T0_PT8_S1_lS4_S1_lS2_PT9_S1_li,"axG",@progbits,_ZL34rocblas_syrkx_herkx_general_kernelIldLi16ELi32ELi8ELb1ELb0ELc84ELc85EKddEviT_T0_PT8_S1_lS4_S1_lS2_PT9_S1_li,comdat
	.globl	_ZL34rocblas_syrkx_herkx_general_kernelIldLi16ELi32ELi8ELb1ELb0ELc84ELc85EKddEviT_T0_PT8_S1_lS4_S1_lS2_PT9_S1_li ; -- Begin function _ZL34rocblas_syrkx_herkx_general_kernelIldLi16ELi32ELi8ELb1ELb0ELc84ELc85EKddEviT_T0_PT8_S1_lS4_S1_lS2_PT9_S1_li
	.p2align	8
	.type	_ZL34rocblas_syrkx_herkx_general_kernelIldLi16ELi32ELi8ELb1ELb0ELc84ELc85EKddEviT_T0_PT8_S1_lS4_S1_lS2_PT9_S1_li,@function
_ZL34rocblas_syrkx_herkx_general_kernelIldLi16ELi32ELi8ELb1ELb0ELc84ELc85EKddEviT_T0_PT8_S1_lS4_S1_lS2_PT9_S1_li: ; @_ZL34rocblas_syrkx_herkx_general_kernelIldLi16ELi32ELi8ELb1ELb0ELc84ELc85EKddEviT_T0_PT8_S1_lS4_S1_lS2_PT9_S1_li
; %bb.0:
	s_load_dwordx16 s[12:27], s[4:5], 0x8
	s_load_dword s9, s[4:5], 0x0
	s_lshl_b32 s28, s6, 5
	s_lshl_b32 s29, s7, 5
	s_waitcnt lgkmcnt(0)
	v_cmp_lt_i64_e64 s[0:1], s[12:13], 1
	s_and_b64 vcc, exec, s[0:1]
	s_cbranch_vccnz .LBB1066_7
; %bb.1:
	v_lshl_add_u32 v2, v1, 4, v0
	v_and_b32_e32 v5, 31, v2
	v_or_b32_e32 v6, s28, v5
	v_and_b32_e32 v19, 7, v0
	v_lshrrev_b32_e32 v3, 3, v2
	v_lshrrev_b32_e32 v18, 5, v2
	v_cmp_gt_i32_e64 s[0:1], s9, v6
	v_lshlrev_b32_e32 v2, 3, v5
	v_lshlrev_b32_e32 v6, 3, v19
	v_lshl_or_b32 v20, v18, 8, v2
	v_lshl_or_b32 v2, v3, 6, v6
	v_add_u32_e32 v21, 0x800, v2
	v_add_u32_e32 v2, s28, v5
	v_add_u32_e32 v4, s29, v3
	v_ashrrev_i32_e32 v3, 31, v2
	v_mul_lo_u32 v5, s18, v3
	v_mul_lo_u32 v8, s19, v2
	v_mad_u64_u32 v[2:3], s[6:7], s18, v2, 0
	s_mul_i32 s6, s21, s8
	s_mul_hi_u32 s7, s20, s8
	v_add3_u32 v3, v3, v5, v8
	v_lshlrev_b64 v[2:3], 3, v[2:3]
	s_add_i32 s7, s7, s6
	s_mul_i32 s6, s20, s8
	s_lshl_b64 s[6:7], s[6:7], 3
	v_mov_b32_e32 v5, s7
	v_add_co_u32_e32 v2, vcc, s6, v2
	v_ashrrev_i32_e32 v7, 31, v4
	v_mov_b32_e32 v9, 0x800
	v_addc_co_u32_e32 v3, vcc, v3, v5, vcc
	v_lshlrev_b32_e32 v5, 3, v18
	v_cmp_gt_i32_e64 s[2:3], s9, v4
	v_lshl_add_u32 v23, v1, 6, v9
	v_add_co_u32_e32 v2, vcc, v2, v5
	v_mul_lo_u32 v7, s24, v7
	v_mul_lo_u32 v9, s25, v4
	v_mad_u64_u32 v[4:5], s[6:7], s24, v4, 0
	v_addc_co_u32_e32 v3, vcc, 0, v3, vcc
	v_add3_u32 v5, v5, v7, v9
	s_mul_i32 s6, s27, s8
	s_mul_hi_u32 s7, s26, s8
	v_mov_b32_e32 v8, s17
	v_add_co_u32_e32 v2, vcc, s16, v2
	v_lshlrev_b64 v[4:5], 3, v[4:5]
	s_add_i32 s7, s7, s6
	s_mul_i32 s6, s26, s8
	v_addc_co_u32_e32 v3, vcc, v8, v3, vcc
	s_lshl_b64 s[6:7], s[6:7], 3
	v_mov_b32_e32 v7, s7
	v_add_co_u32_e32 v4, vcc, s6, v4
	v_addc_co_u32_e32 v5, vcc, v5, v7, vcc
	v_add_co_u32_e32 v4, vcc, v4, v6
	v_addc_co_u32_e32 v5, vcc, 0, v5, vcc
	v_mov_b32_e32 v6, s23
	v_add_co_u32_e32 v4, vcc, s22, v4
	v_addc_co_u32_e32 v5, vcc, v6, v5, vcc
	v_mov_b32_e32 v8, 0
	v_mov_b32_e32 v10, 0
	;; [unrolled: 1-line block ×5, first 2 shown]
	v_lshlrev_b32_e32 v22, 3, v0
	s_mov_b64 s[10:11], 0
	v_mov_b32_e32 v9, 0
	v_mov_b32_e32 v11, 0
	;; [unrolled: 1-line block ×5, first 2 shown]
	s_branch .LBB1066_3
.LBB1066_2:                             ;   in Loop: Header=BB1066_3 Depth=1
	s_or_b64 exec, exec, s[6:7]
	s_waitcnt vmcnt(0)
	ds_write_b64 v21, v[16:17]
	s_waitcnt lgkmcnt(0)
	s_barrier
	ds_read2_b64 v[24:27], v22 offset1:16
	ds_read_b128 v[28:31], v23
	ds_read_b128 v[32:35], v23 offset:1024
	s_add_u32 s10, s10, 8
	v_add_co_u32_e32 v2, vcc, 64, v2
	s_waitcnt lgkmcnt(1)
	v_fma_f64 v[14:15], v[24:25], v[28:29], v[14:15]
	v_fma_f64 v[12:13], v[26:27], v[28:29], v[12:13]
	s_waitcnt lgkmcnt(0)
	v_fma_f64 v[16:17], v[24:25], v[32:33], v[10:11]
	v_fma_f64 v[24:25], v[26:27], v[32:33], v[8:9]
	ds_read2_b64 v[8:11], v22 offset0:32 offset1:48
	v_addc_co_u32_e32 v3, vcc, 0, v3, vcc
	s_addc_u32 s11, s11, 0
	v_cmp_ge_i64_e32 vcc, s[10:11], v[6:7]
	s_waitcnt lgkmcnt(0)
	v_fma_f64 v[28:29], v[8:9], v[30:31], v[14:15]
	v_fma_f64 v[30:31], v[10:11], v[30:31], v[12:13]
	;; [unrolled: 1-line block ×4, first 2 shown]
	ds_read_b128 v[12:15], v23 offset:16
	ds_read2_b64 v[8:11], v22 offset0:64 offset1:80
	ds_read_b128 v[24:27], v23 offset:1040
	v_add_co_u32_e64 v4, s[6:7], 64, v4
	v_addc_co_u32_e64 v5, s[6:7], 0, v5, s[6:7]
	s_waitcnt lgkmcnt(1)
	v_fma_f64 v[28:29], v[8:9], v[12:13], v[28:29]
	v_fma_f64 v[12:13], v[10:11], v[12:13], v[30:31]
	s_waitcnt lgkmcnt(0)
	v_fma_f64 v[16:17], v[8:9], v[24:25], v[16:17]
	v_fma_f64 v[24:25], v[10:11], v[24:25], v[32:33]
	ds_read2_b64 v[8:11], v22 offset0:96 offset1:112
	s_and_b64 vcc, exec, vcc
	s_waitcnt lgkmcnt(0)
	v_fma_f64 v[28:29], v[8:9], v[14:15], v[28:29]
	v_fma_f64 v[30:31], v[10:11], v[14:15], v[12:13]
	;; [unrolled: 1-line block ×4, first 2 shown]
	ds_read2_b64 v[12:15], v22 offset0:128 offset1:144
	ds_read_b128 v[8:11], v23 offset:32
	ds_read_b128 v[24:27], v23 offset:1056
	s_waitcnt lgkmcnt(1)
	v_fma_f64 v[28:29], v[12:13], v[8:9], v[28:29]
	v_fma_f64 v[8:9], v[14:15], v[8:9], v[30:31]
	s_waitcnt lgkmcnt(0)
	v_fma_f64 v[16:17], v[12:13], v[24:25], v[16:17]
	v_fma_f64 v[24:25], v[14:15], v[24:25], v[32:33]
	ds_read2_b64 v[12:15], v22 offset0:160 offset1:176
	s_waitcnt lgkmcnt(0)
	v_fma_f64 v[28:29], v[12:13], v[10:11], v[28:29]
	v_fma_f64 v[30:31], v[14:15], v[10:11], v[8:9]
	v_fma_f64 v[16:17], v[12:13], v[26:27], v[16:17]
	v_fma_f64 v[32:33], v[14:15], v[26:27], v[24:25]
	ds_read_b128 v[8:11], v23 offset:48
	ds_read2_b64 v[12:15], v22 offset0:192 offset1:208
	ds_read_b128 v[24:27], v23 offset:1072
	s_waitcnt lgkmcnt(1)
	v_fma_f64 v[34:35], v[12:13], v[8:9], v[28:29]
	v_fma_f64 v[8:9], v[14:15], v[8:9], v[30:31]
	s_waitcnt lgkmcnt(0)
	v_fma_f64 v[16:17], v[12:13], v[24:25], v[16:17]
	v_fma_f64 v[24:25], v[14:15], v[24:25], v[32:33]
	ds_read2_b64 v[28:31], v22 offset0:224 offset1:240
	s_waitcnt lgkmcnt(0)
	s_barrier
	v_fma_f64 v[14:15], v[28:29], v[10:11], v[34:35]
	v_fma_f64 v[12:13], v[30:31], v[10:11], v[8:9]
	v_fma_f64 v[10:11], v[28:29], v[26:27], v[16:17]
	v_fma_f64 v[8:9], v[30:31], v[26:27], v[24:25]
	s_cbranch_vccnz .LBB1066_8
.LBB1066_3:                             ; =>This Inner Loop Header: Depth=1
	v_mov_b32_e32 v17, s11
	v_add_co_u32_e32 v16, vcc, s10, v18
	v_addc_co_u32_e32 v17, vcc, 0, v17, vcc
	v_cmp_gt_i64_e32 vcc, s[12:13], v[16:17]
	v_mov_b32_e32 v16, 0
	v_mov_b32_e32 v17, 0
	s_and_b64 s[16:17], s[0:1], vcc
	s_and_saveexec_b64 s[6:7], s[16:17]
	s_cbranch_execz .LBB1066_5
; %bb.4:                                ;   in Loop: Header=BB1066_3 Depth=1
	global_load_dwordx2 v[16:17], v[2:3], off
.LBB1066_5:                             ;   in Loop: Header=BB1066_3 Depth=1
	s_or_b64 exec, exec, s[6:7]
	s_waitcnt vmcnt(0)
	ds_write_b64 v20, v[16:17]
	v_mov_b32_e32 v17, s11
	v_add_co_u32_e32 v16, vcc, s10, v19
	v_addc_co_u32_e32 v17, vcc, 0, v17, vcc
	v_cmp_gt_i64_e32 vcc, s[12:13], v[16:17]
	v_mov_b32_e32 v16, 0
	v_mov_b32_e32 v17, 0
	s_and_b64 s[16:17], vcc, s[2:3]
	s_and_saveexec_b64 s[6:7], s[16:17]
	s_cbranch_execz .LBB1066_2
; %bb.6:                                ;   in Loop: Header=BB1066_3 Depth=1
	global_load_dwordx2 v[16:17], v[4:5], off
	s_branch .LBB1066_2
.LBB1066_7:
	v_mov_b32_e32 v14, 0
	v_mov_b32_e32 v12, 0
	;; [unrolled: 1-line block ×8, first 2 shown]
.LBB1066_8:
	s_load_dwordx2 s[6:7], s[4:5], 0x60
	s_load_dwordx4 s[0:3], s[4:5], 0x50
	v_add_u32_e32 v4, s29, v1
	v_ashrrev_i32_e32 v1, 31, v4
	v_add_u32_e32 v0, s28, v0
	s_waitcnt lgkmcnt(0)
	s_mul_i32 s5, s7, s8
	v_mul_lo_u32 v3, s2, v1
	v_mul_lo_u32 v5, s3, v4
	v_mad_u64_u32 v[1:2], s[10:11], s2, v4, 0
	s_mul_hi_u32 s7, s6, s8
	s_mul_i32 s4, s6, s8
	s_add_i32 s5, s7, s5
	s_lshl_b64 s[4:5], s[4:5], 3
	v_add3_u32 v2, v2, v3, v5
	s_add_u32 s6, s0, s4
	v_lshlrev_b64 v[1:2], 3, v[1:2]
	s_addc_u32 s7, s1, s5
	v_mov_b32_e32 v3, s7
	v_add_co_u32_e64 v5, s[0:1], s6, v1
	v_addc_co_u32_e64 v6, s[0:1], v3, v2, s[0:1]
	v_cmp_gt_i32_e32 vcc, s9, v4
	v_cmp_le_i32_e64 s[0:1], v0, v4
	s_and_b64 s[0:1], vcc, s[0:1]
	s_and_saveexec_b64 s[4:5], s[0:1]
	s_cbranch_execz .LBB1066_10
; %bb.9:
	v_mul_f64 v[2:3], s[14:15], v[14:15]
	v_ashrrev_i32_e32 v1, 31, v0
	v_lshlrev_b64 v[14:15], 3, v[0:1]
	v_add_co_u32_e64 v14, s[0:1], v5, v14
	v_addc_co_u32_e64 v15, s[0:1], v6, v15, s[0:1]
	global_store_dwordx2 v[14:15], v[2:3], off
.LBB1066_10:
	s_or_b64 exec, exec, s[4:5]
	v_add_u32_e32 v2, 16, v0
	v_cmp_le_i32_e64 s[0:1], v2, v4
	s_and_b64 s[4:5], vcc, s[0:1]
	s_and_saveexec_b64 s[0:1], s[4:5]
	s_cbranch_execz .LBB1066_12
; %bb.11:
	v_mul_f64 v[12:13], s[14:15], v[12:13]
	v_ashrrev_i32_e32 v3, 31, v2
	v_lshlrev_b64 v[14:15], 3, v[2:3]
	v_add_co_u32_e32 v5, vcc, v5, v14
	v_addc_co_u32_e32 v6, vcc, v6, v15, vcc
	global_store_dwordx2 v[5:6], v[12:13], off
.LBB1066_12:
	s_or_b64 exec, exec, s[0:1]
	v_add_u32_e32 v3, 16, v4
	v_ashrrev_i32_e32 v1, 31, v3
	v_mul_lo_u32 v1, s2, v1
	v_mul_lo_u32 v6, s3, v3
	v_mad_u64_u32 v[4:5], s[0:1], s2, v3, 0
	v_cmp_gt_i32_e32 vcc, s9, v3
	v_add3_u32 v5, v5, v1, v6
	v_lshlrev_b64 v[4:5], 3, v[4:5]
	v_mov_b32_e32 v1, s7
	v_add_co_u32_e64 v4, s[0:1], s6, v4
	v_addc_co_u32_e64 v5, s[0:1], v1, v5, s[0:1]
	v_cmp_le_i32_e64 s[0:1], v0, v3
	s_and_b64 s[0:1], vcc, s[0:1]
	s_and_saveexec_b64 s[2:3], s[0:1]
	s_cbranch_execz .LBB1066_14
; %bb.13:
	v_mul_f64 v[6:7], s[14:15], v[10:11]
	v_ashrrev_i32_e32 v1, 31, v0
	v_lshlrev_b64 v[0:1], 3, v[0:1]
	v_add_co_u32_e64 v0, s[0:1], v4, v0
	v_addc_co_u32_e64 v1, s[0:1], v5, v1, s[0:1]
	global_store_dwordx2 v[0:1], v[6:7], off
.LBB1066_14:
	s_or_b64 exec, exec, s[2:3]
	v_cmp_le_i32_e64 s[0:1], v2, v3
	s_and_b64 s[0:1], vcc, s[0:1]
	s_and_saveexec_b64 s[2:3], s[0:1]
	s_cbranch_execz .LBB1066_16
; %bb.15:
	v_mul_f64 v[0:1], s[14:15], v[8:9]
	v_ashrrev_i32_e32 v3, 31, v2
	v_lshlrev_b64 v[2:3], 3, v[2:3]
	v_add_co_u32_e32 v2, vcc, v4, v2
	v_addc_co_u32_e32 v3, vcc, v5, v3, vcc
	global_store_dwordx2 v[2:3], v[0:1], off
.LBB1066_16:
	s_endpgm
	.section	.rodata,"a",@progbits
	.p2align	6, 0x0
	.amdhsa_kernel _ZL34rocblas_syrkx_herkx_general_kernelIldLi16ELi32ELi8ELb1ELb0ELc84ELc85EKddEviT_T0_PT8_S1_lS4_S1_lS2_PT9_S1_li
		.amdhsa_group_segment_fixed_size 4096
		.amdhsa_private_segment_fixed_size 0
		.amdhsa_kernarg_size 108
		.amdhsa_user_sgpr_count 6
		.amdhsa_user_sgpr_private_segment_buffer 1
		.amdhsa_user_sgpr_dispatch_ptr 0
		.amdhsa_user_sgpr_queue_ptr 0
		.amdhsa_user_sgpr_kernarg_segment_ptr 1
		.amdhsa_user_sgpr_dispatch_id 0
		.amdhsa_user_sgpr_flat_scratch_init 0
		.amdhsa_user_sgpr_private_segment_size 0
		.amdhsa_uses_dynamic_stack 0
		.amdhsa_system_sgpr_private_segment_wavefront_offset 0
		.amdhsa_system_sgpr_workgroup_id_x 1
		.amdhsa_system_sgpr_workgroup_id_y 1
		.amdhsa_system_sgpr_workgroup_id_z 1
		.amdhsa_system_sgpr_workgroup_info 0
		.amdhsa_system_vgpr_workitem_id 1
		.amdhsa_next_free_vgpr 36
		.amdhsa_next_free_sgpr 30
		.amdhsa_reserve_vcc 1
		.amdhsa_reserve_flat_scratch 0
		.amdhsa_float_round_mode_32 0
		.amdhsa_float_round_mode_16_64 0
		.amdhsa_float_denorm_mode_32 3
		.amdhsa_float_denorm_mode_16_64 3
		.amdhsa_dx10_clamp 1
		.amdhsa_ieee_mode 1
		.amdhsa_fp16_overflow 0
		.amdhsa_exception_fp_ieee_invalid_op 0
		.amdhsa_exception_fp_denorm_src 0
		.amdhsa_exception_fp_ieee_div_zero 0
		.amdhsa_exception_fp_ieee_overflow 0
		.amdhsa_exception_fp_ieee_underflow 0
		.amdhsa_exception_fp_ieee_inexact 0
		.amdhsa_exception_int_div_zero 0
	.end_amdhsa_kernel
	.section	.text._ZL34rocblas_syrkx_herkx_general_kernelIldLi16ELi32ELi8ELb1ELb0ELc84ELc85EKddEviT_T0_PT8_S1_lS4_S1_lS2_PT9_S1_li,"axG",@progbits,_ZL34rocblas_syrkx_herkx_general_kernelIldLi16ELi32ELi8ELb1ELb0ELc84ELc85EKddEviT_T0_PT8_S1_lS4_S1_lS2_PT9_S1_li,comdat
.Lfunc_end1066:
	.size	_ZL34rocblas_syrkx_herkx_general_kernelIldLi16ELi32ELi8ELb1ELb0ELc84ELc85EKddEviT_T0_PT8_S1_lS4_S1_lS2_PT9_S1_li, .Lfunc_end1066-_ZL34rocblas_syrkx_herkx_general_kernelIldLi16ELi32ELi8ELb1ELb0ELc84ELc85EKddEviT_T0_PT8_S1_lS4_S1_lS2_PT9_S1_li
                                        ; -- End function
	.set _ZL34rocblas_syrkx_herkx_general_kernelIldLi16ELi32ELi8ELb1ELb0ELc84ELc85EKddEviT_T0_PT8_S1_lS4_S1_lS2_PT9_S1_li.num_vgpr, 36
	.set _ZL34rocblas_syrkx_herkx_general_kernelIldLi16ELi32ELi8ELb1ELb0ELc84ELc85EKddEviT_T0_PT8_S1_lS4_S1_lS2_PT9_S1_li.num_agpr, 0
	.set _ZL34rocblas_syrkx_herkx_general_kernelIldLi16ELi32ELi8ELb1ELb0ELc84ELc85EKddEviT_T0_PT8_S1_lS4_S1_lS2_PT9_S1_li.numbered_sgpr, 30
	.set _ZL34rocblas_syrkx_herkx_general_kernelIldLi16ELi32ELi8ELb1ELb0ELc84ELc85EKddEviT_T0_PT8_S1_lS4_S1_lS2_PT9_S1_li.num_named_barrier, 0
	.set _ZL34rocblas_syrkx_herkx_general_kernelIldLi16ELi32ELi8ELb1ELb0ELc84ELc85EKddEviT_T0_PT8_S1_lS4_S1_lS2_PT9_S1_li.private_seg_size, 0
	.set _ZL34rocblas_syrkx_herkx_general_kernelIldLi16ELi32ELi8ELb1ELb0ELc84ELc85EKddEviT_T0_PT8_S1_lS4_S1_lS2_PT9_S1_li.uses_vcc, 1
	.set _ZL34rocblas_syrkx_herkx_general_kernelIldLi16ELi32ELi8ELb1ELb0ELc84ELc85EKddEviT_T0_PT8_S1_lS4_S1_lS2_PT9_S1_li.uses_flat_scratch, 0
	.set _ZL34rocblas_syrkx_herkx_general_kernelIldLi16ELi32ELi8ELb1ELb0ELc84ELc85EKddEviT_T0_PT8_S1_lS4_S1_lS2_PT9_S1_li.has_dyn_sized_stack, 0
	.set _ZL34rocblas_syrkx_herkx_general_kernelIldLi16ELi32ELi8ELb1ELb0ELc84ELc85EKddEviT_T0_PT8_S1_lS4_S1_lS2_PT9_S1_li.has_recursion, 0
	.set _ZL34rocblas_syrkx_herkx_general_kernelIldLi16ELi32ELi8ELb1ELb0ELc84ELc85EKddEviT_T0_PT8_S1_lS4_S1_lS2_PT9_S1_li.has_indirect_call, 0
	.section	.AMDGPU.csdata,"",@progbits
; Kernel info:
; codeLenInByte = 1492
; TotalNumSgprs: 34
; NumVgprs: 36
; ScratchSize: 0
; MemoryBound: 0
; FloatMode: 240
; IeeeMode: 1
; LDSByteSize: 4096 bytes/workgroup (compile time only)
; SGPRBlocks: 4
; VGPRBlocks: 8
; NumSGPRsForWavesPerEU: 34
; NumVGPRsForWavesPerEU: 36
; Occupancy: 7
; WaveLimiterHint : 0
; COMPUTE_PGM_RSRC2:SCRATCH_EN: 0
; COMPUTE_PGM_RSRC2:USER_SGPR: 6
; COMPUTE_PGM_RSRC2:TRAP_HANDLER: 0
; COMPUTE_PGM_RSRC2:TGID_X_EN: 1
; COMPUTE_PGM_RSRC2:TGID_Y_EN: 1
; COMPUTE_PGM_RSRC2:TGID_Z_EN: 1
; COMPUTE_PGM_RSRC2:TIDIG_COMP_CNT: 1
	.section	.text._ZL34rocblas_syrkx_herkx_general_kernelIldLi16ELi32ELi8ELb1ELb0ELc67ELc85EKddEviT_T0_PT8_S1_lS4_S1_lS2_PT9_S1_li,"axG",@progbits,_ZL34rocblas_syrkx_herkx_general_kernelIldLi16ELi32ELi8ELb1ELb0ELc67ELc85EKddEviT_T0_PT8_S1_lS4_S1_lS2_PT9_S1_li,comdat
	.globl	_ZL34rocblas_syrkx_herkx_general_kernelIldLi16ELi32ELi8ELb1ELb0ELc67ELc85EKddEviT_T0_PT8_S1_lS4_S1_lS2_PT9_S1_li ; -- Begin function _ZL34rocblas_syrkx_herkx_general_kernelIldLi16ELi32ELi8ELb1ELb0ELc67ELc85EKddEviT_T0_PT8_S1_lS4_S1_lS2_PT9_S1_li
	.p2align	8
	.type	_ZL34rocblas_syrkx_herkx_general_kernelIldLi16ELi32ELi8ELb1ELb0ELc67ELc85EKddEviT_T0_PT8_S1_lS4_S1_lS2_PT9_S1_li,@function
_ZL34rocblas_syrkx_herkx_general_kernelIldLi16ELi32ELi8ELb1ELb0ELc67ELc85EKddEviT_T0_PT8_S1_lS4_S1_lS2_PT9_S1_li: ; @_ZL34rocblas_syrkx_herkx_general_kernelIldLi16ELi32ELi8ELb1ELb0ELc67ELc85EKddEviT_T0_PT8_S1_lS4_S1_lS2_PT9_S1_li
; %bb.0:
	s_load_dwordx16 s[12:27], s[4:5], 0x8
	s_load_dword s9, s[4:5], 0x0
	s_lshl_b32 s28, s6, 5
	s_lshl_b32 s29, s7, 5
	s_waitcnt lgkmcnt(0)
	v_cmp_lt_i64_e64 s[0:1], s[12:13], 1
	s_and_b64 vcc, exec, s[0:1]
	s_cbranch_vccnz .LBB1067_7
; %bb.1:
	v_lshl_add_u32 v2, v1, 4, v0
	v_and_b32_e32 v5, 31, v2
	v_or_b32_e32 v6, s28, v5
	v_and_b32_e32 v19, 7, v0
	v_lshrrev_b32_e32 v3, 3, v2
	v_lshrrev_b32_e32 v18, 5, v2
	v_cmp_gt_i32_e64 s[0:1], s9, v6
	v_lshlrev_b32_e32 v2, 3, v5
	v_lshlrev_b32_e32 v6, 3, v19
	v_lshl_or_b32 v20, v18, 8, v2
	v_lshl_or_b32 v2, v3, 6, v6
	v_add_u32_e32 v21, 0x800, v2
	v_add_u32_e32 v2, s28, v5
	;; [unrolled: 1-line block ×3, first 2 shown]
	v_ashrrev_i32_e32 v3, 31, v2
	v_mul_lo_u32 v5, s18, v3
	v_mul_lo_u32 v8, s19, v2
	v_mad_u64_u32 v[2:3], s[6:7], s18, v2, 0
	s_mul_i32 s6, s21, s8
	s_mul_hi_u32 s7, s20, s8
	v_add3_u32 v3, v3, v5, v8
	v_lshlrev_b64 v[2:3], 3, v[2:3]
	s_add_i32 s7, s7, s6
	s_mul_i32 s6, s20, s8
	s_lshl_b64 s[6:7], s[6:7], 3
	v_mov_b32_e32 v5, s7
	v_add_co_u32_e32 v2, vcc, s6, v2
	v_ashrrev_i32_e32 v7, 31, v4
	v_mov_b32_e32 v9, 0x800
	v_addc_co_u32_e32 v3, vcc, v3, v5, vcc
	v_lshlrev_b32_e32 v5, 3, v18
	v_cmp_gt_i32_e64 s[2:3], s9, v4
	v_lshl_add_u32 v23, v1, 6, v9
	v_add_co_u32_e32 v2, vcc, v2, v5
	v_mul_lo_u32 v7, s24, v7
	v_mul_lo_u32 v9, s25, v4
	v_mad_u64_u32 v[4:5], s[6:7], s24, v4, 0
	v_addc_co_u32_e32 v3, vcc, 0, v3, vcc
	v_add3_u32 v5, v5, v7, v9
	s_mul_i32 s6, s27, s8
	s_mul_hi_u32 s7, s26, s8
	v_mov_b32_e32 v8, s17
	v_add_co_u32_e32 v2, vcc, s16, v2
	v_lshlrev_b64 v[4:5], 3, v[4:5]
	s_add_i32 s7, s7, s6
	s_mul_i32 s6, s26, s8
	v_addc_co_u32_e32 v3, vcc, v8, v3, vcc
	s_lshl_b64 s[6:7], s[6:7], 3
	v_mov_b32_e32 v7, s7
	v_add_co_u32_e32 v4, vcc, s6, v4
	v_addc_co_u32_e32 v5, vcc, v5, v7, vcc
	v_add_co_u32_e32 v4, vcc, v4, v6
	v_addc_co_u32_e32 v5, vcc, 0, v5, vcc
	v_mov_b32_e32 v6, s23
	v_add_co_u32_e32 v4, vcc, s22, v4
	v_addc_co_u32_e32 v5, vcc, v6, v5, vcc
	v_mov_b32_e32 v8, 0
	v_mov_b32_e32 v10, 0
	;; [unrolled: 1-line block ×5, first 2 shown]
	v_lshlrev_b32_e32 v22, 3, v0
	s_mov_b64 s[10:11], 0
	v_mov_b32_e32 v9, 0
	v_mov_b32_e32 v11, 0
	v_mov_b32_e32 v13, 0
	v_mov_b32_e32 v15, 0
	v_mov_b32_e32 v7, s13
	s_branch .LBB1067_3
.LBB1067_2:                             ;   in Loop: Header=BB1067_3 Depth=1
	s_or_b64 exec, exec, s[6:7]
	s_waitcnt vmcnt(0)
	ds_write_b64 v21, v[16:17]
	s_waitcnt lgkmcnt(0)
	s_barrier
	ds_read2_b64 v[24:27], v22 offset1:16
	ds_read_b128 v[28:31], v23
	ds_read_b128 v[32:35], v23 offset:1024
	s_add_u32 s10, s10, 8
	v_add_co_u32_e32 v2, vcc, 64, v2
	s_waitcnt lgkmcnt(1)
	v_fma_f64 v[14:15], v[24:25], v[28:29], v[14:15]
	v_fma_f64 v[12:13], v[26:27], v[28:29], v[12:13]
	s_waitcnt lgkmcnt(0)
	v_fma_f64 v[16:17], v[24:25], v[32:33], v[10:11]
	v_fma_f64 v[24:25], v[26:27], v[32:33], v[8:9]
	ds_read2_b64 v[8:11], v22 offset0:32 offset1:48
	v_addc_co_u32_e32 v3, vcc, 0, v3, vcc
	s_addc_u32 s11, s11, 0
	v_cmp_ge_i64_e32 vcc, s[10:11], v[6:7]
	s_waitcnt lgkmcnt(0)
	v_fma_f64 v[28:29], v[8:9], v[30:31], v[14:15]
	v_fma_f64 v[30:31], v[10:11], v[30:31], v[12:13]
	v_fma_f64 v[16:17], v[8:9], v[34:35], v[16:17]
	v_fma_f64 v[32:33], v[10:11], v[34:35], v[24:25]
	ds_read_b128 v[12:15], v23 offset:16
	ds_read2_b64 v[8:11], v22 offset0:64 offset1:80
	ds_read_b128 v[24:27], v23 offset:1040
	v_add_co_u32_e64 v4, s[6:7], 64, v4
	v_addc_co_u32_e64 v5, s[6:7], 0, v5, s[6:7]
	s_waitcnt lgkmcnt(1)
	v_fma_f64 v[28:29], v[8:9], v[12:13], v[28:29]
	v_fma_f64 v[12:13], v[10:11], v[12:13], v[30:31]
	s_waitcnt lgkmcnt(0)
	v_fma_f64 v[16:17], v[8:9], v[24:25], v[16:17]
	v_fma_f64 v[24:25], v[10:11], v[24:25], v[32:33]
	ds_read2_b64 v[8:11], v22 offset0:96 offset1:112
	s_and_b64 vcc, exec, vcc
	s_waitcnt lgkmcnt(0)
	v_fma_f64 v[28:29], v[8:9], v[14:15], v[28:29]
	v_fma_f64 v[30:31], v[10:11], v[14:15], v[12:13]
	;; [unrolled: 1-line block ×4, first 2 shown]
	ds_read2_b64 v[12:15], v22 offset0:128 offset1:144
	ds_read_b128 v[8:11], v23 offset:32
	ds_read_b128 v[24:27], v23 offset:1056
	s_waitcnt lgkmcnt(1)
	v_fma_f64 v[28:29], v[12:13], v[8:9], v[28:29]
	v_fma_f64 v[8:9], v[14:15], v[8:9], v[30:31]
	s_waitcnt lgkmcnt(0)
	v_fma_f64 v[16:17], v[12:13], v[24:25], v[16:17]
	v_fma_f64 v[24:25], v[14:15], v[24:25], v[32:33]
	ds_read2_b64 v[12:15], v22 offset0:160 offset1:176
	s_waitcnt lgkmcnt(0)
	v_fma_f64 v[28:29], v[12:13], v[10:11], v[28:29]
	v_fma_f64 v[30:31], v[14:15], v[10:11], v[8:9]
	;; [unrolled: 1-line block ×4, first 2 shown]
	ds_read_b128 v[8:11], v23 offset:48
	ds_read2_b64 v[12:15], v22 offset0:192 offset1:208
	ds_read_b128 v[24:27], v23 offset:1072
	s_waitcnt lgkmcnt(1)
	v_fma_f64 v[34:35], v[12:13], v[8:9], v[28:29]
	v_fma_f64 v[8:9], v[14:15], v[8:9], v[30:31]
	s_waitcnt lgkmcnt(0)
	v_fma_f64 v[16:17], v[12:13], v[24:25], v[16:17]
	v_fma_f64 v[24:25], v[14:15], v[24:25], v[32:33]
	ds_read2_b64 v[28:31], v22 offset0:224 offset1:240
	s_waitcnt lgkmcnt(0)
	s_barrier
	v_fma_f64 v[14:15], v[28:29], v[10:11], v[34:35]
	v_fma_f64 v[12:13], v[30:31], v[10:11], v[8:9]
	v_fma_f64 v[10:11], v[28:29], v[26:27], v[16:17]
	v_fma_f64 v[8:9], v[30:31], v[26:27], v[24:25]
	s_cbranch_vccnz .LBB1067_8
.LBB1067_3:                             ; =>This Inner Loop Header: Depth=1
	v_mov_b32_e32 v17, s11
	v_add_co_u32_e32 v16, vcc, s10, v18
	v_addc_co_u32_e32 v17, vcc, 0, v17, vcc
	v_cmp_gt_i64_e32 vcc, s[12:13], v[16:17]
	v_mov_b32_e32 v16, 0
	v_mov_b32_e32 v17, 0
	s_and_b64 s[16:17], s[0:1], vcc
	s_and_saveexec_b64 s[6:7], s[16:17]
	s_cbranch_execz .LBB1067_5
; %bb.4:                                ;   in Loop: Header=BB1067_3 Depth=1
	global_load_dwordx2 v[16:17], v[2:3], off
.LBB1067_5:                             ;   in Loop: Header=BB1067_3 Depth=1
	s_or_b64 exec, exec, s[6:7]
	s_waitcnt vmcnt(0)
	ds_write_b64 v20, v[16:17]
	v_mov_b32_e32 v17, s11
	v_add_co_u32_e32 v16, vcc, s10, v19
	v_addc_co_u32_e32 v17, vcc, 0, v17, vcc
	v_cmp_gt_i64_e32 vcc, s[12:13], v[16:17]
	v_mov_b32_e32 v16, 0
	v_mov_b32_e32 v17, 0
	s_and_b64 s[16:17], vcc, s[2:3]
	s_and_saveexec_b64 s[6:7], s[16:17]
	s_cbranch_execz .LBB1067_2
; %bb.6:                                ;   in Loop: Header=BB1067_3 Depth=1
	global_load_dwordx2 v[16:17], v[4:5], off
	s_branch .LBB1067_2
.LBB1067_7:
	v_mov_b32_e32 v14, 0
	v_mov_b32_e32 v12, 0
	;; [unrolled: 1-line block ×8, first 2 shown]
.LBB1067_8:
	s_load_dwordx2 s[6:7], s[4:5], 0x60
	s_load_dwordx4 s[0:3], s[4:5], 0x50
	v_add_u32_e32 v4, s29, v1
	v_ashrrev_i32_e32 v1, 31, v4
	v_add_u32_e32 v0, s28, v0
	s_waitcnt lgkmcnt(0)
	s_mul_i32 s5, s7, s8
	v_mul_lo_u32 v3, s2, v1
	v_mul_lo_u32 v5, s3, v4
	v_mad_u64_u32 v[1:2], s[10:11], s2, v4, 0
	s_mul_hi_u32 s7, s6, s8
	s_mul_i32 s4, s6, s8
	s_add_i32 s5, s7, s5
	s_lshl_b64 s[4:5], s[4:5], 3
	v_add3_u32 v2, v2, v3, v5
	s_add_u32 s6, s0, s4
	v_lshlrev_b64 v[1:2], 3, v[1:2]
	s_addc_u32 s7, s1, s5
	v_mov_b32_e32 v3, s7
	v_add_co_u32_e64 v5, s[0:1], s6, v1
	v_addc_co_u32_e64 v6, s[0:1], v3, v2, s[0:1]
	v_cmp_gt_i32_e32 vcc, s9, v4
	v_cmp_le_i32_e64 s[0:1], v0, v4
	s_and_b64 s[0:1], vcc, s[0:1]
	s_and_saveexec_b64 s[4:5], s[0:1]
	s_cbranch_execz .LBB1067_10
; %bb.9:
	v_mul_f64 v[2:3], s[14:15], v[14:15]
	v_ashrrev_i32_e32 v1, 31, v0
	v_lshlrev_b64 v[14:15], 3, v[0:1]
	v_add_co_u32_e64 v14, s[0:1], v5, v14
	v_addc_co_u32_e64 v15, s[0:1], v6, v15, s[0:1]
	global_store_dwordx2 v[14:15], v[2:3], off
.LBB1067_10:
	s_or_b64 exec, exec, s[4:5]
	v_add_u32_e32 v2, 16, v0
	v_cmp_le_i32_e64 s[0:1], v2, v4
	s_and_b64 s[4:5], vcc, s[0:1]
	s_and_saveexec_b64 s[0:1], s[4:5]
	s_cbranch_execz .LBB1067_12
; %bb.11:
	v_mul_f64 v[12:13], s[14:15], v[12:13]
	v_ashrrev_i32_e32 v3, 31, v2
	v_lshlrev_b64 v[14:15], 3, v[2:3]
	v_add_co_u32_e32 v5, vcc, v5, v14
	v_addc_co_u32_e32 v6, vcc, v6, v15, vcc
	global_store_dwordx2 v[5:6], v[12:13], off
.LBB1067_12:
	s_or_b64 exec, exec, s[0:1]
	v_add_u32_e32 v3, 16, v4
	v_ashrrev_i32_e32 v1, 31, v3
	v_mul_lo_u32 v1, s2, v1
	v_mul_lo_u32 v6, s3, v3
	v_mad_u64_u32 v[4:5], s[0:1], s2, v3, 0
	v_cmp_gt_i32_e32 vcc, s9, v3
	v_add3_u32 v5, v5, v1, v6
	v_lshlrev_b64 v[4:5], 3, v[4:5]
	v_mov_b32_e32 v1, s7
	v_add_co_u32_e64 v4, s[0:1], s6, v4
	v_addc_co_u32_e64 v5, s[0:1], v1, v5, s[0:1]
	v_cmp_le_i32_e64 s[0:1], v0, v3
	s_and_b64 s[0:1], vcc, s[0:1]
	s_and_saveexec_b64 s[2:3], s[0:1]
	s_cbranch_execz .LBB1067_14
; %bb.13:
	v_mul_f64 v[6:7], s[14:15], v[10:11]
	v_ashrrev_i32_e32 v1, 31, v0
	v_lshlrev_b64 v[0:1], 3, v[0:1]
	v_add_co_u32_e64 v0, s[0:1], v4, v0
	v_addc_co_u32_e64 v1, s[0:1], v5, v1, s[0:1]
	global_store_dwordx2 v[0:1], v[6:7], off
.LBB1067_14:
	s_or_b64 exec, exec, s[2:3]
	v_cmp_le_i32_e64 s[0:1], v2, v3
	s_and_b64 s[0:1], vcc, s[0:1]
	s_and_saveexec_b64 s[2:3], s[0:1]
	s_cbranch_execz .LBB1067_16
; %bb.15:
	v_mul_f64 v[0:1], s[14:15], v[8:9]
	v_ashrrev_i32_e32 v3, 31, v2
	v_lshlrev_b64 v[2:3], 3, v[2:3]
	v_add_co_u32_e32 v2, vcc, v4, v2
	v_addc_co_u32_e32 v3, vcc, v5, v3, vcc
	global_store_dwordx2 v[2:3], v[0:1], off
.LBB1067_16:
	s_endpgm
	.section	.rodata,"a",@progbits
	.p2align	6, 0x0
	.amdhsa_kernel _ZL34rocblas_syrkx_herkx_general_kernelIldLi16ELi32ELi8ELb1ELb0ELc67ELc85EKddEviT_T0_PT8_S1_lS4_S1_lS2_PT9_S1_li
		.amdhsa_group_segment_fixed_size 4096
		.amdhsa_private_segment_fixed_size 0
		.amdhsa_kernarg_size 108
		.amdhsa_user_sgpr_count 6
		.amdhsa_user_sgpr_private_segment_buffer 1
		.amdhsa_user_sgpr_dispatch_ptr 0
		.amdhsa_user_sgpr_queue_ptr 0
		.amdhsa_user_sgpr_kernarg_segment_ptr 1
		.amdhsa_user_sgpr_dispatch_id 0
		.amdhsa_user_sgpr_flat_scratch_init 0
		.amdhsa_user_sgpr_private_segment_size 0
		.amdhsa_uses_dynamic_stack 0
		.amdhsa_system_sgpr_private_segment_wavefront_offset 0
		.amdhsa_system_sgpr_workgroup_id_x 1
		.amdhsa_system_sgpr_workgroup_id_y 1
		.amdhsa_system_sgpr_workgroup_id_z 1
		.amdhsa_system_sgpr_workgroup_info 0
		.amdhsa_system_vgpr_workitem_id 1
		.amdhsa_next_free_vgpr 36
		.amdhsa_next_free_sgpr 30
		.amdhsa_reserve_vcc 1
		.amdhsa_reserve_flat_scratch 0
		.amdhsa_float_round_mode_32 0
		.amdhsa_float_round_mode_16_64 0
		.amdhsa_float_denorm_mode_32 3
		.amdhsa_float_denorm_mode_16_64 3
		.amdhsa_dx10_clamp 1
		.amdhsa_ieee_mode 1
		.amdhsa_fp16_overflow 0
		.amdhsa_exception_fp_ieee_invalid_op 0
		.amdhsa_exception_fp_denorm_src 0
		.amdhsa_exception_fp_ieee_div_zero 0
		.amdhsa_exception_fp_ieee_overflow 0
		.amdhsa_exception_fp_ieee_underflow 0
		.amdhsa_exception_fp_ieee_inexact 0
		.amdhsa_exception_int_div_zero 0
	.end_amdhsa_kernel
	.section	.text._ZL34rocblas_syrkx_herkx_general_kernelIldLi16ELi32ELi8ELb1ELb0ELc67ELc85EKddEviT_T0_PT8_S1_lS4_S1_lS2_PT9_S1_li,"axG",@progbits,_ZL34rocblas_syrkx_herkx_general_kernelIldLi16ELi32ELi8ELb1ELb0ELc67ELc85EKddEviT_T0_PT8_S1_lS4_S1_lS2_PT9_S1_li,comdat
.Lfunc_end1067:
	.size	_ZL34rocblas_syrkx_herkx_general_kernelIldLi16ELi32ELi8ELb1ELb0ELc67ELc85EKddEviT_T0_PT8_S1_lS4_S1_lS2_PT9_S1_li, .Lfunc_end1067-_ZL34rocblas_syrkx_herkx_general_kernelIldLi16ELi32ELi8ELb1ELb0ELc67ELc85EKddEviT_T0_PT8_S1_lS4_S1_lS2_PT9_S1_li
                                        ; -- End function
	.set _ZL34rocblas_syrkx_herkx_general_kernelIldLi16ELi32ELi8ELb1ELb0ELc67ELc85EKddEviT_T0_PT8_S1_lS4_S1_lS2_PT9_S1_li.num_vgpr, 36
	.set _ZL34rocblas_syrkx_herkx_general_kernelIldLi16ELi32ELi8ELb1ELb0ELc67ELc85EKddEviT_T0_PT8_S1_lS4_S1_lS2_PT9_S1_li.num_agpr, 0
	.set _ZL34rocblas_syrkx_herkx_general_kernelIldLi16ELi32ELi8ELb1ELb0ELc67ELc85EKddEviT_T0_PT8_S1_lS4_S1_lS2_PT9_S1_li.numbered_sgpr, 30
	.set _ZL34rocblas_syrkx_herkx_general_kernelIldLi16ELi32ELi8ELb1ELb0ELc67ELc85EKddEviT_T0_PT8_S1_lS4_S1_lS2_PT9_S1_li.num_named_barrier, 0
	.set _ZL34rocblas_syrkx_herkx_general_kernelIldLi16ELi32ELi8ELb1ELb0ELc67ELc85EKddEviT_T0_PT8_S1_lS4_S1_lS2_PT9_S1_li.private_seg_size, 0
	.set _ZL34rocblas_syrkx_herkx_general_kernelIldLi16ELi32ELi8ELb1ELb0ELc67ELc85EKddEviT_T0_PT8_S1_lS4_S1_lS2_PT9_S1_li.uses_vcc, 1
	.set _ZL34rocblas_syrkx_herkx_general_kernelIldLi16ELi32ELi8ELb1ELb0ELc67ELc85EKddEviT_T0_PT8_S1_lS4_S1_lS2_PT9_S1_li.uses_flat_scratch, 0
	.set _ZL34rocblas_syrkx_herkx_general_kernelIldLi16ELi32ELi8ELb1ELb0ELc67ELc85EKddEviT_T0_PT8_S1_lS4_S1_lS2_PT9_S1_li.has_dyn_sized_stack, 0
	.set _ZL34rocblas_syrkx_herkx_general_kernelIldLi16ELi32ELi8ELb1ELb0ELc67ELc85EKddEviT_T0_PT8_S1_lS4_S1_lS2_PT9_S1_li.has_recursion, 0
	.set _ZL34rocblas_syrkx_herkx_general_kernelIldLi16ELi32ELi8ELb1ELb0ELc67ELc85EKddEviT_T0_PT8_S1_lS4_S1_lS2_PT9_S1_li.has_indirect_call, 0
	.section	.AMDGPU.csdata,"",@progbits
; Kernel info:
; codeLenInByte = 1492
; TotalNumSgprs: 34
; NumVgprs: 36
; ScratchSize: 0
; MemoryBound: 0
; FloatMode: 240
; IeeeMode: 1
; LDSByteSize: 4096 bytes/workgroup (compile time only)
; SGPRBlocks: 4
; VGPRBlocks: 8
; NumSGPRsForWavesPerEU: 34
; NumVGPRsForWavesPerEU: 36
; Occupancy: 7
; WaveLimiterHint : 0
; COMPUTE_PGM_RSRC2:SCRATCH_EN: 0
; COMPUTE_PGM_RSRC2:USER_SGPR: 6
; COMPUTE_PGM_RSRC2:TRAP_HANDLER: 0
; COMPUTE_PGM_RSRC2:TGID_X_EN: 1
; COMPUTE_PGM_RSRC2:TGID_Y_EN: 1
; COMPUTE_PGM_RSRC2:TGID_Z_EN: 1
; COMPUTE_PGM_RSRC2:TIDIG_COMP_CNT: 1
	.section	.text._ZL34rocblas_syrkx_herkx_general_kernelIldLi16ELi32ELi8ELb1ELb0ELc78ELc85EKddEviT_T0_PT8_S1_lS4_S1_lS2_PT9_S1_li,"axG",@progbits,_ZL34rocblas_syrkx_herkx_general_kernelIldLi16ELi32ELi8ELb1ELb0ELc78ELc85EKddEviT_T0_PT8_S1_lS4_S1_lS2_PT9_S1_li,comdat
	.globl	_ZL34rocblas_syrkx_herkx_general_kernelIldLi16ELi32ELi8ELb1ELb0ELc78ELc85EKddEviT_T0_PT8_S1_lS4_S1_lS2_PT9_S1_li ; -- Begin function _ZL34rocblas_syrkx_herkx_general_kernelIldLi16ELi32ELi8ELb1ELb0ELc78ELc85EKddEviT_T0_PT8_S1_lS4_S1_lS2_PT9_S1_li
	.p2align	8
	.type	_ZL34rocblas_syrkx_herkx_general_kernelIldLi16ELi32ELi8ELb1ELb0ELc78ELc85EKddEviT_T0_PT8_S1_lS4_S1_lS2_PT9_S1_li,@function
_ZL34rocblas_syrkx_herkx_general_kernelIldLi16ELi32ELi8ELb1ELb0ELc78ELc85EKddEviT_T0_PT8_S1_lS4_S1_lS2_PT9_S1_li: ; @_ZL34rocblas_syrkx_herkx_general_kernelIldLi16ELi32ELi8ELb1ELb0ELc78ELc85EKddEviT_T0_PT8_S1_lS4_S1_lS2_PT9_S1_li
; %bb.0:
	s_load_dwordx16 s[12:27], s[4:5], 0x8
	s_load_dword s9, s[4:5], 0x0
	s_lshl_b32 s28, s6, 5
	s_lshl_b32 s29, s7, 5
	s_waitcnt lgkmcnt(0)
	v_cmp_lt_i64_e64 s[0:1], s[12:13], 1
	s_and_b64 vcc, exec, s[0:1]
	s_cbranch_vccnz .LBB1068_7
; %bb.1:
	v_lshl_add_u32 v2, v1, 4, v0
	v_and_b32_e32 v8, 31, v2
	v_lshrrev_b32_e32 v5, 3, v2
	v_or_b32_e32 v3, s28, v8
	v_lshrrev_b32_e32 v16, 5, v2
	v_lshlrev_b32_e32 v2, 3, v8
	v_cmp_gt_i32_e64 s[0:1], s9, v3
	v_lshl_or_b32 v18, v16, 8, v2
	v_mad_u64_u32 v[2:3], s[6:7], s18, v16, 0
	v_and_b32_e32 v17, 7, v0
	v_add_u32_e32 v4, s29, v5
	v_lshlrev_b32_e32 v6, 3, v17
	v_lshl_or_b32 v5, v5, 6, v6
	v_mad_u64_u32 v[6:7], s[6:7], s19, v16, v[3:4]
	v_mov_b32_e32 v3, 0x800
	v_lshl_add_u32 v21, v1, 6, v3
	v_mov_b32_e32 v3, v6
	s_mul_i32 s6, s21, s8
	s_mul_hi_u32 s7, s20, s8
	v_lshlrev_b64 v[2:3], 3, v[2:3]
	s_add_i32 s7, s7, s6
	s_mul_i32 s6, s20, s8
	s_lshl_b64 s[6:7], s[6:7], 3
	v_mov_b32_e32 v6, s7
	v_add_co_u32_e32 v7, vcc, s6, v2
	v_add_u32_e32 v2, s28, v8
	v_addc_co_u32_e32 v6, vcc, v3, v6, vcc
	v_ashrrev_i32_e32 v3, 31, v2
	v_lshlrev_b64 v[2:3], 3, v[2:3]
	v_add_u32_e32 v19, 0x800, v5
	v_add_co_u32_e32 v2, vcc, v7, v2
	v_addc_co_u32_e32 v3, vcc, v6, v3, vcc
	v_mov_b32_e32 v6, s17
	v_add_co_u32_e32 v2, vcc, s16, v2
	v_addc_co_u32_e32 v3, vcc, v6, v3, vcc
	v_mad_u64_u32 v[6:7], s[6:7], s24, v17, 0
	s_mul_i32 s16, s27, s8
	s_mul_hi_u32 s17, s26, s8
	v_mad_u64_u32 v[7:8], s[6:7], s25, v17, v[7:8]
	s_add_i32 s7, s17, s16
	s_mul_i32 s6, s26, s8
	v_lshlrev_b64 v[6:7], 3, v[6:7]
	v_ashrrev_i32_e32 v5, 31, v4
	s_lshl_b64 s[6:7], s[6:7], 3
	v_cmp_gt_i32_e64 s[2:3], s9, v4
	v_mov_b32_e32 v8, s7
	v_add_co_u32_e32 v6, vcc, s6, v6
	v_lshlrev_b64 v[4:5], 3, v[4:5]
	v_addc_co_u32_e32 v7, vcc, v8, v7, vcc
	v_add_co_u32_e32 v4, vcc, v6, v4
	v_addc_co_u32_e32 v5, vcc, v7, v5, vcc
	v_mov_b32_e32 v6, s23
	v_add_co_u32_e32 v4, vcc, s22, v4
	s_lshl_b64 s[10:11], s[18:19], 6
	v_addc_co_u32_e32 v5, vcc, v6, v5, vcc
	s_lshl_b64 s[16:17], s[24:25], 6
	v_mov_b32_e32 v6, 0
	v_mov_b32_e32 v8, 0
	;; [unrolled: 1-line block ×4, first 2 shown]
	v_lshlrev_b32_e32 v20, 3, v0
	s_mov_b64 s[18:19], 0
	v_mov_b32_e32 v7, 0
	v_mov_b32_e32 v22, s11
	;; [unrolled: 1-line block ×6, first 2 shown]
	s_branch .LBB1068_3
.LBB1068_2:                             ;   in Loop: Header=BB1068_3 Depth=1
	s_or_b64 exec, exec, s[6:7]
	s_waitcnt vmcnt(0)
	ds_write_b64 v19, v[14:15]
	s_waitcnt lgkmcnt(0)
	s_barrier
	ds_read2_b64 v[24:27], v20 offset1:16
	ds_read_b128 v[28:31], v21
	ds_read_b128 v[32:35], v21 offset:1024
	s_add_u32 s18, s18, 8
	v_add_co_u32_e32 v2, vcc, s10, v2
	s_waitcnt lgkmcnt(1)
	v_fma_f64 v[12:13], v[24:25], v[28:29], v[12:13]
	v_fma_f64 v[10:11], v[26:27], v[28:29], v[10:11]
	s_waitcnt lgkmcnt(0)
	v_fma_f64 v[14:15], v[24:25], v[32:33], v[8:9]
	v_fma_f64 v[24:25], v[26:27], v[32:33], v[6:7]
	ds_read2_b64 v[6:9], v20 offset0:32 offset1:48
	v_addc_co_u32_e32 v3, vcc, v3, v22, vcc
	s_addc_u32 s19, s19, 0
	v_add_co_u32_e64 v4, s[6:7], s16, v4
	s_waitcnt lgkmcnt(0)
	v_fma_f64 v[28:29], v[6:7], v[30:31], v[12:13]
	v_fma_f64 v[30:31], v[8:9], v[30:31], v[10:11]
	;; [unrolled: 1-line block ×4, first 2 shown]
	ds_read_b128 v[10:13], v21 offset:16
	ds_read2_b64 v[6:9], v20 offset0:64 offset1:80
	ds_read_b128 v[24:27], v21 offset:1040
	v_addc_co_u32_e64 v5, s[6:7], v5, v23, s[6:7]
	s_waitcnt lgkmcnt(1)
	v_fma_f64 v[28:29], v[6:7], v[10:11], v[28:29]
	v_fma_f64 v[10:11], v[8:9], v[10:11], v[30:31]
	s_waitcnt lgkmcnt(0)
	v_fma_f64 v[14:15], v[6:7], v[24:25], v[14:15]
	v_fma_f64 v[24:25], v[8:9], v[24:25], v[32:33]
	ds_read2_b64 v[6:9], v20 offset0:96 offset1:112
	s_waitcnt lgkmcnt(0)
	v_fma_f64 v[28:29], v[6:7], v[12:13], v[28:29]
	v_fma_f64 v[30:31], v[8:9], v[12:13], v[10:11]
	;; [unrolled: 1-line block ×4, first 2 shown]
	ds_read2_b64 v[10:13], v20 offset0:128 offset1:144
	ds_read_b128 v[6:9], v21 offset:32
	ds_read_b128 v[24:27], v21 offset:1056
	s_waitcnt lgkmcnt(1)
	v_fma_f64 v[28:29], v[10:11], v[6:7], v[28:29]
	v_fma_f64 v[6:7], v[12:13], v[6:7], v[30:31]
	s_waitcnt lgkmcnt(0)
	v_fma_f64 v[14:15], v[10:11], v[24:25], v[14:15]
	v_fma_f64 v[24:25], v[12:13], v[24:25], v[32:33]
	ds_read2_b64 v[10:13], v20 offset0:160 offset1:176
	s_waitcnt lgkmcnt(0)
	v_fma_f64 v[28:29], v[10:11], v[8:9], v[28:29]
	v_fma_f64 v[30:31], v[12:13], v[8:9], v[6:7]
	;; [unrolled: 1-line block ×4, first 2 shown]
	ds_read_b128 v[6:9], v21 offset:48
	ds_read2_b64 v[10:13], v20 offset0:192 offset1:208
	ds_read_b128 v[24:27], v21 offset:1072
	s_waitcnt lgkmcnt(1)
	v_fma_f64 v[34:35], v[10:11], v[6:7], v[28:29]
	v_fma_f64 v[6:7], v[12:13], v[6:7], v[30:31]
	s_waitcnt lgkmcnt(0)
	v_fma_f64 v[14:15], v[10:11], v[24:25], v[14:15]
	v_fma_f64 v[24:25], v[12:13], v[24:25], v[32:33]
	ds_read2_b64 v[28:31], v20 offset0:224 offset1:240
	v_mov_b32_e32 v33, s13
	v_mov_b32_e32 v32, s12
	v_cmp_ge_i64_e32 vcc, s[18:19], v[32:33]
	s_waitcnt lgkmcnt(0)
	v_fma_f64 v[12:13], v[28:29], v[8:9], v[34:35]
	v_fma_f64 v[10:11], v[30:31], v[8:9], v[6:7]
	;; [unrolled: 1-line block ×4, first 2 shown]
	s_barrier
	s_cbranch_vccnz .LBB1068_8
.LBB1068_3:                             ; =>This Inner Loop Header: Depth=1
	v_mov_b32_e32 v15, s19
	v_add_co_u32_e32 v14, vcc, s18, v16
	v_addc_co_u32_e32 v15, vcc, 0, v15, vcc
	v_cmp_gt_i64_e32 vcc, s[12:13], v[14:15]
	v_mov_b32_e32 v14, 0
	v_mov_b32_e32 v15, 0
	s_and_b64 s[20:21], s[0:1], vcc
	s_and_saveexec_b64 s[6:7], s[20:21]
	s_cbranch_execz .LBB1068_5
; %bb.4:                                ;   in Loop: Header=BB1068_3 Depth=1
	global_load_dwordx2 v[14:15], v[2:3], off
.LBB1068_5:                             ;   in Loop: Header=BB1068_3 Depth=1
	s_or_b64 exec, exec, s[6:7]
	s_waitcnt vmcnt(0)
	ds_write_b64 v18, v[14:15]
	v_mov_b32_e32 v15, s19
	v_add_co_u32_e32 v14, vcc, s18, v17
	v_addc_co_u32_e32 v15, vcc, 0, v15, vcc
	v_cmp_gt_i64_e32 vcc, s[12:13], v[14:15]
	v_mov_b32_e32 v14, 0
	v_mov_b32_e32 v15, 0
	s_and_b64 s[20:21], vcc, s[2:3]
	s_and_saveexec_b64 s[6:7], s[20:21]
	s_cbranch_execz .LBB1068_2
; %bb.6:                                ;   in Loop: Header=BB1068_3 Depth=1
	global_load_dwordx2 v[14:15], v[4:5], off
	s_branch .LBB1068_2
.LBB1068_7:
	v_mov_b32_e32 v12, 0
	v_mov_b32_e32 v10, 0
	;; [unrolled: 1-line block ×8, first 2 shown]
.LBB1068_8:
	s_load_dwordx2 s[6:7], s[4:5], 0x60
	s_load_dwordx4 s[0:3], s[4:5], 0x50
	v_add_u32_e32 v4, s29, v1
	v_ashrrev_i32_e32 v1, 31, v4
	v_add_u32_e32 v0, s28, v0
	s_waitcnt lgkmcnt(0)
	s_mul_i32 s5, s7, s8
	v_mul_lo_u32 v3, s2, v1
	v_mul_lo_u32 v5, s3, v4
	v_mad_u64_u32 v[1:2], s[10:11], s2, v4, 0
	s_mul_hi_u32 s7, s6, s8
	s_mul_i32 s4, s6, s8
	s_add_i32 s5, s7, s5
	s_lshl_b64 s[4:5], s[4:5], 3
	v_add3_u32 v2, v2, v3, v5
	s_add_u32 s6, s0, s4
	v_lshlrev_b64 v[1:2], 3, v[1:2]
	s_addc_u32 s7, s1, s5
	v_mov_b32_e32 v3, s7
	v_add_co_u32_e64 v5, s[0:1], s6, v1
	v_addc_co_u32_e64 v14, s[0:1], v3, v2, s[0:1]
	v_cmp_gt_i32_e32 vcc, s9, v4
	v_cmp_le_i32_e64 s[0:1], v0, v4
	s_and_b64 s[0:1], vcc, s[0:1]
	s_and_saveexec_b64 s[4:5], s[0:1]
	s_cbranch_execz .LBB1068_10
; %bb.9:
	v_mul_f64 v[2:3], s[14:15], v[12:13]
	v_ashrrev_i32_e32 v1, 31, v0
	v_lshlrev_b64 v[12:13], 3, v[0:1]
	v_add_co_u32_e64 v12, s[0:1], v5, v12
	v_addc_co_u32_e64 v13, s[0:1], v14, v13, s[0:1]
	global_store_dwordx2 v[12:13], v[2:3], off
.LBB1068_10:
	s_or_b64 exec, exec, s[4:5]
	v_add_u32_e32 v2, 16, v0
	v_cmp_le_i32_e64 s[0:1], v2, v4
	s_and_b64 s[4:5], vcc, s[0:1]
	s_and_saveexec_b64 s[0:1], s[4:5]
	s_cbranch_execz .LBB1068_12
; %bb.11:
	v_mul_f64 v[10:11], s[14:15], v[10:11]
	v_ashrrev_i32_e32 v3, 31, v2
	v_lshlrev_b64 v[12:13], 3, v[2:3]
	v_add_co_u32_e32 v12, vcc, v5, v12
	v_addc_co_u32_e32 v13, vcc, v14, v13, vcc
	global_store_dwordx2 v[12:13], v[10:11], off
.LBB1068_12:
	s_or_b64 exec, exec, s[0:1]
	v_add_u32_e32 v3, 16, v4
	v_ashrrev_i32_e32 v1, 31, v3
	v_mul_lo_u32 v1, s2, v1
	v_mul_lo_u32 v10, s3, v3
	v_mad_u64_u32 v[4:5], s[0:1], s2, v3, 0
	v_cmp_gt_i32_e32 vcc, s9, v3
	v_add3_u32 v5, v5, v1, v10
	v_lshlrev_b64 v[4:5], 3, v[4:5]
	v_mov_b32_e32 v1, s7
	v_add_co_u32_e64 v4, s[0:1], s6, v4
	v_addc_co_u32_e64 v5, s[0:1], v1, v5, s[0:1]
	v_cmp_le_i32_e64 s[0:1], v0, v3
	s_and_b64 s[0:1], vcc, s[0:1]
	s_and_saveexec_b64 s[2:3], s[0:1]
	s_cbranch_execz .LBB1068_14
; %bb.13:
	v_mul_f64 v[8:9], s[14:15], v[8:9]
	v_ashrrev_i32_e32 v1, 31, v0
	v_lshlrev_b64 v[0:1], 3, v[0:1]
	v_add_co_u32_e64 v0, s[0:1], v4, v0
	v_addc_co_u32_e64 v1, s[0:1], v5, v1, s[0:1]
	global_store_dwordx2 v[0:1], v[8:9], off
.LBB1068_14:
	s_or_b64 exec, exec, s[2:3]
	v_cmp_le_i32_e64 s[0:1], v2, v3
	s_and_b64 s[0:1], vcc, s[0:1]
	s_and_saveexec_b64 s[2:3], s[0:1]
	s_cbranch_execz .LBB1068_16
; %bb.15:
	v_mul_f64 v[0:1], s[14:15], v[6:7]
	v_ashrrev_i32_e32 v3, 31, v2
	v_lshlrev_b64 v[2:3], 3, v[2:3]
	v_add_co_u32_e32 v2, vcc, v4, v2
	v_addc_co_u32_e32 v3, vcc, v5, v3, vcc
	global_store_dwordx2 v[2:3], v[0:1], off
.LBB1068_16:
	s_endpgm
	.section	.rodata,"a",@progbits
	.p2align	6, 0x0
	.amdhsa_kernel _ZL34rocblas_syrkx_herkx_general_kernelIldLi16ELi32ELi8ELb1ELb0ELc78ELc85EKddEviT_T0_PT8_S1_lS4_S1_lS2_PT9_S1_li
		.amdhsa_group_segment_fixed_size 4096
		.amdhsa_private_segment_fixed_size 0
		.amdhsa_kernarg_size 108
		.amdhsa_user_sgpr_count 6
		.amdhsa_user_sgpr_private_segment_buffer 1
		.amdhsa_user_sgpr_dispatch_ptr 0
		.amdhsa_user_sgpr_queue_ptr 0
		.amdhsa_user_sgpr_kernarg_segment_ptr 1
		.amdhsa_user_sgpr_dispatch_id 0
		.amdhsa_user_sgpr_flat_scratch_init 0
		.amdhsa_user_sgpr_private_segment_size 0
		.amdhsa_uses_dynamic_stack 0
		.amdhsa_system_sgpr_private_segment_wavefront_offset 0
		.amdhsa_system_sgpr_workgroup_id_x 1
		.amdhsa_system_sgpr_workgroup_id_y 1
		.amdhsa_system_sgpr_workgroup_id_z 1
		.amdhsa_system_sgpr_workgroup_info 0
		.amdhsa_system_vgpr_workitem_id 1
		.amdhsa_next_free_vgpr 36
		.amdhsa_next_free_sgpr 30
		.amdhsa_reserve_vcc 1
		.amdhsa_reserve_flat_scratch 0
		.amdhsa_float_round_mode_32 0
		.amdhsa_float_round_mode_16_64 0
		.amdhsa_float_denorm_mode_32 3
		.amdhsa_float_denorm_mode_16_64 3
		.amdhsa_dx10_clamp 1
		.amdhsa_ieee_mode 1
		.amdhsa_fp16_overflow 0
		.amdhsa_exception_fp_ieee_invalid_op 0
		.amdhsa_exception_fp_denorm_src 0
		.amdhsa_exception_fp_ieee_div_zero 0
		.amdhsa_exception_fp_ieee_overflow 0
		.amdhsa_exception_fp_ieee_underflow 0
		.amdhsa_exception_fp_ieee_inexact 0
		.amdhsa_exception_int_div_zero 0
	.end_amdhsa_kernel
	.section	.text._ZL34rocblas_syrkx_herkx_general_kernelIldLi16ELi32ELi8ELb1ELb0ELc78ELc85EKddEviT_T0_PT8_S1_lS4_S1_lS2_PT9_S1_li,"axG",@progbits,_ZL34rocblas_syrkx_herkx_general_kernelIldLi16ELi32ELi8ELb1ELb0ELc78ELc85EKddEviT_T0_PT8_S1_lS4_S1_lS2_PT9_S1_li,comdat
.Lfunc_end1068:
	.size	_ZL34rocblas_syrkx_herkx_general_kernelIldLi16ELi32ELi8ELb1ELb0ELc78ELc85EKddEviT_T0_PT8_S1_lS4_S1_lS2_PT9_S1_li, .Lfunc_end1068-_ZL34rocblas_syrkx_herkx_general_kernelIldLi16ELi32ELi8ELb1ELb0ELc78ELc85EKddEviT_T0_PT8_S1_lS4_S1_lS2_PT9_S1_li
                                        ; -- End function
	.set _ZL34rocblas_syrkx_herkx_general_kernelIldLi16ELi32ELi8ELb1ELb0ELc78ELc85EKddEviT_T0_PT8_S1_lS4_S1_lS2_PT9_S1_li.num_vgpr, 36
	.set _ZL34rocblas_syrkx_herkx_general_kernelIldLi16ELi32ELi8ELb1ELb0ELc78ELc85EKddEviT_T0_PT8_S1_lS4_S1_lS2_PT9_S1_li.num_agpr, 0
	.set _ZL34rocblas_syrkx_herkx_general_kernelIldLi16ELi32ELi8ELb1ELb0ELc78ELc85EKddEviT_T0_PT8_S1_lS4_S1_lS2_PT9_S1_li.numbered_sgpr, 30
	.set _ZL34rocblas_syrkx_herkx_general_kernelIldLi16ELi32ELi8ELb1ELb0ELc78ELc85EKddEviT_T0_PT8_S1_lS4_S1_lS2_PT9_S1_li.num_named_barrier, 0
	.set _ZL34rocblas_syrkx_herkx_general_kernelIldLi16ELi32ELi8ELb1ELb0ELc78ELc85EKddEviT_T0_PT8_S1_lS4_S1_lS2_PT9_S1_li.private_seg_size, 0
	.set _ZL34rocblas_syrkx_herkx_general_kernelIldLi16ELi32ELi8ELb1ELb0ELc78ELc85EKddEviT_T0_PT8_S1_lS4_S1_lS2_PT9_S1_li.uses_vcc, 1
	.set _ZL34rocblas_syrkx_herkx_general_kernelIldLi16ELi32ELi8ELb1ELb0ELc78ELc85EKddEviT_T0_PT8_S1_lS4_S1_lS2_PT9_S1_li.uses_flat_scratch, 0
	.set _ZL34rocblas_syrkx_herkx_general_kernelIldLi16ELi32ELi8ELb1ELb0ELc78ELc85EKddEviT_T0_PT8_S1_lS4_S1_lS2_PT9_S1_li.has_dyn_sized_stack, 0
	.set _ZL34rocblas_syrkx_herkx_general_kernelIldLi16ELi32ELi8ELb1ELb0ELc78ELc85EKddEviT_T0_PT8_S1_lS4_S1_lS2_PT9_S1_li.has_recursion, 0
	.set _ZL34rocblas_syrkx_herkx_general_kernelIldLi16ELi32ELi8ELb1ELb0ELc78ELc85EKddEviT_T0_PT8_S1_lS4_S1_lS2_PT9_S1_li.has_indirect_call, 0
	.section	.AMDGPU.csdata,"",@progbits
; Kernel info:
; codeLenInByte = 1488
; TotalNumSgprs: 34
; NumVgprs: 36
; ScratchSize: 0
; MemoryBound: 0
; FloatMode: 240
; IeeeMode: 1
; LDSByteSize: 4096 bytes/workgroup (compile time only)
; SGPRBlocks: 4
; VGPRBlocks: 8
; NumSGPRsForWavesPerEU: 34
; NumVGPRsForWavesPerEU: 36
; Occupancy: 7
; WaveLimiterHint : 0
; COMPUTE_PGM_RSRC2:SCRATCH_EN: 0
; COMPUTE_PGM_RSRC2:USER_SGPR: 6
; COMPUTE_PGM_RSRC2:TRAP_HANDLER: 0
; COMPUTE_PGM_RSRC2:TGID_X_EN: 1
; COMPUTE_PGM_RSRC2:TGID_Y_EN: 1
; COMPUTE_PGM_RSRC2:TGID_Z_EN: 1
; COMPUTE_PGM_RSRC2:TIDIG_COMP_CNT: 1
	.section	.text._ZL34rocblas_syrkx_herkx_general_kernelIldLi16ELi32ELi8ELb0ELb0ELc84ELc76EKddEviT_T0_PT8_S1_lS4_S1_lS2_PT9_S1_li,"axG",@progbits,_ZL34rocblas_syrkx_herkx_general_kernelIldLi16ELi32ELi8ELb0ELb0ELc84ELc76EKddEviT_T0_PT8_S1_lS4_S1_lS2_PT9_S1_li,comdat
	.globl	_ZL34rocblas_syrkx_herkx_general_kernelIldLi16ELi32ELi8ELb0ELb0ELc84ELc76EKddEviT_T0_PT8_S1_lS4_S1_lS2_PT9_S1_li ; -- Begin function _ZL34rocblas_syrkx_herkx_general_kernelIldLi16ELi32ELi8ELb0ELb0ELc84ELc76EKddEviT_T0_PT8_S1_lS4_S1_lS2_PT9_S1_li
	.p2align	8
	.type	_ZL34rocblas_syrkx_herkx_general_kernelIldLi16ELi32ELi8ELb0ELb0ELc84ELc76EKddEviT_T0_PT8_S1_lS4_S1_lS2_PT9_S1_li,@function
_ZL34rocblas_syrkx_herkx_general_kernelIldLi16ELi32ELi8ELb0ELb0ELc84ELc76EKddEviT_T0_PT8_S1_lS4_S1_lS2_PT9_S1_li: ; @_ZL34rocblas_syrkx_herkx_general_kernelIldLi16ELi32ELi8ELb0ELb0ELc84ELc76EKddEviT_T0_PT8_S1_lS4_S1_lS2_PT9_S1_li
; %bb.0:
	s_load_dwordx16 s[12:27], s[4:5], 0x8
	s_load_dword s9, s[4:5], 0x0
	s_lshl_b32 s28, s6, 5
	s_lshl_b32 s29, s7, 5
	s_waitcnt lgkmcnt(0)
	v_cmp_lt_i64_e64 s[0:1], s[12:13], 1
	s_and_b64 vcc, exec, s[0:1]
	s_cbranch_vccnz .LBB1069_7
; %bb.1:
	v_lshl_add_u32 v2, v1, 4, v0
	v_and_b32_e32 v5, 31, v2
	v_or_b32_e32 v6, s28, v5
	v_and_b32_e32 v19, 7, v0
	v_lshrrev_b32_e32 v3, 3, v2
	v_lshrrev_b32_e32 v18, 5, v2
	v_cmp_gt_i32_e64 s[0:1], s9, v6
	v_lshlrev_b32_e32 v2, 3, v5
	v_lshlrev_b32_e32 v6, 3, v19
	v_lshl_or_b32 v20, v18, 8, v2
	v_lshl_or_b32 v2, v3, 6, v6
	v_add_u32_e32 v21, 0x800, v2
	v_add_u32_e32 v2, s28, v5
	;; [unrolled: 1-line block ×3, first 2 shown]
	v_ashrrev_i32_e32 v3, 31, v2
	v_mul_lo_u32 v5, s18, v3
	v_mul_lo_u32 v8, s19, v2
	v_mad_u64_u32 v[2:3], s[6:7], s18, v2, 0
	s_mul_i32 s6, s21, s8
	s_mul_hi_u32 s7, s20, s8
	v_add3_u32 v3, v3, v5, v8
	v_lshlrev_b64 v[2:3], 3, v[2:3]
	s_add_i32 s7, s7, s6
	s_mul_i32 s6, s20, s8
	s_lshl_b64 s[6:7], s[6:7], 3
	v_mov_b32_e32 v5, s7
	v_add_co_u32_e32 v2, vcc, s6, v2
	v_ashrrev_i32_e32 v7, 31, v4
	v_mov_b32_e32 v9, 0x800
	v_addc_co_u32_e32 v3, vcc, v3, v5, vcc
	v_lshlrev_b32_e32 v5, 3, v18
	v_cmp_gt_i32_e64 s[2:3], s9, v4
	v_lshl_add_u32 v23, v1, 6, v9
	v_add_co_u32_e32 v2, vcc, v2, v5
	v_mul_lo_u32 v7, s24, v7
	v_mul_lo_u32 v9, s25, v4
	v_mad_u64_u32 v[4:5], s[6:7], s24, v4, 0
	v_addc_co_u32_e32 v3, vcc, 0, v3, vcc
	v_add3_u32 v5, v5, v7, v9
	s_mul_i32 s6, s27, s8
	s_mul_hi_u32 s7, s26, s8
	v_mov_b32_e32 v8, s17
	v_add_co_u32_e32 v2, vcc, s16, v2
	v_lshlrev_b64 v[4:5], 3, v[4:5]
	s_add_i32 s7, s7, s6
	s_mul_i32 s6, s26, s8
	v_addc_co_u32_e32 v3, vcc, v8, v3, vcc
	s_lshl_b64 s[6:7], s[6:7], 3
	v_mov_b32_e32 v7, s7
	v_add_co_u32_e32 v4, vcc, s6, v4
	v_addc_co_u32_e32 v5, vcc, v5, v7, vcc
	v_add_co_u32_e32 v4, vcc, v4, v6
	v_addc_co_u32_e32 v5, vcc, 0, v5, vcc
	v_mov_b32_e32 v6, s23
	v_add_co_u32_e32 v4, vcc, s22, v4
	v_addc_co_u32_e32 v5, vcc, v6, v5, vcc
	v_mov_b32_e32 v8, 0
	v_mov_b32_e32 v10, 0
	;; [unrolled: 1-line block ×5, first 2 shown]
	v_lshlrev_b32_e32 v22, 3, v0
	s_mov_b64 s[10:11], 0
	v_mov_b32_e32 v9, 0
	v_mov_b32_e32 v11, 0
	;; [unrolled: 1-line block ×5, first 2 shown]
	s_branch .LBB1069_3
.LBB1069_2:                             ;   in Loop: Header=BB1069_3 Depth=1
	s_or_b64 exec, exec, s[6:7]
	s_waitcnt vmcnt(0)
	ds_write_b64 v21, v[16:17]
	s_waitcnt lgkmcnt(0)
	s_barrier
	ds_read2_b64 v[24:27], v22 offset1:16
	ds_read_b128 v[28:31], v23
	ds_read_b128 v[32:35], v23 offset:1024
	s_add_u32 s10, s10, 8
	v_add_co_u32_e32 v2, vcc, 64, v2
	s_waitcnt lgkmcnt(1)
	v_fma_f64 v[14:15], v[24:25], v[28:29], v[14:15]
	v_fma_f64 v[12:13], v[26:27], v[28:29], v[12:13]
	s_waitcnt lgkmcnt(0)
	v_fma_f64 v[16:17], v[24:25], v[32:33], v[10:11]
	v_fma_f64 v[24:25], v[26:27], v[32:33], v[8:9]
	ds_read2_b64 v[8:11], v22 offset0:32 offset1:48
	v_addc_co_u32_e32 v3, vcc, 0, v3, vcc
	s_addc_u32 s11, s11, 0
	v_cmp_ge_i64_e32 vcc, s[10:11], v[6:7]
	s_waitcnt lgkmcnt(0)
	v_fma_f64 v[28:29], v[8:9], v[30:31], v[14:15]
	v_fma_f64 v[30:31], v[10:11], v[30:31], v[12:13]
	;; [unrolled: 1-line block ×4, first 2 shown]
	ds_read_b128 v[12:15], v23 offset:16
	ds_read2_b64 v[8:11], v22 offset0:64 offset1:80
	ds_read_b128 v[24:27], v23 offset:1040
	v_add_co_u32_e64 v4, s[6:7], 64, v4
	v_addc_co_u32_e64 v5, s[6:7], 0, v5, s[6:7]
	s_waitcnt lgkmcnt(1)
	v_fma_f64 v[28:29], v[8:9], v[12:13], v[28:29]
	v_fma_f64 v[12:13], v[10:11], v[12:13], v[30:31]
	s_waitcnt lgkmcnt(0)
	v_fma_f64 v[16:17], v[8:9], v[24:25], v[16:17]
	v_fma_f64 v[24:25], v[10:11], v[24:25], v[32:33]
	ds_read2_b64 v[8:11], v22 offset0:96 offset1:112
	s_and_b64 vcc, exec, vcc
	s_waitcnt lgkmcnt(0)
	v_fma_f64 v[28:29], v[8:9], v[14:15], v[28:29]
	v_fma_f64 v[30:31], v[10:11], v[14:15], v[12:13]
	;; [unrolled: 1-line block ×4, first 2 shown]
	ds_read2_b64 v[12:15], v22 offset0:128 offset1:144
	ds_read_b128 v[8:11], v23 offset:32
	ds_read_b128 v[24:27], v23 offset:1056
	s_waitcnt lgkmcnt(1)
	v_fma_f64 v[28:29], v[12:13], v[8:9], v[28:29]
	v_fma_f64 v[8:9], v[14:15], v[8:9], v[30:31]
	s_waitcnt lgkmcnt(0)
	v_fma_f64 v[16:17], v[12:13], v[24:25], v[16:17]
	v_fma_f64 v[24:25], v[14:15], v[24:25], v[32:33]
	ds_read2_b64 v[12:15], v22 offset0:160 offset1:176
	s_waitcnt lgkmcnt(0)
	v_fma_f64 v[28:29], v[12:13], v[10:11], v[28:29]
	v_fma_f64 v[30:31], v[14:15], v[10:11], v[8:9]
	;; [unrolled: 1-line block ×4, first 2 shown]
	ds_read_b128 v[8:11], v23 offset:48
	ds_read2_b64 v[12:15], v22 offset0:192 offset1:208
	ds_read_b128 v[24:27], v23 offset:1072
	s_waitcnt lgkmcnt(1)
	v_fma_f64 v[34:35], v[12:13], v[8:9], v[28:29]
	v_fma_f64 v[8:9], v[14:15], v[8:9], v[30:31]
	s_waitcnt lgkmcnt(0)
	v_fma_f64 v[16:17], v[12:13], v[24:25], v[16:17]
	v_fma_f64 v[24:25], v[14:15], v[24:25], v[32:33]
	ds_read2_b64 v[28:31], v22 offset0:224 offset1:240
	s_waitcnt lgkmcnt(0)
	s_barrier
	v_fma_f64 v[14:15], v[28:29], v[10:11], v[34:35]
	v_fma_f64 v[12:13], v[30:31], v[10:11], v[8:9]
	;; [unrolled: 1-line block ×4, first 2 shown]
	s_cbranch_vccnz .LBB1069_8
.LBB1069_3:                             ; =>This Inner Loop Header: Depth=1
	v_mov_b32_e32 v17, s11
	v_add_co_u32_e32 v16, vcc, s10, v18
	v_addc_co_u32_e32 v17, vcc, 0, v17, vcc
	v_cmp_gt_i64_e32 vcc, s[12:13], v[16:17]
	v_mov_b32_e32 v16, 0
	v_mov_b32_e32 v17, 0
	s_and_b64 s[16:17], s[0:1], vcc
	s_and_saveexec_b64 s[6:7], s[16:17]
	s_cbranch_execz .LBB1069_5
; %bb.4:                                ;   in Loop: Header=BB1069_3 Depth=1
	global_load_dwordx2 v[16:17], v[2:3], off
.LBB1069_5:                             ;   in Loop: Header=BB1069_3 Depth=1
	s_or_b64 exec, exec, s[6:7]
	s_waitcnt vmcnt(0)
	ds_write_b64 v20, v[16:17]
	v_mov_b32_e32 v17, s11
	v_add_co_u32_e32 v16, vcc, s10, v19
	v_addc_co_u32_e32 v17, vcc, 0, v17, vcc
	v_cmp_gt_i64_e32 vcc, s[12:13], v[16:17]
	v_mov_b32_e32 v16, 0
	v_mov_b32_e32 v17, 0
	s_and_b64 s[16:17], vcc, s[2:3]
	s_and_saveexec_b64 s[6:7], s[16:17]
	s_cbranch_execz .LBB1069_2
; %bb.6:                                ;   in Loop: Header=BB1069_3 Depth=1
	global_load_dwordx2 v[16:17], v[4:5], off
	s_branch .LBB1069_2
.LBB1069_7:
	v_mov_b32_e32 v14, 0
	v_mov_b32_e32 v12, 0
	;; [unrolled: 1-line block ×8, first 2 shown]
.LBB1069_8:
	s_load_dwordx8 s[16:23], s[4:5], 0x48
	v_add_u32_e32 v4, s29, v1
	v_ashrrev_i32_e32 v1, 31, v4
	v_add_u32_e32 v0, s28, v0
	s_waitcnt lgkmcnt(0)
	s_mul_i32 s1, s23, s8
	s_mul_hi_u32 s2, s22, s8
	s_add_i32 s1, s2, s1
	v_mul_lo_u32 v3, s20, v1
	v_mul_lo_u32 v5, s21, v4
	v_mad_u64_u32 v[1:2], s[2:3], s20, v4, 0
	s_mul_i32 s0, s22, s8
	s_lshl_b64 s[0:1], s[0:1], 3
	v_add3_u32 v2, v2, v3, v5
	s_add_u32 s6, s18, s0
	v_lshlrev_b64 v[1:2], 3, v[1:2]
	s_addc_u32 s7, s19, s1
	v_mov_b32_e32 v3, s7
	v_add_co_u32_e32 v5, vcc, s6, v1
	v_addc_co_u32_e32 v6, vcc, v3, v2, vcc
	v_cmp_le_i32_e64 s[0:1], v4, v0
	v_cmp_gt_i32_e32 vcc, s9, v0
	s_and_b64 s[0:1], s[0:1], vcc
	s_and_saveexec_b64 s[2:3], s[0:1]
	s_cbranch_execz .LBB1069_10
; %bb.9:
	v_ashrrev_i32_e32 v1, 31, v0
	v_lshlrev_b64 v[1:2], 3, v[0:1]
	v_add_co_u32_e64 v1, s[0:1], v5, v1
	v_addc_co_u32_e64 v2, s[0:1], v6, v2, s[0:1]
	global_load_dwordx2 v[16:17], v[1:2], off
	s_waitcnt vmcnt(0)
	v_mul_f64 v[16:17], s[16:17], v[16:17]
	v_fma_f64 v[14:15], s[14:15], v[14:15], v[16:17]
	global_store_dwordx2 v[1:2], v[14:15], off
.LBB1069_10:
	s_or_b64 exec, exec, s[2:3]
	v_add_u32_e32 v2, 16, v0
	v_cmp_le_i32_e64 s[2:3], v4, v2
	v_cmp_gt_i32_e64 s[0:1], s9, v2
	s_and_b64 s[2:3], s[2:3], s[0:1]
	s_and_saveexec_b64 s[4:5], s[2:3]
	s_cbranch_execz .LBB1069_12
; %bb.11:
	v_ashrrev_i32_e32 v3, 31, v2
	v_lshlrev_b64 v[14:15], 3, v[2:3]
	v_add_co_u32_e64 v5, s[2:3], v5, v14
	v_addc_co_u32_e64 v6, s[2:3], v6, v15, s[2:3]
	global_load_dwordx2 v[14:15], v[5:6], off
	s_waitcnt vmcnt(0)
	v_mul_f64 v[14:15], s[16:17], v[14:15]
	v_fma_f64 v[12:13], s[14:15], v[12:13], v[14:15]
	global_store_dwordx2 v[5:6], v[12:13], off
.LBB1069_12:
	s_or_b64 exec, exec, s[4:5]
	v_add_u32_e32 v3, 16, v4
	v_ashrrev_i32_e32 v1, 31, v3
	v_mul_lo_u32 v6, s21, v3
	v_mad_u64_u32 v[4:5], s[2:3], s20, v3, 0
	v_mul_lo_u32 v1, s20, v1
	v_add3_u32 v5, v5, v1, v6
	v_lshlrev_b64 v[4:5], 3, v[4:5]
	v_mov_b32_e32 v1, s7
	v_add_co_u32_e64 v4, s[2:3], s6, v4
	v_addc_co_u32_e64 v5, s[2:3], v1, v5, s[2:3]
	v_cmp_le_i32_e64 s[2:3], v3, v0
	s_and_b64 s[4:5], s[2:3], vcc
	s_and_saveexec_b64 s[2:3], s[4:5]
	s_cbranch_execz .LBB1069_14
; %bb.13:
	v_ashrrev_i32_e32 v1, 31, v0
	v_lshlrev_b64 v[0:1], 3, v[0:1]
	v_add_co_u32_e32 v0, vcc, v4, v0
	v_addc_co_u32_e32 v1, vcc, v5, v1, vcc
	global_load_dwordx2 v[6:7], v[0:1], off
	s_waitcnt vmcnt(0)
	v_mul_f64 v[6:7], s[16:17], v[6:7]
	v_fma_f64 v[6:7], s[14:15], v[10:11], v[6:7]
	global_store_dwordx2 v[0:1], v[6:7], off
.LBB1069_14:
	s_or_b64 exec, exec, s[2:3]
	v_cmp_le_i32_e32 vcc, v3, v2
	s_and_b64 s[0:1], vcc, s[0:1]
	s_and_saveexec_b64 s[2:3], s[0:1]
	s_cbranch_execz .LBB1069_16
; %bb.15:
	v_ashrrev_i32_e32 v3, 31, v2
	v_lshlrev_b64 v[0:1], 3, v[2:3]
	v_add_co_u32_e32 v0, vcc, v4, v0
	v_addc_co_u32_e32 v1, vcc, v5, v1, vcc
	global_load_dwordx2 v[2:3], v[0:1], off
	s_waitcnt vmcnt(0)
	v_mul_f64 v[2:3], s[16:17], v[2:3]
	v_fma_f64 v[2:3], s[14:15], v[8:9], v[2:3]
	global_store_dwordx2 v[0:1], v[2:3], off
.LBB1069_16:
	s_endpgm
	.section	.rodata,"a",@progbits
	.p2align	6, 0x0
	.amdhsa_kernel _ZL34rocblas_syrkx_herkx_general_kernelIldLi16ELi32ELi8ELb0ELb0ELc84ELc76EKddEviT_T0_PT8_S1_lS4_S1_lS2_PT9_S1_li
		.amdhsa_group_segment_fixed_size 4096
		.amdhsa_private_segment_fixed_size 0
		.amdhsa_kernarg_size 108
		.amdhsa_user_sgpr_count 6
		.amdhsa_user_sgpr_private_segment_buffer 1
		.amdhsa_user_sgpr_dispatch_ptr 0
		.amdhsa_user_sgpr_queue_ptr 0
		.amdhsa_user_sgpr_kernarg_segment_ptr 1
		.amdhsa_user_sgpr_dispatch_id 0
		.amdhsa_user_sgpr_flat_scratch_init 0
		.amdhsa_user_sgpr_private_segment_size 0
		.amdhsa_uses_dynamic_stack 0
		.amdhsa_system_sgpr_private_segment_wavefront_offset 0
		.amdhsa_system_sgpr_workgroup_id_x 1
		.amdhsa_system_sgpr_workgroup_id_y 1
		.amdhsa_system_sgpr_workgroup_id_z 1
		.amdhsa_system_sgpr_workgroup_info 0
		.amdhsa_system_vgpr_workitem_id 1
		.amdhsa_next_free_vgpr 36
		.amdhsa_next_free_sgpr 30
		.amdhsa_reserve_vcc 1
		.amdhsa_reserve_flat_scratch 0
		.amdhsa_float_round_mode_32 0
		.amdhsa_float_round_mode_16_64 0
		.amdhsa_float_denorm_mode_32 3
		.amdhsa_float_denorm_mode_16_64 3
		.amdhsa_dx10_clamp 1
		.amdhsa_ieee_mode 1
		.amdhsa_fp16_overflow 0
		.amdhsa_exception_fp_ieee_invalid_op 0
		.amdhsa_exception_fp_denorm_src 0
		.amdhsa_exception_fp_ieee_div_zero 0
		.amdhsa_exception_fp_ieee_overflow 0
		.amdhsa_exception_fp_ieee_underflow 0
		.amdhsa_exception_fp_ieee_inexact 0
		.amdhsa_exception_int_div_zero 0
	.end_amdhsa_kernel
	.section	.text._ZL34rocblas_syrkx_herkx_general_kernelIldLi16ELi32ELi8ELb0ELb0ELc84ELc76EKddEviT_T0_PT8_S1_lS4_S1_lS2_PT9_S1_li,"axG",@progbits,_ZL34rocblas_syrkx_herkx_general_kernelIldLi16ELi32ELi8ELb0ELb0ELc84ELc76EKddEviT_T0_PT8_S1_lS4_S1_lS2_PT9_S1_li,comdat
.Lfunc_end1069:
	.size	_ZL34rocblas_syrkx_herkx_general_kernelIldLi16ELi32ELi8ELb0ELb0ELc84ELc76EKddEviT_T0_PT8_S1_lS4_S1_lS2_PT9_S1_li, .Lfunc_end1069-_ZL34rocblas_syrkx_herkx_general_kernelIldLi16ELi32ELi8ELb0ELb0ELc84ELc76EKddEviT_T0_PT8_S1_lS4_S1_lS2_PT9_S1_li
                                        ; -- End function
	.set _ZL34rocblas_syrkx_herkx_general_kernelIldLi16ELi32ELi8ELb0ELb0ELc84ELc76EKddEviT_T0_PT8_S1_lS4_S1_lS2_PT9_S1_li.num_vgpr, 36
	.set _ZL34rocblas_syrkx_herkx_general_kernelIldLi16ELi32ELi8ELb0ELb0ELc84ELc76EKddEviT_T0_PT8_S1_lS4_S1_lS2_PT9_S1_li.num_agpr, 0
	.set _ZL34rocblas_syrkx_herkx_general_kernelIldLi16ELi32ELi8ELb0ELb0ELc84ELc76EKddEviT_T0_PT8_S1_lS4_S1_lS2_PT9_S1_li.numbered_sgpr, 30
	.set _ZL34rocblas_syrkx_herkx_general_kernelIldLi16ELi32ELi8ELb0ELb0ELc84ELc76EKddEviT_T0_PT8_S1_lS4_S1_lS2_PT9_S1_li.num_named_barrier, 0
	.set _ZL34rocblas_syrkx_herkx_general_kernelIldLi16ELi32ELi8ELb0ELb0ELc84ELc76EKddEviT_T0_PT8_S1_lS4_S1_lS2_PT9_S1_li.private_seg_size, 0
	.set _ZL34rocblas_syrkx_herkx_general_kernelIldLi16ELi32ELi8ELb0ELb0ELc84ELc76EKddEviT_T0_PT8_S1_lS4_S1_lS2_PT9_S1_li.uses_vcc, 1
	.set _ZL34rocblas_syrkx_herkx_general_kernelIldLi16ELi32ELi8ELb0ELb0ELc84ELc76EKddEviT_T0_PT8_S1_lS4_S1_lS2_PT9_S1_li.uses_flat_scratch, 0
	.set _ZL34rocblas_syrkx_herkx_general_kernelIldLi16ELi32ELi8ELb0ELb0ELc84ELc76EKddEviT_T0_PT8_S1_lS4_S1_lS2_PT9_S1_li.has_dyn_sized_stack, 0
	.set _ZL34rocblas_syrkx_herkx_general_kernelIldLi16ELi32ELi8ELb0ELb0ELc84ELc76EKddEviT_T0_PT8_S1_lS4_S1_lS2_PT9_S1_li.has_recursion, 0
	.set _ZL34rocblas_syrkx_herkx_general_kernelIldLi16ELi32ELi8ELb0ELb0ELc84ELc76EKddEviT_T0_PT8_S1_lS4_S1_lS2_PT9_S1_li.has_indirect_call, 0
	.section	.AMDGPU.csdata,"",@progbits
; Kernel info:
; codeLenInByte = 1556
; TotalNumSgprs: 34
; NumVgprs: 36
; ScratchSize: 0
; MemoryBound: 0
; FloatMode: 240
; IeeeMode: 1
; LDSByteSize: 4096 bytes/workgroup (compile time only)
; SGPRBlocks: 4
; VGPRBlocks: 8
; NumSGPRsForWavesPerEU: 34
; NumVGPRsForWavesPerEU: 36
; Occupancy: 7
; WaveLimiterHint : 0
; COMPUTE_PGM_RSRC2:SCRATCH_EN: 0
; COMPUTE_PGM_RSRC2:USER_SGPR: 6
; COMPUTE_PGM_RSRC2:TRAP_HANDLER: 0
; COMPUTE_PGM_RSRC2:TGID_X_EN: 1
; COMPUTE_PGM_RSRC2:TGID_Y_EN: 1
; COMPUTE_PGM_RSRC2:TGID_Z_EN: 1
; COMPUTE_PGM_RSRC2:TIDIG_COMP_CNT: 1
	.section	.text._ZL34rocblas_syrkx_herkx_general_kernelIldLi16ELi32ELi8ELb0ELb0ELc67ELc76EKddEviT_T0_PT8_S1_lS4_S1_lS2_PT9_S1_li,"axG",@progbits,_ZL34rocblas_syrkx_herkx_general_kernelIldLi16ELi32ELi8ELb0ELb0ELc67ELc76EKddEviT_T0_PT8_S1_lS4_S1_lS2_PT9_S1_li,comdat
	.globl	_ZL34rocblas_syrkx_herkx_general_kernelIldLi16ELi32ELi8ELb0ELb0ELc67ELc76EKddEviT_T0_PT8_S1_lS4_S1_lS2_PT9_S1_li ; -- Begin function _ZL34rocblas_syrkx_herkx_general_kernelIldLi16ELi32ELi8ELb0ELb0ELc67ELc76EKddEviT_T0_PT8_S1_lS4_S1_lS2_PT9_S1_li
	.p2align	8
	.type	_ZL34rocblas_syrkx_herkx_general_kernelIldLi16ELi32ELi8ELb0ELb0ELc67ELc76EKddEviT_T0_PT8_S1_lS4_S1_lS2_PT9_S1_li,@function
_ZL34rocblas_syrkx_herkx_general_kernelIldLi16ELi32ELi8ELb0ELb0ELc67ELc76EKddEviT_T0_PT8_S1_lS4_S1_lS2_PT9_S1_li: ; @_ZL34rocblas_syrkx_herkx_general_kernelIldLi16ELi32ELi8ELb0ELb0ELc67ELc76EKddEviT_T0_PT8_S1_lS4_S1_lS2_PT9_S1_li
; %bb.0:
	s_load_dwordx16 s[12:27], s[4:5], 0x8
	s_load_dword s9, s[4:5], 0x0
	s_lshl_b32 s28, s6, 5
	s_lshl_b32 s29, s7, 5
	s_waitcnt lgkmcnt(0)
	v_cmp_lt_i64_e64 s[0:1], s[12:13], 1
	s_and_b64 vcc, exec, s[0:1]
	s_cbranch_vccnz .LBB1070_7
; %bb.1:
	v_lshl_add_u32 v2, v1, 4, v0
	v_and_b32_e32 v5, 31, v2
	v_or_b32_e32 v6, s28, v5
	v_and_b32_e32 v19, 7, v0
	v_lshrrev_b32_e32 v3, 3, v2
	v_lshrrev_b32_e32 v18, 5, v2
	v_cmp_gt_i32_e64 s[0:1], s9, v6
	v_lshlrev_b32_e32 v2, 3, v5
	v_lshlrev_b32_e32 v6, 3, v19
	v_lshl_or_b32 v20, v18, 8, v2
	v_lshl_or_b32 v2, v3, 6, v6
	v_add_u32_e32 v21, 0x800, v2
	v_add_u32_e32 v2, s28, v5
	;; [unrolled: 1-line block ×3, first 2 shown]
	v_ashrrev_i32_e32 v3, 31, v2
	v_mul_lo_u32 v5, s18, v3
	v_mul_lo_u32 v8, s19, v2
	v_mad_u64_u32 v[2:3], s[6:7], s18, v2, 0
	s_mul_i32 s6, s21, s8
	s_mul_hi_u32 s7, s20, s8
	v_add3_u32 v3, v3, v5, v8
	v_lshlrev_b64 v[2:3], 3, v[2:3]
	s_add_i32 s7, s7, s6
	s_mul_i32 s6, s20, s8
	s_lshl_b64 s[6:7], s[6:7], 3
	v_mov_b32_e32 v5, s7
	v_add_co_u32_e32 v2, vcc, s6, v2
	v_ashrrev_i32_e32 v7, 31, v4
	v_mov_b32_e32 v9, 0x800
	v_addc_co_u32_e32 v3, vcc, v3, v5, vcc
	v_lshlrev_b32_e32 v5, 3, v18
	v_cmp_gt_i32_e64 s[2:3], s9, v4
	v_lshl_add_u32 v23, v1, 6, v9
	v_add_co_u32_e32 v2, vcc, v2, v5
	v_mul_lo_u32 v7, s24, v7
	v_mul_lo_u32 v9, s25, v4
	v_mad_u64_u32 v[4:5], s[6:7], s24, v4, 0
	v_addc_co_u32_e32 v3, vcc, 0, v3, vcc
	v_add3_u32 v5, v5, v7, v9
	s_mul_i32 s6, s27, s8
	s_mul_hi_u32 s7, s26, s8
	v_mov_b32_e32 v8, s17
	v_add_co_u32_e32 v2, vcc, s16, v2
	v_lshlrev_b64 v[4:5], 3, v[4:5]
	s_add_i32 s7, s7, s6
	s_mul_i32 s6, s26, s8
	v_addc_co_u32_e32 v3, vcc, v8, v3, vcc
	s_lshl_b64 s[6:7], s[6:7], 3
	v_mov_b32_e32 v7, s7
	v_add_co_u32_e32 v4, vcc, s6, v4
	v_addc_co_u32_e32 v5, vcc, v5, v7, vcc
	v_add_co_u32_e32 v4, vcc, v4, v6
	v_addc_co_u32_e32 v5, vcc, 0, v5, vcc
	v_mov_b32_e32 v6, s23
	v_add_co_u32_e32 v4, vcc, s22, v4
	v_addc_co_u32_e32 v5, vcc, v6, v5, vcc
	v_mov_b32_e32 v8, 0
	v_mov_b32_e32 v10, 0
	;; [unrolled: 1-line block ×5, first 2 shown]
	v_lshlrev_b32_e32 v22, 3, v0
	s_mov_b64 s[10:11], 0
	v_mov_b32_e32 v9, 0
	v_mov_b32_e32 v11, 0
	;; [unrolled: 1-line block ×5, first 2 shown]
	s_branch .LBB1070_3
.LBB1070_2:                             ;   in Loop: Header=BB1070_3 Depth=1
	s_or_b64 exec, exec, s[6:7]
	s_waitcnt vmcnt(0)
	ds_write_b64 v21, v[16:17]
	s_waitcnt lgkmcnt(0)
	s_barrier
	ds_read2_b64 v[24:27], v22 offset1:16
	ds_read_b128 v[28:31], v23
	ds_read_b128 v[32:35], v23 offset:1024
	s_add_u32 s10, s10, 8
	v_add_co_u32_e32 v2, vcc, 64, v2
	s_waitcnt lgkmcnt(1)
	v_fma_f64 v[14:15], v[24:25], v[28:29], v[14:15]
	v_fma_f64 v[12:13], v[26:27], v[28:29], v[12:13]
	s_waitcnt lgkmcnt(0)
	v_fma_f64 v[16:17], v[24:25], v[32:33], v[10:11]
	v_fma_f64 v[24:25], v[26:27], v[32:33], v[8:9]
	ds_read2_b64 v[8:11], v22 offset0:32 offset1:48
	v_addc_co_u32_e32 v3, vcc, 0, v3, vcc
	s_addc_u32 s11, s11, 0
	v_cmp_ge_i64_e32 vcc, s[10:11], v[6:7]
	s_waitcnt lgkmcnt(0)
	v_fma_f64 v[28:29], v[8:9], v[30:31], v[14:15]
	v_fma_f64 v[30:31], v[10:11], v[30:31], v[12:13]
	;; [unrolled: 1-line block ×4, first 2 shown]
	ds_read_b128 v[12:15], v23 offset:16
	ds_read2_b64 v[8:11], v22 offset0:64 offset1:80
	ds_read_b128 v[24:27], v23 offset:1040
	v_add_co_u32_e64 v4, s[6:7], 64, v4
	v_addc_co_u32_e64 v5, s[6:7], 0, v5, s[6:7]
	s_waitcnt lgkmcnt(1)
	v_fma_f64 v[28:29], v[8:9], v[12:13], v[28:29]
	v_fma_f64 v[12:13], v[10:11], v[12:13], v[30:31]
	s_waitcnt lgkmcnt(0)
	v_fma_f64 v[16:17], v[8:9], v[24:25], v[16:17]
	v_fma_f64 v[24:25], v[10:11], v[24:25], v[32:33]
	ds_read2_b64 v[8:11], v22 offset0:96 offset1:112
	s_and_b64 vcc, exec, vcc
	s_waitcnt lgkmcnt(0)
	v_fma_f64 v[28:29], v[8:9], v[14:15], v[28:29]
	v_fma_f64 v[30:31], v[10:11], v[14:15], v[12:13]
	;; [unrolled: 1-line block ×4, first 2 shown]
	ds_read2_b64 v[12:15], v22 offset0:128 offset1:144
	ds_read_b128 v[8:11], v23 offset:32
	ds_read_b128 v[24:27], v23 offset:1056
	s_waitcnt lgkmcnt(1)
	v_fma_f64 v[28:29], v[12:13], v[8:9], v[28:29]
	v_fma_f64 v[8:9], v[14:15], v[8:9], v[30:31]
	s_waitcnt lgkmcnt(0)
	v_fma_f64 v[16:17], v[12:13], v[24:25], v[16:17]
	v_fma_f64 v[24:25], v[14:15], v[24:25], v[32:33]
	ds_read2_b64 v[12:15], v22 offset0:160 offset1:176
	s_waitcnt lgkmcnt(0)
	v_fma_f64 v[28:29], v[12:13], v[10:11], v[28:29]
	v_fma_f64 v[30:31], v[14:15], v[10:11], v[8:9]
	;; [unrolled: 1-line block ×4, first 2 shown]
	ds_read_b128 v[8:11], v23 offset:48
	ds_read2_b64 v[12:15], v22 offset0:192 offset1:208
	ds_read_b128 v[24:27], v23 offset:1072
	s_waitcnt lgkmcnt(1)
	v_fma_f64 v[34:35], v[12:13], v[8:9], v[28:29]
	v_fma_f64 v[8:9], v[14:15], v[8:9], v[30:31]
	s_waitcnt lgkmcnt(0)
	v_fma_f64 v[16:17], v[12:13], v[24:25], v[16:17]
	v_fma_f64 v[24:25], v[14:15], v[24:25], v[32:33]
	ds_read2_b64 v[28:31], v22 offset0:224 offset1:240
	s_waitcnt lgkmcnt(0)
	s_barrier
	v_fma_f64 v[14:15], v[28:29], v[10:11], v[34:35]
	v_fma_f64 v[12:13], v[30:31], v[10:11], v[8:9]
	;; [unrolled: 1-line block ×4, first 2 shown]
	s_cbranch_vccnz .LBB1070_8
.LBB1070_3:                             ; =>This Inner Loop Header: Depth=1
	v_mov_b32_e32 v17, s11
	v_add_co_u32_e32 v16, vcc, s10, v18
	v_addc_co_u32_e32 v17, vcc, 0, v17, vcc
	v_cmp_gt_i64_e32 vcc, s[12:13], v[16:17]
	v_mov_b32_e32 v16, 0
	v_mov_b32_e32 v17, 0
	s_and_b64 s[16:17], s[0:1], vcc
	s_and_saveexec_b64 s[6:7], s[16:17]
	s_cbranch_execz .LBB1070_5
; %bb.4:                                ;   in Loop: Header=BB1070_3 Depth=1
	global_load_dwordx2 v[16:17], v[2:3], off
.LBB1070_5:                             ;   in Loop: Header=BB1070_3 Depth=1
	s_or_b64 exec, exec, s[6:7]
	s_waitcnt vmcnt(0)
	ds_write_b64 v20, v[16:17]
	v_mov_b32_e32 v17, s11
	v_add_co_u32_e32 v16, vcc, s10, v19
	v_addc_co_u32_e32 v17, vcc, 0, v17, vcc
	v_cmp_gt_i64_e32 vcc, s[12:13], v[16:17]
	v_mov_b32_e32 v16, 0
	v_mov_b32_e32 v17, 0
	s_and_b64 s[16:17], vcc, s[2:3]
	s_and_saveexec_b64 s[6:7], s[16:17]
	s_cbranch_execz .LBB1070_2
; %bb.6:                                ;   in Loop: Header=BB1070_3 Depth=1
	global_load_dwordx2 v[16:17], v[4:5], off
	s_branch .LBB1070_2
.LBB1070_7:
	v_mov_b32_e32 v14, 0
	v_mov_b32_e32 v12, 0
	;; [unrolled: 1-line block ×8, first 2 shown]
.LBB1070_8:
	s_load_dwordx8 s[16:23], s[4:5], 0x48
	v_add_u32_e32 v4, s29, v1
	v_ashrrev_i32_e32 v1, 31, v4
	v_add_u32_e32 v0, s28, v0
	s_waitcnt lgkmcnt(0)
	s_mul_i32 s1, s23, s8
	s_mul_hi_u32 s2, s22, s8
	s_add_i32 s1, s2, s1
	v_mul_lo_u32 v3, s20, v1
	v_mul_lo_u32 v5, s21, v4
	v_mad_u64_u32 v[1:2], s[2:3], s20, v4, 0
	s_mul_i32 s0, s22, s8
	s_lshl_b64 s[0:1], s[0:1], 3
	v_add3_u32 v2, v2, v3, v5
	s_add_u32 s6, s18, s0
	v_lshlrev_b64 v[1:2], 3, v[1:2]
	s_addc_u32 s7, s19, s1
	v_mov_b32_e32 v3, s7
	v_add_co_u32_e32 v5, vcc, s6, v1
	v_addc_co_u32_e32 v6, vcc, v3, v2, vcc
	v_cmp_le_i32_e64 s[0:1], v4, v0
	v_cmp_gt_i32_e32 vcc, s9, v0
	s_and_b64 s[0:1], s[0:1], vcc
	s_and_saveexec_b64 s[2:3], s[0:1]
	s_cbranch_execz .LBB1070_10
; %bb.9:
	v_ashrrev_i32_e32 v1, 31, v0
	v_lshlrev_b64 v[1:2], 3, v[0:1]
	v_add_co_u32_e64 v1, s[0:1], v5, v1
	v_addc_co_u32_e64 v2, s[0:1], v6, v2, s[0:1]
	global_load_dwordx2 v[16:17], v[1:2], off
	s_waitcnt vmcnt(0)
	v_mul_f64 v[16:17], s[16:17], v[16:17]
	v_fma_f64 v[14:15], s[14:15], v[14:15], v[16:17]
	global_store_dwordx2 v[1:2], v[14:15], off
.LBB1070_10:
	s_or_b64 exec, exec, s[2:3]
	v_add_u32_e32 v2, 16, v0
	v_cmp_le_i32_e64 s[2:3], v4, v2
	v_cmp_gt_i32_e64 s[0:1], s9, v2
	s_and_b64 s[2:3], s[2:3], s[0:1]
	s_and_saveexec_b64 s[4:5], s[2:3]
	s_cbranch_execz .LBB1070_12
; %bb.11:
	v_ashrrev_i32_e32 v3, 31, v2
	v_lshlrev_b64 v[14:15], 3, v[2:3]
	v_add_co_u32_e64 v5, s[2:3], v5, v14
	v_addc_co_u32_e64 v6, s[2:3], v6, v15, s[2:3]
	global_load_dwordx2 v[14:15], v[5:6], off
	s_waitcnt vmcnt(0)
	v_mul_f64 v[14:15], s[16:17], v[14:15]
	v_fma_f64 v[12:13], s[14:15], v[12:13], v[14:15]
	global_store_dwordx2 v[5:6], v[12:13], off
.LBB1070_12:
	s_or_b64 exec, exec, s[4:5]
	v_add_u32_e32 v3, 16, v4
	v_ashrrev_i32_e32 v1, 31, v3
	v_mul_lo_u32 v6, s21, v3
	v_mad_u64_u32 v[4:5], s[2:3], s20, v3, 0
	v_mul_lo_u32 v1, s20, v1
	v_add3_u32 v5, v5, v1, v6
	v_lshlrev_b64 v[4:5], 3, v[4:5]
	v_mov_b32_e32 v1, s7
	v_add_co_u32_e64 v4, s[2:3], s6, v4
	v_addc_co_u32_e64 v5, s[2:3], v1, v5, s[2:3]
	v_cmp_le_i32_e64 s[2:3], v3, v0
	s_and_b64 s[4:5], s[2:3], vcc
	s_and_saveexec_b64 s[2:3], s[4:5]
	s_cbranch_execz .LBB1070_14
; %bb.13:
	v_ashrrev_i32_e32 v1, 31, v0
	v_lshlrev_b64 v[0:1], 3, v[0:1]
	v_add_co_u32_e32 v0, vcc, v4, v0
	v_addc_co_u32_e32 v1, vcc, v5, v1, vcc
	global_load_dwordx2 v[6:7], v[0:1], off
	s_waitcnt vmcnt(0)
	v_mul_f64 v[6:7], s[16:17], v[6:7]
	v_fma_f64 v[6:7], s[14:15], v[10:11], v[6:7]
	global_store_dwordx2 v[0:1], v[6:7], off
.LBB1070_14:
	s_or_b64 exec, exec, s[2:3]
	v_cmp_le_i32_e32 vcc, v3, v2
	s_and_b64 s[0:1], vcc, s[0:1]
	s_and_saveexec_b64 s[2:3], s[0:1]
	s_cbranch_execz .LBB1070_16
; %bb.15:
	v_ashrrev_i32_e32 v3, 31, v2
	v_lshlrev_b64 v[0:1], 3, v[2:3]
	v_add_co_u32_e32 v0, vcc, v4, v0
	v_addc_co_u32_e32 v1, vcc, v5, v1, vcc
	global_load_dwordx2 v[2:3], v[0:1], off
	s_waitcnt vmcnt(0)
	v_mul_f64 v[2:3], s[16:17], v[2:3]
	v_fma_f64 v[2:3], s[14:15], v[8:9], v[2:3]
	global_store_dwordx2 v[0:1], v[2:3], off
.LBB1070_16:
	s_endpgm
	.section	.rodata,"a",@progbits
	.p2align	6, 0x0
	.amdhsa_kernel _ZL34rocblas_syrkx_herkx_general_kernelIldLi16ELi32ELi8ELb0ELb0ELc67ELc76EKddEviT_T0_PT8_S1_lS4_S1_lS2_PT9_S1_li
		.amdhsa_group_segment_fixed_size 4096
		.amdhsa_private_segment_fixed_size 0
		.amdhsa_kernarg_size 108
		.amdhsa_user_sgpr_count 6
		.amdhsa_user_sgpr_private_segment_buffer 1
		.amdhsa_user_sgpr_dispatch_ptr 0
		.amdhsa_user_sgpr_queue_ptr 0
		.amdhsa_user_sgpr_kernarg_segment_ptr 1
		.amdhsa_user_sgpr_dispatch_id 0
		.amdhsa_user_sgpr_flat_scratch_init 0
		.amdhsa_user_sgpr_private_segment_size 0
		.amdhsa_uses_dynamic_stack 0
		.amdhsa_system_sgpr_private_segment_wavefront_offset 0
		.amdhsa_system_sgpr_workgroup_id_x 1
		.amdhsa_system_sgpr_workgroup_id_y 1
		.amdhsa_system_sgpr_workgroup_id_z 1
		.amdhsa_system_sgpr_workgroup_info 0
		.amdhsa_system_vgpr_workitem_id 1
		.amdhsa_next_free_vgpr 36
		.amdhsa_next_free_sgpr 30
		.amdhsa_reserve_vcc 1
		.amdhsa_reserve_flat_scratch 0
		.amdhsa_float_round_mode_32 0
		.amdhsa_float_round_mode_16_64 0
		.amdhsa_float_denorm_mode_32 3
		.amdhsa_float_denorm_mode_16_64 3
		.amdhsa_dx10_clamp 1
		.amdhsa_ieee_mode 1
		.amdhsa_fp16_overflow 0
		.amdhsa_exception_fp_ieee_invalid_op 0
		.amdhsa_exception_fp_denorm_src 0
		.amdhsa_exception_fp_ieee_div_zero 0
		.amdhsa_exception_fp_ieee_overflow 0
		.amdhsa_exception_fp_ieee_underflow 0
		.amdhsa_exception_fp_ieee_inexact 0
		.amdhsa_exception_int_div_zero 0
	.end_amdhsa_kernel
	.section	.text._ZL34rocblas_syrkx_herkx_general_kernelIldLi16ELi32ELi8ELb0ELb0ELc67ELc76EKddEviT_T0_PT8_S1_lS4_S1_lS2_PT9_S1_li,"axG",@progbits,_ZL34rocblas_syrkx_herkx_general_kernelIldLi16ELi32ELi8ELb0ELb0ELc67ELc76EKddEviT_T0_PT8_S1_lS4_S1_lS2_PT9_S1_li,comdat
.Lfunc_end1070:
	.size	_ZL34rocblas_syrkx_herkx_general_kernelIldLi16ELi32ELi8ELb0ELb0ELc67ELc76EKddEviT_T0_PT8_S1_lS4_S1_lS2_PT9_S1_li, .Lfunc_end1070-_ZL34rocblas_syrkx_herkx_general_kernelIldLi16ELi32ELi8ELb0ELb0ELc67ELc76EKddEviT_T0_PT8_S1_lS4_S1_lS2_PT9_S1_li
                                        ; -- End function
	.set _ZL34rocblas_syrkx_herkx_general_kernelIldLi16ELi32ELi8ELb0ELb0ELc67ELc76EKddEviT_T0_PT8_S1_lS4_S1_lS2_PT9_S1_li.num_vgpr, 36
	.set _ZL34rocblas_syrkx_herkx_general_kernelIldLi16ELi32ELi8ELb0ELb0ELc67ELc76EKddEviT_T0_PT8_S1_lS4_S1_lS2_PT9_S1_li.num_agpr, 0
	.set _ZL34rocblas_syrkx_herkx_general_kernelIldLi16ELi32ELi8ELb0ELb0ELc67ELc76EKddEviT_T0_PT8_S1_lS4_S1_lS2_PT9_S1_li.numbered_sgpr, 30
	.set _ZL34rocblas_syrkx_herkx_general_kernelIldLi16ELi32ELi8ELb0ELb0ELc67ELc76EKddEviT_T0_PT8_S1_lS4_S1_lS2_PT9_S1_li.num_named_barrier, 0
	.set _ZL34rocblas_syrkx_herkx_general_kernelIldLi16ELi32ELi8ELb0ELb0ELc67ELc76EKddEviT_T0_PT8_S1_lS4_S1_lS2_PT9_S1_li.private_seg_size, 0
	.set _ZL34rocblas_syrkx_herkx_general_kernelIldLi16ELi32ELi8ELb0ELb0ELc67ELc76EKddEviT_T0_PT8_S1_lS4_S1_lS2_PT9_S1_li.uses_vcc, 1
	.set _ZL34rocblas_syrkx_herkx_general_kernelIldLi16ELi32ELi8ELb0ELb0ELc67ELc76EKddEviT_T0_PT8_S1_lS4_S1_lS2_PT9_S1_li.uses_flat_scratch, 0
	.set _ZL34rocblas_syrkx_herkx_general_kernelIldLi16ELi32ELi8ELb0ELb0ELc67ELc76EKddEviT_T0_PT8_S1_lS4_S1_lS2_PT9_S1_li.has_dyn_sized_stack, 0
	.set _ZL34rocblas_syrkx_herkx_general_kernelIldLi16ELi32ELi8ELb0ELb0ELc67ELc76EKddEviT_T0_PT8_S1_lS4_S1_lS2_PT9_S1_li.has_recursion, 0
	.set _ZL34rocblas_syrkx_herkx_general_kernelIldLi16ELi32ELi8ELb0ELb0ELc67ELc76EKddEviT_T0_PT8_S1_lS4_S1_lS2_PT9_S1_li.has_indirect_call, 0
	.section	.AMDGPU.csdata,"",@progbits
; Kernel info:
; codeLenInByte = 1556
; TotalNumSgprs: 34
; NumVgprs: 36
; ScratchSize: 0
; MemoryBound: 0
; FloatMode: 240
; IeeeMode: 1
; LDSByteSize: 4096 bytes/workgroup (compile time only)
; SGPRBlocks: 4
; VGPRBlocks: 8
; NumSGPRsForWavesPerEU: 34
; NumVGPRsForWavesPerEU: 36
; Occupancy: 7
; WaveLimiterHint : 0
; COMPUTE_PGM_RSRC2:SCRATCH_EN: 0
; COMPUTE_PGM_RSRC2:USER_SGPR: 6
; COMPUTE_PGM_RSRC2:TRAP_HANDLER: 0
; COMPUTE_PGM_RSRC2:TGID_X_EN: 1
; COMPUTE_PGM_RSRC2:TGID_Y_EN: 1
; COMPUTE_PGM_RSRC2:TGID_Z_EN: 1
; COMPUTE_PGM_RSRC2:TIDIG_COMP_CNT: 1
	.section	.text._ZL34rocblas_syrkx_herkx_general_kernelIldLi16ELi32ELi8ELb0ELb0ELc78ELc76EKddEviT_T0_PT8_S1_lS4_S1_lS2_PT9_S1_li,"axG",@progbits,_ZL34rocblas_syrkx_herkx_general_kernelIldLi16ELi32ELi8ELb0ELb0ELc78ELc76EKddEviT_T0_PT8_S1_lS4_S1_lS2_PT9_S1_li,comdat
	.globl	_ZL34rocblas_syrkx_herkx_general_kernelIldLi16ELi32ELi8ELb0ELb0ELc78ELc76EKddEviT_T0_PT8_S1_lS4_S1_lS2_PT9_S1_li ; -- Begin function _ZL34rocblas_syrkx_herkx_general_kernelIldLi16ELi32ELi8ELb0ELb0ELc78ELc76EKddEviT_T0_PT8_S1_lS4_S1_lS2_PT9_S1_li
	.p2align	8
	.type	_ZL34rocblas_syrkx_herkx_general_kernelIldLi16ELi32ELi8ELb0ELb0ELc78ELc76EKddEviT_T0_PT8_S1_lS4_S1_lS2_PT9_S1_li,@function
_ZL34rocblas_syrkx_herkx_general_kernelIldLi16ELi32ELi8ELb0ELb0ELc78ELc76EKddEviT_T0_PT8_S1_lS4_S1_lS2_PT9_S1_li: ; @_ZL34rocblas_syrkx_herkx_general_kernelIldLi16ELi32ELi8ELb0ELb0ELc78ELc76EKddEviT_T0_PT8_S1_lS4_S1_lS2_PT9_S1_li
; %bb.0:
	s_load_dwordx16 s[12:27], s[4:5], 0x8
	s_load_dword s9, s[4:5], 0x0
	s_lshl_b32 s28, s6, 5
	s_lshl_b32 s29, s7, 5
	s_waitcnt lgkmcnt(0)
	v_cmp_lt_i64_e64 s[0:1], s[12:13], 1
	s_and_b64 vcc, exec, s[0:1]
	s_cbranch_vccnz .LBB1071_7
; %bb.1:
	v_lshl_add_u32 v2, v1, 4, v0
	v_and_b32_e32 v8, 31, v2
	v_lshrrev_b32_e32 v5, 3, v2
	v_or_b32_e32 v3, s28, v8
	v_lshrrev_b32_e32 v16, 5, v2
	v_lshlrev_b32_e32 v2, 3, v8
	v_cmp_gt_i32_e64 s[0:1], s9, v3
	v_lshl_or_b32 v18, v16, 8, v2
	v_mad_u64_u32 v[2:3], s[6:7], s18, v16, 0
	v_and_b32_e32 v17, 7, v0
	v_add_u32_e32 v4, s29, v5
	v_lshlrev_b32_e32 v6, 3, v17
	v_lshl_or_b32 v5, v5, 6, v6
	v_mad_u64_u32 v[6:7], s[6:7], s19, v16, v[3:4]
	v_mov_b32_e32 v3, 0x800
	v_lshl_add_u32 v21, v1, 6, v3
	v_mov_b32_e32 v3, v6
	s_mul_i32 s6, s21, s8
	s_mul_hi_u32 s7, s20, s8
	v_lshlrev_b64 v[2:3], 3, v[2:3]
	s_add_i32 s7, s7, s6
	s_mul_i32 s6, s20, s8
	s_lshl_b64 s[6:7], s[6:7], 3
	v_mov_b32_e32 v6, s7
	v_add_co_u32_e32 v7, vcc, s6, v2
	v_add_u32_e32 v2, s28, v8
	v_addc_co_u32_e32 v6, vcc, v3, v6, vcc
	v_ashrrev_i32_e32 v3, 31, v2
	v_lshlrev_b64 v[2:3], 3, v[2:3]
	v_add_u32_e32 v19, 0x800, v5
	v_add_co_u32_e32 v2, vcc, v7, v2
	v_addc_co_u32_e32 v3, vcc, v6, v3, vcc
	v_mov_b32_e32 v6, s17
	v_add_co_u32_e32 v2, vcc, s16, v2
	v_addc_co_u32_e32 v3, vcc, v6, v3, vcc
	v_mad_u64_u32 v[6:7], s[6:7], s24, v17, 0
	s_mul_i32 s16, s27, s8
	s_mul_hi_u32 s17, s26, s8
	v_mad_u64_u32 v[7:8], s[6:7], s25, v17, v[7:8]
	s_add_i32 s7, s17, s16
	s_mul_i32 s6, s26, s8
	v_lshlrev_b64 v[6:7], 3, v[6:7]
	v_ashrrev_i32_e32 v5, 31, v4
	s_lshl_b64 s[6:7], s[6:7], 3
	v_cmp_gt_i32_e64 s[2:3], s9, v4
	v_mov_b32_e32 v8, s7
	v_add_co_u32_e32 v6, vcc, s6, v6
	v_lshlrev_b64 v[4:5], 3, v[4:5]
	v_addc_co_u32_e32 v7, vcc, v8, v7, vcc
	v_add_co_u32_e32 v4, vcc, v6, v4
	v_addc_co_u32_e32 v5, vcc, v7, v5, vcc
	v_mov_b32_e32 v6, s23
	v_add_co_u32_e32 v4, vcc, s22, v4
	s_lshl_b64 s[10:11], s[18:19], 6
	v_addc_co_u32_e32 v5, vcc, v6, v5, vcc
	s_lshl_b64 s[16:17], s[24:25], 6
	v_mov_b32_e32 v6, 0
	v_mov_b32_e32 v8, 0
	;; [unrolled: 1-line block ×4, first 2 shown]
	v_lshlrev_b32_e32 v20, 3, v0
	s_mov_b64 s[18:19], 0
	v_mov_b32_e32 v7, 0
	v_mov_b32_e32 v22, s11
	;; [unrolled: 1-line block ×6, first 2 shown]
	s_branch .LBB1071_3
.LBB1071_2:                             ;   in Loop: Header=BB1071_3 Depth=1
	s_or_b64 exec, exec, s[6:7]
	s_waitcnt vmcnt(0)
	ds_write_b64 v19, v[14:15]
	s_waitcnt lgkmcnt(0)
	s_barrier
	ds_read2_b64 v[24:27], v20 offset1:16
	ds_read_b128 v[28:31], v21
	ds_read_b128 v[32:35], v21 offset:1024
	s_add_u32 s18, s18, 8
	v_add_co_u32_e32 v2, vcc, s10, v2
	s_waitcnt lgkmcnt(1)
	v_fma_f64 v[12:13], v[24:25], v[28:29], v[12:13]
	v_fma_f64 v[10:11], v[26:27], v[28:29], v[10:11]
	s_waitcnt lgkmcnt(0)
	v_fma_f64 v[14:15], v[24:25], v[32:33], v[8:9]
	v_fma_f64 v[24:25], v[26:27], v[32:33], v[6:7]
	ds_read2_b64 v[6:9], v20 offset0:32 offset1:48
	v_addc_co_u32_e32 v3, vcc, v3, v22, vcc
	s_addc_u32 s19, s19, 0
	v_add_co_u32_e64 v4, s[6:7], s16, v4
	s_waitcnt lgkmcnt(0)
	v_fma_f64 v[28:29], v[6:7], v[30:31], v[12:13]
	v_fma_f64 v[30:31], v[8:9], v[30:31], v[10:11]
	;; [unrolled: 1-line block ×4, first 2 shown]
	ds_read_b128 v[10:13], v21 offset:16
	ds_read2_b64 v[6:9], v20 offset0:64 offset1:80
	ds_read_b128 v[24:27], v21 offset:1040
	v_addc_co_u32_e64 v5, s[6:7], v5, v23, s[6:7]
	s_waitcnt lgkmcnt(1)
	v_fma_f64 v[28:29], v[6:7], v[10:11], v[28:29]
	v_fma_f64 v[10:11], v[8:9], v[10:11], v[30:31]
	s_waitcnt lgkmcnt(0)
	v_fma_f64 v[14:15], v[6:7], v[24:25], v[14:15]
	v_fma_f64 v[24:25], v[8:9], v[24:25], v[32:33]
	ds_read2_b64 v[6:9], v20 offset0:96 offset1:112
	s_waitcnt lgkmcnt(0)
	v_fma_f64 v[28:29], v[6:7], v[12:13], v[28:29]
	v_fma_f64 v[30:31], v[8:9], v[12:13], v[10:11]
	;; [unrolled: 1-line block ×4, first 2 shown]
	ds_read2_b64 v[10:13], v20 offset0:128 offset1:144
	ds_read_b128 v[6:9], v21 offset:32
	ds_read_b128 v[24:27], v21 offset:1056
	s_waitcnt lgkmcnt(1)
	v_fma_f64 v[28:29], v[10:11], v[6:7], v[28:29]
	v_fma_f64 v[6:7], v[12:13], v[6:7], v[30:31]
	s_waitcnt lgkmcnt(0)
	v_fma_f64 v[14:15], v[10:11], v[24:25], v[14:15]
	v_fma_f64 v[24:25], v[12:13], v[24:25], v[32:33]
	ds_read2_b64 v[10:13], v20 offset0:160 offset1:176
	s_waitcnt lgkmcnt(0)
	v_fma_f64 v[28:29], v[10:11], v[8:9], v[28:29]
	v_fma_f64 v[30:31], v[12:13], v[8:9], v[6:7]
	;; [unrolled: 1-line block ×4, first 2 shown]
	ds_read_b128 v[6:9], v21 offset:48
	ds_read2_b64 v[10:13], v20 offset0:192 offset1:208
	ds_read_b128 v[24:27], v21 offset:1072
	s_waitcnt lgkmcnt(1)
	v_fma_f64 v[34:35], v[10:11], v[6:7], v[28:29]
	v_fma_f64 v[6:7], v[12:13], v[6:7], v[30:31]
	s_waitcnt lgkmcnt(0)
	v_fma_f64 v[14:15], v[10:11], v[24:25], v[14:15]
	v_fma_f64 v[24:25], v[12:13], v[24:25], v[32:33]
	ds_read2_b64 v[28:31], v20 offset0:224 offset1:240
	v_mov_b32_e32 v33, s13
	v_mov_b32_e32 v32, s12
	v_cmp_ge_i64_e32 vcc, s[18:19], v[32:33]
	s_waitcnt lgkmcnt(0)
	v_fma_f64 v[12:13], v[28:29], v[8:9], v[34:35]
	v_fma_f64 v[10:11], v[30:31], v[8:9], v[6:7]
	;; [unrolled: 1-line block ×4, first 2 shown]
	s_barrier
	s_cbranch_vccnz .LBB1071_8
.LBB1071_3:                             ; =>This Inner Loop Header: Depth=1
	v_mov_b32_e32 v15, s19
	v_add_co_u32_e32 v14, vcc, s18, v16
	v_addc_co_u32_e32 v15, vcc, 0, v15, vcc
	v_cmp_gt_i64_e32 vcc, s[12:13], v[14:15]
	v_mov_b32_e32 v14, 0
	v_mov_b32_e32 v15, 0
	s_and_b64 s[20:21], s[0:1], vcc
	s_and_saveexec_b64 s[6:7], s[20:21]
	s_cbranch_execz .LBB1071_5
; %bb.4:                                ;   in Loop: Header=BB1071_3 Depth=1
	global_load_dwordx2 v[14:15], v[2:3], off
.LBB1071_5:                             ;   in Loop: Header=BB1071_3 Depth=1
	s_or_b64 exec, exec, s[6:7]
	s_waitcnt vmcnt(0)
	ds_write_b64 v18, v[14:15]
	v_mov_b32_e32 v15, s19
	v_add_co_u32_e32 v14, vcc, s18, v17
	v_addc_co_u32_e32 v15, vcc, 0, v15, vcc
	v_cmp_gt_i64_e32 vcc, s[12:13], v[14:15]
	v_mov_b32_e32 v14, 0
	v_mov_b32_e32 v15, 0
	s_and_b64 s[20:21], vcc, s[2:3]
	s_and_saveexec_b64 s[6:7], s[20:21]
	s_cbranch_execz .LBB1071_2
; %bb.6:                                ;   in Loop: Header=BB1071_3 Depth=1
	global_load_dwordx2 v[14:15], v[4:5], off
	s_branch .LBB1071_2
.LBB1071_7:
	v_mov_b32_e32 v12, 0
	v_mov_b32_e32 v10, 0
	;; [unrolled: 1-line block ×8, first 2 shown]
.LBB1071_8:
	s_load_dwordx8 s[16:23], s[4:5], 0x48
	v_add_u32_e32 v4, s29, v1
	v_ashrrev_i32_e32 v1, 31, v4
	v_add_u32_e32 v0, s28, v0
	s_waitcnt lgkmcnt(0)
	s_mul_i32 s1, s23, s8
	s_mul_hi_u32 s2, s22, s8
	s_add_i32 s1, s2, s1
	v_mul_lo_u32 v3, s20, v1
	v_mul_lo_u32 v5, s21, v4
	v_mad_u64_u32 v[1:2], s[2:3], s20, v4, 0
	s_mul_i32 s0, s22, s8
	s_lshl_b64 s[0:1], s[0:1], 3
	v_add3_u32 v2, v2, v3, v5
	s_add_u32 s6, s18, s0
	v_lshlrev_b64 v[1:2], 3, v[1:2]
	s_addc_u32 s7, s19, s1
	v_mov_b32_e32 v3, s7
	v_add_co_u32_e32 v5, vcc, s6, v1
	v_addc_co_u32_e32 v14, vcc, v3, v2, vcc
	v_cmp_le_i32_e64 s[0:1], v4, v0
	v_cmp_gt_i32_e32 vcc, s9, v0
	s_and_b64 s[0:1], s[0:1], vcc
	s_and_saveexec_b64 s[2:3], s[0:1]
	s_cbranch_execz .LBB1071_10
; %bb.9:
	v_ashrrev_i32_e32 v1, 31, v0
	v_lshlrev_b64 v[1:2], 3, v[0:1]
	v_add_co_u32_e64 v1, s[0:1], v5, v1
	v_addc_co_u32_e64 v2, s[0:1], v14, v2, s[0:1]
	global_load_dwordx2 v[15:16], v[1:2], off
	s_waitcnt vmcnt(0)
	v_mul_f64 v[15:16], s[16:17], v[15:16]
	v_fma_f64 v[12:13], s[14:15], v[12:13], v[15:16]
	global_store_dwordx2 v[1:2], v[12:13], off
.LBB1071_10:
	s_or_b64 exec, exec, s[2:3]
	v_add_u32_e32 v2, 16, v0
	v_cmp_le_i32_e64 s[2:3], v4, v2
	v_cmp_gt_i32_e64 s[0:1], s9, v2
	s_and_b64 s[2:3], s[2:3], s[0:1]
	s_and_saveexec_b64 s[4:5], s[2:3]
	s_cbranch_execz .LBB1071_12
; %bb.11:
	v_ashrrev_i32_e32 v3, 31, v2
	v_lshlrev_b64 v[12:13], 3, v[2:3]
	v_add_co_u32_e64 v12, s[2:3], v5, v12
	v_addc_co_u32_e64 v13, s[2:3], v14, v13, s[2:3]
	global_load_dwordx2 v[14:15], v[12:13], off
	s_waitcnt vmcnt(0)
	v_mul_f64 v[14:15], s[16:17], v[14:15]
	v_fma_f64 v[10:11], s[14:15], v[10:11], v[14:15]
	global_store_dwordx2 v[12:13], v[10:11], off
.LBB1071_12:
	s_or_b64 exec, exec, s[4:5]
	v_add_u32_e32 v3, 16, v4
	v_ashrrev_i32_e32 v1, 31, v3
	v_mul_lo_u32 v10, s21, v3
	v_mad_u64_u32 v[4:5], s[2:3], s20, v3, 0
	v_mul_lo_u32 v1, s20, v1
	v_add3_u32 v5, v5, v1, v10
	v_lshlrev_b64 v[4:5], 3, v[4:5]
	v_mov_b32_e32 v1, s7
	v_add_co_u32_e64 v4, s[2:3], s6, v4
	v_addc_co_u32_e64 v5, s[2:3], v1, v5, s[2:3]
	v_cmp_le_i32_e64 s[2:3], v3, v0
	s_and_b64 s[4:5], s[2:3], vcc
	s_and_saveexec_b64 s[2:3], s[4:5]
	s_cbranch_execz .LBB1071_14
; %bb.13:
	v_ashrrev_i32_e32 v1, 31, v0
	v_lshlrev_b64 v[0:1], 3, v[0:1]
	v_add_co_u32_e32 v0, vcc, v4, v0
	v_addc_co_u32_e32 v1, vcc, v5, v1, vcc
	global_load_dwordx2 v[10:11], v[0:1], off
	s_waitcnt vmcnt(0)
	v_mul_f64 v[10:11], s[16:17], v[10:11]
	v_fma_f64 v[8:9], s[14:15], v[8:9], v[10:11]
	global_store_dwordx2 v[0:1], v[8:9], off
.LBB1071_14:
	s_or_b64 exec, exec, s[2:3]
	v_cmp_le_i32_e32 vcc, v3, v2
	s_and_b64 s[0:1], vcc, s[0:1]
	s_and_saveexec_b64 s[2:3], s[0:1]
	s_cbranch_execz .LBB1071_16
; %bb.15:
	v_ashrrev_i32_e32 v3, 31, v2
	v_lshlrev_b64 v[0:1], 3, v[2:3]
	v_add_co_u32_e32 v0, vcc, v4, v0
	v_addc_co_u32_e32 v1, vcc, v5, v1, vcc
	global_load_dwordx2 v[2:3], v[0:1], off
	s_waitcnt vmcnt(0)
	v_mul_f64 v[2:3], s[16:17], v[2:3]
	v_fma_f64 v[2:3], s[14:15], v[6:7], v[2:3]
	global_store_dwordx2 v[0:1], v[2:3], off
.LBB1071_16:
	s_endpgm
	.section	.rodata,"a",@progbits
	.p2align	6, 0x0
	.amdhsa_kernel _ZL34rocblas_syrkx_herkx_general_kernelIldLi16ELi32ELi8ELb0ELb0ELc78ELc76EKddEviT_T0_PT8_S1_lS4_S1_lS2_PT9_S1_li
		.amdhsa_group_segment_fixed_size 4096
		.amdhsa_private_segment_fixed_size 0
		.amdhsa_kernarg_size 108
		.amdhsa_user_sgpr_count 6
		.amdhsa_user_sgpr_private_segment_buffer 1
		.amdhsa_user_sgpr_dispatch_ptr 0
		.amdhsa_user_sgpr_queue_ptr 0
		.amdhsa_user_sgpr_kernarg_segment_ptr 1
		.amdhsa_user_sgpr_dispatch_id 0
		.amdhsa_user_sgpr_flat_scratch_init 0
		.amdhsa_user_sgpr_private_segment_size 0
		.amdhsa_uses_dynamic_stack 0
		.amdhsa_system_sgpr_private_segment_wavefront_offset 0
		.amdhsa_system_sgpr_workgroup_id_x 1
		.amdhsa_system_sgpr_workgroup_id_y 1
		.amdhsa_system_sgpr_workgroup_id_z 1
		.amdhsa_system_sgpr_workgroup_info 0
		.amdhsa_system_vgpr_workitem_id 1
		.amdhsa_next_free_vgpr 36
		.amdhsa_next_free_sgpr 30
		.amdhsa_reserve_vcc 1
		.amdhsa_reserve_flat_scratch 0
		.amdhsa_float_round_mode_32 0
		.amdhsa_float_round_mode_16_64 0
		.amdhsa_float_denorm_mode_32 3
		.amdhsa_float_denorm_mode_16_64 3
		.amdhsa_dx10_clamp 1
		.amdhsa_ieee_mode 1
		.amdhsa_fp16_overflow 0
		.amdhsa_exception_fp_ieee_invalid_op 0
		.amdhsa_exception_fp_denorm_src 0
		.amdhsa_exception_fp_ieee_div_zero 0
		.amdhsa_exception_fp_ieee_overflow 0
		.amdhsa_exception_fp_ieee_underflow 0
		.amdhsa_exception_fp_ieee_inexact 0
		.amdhsa_exception_int_div_zero 0
	.end_amdhsa_kernel
	.section	.text._ZL34rocblas_syrkx_herkx_general_kernelIldLi16ELi32ELi8ELb0ELb0ELc78ELc76EKddEviT_T0_PT8_S1_lS4_S1_lS2_PT9_S1_li,"axG",@progbits,_ZL34rocblas_syrkx_herkx_general_kernelIldLi16ELi32ELi8ELb0ELb0ELc78ELc76EKddEviT_T0_PT8_S1_lS4_S1_lS2_PT9_S1_li,comdat
.Lfunc_end1071:
	.size	_ZL34rocblas_syrkx_herkx_general_kernelIldLi16ELi32ELi8ELb0ELb0ELc78ELc76EKddEviT_T0_PT8_S1_lS4_S1_lS2_PT9_S1_li, .Lfunc_end1071-_ZL34rocblas_syrkx_herkx_general_kernelIldLi16ELi32ELi8ELb0ELb0ELc78ELc76EKddEviT_T0_PT8_S1_lS4_S1_lS2_PT9_S1_li
                                        ; -- End function
	.set _ZL34rocblas_syrkx_herkx_general_kernelIldLi16ELi32ELi8ELb0ELb0ELc78ELc76EKddEviT_T0_PT8_S1_lS4_S1_lS2_PT9_S1_li.num_vgpr, 36
	.set _ZL34rocblas_syrkx_herkx_general_kernelIldLi16ELi32ELi8ELb0ELb0ELc78ELc76EKddEviT_T0_PT8_S1_lS4_S1_lS2_PT9_S1_li.num_agpr, 0
	.set _ZL34rocblas_syrkx_herkx_general_kernelIldLi16ELi32ELi8ELb0ELb0ELc78ELc76EKddEviT_T0_PT8_S1_lS4_S1_lS2_PT9_S1_li.numbered_sgpr, 30
	.set _ZL34rocblas_syrkx_herkx_general_kernelIldLi16ELi32ELi8ELb0ELb0ELc78ELc76EKddEviT_T0_PT8_S1_lS4_S1_lS2_PT9_S1_li.num_named_barrier, 0
	.set _ZL34rocblas_syrkx_herkx_general_kernelIldLi16ELi32ELi8ELb0ELb0ELc78ELc76EKddEviT_T0_PT8_S1_lS4_S1_lS2_PT9_S1_li.private_seg_size, 0
	.set _ZL34rocblas_syrkx_herkx_general_kernelIldLi16ELi32ELi8ELb0ELb0ELc78ELc76EKddEviT_T0_PT8_S1_lS4_S1_lS2_PT9_S1_li.uses_vcc, 1
	.set _ZL34rocblas_syrkx_herkx_general_kernelIldLi16ELi32ELi8ELb0ELb0ELc78ELc76EKddEviT_T0_PT8_S1_lS4_S1_lS2_PT9_S1_li.uses_flat_scratch, 0
	.set _ZL34rocblas_syrkx_herkx_general_kernelIldLi16ELi32ELi8ELb0ELb0ELc78ELc76EKddEviT_T0_PT8_S1_lS4_S1_lS2_PT9_S1_li.has_dyn_sized_stack, 0
	.set _ZL34rocblas_syrkx_herkx_general_kernelIldLi16ELi32ELi8ELb0ELb0ELc78ELc76EKddEviT_T0_PT8_S1_lS4_S1_lS2_PT9_S1_li.has_recursion, 0
	.set _ZL34rocblas_syrkx_herkx_general_kernelIldLi16ELi32ELi8ELb0ELb0ELc78ELc76EKddEviT_T0_PT8_S1_lS4_S1_lS2_PT9_S1_li.has_indirect_call, 0
	.section	.AMDGPU.csdata,"",@progbits
; Kernel info:
; codeLenInByte = 1552
; TotalNumSgprs: 34
; NumVgprs: 36
; ScratchSize: 0
; MemoryBound: 0
; FloatMode: 240
; IeeeMode: 1
; LDSByteSize: 4096 bytes/workgroup (compile time only)
; SGPRBlocks: 4
; VGPRBlocks: 8
; NumSGPRsForWavesPerEU: 34
; NumVGPRsForWavesPerEU: 36
; Occupancy: 7
; WaveLimiterHint : 0
; COMPUTE_PGM_RSRC2:SCRATCH_EN: 0
; COMPUTE_PGM_RSRC2:USER_SGPR: 6
; COMPUTE_PGM_RSRC2:TRAP_HANDLER: 0
; COMPUTE_PGM_RSRC2:TGID_X_EN: 1
; COMPUTE_PGM_RSRC2:TGID_Y_EN: 1
; COMPUTE_PGM_RSRC2:TGID_Z_EN: 1
; COMPUTE_PGM_RSRC2:TIDIG_COMP_CNT: 1
	.section	.text._ZL34rocblas_syrkx_herkx_general_kernelIldLi16ELi32ELi8ELb0ELb0ELc84ELc85EKddEviT_T0_PT8_S1_lS4_S1_lS2_PT9_S1_li,"axG",@progbits,_ZL34rocblas_syrkx_herkx_general_kernelIldLi16ELi32ELi8ELb0ELb0ELc84ELc85EKddEviT_T0_PT8_S1_lS4_S1_lS2_PT9_S1_li,comdat
	.globl	_ZL34rocblas_syrkx_herkx_general_kernelIldLi16ELi32ELi8ELb0ELb0ELc84ELc85EKddEviT_T0_PT8_S1_lS4_S1_lS2_PT9_S1_li ; -- Begin function _ZL34rocblas_syrkx_herkx_general_kernelIldLi16ELi32ELi8ELb0ELb0ELc84ELc85EKddEviT_T0_PT8_S1_lS4_S1_lS2_PT9_S1_li
	.p2align	8
	.type	_ZL34rocblas_syrkx_herkx_general_kernelIldLi16ELi32ELi8ELb0ELb0ELc84ELc85EKddEviT_T0_PT8_S1_lS4_S1_lS2_PT9_S1_li,@function
_ZL34rocblas_syrkx_herkx_general_kernelIldLi16ELi32ELi8ELb0ELb0ELc84ELc85EKddEviT_T0_PT8_S1_lS4_S1_lS2_PT9_S1_li: ; @_ZL34rocblas_syrkx_herkx_general_kernelIldLi16ELi32ELi8ELb0ELb0ELc84ELc85EKddEviT_T0_PT8_S1_lS4_S1_lS2_PT9_S1_li
; %bb.0:
	s_load_dwordx16 s[12:27], s[4:5], 0x8
	s_load_dword s9, s[4:5], 0x0
	s_lshl_b32 s28, s6, 5
	s_lshl_b32 s29, s7, 5
	s_waitcnt lgkmcnt(0)
	v_cmp_lt_i64_e64 s[0:1], s[12:13], 1
	s_and_b64 vcc, exec, s[0:1]
	s_cbranch_vccnz .LBB1072_7
; %bb.1:
	v_lshl_add_u32 v2, v1, 4, v0
	v_and_b32_e32 v5, 31, v2
	v_or_b32_e32 v6, s28, v5
	v_and_b32_e32 v19, 7, v0
	v_lshrrev_b32_e32 v3, 3, v2
	v_lshrrev_b32_e32 v18, 5, v2
	v_cmp_gt_i32_e64 s[0:1], s9, v6
	v_lshlrev_b32_e32 v2, 3, v5
	v_lshlrev_b32_e32 v6, 3, v19
	v_lshl_or_b32 v20, v18, 8, v2
	v_lshl_or_b32 v2, v3, 6, v6
	v_add_u32_e32 v21, 0x800, v2
	v_add_u32_e32 v2, s28, v5
	;; [unrolled: 1-line block ×3, first 2 shown]
	v_ashrrev_i32_e32 v3, 31, v2
	v_mul_lo_u32 v5, s18, v3
	v_mul_lo_u32 v8, s19, v2
	v_mad_u64_u32 v[2:3], s[6:7], s18, v2, 0
	s_mul_i32 s6, s21, s8
	s_mul_hi_u32 s7, s20, s8
	v_add3_u32 v3, v3, v5, v8
	v_lshlrev_b64 v[2:3], 3, v[2:3]
	s_add_i32 s7, s7, s6
	s_mul_i32 s6, s20, s8
	s_lshl_b64 s[6:7], s[6:7], 3
	v_mov_b32_e32 v5, s7
	v_add_co_u32_e32 v2, vcc, s6, v2
	v_ashrrev_i32_e32 v7, 31, v4
	v_mov_b32_e32 v9, 0x800
	v_addc_co_u32_e32 v3, vcc, v3, v5, vcc
	v_lshlrev_b32_e32 v5, 3, v18
	v_cmp_gt_i32_e64 s[2:3], s9, v4
	v_lshl_add_u32 v23, v1, 6, v9
	v_add_co_u32_e32 v2, vcc, v2, v5
	v_mul_lo_u32 v7, s24, v7
	v_mul_lo_u32 v9, s25, v4
	v_mad_u64_u32 v[4:5], s[6:7], s24, v4, 0
	v_addc_co_u32_e32 v3, vcc, 0, v3, vcc
	v_add3_u32 v5, v5, v7, v9
	s_mul_i32 s6, s27, s8
	s_mul_hi_u32 s7, s26, s8
	v_mov_b32_e32 v8, s17
	v_add_co_u32_e32 v2, vcc, s16, v2
	v_lshlrev_b64 v[4:5], 3, v[4:5]
	s_add_i32 s7, s7, s6
	s_mul_i32 s6, s26, s8
	v_addc_co_u32_e32 v3, vcc, v8, v3, vcc
	s_lshl_b64 s[6:7], s[6:7], 3
	v_mov_b32_e32 v7, s7
	v_add_co_u32_e32 v4, vcc, s6, v4
	v_addc_co_u32_e32 v5, vcc, v5, v7, vcc
	v_add_co_u32_e32 v4, vcc, v4, v6
	v_addc_co_u32_e32 v5, vcc, 0, v5, vcc
	v_mov_b32_e32 v6, s23
	v_add_co_u32_e32 v4, vcc, s22, v4
	v_addc_co_u32_e32 v5, vcc, v6, v5, vcc
	v_mov_b32_e32 v8, 0
	v_mov_b32_e32 v10, 0
	;; [unrolled: 1-line block ×5, first 2 shown]
	v_lshlrev_b32_e32 v22, 3, v0
	s_mov_b64 s[10:11], 0
	v_mov_b32_e32 v9, 0
	v_mov_b32_e32 v11, 0
	v_mov_b32_e32 v13, 0
	v_mov_b32_e32 v15, 0
	v_mov_b32_e32 v7, s13
	s_branch .LBB1072_3
.LBB1072_2:                             ;   in Loop: Header=BB1072_3 Depth=1
	s_or_b64 exec, exec, s[6:7]
	s_waitcnt vmcnt(0)
	ds_write_b64 v21, v[16:17]
	s_waitcnt lgkmcnt(0)
	s_barrier
	ds_read2_b64 v[24:27], v22 offset1:16
	ds_read_b128 v[28:31], v23
	ds_read_b128 v[32:35], v23 offset:1024
	s_add_u32 s10, s10, 8
	v_add_co_u32_e32 v2, vcc, 64, v2
	s_waitcnt lgkmcnt(1)
	v_fma_f64 v[14:15], v[24:25], v[28:29], v[14:15]
	v_fma_f64 v[12:13], v[26:27], v[28:29], v[12:13]
	s_waitcnt lgkmcnt(0)
	v_fma_f64 v[16:17], v[24:25], v[32:33], v[10:11]
	v_fma_f64 v[24:25], v[26:27], v[32:33], v[8:9]
	ds_read2_b64 v[8:11], v22 offset0:32 offset1:48
	v_addc_co_u32_e32 v3, vcc, 0, v3, vcc
	s_addc_u32 s11, s11, 0
	v_cmp_ge_i64_e32 vcc, s[10:11], v[6:7]
	s_waitcnt lgkmcnt(0)
	v_fma_f64 v[28:29], v[8:9], v[30:31], v[14:15]
	v_fma_f64 v[30:31], v[10:11], v[30:31], v[12:13]
	;; [unrolled: 1-line block ×4, first 2 shown]
	ds_read_b128 v[12:15], v23 offset:16
	ds_read2_b64 v[8:11], v22 offset0:64 offset1:80
	ds_read_b128 v[24:27], v23 offset:1040
	v_add_co_u32_e64 v4, s[6:7], 64, v4
	v_addc_co_u32_e64 v5, s[6:7], 0, v5, s[6:7]
	s_waitcnt lgkmcnt(1)
	v_fma_f64 v[28:29], v[8:9], v[12:13], v[28:29]
	v_fma_f64 v[12:13], v[10:11], v[12:13], v[30:31]
	s_waitcnt lgkmcnt(0)
	v_fma_f64 v[16:17], v[8:9], v[24:25], v[16:17]
	v_fma_f64 v[24:25], v[10:11], v[24:25], v[32:33]
	ds_read2_b64 v[8:11], v22 offset0:96 offset1:112
	s_and_b64 vcc, exec, vcc
	s_waitcnt lgkmcnt(0)
	v_fma_f64 v[28:29], v[8:9], v[14:15], v[28:29]
	v_fma_f64 v[30:31], v[10:11], v[14:15], v[12:13]
	;; [unrolled: 1-line block ×4, first 2 shown]
	ds_read2_b64 v[12:15], v22 offset0:128 offset1:144
	ds_read_b128 v[8:11], v23 offset:32
	ds_read_b128 v[24:27], v23 offset:1056
	s_waitcnt lgkmcnt(1)
	v_fma_f64 v[28:29], v[12:13], v[8:9], v[28:29]
	v_fma_f64 v[8:9], v[14:15], v[8:9], v[30:31]
	s_waitcnt lgkmcnt(0)
	v_fma_f64 v[16:17], v[12:13], v[24:25], v[16:17]
	v_fma_f64 v[24:25], v[14:15], v[24:25], v[32:33]
	ds_read2_b64 v[12:15], v22 offset0:160 offset1:176
	s_waitcnt lgkmcnt(0)
	v_fma_f64 v[28:29], v[12:13], v[10:11], v[28:29]
	v_fma_f64 v[30:31], v[14:15], v[10:11], v[8:9]
	;; [unrolled: 1-line block ×4, first 2 shown]
	ds_read_b128 v[8:11], v23 offset:48
	ds_read2_b64 v[12:15], v22 offset0:192 offset1:208
	ds_read_b128 v[24:27], v23 offset:1072
	s_waitcnt lgkmcnt(1)
	v_fma_f64 v[34:35], v[12:13], v[8:9], v[28:29]
	v_fma_f64 v[8:9], v[14:15], v[8:9], v[30:31]
	s_waitcnt lgkmcnt(0)
	v_fma_f64 v[16:17], v[12:13], v[24:25], v[16:17]
	v_fma_f64 v[24:25], v[14:15], v[24:25], v[32:33]
	ds_read2_b64 v[28:31], v22 offset0:224 offset1:240
	s_waitcnt lgkmcnt(0)
	s_barrier
	v_fma_f64 v[14:15], v[28:29], v[10:11], v[34:35]
	v_fma_f64 v[12:13], v[30:31], v[10:11], v[8:9]
	v_fma_f64 v[10:11], v[28:29], v[26:27], v[16:17]
	v_fma_f64 v[8:9], v[30:31], v[26:27], v[24:25]
	s_cbranch_vccnz .LBB1072_8
.LBB1072_3:                             ; =>This Inner Loop Header: Depth=1
	v_mov_b32_e32 v17, s11
	v_add_co_u32_e32 v16, vcc, s10, v18
	v_addc_co_u32_e32 v17, vcc, 0, v17, vcc
	v_cmp_gt_i64_e32 vcc, s[12:13], v[16:17]
	v_mov_b32_e32 v16, 0
	v_mov_b32_e32 v17, 0
	s_and_b64 s[16:17], s[0:1], vcc
	s_and_saveexec_b64 s[6:7], s[16:17]
	s_cbranch_execz .LBB1072_5
; %bb.4:                                ;   in Loop: Header=BB1072_3 Depth=1
	global_load_dwordx2 v[16:17], v[2:3], off
.LBB1072_5:                             ;   in Loop: Header=BB1072_3 Depth=1
	s_or_b64 exec, exec, s[6:7]
	s_waitcnt vmcnt(0)
	ds_write_b64 v20, v[16:17]
	v_mov_b32_e32 v17, s11
	v_add_co_u32_e32 v16, vcc, s10, v19
	v_addc_co_u32_e32 v17, vcc, 0, v17, vcc
	v_cmp_gt_i64_e32 vcc, s[12:13], v[16:17]
	v_mov_b32_e32 v16, 0
	v_mov_b32_e32 v17, 0
	s_and_b64 s[16:17], vcc, s[2:3]
	s_and_saveexec_b64 s[6:7], s[16:17]
	s_cbranch_execz .LBB1072_2
; %bb.6:                                ;   in Loop: Header=BB1072_3 Depth=1
	global_load_dwordx2 v[16:17], v[4:5], off
	s_branch .LBB1072_2
.LBB1072_7:
	v_mov_b32_e32 v14, 0
	v_mov_b32_e32 v12, 0
	;; [unrolled: 1-line block ×8, first 2 shown]
.LBB1072_8:
	s_load_dwordx8 s[16:23], s[4:5], 0x48
	v_add_u32_e32 v4, s29, v1
	v_ashrrev_i32_e32 v1, 31, v4
	v_add_u32_e32 v0, s28, v0
	v_cmp_gt_i32_e32 vcc, s9, v4
	s_waitcnt lgkmcnt(0)
	s_mul_i32 s1, s23, s8
	s_mul_hi_u32 s2, s22, s8
	s_add_i32 s1, s2, s1
	v_mul_lo_u32 v3, s20, v1
	v_mul_lo_u32 v5, s21, v4
	v_mad_u64_u32 v[1:2], s[2:3], s20, v4, 0
	s_mul_i32 s0, s22, s8
	s_lshl_b64 s[0:1], s[0:1], 3
	v_add3_u32 v2, v2, v3, v5
	s_add_u32 s4, s18, s0
	v_lshlrev_b64 v[1:2], 3, v[1:2]
	s_addc_u32 s5, s19, s1
	v_mov_b32_e32 v3, s5
	v_add_co_u32_e64 v5, s[0:1], s4, v1
	v_addc_co_u32_e64 v6, s[0:1], v3, v2, s[0:1]
	v_cmp_le_i32_e64 s[0:1], v0, v4
	s_and_b64 s[0:1], vcc, s[0:1]
	s_and_saveexec_b64 s[2:3], s[0:1]
	s_cbranch_execz .LBB1072_10
; %bb.9:
	v_ashrrev_i32_e32 v1, 31, v0
	v_lshlrev_b64 v[1:2], 3, v[0:1]
	v_add_co_u32_e64 v1, s[0:1], v5, v1
	v_addc_co_u32_e64 v2, s[0:1], v6, v2, s[0:1]
	global_load_dwordx2 v[16:17], v[1:2], off
	s_waitcnt vmcnt(0)
	v_mul_f64 v[16:17], s[16:17], v[16:17]
	v_fma_f64 v[14:15], s[14:15], v[14:15], v[16:17]
	global_store_dwordx2 v[1:2], v[14:15], off
.LBB1072_10:
	s_or_b64 exec, exec, s[2:3]
	v_add_u32_e32 v2, 16, v0
	v_cmp_le_i32_e64 s[0:1], v2, v4
	s_and_b64 s[2:3], vcc, s[0:1]
	s_and_saveexec_b64 s[0:1], s[2:3]
	s_cbranch_execz .LBB1072_12
; %bb.11:
	v_ashrrev_i32_e32 v3, 31, v2
	v_lshlrev_b64 v[14:15], 3, v[2:3]
	v_add_co_u32_e32 v5, vcc, v5, v14
	v_addc_co_u32_e32 v6, vcc, v6, v15, vcc
	global_load_dwordx2 v[14:15], v[5:6], off
	s_waitcnt vmcnt(0)
	v_mul_f64 v[14:15], s[16:17], v[14:15]
	v_fma_f64 v[12:13], s[14:15], v[12:13], v[14:15]
	global_store_dwordx2 v[5:6], v[12:13], off
.LBB1072_12:
	s_or_b64 exec, exec, s[0:1]
	v_add_u32_e32 v3, 16, v4
	v_ashrrev_i32_e32 v1, 31, v3
	v_mul_lo_u32 v1, s20, v1
	v_mul_lo_u32 v6, s21, v3
	v_mad_u64_u32 v[4:5], s[0:1], s20, v3, 0
	v_cmp_gt_i32_e32 vcc, s9, v3
	v_add3_u32 v5, v5, v1, v6
	v_lshlrev_b64 v[4:5], 3, v[4:5]
	v_mov_b32_e32 v1, s5
	v_add_co_u32_e64 v4, s[0:1], s4, v4
	v_addc_co_u32_e64 v5, s[0:1], v1, v5, s[0:1]
	v_cmp_le_i32_e64 s[0:1], v0, v3
	s_and_b64 s[0:1], vcc, s[0:1]
	s_and_saveexec_b64 s[2:3], s[0:1]
	s_cbranch_execz .LBB1072_14
; %bb.13:
	v_ashrrev_i32_e32 v1, 31, v0
	v_lshlrev_b64 v[0:1], 3, v[0:1]
	v_add_co_u32_e64 v0, s[0:1], v4, v0
	v_addc_co_u32_e64 v1, s[0:1], v5, v1, s[0:1]
	global_load_dwordx2 v[6:7], v[0:1], off
	s_waitcnt vmcnt(0)
	v_mul_f64 v[6:7], s[16:17], v[6:7]
	v_fma_f64 v[6:7], s[14:15], v[10:11], v[6:7]
	global_store_dwordx2 v[0:1], v[6:7], off
.LBB1072_14:
	s_or_b64 exec, exec, s[2:3]
	v_cmp_le_i32_e64 s[0:1], v2, v3
	s_and_b64 s[0:1], vcc, s[0:1]
	s_and_saveexec_b64 s[2:3], s[0:1]
	s_cbranch_execz .LBB1072_16
; %bb.15:
	v_ashrrev_i32_e32 v3, 31, v2
	v_lshlrev_b64 v[0:1], 3, v[2:3]
	v_add_co_u32_e32 v0, vcc, v4, v0
	v_addc_co_u32_e32 v1, vcc, v5, v1, vcc
	global_load_dwordx2 v[2:3], v[0:1], off
	s_waitcnt vmcnt(0)
	v_mul_f64 v[2:3], s[16:17], v[2:3]
	v_fma_f64 v[2:3], s[14:15], v[8:9], v[2:3]
	global_store_dwordx2 v[0:1], v[2:3], off
.LBB1072_16:
	s_endpgm
	.section	.rodata,"a",@progbits
	.p2align	6, 0x0
	.amdhsa_kernel _ZL34rocblas_syrkx_herkx_general_kernelIldLi16ELi32ELi8ELb0ELb0ELc84ELc85EKddEviT_T0_PT8_S1_lS4_S1_lS2_PT9_S1_li
		.amdhsa_group_segment_fixed_size 4096
		.amdhsa_private_segment_fixed_size 0
		.amdhsa_kernarg_size 108
		.amdhsa_user_sgpr_count 6
		.amdhsa_user_sgpr_private_segment_buffer 1
		.amdhsa_user_sgpr_dispatch_ptr 0
		.amdhsa_user_sgpr_queue_ptr 0
		.amdhsa_user_sgpr_kernarg_segment_ptr 1
		.amdhsa_user_sgpr_dispatch_id 0
		.amdhsa_user_sgpr_flat_scratch_init 0
		.amdhsa_user_sgpr_private_segment_size 0
		.amdhsa_uses_dynamic_stack 0
		.amdhsa_system_sgpr_private_segment_wavefront_offset 0
		.amdhsa_system_sgpr_workgroup_id_x 1
		.amdhsa_system_sgpr_workgroup_id_y 1
		.amdhsa_system_sgpr_workgroup_id_z 1
		.amdhsa_system_sgpr_workgroup_info 0
		.amdhsa_system_vgpr_workitem_id 1
		.amdhsa_next_free_vgpr 36
		.amdhsa_next_free_sgpr 30
		.amdhsa_reserve_vcc 1
		.amdhsa_reserve_flat_scratch 0
		.amdhsa_float_round_mode_32 0
		.amdhsa_float_round_mode_16_64 0
		.amdhsa_float_denorm_mode_32 3
		.amdhsa_float_denorm_mode_16_64 3
		.amdhsa_dx10_clamp 1
		.amdhsa_ieee_mode 1
		.amdhsa_fp16_overflow 0
		.amdhsa_exception_fp_ieee_invalid_op 0
		.amdhsa_exception_fp_denorm_src 0
		.amdhsa_exception_fp_ieee_div_zero 0
		.amdhsa_exception_fp_ieee_overflow 0
		.amdhsa_exception_fp_ieee_underflow 0
		.amdhsa_exception_fp_ieee_inexact 0
		.amdhsa_exception_int_div_zero 0
	.end_amdhsa_kernel
	.section	.text._ZL34rocblas_syrkx_herkx_general_kernelIldLi16ELi32ELi8ELb0ELb0ELc84ELc85EKddEviT_T0_PT8_S1_lS4_S1_lS2_PT9_S1_li,"axG",@progbits,_ZL34rocblas_syrkx_herkx_general_kernelIldLi16ELi32ELi8ELb0ELb0ELc84ELc85EKddEviT_T0_PT8_S1_lS4_S1_lS2_PT9_S1_li,comdat
.Lfunc_end1072:
	.size	_ZL34rocblas_syrkx_herkx_general_kernelIldLi16ELi32ELi8ELb0ELb0ELc84ELc85EKddEviT_T0_PT8_S1_lS4_S1_lS2_PT9_S1_li, .Lfunc_end1072-_ZL34rocblas_syrkx_herkx_general_kernelIldLi16ELi32ELi8ELb0ELb0ELc84ELc85EKddEviT_T0_PT8_S1_lS4_S1_lS2_PT9_S1_li
                                        ; -- End function
	.set _ZL34rocblas_syrkx_herkx_general_kernelIldLi16ELi32ELi8ELb0ELb0ELc84ELc85EKddEviT_T0_PT8_S1_lS4_S1_lS2_PT9_S1_li.num_vgpr, 36
	.set _ZL34rocblas_syrkx_herkx_general_kernelIldLi16ELi32ELi8ELb0ELb0ELc84ELc85EKddEviT_T0_PT8_S1_lS4_S1_lS2_PT9_S1_li.num_agpr, 0
	.set _ZL34rocblas_syrkx_herkx_general_kernelIldLi16ELi32ELi8ELb0ELb0ELc84ELc85EKddEviT_T0_PT8_S1_lS4_S1_lS2_PT9_S1_li.numbered_sgpr, 30
	.set _ZL34rocblas_syrkx_herkx_general_kernelIldLi16ELi32ELi8ELb0ELb0ELc84ELc85EKddEviT_T0_PT8_S1_lS4_S1_lS2_PT9_S1_li.num_named_barrier, 0
	.set _ZL34rocblas_syrkx_herkx_general_kernelIldLi16ELi32ELi8ELb0ELb0ELc84ELc85EKddEviT_T0_PT8_S1_lS4_S1_lS2_PT9_S1_li.private_seg_size, 0
	.set _ZL34rocblas_syrkx_herkx_general_kernelIldLi16ELi32ELi8ELb0ELb0ELc84ELc85EKddEviT_T0_PT8_S1_lS4_S1_lS2_PT9_S1_li.uses_vcc, 1
	.set _ZL34rocblas_syrkx_herkx_general_kernelIldLi16ELi32ELi8ELb0ELb0ELc84ELc85EKddEviT_T0_PT8_S1_lS4_S1_lS2_PT9_S1_li.uses_flat_scratch, 0
	.set _ZL34rocblas_syrkx_herkx_general_kernelIldLi16ELi32ELi8ELb0ELb0ELc84ELc85EKddEviT_T0_PT8_S1_lS4_S1_lS2_PT9_S1_li.has_dyn_sized_stack, 0
	.set _ZL34rocblas_syrkx_herkx_general_kernelIldLi16ELi32ELi8ELb0ELb0ELc84ELc85EKddEviT_T0_PT8_S1_lS4_S1_lS2_PT9_S1_li.has_recursion, 0
	.set _ZL34rocblas_syrkx_herkx_general_kernelIldLi16ELi32ELi8ELb0ELb0ELc84ELc85EKddEviT_T0_PT8_S1_lS4_S1_lS2_PT9_S1_li.has_indirect_call, 0
	.section	.AMDGPU.csdata,"",@progbits
; Kernel info:
; codeLenInByte = 1564
; TotalNumSgprs: 34
; NumVgprs: 36
; ScratchSize: 0
; MemoryBound: 0
; FloatMode: 240
; IeeeMode: 1
; LDSByteSize: 4096 bytes/workgroup (compile time only)
; SGPRBlocks: 4
; VGPRBlocks: 8
; NumSGPRsForWavesPerEU: 34
; NumVGPRsForWavesPerEU: 36
; Occupancy: 7
; WaveLimiterHint : 0
; COMPUTE_PGM_RSRC2:SCRATCH_EN: 0
; COMPUTE_PGM_RSRC2:USER_SGPR: 6
; COMPUTE_PGM_RSRC2:TRAP_HANDLER: 0
; COMPUTE_PGM_RSRC2:TGID_X_EN: 1
; COMPUTE_PGM_RSRC2:TGID_Y_EN: 1
; COMPUTE_PGM_RSRC2:TGID_Z_EN: 1
; COMPUTE_PGM_RSRC2:TIDIG_COMP_CNT: 1
	.section	.text._ZL34rocblas_syrkx_herkx_general_kernelIldLi16ELi32ELi8ELb0ELb0ELc67ELc85EKddEviT_T0_PT8_S1_lS4_S1_lS2_PT9_S1_li,"axG",@progbits,_ZL34rocblas_syrkx_herkx_general_kernelIldLi16ELi32ELi8ELb0ELb0ELc67ELc85EKddEviT_T0_PT8_S1_lS4_S1_lS2_PT9_S1_li,comdat
	.globl	_ZL34rocblas_syrkx_herkx_general_kernelIldLi16ELi32ELi8ELb0ELb0ELc67ELc85EKddEviT_T0_PT8_S1_lS4_S1_lS2_PT9_S1_li ; -- Begin function _ZL34rocblas_syrkx_herkx_general_kernelIldLi16ELi32ELi8ELb0ELb0ELc67ELc85EKddEviT_T0_PT8_S1_lS4_S1_lS2_PT9_S1_li
	.p2align	8
	.type	_ZL34rocblas_syrkx_herkx_general_kernelIldLi16ELi32ELi8ELb0ELb0ELc67ELc85EKddEviT_T0_PT8_S1_lS4_S1_lS2_PT9_S1_li,@function
_ZL34rocblas_syrkx_herkx_general_kernelIldLi16ELi32ELi8ELb0ELb0ELc67ELc85EKddEviT_T0_PT8_S1_lS4_S1_lS2_PT9_S1_li: ; @_ZL34rocblas_syrkx_herkx_general_kernelIldLi16ELi32ELi8ELb0ELb0ELc67ELc85EKddEviT_T0_PT8_S1_lS4_S1_lS2_PT9_S1_li
; %bb.0:
	s_load_dwordx16 s[12:27], s[4:5], 0x8
	s_load_dword s9, s[4:5], 0x0
	s_lshl_b32 s28, s6, 5
	s_lshl_b32 s29, s7, 5
	s_waitcnt lgkmcnt(0)
	v_cmp_lt_i64_e64 s[0:1], s[12:13], 1
	s_and_b64 vcc, exec, s[0:1]
	s_cbranch_vccnz .LBB1073_7
; %bb.1:
	v_lshl_add_u32 v2, v1, 4, v0
	v_and_b32_e32 v5, 31, v2
	v_or_b32_e32 v6, s28, v5
	v_and_b32_e32 v19, 7, v0
	v_lshrrev_b32_e32 v3, 3, v2
	v_lshrrev_b32_e32 v18, 5, v2
	v_cmp_gt_i32_e64 s[0:1], s9, v6
	v_lshlrev_b32_e32 v2, 3, v5
	v_lshlrev_b32_e32 v6, 3, v19
	v_lshl_or_b32 v20, v18, 8, v2
	v_lshl_or_b32 v2, v3, 6, v6
	v_add_u32_e32 v21, 0x800, v2
	v_add_u32_e32 v2, s28, v5
	;; [unrolled: 1-line block ×3, first 2 shown]
	v_ashrrev_i32_e32 v3, 31, v2
	v_mul_lo_u32 v5, s18, v3
	v_mul_lo_u32 v8, s19, v2
	v_mad_u64_u32 v[2:3], s[6:7], s18, v2, 0
	s_mul_i32 s6, s21, s8
	s_mul_hi_u32 s7, s20, s8
	v_add3_u32 v3, v3, v5, v8
	v_lshlrev_b64 v[2:3], 3, v[2:3]
	s_add_i32 s7, s7, s6
	s_mul_i32 s6, s20, s8
	s_lshl_b64 s[6:7], s[6:7], 3
	v_mov_b32_e32 v5, s7
	v_add_co_u32_e32 v2, vcc, s6, v2
	v_ashrrev_i32_e32 v7, 31, v4
	v_mov_b32_e32 v9, 0x800
	v_addc_co_u32_e32 v3, vcc, v3, v5, vcc
	v_lshlrev_b32_e32 v5, 3, v18
	v_cmp_gt_i32_e64 s[2:3], s9, v4
	v_lshl_add_u32 v23, v1, 6, v9
	v_add_co_u32_e32 v2, vcc, v2, v5
	v_mul_lo_u32 v7, s24, v7
	v_mul_lo_u32 v9, s25, v4
	v_mad_u64_u32 v[4:5], s[6:7], s24, v4, 0
	v_addc_co_u32_e32 v3, vcc, 0, v3, vcc
	v_add3_u32 v5, v5, v7, v9
	s_mul_i32 s6, s27, s8
	s_mul_hi_u32 s7, s26, s8
	v_mov_b32_e32 v8, s17
	v_add_co_u32_e32 v2, vcc, s16, v2
	v_lshlrev_b64 v[4:5], 3, v[4:5]
	s_add_i32 s7, s7, s6
	s_mul_i32 s6, s26, s8
	v_addc_co_u32_e32 v3, vcc, v8, v3, vcc
	s_lshl_b64 s[6:7], s[6:7], 3
	v_mov_b32_e32 v7, s7
	v_add_co_u32_e32 v4, vcc, s6, v4
	v_addc_co_u32_e32 v5, vcc, v5, v7, vcc
	v_add_co_u32_e32 v4, vcc, v4, v6
	v_addc_co_u32_e32 v5, vcc, 0, v5, vcc
	v_mov_b32_e32 v6, s23
	v_add_co_u32_e32 v4, vcc, s22, v4
	v_addc_co_u32_e32 v5, vcc, v6, v5, vcc
	v_mov_b32_e32 v8, 0
	v_mov_b32_e32 v10, 0
	v_mov_b32_e32 v12, 0
	v_mov_b32_e32 v14, 0
	v_mov_b32_e32 v6, s12
	v_lshlrev_b32_e32 v22, 3, v0
	s_mov_b64 s[10:11], 0
	v_mov_b32_e32 v9, 0
	v_mov_b32_e32 v11, 0
	;; [unrolled: 1-line block ×5, first 2 shown]
	s_branch .LBB1073_3
.LBB1073_2:                             ;   in Loop: Header=BB1073_3 Depth=1
	s_or_b64 exec, exec, s[6:7]
	s_waitcnt vmcnt(0)
	ds_write_b64 v21, v[16:17]
	s_waitcnt lgkmcnt(0)
	s_barrier
	ds_read2_b64 v[24:27], v22 offset1:16
	ds_read_b128 v[28:31], v23
	ds_read_b128 v[32:35], v23 offset:1024
	s_add_u32 s10, s10, 8
	v_add_co_u32_e32 v2, vcc, 64, v2
	s_waitcnt lgkmcnt(1)
	v_fma_f64 v[14:15], v[24:25], v[28:29], v[14:15]
	v_fma_f64 v[12:13], v[26:27], v[28:29], v[12:13]
	s_waitcnt lgkmcnt(0)
	v_fma_f64 v[16:17], v[24:25], v[32:33], v[10:11]
	v_fma_f64 v[24:25], v[26:27], v[32:33], v[8:9]
	ds_read2_b64 v[8:11], v22 offset0:32 offset1:48
	v_addc_co_u32_e32 v3, vcc, 0, v3, vcc
	s_addc_u32 s11, s11, 0
	v_cmp_ge_i64_e32 vcc, s[10:11], v[6:7]
	s_waitcnt lgkmcnt(0)
	v_fma_f64 v[28:29], v[8:9], v[30:31], v[14:15]
	v_fma_f64 v[30:31], v[10:11], v[30:31], v[12:13]
	;; [unrolled: 1-line block ×4, first 2 shown]
	ds_read_b128 v[12:15], v23 offset:16
	ds_read2_b64 v[8:11], v22 offset0:64 offset1:80
	ds_read_b128 v[24:27], v23 offset:1040
	v_add_co_u32_e64 v4, s[6:7], 64, v4
	v_addc_co_u32_e64 v5, s[6:7], 0, v5, s[6:7]
	s_waitcnt lgkmcnt(1)
	v_fma_f64 v[28:29], v[8:9], v[12:13], v[28:29]
	v_fma_f64 v[12:13], v[10:11], v[12:13], v[30:31]
	s_waitcnt lgkmcnt(0)
	v_fma_f64 v[16:17], v[8:9], v[24:25], v[16:17]
	v_fma_f64 v[24:25], v[10:11], v[24:25], v[32:33]
	ds_read2_b64 v[8:11], v22 offset0:96 offset1:112
	s_and_b64 vcc, exec, vcc
	s_waitcnt lgkmcnt(0)
	v_fma_f64 v[28:29], v[8:9], v[14:15], v[28:29]
	v_fma_f64 v[30:31], v[10:11], v[14:15], v[12:13]
	;; [unrolled: 1-line block ×4, first 2 shown]
	ds_read2_b64 v[12:15], v22 offset0:128 offset1:144
	ds_read_b128 v[8:11], v23 offset:32
	ds_read_b128 v[24:27], v23 offset:1056
	s_waitcnt lgkmcnt(1)
	v_fma_f64 v[28:29], v[12:13], v[8:9], v[28:29]
	v_fma_f64 v[8:9], v[14:15], v[8:9], v[30:31]
	s_waitcnt lgkmcnt(0)
	v_fma_f64 v[16:17], v[12:13], v[24:25], v[16:17]
	v_fma_f64 v[24:25], v[14:15], v[24:25], v[32:33]
	ds_read2_b64 v[12:15], v22 offset0:160 offset1:176
	s_waitcnt lgkmcnt(0)
	v_fma_f64 v[28:29], v[12:13], v[10:11], v[28:29]
	v_fma_f64 v[30:31], v[14:15], v[10:11], v[8:9]
	v_fma_f64 v[16:17], v[12:13], v[26:27], v[16:17]
	v_fma_f64 v[32:33], v[14:15], v[26:27], v[24:25]
	ds_read_b128 v[8:11], v23 offset:48
	ds_read2_b64 v[12:15], v22 offset0:192 offset1:208
	ds_read_b128 v[24:27], v23 offset:1072
	s_waitcnt lgkmcnt(1)
	v_fma_f64 v[34:35], v[12:13], v[8:9], v[28:29]
	v_fma_f64 v[8:9], v[14:15], v[8:9], v[30:31]
	s_waitcnt lgkmcnt(0)
	v_fma_f64 v[16:17], v[12:13], v[24:25], v[16:17]
	v_fma_f64 v[24:25], v[14:15], v[24:25], v[32:33]
	ds_read2_b64 v[28:31], v22 offset0:224 offset1:240
	s_waitcnt lgkmcnt(0)
	s_barrier
	v_fma_f64 v[14:15], v[28:29], v[10:11], v[34:35]
	v_fma_f64 v[12:13], v[30:31], v[10:11], v[8:9]
	;; [unrolled: 1-line block ×4, first 2 shown]
	s_cbranch_vccnz .LBB1073_8
.LBB1073_3:                             ; =>This Inner Loop Header: Depth=1
	v_mov_b32_e32 v17, s11
	v_add_co_u32_e32 v16, vcc, s10, v18
	v_addc_co_u32_e32 v17, vcc, 0, v17, vcc
	v_cmp_gt_i64_e32 vcc, s[12:13], v[16:17]
	v_mov_b32_e32 v16, 0
	v_mov_b32_e32 v17, 0
	s_and_b64 s[16:17], s[0:1], vcc
	s_and_saveexec_b64 s[6:7], s[16:17]
	s_cbranch_execz .LBB1073_5
; %bb.4:                                ;   in Loop: Header=BB1073_3 Depth=1
	global_load_dwordx2 v[16:17], v[2:3], off
.LBB1073_5:                             ;   in Loop: Header=BB1073_3 Depth=1
	s_or_b64 exec, exec, s[6:7]
	s_waitcnt vmcnt(0)
	ds_write_b64 v20, v[16:17]
	v_mov_b32_e32 v17, s11
	v_add_co_u32_e32 v16, vcc, s10, v19
	v_addc_co_u32_e32 v17, vcc, 0, v17, vcc
	v_cmp_gt_i64_e32 vcc, s[12:13], v[16:17]
	v_mov_b32_e32 v16, 0
	v_mov_b32_e32 v17, 0
	s_and_b64 s[16:17], vcc, s[2:3]
	s_and_saveexec_b64 s[6:7], s[16:17]
	s_cbranch_execz .LBB1073_2
; %bb.6:                                ;   in Loop: Header=BB1073_3 Depth=1
	global_load_dwordx2 v[16:17], v[4:5], off
	s_branch .LBB1073_2
.LBB1073_7:
	v_mov_b32_e32 v14, 0
	v_mov_b32_e32 v12, 0
	;; [unrolled: 1-line block ×8, first 2 shown]
.LBB1073_8:
	s_load_dwordx8 s[16:23], s[4:5], 0x48
	v_add_u32_e32 v4, s29, v1
	v_ashrrev_i32_e32 v1, 31, v4
	v_add_u32_e32 v0, s28, v0
	v_cmp_gt_i32_e32 vcc, s9, v4
	s_waitcnt lgkmcnt(0)
	s_mul_i32 s1, s23, s8
	s_mul_hi_u32 s2, s22, s8
	s_add_i32 s1, s2, s1
	v_mul_lo_u32 v3, s20, v1
	v_mul_lo_u32 v5, s21, v4
	v_mad_u64_u32 v[1:2], s[2:3], s20, v4, 0
	s_mul_i32 s0, s22, s8
	s_lshl_b64 s[0:1], s[0:1], 3
	v_add3_u32 v2, v2, v3, v5
	s_add_u32 s4, s18, s0
	v_lshlrev_b64 v[1:2], 3, v[1:2]
	s_addc_u32 s5, s19, s1
	v_mov_b32_e32 v3, s5
	v_add_co_u32_e64 v5, s[0:1], s4, v1
	v_addc_co_u32_e64 v6, s[0:1], v3, v2, s[0:1]
	v_cmp_le_i32_e64 s[0:1], v0, v4
	s_and_b64 s[0:1], vcc, s[0:1]
	s_and_saveexec_b64 s[2:3], s[0:1]
	s_cbranch_execz .LBB1073_10
; %bb.9:
	v_ashrrev_i32_e32 v1, 31, v0
	v_lshlrev_b64 v[1:2], 3, v[0:1]
	v_add_co_u32_e64 v1, s[0:1], v5, v1
	v_addc_co_u32_e64 v2, s[0:1], v6, v2, s[0:1]
	global_load_dwordx2 v[16:17], v[1:2], off
	s_waitcnt vmcnt(0)
	v_mul_f64 v[16:17], s[16:17], v[16:17]
	v_fma_f64 v[14:15], s[14:15], v[14:15], v[16:17]
	global_store_dwordx2 v[1:2], v[14:15], off
.LBB1073_10:
	s_or_b64 exec, exec, s[2:3]
	v_add_u32_e32 v2, 16, v0
	v_cmp_le_i32_e64 s[0:1], v2, v4
	s_and_b64 s[2:3], vcc, s[0:1]
	s_and_saveexec_b64 s[0:1], s[2:3]
	s_cbranch_execz .LBB1073_12
; %bb.11:
	v_ashrrev_i32_e32 v3, 31, v2
	v_lshlrev_b64 v[14:15], 3, v[2:3]
	v_add_co_u32_e32 v5, vcc, v5, v14
	v_addc_co_u32_e32 v6, vcc, v6, v15, vcc
	global_load_dwordx2 v[14:15], v[5:6], off
	s_waitcnt vmcnt(0)
	v_mul_f64 v[14:15], s[16:17], v[14:15]
	v_fma_f64 v[12:13], s[14:15], v[12:13], v[14:15]
	global_store_dwordx2 v[5:6], v[12:13], off
.LBB1073_12:
	s_or_b64 exec, exec, s[0:1]
	v_add_u32_e32 v3, 16, v4
	v_ashrrev_i32_e32 v1, 31, v3
	v_mul_lo_u32 v1, s20, v1
	v_mul_lo_u32 v6, s21, v3
	v_mad_u64_u32 v[4:5], s[0:1], s20, v3, 0
	v_cmp_gt_i32_e32 vcc, s9, v3
	v_add3_u32 v5, v5, v1, v6
	v_lshlrev_b64 v[4:5], 3, v[4:5]
	v_mov_b32_e32 v1, s5
	v_add_co_u32_e64 v4, s[0:1], s4, v4
	v_addc_co_u32_e64 v5, s[0:1], v1, v5, s[0:1]
	v_cmp_le_i32_e64 s[0:1], v0, v3
	s_and_b64 s[0:1], vcc, s[0:1]
	s_and_saveexec_b64 s[2:3], s[0:1]
	s_cbranch_execz .LBB1073_14
; %bb.13:
	v_ashrrev_i32_e32 v1, 31, v0
	v_lshlrev_b64 v[0:1], 3, v[0:1]
	v_add_co_u32_e64 v0, s[0:1], v4, v0
	v_addc_co_u32_e64 v1, s[0:1], v5, v1, s[0:1]
	global_load_dwordx2 v[6:7], v[0:1], off
	s_waitcnt vmcnt(0)
	v_mul_f64 v[6:7], s[16:17], v[6:7]
	v_fma_f64 v[6:7], s[14:15], v[10:11], v[6:7]
	global_store_dwordx2 v[0:1], v[6:7], off
.LBB1073_14:
	s_or_b64 exec, exec, s[2:3]
	v_cmp_le_i32_e64 s[0:1], v2, v3
	s_and_b64 s[0:1], vcc, s[0:1]
	s_and_saveexec_b64 s[2:3], s[0:1]
	s_cbranch_execz .LBB1073_16
; %bb.15:
	v_ashrrev_i32_e32 v3, 31, v2
	v_lshlrev_b64 v[0:1], 3, v[2:3]
	v_add_co_u32_e32 v0, vcc, v4, v0
	v_addc_co_u32_e32 v1, vcc, v5, v1, vcc
	global_load_dwordx2 v[2:3], v[0:1], off
	s_waitcnt vmcnt(0)
	v_mul_f64 v[2:3], s[16:17], v[2:3]
	v_fma_f64 v[2:3], s[14:15], v[8:9], v[2:3]
	global_store_dwordx2 v[0:1], v[2:3], off
.LBB1073_16:
	s_endpgm
	.section	.rodata,"a",@progbits
	.p2align	6, 0x0
	.amdhsa_kernel _ZL34rocblas_syrkx_herkx_general_kernelIldLi16ELi32ELi8ELb0ELb0ELc67ELc85EKddEviT_T0_PT8_S1_lS4_S1_lS2_PT9_S1_li
		.amdhsa_group_segment_fixed_size 4096
		.amdhsa_private_segment_fixed_size 0
		.amdhsa_kernarg_size 108
		.amdhsa_user_sgpr_count 6
		.amdhsa_user_sgpr_private_segment_buffer 1
		.amdhsa_user_sgpr_dispatch_ptr 0
		.amdhsa_user_sgpr_queue_ptr 0
		.amdhsa_user_sgpr_kernarg_segment_ptr 1
		.amdhsa_user_sgpr_dispatch_id 0
		.amdhsa_user_sgpr_flat_scratch_init 0
		.amdhsa_user_sgpr_private_segment_size 0
		.amdhsa_uses_dynamic_stack 0
		.amdhsa_system_sgpr_private_segment_wavefront_offset 0
		.amdhsa_system_sgpr_workgroup_id_x 1
		.amdhsa_system_sgpr_workgroup_id_y 1
		.amdhsa_system_sgpr_workgroup_id_z 1
		.amdhsa_system_sgpr_workgroup_info 0
		.amdhsa_system_vgpr_workitem_id 1
		.amdhsa_next_free_vgpr 36
		.amdhsa_next_free_sgpr 30
		.amdhsa_reserve_vcc 1
		.amdhsa_reserve_flat_scratch 0
		.amdhsa_float_round_mode_32 0
		.amdhsa_float_round_mode_16_64 0
		.amdhsa_float_denorm_mode_32 3
		.amdhsa_float_denorm_mode_16_64 3
		.amdhsa_dx10_clamp 1
		.amdhsa_ieee_mode 1
		.amdhsa_fp16_overflow 0
		.amdhsa_exception_fp_ieee_invalid_op 0
		.amdhsa_exception_fp_denorm_src 0
		.amdhsa_exception_fp_ieee_div_zero 0
		.amdhsa_exception_fp_ieee_overflow 0
		.amdhsa_exception_fp_ieee_underflow 0
		.amdhsa_exception_fp_ieee_inexact 0
		.amdhsa_exception_int_div_zero 0
	.end_amdhsa_kernel
	.section	.text._ZL34rocblas_syrkx_herkx_general_kernelIldLi16ELi32ELi8ELb0ELb0ELc67ELc85EKddEviT_T0_PT8_S1_lS4_S1_lS2_PT9_S1_li,"axG",@progbits,_ZL34rocblas_syrkx_herkx_general_kernelIldLi16ELi32ELi8ELb0ELb0ELc67ELc85EKddEviT_T0_PT8_S1_lS4_S1_lS2_PT9_S1_li,comdat
.Lfunc_end1073:
	.size	_ZL34rocblas_syrkx_herkx_general_kernelIldLi16ELi32ELi8ELb0ELb0ELc67ELc85EKddEviT_T0_PT8_S1_lS4_S1_lS2_PT9_S1_li, .Lfunc_end1073-_ZL34rocblas_syrkx_herkx_general_kernelIldLi16ELi32ELi8ELb0ELb0ELc67ELc85EKddEviT_T0_PT8_S1_lS4_S1_lS2_PT9_S1_li
                                        ; -- End function
	.set _ZL34rocblas_syrkx_herkx_general_kernelIldLi16ELi32ELi8ELb0ELb0ELc67ELc85EKddEviT_T0_PT8_S1_lS4_S1_lS2_PT9_S1_li.num_vgpr, 36
	.set _ZL34rocblas_syrkx_herkx_general_kernelIldLi16ELi32ELi8ELb0ELb0ELc67ELc85EKddEviT_T0_PT8_S1_lS4_S1_lS2_PT9_S1_li.num_agpr, 0
	.set _ZL34rocblas_syrkx_herkx_general_kernelIldLi16ELi32ELi8ELb0ELb0ELc67ELc85EKddEviT_T0_PT8_S1_lS4_S1_lS2_PT9_S1_li.numbered_sgpr, 30
	.set _ZL34rocblas_syrkx_herkx_general_kernelIldLi16ELi32ELi8ELb0ELb0ELc67ELc85EKddEviT_T0_PT8_S1_lS4_S1_lS2_PT9_S1_li.num_named_barrier, 0
	.set _ZL34rocblas_syrkx_herkx_general_kernelIldLi16ELi32ELi8ELb0ELb0ELc67ELc85EKddEviT_T0_PT8_S1_lS4_S1_lS2_PT9_S1_li.private_seg_size, 0
	.set _ZL34rocblas_syrkx_herkx_general_kernelIldLi16ELi32ELi8ELb0ELb0ELc67ELc85EKddEviT_T0_PT8_S1_lS4_S1_lS2_PT9_S1_li.uses_vcc, 1
	.set _ZL34rocblas_syrkx_herkx_general_kernelIldLi16ELi32ELi8ELb0ELb0ELc67ELc85EKddEviT_T0_PT8_S1_lS4_S1_lS2_PT9_S1_li.uses_flat_scratch, 0
	.set _ZL34rocblas_syrkx_herkx_general_kernelIldLi16ELi32ELi8ELb0ELb0ELc67ELc85EKddEviT_T0_PT8_S1_lS4_S1_lS2_PT9_S1_li.has_dyn_sized_stack, 0
	.set _ZL34rocblas_syrkx_herkx_general_kernelIldLi16ELi32ELi8ELb0ELb0ELc67ELc85EKddEviT_T0_PT8_S1_lS4_S1_lS2_PT9_S1_li.has_recursion, 0
	.set _ZL34rocblas_syrkx_herkx_general_kernelIldLi16ELi32ELi8ELb0ELb0ELc67ELc85EKddEviT_T0_PT8_S1_lS4_S1_lS2_PT9_S1_li.has_indirect_call, 0
	.section	.AMDGPU.csdata,"",@progbits
; Kernel info:
; codeLenInByte = 1564
; TotalNumSgprs: 34
; NumVgprs: 36
; ScratchSize: 0
; MemoryBound: 0
; FloatMode: 240
; IeeeMode: 1
; LDSByteSize: 4096 bytes/workgroup (compile time only)
; SGPRBlocks: 4
; VGPRBlocks: 8
; NumSGPRsForWavesPerEU: 34
; NumVGPRsForWavesPerEU: 36
; Occupancy: 7
; WaveLimiterHint : 0
; COMPUTE_PGM_RSRC2:SCRATCH_EN: 0
; COMPUTE_PGM_RSRC2:USER_SGPR: 6
; COMPUTE_PGM_RSRC2:TRAP_HANDLER: 0
; COMPUTE_PGM_RSRC2:TGID_X_EN: 1
; COMPUTE_PGM_RSRC2:TGID_Y_EN: 1
; COMPUTE_PGM_RSRC2:TGID_Z_EN: 1
; COMPUTE_PGM_RSRC2:TIDIG_COMP_CNT: 1
	.section	.text._ZL34rocblas_syrkx_herkx_general_kernelIldLi16ELi32ELi8ELb0ELb0ELc78ELc85EKddEviT_T0_PT8_S1_lS4_S1_lS2_PT9_S1_li,"axG",@progbits,_ZL34rocblas_syrkx_herkx_general_kernelIldLi16ELi32ELi8ELb0ELb0ELc78ELc85EKddEviT_T0_PT8_S1_lS4_S1_lS2_PT9_S1_li,comdat
	.globl	_ZL34rocblas_syrkx_herkx_general_kernelIldLi16ELi32ELi8ELb0ELb0ELc78ELc85EKddEviT_T0_PT8_S1_lS4_S1_lS2_PT9_S1_li ; -- Begin function _ZL34rocblas_syrkx_herkx_general_kernelIldLi16ELi32ELi8ELb0ELb0ELc78ELc85EKddEviT_T0_PT8_S1_lS4_S1_lS2_PT9_S1_li
	.p2align	8
	.type	_ZL34rocblas_syrkx_herkx_general_kernelIldLi16ELi32ELi8ELb0ELb0ELc78ELc85EKddEviT_T0_PT8_S1_lS4_S1_lS2_PT9_S1_li,@function
_ZL34rocblas_syrkx_herkx_general_kernelIldLi16ELi32ELi8ELb0ELb0ELc78ELc85EKddEviT_T0_PT8_S1_lS4_S1_lS2_PT9_S1_li: ; @_ZL34rocblas_syrkx_herkx_general_kernelIldLi16ELi32ELi8ELb0ELb0ELc78ELc85EKddEviT_T0_PT8_S1_lS4_S1_lS2_PT9_S1_li
; %bb.0:
	s_load_dwordx16 s[12:27], s[4:5], 0x8
	s_load_dword s9, s[4:5], 0x0
	s_lshl_b32 s28, s6, 5
	s_lshl_b32 s29, s7, 5
	s_waitcnt lgkmcnt(0)
	v_cmp_lt_i64_e64 s[0:1], s[12:13], 1
	s_and_b64 vcc, exec, s[0:1]
	s_cbranch_vccnz .LBB1074_7
; %bb.1:
	v_lshl_add_u32 v2, v1, 4, v0
	v_and_b32_e32 v8, 31, v2
	v_lshrrev_b32_e32 v5, 3, v2
	v_or_b32_e32 v3, s28, v8
	v_lshrrev_b32_e32 v16, 5, v2
	v_lshlrev_b32_e32 v2, 3, v8
	v_cmp_gt_i32_e64 s[0:1], s9, v3
	v_lshl_or_b32 v18, v16, 8, v2
	v_mad_u64_u32 v[2:3], s[6:7], s18, v16, 0
	v_and_b32_e32 v17, 7, v0
	v_add_u32_e32 v4, s29, v5
	v_lshlrev_b32_e32 v6, 3, v17
	v_lshl_or_b32 v5, v5, 6, v6
	v_mad_u64_u32 v[6:7], s[6:7], s19, v16, v[3:4]
	v_mov_b32_e32 v3, 0x800
	v_lshl_add_u32 v21, v1, 6, v3
	v_mov_b32_e32 v3, v6
	s_mul_i32 s6, s21, s8
	s_mul_hi_u32 s7, s20, s8
	v_lshlrev_b64 v[2:3], 3, v[2:3]
	s_add_i32 s7, s7, s6
	s_mul_i32 s6, s20, s8
	s_lshl_b64 s[6:7], s[6:7], 3
	v_mov_b32_e32 v6, s7
	v_add_co_u32_e32 v7, vcc, s6, v2
	v_add_u32_e32 v2, s28, v8
	v_addc_co_u32_e32 v6, vcc, v3, v6, vcc
	v_ashrrev_i32_e32 v3, 31, v2
	v_lshlrev_b64 v[2:3], 3, v[2:3]
	v_add_u32_e32 v19, 0x800, v5
	v_add_co_u32_e32 v2, vcc, v7, v2
	v_addc_co_u32_e32 v3, vcc, v6, v3, vcc
	v_mov_b32_e32 v6, s17
	v_add_co_u32_e32 v2, vcc, s16, v2
	v_addc_co_u32_e32 v3, vcc, v6, v3, vcc
	v_mad_u64_u32 v[6:7], s[6:7], s24, v17, 0
	s_mul_i32 s16, s27, s8
	s_mul_hi_u32 s17, s26, s8
	v_mad_u64_u32 v[7:8], s[6:7], s25, v17, v[7:8]
	s_add_i32 s7, s17, s16
	s_mul_i32 s6, s26, s8
	v_lshlrev_b64 v[6:7], 3, v[6:7]
	v_ashrrev_i32_e32 v5, 31, v4
	s_lshl_b64 s[6:7], s[6:7], 3
	v_cmp_gt_i32_e64 s[2:3], s9, v4
	v_mov_b32_e32 v8, s7
	v_add_co_u32_e32 v6, vcc, s6, v6
	v_lshlrev_b64 v[4:5], 3, v[4:5]
	v_addc_co_u32_e32 v7, vcc, v8, v7, vcc
	v_add_co_u32_e32 v4, vcc, v6, v4
	v_addc_co_u32_e32 v5, vcc, v7, v5, vcc
	v_mov_b32_e32 v6, s23
	v_add_co_u32_e32 v4, vcc, s22, v4
	s_lshl_b64 s[10:11], s[18:19], 6
	v_addc_co_u32_e32 v5, vcc, v6, v5, vcc
	s_lshl_b64 s[16:17], s[24:25], 6
	v_mov_b32_e32 v6, 0
	v_mov_b32_e32 v8, 0
	;; [unrolled: 1-line block ×4, first 2 shown]
	v_lshlrev_b32_e32 v20, 3, v0
	s_mov_b64 s[18:19], 0
	v_mov_b32_e32 v7, 0
	v_mov_b32_e32 v22, s11
	;; [unrolled: 1-line block ×6, first 2 shown]
	s_branch .LBB1074_3
.LBB1074_2:                             ;   in Loop: Header=BB1074_3 Depth=1
	s_or_b64 exec, exec, s[6:7]
	s_waitcnt vmcnt(0)
	ds_write_b64 v19, v[14:15]
	s_waitcnt lgkmcnt(0)
	s_barrier
	ds_read2_b64 v[24:27], v20 offset1:16
	ds_read_b128 v[28:31], v21
	ds_read_b128 v[32:35], v21 offset:1024
	s_add_u32 s18, s18, 8
	v_add_co_u32_e32 v2, vcc, s10, v2
	s_waitcnt lgkmcnt(1)
	v_fma_f64 v[12:13], v[24:25], v[28:29], v[12:13]
	v_fma_f64 v[10:11], v[26:27], v[28:29], v[10:11]
	s_waitcnt lgkmcnt(0)
	v_fma_f64 v[14:15], v[24:25], v[32:33], v[8:9]
	v_fma_f64 v[24:25], v[26:27], v[32:33], v[6:7]
	ds_read2_b64 v[6:9], v20 offset0:32 offset1:48
	v_addc_co_u32_e32 v3, vcc, v3, v22, vcc
	s_addc_u32 s19, s19, 0
	v_add_co_u32_e64 v4, s[6:7], s16, v4
	s_waitcnt lgkmcnt(0)
	v_fma_f64 v[28:29], v[6:7], v[30:31], v[12:13]
	v_fma_f64 v[30:31], v[8:9], v[30:31], v[10:11]
	;; [unrolled: 1-line block ×4, first 2 shown]
	ds_read_b128 v[10:13], v21 offset:16
	ds_read2_b64 v[6:9], v20 offset0:64 offset1:80
	ds_read_b128 v[24:27], v21 offset:1040
	v_addc_co_u32_e64 v5, s[6:7], v5, v23, s[6:7]
	s_waitcnt lgkmcnt(1)
	v_fma_f64 v[28:29], v[6:7], v[10:11], v[28:29]
	v_fma_f64 v[10:11], v[8:9], v[10:11], v[30:31]
	s_waitcnt lgkmcnt(0)
	v_fma_f64 v[14:15], v[6:7], v[24:25], v[14:15]
	v_fma_f64 v[24:25], v[8:9], v[24:25], v[32:33]
	ds_read2_b64 v[6:9], v20 offset0:96 offset1:112
	s_waitcnt lgkmcnt(0)
	v_fma_f64 v[28:29], v[6:7], v[12:13], v[28:29]
	v_fma_f64 v[30:31], v[8:9], v[12:13], v[10:11]
	;; [unrolled: 1-line block ×4, first 2 shown]
	ds_read2_b64 v[10:13], v20 offset0:128 offset1:144
	ds_read_b128 v[6:9], v21 offset:32
	ds_read_b128 v[24:27], v21 offset:1056
	s_waitcnt lgkmcnt(1)
	v_fma_f64 v[28:29], v[10:11], v[6:7], v[28:29]
	v_fma_f64 v[6:7], v[12:13], v[6:7], v[30:31]
	s_waitcnt lgkmcnt(0)
	v_fma_f64 v[14:15], v[10:11], v[24:25], v[14:15]
	v_fma_f64 v[24:25], v[12:13], v[24:25], v[32:33]
	ds_read2_b64 v[10:13], v20 offset0:160 offset1:176
	s_waitcnt lgkmcnt(0)
	v_fma_f64 v[28:29], v[10:11], v[8:9], v[28:29]
	v_fma_f64 v[30:31], v[12:13], v[8:9], v[6:7]
	;; [unrolled: 1-line block ×4, first 2 shown]
	ds_read_b128 v[6:9], v21 offset:48
	ds_read2_b64 v[10:13], v20 offset0:192 offset1:208
	ds_read_b128 v[24:27], v21 offset:1072
	s_waitcnt lgkmcnt(1)
	v_fma_f64 v[34:35], v[10:11], v[6:7], v[28:29]
	v_fma_f64 v[6:7], v[12:13], v[6:7], v[30:31]
	s_waitcnt lgkmcnt(0)
	v_fma_f64 v[14:15], v[10:11], v[24:25], v[14:15]
	v_fma_f64 v[24:25], v[12:13], v[24:25], v[32:33]
	ds_read2_b64 v[28:31], v20 offset0:224 offset1:240
	v_mov_b32_e32 v33, s13
	v_mov_b32_e32 v32, s12
	v_cmp_ge_i64_e32 vcc, s[18:19], v[32:33]
	s_waitcnt lgkmcnt(0)
	v_fma_f64 v[12:13], v[28:29], v[8:9], v[34:35]
	v_fma_f64 v[10:11], v[30:31], v[8:9], v[6:7]
	;; [unrolled: 1-line block ×4, first 2 shown]
	s_barrier
	s_cbranch_vccnz .LBB1074_8
.LBB1074_3:                             ; =>This Inner Loop Header: Depth=1
	v_mov_b32_e32 v15, s19
	v_add_co_u32_e32 v14, vcc, s18, v16
	v_addc_co_u32_e32 v15, vcc, 0, v15, vcc
	v_cmp_gt_i64_e32 vcc, s[12:13], v[14:15]
	v_mov_b32_e32 v14, 0
	v_mov_b32_e32 v15, 0
	s_and_b64 s[20:21], s[0:1], vcc
	s_and_saveexec_b64 s[6:7], s[20:21]
	s_cbranch_execz .LBB1074_5
; %bb.4:                                ;   in Loop: Header=BB1074_3 Depth=1
	global_load_dwordx2 v[14:15], v[2:3], off
.LBB1074_5:                             ;   in Loop: Header=BB1074_3 Depth=1
	s_or_b64 exec, exec, s[6:7]
	s_waitcnt vmcnt(0)
	ds_write_b64 v18, v[14:15]
	v_mov_b32_e32 v15, s19
	v_add_co_u32_e32 v14, vcc, s18, v17
	v_addc_co_u32_e32 v15, vcc, 0, v15, vcc
	v_cmp_gt_i64_e32 vcc, s[12:13], v[14:15]
	v_mov_b32_e32 v14, 0
	v_mov_b32_e32 v15, 0
	s_and_b64 s[20:21], vcc, s[2:3]
	s_and_saveexec_b64 s[6:7], s[20:21]
	s_cbranch_execz .LBB1074_2
; %bb.6:                                ;   in Loop: Header=BB1074_3 Depth=1
	global_load_dwordx2 v[14:15], v[4:5], off
	s_branch .LBB1074_2
.LBB1074_7:
	v_mov_b32_e32 v12, 0
	v_mov_b32_e32 v10, 0
	;; [unrolled: 1-line block ×8, first 2 shown]
.LBB1074_8:
	s_load_dwordx8 s[16:23], s[4:5], 0x48
	v_add_u32_e32 v4, s29, v1
	v_ashrrev_i32_e32 v1, 31, v4
	v_add_u32_e32 v0, s28, v0
	v_cmp_gt_i32_e32 vcc, s9, v4
	s_waitcnt lgkmcnt(0)
	s_mul_i32 s1, s23, s8
	s_mul_hi_u32 s2, s22, s8
	s_add_i32 s1, s2, s1
	v_mul_lo_u32 v3, s20, v1
	v_mul_lo_u32 v5, s21, v4
	v_mad_u64_u32 v[1:2], s[2:3], s20, v4, 0
	s_mul_i32 s0, s22, s8
	s_lshl_b64 s[0:1], s[0:1], 3
	v_add3_u32 v2, v2, v3, v5
	s_add_u32 s4, s18, s0
	v_lshlrev_b64 v[1:2], 3, v[1:2]
	s_addc_u32 s5, s19, s1
	v_mov_b32_e32 v3, s5
	v_add_co_u32_e64 v5, s[0:1], s4, v1
	v_addc_co_u32_e64 v14, s[0:1], v3, v2, s[0:1]
	v_cmp_le_i32_e64 s[0:1], v0, v4
	s_and_b64 s[0:1], vcc, s[0:1]
	s_and_saveexec_b64 s[2:3], s[0:1]
	s_cbranch_execz .LBB1074_10
; %bb.9:
	v_ashrrev_i32_e32 v1, 31, v0
	v_lshlrev_b64 v[1:2], 3, v[0:1]
	v_add_co_u32_e64 v1, s[0:1], v5, v1
	v_addc_co_u32_e64 v2, s[0:1], v14, v2, s[0:1]
	global_load_dwordx2 v[15:16], v[1:2], off
	s_waitcnt vmcnt(0)
	v_mul_f64 v[15:16], s[16:17], v[15:16]
	v_fma_f64 v[12:13], s[14:15], v[12:13], v[15:16]
	global_store_dwordx2 v[1:2], v[12:13], off
.LBB1074_10:
	s_or_b64 exec, exec, s[2:3]
	v_add_u32_e32 v2, 16, v0
	v_cmp_le_i32_e64 s[0:1], v2, v4
	s_and_b64 s[2:3], vcc, s[0:1]
	s_and_saveexec_b64 s[0:1], s[2:3]
	s_cbranch_execz .LBB1074_12
; %bb.11:
	v_ashrrev_i32_e32 v3, 31, v2
	v_lshlrev_b64 v[12:13], 3, v[2:3]
	v_add_co_u32_e32 v12, vcc, v5, v12
	v_addc_co_u32_e32 v13, vcc, v14, v13, vcc
	global_load_dwordx2 v[14:15], v[12:13], off
	s_waitcnt vmcnt(0)
	v_mul_f64 v[14:15], s[16:17], v[14:15]
	v_fma_f64 v[10:11], s[14:15], v[10:11], v[14:15]
	global_store_dwordx2 v[12:13], v[10:11], off
.LBB1074_12:
	s_or_b64 exec, exec, s[0:1]
	v_add_u32_e32 v3, 16, v4
	v_ashrrev_i32_e32 v1, 31, v3
	v_mul_lo_u32 v1, s20, v1
	v_mul_lo_u32 v10, s21, v3
	v_mad_u64_u32 v[4:5], s[0:1], s20, v3, 0
	v_cmp_gt_i32_e32 vcc, s9, v3
	v_add3_u32 v5, v5, v1, v10
	v_lshlrev_b64 v[4:5], 3, v[4:5]
	v_mov_b32_e32 v1, s5
	v_add_co_u32_e64 v4, s[0:1], s4, v4
	v_addc_co_u32_e64 v5, s[0:1], v1, v5, s[0:1]
	v_cmp_le_i32_e64 s[0:1], v0, v3
	s_and_b64 s[0:1], vcc, s[0:1]
	s_and_saveexec_b64 s[2:3], s[0:1]
	s_cbranch_execz .LBB1074_14
; %bb.13:
	v_ashrrev_i32_e32 v1, 31, v0
	v_lshlrev_b64 v[0:1], 3, v[0:1]
	v_add_co_u32_e64 v0, s[0:1], v4, v0
	v_addc_co_u32_e64 v1, s[0:1], v5, v1, s[0:1]
	global_load_dwordx2 v[10:11], v[0:1], off
	s_waitcnt vmcnt(0)
	v_mul_f64 v[10:11], s[16:17], v[10:11]
	v_fma_f64 v[8:9], s[14:15], v[8:9], v[10:11]
	global_store_dwordx2 v[0:1], v[8:9], off
.LBB1074_14:
	s_or_b64 exec, exec, s[2:3]
	v_cmp_le_i32_e64 s[0:1], v2, v3
	s_and_b64 s[0:1], vcc, s[0:1]
	s_and_saveexec_b64 s[2:3], s[0:1]
	s_cbranch_execz .LBB1074_16
; %bb.15:
	v_ashrrev_i32_e32 v3, 31, v2
	v_lshlrev_b64 v[0:1], 3, v[2:3]
	v_add_co_u32_e32 v0, vcc, v4, v0
	v_addc_co_u32_e32 v1, vcc, v5, v1, vcc
	global_load_dwordx2 v[2:3], v[0:1], off
	s_waitcnt vmcnt(0)
	v_mul_f64 v[2:3], s[16:17], v[2:3]
	v_fma_f64 v[2:3], s[14:15], v[6:7], v[2:3]
	global_store_dwordx2 v[0:1], v[2:3], off
.LBB1074_16:
	s_endpgm
	.section	.rodata,"a",@progbits
	.p2align	6, 0x0
	.amdhsa_kernel _ZL34rocblas_syrkx_herkx_general_kernelIldLi16ELi32ELi8ELb0ELb0ELc78ELc85EKddEviT_T0_PT8_S1_lS4_S1_lS2_PT9_S1_li
		.amdhsa_group_segment_fixed_size 4096
		.amdhsa_private_segment_fixed_size 0
		.amdhsa_kernarg_size 108
		.amdhsa_user_sgpr_count 6
		.amdhsa_user_sgpr_private_segment_buffer 1
		.amdhsa_user_sgpr_dispatch_ptr 0
		.amdhsa_user_sgpr_queue_ptr 0
		.amdhsa_user_sgpr_kernarg_segment_ptr 1
		.amdhsa_user_sgpr_dispatch_id 0
		.amdhsa_user_sgpr_flat_scratch_init 0
		.amdhsa_user_sgpr_private_segment_size 0
		.amdhsa_uses_dynamic_stack 0
		.amdhsa_system_sgpr_private_segment_wavefront_offset 0
		.amdhsa_system_sgpr_workgroup_id_x 1
		.amdhsa_system_sgpr_workgroup_id_y 1
		.amdhsa_system_sgpr_workgroup_id_z 1
		.amdhsa_system_sgpr_workgroup_info 0
		.amdhsa_system_vgpr_workitem_id 1
		.amdhsa_next_free_vgpr 36
		.amdhsa_next_free_sgpr 30
		.amdhsa_reserve_vcc 1
		.amdhsa_reserve_flat_scratch 0
		.amdhsa_float_round_mode_32 0
		.amdhsa_float_round_mode_16_64 0
		.amdhsa_float_denorm_mode_32 3
		.amdhsa_float_denorm_mode_16_64 3
		.amdhsa_dx10_clamp 1
		.amdhsa_ieee_mode 1
		.amdhsa_fp16_overflow 0
		.amdhsa_exception_fp_ieee_invalid_op 0
		.amdhsa_exception_fp_denorm_src 0
		.amdhsa_exception_fp_ieee_div_zero 0
		.amdhsa_exception_fp_ieee_overflow 0
		.amdhsa_exception_fp_ieee_underflow 0
		.amdhsa_exception_fp_ieee_inexact 0
		.amdhsa_exception_int_div_zero 0
	.end_amdhsa_kernel
	.section	.text._ZL34rocblas_syrkx_herkx_general_kernelIldLi16ELi32ELi8ELb0ELb0ELc78ELc85EKddEviT_T0_PT8_S1_lS4_S1_lS2_PT9_S1_li,"axG",@progbits,_ZL34rocblas_syrkx_herkx_general_kernelIldLi16ELi32ELi8ELb0ELb0ELc78ELc85EKddEviT_T0_PT8_S1_lS4_S1_lS2_PT9_S1_li,comdat
.Lfunc_end1074:
	.size	_ZL34rocblas_syrkx_herkx_general_kernelIldLi16ELi32ELi8ELb0ELb0ELc78ELc85EKddEviT_T0_PT8_S1_lS4_S1_lS2_PT9_S1_li, .Lfunc_end1074-_ZL34rocblas_syrkx_herkx_general_kernelIldLi16ELi32ELi8ELb0ELb0ELc78ELc85EKddEviT_T0_PT8_S1_lS4_S1_lS2_PT9_S1_li
                                        ; -- End function
	.set _ZL34rocblas_syrkx_herkx_general_kernelIldLi16ELi32ELi8ELb0ELb0ELc78ELc85EKddEviT_T0_PT8_S1_lS4_S1_lS2_PT9_S1_li.num_vgpr, 36
	.set _ZL34rocblas_syrkx_herkx_general_kernelIldLi16ELi32ELi8ELb0ELb0ELc78ELc85EKddEviT_T0_PT8_S1_lS4_S1_lS2_PT9_S1_li.num_agpr, 0
	.set _ZL34rocblas_syrkx_herkx_general_kernelIldLi16ELi32ELi8ELb0ELb0ELc78ELc85EKddEviT_T0_PT8_S1_lS4_S1_lS2_PT9_S1_li.numbered_sgpr, 30
	.set _ZL34rocblas_syrkx_herkx_general_kernelIldLi16ELi32ELi8ELb0ELb0ELc78ELc85EKddEviT_T0_PT8_S1_lS4_S1_lS2_PT9_S1_li.num_named_barrier, 0
	.set _ZL34rocblas_syrkx_herkx_general_kernelIldLi16ELi32ELi8ELb0ELb0ELc78ELc85EKddEviT_T0_PT8_S1_lS4_S1_lS2_PT9_S1_li.private_seg_size, 0
	.set _ZL34rocblas_syrkx_herkx_general_kernelIldLi16ELi32ELi8ELb0ELb0ELc78ELc85EKddEviT_T0_PT8_S1_lS4_S1_lS2_PT9_S1_li.uses_vcc, 1
	.set _ZL34rocblas_syrkx_herkx_general_kernelIldLi16ELi32ELi8ELb0ELb0ELc78ELc85EKddEviT_T0_PT8_S1_lS4_S1_lS2_PT9_S1_li.uses_flat_scratch, 0
	.set _ZL34rocblas_syrkx_herkx_general_kernelIldLi16ELi32ELi8ELb0ELb0ELc78ELc85EKddEviT_T0_PT8_S1_lS4_S1_lS2_PT9_S1_li.has_dyn_sized_stack, 0
	.set _ZL34rocblas_syrkx_herkx_general_kernelIldLi16ELi32ELi8ELb0ELb0ELc78ELc85EKddEviT_T0_PT8_S1_lS4_S1_lS2_PT9_S1_li.has_recursion, 0
	.set _ZL34rocblas_syrkx_herkx_general_kernelIldLi16ELi32ELi8ELb0ELb0ELc78ELc85EKddEviT_T0_PT8_S1_lS4_S1_lS2_PT9_S1_li.has_indirect_call, 0
	.section	.AMDGPU.csdata,"",@progbits
; Kernel info:
; codeLenInByte = 1560
; TotalNumSgprs: 34
; NumVgprs: 36
; ScratchSize: 0
; MemoryBound: 0
; FloatMode: 240
; IeeeMode: 1
; LDSByteSize: 4096 bytes/workgroup (compile time only)
; SGPRBlocks: 4
; VGPRBlocks: 8
; NumSGPRsForWavesPerEU: 34
; NumVGPRsForWavesPerEU: 36
; Occupancy: 7
; WaveLimiterHint : 0
; COMPUTE_PGM_RSRC2:SCRATCH_EN: 0
; COMPUTE_PGM_RSRC2:USER_SGPR: 6
; COMPUTE_PGM_RSRC2:TRAP_HANDLER: 0
; COMPUTE_PGM_RSRC2:TGID_X_EN: 1
; COMPUTE_PGM_RSRC2:TGID_Y_EN: 1
; COMPUTE_PGM_RSRC2:TGID_Z_EN: 1
; COMPUTE_PGM_RSRC2:TIDIG_COMP_CNT: 1
	.section	.text._ZL26rocblas_syr2k_scale_kernelIlLi128ELi8ELb0EddPdEvbiT_T3_T4_T5_S1_li,"axG",@progbits,_ZL26rocblas_syr2k_scale_kernelIlLi128ELi8ELb0EddPdEvbiT_T3_T4_T5_S1_li,comdat
	.globl	_ZL26rocblas_syr2k_scale_kernelIlLi128ELi8ELb0EddPdEvbiT_T3_T4_T5_S1_li ; -- Begin function _ZL26rocblas_syr2k_scale_kernelIlLi128ELi8ELb0EddPdEvbiT_T3_T4_T5_S1_li
	.p2align	8
	.type	_ZL26rocblas_syr2k_scale_kernelIlLi128ELi8ELb0EddPdEvbiT_T3_T4_T5_S1_li,@function
_ZL26rocblas_syr2k_scale_kernelIlLi128ELi8ELb0EddPdEvbiT_T3_T4_T5_S1_li: ; @_ZL26rocblas_syr2k_scale_kernelIlLi128ELi8ELb0EddPdEvbiT_T3_T4_T5_S1_li
; %bb.0:
	s_load_dwordx8 s[12:19], s[4:5], 0x18
	s_waitcnt lgkmcnt(0)
	v_cmp_eq_f64_e64 s[0:1], s[12:13], 1.0
	s_and_b64 vcc, exec, s[0:1]
	s_cbranch_vccnz .LBB1075_5
; %bb.1:
	s_load_dwordx2 s[0:1], s[4:5], 0x0
	s_load_dword s2, s[4:5], 0x4c
	s_waitcnt lgkmcnt(0)
	s_bitcmp1_b32 s0, 0
	s_cselect_b64 vcc, -1, 0
	s_lshr_b32 s0, s2, 16
	s_and_b32 s2, s2, 0xffff
	s_mul_i32 s6, s6, s2
	s_mul_i32 s7, s7, s0
	v_add_u32_e32 v0, s6, v0
	v_add_u32_e32 v1, s7, v1
	v_cndmask_b32_e32 v2, v1, v0, vcc
	v_cndmask_b32_e32 v3, v0, v1, vcc
	v_max_u32_e32 v4, v0, v1
	v_cmp_gt_u32_e32 vcc, s1, v4
	v_cmp_le_i32_e64 s[0:1], v2, v3
	s_and_b64 s[0:1], vcc, s[0:1]
	s_and_saveexec_b64 s[2:3], s[0:1]
	s_cbranch_execz .LBB1075_5
; %bb.2:
	v_mad_u64_u32 v[2:3], s[0:1], s16, v1, 0
	s_mul_i32 s2, s19, s8
	s_mul_hi_u32 s0, s18, s8
	s_add_i32 s1, s0, s2
	s_mul_i32 s0, s18, s8
	v_mad_u64_u32 v[3:4], s[2:3], s17, v1, v[3:4]
	s_lshl_b64 s[0:1], s[0:1], 3
	s_add_u32 s2, s14, s0
	s_addc_u32 s0, s15, s1
	v_mov_b32_e32 v4, s0
	v_cmp_eq_f64_e64 s[0:1], s[12:13], 0
	v_lshlrev_b64 v[2:3], 3, v[2:3]
	v_mov_b32_e32 v1, 0
	v_add_co_u32_e32 v2, vcc, s2, v2
	v_lshlrev_b64 v[0:1], 3, v[0:1]
	v_addc_co_u32_e32 v3, vcc, v4, v3, vcc
	v_add_co_u32_e32 v0, vcc, v2, v0
	v_addc_co_u32_e32 v1, vcc, v3, v1, vcc
	v_mov_b32_e32 v2, 0
	v_mov_b32_e32 v3, 0
	s_and_b64 vcc, exec, s[0:1]
	s_cbranch_vccnz .LBB1075_4
; %bb.3:
	global_load_dwordx2 v[2:3], v[0:1], off
	s_waitcnt vmcnt(0)
	v_mul_f64 v[2:3], s[12:13], v[2:3]
.LBB1075_4:
	global_store_dwordx2 v[0:1], v[2:3], off
.LBB1075_5:
	s_endpgm
	.section	.rodata,"a",@progbits
	.p2align	6, 0x0
	.amdhsa_kernel _ZL26rocblas_syr2k_scale_kernelIlLi128ELi8ELb0EddPdEvbiT_T3_T4_T5_S1_li
		.amdhsa_group_segment_fixed_size 0
		.amdhsa_private_segment_fixed_size 0
		.amdhsa_kernarg_size 320
		.amdhsa_user_sgpr_count 6
		.amdhsa_user_sgpr_private_segment_buffer 1
		.amdhsa_user_sgpr_dispatch_ptr 0
		.amdhsa_user_sgpr_queue_ptr 0
		.amdhsa_user_sgpr_kernarg_segment_ptr 1
		.amdhsa_user_sgpr_dispatch_id 0
		.amdhsa_user_sgpr_flat_scratch_init 0
		.amdhsa_user_sgpr_private_segment_size 0
		.amdhsa_uses_dynamic_stack 0
		.amdhsa_system_sgpr_private_segment_wavefront_offset 0
		.amdhsa_system_sgpr_workgroup_id_x 1
		.amdhsa_system_sgpr_workgroup_id_y 1
		.amdhsa_system_sgpr_workgroup_id_z 1
		.amdhsa_system_sgpr_workgroup_info 0
		.amdhsa_system_vgpr_workitem_id 1
		.amdhsa_next_free_vgpr 5
		.amdhsa_next_free_sgpr 20
		.amdhsa_reserve_vcc 1
		.amdhsa_reserve_flat_scratch 0
		.amdhsa_float_round_mode_32 0
		.amdhsa_float_round_mode_16_64 0
		.amdhsa_float_denorm_mode_32 3
		.amdhsa_float_denorm_mode_16_64 3
		.amdhsa_dx10_clamp 1
		.amdhsa_ieee_mode 1
		.amdhsa_fp16_overflow 0
		.amdhsa_exception_fp_ieee_invalid_op 0
		.amdhsa_exception_fp_denorm_src 0
		.amdhsa_exception_fp_ieee_div_zero 0
		.amdhsa_exception_fp_ieee_overflow 0
		.amdhsa_exception_fp_ieee_underflow 0
		.amdhsa_exception_fp_ieee_inexact 0
		.amdhsa_exception_int_div_zero 0
	.end_amdhsa_kernel
	.section	.text._ZL26rocblas_syr2k_scale_kernelIlLi128ELi8ELb0EddPdEvbiT_T3_T4_T5_S1_li,"axG",@progbits,_ZL26rocblas_syr2k_scale_kernelIlLi128ELi8ELb0EddPdEvbiT_T3_T4_T5_S1_li,comdat
.Lfunc_end1075:
	.size	_ZL26rocblas_syr2k_scale_kernelIlLi128ELi8ELb0EddPdEvbiT_T3_T4_T5_S1_li, .Lfunc_end1075-_ZL26rocblas_syr2k_scale_kernelIlLi128ELi8ELb0EddPdEvbiT_T3_T4_T5_S1_li
                                        ; -- End function
	.set _ZL26rocblas_syr2k_scale_kernelIlLi128ELi8ELb0EddPdEvbiT_T3_T4_T5_S1_li.num_vgpr, 5
	.set _ZL26rocblas_syr2k_scale_kernelIlLi128ELi8ELb0EddPdEvbiT_T3_T4_T5_S1_li.num_agpr, 0
	.set _ZL26rocblas_syr2k_scale_kernelIlLi128ELi8ELb0EddPdEvbiT_T3_T4_T5_S1_li.numbered_sgpr, 20
	.set _ZL26rocblas_syr2k_scale_kernelIlLi128ELi8ELb0EddPdEvbiT_T3_T4_T5_S1_li.num_named_barrier, 0
	.set _ZL26rocblas_syr2k_scale_kernelIlLi128ELi8ELb0EddPdEvbiT_T3_T4_T5_S1_li.private_seg_size, 0
	.set _ZL26rocblas_syr2k_scale_kernelIlLi128ELi8ELb0EddPdEvbiT_T3_T4_T5_S1_li.uses_vcc, 1
	.set _ZL26rocblas_syr2k_scale_kernelIlLi128ELi8ELb0EddPdEvbiT_T3_T4_T5_S1_li.uses_flat_scratch, 0
	.set _ZL26rocblas_syr2k_scale_kernelIlLi128ELi8ELb0EddPdEvbiT_T3_T4_T5_S1_li.has_dyn_sized_stack, 0
	.set _ZL26rocblas_syr2k_scale_kernelIlLi128ELi8ELb0EddPdEvbiT_T3_T4_T5_S1_li.has_recursion, 0
	.set _ZL26rocblas_syr2k_scale_kernelIlLi128ELi8ELb0EddPdEvbiT_T3_T4_T5_S1_li.has_indirect_call, 0
	.section	.AMDGPU.csdata,"",@progbits
; Kernel info:
; codeLenInByte = 260
; TotalNumSgprs: 24
; NumVgprs: 5
; ScratchSize: 0
; MemoryBound: 1
; FloatMode: 240
; IeeeMode: 1
; LDSByteSize: 0 bytes/workgroup (compile time only)
; SGPRBlocks: 2
; VGPRBlocks: 1
; NumSGPRsForWavesPerEU: 24
; NumVGPRsForWavesPerEU: 5
; Occupancy: 10
; WaveLimiterHint : 0
; COMPUTE_PGM_RSRC2:SCRATCH_EN: 0
; COMPUTE_PGM_RSRC2:USER_SGPR: 6
; COMPUTE_PGM_RSRC2:TRAP_HANDLER: 0
; COMPUTE_PGM_RSRC2:TGID_X_EN: 1
; COMPUTE_PGM_RSRC2:TGID_Y_EN: 1
; COMPUTE_PGM_RSRC2:TGID_Z_EN: 1
; COMPUTE_PGM_RSRC2:TIDIG_COMP_CNT: 1
	.section	.text._ZL26rocblas_syr2k_her2k_kernelIlLb0ELb0ELb0ELi32EPKdS1_PdEvbiT_T4_T5_S3_lS5_S3_lT6_S3_li,"axG",@progbits,_ZL26rocblas_syr2k_her2k_kernelIlLb0ELb0ELb0ELi32EPKdS1_PdEvbiT_T4_T5_S3_lS5_S3_lT6_S3_li,comdat
	.globl	_ZL26rocblas_syr2k_her2k_kernelIlLb0ELb0ELb0ELi32EPKdS1_PdEvbiT_T4_T5_S3_lS5_S3_lT6_S3_li ; -- Begin function _ZL26rocblas_syr2k_her2k_kernelIlLb0ELb0ELb0ELi32EPKdS1_PdEvbiT_T4_T5_S3_lS5_S3_lT6_S3_li
	.p2align	8
	.type	_ZL26rocblas_syr2k_her2k_kernelIlLb0ELb0ELb0ELi32EPKdS1_PdEvbiT_T4_T5_S3_lS5_S3_lT6_S3_li,@function
_ZL26rocblas_syr2k_her2k_kernelIlLb0ELb0ELb0ELi32EPKdS1_PdEvbiT_T4_T5_S3_lS5_S3_lT6_S3_li: ; @_ZL26rocblas_syr2k_her2k_kernelIlLb0ELb0ELb0ELi32EPKdS1_PdEvbiT_T4_T5_S3_lS5_S3_lT6_S3_li
; %bb.0:
	s_load_dwordx16 s[12:27], s[4:5], 0x8
	s_waitcnt lgkmcnt(0)
	s_load_dwordx2 s[10:11], s[14:15], 0x0
	s_waitcnt lgkmcnt(0)
	v_cmp_eq_f64_e64 s[0:1], s[10:11], 0
	s_and_b64 vcc, exec, s[0:1]
	s_cbranch_vccnz .LBB1076_10
; %bb.1:
	s_load_dwordx2 s[14:15], s[4:5], 0x0
	s_lshl_b32 s3, s7, 5
	s_lshl_b32 s2, s6, 5
	s_waitcnt lgkmcnt(0)
	s_and_b32 s0, 1, s14
	s_cmp_eq_u32 s0, 1
	s_cselect_b64 s[0:1], -1, 0
	s_and_b64 s[6:7], s[0:1], exec
	s_cselect_b32 s6, s2, s3
	s_cselect_b32 s7, s3, s2
	s_cmp_gt_i32 s6, s7
	v_cmp_lt_i64_e64 s[6:7], s[12:13], 1
	s_cselect_b64 s[28:29], -1, 0
	s_or_b64 s[6:7], s[28:29], s[6:7]
	s_and_b64 vcc, exec, s[6:7]
	s_cbranch_vccnz .LBB1076_10
; %bb.2:
	s_load_dwordx2 s[6:7], s[4:5], 0x58
	s_load_dwordx4 s[28:31], s[4:5], 0x48
	v_add_u32_e32 v4, s3, v1
	v_lshlrev_b32_e32 v12, 8, v0
	v_lshlrev_b32_e32 v2, 3, v1
	s_waitcnt lgkmcnt(0)
	s_mul_i32 s3, s7, s8
	s_mul_hi_u32 s5, s6, s8
	s_mul_i32 s4, s6, s8
	s_add_i32 s5, s5, s3
	s_lshl_b64 s[4:5], s[4:5], 3
	s_add_u32 s9, s28, s4
	v_add_u32_e32 v13, v12, v2
	v_or_b32_e32 v14, 0x2000, v2
	v_ashrrev_i32_e32 v2, 31, v4
	s_addc_u32 s14, s29, s5
	v_mul_lo_u32 v11, s30, v2
	v_mul_lo_u32 v16, s31, v4
	v_mad_u64_u32 v[2:3], s[4:5], s30, v4, 0
	v_add_u32_e32 v6, s2, v0
	v_cndmask_b32_e64 v8, v6, v4, s[0:1]
	v_add3_u32 v3, v3, v11, v16
	v_cndmask_b32_e64 v9, v4, v6, s[0:1]
	v_max_i32_e32 v10, v6, v4
	v_lshlrev_b64 v[2:3], 3, v[2:3]
	v_cmp_gt_i32_e32 vcc, s15, v10
	v_cmp_le_i32_e64 s[4:5], v9, v8
	s_and_b64 s[6:7], s[4:5], vcc
	v_ashrrev_i32_e32 v9, 31, v6
	v_mov_b32_e32 v8, v6
	v_mov_b32_e32 v10, s14
	v_add_co_u32_e32 v11, vcc, s9, v2
	v_addc_co_u32_e32 v10, vcc, v10, v3, vcc
	v_lshlrev_b64 v[2:3], 3, v[8:9]
	v_mad_u64_u32 v[8:9], s[4:5], s24, v0, 0
	v_add_co_u32_e32 v2, vcc, v11, v2
	v_addc_co_u32_e32 v3, vcc, v10, v3, vcc
	v_mad_u64_u32 v[9:10], s[4:5], s25, v0, v[9:10]
	s_mul_i32 s9, s27, s8
	s_mul_hi_u32 s14, s26, s8
	v_mov_b32_e32 v7, 0
	s_add_i32 s5, s14, s9
	s_mul_i32 s4, s26, s8
	v_lshlrev_b64 v[8:9], 3, v[8:9]
	s_ashr_i32 s3, s15, 31
	s_mov_b32 s2, s15
	v_mov_b32_e32 v5, v7
	s_lshl_b64 s[4:5], s[4:5], 3
	v_cmp_gt_i64_e64 s[0:1], s[2:3], v[6:7]
	v_cmp_gt_i64_e64 s[2:3], s[2:3], v[4:5]
	v_mov_b32_e32 v10, s5
	v_add_co_u32_e32 v8, vcc, s4, v8
	v_lshlrev_b64 v[4:5], 3, v[4:5]
	v_addc_co_u32_e32 v9, vcc, v10, v9, vcc
	v_add_co_u32_e32 v4, vcc, v8, v4
	v_addc_co_u32_e32 v5, vcc, v9, v5, vcc
	v_mov_b32_e32 v8, s23
	v_add_co_u32_e32 v4, vcc, s22, v4
	v_addc_co_u32_e32 v5, vcc, v8, v5, vcc
	v_mad_u64_u32 v[8:9], s[4:5], s18, v1, 0
	s_mul_i32 s9, s21, s8
	s_mul_hi_u32 s21, s20, s8
	v_mad_u64_u32 v[9:10], s[4:5], s19, v1, v[9:10]
	s_add_i32 s5, s21, s9
	s_mul_i32 s4, s20, s8
	v_lshlrev_b64 v[8:9], 3, v[8:9]
	s_lshl_b64 s[4:5], s[4:5], 3
	v_mov_b32_e32 v10, s5
	v_add_co_u32_e32 v8, vcc, s4, v8
	v_lshlrev_b64 v[6:7], 3, v[6:7]
	v_addc_co_u32_e32 v9, vcc, v10, v9, vcc
	v_add_co_u32_e32 v6, vcc, v8, v6
	v_addc_co_u32_e32 v7, vcc, v9, v7, vcc
	v_mov_b32_e32 v8, s17
	v_add_co_u32_e32 v6, vcc, s16, v6
	v_add_u32_e32 v15, v14, v12
	s_lshl_b64 s[14:15], s[24:25], 8
	v_addc_co_u32_e32 v7, vcc, v8, v7, vcc
	s_lshl_b64 s[8:9], s[18:19], 8
	s_mov_b64 s[16:17], 0
	v_add_u32_e32 v16, 0x800, v14
	v_add_u32_e32 v17, 0x1000, v14
	;; [unrolled: 1-line block ×3, first 2 shown]
	s_branch .LBB1076_4
.LBB1076_3:                             ;   in Loop: Header=BB1076_4 Depth=1
	s_or_b64 exec, exec, s[4:5]
	v_mov_b32_e32 v8, s15
	v_add_co_u32_e32 v4, vcc, s14, v4
	s_add_u32 s16, s16, 32
	v_addc_co_u32_e32 v5, vcc, v5, v8, vcc
	v_mov_b32_e32 v8, s12
	s_addc_u32 s17, s17, 0
	v_mov_b32_e32 v9, s13
	v_cmp_lt_i64_e32 vcc, s[16:17], v[8:9]
	v_mov_b32_e32 v10, s9
	v_add_co_u32_e64 v6, s[4:5], s8, v6
	v_addc_co_u32_e64 v7, s[4:5], v7, v10, s[4:5]
	s_waitcnt vmcnt(0)
	s_barrier
	s_cbranch_vccz .LBB1076_10
.LBB1076_4:                             ; =>This Inner Loop Header: Depth=1
	v_mov_b32_e32 v9, s17
	v_add_co_u32_e32 v8, vcc, s16, v1
	v_addc_co_u32_e32 v9, vcc, 0, v9, vcc
	v_cmp_gt_i64_e32 vcc, s[12:13], v[8:9]
	v_mov_b32_e32 v8, 0
	v_mov_b32_e32 v10, 0
	;; [unrolled: 1-line block ×4, first 2 shown]
	s_and_b64 s[18:19], s[0:1], vcc
	s_and_saveexec_b64 s[4:5], s[18:19]
	s_cbranch_execz .LBB1076_6
; %bb.5:                                ;   in Loop: Header=BB1076_4 Depth=1
	global_load_dwordx2 v[10:11], v[6:7], off
.LBB1076_6:                             ;   in Loop: Header=BB1076_4 Depth=1
	s_or_b64 exec, exec, s[4:5]
	v_mov_b32_e32 v20, s17
	v_add_co_u32_e32 v19, vcc, s16, v0
	v_addc_co_u32_e32 v20, vcc, 0, v20, vcc
	v_cmp_gt_i64_e32 vcc, s[12:13], v[19:20]
	s_waitcnt vmcnt(0)
	ds_write_b64 v13, v[10:11]
	s_and_b64 s[18:19], s[2:3], vcc
	s_and_saveexec_b64 s[4:5], s[18:19]
	s_cbranch_execz .LBB1076_8
; %bb.7:                                ;   in Loop: Header=BB1076_4 Depth=1
	global_load_dwordx2 v[8:9], v[4:5], off
.LBB1076_8:                             ;   in Loop: Header=BB1076_4 Depth=1
	s_or_b64 exec, exec, s[4:5]
	s_waitcnt vmcnt(0)
	ds_write_b64 v15, v[8:9]
	s_waitcnt lgkmcnt(0)
	s_barrier
	s_and_saveexec_b64 s[4:5], s[6:7]
	s_cbranch_execz .LBB1076_3
; %bb.9:                                ;   in Loop: Header=BB1076_4 Depth=1
	ds_read2_b64 v[8:11], v14 offset1:32
	ds_read_b128 v[19:22], v12
	s_waitcnt lgkmcnt(0)
	v_fma_f64 v[8:9], v[19:20], v[8:9], 0
	v_fma_f64 v[23:24], v[21:22], v[10:11], v[8:9]
	ds_read_b128 v[8:11], v12 offset:16
	ds_read2_b64 v[19:22], v14 offset0:64 offset1:96
	s_waitcnt lgkmcnt(0)
	v_fma_f64 v[8:9], v[8:9], v[19:20], v[23:24]
	v_fma_f64 v[23:24], v[10:11], v[21:22], v[8:9]
	ds_read2_b64 v[8:11], v14 offset0:128 offset1:160
	ds_read_b128 v[19:22], v12 offset:32
	s_waitcnt lgkmcnt(0)
	v_fma_f64 v[8:9], v[19:20], v[8:9], v[23:24]
	v_fma_f64 v[23:24], v[21:22], v[10:11], v[8:9]
	ds_read_b128 v[8:11], v12 offset:48
	ds_read2_b64 v[19:22], v14 offset0:192 offset1:224
	s_waitcnt lgkmcnt(0)
	v_fma_f64 v[8:9], v[8:9], v[19:20], v[23:24]
	v_fma_f64 v[23:24], v[10:11], v[21:22], v[8:9]
	ds_read2_b64 v[8:11], v16 offset1:32
	ds_read_b128 v[19:22], v12 offset:64
	s_waitcnt lgkmcnt(0)
	v_fma_f64 v[8:9], v[19:20], v[8:9], v[23:24]
	v_fma_f64 v[23:24], v[21:22], v[10:11], v[8:9]
	ds_read_b128 v[8:11], v12 offset:80
	ds_read2_b64 v[19:22], v16 offset0:64 offset1:96
	s_waitcnt lgkmcnt(0)
	v_fma_f64 v[8:9], v[8:9], v[19:20], v[23:24]
	v_fma_f64 v[23:24], v[10:11], v[21:22], v[8:9]
	ds_read2_b64 v[8:11], v16 offset0:128 offset1:160
	ds_read_b128 v[19:22], v12 offset:96
	s_waitcnt lgkmcnt(0)
	v_fma_f64 v[8:9], v[19:20], v[8:9], v[23:24]
	v_fma_f64 v[23:24], v[21:22], v[10:11], v[8:9]
	ds_read_b128 v[8:11], v12 offset:112
	ds_read2_b64 v[19:22], v16 offset0:192 offset1:224
	s_waitcnt lgkmcnt(0)
	v_fma_f64 v[8:9], v[8:9], v[19:20], v[23:24]
	v_fma_f64 v[23:24], v[10:11], v[21:22], v[8:9]
	ds_read2_b64 v[8:11], v17 offset1:32
	ds_read_b128 v[19:22], v12 offset:128
	s_waitcnt lgkmcnt(0)
	v_fma_f64 v[8:9], v[19:20], v[8:9], v[23:24]
	v_fma_f64 v[23:24], v[21:22], v[10:11], v[8:9]
	ds_read_b128 v[8:11], v12 offset:144
	ds_read2_b64 v[19:22], v17 offset0:64 offset1:96
	s_waitcnt lgkmcnt(0)
	v_fma_f64 v[8:9], v[8:9], v[19:20], v[23:24]
	v_fma_f64 v[23:24], v[10:11], v[21:22], v[8:9]
	ds_read2_b64 v[8:11], v17 offset0:128 offset1:160
	ds_read_b128 v[19:22], v12 offset:160
	s_waitcnt lgkmcnt(0)
	v_fma_f64 v[8:9], v[19:20], v[8:9], v[23:24]
	v_fma_f64 v[23:24], v[21:22], v[10:11], v[8:9]
	ds_read_b128 v[8:11], v12 offset:176
	ds_read2_b64 v[19:22], v17 offset0:192 offset1:224
	s_waitcnt lgkmcnt(0)
	v_fma_f64 v[8:9], v[8:9], v[19:20], v[23:24]
	global_load_dwordx2 v[23:24], v[2:3], off
	v_fma_f64 v[25:26], v[10:11], v[21:22], v[8:9]
	ds_read2_b64 v[8:11], v18 offset1:32
	ds_read_b128 v[19:22], v12 offset:192
	s_waitcnt lgkmcnt(0)
	v_fma_f64 v[8:9], v[19:20], v[8:9], v[25:26]
	v_fma_f64 v[25:26], v[21:22], v[10:11], v[8:9]
	ds_read_b128 v[8:11], v12 offset:208
	ds_read2_b64 v[19:22], v18 offset0:64 offset1:96
	s_waitcnt lgkmcnt(0)
	v_fma_f64 v[8:9], v[8:9], v[19:20], v[25:26]
	v_fma_f64 v[25:26], v[10:11], v[21:22], v[8:9]
	ds_read2_b64 v[8:11], v18 offset0:128 offset1:160
	ds_read_b128 v[19:22], v12 offset:224
	s_waitcnt lgkmcnt(0)
	v_fma_f64 v[8:9], v[19:20], v[8:9], v[25:26]
	v_fma_f64 v[25:26], v[21:22], v[10:11], v[8:9]
	ds_read_b128 v[8:11], v12 offset:240
	ds_read2_b64 v[19:22], v18 offset0:192 offset1:224
	s_waitcnt lgkmcnt(0)
	v_fma_f64 v[8:9], v[8:9], v[19:20], v[25:26]
	v_fma_f64 v[8:9], v[10:11], v[21:22], v[8:9]
	s_waitcnt vmcnt(0)
	v_fma_f64 v[8:9], s[10:11], v[8:9], v[23:24]
	global_store_dwordx2 v[2:3], v[8:9], off
	s_branch .LBB1076_3
.LBB1076_10:
	s_endpgm
	.section	.rodata,"a",@progbits
	.p2align	6, 0x0
	.amdhsa_kernel _ZL26rocblas_syr2k_her2k_kernelIlLb0ELb0ELb0ELi32EPKdS1_PdEvbiT_T4_T5_S3_lS5_S3_lT6_S3_li
		.amdhsa_group_segment_fixed_size 16384
		.amdhsa_private_segment_fixed_size 0
		.amdhsa_kernarg_size 100
		.amdhsa_user_sgpr_count 6
		.amdhsa_user_sgpr_private_segment_buffer 1
		.amdhsa_user_sgpr_dispatch_ptr 0
		.amdhsa_user_sgpr_queue_ptr 0
		.amdhsa_user_sgpr_kernarg_segment_ptr 1
		.amdhsa_user_sgpr_dispatch_id 0
		.amdhsa_user_sgpr_flat_scratch_init 0
		.amdhsa_user_sgpr_private_segment_size 0
		.amdhsa_uses_dynamic_stack 0
		.amdhsa_system_sgpr_private_segment_wavefront_offset 0
		.amdhsa_system_sgpr_workgroup_id_x 1
		.amdhsa_system_sgpr_workgroup_id_y 1
		.amdhsa_system_sgpr_workgroup_id_z 1
		.amdhsa_system_sgpr_workgroup_info 0
		.amdhsa_system_vgpr_workitem_id 1
		.amdhsa_next_free_vgpr 29
		.amdhsa_next_free_sgpr 61
		.amdhsa_reserve_vcc 1
		.amdhsa_reserve_flat_scratch 0
		.amdhsa_float_round_mode_32 0
		.amdhsa_float_round_mode_16_64 0
		.amdhsa_float_denorm_mode_32 3
		.amdhsa_float_denorm_mode_16_64 3
		.amdhsa_dx10_clamp 1
		.amdhsa_ieee_mode 1
		.amdhsa_fp16_overflow 0
		.amdhsa_exception_fp_ieee_invalid_op 0
		.amdhsa_exception_fp_denorm_src 0
		.amdhsa_exception_fp_ieee_div_zero 0
		.amdhsa_exception_fp_ieee_overflow 0
		.amdhsa_exception_fp_ieee_underflow 0
		.amdhsa_exception_fp_ieee_inexact 0
		.amdhsa_exception_int_div_zero 0
	.end_amdhsa_kernel
	.section	.text._ZL26rocblas_syr2k_her2k_kernelIlLb0ELb0ELb0ELi32EPKdS1_PdEvbiT_T4_T5_S3_lS5_S3_lT6_S3_li,"axG",@progbits,_ZL26rocblas_syr2k_her2k_kernelIlLb0ELb0ELb0ELi32EPKdS1_PdEvbiT_T4_T5_S3_lS5_S3_lT6_S3_li,comdat
.Lfunc_end1076:
	.size	_ZL26rocblas_syr2k_her2k_kernelIlLb0ELb0ELb0ELi32EPKdS1_PdEvbiT_T4_T5_S3_lS5_S3_lT6_S3_li, .Lfunc_end1076-_ZL26rocblas_syr2k_her2k_kernelIlLb0ELb0ELb0ELi32EPKdS1_PdEvbiT_T4_T5_S3_lS5_S3_lT6_S3_li
                                        ; -- End function
	.set _ZL26rocblas_syr2k_her2k_kernelIlLb0ELb0ELb0ELi32EPKdS1_PdEvbiT_T4_T5_S3_lS5_S3_lT6_S3_li.num_vgpr, 27
	.set _ZL26rocblas_syr2k_her2k_kernelIlLb0ELb0ELb0ELi32EPKdS1_PdEvbiT_T4_T5_S3_lS5_S3_lT6_S3_li.num_agpr, 0
	.set _ZL26rocblas_syr2k_her2k_kernelIlLb0ELb0ELb0ELi32EPKdS1_PdEvbiT_T4_T5_S3_lS5_S3_lT6_S3_li.numbered_sgpr, 32
	.set _ZL26rocblas_syr2k_her2k_kernelIlLb0ELb0ELb0ELi32EPKdS1_PdEvbiT_T4_T5_S3_lS5_S3_lT6_S3_li.num_named_barrier, 0
	.set _ZL26rocblas_syr2k_her2k_kernelIlLb0ELb0ELb0ELi32EPKdS1_PdEvbiT_T4_T5_S3_lS5_S3_lT6_S3_li.private_seg_size, 0
	.set _ZL26rocblas_syr2k_her2k_kernelIlLb0ELb0ELb0ELi32EPKdS1_PdEvbiT_T4_T5_S3_lS5_S3_lT6_S3_li.uses_vcc, 1
	.set _ZL26rocblas_syr2k_her2k_kernelIlLb0ELb0ELb0ELi32EPKdS1_PdEvbiT_T4_T5_S3_lS5_S3_lT6_S3_li.uses_flat_scratch, 0
	.set _ZL26rocblas_syr2k_her2k_kernelIlLb0ELb0ELb0ELi32EPKdS1_PdEvbiT_T4_T5_S3_lS5_S3_lT6_S3_li.has_dyn_sized_stack, 0
	.set _ZL26rocblas_syr2k_her2k_kernelIlLb0ELb0ELb0ELi32EPKdS1_PdEvbiT_T4_T5_S3_lS5_S3_lT6_S3_li.has_recursion, 0
	.set _ZL26rocblas_syr2k_her2k_kernelIlLb0ELb0ELb0ELi32EPKdS1_PdEvbiT_T4_T5_S3_lS5_S3_lT6_S3_li.has_indirect_call, 0
	.section	.AMDGPU.csdata,"",@progbits
; Kernel info:
; codeLenInByte = 1364
; TotalNumSgprs: 36
; NumVgprs: 27
; ScratchSize: 0
; MemoryBound: 0
; FloatMode: 240
; IeeeMode: 1
; LDSByteSize: 16384 bytes/workgroup (compile time only)
; SGPRBlocks: 8
; VGPRBlocks: 7
; NumSGPRsForWavesPerEU: 65
; NumVGPRsForWavesPerEU: 29
; Occupancy: 8
; WaveLimiterHint : 0
; COMPUTE_PGM_RSRC2:SCRATCH_EN: 0
; COMPUTE_PGM_RSRC2:USER_SGPR: 6
; COMPUTE_PGM_RSRC2:TRAP_HANDLER: 0
; COMPUTE_PGM_RSRC2:TGID_X_EN: 1
; COMPUTE_PGM_RSRC2:TGID_Y_EN: 1
; COMPUTE_PGM_RSRC2:TGID_Z_EN: 1
; COMPUTE_PGM_RSRC2:TIDIG_COMP_CNT: 1
	.section	.text._ZL26rocblas_syr2k_her2k_kernelIlLb0ELb0ELb1ELi32EPKdS1_PdEvbiT_T4_T5_S3_lS5_S3_lT6_S3_li,"axG",@progbits,_ZL26rocblas_syr2k_her2k_kernelIlLb0ELb0ELb1ELi32EPKdS1_PdEvbiT_T4_T5_S3_lS5_S3_lT6_S3_li,comdat
	.globl	_ZL26rocblas_syr2k_her2k_kernelIlLb0ELb0ELb1ELi32EPKdS1_PdEvbiT_T4_T5_S3_lS5_S3_lT6_S3_li ; -- Begin function _ZL26rocblas_syr2k_her2k_kernelIlLb0ELb0ELb1ELi32EPKdS1_PdEvbiT_T4_T5_S3_lS5_S3_lT6_S3_li
	.p2align	8
	.type	_ZL26rocblas_syr2k_her2k_kernelIlLb0ELb0ELb1ELi32EPKdS1_PdEvbiT_T4_T5_S3_lS5_S3_lT6_S3_li,@function
_ZL26rocblas_syr2k_her2k_kernelIlLb0ELb0ELb1ELi32EPKdS1_PdEvbiT_T4_T5_S3_lS5_S3_lT6_S3_li: ; @_ZL26rocblas_syr2k_her2k_kernelIlLb0ELb0ELb1ELi32EPKdS1_PdEvbiT_T4_T5_S3_lS5_S3_lT6_S3_li
; %bb.0:
	s_load_dwordx16 s[12:27], s[4:5], 0x8
	s_waitcnt lgkmcnt(0)
	s_load_dwordx2 s[10:11], s[14:15], 0x0
	s_waitcnt lgkmcnt(0)
	v_cmp_eq_f64_e64 s[0:1], s[10:11], 0
	s_and_b64 vcc, exec, s[0:1]
	s_cbranch_vccnz .LBB1077_10
; %bb.1:
	s_load_dwordx2 s[14:15], s[4:5], 0x0
	s_lshl_b32 s3, s7, 5
	s_lshl_b32 s2, s6, 5
	s_waitcnt lgkmcnt(0)
	s_and_b32 s0, 1, s14
	s_cmp_eq_u32 s0, 1
	s_cselect_b64 s[0:1], -1, 0
	s_and_b64 s[6:7], s[0:1], exec
	s_cselect_b32 s6, s2, s3
	s_cselect_b32 s7, s3, s2
	s_cmp_gt_i32 s6, s7
	v_cmp_lt_i64_e64 s[6:7], s[12:13], 1
	s_cselect_b64 s[28:29], -1, 0
	s_or_b64 s[6:7], s[28:29], s[6:7]
	s_and_b64 vcc, exec, s[6:7]
	s_cbranch_vccnz .LBB1077_10
; %bb.2:
	s_load_dwordx2 s[6:7], s[4:5], 0x58
	s_load_dwordx4 s[28:31], s[4:5], 0x48
	v_add_u32_e32 v4, s3, v1
	v_add_u32_e32 v6, s2, v0
	s_mov_b32 s2, s15
	s_waitcnt lgkmcnt(0)
	s_mul_i32 s3, s7, s8
	s_mul_hi_u32 s5, s6, s8
	s_mul_i32 s4, s6, s8
	s_add_i32 s5, s5, s3
	s_lshl_b64 s[4:5], s[4:5], 3
	s_add_u32 s9, s28, s4
	s_addc_u32 s14, s29, s5
	s_ashr_i32 s3, s15, 31
	v_mov_b32_e32 v7, 0
	v_ashrrev_i32_e32 v2, 31, v4
	v_cndmask_b32_e64 v8, v6, v4, s[0:1]
	v_cndmask_b32_e64 v9, v4, v6, s[0:1]
	v_cmp_gt_i64_e64 s[0:1], s[2:3], v[6:7]
	v_mov_b32_e32 v5, v7
	v_mul_lo_u32 v7, s30, v2
	v_mul_lo_u32 v11, s31, v4
	v_mad_u64_u32 v[2:3], s[4:5], s30, v4, 0
	v_cmp_gt_i64_e64 s[2:3], s[2:3], v[4:5]
	v_max_i32_e32 v5, v6, v4
	v_add3_u32 v3, v3, v7, v11
	v_lshlrev_b64 v[2:3], 3, v[2:3]
	v_cmp_gt_i32_e32 vcc, s15, v5
	v_cmp_le_i32_e64 s[4:5], v9, v8
	s_and_b64 s[6:7], s[4:5], vcc
	v_ashrrev_i32_e32 v7, 31, v6
	v_mov_b32_e32 v5, s14
	v_add_co_u32_e32 v9, vcc, s9, v2
	v_addc_co_u32_e32 v5, vcc, v5, v3, vcc
	v_lshlrev_b64 v[2:3], 3, v[6:7]
	v_mad_u64_u32 v[7:8], s[4:5], s24, v4, 0
	v_add_co_u32_e32 v2, vcc, v9, v2
	v_addc_co_u32_e32 v3, vcc, v5, v3, vcc
	v_mov_b32_e32 v5, v8
	v_mad_u64_u32 v[4:5], s[4:5], s25, v4, v[5:6]
	s_mul_i32 s9, s27, s8
	s_mul_hi_u32 s14, s26, s8
	v_mov_b32_e32 v8, v4
	s_add_i32 s5, s14, s9
	s_mul_i32 s4, s26, s8
	v_lshlrev_b64 v[4:5], 3, v[7:8]
	s_lshl_b64 s[4:5], s[4:5], 3
	v_mov_b32_e32 v7, s5
	v_add_co_u32_e32 v4, vcc, s4, v4
	v_addc_co_u32_e32 v5, vcc, v7, v5, vcc
	v_lshlrev_b32_e32 v7, 3, v0
	v_add_co_u32_e32 v4, vcc, v4, v7
	v_mad_u64_u32 v[7:8], s[4:5], s18, v6, 0
	v_addc_co_u32_e32 v5, vcc, 0, v5, vcc
	v_mov_b32_e32 v9, s23
	v_add_co_u32_e32 v4, vcc, s22, v4
	v_addc_co_u32_e32 v5, vcc, v9, v5, vcc
	v_mad_u64_u32 v[8:9], s[4:5], s19, v6, v[8:9]
	s_mul_i32 s9, s21, s8
	s_mul_hi_u32 s14, s20, s8
	s_add_i32 s5, s14, s9
	s_mul_i32 s4, s20, s8
	v_lshlrev_b64 v[6:7], 3, v[7:8]
	s_lshl_b64 s[4:5], s[4:5], 3
	v_mov_b32_e32 v8, s5
	v_add_co_u32_e32 v6, vcc, s4, v6
	v_lshlrev_b32_e32 v10, 3, v1
	v_addc_co_u32_e32 v7, vcc, v8, v7, vcc
	v_add_co_u32_e32 v6, vcc, v6, v10
	v_addc_co_u32_e32 v7, vcc, 0, v7, vcc
	v_lshlrev_b32_e32 v12, 8, v0
	v_or_b32_e32 v14, 0x2000, v10
	v_mov_b32_e32 v8, s17
	v_add_co_u32_e32 v6, vcc, s16, v6
	v_add_u32_e32 v13, v12, v10
	v_add_u32_e32 v15, v14, v12
	v_addc_co_u32_e32 v7, vcc, v8, v7, vcc
	s_mov_b64 s[8:9], 0
	v_add_u32_e32 v16, 0x800, v14
	v_add_u32_e32 v17, 0x1000, v14
	;; [unrolled: 1-line block ×3, first 2 shown]
	s_branch .LBB1077_4
.LBB1077_3:                             ;   in Loop: Header=BB1077_4 Depth=1
	s_or_b64 exec, exec, s[4:5]
	s_add_u32 s8, s8, 32
	v_add_co_u32_e32 v4, vcc, 0x100, v4
	v_mov_b32_e32 v8, s12
	s_addc_u32 s9, s9, 0
	v_addc_co_u32_e32 v5, vcc, 0, v5, vcc
	v_mov_b32_e32 v9, s13
	v_add_co_u32_e32 v6, vcc, 0x100, v6
	v_cmp_lt_i64_e64 s[4:5], s[8:9], v[8:9]
	v_addc_co_u32_e32 v7, vcc, 0, v7, vcc
	s_and_b64 vcc, exec, s[4:5]
	s_waitcnt vmcnt(0)
	s_barrier
	s_cbranch_vccz .LBB1077_10
.LBB1077_4:                             ; =>This Inner Loop Header: Depth=1
	v_mov_b32_e32 v9, s9
	v_add_co_u32_e32 v8, vcc, s8, v1
	v_addc_co_u32_e32 v9, vcc, 0, v9, vcc
	v_cmp_gt_i64_e32 vcc, s[12:13], v[8:9]
	v_mov_b32_e32 v8, 0
	v_mov_b32_e32 v10, 0
	;; [unrolled: 1-line block ×4, first 2 shown]
	s_and_b64 s[14:15], s[0:1], vcc
	s_and_saveexec_b64 s[4:5], s[14:15]
	s_cbranch_execz .LBB1077_6
; %bb.5:                                ;   in Loop: Header=BB1077_4 Depth=1
	global_load_dwordx2 v[10:11], v[6:7], off
.LBB1077_6:                             ;   in Loop: Header=BB1077_4 Depth=1
	s_or_b64 exec, exec, s[4:5]
	v_mov_b32_e32 v20, s9
	v_add_co_u32_e32 v19, vcc, s8, v0
	v_addc_co_u32_e32 v20, vcc, 0, v20, vcc
	v_cmp_gt_i64_e32 vcc, s[12:13], v[19:20]
	s_waitcnt vmcnt(0)
	ds_write_b64 v13, v[10:11]
	s_and_b64 s[14:15], s[2:3], vcc
	s_and_saveexec_b64 s[4:5], s[14:15]
	s_cbranch_execz .LBB1077_8
; %bb.7:                                ;   in Loop: Header=BB1077_4 Depth=1
	global_load_dwordx2 v[8:9], v[4:5], off
.LBB1077_8:                             ;   in Loop: Header=BB1077_4 Depth=1
	s_or_b64 exec, exec, s[4:5]
	s_waitcnt vmcnt(0)
	ds_write_b64 v15, v[8:9]
	s_waitcnt lgkmcnt(0)
	s_barrier
	s_and_saveexec_b64 s[4:5], s[6:7]
	s_cbranch_execz .LBB1077_3
; %bb.9:                                ;   in Loop: Header=BB1077_4 Depth=1
	ds_read2_b64 v[8:11], v14 offset1:32
	ds_read_b128 v[19:22], v12
	s_waitcnt lgkmcnt(0)
	v_fma_f64 v[8:9], v[19:20], v[8:9], 0
	v_fma_f64 v[23:24], v[21:22], v[10:11], v[8:9]
	ds_read_b128 v[8:11], v12 offset:16
	ds_read2_b64 v[19:22], v14 offset0:64 offset1:96
	s_waitcnt lgkmcnt(0)
	v_fma_f64 v[8:9], v[8:9], v[19:20], v[23:24]
	v_fma_f64 v[23:24], v[10:11], v[21:22], v[8:9]
	ds_read2_b64 v[8:11], v14 offset0:128 offset1:160
	ds_read_b128 v[19:22], v12 offset:32
	s_waitcnt lgkmcnt(0)
	v_fma_f64 v[8:9], v[19:20], v[8:9], v[23:24]
	v_fma_f64 v[23:24], v[21:22], v[10:11], v[8:9]
	ds_read_b128 v[8:11], v12 offset:48
	ds_read2_b64 v[19:22], v14 offset0:192 offset1:224
	s_waitcnt lgkmcnt(0)
	v_fma_f64 v[8:9], v[8:9], v[19:20], v[23:24]
	v_fma_f64 v[23:24], v[10:11], v[21:22], v[8:9]
	ds_read2_b64 v[8:11], v16 offset1:32
	ds_read_b128 v[19:22], v12 offset:64
	s_waitcnt lgkmcnt(0)
	v_fma_f64 v[8:9], v[19:20], v[8:9], v[23:24]
	v_fma_f64 v[23:24], v[21:22], v[10:11], v[8:9]
	ds_read_b128 v[8:11], v12 offset:80
	ds_read2_b64 v[19:22], v16 offset0:64 offset1:96
	s_waitcnt lgkmcnt(0)
	v_fma_f64 v[8:9], v[8:9], v[19:20], v[23:24]
	v_fma_f64 v[23:24], v[10:11], v[21:22], v[8:9]
	ds_read2_b64 v[8:11], v16 offset0:128 offset1:160
	ds_read_b128 v[19:22], v12 offset:96
	s_waitcnt lgkmcnt(0)
	v_fma_f64 v[8:9], v[19:20], v[8:9], v[23:24]
	v_fma_f64 v[23:24], v[21:22], v[10:11], v[8:9]
	ds_read_b128 v[8:11], v12 offset:112
	ds_read2_b64 v[19:22], v16 offset0:192 offset1:224
	s_waitcnt lgkmcnt(0)
	v_fma_f64 v[8:9], v[8:9], v[19:20], v[23:24]
	v_fma_f64 v[23:24], v[10:11], v[21:22], v[8:9]
	ds_read2_b64 v[8:11], v17 offset1:32
	ds_read_b128 v[19:22], v12 offset:128
	s_waitcnt lgkmcnt(0)
	v_fma_f64 v[8:9], v[19:20], v[8:9], v[23:24]
	v_fma_f64 v[23:24], v[21:22], v[10:11], v[8:9]
	ds_read_b128 v[8:11], v12 offset:144
	ds_read2_b64 v[19:22], v17 offset0:64 offset1:96
	s_waitcnt lgkmcnt(0)
	v_fma_f64 v[8:9], v[8:9], v[19:20], v[23:24]
	v_fma_f64 v[23:24], v[10:11], v[21:22], v[8:9]
	ds_read2_b64 v[8:11], v17 offset0:128 offset1:160
	ds_read_b128 v[19:22], v12 offset:160
	s_waitcnt lgkmcnt(0)
	v_fma_f64 v[8:9], v[19:20], v[8:9], v[23:24]
	v_fma_f64 v[23:24], v[21:22], v[10:11], v[8:9]
	ds_read_b128 v[8:11], v12 offset:176
	ds_read2_b64 v[19:22], v17 offset0:192 offset1:224
	s_waitcnt lgkmcnt(0)
	v_fma_f64 v[8:9], v[8:9], v[19:20], v[23:24]
	global_load_dwordx2 v[23:24], v[2:3], off
	v_fma_f64 v[25:26], v[10:11], v[21:22], v[8:9]
	ds_read2_b64 v[8:11], v18 offset1:32
	ds_read_b128 v[19:22], v12 offset:192
	s_waitcnt lgkmcnt(0)
	v_fma_f64 v[8:9], v[19:20], v[8:9], v[25:26]
	v_fma_f64 v[25:26], v[21:22], v[10:11], v[8:9]
	ds_read_b128 v[8:11], v12 offset:208
	ds_read2_b64 v[19:22], v18 offset0:64 offset1:96
	s_waitcnt lgkmcnt(0)
	v_fma_f64 v[8:9], v[8:9], v[19:20], v[25:26]
	v_fma_f64 v[25:26], v[10:11], v[21:22], v[8:9]
	ds_read2_b64 v[8:11], v18 offset0:128 offset1:160
	ds_read_b128 v[19:22], v12 offset:224
	s_waitcnt lgkmcnt(0)
	v_fma_f64 v[8:9], v[19:20], v[8:9], v[25:26]
	v_fma_f64 v[25:26], v[21:22], v[10:11], v[8:9]
	ds_read_b128 v[8:11], v12 offset:240
	ds_read2_b64 v[19:22], v18 offset0:192 offset1:224
	s_waitcnt lgkmcnt(0)
	v_fma_f64 v[8:9], v[8:9], v[19:20], v[25:26]
	v_fma_f64 v[8:9], v[10:11], v[21:22], v[8:9]
	s_waitcnt vmcnt(0)
	v_fma_f64 v[8:9], s[10:11], v[8:9], v[23:24]
	global_store_dwordx2 v[2:3], v[8:9], off
	s_branch .LBB1077_3
.LBB1077_10:
	s_endpgm
	.section	.rodata,"a",@progbits
	.p2align	6, 0x0
	.amdhsa_kernel _ZL26rocblas_syr2k_her2k_kernelIlLb0ELb0ELb1ELi32EPKdS1_PdEvbiT_T4_T5_S3_lS5_S3_lT6_S3_li
		.amdhsa_group_segment_fixed_size 16384
		.amdhsa_private_segment_fixed_size 0
		.amdhsa_kernarg_size 100
		.amdhsa_user_sgpr_count 6
		.amdhsa_user_sgpr_private_segment_buffer 1
		.amdhsa_user_sgpr_dispatch_ptr 0
		.amdhsa_user_sgpr_queue_ptr 0
		.amdhsa_user_sgpr_kernarg_segment_ptr 1
		.amdhsa_user_sgpr_dispatch_id 0
		.amdhsa_user_sgpr_flat_scratch_init 0
		.amdhsa_user_sgpr_private_segment_size 0
		.amdhsa_uses_dynamic_stack 0
		.amdhsa_system_sgpr_private_segment_wavefront_offset 0
		.amdhsa_system_sgpr_workgroup_id_x 1
		.amdhsa_system_sgpr_workgroup_id_y 1
		.amdhsa_system_sgpr_workgroup_id_z 1
		.amdhsa_system_sgpr_workgroup_info 0
		.amdhsa_system_vgpr_workitem_id 1
		.amdhsa_next_free_vgpr 29
		.amdhsa_next_free_sgpr 61
		.amdhsa_reserve_vcc 1
		.amdhsa_reserve_flat_scratch 0
		.amdhsa_float_round_mode_32 0
		.amdhsa_float_round_mode_16_64 0
		.amdhsa_float_denorm_mode_32 3
		.amdhsa_float_denorm_mode_16_64 3
		.amdhsa_dx10_clamp 1
		.amdhsa_ieee_mode 1
		.amdhsa_fp16_overflow 0
		.amdhsa_exception_fp_ieee_invalid_op 0
		.amdhsa_exception_fp_denorm_src 0
		.amdhsa_exception_fp_ieee_div_zero 0
		.amdhsa_exception_fp_ieee_overflow 0
		.amdhsa_exception_fp_ieee_underflow 0
		.amdhsa_exception_fp_ieee_inexact 0
		.amdhsa_exception_int_div_zero 0
	.end_amdhsa_kernel
	.section	.text._ZL26rocblas_syr2k_her2k_kernelIlLb0ELb0ELb1ELi32EPKdS1_PdEvbiT_T4_T5_S3_lS5_S3_lT6_S3_li,"axG",@progbits,_ZL26rocblas_syr2k_her2k_kernelIlLb0ELb0ELb1ELi32EPKdS1_PdEvbiT_T4_T5_S3_lS5_S3_lT6_S3_li,comdat
.Lfunc_end1077:
	.size	_ZL26rocblas_syr2k_her2k_kernelIlLb0ELb0ELb1ELi32EPKdS1_PdEvbiT_T4_T5_S3_lS5_S3_lT6_S3_li, .Lfunc_end1077-_ZL26rocblas_syr2k_her2k_kernelIlLb0ELb0ELb1ELi32EPKdS1_PdEvbiT_T4_T5_S3_lS5_S3_lT6_S3_li
                                        ; -- End function
	.set _ZL26rocblas_syr2k_her2k_kernelIlLb0ELb0ELb1ELi32EPKdS1_PdEvbiT_T4_T5_S3_lS5_S3_lT6_S3_li.num_vgpr, 27
	.set _ZL26rocblas_syr2k_her2k_kernelIlLb0ELb0ELb1ELi32EPKdS1_PdEvbiT_T4_T5_S3_lS5_S3_lT6_S3_li.num_agpr, 0
	.set _ZL26rocblas_syr2k_her2k_kernelIlLb0ELb0ELb1ELi32EPKdS1_PdEvbiT_T4_T5_S3_lS5_S3_lT6_S3_li.numbered_sgpr, 32
	.set _ZL26rocblas_syr2k_her2k_kernelIlLb0ELb0ELb1ELi32EPKdS1_PdEvbiT_T4_T5_S3_lS5_S3_lT6_S3_li.num_named_barrier, 0
	.set _ZL26rocblas_syr2k_her2k_kernelIlLb0ELb0ELb1ELi32EPKdS1_PdEvbiT_T4_T5_S3_lS5_S3_lT6_S3_li.private_seg_size, 0
	.set _ZL26rocblas_syr2k_her2k_kernelIlLb0ELb0ELb1ELi32EPKdS1_PdEvbiT_T4_T5_S3_lS5_S3_lT6_S3_li.uses_vcc, 1
	.set _ZL26rocblas_syr2k_her2k_kernelIlLb0ELb0ELb1ELi32EPKdS1_PdEvbiT_T4_T5_S3_lS5_S3_lT6_S3_li.uses_flat_scratch, 0
	.set _ZL26rocblas_syr2k_her2k_kernelIlLb0ELb0ELb1ELi32EPKdS1_PdEvbiT_T4_T5_S3_lS5_S3_lT6_S3_li.has_dyn_sized_stack, 0
	.set _ZL26rocblas_syr2k_her2k_kernelIlLb0ELb0ELb1ELi32EPKdS1_PdEvbiT_T4_T5_S3_lS5_S3_lT6_S3_li.has_recursion, 0
	.set _ZL26rocblas_syr2k_her2k_kernelIlLb0ELb0ELb1ELi32EPKdS1_PdEvbiT_T4_T5_S3_lS5_S3_lT6_S3_li.has_indirect_call, 0
	.section	.AMDGPU.csdata,"",@progbits
; Kernel info:
; codeLenInByte = 1348
; TotalNumSgprs: 36
; NumVgprs: 27
; ScratchSize: 0
; MemoryBound: 0
; FloatMode: 240
; IeeeMode: 1
; LDSByteSize: 16384 bytes/workgroup (compile time only)
; SGPRBlocks: 8
; VGPRBlocks: 7
; NumSGPRsForWavesPerEU: 65
; NumVGPRsForWavesPerEU: 29
; Occupancy: 8
; WaveLimiterHint : 0
; COMPUTE_PGM_RSRC2:SCRATCH_EN: 0
; COMPUTE_PGM_RSRC2:USER_SGPR: 6
; COMPUTE_PGM_RSRC2:TRAP_HANDLER: 0
; COMPUTE_PGM_RSRC2:TGID_X_EN: 1
; COMPUTE_PGM_RSRC2:TGID_Y_EN: 1
; COMPUTE_PGM_RSRC2:TGID_Z_EN: 1
; COMPUTE_PGM_RSRC2:TIDIG_COMP_CNT: 1
	.section	.text._ZL26rocblas_syr2k_her2k_kernelIlLb0ELb0ELb0ELi32E19rocblas_complex_numIfEPKS1_PS1_EvbiT_T4_T5_S5_lS7_S5_lT6_S5_li,"axG",@progbits,_ZL26rocblas_syr2k_her2k_kernelIlLb0ELb0ELb0ELi32E19rocblas_complex_numIfEPKS1_PS1_EvbiT_T4_T5_S5_lS7_S5_lT6_S5_li,comdat
	.globl	_ZL26rocblas_syr2k_her2k_kernelIlLb0ELb0ELb0ELi32E19rocblas_complex_numIfEPKS1_PS1_EvbiT_T4_T5_S5_lS7_S5_lT6_S5_li ; -- Begin function _ZL26rocblas_syr2k_her2k_kernelIlLb0ELb0ELb0ELi32E19rocblas_complex_numIfEPKS1_PS1_EvbiT_T4_T5_S5_lS7_S5_lT6_S5_li
	.p2align	8
	.type	_ZL26rocblas_syr2k_her2k_kernelIlLb0ELb0ELb0ELi32E19rocblas_complex_numIfEPKS1_PS1_EvbiT_T4_T5_S5_lS7_S5_lT6_S5_li,@function
_ZL26rocblas_syr2k_her2k_kernelIlLb0ELb0ELb0ELi32E19rocblas_complex_numIfEPKS1_PS1_EvbiT_T4_T5_S5_lS7_S5_lT6_S5_li: ; @_ZL26rocblas_syr2k_her2k_kernelIlLb0ELb0ELb0ELi32E19rocblas_complex_numIfEPKS1_PS1_EvbiT_T4_T5_S5_lS7_S5_lT6_S5_li
; %bb.0:
	s_load_dwordx2 s[10:11], s[4:5], 0x10
	s_waitcnt lgkmcnt(0)
	v_cmp_eq_f32_e64 s[0:1], s10, 0
	v_cmp_eq_f32_e64 s[2:3], s11, 0
	s_and_b64 s[0:1], s[0:1], s[2:3]
	s_and_b64 vcc, exec, s[0:1]
	s_cbranch_vccnz .LBB1078_10
; %bb.1:
	s_load_dwordx4 s[28:31], s[4:5], 0x0
	s_lshl_b32 s3, s7, 5
	s_lshl_b32 s2, s6, 5
	s_waitcnt lgkmcnt(0)
	s_and_b32 s0, 1, s28
	s_cmp_eq_u32 s0, 1
	s_cselect_b64 s[0:1], -1, 0
	s_and_b64 s[6:7], s[0:1], exec
	s_cselect_b32 s6, s2, s3
	s_cselect_b32 s7, s3, s2
	s_cmp_gt_i32 s6, s7
	v_cmp_lt_i64_e64 s[6:7], s[30:31], 1
	s_cselect_b64 s[12:13], -1, 0
	s_or_b64 s[6:7], s[12:13], s[6:7]
	s_and_b64 vcc, exec, s[6:7]
	s_cbranch_vccnz .LBB1078_10
; %bb.2:
	s_load_dwordx2 s[6:7], s[4:5], 0x58
	s_load_dwordx16 s[12:27], s[4:5], 0x18
	v_add_u32_e32 v2, s3, v1
	v_lshlrev_b32_e32 v16, 8, v0
	v_lshlrev_b32_e32 v6, 3, v1
	s_waitcnt lgkmcnt(0)
	s_mul_i32 s3, s7, s8
	s_mul_hi_u32 s5, s6, s8
	s_mul_i32 s4, s6, s8
	s_add_i32 s5, s5, s3
	s_lshl_b64 s[4:5], s[4:5], 3
	s_add_u32 s9, s24, s4
	v_add_u32_e32 v17, v16, v6
	v_or_b32_e32 v18, 0x2000, v6
	v_ashrrev_i32_e32 v6, 31, v2
	s_addc_u32 s24, s25, s5
	v_mul_lo_u32 v11, s26, v6
	v_mul_lo_u32 v12, s27, v2
	v_mad_u64_u32 v[6:7], s[4:5], s26, v2, 0
	v_add_u32_e32 v4, s2, v0
	v_cndmask_b32_e64 v8, v4, v2, s[0:1]
	v_add3_u32 v7, v7, v11, v12
	v_cndmask_b32_e64 v9, v2, v4, s[0:1]
	v_max_i32_e32 v10, v4, v2
	v_lshlrev_b64 v[6:7], 3, v[6:7]
	v_cmp_gt_i32_e32 vcc, s29, v10
	v_cmp_le_i32_e64 s[4:5], v9, v8
	s_and_b64 s[6:7], s[4:5], vcc
	v_ashrrev_i32_e32 v9, 31, v4
	v_mov_b32_e32 v8, v4
	v_mov_b32_e32 v10, s24
	v_add_co_u32_e32 v11, vcc, s9, v6
	v_addc_co_u32_e32 v12, vcc, v10, v7, vcc
	v_lshlrev_b64 v[6:7], 3, v[8:9]
	v_mad_u64_u32 v[8:9], s[4:5], s20, v0, 0
	v_add_co_u32_e32 v10, vcc, v11, v6
	v_mov_b32_e32 v6, v9
	v_addc_co_u32_e32 v11, vcc, v12, v7, vcc
	v_mad_u64_u32 v[6:7], s[4:5], s21, v0, v[6:7]
	s_mul_i32 s9, s23, s8
	s_mul_hi_u32 s23, s22, s8
	v_mov_b32_e32 v9, v6
	v_mov_b32_e32 v5, 0
	s_add_i32 s5, s23, s9
	s_mul_i32 s4, s22, s8
	v_lshlrev_b64 v[6:7], 3, v[8:9]
	s_ashr_i32 s3, s29, 31
	s_mov_b32 s2, s29
	v_mov_b32_e32 v3, v5
	s_lshl_b64 s[4:5], s[4:5], 3
	v_cmp_gt_i64_e64 s[0:1], s[2:3], v[4:5]
	v_cmp_gt_i64_e64 s[2:3], s[2:3], v[2:3]
	v_mov_b32_e32 v8, s5
	v_add_co_u32_e32 v6, vcc, s4, v6
	v_lshlrev_b64 v[2:3], 3, v[2:3]
	v_addc_co_u32_e32 v7, vcc, v8, v7, vcc
	v_add_co_u32_e32 v2, vcc, v6, v2
	v_addc_co_u32_e32 v3, vcc, v7, v3, vcc
	v_mov_b32_e32 v6, s19
	v_add_co_u32_e32 v2, vcc, s18, v2
	v_addc_co_u32_e32 v3, vcc, v6, v3, vcc
	v_add_co_u32_e32 v12, vcc, 4, v2
	v_addc_co_u32_e32 v13, vcc, 0, v3, vcc
	v_mad_u64_u32 v[2:3], s[4:5], s14, v1, 0
	s_mul_i32 s9, s17, s8
	s_mul_hi_u32 s17, s16, s8
	v_mad_u64_u32 v[6:7], s[4:5], s15, v1, v[3:4]
	s_add_i32 s5, s17, s9
	s_mul_i32 s4, s16, s8
	v_mov_b32_e32 v3, v6
	v_lshlrev_b64 v[2:3], 3, v[2:3]
	s_lshl_b64 s[4:5], s[4:5], 3
	v_mov_b32_e32 v6, s5
	v_add_co_u32_e32 v7, vcc, s4, v2
	v_addc_co_u32_e32 v6, vcc, v6, v3, vcc
	v_lshlrev_b64 v[2:3], 3, v[4:5]
	v_mov_b32_e32 v4, s13
	v_add_co_u32_e32 v2, vcc, v7, v2
	v_addc_co_u32_e32 v3, vcc, v6, v3, vcc
	v_add_co_u32_e32 v2, vcc, s12, v2
	v_addc_co_u32_e32 v3, vcc, v4, v3, vcc
	v_add_co_u32_e32 v14, vcc, 4, v2
	v_add_u32_e32 v19, v18, v16
	s_lshl_b64 s[18:19], s[20:21], 8
	v_addc_co_u32_e32 v15, vcc, 0, v3, vcc
	s_lshl_b64 s[8:9], s[14:15], 8
	s_mov_b64 s[12:13], 0
	s_branch .LBB1078_4
.LBB1078_3:                             ;   in Loop: Header=BB1078_4 Depth=1
	s_or_b64 exec, exec, s[4:5]
	v_mov_b32_e32 v2, s19
	v_add_co_u32_e32 v12, vcc, s18, v12
	s_add_u32 s12, s12, 32
	v_addc_co_u32_e32 v13, vcc, v13, v2, vcc
	v_mov_b32_e32 v2, s30
	s_addc_u32 s13, s13, 0
	v_mov_b32_e32 v3, s31
	v_cmp_lt_i64_e32 vcc, s[12:13], v[2:3]
	v_mov_b32_e32 v4, s9
	v_add_co_u32_e64 v14, s[4:5], s8, v14
	v_addc_co_u32_e64 v15, s[4:5], v15, v4, s[4:5]
	s_waitcnt vmcnt(0)
	s_barrier
	s_cbranch_vccz .LBB1078_10
.LBB1078_4:                             ; =>This Inner Loop Header: Depth=1
	v_mov_b32_e32 v3, s13
	v_add_co_u32_e32 v2, vcc, s12, v1
	v_addc_co_u32_e32 v3, vcc, 0, v3, vcc
	v_cmp_gt_i64_e32 vcc, s[30:31], v[2:3]
	v_mov_b32_e32 v2, 0
	s_and_b64 s[14:15], s[0:1], vcc
	v_mov_b32_e32 v3, 0
	s_and_saveexec_b64 s[4:5], s[14:15]
	s_cbranch_execz .LBB1078_6
; %bb.5:                                ;   in Loop: Header=BB1078_4 Depth=1
	global_load_dwordx2 v[2:3], v[14:15], off offset:-4
.LBB1078_6:                             ;   in Loop: Header=BB1078_4 Depth=1
	s_or_b64 exec, exec, s[4:5]
	v_mov_b32_e32 v5, s13
	v_add_co_u32_e32 v4, vcc, s12, v0
	v_addc_co_u32_e32 v5, vcc, 0, v5, vcc
	v_cmp_gt_i64_e32 vcc, s[30:31], v[4:5]
	s_waitcnt vmcnt(0)
	ds_write_b64 v17, v[2:3]
	s_and_b64 s[14:15], s[2:3], vcc
	v_mov_b32_e32 v2, 0
	v_mov_b32_e32 v3, 0
	s_and_saveexec_b64 s[4:5], s[14:15]
	s_cbranch_execz .LBB1078_8
; %bb.7:                                ;   in Loop: Header=BB1078_4 Depth=1
	global_load_dwordx2 v[2:3], v[12:13], off offset:-4
.LBB1078_8:                             ;   in Loop: Header=BB1078_4 Depth=1
	s_or_b64 exec, exec, s[4:5]
	s_waitcnt vmcnt(0)
	ds_write_b64 v19, v[2:3]
	s_waitcnt lgkmcnt(0)
	s_barrier
	s_and_saveexec_b64 s[4:5], s[6:7]
	s_cbranch_execz .LBB1078_3
; %bb.9:                                ;   in Loop: Header=BB1078_4 Depth=1
	ds_read2_b64 v[2:5], v18 offset1:32
	ds_read_b128 v[6:9], v16
	ds_read_b128 v[20:23], v16 offset:16
	s_waitcnt lgkmcnt(1)
	v_mul_f32_e32 v24, v3, v7
	v_mul_f32_e32 v25, v2, v7
	v_fma_f32 v24, v2, v6, -v24
	v_mul_f32_e32 v2, v5, v9
	v_mul_f32_e32 v27, v4, v9
	v_fmac_f32_e32 v25, v3, v6
	v_fma_f32 v26, v4, v8, -v2
	v_fmac_f32_e32 v27, v5, v8
	ds_read2_b64 v[2:5], v18 offset0:64 offset1:96
	s_waitcnt lgkmcnt(0)
	v_mul_f32_e32 v6, v3, v21
	v_fma_f32 v28, v2, v20, -v6
	v_mul_f32_e32 v21, v2, v21
	v_mul_f32_e32 v2, v5, v23
	;; [unrolled: 1-line block ×3, first 2 shown]
	v_fmac_f32_e32 v21, v3, v20
	v_fma_f32 v20, v4, v22, -v2
	v_fmac_f32_e32 v23, v5, v22
	ds_read_b128 v[2:5], v16 offset:32
	ds_read2_b64 v[6:9], v18 offset0:128 offset1:160
	s_waitcnt lgkmcnt(0)
	v_mul_f32_e32 v22, v7, v3
	v_mul_f32_e32 v29, v6, v3
	v_fma_f32 v22, v6, v2, -v22
	v_fmac_f32_e32 v29, v7, v2
	v_add_f32_e32 v6, 0, v24
	v_add_f32_e32 v7, 0, v25
	;; [unrolled: 1-line block ×4, first 2 shown]
	v_mul_f32_e32 v2, v9, v5
	v_mul_f32_e32 v31, v8, v5
	v_add_f32_e32 v6, v6, v28
	v_add_f32_e32 v7, v7, v21
	v_fma_f32 v30, v8, v4, -v2
	v_fmac_f32_e32 v31, v9, v4
	ds_read_b128 v[2:5], v16 offset:48
	v_add_f32_e32 v20, v6, v20
	v_add_f32_e32 v21, v7, v23
	ds_read2_b64 v[6:9], v18 offset0:192 offset1:224
	v_add_f32_e32 v20, v20, v22
	v_add_u32_e32 v26, 0x800, v18
	v_add_f32_e32 v21, v21, v29
	v_add_f32_e32 v20, v20, v30
	s_waitcnt lgkmcnt(0)
	v_mul_f32_e32 v22, v7, v3
	v_mul_f32_e32 v23, v6, v3
	v_fma_f32 v22, v6, v2, -v22
	v_fmac_f32_e32 v23, v7, v2
	v_mul_f32_e32 v2, v9, v5
	v_mul_f32_e32 v25, v8, v5
	v_fma_f32 v24, v8, v4, -v2
	v_fmac_f32_e32 v25, v9, v4
	ds_read_b128 v[2:5], v16 offset:64
	ds_read2_b64 v[6:9], v26 offset1:32
	v_add_f32_e32 v21, v21, v31
	v_add_f32_e32 v20, v20, v22
	v_add_f32_e32 v21, v21, v23
	v_add_f32_e32 v21, v21, v25
	s_waitcnt lgkmcnt(0)
	v_mul_f32_e32 v22, v7, v3
	v_mul_f32_e32 v23, v6, v3
	v_fma_f32 v22, v6, v2, -v22
	v_fmac_f32_e32 v23, v7, v2
	v_mul_f32_e32 v2, v9, v5
	v_mul_f32_e32 v25, v8, v5
	v_add_f32_e32 v20, v20, v24
	v_fma_f32 v24, v8, v4, -v2
	v_fmac_f32_e32 v25, v9, v4
	ds_read_b128 v[2:5], v16 offset:80
	ds_read2_b64 v[6:9], v26 offset0:64 offset1:96
	v_add_f32_e32 v20, v20, v22
	v_add_f32_e32 v21, v21, v23
	v_add_f32_e32 v21, v21, v25
	v_add_f32_e32 v20, v20, v24
	s_waitcnt lgkmcnt(0)
	v_mul_f32_e32 v22, v7, v3
	v_mul_f32_e32 v23, v6, v3
	v_fma_f32 v22, v6, v2, -v22
	v_fmac_f32_e32 v23, v7, v2
	v_mul_f32_e32 v2, v9, v5
	v_mul_f32_e32 v25, v8, v5
	v_fma_f32 v24, v8, v4, -v2
	v_fmac_f32_e32 v25, v9, v4
	ds_read_b128 v[2:5], v16 offset:96
	ds_read2_b64 v[6:9], v26 offset0:128 offset1:160
	v_add_f32_e32 v20, v20, v22
	v_add_f32_e32 v21, v21, v23
	v_add_f32_e32 v21, v21, v25
	v_add_f32_e32 v20, v20, v24
	s_waitcnt lgkmcnt(0)
	v_mul_f32_e32 v22, v7, v3
	v_mul_f32_e32 v23, v6, v3
	v_fma_f32 v22, v6, v2, -v22
	v_fmac_f32_e32 v23, v7, v2
	v_mul_f32_e32 v2, v9, v5
	v_mul_f32_e32 v25, v8, v5
	;; [unrolled: 15-line block ×3, first 2 shown]
	v_add_u32_e32 v20, 0x1000, v18
	v_fma_f32 v25, v8, v4, -v2
	v_fmac_f32_e32 v26, v9, v4
	ds_read_b128 v[2:5], v16 offset:128
	ds_read2_b64 v[6:9], v20 offset1:32
	v_add_f32_e32 v22, v22, v23
	v_add_f32_e32 v21, v21, v24
	;; [unrolled: 1-line block ×4, first 2 shown]
	s_waitcnt lgkmcnt(0)
	v_mul_f32_e32 v23, v7, v3
	v_mul_f32_e32 v24, v6, v3
	v_fma_f32 v23, v6, v2, -v23
	v_fmac_f32_e32 v24, v7, v2
	v_mul_f32_e32 v2, v9, v5
	v_mul_f32_e32 v26, v8, v5
	v_fma_f32 v25, v8, v4, -v2
	v_fmac_f32_e32 v26, v9, v4
	ds_read_b128 v[2:5], v16 offset:144
	ds_read2_b64 v[6:9], v20 offset0:64 offset1:96
	v_add_f32_e32 v22, v22, v23
	v_add_f32_e32 v21, v21, v24
	;; [unrolled: 1-line block ×4, first 2 shown]
	s_waitcnt lgkmcnt(0)
	v_mul_f32_e32 v23, v7, v3
	v_mul_f32_e32 v24, v6, v3
	v_fma_f32 v23, v6, v2, -v23
	v_fmac_f32_e32 v24, v7, v2
	v_mul_f32_e32 v2, v9, v5
	v_mul_f32_e32 v26, v8, v5
	v_fma_f32 v25, v8, v4, -v2
	v_fmac_f32_e32 v26, v9, v4
	ds_read_b128 v[2:5], v16 offset:160
	ds_read2_b64 v[6:9], v20 offset0:128 offset1:160
	v_add_f32_e32 v21, v21, v24
	v_add_f32_e32 v22, v22, v23
	;; [unrolled: 1-line block ×4, first 2 shown]
	s_waitcnt lgkmcnt(0)
	v_mul_f32_e32 v21, v7, v3
	v_fma_f32 v25, v6, v2, -v21
	global_load_dwordx2 v[21:22], v[10:11], off
	v_mul_f32_e32 v26, v6, v3
	v_fmac_f32_e32 v26, v7, v2
	v_mul_f32_e32 v2, v9, v5
	v_mul_f32_e32 v28, v8, v5
	v_fma_f32 v27, v8, v4, -v2
	v_fmac_f32_e32 v28, v9, v4
	ds_read_b128 v[2:5], v16 offset:176
	ds_read2_b64 v[6:9], v20 offset0:192 offset1:224
	v_add_f32_e32 v20, v23, v25
	v_add_f32_e32 v23, v24, v26
	;; [unrolled: 1-line block ×4, first 2 shown]
	s_waitcnt lgkmcnt(0)
	v_mul_f32_e32 v24, v7, v3
	v_mul_f32_e32 v25, v6, v3
	v_fma_f32 v24, v6, v2, -v24
	v_fmac_f32_e32 v25, v7, v2
	v_mul_f32_e32 v2, v9, v5
	v_mul_f32_e32 v27, v8, v5
	v_add_u32_e32 v28, 0x1800, v18
	v_fma_f32 v26, v8, v4, -v2
	v_fmac_f32_e32 v27, v9, v4
	ds_read_b128 v[2:5], v16 offset:192
	ds_read2_b64 v[6:9], v28 offset1:32
	v_add_f32_e32 v20, v20, v24
	v_add_f32_e32 v23, v23, v25
	v_add_f32_e32 v23, v23, v27
	v_add_f32_e32 v20, v20, v26
	s_waitcnt lgkmcnt(0)
	v_mul_f32_e32 v24, v7, v3
	v_mul_f32_e32 v25, v6, v3
	v_fma_f32 v24, v6, v2, -v24
	v_fmac_f32_e32 v25, v7, v2
	v_mul_f32_e32 v2, v9, v5
	v_mul_f32_e32 v27, v8, v5
	v_fma_f32 v26, v8, v4, -v2
	v_fmac_f32_e32 v27, v9, v4
	ds_read_b128 v[2:5], v16 offset:208
	ds_read2_b64 v[6:9], v28 offset0:64 offset1:96
	v_add_f32_e32 v20, v20, v24
	v_add_f32_e32 v23, v23, v25
	v_add_f32_e32 v23, v23, v27
	v_add_f32_e32 v20, v20, v26
	s_waitcnt lgkmcnt(0)
	v_mul_f32_e32 v24, v7, v3
	v_mul_f32_e32 v25, v6, v3
	v_fma_f32 v24, v6, v2, -v24
	v_fmac_f32_e32 v25, v7, v2
	v_mul_f32_e32 v2, v9, v5
	v_mul_f32_e32 v27, v8, v5
	v_fma_f32 v26, v8, v4, -v2
	v_fmac_f32_e32 v27, v9, v4
	ds_read_b128 v[2:5], v16 offset:224
	ds_read2_b64 v[6:9], v28 offset0:128 offset1:160
	;; [unrolled: 15-line block ×3, first 2 shown]
	v_add_f32_e32 v20, v20, v24
	v_add_f32_e32 v23, v23, v25
	v_add_f32_e32 v20, v20, v26
	v_add_f32_e32 v23, v23, v27
	s_waitcnt lgkmcnt(0)
	v_mul_f32_e32 v24, v7, v3
	v_mul_f32_e32 v3, v6, v3
	v_fma_f32 v24, v6, v2, -v24
	v_fmac_f32_e32 v3, v7, v2
	v_mul_f32_e32 v6, v9, v5
	v_mul_f32_e32 v5, v8, v5
	v_add_f32_e32 v2, v20, v24
	v_add_f32_e32 v3, v23, v3
	v_fma_f32 v6, v8, v4, -v6
	v_fmac_f32_e32 v5, v9, v4
	v_add_f32_e32 v2, v2, v6
	v_add_f32_e32 v3, v3, v5
	v_mul_f32_e32 v4, s11, v3
	v_mul_f32_e32 v5, s11, v2
	v_fma_f32 v4, s10, v2, -v4
	v_fmac_f32_e32 v5, s10, v3
	s_waitcnt vmcnt(0)
	v_add_f32_e32 v2, v21, v4
	v_add_f32_e32 v3, v22, v5
	global_store_dwordx2 v[10:11], v[2:3], off
	s_branch .LBB1078_3
.LBB1078_10:
	s_endpgm
	.section	.rodata,"a",@progbits
	.p2align	6, 0x0
	.amdhsa_kernel _ZL26rocblas_syr2k_her2k_kernelIlLb0ELb0ELb0ELi32E19rocblas_complex_numIfEPKS1_PS1_EvbiT_T4_T5_S5_lS7_S5_lT6_S5_li
		.amdhsa_group_segment_fixed_size 16384
		.amdhsa_private_segment_fixed_size 0
		.amdhsa_kernarg_size 100
		.amdhsa_user_sgpr_count 6
		.amdhsa_user_sgpr_private_segment_buffer 1
		.amdhsa_user_sgpr_dispatch_ptr 0
		.amdhsa_user_sgpr_queue_ptr 0
		.amdhsa_user_sgpr_kernarg_segment_ptr 1
		.amdhsa_user_sgpr_dispatch_id 0
		.amdhsa_user_sgpr_flat_scratch_init 0
		.amdhsa_user_sgpr_private_segment_size 0
		.amdhsa_uses_dynamic_stack 0
		.amdhsa_system_sgpr_private_segment_wavefront_offset 0
		.amdhsa_system_sgpr_workgroup_id_x 1
		.amdhsa_system_sgpr_workgroup_id_y 1
		.amdhsa_system_sgpr_workgroup_id_z 1
		.amdhsa_system_sgpr_workgroup_info 0
		.amdhsa_system_vgpr_workitem_id 1
		.amdhsa_next_free_vgpr 32
		.amdhsa_next_free_sgpr 61
		.amdhsa_reserve_vcc 1
		.amdhsa_reserve_flat_scratch 0
		.amdhsa_float_round_mode_32 0
		.amdhsa_float_round_mode_16_64 0
		.amdhsa_float_denorm_mode_32 3
		.amdhsa_float_denorm_mode_16_64 3
		.amdhsa_dx10_clamp 1
		.amdhsa_ieee_mode 1
		.amdhsa_fp16_overflow 0
		.amdhsa_exception_fp_ieee_invalid_op 0
		.amdhsa_exception_fp_denorm_src 0
		.amdhsa_exception_fp_ieee_div_zero 0
		.amdhsa_exception_fp_ieee_overflow 0
		.amdhsa_exception_fp_ieee_underflow 0
		.amdhsa_exception_fp_ieee_inexact 0
		.amdhsa_exception_int_div_zero 0
	.end_amdhsa_kernel
	.section	.text._ZL26rocblas_syr2k_her2k_kernelIlLb0ELb0ELb0ELi32E19rocblas_complex_numIfEPKS1_PS1_EvbiT_T4_T5_S5_lS7_S5_lT6_S5_li,"axG",@progbits,_ZL26rocblas_syr2k_her2k_kernelIlLb0ELb0ELb0ELi32E19rocblas_complex_numIfEPKS1_PS1_EvbiT_T4_T5_S5_lS7_S5_lT6_S5_li,comdat
.Lfunc_end1078:
	.size	_ZL26rocblas_syr2k_her2k_kernelIlLb0ELb0ELb0ELi32E19rocblas_complex_numIfEPKS1_PS1_EvbiT_T4_T5_S5_lS7_S5_lT6_S5_li, .Lfunc_end1078-_ZL26rocblas_syr2k_her2k_kernelIlLb0ELb0ELb0ELi32E19rocblas_complex_numIfEPKS1_PS1_EvbiT_T4_T5_S5_lS7_S5_lT6_S5_li
                                        ; -- End function
	.set _ZL26rocblas_syr2k_her2k_kernelIlLb0ELb0ELb0ELi32E19rocblas_complex_numIfEPKS1_PS1_EvbiT_T4_T5_S5_lS7_S5_lT6_S5_li.num_vgpr, 32
	.set _ZL26rocblas_syr2k_her2k_kernelIlLb0ELb0ELb0ELi32E19rocblas_complex_numIfEPKS1_PS1_EvbiT_T4_T5_S5_lS7_S5_lT6_S5_li.num_agpr, 0
	.set _ZL26rocblas_syr2k_her2k_kernelIlLb0ELb0ELb0ELi32E19rocblas_complex_numIfEPKS1_PS1_EvbiT_T4_T5_S5_lS7_S5_lT6_S5_li.numbered_sgpr, 32
	.set _ZL26rocblas_syr2k_her2k_kernelIlLb0ELb0ELb0ELi32E19rocblas_complex_numIfEPKS1_PS1_EvbiT_T4_T5_S5_lS7_S5_lT6_S5_li.num_named_barrier, 0
	.set _ZL26rocblas_syr2k_her2k_kernelIlLb0ELb0ELb0ELi32E19rocblas_complex_numIfEPKS1_PS1_EvbiT_T4_T5_S5_lS7_S5_lT6_S5_li.private_seg_size, 0
	.set _ZL26rocblas_syr2k_her2k_kernelIlLb0ELb0ELb0ELi32E19rocblas_complex_numIfEPKS1_PS1_EvbiT_T4_T5_S5_lS7_S5_lT6_S5_li.uses_vcc, 1
	.set _ZL26rocblas_syr2k_her2k_kernelIlLb0ELb0ELb0ELi32E19rocblas_complex_numIfEPKS1_PS1_EvbiT_T4_T5_S5_lS7_S5_lT6_S5_li.uses_flat_scratch, 0
	.set _ZL26rocblas_syr2k_her2k_kernelIlLb0ELb0ELb0ELi32E19rocblas_complex_numIfEPKS1_PS1_EvbiT_T4_T5_S5_lS7_S5_lT6_S5_li.has_dyn_sized_stack, 0
	.set _ZL26rocblas_syr2k_her2k_kernelIlLb0ELb0ELb0ELi32E19rocblas_complex_numIfEPKS1_PS1_EvbiT_T4_T5_S5_lS7_S5_lT6_S5_li.has_recursion, 0
	.set _ZL26rocblas_syr2k_her2k_kernelIlLb0ELb0ELb0ELi32E19rocblas_complex_numIfEPKS1_PS1_EvbiT_T4_T5_S5_lS7_S5_lT6_S5_li.has_indirect_call, 0
	.section	.AMDGPU.csdata,"",@progbits
; Kernel info:
; codeLenInByte = 2052
; TotalNumSgprs: 36
; NumVgprs: 32
; ScratchSize: 0
; MemoryBound: 0
; FloatMode: 240
; IeeeMode: 1
; LDSByteSize: 16384 bytes/workgroup (compile time only)
; SGPRBlocks: 8
; VGPRBlocks: 7
; NumSGPRsForWavesPerEU: 65
; NumVGPRsForWavesPerEU: 32
; Occupancy: 8
; WaveLimiterHint : 0
; COMPUTE_PGM_RSRC2:SCRATCH_EN: 0
; COMPUTE_PGM_RSRC2:USER_SGPR: 6
; COMPUTE_PGM_RSRC2:TRAP_HANDLER: 0
; COMPUTE_PGM_RSRC2:TGID_X_EN: 1
; COMPUTE_PGM_RSRC2:TGID_Y_EN: 1
; COMPUTE_PGM_RSRC2:TGID_Z_EN: 1
; COMPUTE_PGM_RSRC2:TIDIG_COMP_CNT: 1
	.section	.text._ZL26rocblas_syr2k_her2k_kernelIlLb0ELb0ELb1ELi32E19rocblas_complex_numIfEPKS1_PS1_EvbiT_T4_T5_S5_lS7_S5_lT6_S5_li,"axG",@progbits,_ZL26rocblas_syr2k_her2k_kernelIlLb0ELb0ELb1ELi32E19rocblas_complex_numIfEPKS1_PS1_EvbiT_T4_T5_S5_lS7_S5_lT6_S5_li,comdat
	.globl	_ZL26rocblas_syr2k_her2k_kernelIlLb0ELb0ELb1ELi32E19rocblas_complex_numIfEPKS1_PS1_EvbiT_T4_T5_S5_lS7_S5_lT6_S5_li ; -- Begin function _ZL26rocblas_syr2k_her2k_kernelIlLb0ELb0ELb1ELi32E19rocblas_complex_numIfEPKS1_PS1_EvbiT_T4_T5_S5_lS7_S5_lT6_S5_li
	.p2align	8
	.type	_ZL26rocblas_syr2k_her2k_kernelIlLb0ELb0ELb1ELi32E19rocblas_complex_numIfEPKS1_PS1_EvbiT_T4_T5_S5_lS7_S5_lT6_S5_li,@function
_ZL26rocblas_syr2k_her2k_kernelIlLb0ELb0ELb1ELi32E19rocblas_complex_numIfEPKS1_PS1_EvbiT_T4_T5_S5_lS7_S5_lT6_S5_li: ; @_ZL26rocblas_syr2k_her2k_kernelIlLb0ELb0ELb1ELi32E19rocblas_complex_numIfEPKS1_PS1_EvbiT_T4_T5_S5_lS7_S5_lT6_S5_li
; %bb.0:
	s_load_dwordx2 s[10:11], s[4:5], 0x10
	s_waitcnt lgkmcnt(0)
	v_cmp_eq_f32_e64 s[0:1], s10, 0
	v_cmp_eq_f32_e64 s[2:3], s11, 0
	s_and_b64 s[0:1], s[0:1], s[2:3]
	s_and_b64 vcc, exec, s[0:1]
	s_cbranch_vccnz .LBB1079_10
; %bb.1:
	s_load_dwordx4 s[28:31], s[4:5], 0x0
	s_lshl_b32 s3, s7, 5
	s_lshl_b32 s2, s6, 5
	s_waitcnt lgkmcnt(0)
	s_and_b32 s0, 1, s28
	s_cmp_eq_u32 s0, 1
	s_cselect_b64 s[0:1], -1, 0
	s_and_b64 s[6:7], s[0:1], exec
	s_cselect_b32 s6, s2, s3
	s_cselect_b32 s7, s3, s2
	s_cmp_gt_i32 s6, s7
	v_cmp_lt_i64_e64 s[6:7], s[30:31], 1
	s_cselect_b64 s[12:13], -1, 0
	s_or_b64 s[6:7], s[12:13], s[6:7]
	s_and_b64 vcc, exec, s[6:7]
	s_cbranch_vccnz .LBB1079_10
; %bb.2:
	s_load_dwordx2 s[6:7], s[4:5], 0x58
	s_load_dwordx16 s[12:27], s[4:5], 0x18
	v_add_u32_e32 v2, s3, v1
	v_add_u32_e32 v4, s2, v0
	s_mov_b32 s2, s29
	s_waitcnt lgkmcnt(0)
	s_mul_i32 s3, s7, s8
	s_mul_hi_u32 s5, s6, s8
	s_mul_i32 s4, s6, s8
	s_add_i32 s5, s5, s3
	s_lshl_b64 s[4:5], s[4:5], 3
	s_add_u32 s9, s24, s4
	s_addc_u32 s24, s25, s5
	s_ashr_i32 s3, s29, 31
	v_mov_b32_e32 v5, 0
	v_cndmask_b32_e64 v8, v4, v2, s[0:1]
	v_cndmask_b32_e64 v9, v2, v4, s[0:1]
	v_cmp_gt_i64_e64 s[0:1], s[2:3], v[4:5]
	v_mov_b32_e32 v3, v5
	v_ashrrev_i32_e32 v5, 31, v2
	v_mul_lo_u32 v5, s26, v5
	v_mul_lo_u32 v11, s27, v2
	v_mad_u64_u32 v[6:7], s[4:5], s26, v2, 0
	v_cmp_gt_i64_e64 s[2:3], s[2:3], v[2:3]
	v_max_i32_e32 v3, v4, v2
	v_add3_u32 v7, v7, v5, v11
	v_lshlrev_b64 v[6:7], 3, v[6:7]
	v_cmp_gt_i32_e32 vcc, s29, v3
	v_cmp_le_i32_e64 s[4:5], v9, v8
	s_and_b64 s[6:7], s[4:5], vcc
	v_mov_b32_e32 v3, s24
	v_add_co_u32_e32 v9, vcc, s9, v6
	v_ashrrev_i32_e32 v5, 31, v4
	v_addc_co_u32_e32 v3, vcc, v3, v7, vcc
	v_mad_u64_u32 v[7:8], s[4:5], s20, v2, 0
	v_lshlrev_b64 v[5:6], 3, v[4:5]
	s_mul_i32 s9, s23, s8
	v_add_co_u32_e32 v14, vcc, v9, v5
	v_addc_co_u32_e32 v15, vcc, v3, v6, vcc
	v_mov_b32_e32 v3, v8
	v_mad_u64_u32 v[2:3], s[4:5], s21, v2, v[3:4]
	s_mul_hi_u32 s20, s22, s8
	s_add_i32 s5, s20, s9
	v_mov_b32_e32 v8, v2
	s_mul_i32 s4, s22, s8
	v_lshlrev_b64 v[2:3], 3, v[7:8]
	s_lshl_b64 s[4:5], s[4:5], 3
	v_mov_b32_e32 v5, s5
	v_add_co_u32_e32 v2, vcc, s4, v2
	v_addc_co_u32_e32 v3, vcc, v5, v3, vcc
	v_lshlrev_b32_e32 v5, 3, v0
	v_add_co_u32_e32 v2, vcc, v2, v5
	v_addc_co_u32_e32 v3, vcc, 0, v3, vcc
	v_mov_b32_e32 v5, s19
	v_add_co_u32_e32 v6, vcc, s18, v2
	v_addc_co_u32_e32 v5, vcc, v5, v3, vcc
	v_mad_u64_u32 v[2:3], s[4:5], s14, v4, 0
	s_mul_i32 s9, s17, s8
	s_mul_hi_u32 s14, s16, s8
	v_mad_u64_u32 v[3:4], s[4:5], s15, v4, v[3:4]
	v_add_co_u32_e32 v16, vcc, 4, v6
	s_add_i32 s5, s14, s9
	s_mul_i32 s4, s16, s8
	v_lshlrev_b64 v[2:3], 3, v[2:3]
	v_addc_co_u32_e32 v17, vcc, 0, v5, vcc
	s_lshl_b64 s[4:5], s[4:5], 3
	v_mov_b32_e32 v4, s5
	v_add_co_u32_e32 v2, vcc, s4, v2
	v_lshlrev_b32_e32 v10, 3, v1
	v_addc_co_u32_e32 v3, vcc, v4, v3, vcc
	v_add_co_u32_e32 v2, vcc, v2, v10
	v_addc_co_u32_e32 v3, vcc, 0, v3, vcc
	v_mov_b32_e32 v4, s13
	v_add_co_u32_e32 v2, vcc, s12, v2
	v_addc_co_u32_e32 v3, vcc, v4, v3, vcc
	v_lshlrev_b32_e32 v20, 8, v0
	v_or_b32_e32 v22, 0x2000, v10
	v_add_co_u32_e32 v18, vcc, 4, v2
	v_add_u32_e32 v21, v20, v10
	v_add_u32_e32 v23, v22, v20
	v_addc_co_u32_e32 v19, vcc, 0, v3, vcc
	s_mov_b64 s[8:9], 0
	v_add_u32_e32 v24, 0x800, v22
	v_add_u32_e32 v25, 0x1000, v22
	;; [unrolled: 1-line block ×3, first 2 shown]
	s_branch .LBB1079_4
.LBB1079_3:                             ;   in Loop: Header=BB1079_4 Depth=1
	s_or_b64 exec, exec, s[4:5]
	s_add_u32 s8, s8, 32
	v_add_co_u32_e32 v16, vcc, 0x100, v16
	v_mov_b32_e32 v2, s30
	s_addc_u32 s9, s9, 0
	v_addc_co_u32_e32 v17, vcc, 0, v17, vcc
	v_mov_b32_e32 v3, s31
	v_add_co_u32_e32 v18, vcc, 0x100, v18
	v_cmp_lt_i64_e64 s[4:5], s[8:9], v[2:3]
	v_addc_co_u32_e32 v19, vcc, 0, v19, vcc
	s_and_b64 vcc, exec, s[4:5]
	s_waitcnt vmcnt(0)
	s_barrier
	s_cbranch_vccz .LBB1079_10
.LBB1079_4:                             ; =>This Inner Loop Header: Depth=1
	v_mov_b32_e32 v3, s9
	v_add_co_u32_e32 v2, vcc, s8, v1
	v_addc_co_u32_e32 v3, vcc, 0, v3, vcc
	v_cmp_gt_i64_e32 vcc, s[30:31], v[2:3]
	v_mov_b32_e32 v2, 0
	s_and_b64 s[12:13], s[0:1], vcc
	v_mov_b32_e32 v3, 0
	s_and_saveexec_b64 s[4:5], s[12:13]
	s_cbranch_execz .LBB1079_6
; %bb.5:                                ;   in Loop: Header=BB1079_4 Depth=1
	global_load_dwordx2 v[2:3], v[18:19], off offset:-4
.LBB1079_6:                             ;   in Loop: Header=BB1079_4 Depth=1
	s_or_b64 exec, exec, s[4:5]
	v_mov_b32_e32 v5, s9
	v_add_co_u32_e32 v4, vcc, s8, v0
	v_addc_co_u32_e32 v5, vcc, 0, v5, vcc
	v_cmp_gt_i64_e32 vcc, s[30:31], v[4:5]
	s_waitcnt vmcnt(0)
	ds_write_b64 v21, v[2:3]
	s_and_b64 s[12:13], s[2:3], vcc
	v_mov_b32_e32 v2, 0
	v_mov_b32_e32 v3, 0
	s_and_saveexec_b64 s[4:5], s[12:13]
	s_cbranch_execz .LBB1079_8
; %bb.7:                                ;   in Loop: Header=BB1079_4 Depth=1
	global_load_dwordx2 v[2:3], v[16:17], off offset:-4
.LBB1079_8:                             ;   in Loop: Header=BB1079_4 Depth=1
	s_or_b64 exec, exec, s[4:5]
	s_waitcnt vmcnt(0)
	ds_write_b64 v23, v[2:3]
	s_waitcnt lgkmcnt(0)
	s_barrier
	s_and_saveexec_b64 s[4:5], s[6:7]
	s_cbranch_execz .LBB1079_3
; %bb.9:                                ;   in Loop: Header=BB1079_4 Depth=1
	ds_read2_b64 v[2:5], v22 offset1:32
	ds_read_b128 v[6:9], v20
	ds_read_b128 v[10:13], v20 offset:16
	s_waitcnt lgkmcnt(1)
	v_mul_f32_e32 v27, v3, v7
	v_fma_f32 v32, v2, v6, -v27
	ds_read2_b64 v[27:30], v22 offset0:64 offset1:96
	v_mul_f32_e32 v31, v2, v7
	v_mul_f32_e32 v2, v5, v9
	v_fma_f32 v33, v4, v8, -v2
	v_fmac_f32_e32 v31, v3, v6
	s_waitcnt lgkmcnt(0)
	v_mul_f32_e32 v2, v28, v11
	v_mul_f32_e32 v34, v4, v9
	v_fma_f32 v35, v27, v10, -v2
	v_mul_f32_e32 v27, v27, v11
	v_mul_f32_e32 v2, v30, v13
	v_fmac_f32_e32 v34, v5, v8
	v_fmac_f32_e32 v27, v28, v10
	v_fma_f32 v28, v29, v12, -v2
	v_mul_f32_e32 v29, v29, v13
	v_add_f32_e32 v10, 0, v32
	v_add_f32_e32 v11, 0, v31
	v_fmac_f32_e32 v29, v30, v12
	ds_read_b128 v[2:5], v20 offset:32
	ds_read_b128 v[6:9], v20 offset:48
	v_add_f32_e32 v30, v10, v33
	v_add_f32_e32 v31, v11, v34
	ds_read2_b64 v[10:13], v22 offset0:128 offset1:160
	v_add_f32_e32 v27, v31, v27
	v_add_f32_e32 v30, v30, v35
	;; [unrolled: 1-line block ×4, first 2 shown]
	s_waitcnt lgkmcnt(0)
	v_mul_f32_e32 v29, v11, v3
	v_mul_f32_e32 v3, v10, v3
	v_fma_f32 v29, v10, v2, -v29
	v_fmac_f32_e32 v3, v11, v2
	v_add_f32_e32 v2, v28, v29
	v_add_f32_e32 v3, v27, v3
	ds_read2_b64 v[27:30], v22 offset0:192 offset1:224
	v_mul_f32_e32 v10, v13, v5
	v_mul_f32_e32 v5, v12, v5
	v_fma_f32 v10, v12, v4, -v10
	v_fmac_f32_e32 v5, v13, v4
	s_waitcnt lgkmcnt(0)
	v_mul_f32_e32 v4, v28, v7
	v_add_f32_e32 v2, v2, v10
	v_add_f32_e32 v3, v3, v5
	v_fma_f32 v4, v27, v6, -v4
	v_mul_f32_e32 v5, v27, v7
	v_fmac_f32_e32 v5, v28, v6
	v_add_f32_e32 v6, v2, v4
	v_mul_f32_e32 v2, v30, v9
	v_add_f32_e32 v7, v3, v5
	v_fma_f32 v13, v29, v8, -v2
	v_mul_f32_e32 v27, v29, v9
	ds_read_b128 v[2:5], v20 offset:64
	ds_read2_b64 v[9:12], v24 offset1:32
	v_fmac_f32_e32 v27, v30, v8
	v_add_f32_e32 v6, v6, v13
	v_add_f32_e32 v7, v7, v27
	ds_read_b128 v[27:30], v20 offset:80
	s_waitcnt lgkmcnt(1)
	v_mul_f32_e32 v8, v10, v3
	v_fma_f32 v8, v9, v2, -v8
	v_mul_f32_e32 v3, v9, v3
	v_fmac_f32_e32 v3, v10, v2
	v_add_f32_e32 v2, v6, v8
	v_mul_f32_e32 v6, v12, v5
	v_add_f32_e32 v3, v7, v3
	v_fma_f32 v10, v11, v4, -v6
	ds_read2_b64 v[6:9], v24 offset0:64 offset1:96
	v_mul_f32_e32 v5, v11, v5
	v_fmac_f32_e32 v5, v12, v4
	v_add_f32_e32 v2, v2, v10
	v_add_f32_e32 v3, v3, v5
	s_waitcnt lgkmcnt(0)
	v_mul_f32_e32 v4, v7, v28
	v_fma_f32 v4, v6, v27, -v4
	v_mul_f32_e32 v5, v6, v28
	v_fmac_f32_e32 v5, v7, v27
	v_add_f32_e32 v6, v2, v4
	v_mul_f32_e32 v2, v9, v30
	v_add_f32_e32 v7, v3, v5
	v_fma_f32 v27, v8, v29, -v2
	ds_read_b128 v[2:5], v20 offset:96
	ds_read2_b64 v[10:13], v24 offset0:128 offset1:160
	v_mul_f32_e32 v8, v8, v30
	v_fmac_f32_e32 v8, v9, v29
	v_add_f32_e32 v27, v6, v27
	v_add_f32_e32 v28, v7, v8
	s_waitcnt lgkmcnt(0)
	v_mul_f32_e32 v29, v11, v3
	v_mul_f32_e32 v3, v10, v3
	v_fma_f32 v29, v10, v2, -v29
	v_fmac_f32_e32 v3, v11, v2
	ds_read_b128 v[6:9], v20 offset:112
	v_add_f32_e32 v2, v27, v29
	v_add_f32_e32 v3, v28, v3
	ds_read2_b64 v[27:30], v24 offset0:192 offset1:224
	v_mul_f32_e32 v10, v13, v5
	v_mul_f32_e32 v5, v12, v5
	v_fma_f32 v10, v12, v4, -v10
	v_fmac_f32_e32 v5, v13, v4
	s_waitcnt lgkmcnt(0)
	v_mul_f32_e32 v4, v28, v7
	v_add_f32_e32 v2, v2, v10
	v_add_f32_e32 v3, v3, v5
	v_fma_f32 v4, v27, v6, -v4
	v_mul_f32_e32 v5, v27, v7
	v_fmac_f32_e32 v5, v28, v6
	v_add_f32_e32 v6, v2, v4
	v_mul_f32_e32 v2, v30, v9
	v_add_f32_e32 v7, v3, v5
	v_fma_f32 v13, v29, v8, -v2
	v_mul_f32_e32 v27, v29, v9
	ds_read_b128 v[2:5], v20 offset:128
	ds_read2_b64 v[9:12], v25 offset1:32
	v_fmac_f32_e32 v27, v30, v8
	v_add_f32_e32 v6, v6, v13
	v_add_f32_e32 v7, v7, v27
	ds_read_b128 v[27:30], v20 offset:144
	s_waitcnt lgkmcnt(1)
	v_mul_f32_e32 v8, v10, v3
	v_fma_f32 v8, v9, v2, -v8
	v_mul_f32_e32 v3, v9, v3
	ds_read2_b64 v[31:34], v25 offset0:64 offset1:96
	v_fmac_f32_e32 v3, v10, v2
	v_add_f32_e32 v2, v6, v8
	v_mul_f32_e32 v6, v12, v5
	v_fma_f32 v6, v11, v4, -v6
	v_mul_f32_e32 v5, v11, v5
	v_add_f32_e32 v3, v7, v3
	v_fmac_f32_e32 v5, v12, v4
	v_add_f32_e32 v2, v2, v6
	ds_read_b128 v[6:9], v20 offset:160
	ds_read2_b64 v[10:13], v25 offset0:128 offset1:160
	v_add_f32_e32 v3, v3, v5
	s_waitcnt lgkmcnt(2)
	v_mul_f32_e32 v4, v32, v28
	v_mul_f32_e32 v5, v31, v28
	v_fma_f32 v4, v31, v27, -v4
	v_fmac_f32_e32 v5, v32, v27
	v_add_f32_e32 v2, v2, v4
	v_add_f32_e32 v3, v3, v5
	v_mul_f32_e32 v4, v34, v30
	v_mul_f32_e32 v5, v33, v30
	v_fma_f32 v4, v33, v29, -v4
	v_fmac_f32_e32 v5, v34, v29
	s_waitcnt lgkmcnt(0)
	v_mul_f32_e32 v29, v11, v7
	v_mul_f32_e32 v30, v10, v7
	v_fma_f32 v29, v10, v6, -v29
	v_fmac_f32_e32 v30, v11, v6
	v_mul_f32_e32 v6, v13, v9
	v_fma_f32 v31, v12, v8, -v6
	global_load_dwordx2 v[6:7], v[14:15], off
	v_mul_f32_e32 v12, v12, v9
	v_add_f32_e32 v27, v2, v4
	v_add_f32_e32 v28, v3, v5
	ds_read_b128 v[2:5], v20 offset:176
	v_fmac_f32_e32 v12, v13, v8
	ds_read2_b64 v[8:11], v25 offset0:192 offset1:224
	v_add_f32_e32 v13, v27, v29
	v_add_f32_e32 v27, v28, v30
	;; [unrolled: 1-line block ×4, first 2 shown]
	s_waitcnt lgkmcnt(0)
	v_mul_f32_e32 v27, v9, v3
	v_mul_f32_e32 v28, v8, v3
	v_fma_f32 v27, v8, v2, -v27
	v_fmac_f32_e32 v28, v9, v2
	v_mul_f32_e32 v2, v11, v5
	v_mul_f32_e32 v29, v10, v5
	v_add_f32_e32 v13, v13, v27
	v_fma_f32 v27, v10, v4, -v2
	v_fmac_f32_e32 v29, v11, v4
	ds_read_b128 v[2:5], v20 offset:192
	ds_read2_b64 v[8:11], v26 offset1:32
	v_add_f32_e32 v12, v12, v28
	v_add_f32_e32 v13, v13, v27
	;; [unrolled: 1-line block ×3, first 2 shown]
	ds_read_b128 v[27:30], v20 offset:208
	s_waitcnt lgkmcnt(1)
	v_mul_f32_e32 v31, v9, v3
	v_fma_f32 v31, v8, v2, -v31
	v_mul_f32_e32 v8, v8, v3
	v_fmac_f32_e32 v8, v9, v2
	v_mul_f32_e32 v2, v11, v5
	v_fma_f32 v9, v10, v4, -v2
	v_mul_f32_e32 v10, v10, v5
	v_fmac_f32_e32 v10, v11, v4
	ds_read2_b64 v[2:5], v26 offset0:64 offset1:96
	v_add_f32_e32 v8, v12, v8
	v_add_f32_e32 v11, v13, v31
	;; [unrolled: 1-line block ×4, first 2 shown]
	s_waitcnt lgkmcnt(0)
	v_mul_f32_e32 v8, v3, v28
	v_fma_f32 v8, v2, v27, -v8
	v_mul_f32_e32 v13, v2, v28
	v_mul_f32_e32 v2, v5, v30
	;; [unrolled: 1-line block ×3, first 2 shown]
	v_fmac_f32_e32 v13, v3, v27
	v_add_f32_e32 v27, v9, v8
	v_fma_f32 v28, v4, v29, -v2
	v_fmac_f32_e32 v30, v5, v29
	ds_read_b128 v[2:5], v20 offset:224
	ds_read2_b64 v[8:11], v26 offset0:128 offset1:160
	v_add_f32_e32 v12, v12, v13
	v_add_f32_e32 v13, v27, v28
	;; [unrolled: 1-line block ×3, first 2 shown]
	ds_read_b128 v[27:30], v20 offset:240
	s_waitcnt lgkmcnt(1)
	v_mul_f32_e32 v31, v9, v3
	v_fma_f32 v31, v8, v2, -v31
	v_mul_f32_e32 v8, v8, v3
	v_fmac_f32_e32 v8, v9, v2
	v_mul_f32_e32 v2, v11, v5
	v_fma_f32 v9, v10, v4, -v2
	v_mul_f32_e32 v10, v10, v5
	v_fmac_f32_e32 v10, v11, v4
	ds_read2_b64 v[2:5], v26 offset0:192 offset1:224
	v_add_f32_e32 v8, v12, v8
	v_add_f32_e32 v8, v8, v10
	;; [unrolled: 1-line block ×4, first 2 shown]
	s_waitcnt lgkmcnt(0)
	v_mul_f32_e32 v10, v3, v28
	v_fma_f32 v10, v2, v27, -v10
	v_mul_f32_e32 v2, v2, v28
	v_fmac_f32_e32 v2, v3, v27
	v_add_f32_e32 v2, v8, v2
	v_mul_f32_e32 v8, v5, v30
	v_fma_f32 v8, v4, v29, -v8
	v_mul_f32_e32 v4, v4, v30
	v_fmac_f32_e32 v4, v5, v29
	v_add_f32_e32 v3, v9, v10
	v_add_f32_e32 v2, v2, v4
	;; [unrolled: 1-line block ×3, first 2 shown]
	v_mul_f32_e32 v4, s11, v2
	v_fma_f32 v4, s10, v3, -v4
	v_mul_f32_e32 v3, s11, v3
	v_fmac_f32_e32 v3, s10, v2
	s_waitcnt vmcnt(0)
	v_add_f32_e32 v2, v6, v4
	v_add_f32_e32 v3, v7, v3
	global_store_dwordx2 v[14:15], v[2:3], off
	s_branch .LBB1079_3
.LBB1079_10:
	s_endpgm
	.section	.rodata,"a",@progbits
	.p2align	6, 0x0
	.amdhsa_kernel _ZL26rocblas_syr2k_her2k_kernelIlLb0ELb0ELb1ELi32E19rocblas_complex_numIfEPKS1_PS1_EvbiT_T4_T5_S5_lS7_S5_lT6_S5_li
		.amdhsa_group_segment_fixed_size 16384
		.amdhsa_private_segment_fixed_size 0
		.amdhsa_kernarg_size 100
		.amdhsa_user_sgpr_count 6
		.amdhsa_user_sgpr_private_segment_buffer 1
		.amdhsa_user_sgpr_dispatch_ptr 0
		.amdhsa_user_sgpr_queue_ptr 0
		.amdhsa_user_sgpr_kernarg_segment_ptr 1
		.amdhsa_user_sgpr_dispatch_id 0
		.amdhsa_user_sgpr_flat_scratch_init 0
		.amdhsa_user_sgpr_private_segment_size 0
		.amdhsa_uses_dynamic_stack 0
		.amdhsa_system_sgpr_private_segment_wavefront_offset 0
		.amdhsa_system_sgpr_workgroup_id_x 1
		.amdhsa_system_sgpr_workgroup_id_y 1
		.amdhsa_system_sgpr_workgroup_id_z 1
		.amdhsa_system_sgpr_workgroup_info 0
		.amdhsa_system_vgpr_workitem_id 1
		.amdhsa_next_free_vgpr 36
		.amdhsa_next_free_sgpr 61
		.amdhsa_reserve_vcc 1
		.amdhsa_reserve_flat_scratch 0
		.amdhsa_float_round_mode_32 0
		.amdhsa_float_round_mode_16_64 0
		.amdhsa_float_denorm_mode_32 3
		.amdhsa_float_denorm_mode_16_64 3
		.amdhsa_dx10_clamp 1
		.amdhsa_ieee_mode 1
		.amdhsa_fp16_overflow 0
		.amdhsa_exception_fp_ieee_invalid_op 0
		.amdhsa_exception_fp_denorm_src 0
		.amdhsa_exception_fp_ieee_div_zero 0
		.amdhsa_exception_fp_ieee_overflow 0
		.amdhsa_exception_fp_ieee_underflow 0
		.amdhsa_exception_fp_ieee_inexact 0
		.amdhsa_exception_int_div_zero 0
	.end_amdhsa_kernel
	.section	.text._ZL26rocblas_syr2k_her2k_kernelIlLb0ELb0ELb1ELi32E19rocblas_complex_numIfEPKS1_PS1_EvbiT_T4_T5_S5_lS7_S5_lT6_S5_li,"axG",@progbits,_ZL26rocblas_syr2k_her2k_kernelIlLb0ELb0ELb1ELi32E19rocblas_complex_numIfEPKS1_PS1_EvbiT_T4_T5_S5_lS7_S5_lT6_S5_li,comdat
.Lfunc_end1079:
	.size	_ZL26rocblas_syr2k_her2k_kernelIlLb0ELb0ELb1ELi32E19rocblas_complex_numIfEPKS1_PS1_EvbiT_T4_T5_S5_lS7_S5_lT6_S5_li, .Lfunc_end1079-_ZL26rocblas_syr2k_her2k_kernelIlLb0ELb0ELb1ELi32E19rocblas_complex_numIfEPKS1_PS1_EvbiT_T4_T5_S5_lS7_S5_lT6_S5_li
                                        ; -- End function
	.set _ZL26rocblas_syr2k_her2k_kernelIlLb0ELb0ELb1ELi32E19rocblas_complex_numIfEPKS1_PS1_EvbiT_T4_T5_S5_lS7_S5_lT6_S5_li.num_vgpr, 36
	.set _ZL26rocblas_syr2k_her2k_kernelIlLb0ELb0ELb1ELi32E19rocblas_complex_numIfEPKS1_PS1_EvbiT_T4_T5_S5_lS7_S5_lT6_S5_li.num_agpr, 0
	.set _ZL26rocblas_syr2k_her2k_kernelIlLb0ELb0ELb1ELi32E19rocblas_complex_numIfEPKS1_PS1_EvbiT_T4_T5_S5_lS7_S5_lT6_S5_li.numbered_sgpr, 32
	.set _ZL26rocblas_syr2k_her2k_kernelIlLb0ELb0ELb1ELi32E19rocblas_complex_numIfEPKS1_PS1_EvbiT_T4_T5_S5_lS7_S5_lT6_S5_li.num_named_barrier, 0
	.set _ZL26rocblas_syr2k_her2k_kernelIlLb0ELb0ELb1ELi32E19rocblas_complex_numIfEPKS1_PS1_EvbiT_T4_T5_S5_lS7_S5_lT6_S5_li.private_seg_size, 0
	.set _ZL26rocblas_syr2k_her2k_kernelIlLb0ELb0ELb1ELi32E19rocblas_complex_numIfEPKS1_PS1_EvbiT_T4_T5_S5_lS7_S5_lT6_S5_li.uses_vcc, 1
	.set _ZL26rocblas_syr2k_her2k_kernelIlLb0ELb0ELb1ELi32E19rocblas_complex_numIfEPKS1_PS1_EvbiT_T4_T5_S5_lS7_S5_lT6_S5_li.uses_flat_scratch, 0
	.set _ZL26rocblas_syr2k_her2k_kernelIlLb0ELb0ELb1ELi32E19rocblas_complex_numIfEPKS1_PS1_EvbiT_T4_T5_S5_lS7_S5_lT6_S5_li.has_dyn_sized_stack, 0
	.set _ZL26rocblas_syr2k_her2k_kernelIlLb0ELb0ELb1ELi32E19rocblas_complex_numIfEPKS1_PS1_EvbiT_T4_T5_S5_lS7_S5_lT6_S5_li.has_recursion, 0
	.set _ZL26rocblas_syr2k_her2k_kernelIlLb0ELb0ELb1ELi32E19rocblas_complex_numIfEPKS1_PS1_EvbiT_T4_T5_S5_lS7_S5_lT6_S5_li.has_indirect_call, 0
	.section	.AMDGPU.csdata,"",@progbits
; Kernel info:
; codeLenInByte = 2024
; TotalNumSgprs: 36
; NumVgprs: 36
; ScratchSize: 0
; MemoryBound: 0
; FloatMode: 240
; IeeeMode: 1
; LDSByteSize: 16384 bytes/workgroup (compile time only)
; SGPRBlocks: 8
; VGPRBlocks: 8
; NumSGPRsForWavesPerEU: 65
; NumVGPRsForWavesPerEU: 36
; Occupancy: 7
; WaveLimiterHint : 0
; COMPUTE_PGM_RSRC2:SCRATCH_EN: 0
; COMPUTE_PGM_RSRC2:USER_SGPR: 6
; COMPUTE_PGM_RSRC2:TRAP_HANDLER: 0
; COMPUTE_PGM_RSRC2:TGID_X_EN: 1
; COMPUTE_PGM_RSRC2:TGID_Y_EN: 1
; COMPUTE_PGM_RSRC2:TGID_Z_EN: 1
; COMPUTE_PGM_RSRC2:TIDIG_COMP_CNT: 1
	.section	.text._ZL37rocblas_syrkx_herkx_restricted_kernelIl19rocblas_complex_numIfELi16ELi32ELi8ELi1ELi1ELb0ELc84ELc76EKS1_S1_EviT_PT9_S3_lS5_S3_lPT10_S3_li,"axG",@progbits,_ZL37rocblas_syrkx_herkx_restricted_kernelIl19rocblas_complex_numIfELi16ELi32ELi8ELi1ELi1ELb0ELc84ELc76EKS1_S1_EviT_PT9_S3_lS5_S3_lPT10_S3_li,comdat
	.globl	_ZL37rocblas_syrkx_herkx_restricted_kernelIl19rocblas_complex_numIfELi16ELi32ELi8ELi1ELi1ELb0ELc84ELc76EKS1_S1_EviT_PT9_S3_lS5_S3_lPT10_S3_li ; -- Begin function _ZL37rocblas_syrkx_herkx_restricted_kernelIl19rocblas_complex_numIfELi16ELi32ELi8ELi1ELi1ELb0ELc84ELc76EKS1_S1_EviT_PT9_S3_lS5_S3_lPT10_S3_li
	.p2align	8
	.type	_ZL37rocblas_syrkx_herkx_restricted_kernelIl19rocblas_complex_numIfELi16ELi32ELi8ELi1ELi1ELb0ELc84ELc76EKS1_S1_EviT_PT9_S3_lS5_S3_lPT10_S3_li,@function
_ZL37rocblas_syrkx_herkx_restricted_kernelIl19rocblas_complex_numIfELi16ELi32ELi8ELi1ELi1ELb0ELc84ELc76EKS1_S1_EviT_PT9_S3_lS5_S3_lPT10_S3_li: ; @_ZL37rocblas_syrkx_herkx_restricted_kernelIl19rocblas_complex_numIfELi16ELi32ELi8ELi1ELi1ELb0ELc84ELc76EKS1_S1_EviT_PT9_S3_lS5_S3_lPT10_S3_li
; %bb.0:
	s_load_dwordx16 s[12:27], s[4:5], 0x8
	s_lshl_b32 s2, s6, 5
	s_lshl_b32 s3, s7, 5
	s_waitcnt lgkmcnt(0)
	v_cmp_lt_i64_e64 s[0:1], s[12:13], 1
	s_and_b64 vcc, exec, s[0:1]
	s_cbranch_vccnz .LBB1080_3
; %bb.1:
	v_lshl_add_u32 v4, v1, 4, v0
	v_lshrrev_b32_e32 v6, 3, v4
	v_add_u32_e32 v2, s3, v6
	v_ashrrev_i32_e32 v3, 31, v2
	v_and_b32_e32 v9, 7, v0
	v_mov_b32_e32 v10, 0
	v_mul_lo_u32 v5, s22, v3
	v_mul_lo_u32 v7, s23, v2
	v_mad_u64_u32 v[2:3], s[0:1], s22, v2, v[9:10]
	s_mul_i32 s6, s19, s8
	s_mul_hi_u32 s7, s18, s8
	v_add3_u32 v3, v7, v3, v5
	v_and_b32_e32 v7, 31, v4
	v_lshrrev_b32_e32 v4, 5, v4
	v_lshlrev_b32_e32 v8, 3, v7
	v_lshl_or_b32 v11, v4, 8, v8
	v_lshlrev_b32_e32 v8, 3, v9
	v_lshl_or_b32 v6, v6, 6, v8
	v_add_u32_e32 v12, 0x800, v6
	v_mov_b32_e32 v6, 0x800
	v_lshl_add_u32 v14, v1, 6, v6
	v_add_u32_e32 v6, s2, v7
	v_mov_b32_e32 v5, v10
	v_ashrrev_i32_e32 v7, 31, v6
	v_mul_lo_u32 v7, s16, v7
	v_mad_u64_u32 v[4:5], s[0:1], s16, v6, v[4:5]
	v_mul_lo_u32 v6, s17, v6
	s_add_i32 s1, s7, s6
	s_mul_i32 s0, s18, s8
	s_lshl_b64 s[0:1], s[0:1], 3
	v_add3_u32 v5, v6, v5, v7
	v_lshlrev_b64 v[4:5], 3, v[4:5]
	s_add_u32 s0, s14, s0
	s_addc_u32 s1, s15, s1
	v_mov_b32_e32 v6, s1
	v_add_co_u32_e32 v4, vcc, s0, v4
	s_mul_i32 s0, s25, s8
	s_mul_hi_u32 s1, s24, s8
	s_add_i32 s1, s1, s0
	s_mul_i32 s0, s24, s8
	v_addc_co_u32_e32 v5, vcc, v6, v5, vcc
	s_lshl_b64 s[0:1], s[0:1], 3
	v_add_co_u32_e32 v6, vcc, 4, v4
	v_lshlrev_b64 v[2:3], 3, v[2:3]
	s_add_u32 s0, s20, s0
	v_addc_co_u32_e32 v7, vcc, 0, v5, vcc
	s_addc_u32 s1, s21, s1
	v_mov_b32_e32 v4, s1
	v_add_co_u32_e32 v2, vcc, s0, v2
	v_addc_co_u32_e32 v3, vcc, v4, v3, vcc
	v_add_co_u32_e32 v8, vcc, 4, v2
	v_lshlrev_b32_e32 v13, 3, v0
	v_addc_co_u32_e32 v9, vcc, 0, v3, vcc
	s_mov_b64 s[0:1], 0
	v_mov_b32_e32 v15, v10
	v_mov_b32_e32 v16, v10
	;; [unrolled: 1-line block ×7, first 2 shown]
.LBB1080_2:                             ; =>This Inner Loop Header: Depth=1
	global_load_dwordx2 v[2:3], v[6:7], off offset:-4
	s_add_u32 s0, s0, 8
	v_add_co_u32_e32 v6, vcc, 64, v6
	s_addc_u32 s1, s1, 0
	v_addc_co_u32_e32 v7, vcc, 0, v7, vcc
	s_waitcnt vmcnt(0)
	ds_write_b64 v11, v[2:3]
	global_load_dwordx2 v[2:3], v[8:9], off offset:-4
	v_add_co_u32_e32 v8, vcc, 64, v8
	v_addc_co_u32_e32 v9, vcc, 0, v9, vcc
	s_waitcnt vmcnt(0)
	ds_write_b64 v12, v[2:3]
	s_waitcnt lgkmcnt(0)
	s_barrier
	ds_read_b128 v[22:25], v14
	ds_read_b128 v[26:29], v14 offset:16
	ds_read_b128 v[30:33], v14 offset:32
	;; [unrolled: 1-line block ×3, first 2 shown]
	ds_read2_b64 v[34:37], v13 offset1:16
	s_waitcnt lgkmcnt(0)
	v_mul_f32_e32 v38, v23, v35
	v_mul_f32_e32 v39, v22, v35
	v_fma_f32 v38, v22, v34, -v38
	v_fmac_f32_e32 v39, v23, v34
	v_add_f32_e32 v38, v20, v38
	v_add_f32_e32 v39, v21, v39
	v_mul_f32_e32 v20, v23, v37
	v_mul_f32_e32 v21, v22, v37
	v_fma_f32 v20, v22, v36, -v20
	v_fmac_f32_e32 v21, v23, v36
	v_add_f32_e32 v22, v19, v20
	v_add_f32_e32 v23, v18, v21
	ds_read_b128 v[18:21], v14 offset:1024
	s_waitcnt lgkmcnt(0)
	v_mul_f32_e32 v40, v19, v35
	v_mul_f32_e32 v35, v18, v35
	v_fma_f32 v40, v18, v34, -v40
	v_fmac_f32_e32 v35, v19, v34
	v_add_f32_e32 v34, v17, v40
	v_add_f32_e32 v35, v16, v35
	v_mul_f32_e32 v16, v19, v37
	v_mul_f32_e32 v17, v18, v37
	v_fma_f32 v16, v18, v36, -v16
	v_fmac_f32_e32 v17, v19, v36
	v_add_f32_e32 v19, v15, v16
	v_add_f32_e32 v10, v10, v17
	ds_read2_b64 v[15:18], v13 offset0:32 offset1:48
	s_waitcnt lgkmcnt(0)
	v_mul_f32_e32 v36, v25, v16
	v_fma_f32 v36, v24, v15, -v36
	v_add_f32_e32 v36, v38, v36
	v_mul_f32_e32 v38, v25, v18
	v_mul_f32_e32 v37, v24, v16
	v_fma_f32 v38, v24, v17, -v38
	v_mul_f32_e32 v24, v24, v18
	v_fmac_f32_e32 v24, v25, v17
	v_add_f32_e32 v23, v23, v24
	v_mul_f32_e32 v24, v21, v16
	v_mul_f32_e32 v16, v20, v16
	v_fmac_f32_e32 v16, v21, v15
	v_fmac_f32_e32 v37, v25, v15
	v_fma_f32 v24, v20, v15, -v24
	v_add_f32_e32 v25, v35, v16
	v_mul_f32_e32 v15, v21, v18
	v_mul_f32_e32 v16, v20, v18
	v_fma_f32 v15, v20, v17, -v15
	v_fmac_f32_e32 v16, v21, v17
	v_add_f32_e32 v24, v34, v24
	v_add_f32_e32 v34, v19, v15
	;; [unrolled: 1-line block ×3, first 2 shown]
	ds_read2_b64 v[15:18], v13 offset0:64 offset1:80
	v_add_f32_e32 v37, v39, v37
	v_add_f32_e32 v22, v22, v38
	s_waitcnt lgkmcnt(0)
	v_mul_f32_e32 v19, v27, v16
	v_mul_f32_e32 v20, v26, v16
	v_fma_f32 v19, v26, v15, -v19
	v_fmac_f32_e32 v20, v27, v15
	v_add_f32_e32 v35, v36, v19
	v_add_f32_e32 v36, v37, v20
	v_mul_f32_e32 v19, v27, v18
	v_mul_f32_e32 v20, v26, v18
	v_fma_f32 v19, v26, v17, -v19
	v_fmac_f32_e32 v20, v27, v17
	v_add_f32_e32 v26, v22, v19
	v_add_f32_e32 v23, v23, v20
	ds_read_b128 v[19:22], v14 offset:1040
	s_waitcnt lgkmcnt(0)
	v_mul_f32_e32 v27, v20, v16
	v_mul_f32_e32 v16, v19, v16
	v_fmac_f32_e32 v16, v20, v15
	v_fma_f32 v27, v19, v15, -v27
	v_add_f32_e32 v25, v25, v16
	v_mul_f32_e32 v15, v20, v18
	v_mul_f32_e32 v16, v19, v18
	v_fma_f32 v15, v19, v17, -v15
	v_fmac_f32_e32 v16, v20, v17
	v_add_f32_e32 v19, v34, v15
	v_add_f32_e32 v10, v10, v16
	ds_read2_b64 v[15:18], v13 offset0:96 offset1:112
	v_add_f32_e32 v24, v24, v27
	s_waitcnt lgkmcnt(0)
	v_mul_f32_e32 v20, v29, v16
	v_mul_f32_e32 v34, v29, v18
	v_fma_f32 v20, v28, v15, -v20
	v_mul_f32_e32 v27, v28, v16
	v_fma_f32 v34, v28, v17, -v34
	v_mul_f32_e32 v28, v28, v18
	v_fmac_f32_e32 v28, v29, v17
	v_add_f32_e32 v23, v23, v28
	v_mul_f32_e32 v28, v22, v16
	v_mul_f32_e32 v16, v21, v16
	v_fmac_f32_e32 v16, v22, v15
	v_fmac_f32_e32 v27, v29, v15
	v_fma_f32 v28, v21, v15, -v28
	v_add_f32_e32 v25, v25, v16
	v_mul_f32_e32 v15, v22, v18
	v_mul_f32_e32 v16, v21, v18
	v_fma_f32 v15, v21, v17, -v15
	v_fmac_f32_e32 v16, v22, v17
	v_add_f32_e32 v24, v24, v28
	v_add_f32_e32 v28, v19, v15
	;; [unrolled: 1-line block ×3, first 2 shown]
	ds_read2_b64 v[15:18], v13 offset0:128 offset1:144
	v_add_f32_e32 v20, v35, v20
	v_add_f32_e32 v27, v36, v27
	;; [unrolled: 1-line block ×3, first 2 shown]
	s_waitcnt lgkmcnt(0)
	v_mul_f32_e32 v19, v31, v16
	v_fma_f32 v19, v30, v15, -v19
	v_mul_f32_e32 v21, v30, v16
	v_add_f32_e32 v29, v20, v19
	v_mul_f32_e32 v19, v31, v18
	v_mul_f32_e32 v20, v30, v18
	v_fmac_f32_e32 v21, v31, v15
	v_fma_f32 v19, v30, v17, -v19
	v_fmac_f32_e32 v20, v31, v17
	v_add_f32_e32 v27, v27, v21
	v_add_f32_e32 v26, v26, v19
	;; [unrolled: 1-line block ×3, first 2 shown]
	ds_read_b128 v[19:22], v14 offset:1056
	s_waitcnt lgkmcnt(0)
	v_mul_f32_e32 v30, v20, v16
	v_mul_f32_e32 v16, v19, v16
	v_fmac_f32_e32 v16, v20, v15
	v_fma_f32 v30, v19, v15, -v30
	v_add_f32_e32 v25, v25, v16
	v_mul_f32_e32 v15, v20, v18
	v_mul_f32_e32 v16, v19, v18
	v_fma_f32 v15, v19, v17, -v15
	v_fmac_f32_e32 v16, v20, v17
	v_add_f32_e32 v19, v28, v15
	v_add_f32_e32 v10, v10, v16
	ds_read2_b64 v[15:18], v13 offset0:160 offset1:176
	v_add_f32_e32 v24, v24, v30
	s_waitcnt lgkmcnt(0)
	v_mul_f32_e32 v28, v32, v16
	v_fmac_f32_e32 v28, v33, v15
	v_add_f32_e32 v27, v27, v28
	v_mul_f32_e32 v28, v33, v18
	v_fma_f32 v28, v32, v17, -v28
	v_mul_f32_e32 v20, v33, v16
	v_add_f32_e32 v26, v26, v28
	v_mul_f32_e32 v28, v22, v16
	v_mul_f32_e32 v16, v21, v16
	v_fmac_f32_e32 v16, v22, v15
	v_fma_f32 v20, v32, v15, -v20
	v_fma_f32 v28, v21, v15, -v28
	v_add_f32_e32 v25, v25, v16
	v_mul_f32_e32 v15, v22, v18
	v_mul_f32_e32 v16, v21, v18
	v_add_f32_e32 v20, v29, v20
	v_mul_f32_e32 v29, v32, v18
	v_fma_f32 v15, v21, v17, -v15
	v_fmac_f32_e32 v16, v22, v17
	v_fmac_f32_e32 v29, v33, v17
	v_add_f32_e32 v19, v19, v15
	v_add_f32_e32 v10, v10, v16
	ds_read2_b64 v[15:18], v13 offset0:192 offset1:208
	v_add_f32_e32 v24, v24, v28
	v_add_f32_e32 v23, v23, v29
	s_waitcnt lgkmcnt(0)
	v_mul_f32_e32 v21, v3, v16
	v_fma_f32 v21, v2, v15, -v21
	v_add_f32_e32 v28, v20, v21
	v_mul_f32_e32 v20, v3, v18
	v_mul_f32_e32 v22, v2, v16
	v_fma_f32 v20, v2, v17, -v20
	v_mul_f32_e32 v2, v2, v18
	v_fmac_f32_e32 v22, v3, v15
	v_fmac_f32_e32 v2, v3, v17
	v_add_f32_e32 v29, v27, v22
	v_add_f32_e32 v3, v26, v20
	;; [unrolled: 1-line block ×3, first 2 shown]
	ds_read_b128 v[20:23], v14 offset:1072
	s_waitcnt lgkmcnt(0)
	v_mul_f32_e32 v26, v21, v16
	v_fma_f32 v26, v20, v15, -v26
	v_mul_f32_e32 v16, v20, v16
	v_fmac_f32_e32 v16, v21, v15
	v_add_f32_e32 v15, v24, v26
	v_mul_f32_e32 v24, v21, v18
	v_fma_f32 v24, v20, v17, -v24
	v_add_f32_e32 v16, v25, v16
	v_add_f32_e32 v30, v19, v24
	ds_read2_b64 v[24:27], v13 offset0:224 offset1:240
	v_mul_f32_e32 v18, v20, v18
	v_fmac_f32_e32 v18, v21, v17
	v_add_f32_e32 v10, v10, v18
	s_waitcnt lgkmcnt(0)
	v_mul_f32_e32 v17, v5, v25
	v_fma_f32 v17, v4, v24, -v17
	v_add_f32_e32 v20, v28, v17
	v_mul_f32_e32 v17, v5, v27
	v_mul_f32_e32 v18, v4, v25
	v_fma_f32 v17, v4, v26, -v17
	v_mul_f32_e32 v4, v4, v27
	v_fmac_f32_e32 v18, v5, v24
	v_fmac_f32_e32 v4, v5, v26
	v_add_f32_e32 v21, v29, v18
	v_add_f32_e32 v19, v3, v17
	;; [unrolled: 1-line block ×3, first 2 shown]
	v_mul_f32_e32 v2, v23, v25
	v_mul_f32_e32 v3, v22, v25
	v_fma_f32 v2, v22, v24, -v2
	v_fmac_f32_e32 v3, v23, v24
	v_add_f32_e32 v17, v15, v2
	v_add_f32_e32 v16, v16, v3
	v_mul_f32_e32 v2, v23, v27
	v_mul_f32_e32 v3, v22, v27
	v_fma_f32 v2, v22, v26, -v2
	v_fmac_f32_e32 v3, v23, v26
	v_add_f32_e32 v15, v30, v2
	v_add_f32_e32 v10, v10, v3
	v_mov_b32_e32 v3, s1
	v_mov_b32_e32 v2, s0
	v_cmp_le_u64_e32 vcc, s[12:13], v[2:3]
	s_barrier
	s_cbranch_vccz .LBB1080_2
	s_branch .LBB1080_4
.LBB1080_3:
	v_mov_b32_e32 v20, 0
	v_mov_b32_e32 v21, 0
	;; [unrolled: 1-line block ×8, first 2 shown]
.LBB1080_4:
	s_load_dwordx4 s[12:15], s[4:5], 0x48
	s_load_dword s9, s[4:5], 0x0
	v_add_u32_e32 v4, s3, v1
	v_ashrrev_i32_e32 v1, 31, v4
	v_add_u32_e32 v0, s2, v0
	s_waitcnt lgkmcnt(0)
	v_mul_lo_u32 v3, s12, v1
	v_mul_lo_u32 v5, s13, v4
	v_mad_u64_u32 v[1:2], s[4:5], s12, v4, 0
	s_mul_i32 s1, s15, s8
	s_mul_hi_u32 s3, s14, s8
	s_mul_i32 s0, s14, s8
	s_add_i32 s1, s3, s1
	s_lshl_b64 s[0:1], s[0:1], 3
	v_add3_u32 v2, v2, v3, v5
	s_add_u32 s6, s26, s0
	v_lshlrev_b64 v[1:2], 3, v[1:2]
	s_addc_u32 s7, s27, s1
	v_mov_b32_e32 v3, s7
	v_add_co_u32_e32 v5, vcc, s6, v1
	v_addc_co_u32_e32 v6, vcc, v3, v2, vcc
	v_cmp_le_i32_e64 s[0:1], v4, v0
	v_cmp_gt_i32_e32 vcc, s9, v0
	s_and_b64 s[0:1], s[0:1], vcc
	s_and_saveexec_b64 s[2:3], s[0:1]
	s_cbranch_execz .LBB1080_6
; %bb.5:
	v_ashrrev_i32_e32 v1, 31, v0
	v_lshlrev_b64 v[1:2], 3, v[0:1]
	v_add_co_u32_e64 v1, s[0:1], v5, v1
	v_addc_co_u32_e64 v2, s[0:1], v6, v2, s[0:1]
	global_load_dwordx2 v[7:8], v[1:2], off
	s_waitcnt vmcnt(0)
	v_add_f32_e32 v7, v20, v7
	v_add_f32_e32 v8, v21, v8
	global_store_dwordx2 v[1:2], v[7:8], off
.LBB1080_6:
	s_or_b64 exec, exec, s[2:3]
	v_add_u32_e32 v2, 16, v0
	v_cmp_le_i32_e64 s[2:3], v4, v2
	v_cmp_gt_i32_e64 s[0:1], s9, v2
	s_and_b64 s[2:3], s[2:3], s[0:1]
	s_and_saveexec_b64 s[4:5], s[2:3]
	s_cbranch_execz .LBB1080_8
; %bb.7:
	v_ashrrev_i32_e32 v3, 31, v2
	v_lshlrev_b64 v[7:8], 3, v[2:3]
	v_add_co_u32_e64 v5, s[2:3], v5, v7
	v_addc_co_u32_e64 v6, s[2:3], v6, v8, s[2:3]
	global_load_dwordx2 v[7:8], v[5:6], off
	s_waitcnt vmcnt(0)
	v_add_f32_e32 v7, v19, v7
	v_add_f32_e32 v8, v18, v8
	global_store_dwordx2 v[5:6], v[7:8], off
.LBB1080_8:
	s_or_b64 exec, exec, s[4:5]
	v_add_u32_e32 v3, 16, v4
	v_ashrrev_i32_e32 v1, 31, v3
	v_mul_lo_u32 v6, s13, v3
	v_mad_u64_u32 v[4:5], s[2:3], s12, v3, 0
	v_mul_lo_u32 v1, s12, v1
	v_add3_u32 v5, v5, v1, v6
	v_lshlrev_b64 v[4:5], 3, v[4:5]
	v_mov_b32_e32 v1, s7
	v_add_co_u32_e64 v4, s[2:3], s6, v4
	v_addc_co_u32_e64 v5, s[2:3], v1, v5, s[2:3]
	v_cmp_le_i32_e64 s[2:3], v3, v0
	s_and_b64 s[4:5], s[2:3], vcc
	s_and_saveexec_b64 s[2:3], s[4:5]
	s_cbranch_execz .LBB1080_10
; %bb.9:
	v_ashrrev_i32_e32 v1, 31, v0
	v_lshlrev_b64 v[0:1], 3, v[0:1]
	v_add_co_u32_e32 v0, vcc, v4, v0
	v_addc_co_u32_e32 v1, vcc, v5, v1, vcc
	global_load_dwordx2 v[6:7], v[0:1], off
	s_waitcnt vmcnt(0)
	v_add_f32_e32 v6, v17, v6
	v_add_f32_e32 v7, v16, v7
	global_store_dwordx2 v[0:1], v[6:7], off
.LBB1080_10:
	s_or_b64 exec, exec, s[2:3]
	v_cmp_le_i32_e32 vcc, v3, v2
	s_and_b64 s[0:1], vcc, s[0:1]
	s_and_saveexec_b64 s[2:3], s[0:1]
	s_cbranch_execz .LBB1080_12
; %bb.11:
	v_ashrrev_i32_e32 v3, 31, v2
	v_lshlrev_b64 v[0:1], 3, v[2:3]
	v_add_co_u32_e32 v0, vcc, v4, v0
	v_addc_co_u32_e32 v1, vcc, v5, v1, vcc
	global_load_dwordx2 v[2:3], v[0:1], off
	s_waitcnt vmcnt(0)
	v_add_f32_e32 v2, v15, v2
	v_add_f32_e32 v3, v10, v3
	global_store_dwordx2 v[0:1], v[2:3], off
.LBB1080_12:
	s_endpgm
	.section	.rodata,"a",@progbits
	.p2align	6, 0x0
	.amdhsa_kernel _ZL37rocblas_syrkx_herkx_restricted_kernelIl19rocblas_complex_numIfELi16ELi32ELi8ELi1ELi1ELb0ELc84ELc76EKS1_S1_EviT_PT9_S3_lS5_S3_lPT10_S3_li
		.amdhsa_group_segment_fixed_size 4096
		.amdhsa_private_segment_fixed_size 0
		.amdhsa_kernarg_size 92
		.amdhsa_user_sgpr_count 6
		.amdhsa_user_sgpr_private_segment_buffer 1
		.amdhsa_user_sgpr_dispatch_ptr 0
		.amdhsa_user_sgpr_queue_ptr 0
		.amdhsa_user_sgpr_kernarg_segment_ptr 1
		.amdhsa_user_sgpr_dispatch_id 0
		.amdhsa_user_sgpr_flat_scratch_init 0
		.amdhsa_user_sgpr_private_segment_size 0
		.amdhsa_uses_dynamic_stack 0
		.amdhsa_system_sgpr_private_segment_wavefront_offset 0
		.amdhsa_system_sgpr_workgroup_id_x 1
		.amdhsa_system_sgpr_workgroup_id_y 1
		.amdhsa_system_sgpr_workgroup_id_z 1
		.amdhsa_system_sgpr_workgroup_info 0
		.amdhsa_system_vgpr_workitem_id 1
		.amdhsa_next_free_vgpr 41
		.amdhsa_next_free_sgpr 28
		.amdhsa_reserve_vcc 1
		.amdhsa_reserve_flat_scratch 0
		.amdhsa_float_round_mode_32 0
		.amdhsa_float_round_mode_16_64 0
		.amdhsa_float_denorm_mode_32 3
		.amdhsa_float_denorm_mode_16_64 3
		.amdhsa_dx10_clamp 1
		.amdhsa_ieee_mode 1
		.amdhsa_fp16_overflow 0
		.amdhsa_exception_fp_ieee_invalid_op 0
		.amdhsa_exception_fp_denorm_src 0
		.amdhsa_exception_fp_ieee_div_zero 0
		.amdhsa_exception_fp_ieee_overflow 0
		.amdhsa_exception_fp_ieee_underflow 0
		.amdhsa_exception_fp_ieee_inexact 0
		.amdhsa_exception_int_div_zero 0
	.end_amdhsa_kernel
	.section	.text._ZL37rocblas_syrkx_herkx_restricted_kernelIl19rocblas_complex_numIfELi16ELi32ELi8ELi1ELi1ELb0ELc84ELc76EKS1_S1_EviT_PT9_S3_lS5_S3_lPT10_S3_li,"axG",@progbits,_ZL37rocblas_syrkx_herkx_restricted_kernelIl19rocblas_complex_numIfELi16ELi32ELi8ELi1ELi1ELb0ELc84ELc76EKS1_S1_EviT_PT9_S3_lS5_S3_lPT10_S3_li,comdat
.Lfunc_end1080:
	.size	_ZL37rocblas_syrkx_herkx_restricted_kernelIl19rocblas_complex_numIfELi16ELi32ELi8ELi1ELi1ELb0ELc84ELc76EKS1_S1_EviT_PT9_S3_lS5_S3_lPT10_S3_li, .Lfunc_end1080-_ZL37rocblas_syrkx_herkx_restricted_kernelIl19rocblas_complex_numIfELi16ELi32ELi8ELi1ELi1ELb0ELc84ELc76EKS1_S1_EviT_PT9_S3_lS5_S3_lPT10_S3_li
                                        ; -- End function
	.set _ZL37rocblas_syrkx_herkx_restricted_kernelIl19rocblas_complex_numIfELi16ELi32ELi8ELi1ELi1ELb0ELc84ELc76EKS1_S1_EviT_PT9_S3_lS5_S3_lPT10_S3_li.num_vgpr, 41
	.set _ZL37rocblas_syrkx_herkx_restricted_kernelIl19rocblas_complex_numIfELi16ELi32ELi8ELi1ELi1ELb0ELc84ELc76EKS1_S1_EviT_PT9_S3_lS5_S3_lPT10_S3_li.num_agpr, 0
	.set _ZL37rocblas_syrkx_herkx_restricted_kernelIl19rocblas_complex_numIfELi16ELi32ELi8ELi1ELi1ELb0ELc84ELc76EKS1_S1_EviT_PT9_S3_lS5_S3_lPT10_S3_li.numbered_sgpr, 28
	.set _ZL37rocblas_syrkx_herkx_restricted_kernelIl19rocblas_complex_numIfELi16ELi32ELi8ELi1ELi1ELb0ELc84ELc76EKS1_S1_EviT_PT9_S3_lS5_S3_lPT10_S3_li.num_named_barrier, 0
	.set _ZL37rocblas_syrkx_herkx_restricted_kernelIl19rocblas_complex_numIfELi16ELi32ELi8ELi1ELi1ELb0ELc84ELc76EKS1_S1_EviT_PT9_S3_lS5_S3_lPT10_S3_li.private_seg_size, 0
	.set _ZL37rocblas_syrkx_herkx_restricted_kernelIl19rocblas_complex_numIfELi16ELi32ELi8ELi1ELi1ELb0ELc84ELc76EKS1_S1_EviT_PT9_S3_lS5_S3_lPT10_S3_li.uses_vcc, 1
	.set _ZL37rocblas_syrkx_herkx_restricted_kernelIl19rocblas_complex_numIfELi16ELi32ELi8ELi1ELi1ELb0ELc84ELc76EKS1_S1_EviT_PT9_S3_lS5_S3_lPT10_S3_li.uses_flat_scratch, 0
	.set _ZL37rocblas_syrkx_herkx_restricted_kernelIl19rocblas_complex_numIfELi16ELi32ELi8ELi1ELi1ELb0ELc84ELc76EKS1_S1_EviT_PT9_S3_lS5_S3_lPT10_S3_li.has_dyn_sized_stack, 0
	.set _ZL37rocblas_syrkx_herkx_restricted_kernelIl19rocblas_complex_numIfELi16ELi32ELi8ELi1ELi1ELb0ELc84ELc76EKS1_S1_EviT_PT9_S3_lS5_S3_lPT10_S3_li.has_recursion, 0
	.set _ZL37rocblas_syrkx_herkx_restricted_kernelIl19rocblas_complex_numIfELi16ELi32ELi8ELi1ELi1ELb0ELc84ELc76EKS1_S1_EviT_PT9_S3_lS5_S3_lPT10_S3_li.has_indirect_call, 0
	.section	.AMDGPU.csdata,"",@progbits
; Kernel info:
; codeLenInByte = 2040
; TotalNumSgprs: 32
; NumVgprs: 41
; ScratchSize: 0
; MemoryBound: 0
; FloatMode: 240
; IeeeMode: 1
; LDSByteSize: 4096 bytes/workgroup (compile time only)
; SGPRBlocks: 3
; VGPRBlocks: 10
; NumSGPRsForWavesPerEU: 32
; NumVGPRsForWavesPerEU: 41
; Occupancy: 5
; WaveLimiterHint : 1
; COMPUTE_PGM_RSRC2:SCRATCH_EN: 0
; COMPUTE_PGM_RSRC2:USER_SGPR: 6
; COMPUTE_PGM_RSRC2:TRAP_HANDLER: 0
; COMPUTE_PGM_RSRC2:TGID_X_EN: 1
; COMPUTE_PGM_RSRC2:TGID_Y_EN: 1
; COMPUTE_PGM_RSRC2:TGID_Z_EN: 1
; COMPUTE_PGM_RSRC2:TIDIG_COMP_CNT: 1
	.section	.text._ZL37rocblas_syrkx_herkx_restricted_kernelIl19rocblas_complex_numIfELi16ELi32ELi8ELi1ELi1ELb0ELc67ELc76EKS1_S1_EviT_PT9_S3_lS5_S3_lPT10_S3_li,"axG",@progbits,_ZL37rocblas_syrkx_herkx_restricted_kernelIl19rocblas_complex_numIfELi16ELi32ELi8ELi1ELi1ELb0ELc67ELc76EKS1_S1_EviT_PT9_S3_lS5_S3_lPT10_S3_li,comdat
	.globl	_ZL37rocblas_syrkx_herkx_restricted_kernelIl19rocblas_complex_numIfELi16ELi32ELi8ELi1ELi1ELb0ELc67ELc76EKS1_S1_EviT_PT9_S3_lS5_S3_lPT10_S3_li ; -- Begin function _ZL37rocblas_syrkx_herkx_restricted_kernelIl19rocblas_complex_numIfELi16ELi32ELi8ELi1ELi1ELb0ELc67ELc76EKS1_S1_EviT_PT9_S3_lS5_S3_lPT10_S3_li
	.p2align	8
	.type	_ZL37rocblas_syrkx_herkx_restricted_kernelIl19rocblas_complex_numIfELi16ELi32ELi8ELi1ELi1ELb0ELc67ELc76EKS1_S1_EviT_PT9_S3_lS5_S3_lPT10_S3_li,@function
_ZL37rocblas_syrkx_herkx_restricted_kernelIl19rocblas_complex_numIfELi16ELi32ELi8ELi1ELi1ELb0ELc67ELc76EKS1_S1_EviT_PT9_S3_lS5_S3_lPT10_S3_li: ; @_ZL37rocblas_syrkx_herkx_restricted_kernelIl19rocblas_complex_numIfELi16ELi32ELi8ELi1ELi1ELb0ELc67ELc76EKS1_S1_EviT_PT9_S3_lS5_S3_lPT10_S3_li
; %bb.0:
	s_load_dwordx16 s[12:27], s[4:5], 0x8
	s_lshl_b32 s2, s6, 5
	s_lshl_b32 s3, s7, 5
	s_waitcnt lgkmcnt(0)
	v_cmp_lt_i64_e64 s[0:1], s[12:13], 1
	s_and_b64 vcc, exec, s[0:1]
	s_cbranch_vccnz .LBB1081_3
; %bb.1:
	v_lshl_add_u32 v4, v1, 4, v0
	v_lshrrev_b32_e32 v6, 3, v4
	v_add_u32_e32 v2, s3, v6
	v_ashrrev_i32_e32 v3, 31, v2
	v_and_b32_e32 v9, 7, v0
	v_mov_b32_e32 v10, 0
	v_mul_lo_u32 v5, s22, v3
	v_mul_lo_u32 v7, s23, v2
	v_mad_u64_u32 v[2:3], s[0:1], s22, v2, v[9:10]
	s_mul_i32 s6, s19, s8
	s_mul_hi_u32 s7, s18, s8
	v_add3_u32 v3, v7, v3, v5
	v_and_b32_e32 v7, 31, v4
	v_lshrrev_b32_e32 v4, 5, v4
	v_lshlrev_b32_e32 v8, 3, v7
	v_lshl_or_b32 v11, v4, 8, v8
	v_lshlrev_b32_e32 v8, 3, v9
	v_lshl_or_b32 v6, v6, 6, v8
	v_add_u32_e32 v12, 0x800, v6
	v_mov_b32_e32 v6, 0x800
	v_lshl_add_u32 v14, v1, 6, v6
	v_add_u32_e32 v6, s2, v7
	v_mov_b32_e32 v5, v10
	v_ashrrev_i32_e32 v7, 31, v6
	v_mul_lo_u32 v7, s16, v7
	v_mad_u64_u32 v[4:5], s[0:1], s16, v6, v[4:5]
	v_mul_lo_u32 v6, s17, v6
	s_add_i32 s1, s7, s6
	s_mul_i32 s0, s18, s8
	s_lshl_b64 s[0:1], s[0:1], 3
	v_add3_u32 v5, v6, v5, v7
	v_lshlrev_b64 v[4:5], 3, v[4:5]
	s_add_u32 s0, s14, s0
	s_addc_u32 s1, s15, s1
	v_mov_b32_e32 v6, s1
	v_add_co_u32_e32 v4, vcc, s0, v4
	s_mul_i32 s0, s25, s8
	s_mul_hi_u32 s1, s24, s8
	s_add_i32 s1, s1, s0
	s_mul_i32 s0, s24, s8
	v_addc_co_u32_e32 v5, vcc, v6, v5, vcc
	s_lshl_b64 s[0:1], s[0:1], 3
	v_add_co_u32_e32 v6, vcc, 4, v4
	v_lshlrev_b64 v[2:3], 3, v[2:3]
	s_add_u32 s0, s20, s0
	v_addc_co_u32_e32 v7, vcc, 0, v5, vcc
	s_addc_u32 s1, s21, s1
	v_mov_b32_e32 v4, s1
	v_add_co_u32_e32 v2, vcc, s0, v2
	v_addc_co_u32_e32 v3, vcc, v4, v3, vcc
	v_add_co_u32_e32 v8, vcc, 4, v2
	v_lshlrev_b32_e32 v13, 3, v0
	v_addc_co_u32_e32 v9, vcc, 0, v3, vcc
	s_mov_b64 s[0:1], 0
	v_mov_b32_e32 v15, v10
	v_mov_b32_e32 v16, v10
	;; [unrolled: 1-line block ×7, first 2 shown]
.LBB1081_2:                             ; =>This Inner Loop Header: Depth=1
	global_load_dwordx2 v[2:3], v[6:7], off offset:-4
	s_add_u32 s0, s0, 8
	v_add_co_u32_e32 v6, vcc, 64, v6
	s_addc_u32 s1, s1, 0
	v_addc_co_u32_e32 v7, vcc, 0, v7, vcc
	s_waitcnt vmcnt(0)
	ds_write_b64 v11, v[2:3]
	global_load_dwordx2 v[2:3], v[8:9], off offset:-4
	v_add_co_u32_e32 v8, vcc, 64, v8
	v_addc_co_u32_e32 v9, vcc, 0, v9, vcc
	s_waitcnt vmcnt(0)
	ds_write_b64 v12, v[2:3]
	s_waitcnt lgkmcnt(0)
	s_barrier
	ds_read_b128 v[22:25], v14
	ds_read_b128 v[26:29], v14 offset:16
	ds_read_b128 v[30:33], v14 offset:32
	;; [unrolled: 1-line block ×3, first 2 shown]
	ds_read2_b64 v[34:37], v13 offset1:16
	s_waitcnt lgkmcnt(0)
	v_mul_f32_e32 v38, v23, v35
	v_mul_f32_e32 v39, v22, v35
	v_fma_f32 v38, v22, v34, -v38
	v_fmac_f32_e32 v39, v23, v34
	v_add_f32_e32 v38, v20, v38
	v_add_f32_e32 v39, v21, v39
	v_mul_f32_e32 v20, v23, v37
	v_mul_f32_e32 v21, v22, v37
	v_fma_f32 v20, v22, v36, -v20
	v_fmac_f32_e32 v21, v23, v36
	v_add_f32_e32 v22, v19, v20
	v_add_f32_e32 v23, v18, v21
	ds_read_b128 v[18:21], v14 offset:1024
	s_waitcnt lgkmcnt(0)
	v_mul_f32_e32 v40, v19, v35
	v_mul_f32_e32 v35, v18, v35
	v_fma_f32 v40, v18, v34, -v40
	v_fmac_f32_e32 v35, v19, v34
	v_add_f32_e32 v34, v17, v40
	v_add_f32_e32 v35, v16, v35
	v_mul_f32_e32 v16, v19, v37
	v_mul_f32_e32 v17, v18, v37
	v_fma_f32 v16, v18, v36, -v16
	v_fmac_f32_e32 v17, v19, v36
	v_add_f32_e32 v19, v15, v16
	v_add_f32_e32 v10, v10, v17
	ds_read2_b64 v[15:18], v13 offset0:32 offset1:48
	s_waitcnt lgkmcnt(0)
	v_mul_f32_e32 v36, v25, v16
	v_fma_f32 v36, v24, v15, -v36
	v_add_f32_e32 v36, v38, v36
	v_mul_f32_e32 v38, v25, v18
	v_mul_f32_e32 v37, v24, v16
	v_fma_f32 v38, v24, v17, -v38
	v_mul_f32_e32 v24, v24, v18
	v_fmac_f32_e32 v24, v25, v17
	v_add_f32_e32 v23, v23, v24
	v_mul_f32_e32 v24, v21, v16
	v_mul_f32_e32 v16, v20, v16
	v_fmac_f32_e32 v16, v21, v15
	v_fmac_f32_e32 v37, v25, v15
	v_fma_f32 v24, v20, v15, -v24
	v_add_f32_e32 v25, v35, v16
	v_mul_f32_e32 v15, v21, v18
	v_mul_f32_e32 v16, v20, v18
	v_fma_f32 v15, v20, v17, -v15
	v_fmac_f32_e32 v16, v21, v17
	v_add_f32_e32 v24, v34, v24
	v_add_f32_e32 v34, v19, v15
	;; [unrolled: 1-line block ×3, first 2 shown]
	ds_read2_b64 v[15:18], v13 offset0:64 offset1:80
	v_add_f32_e32 v37, v39, v37
	v_add_f32_e32 v22, v22, v38
	s_waitcnt lgkmcnt(0)
	v_mul_f32_e32 v19, v27, v16
	v_mul_f32_e32 v20, v26, v16
	v_fma_f32 v19, v26, v15, -v19
	v_fmac_f32_e32 v20, v27, v15
	v_add_f32_e32 v35, v36, v19
	v_add_f32_e32 v36, v37, v20
	v_mul_f32_e32 v19, v27, v18
	v_mul_f32_e32 v20, v26, v18
	v_fma_f32 v19, v26, v17, -v19
	v_fmac_f32_e32 v20, v27, v17
	v_add_f32_e32 v26, v22, v19
	v_add_f32_e32 v23, v23, v20
	ds_read_b128 v[19:22], v14 offset:1040
	s_waitcnt lgkmcnt(0)
	v_mul_f32_e32 v27, v20, v16
	v_mul_f32_e32 v16, v19, v16
	v_fmac_f32_e32 v16, v20, v15
	v_fma_f32 v27, v19, v15, -v27
	v_add_f32_e32 v25, v25, v16
	v_mul_f32_e32 v15, v20, v18
	v_mul_f32_e32 v16, v19, v18
	v_fma_f32 v15, v19, v17, -v15
	v_fmac_f32_e32 v16, v20, v17
	v_add_f32_e32 v19, v34, v15
	v_add_f32_e32 v10, v10, v16
	ds_read2_b64 v[15:18], v13 offset0:96 offset1:112
	v_add_f32_e32 v24, v24, v27
	s_waitcnt lgkmcnt(0)
	v_mul_f32_e32 v20, v29, v16
	v_mul_f32_e32 v34, v29, v18
	v_fma_f32 v20, v28, v15, -v20
	v_mul_f32_e32 v27, v28, v16
	v_fma_f32 v34, v28, v17, -v34
	v_mul_f32_e32 v28, v28, v18
	v_fmac_f32_e32 v28, v29, v17
	v_add_f32_e32 v23, v23, v28
	v_mul_f32_e32 v28, v22, v16
	v_mul_f32_e32 v16, v21, v16
	v_fmac_f32_e32 v16, v22, v15
	v_fmac_f32_e32 v27, v29, v15
	v_fma_f32 v28, v21, v15, -v28
	v_add_f32_e32 v25, v25, v16
	v_mul_f32_e32 v15, v22, v18
	v_mul_f32_e32 v16, v21, v18
	v_fma_f32 v15, v21, v17, -v15
	v_fmac_f32_e32 v16, v22, v17
	v_add_f32_e32 v24, v24, v28
	v_add_f32_e32 v28, v19, v15
	;; [unrolled: 1-line block ×3, first 2 shown]
	ds_read2_b64 v[15:18], v13 offset0:128 offset1:144
	v_add_f32_e32 v20, v35, v20
	v_add_f32_e32 v27, v36, v27
	v_add_f32_e32 v26, v26, v34
	s_waitcnt lgkmcnt(0)
	v_mul_f32_e32 v19, v31, v16
	v_fma_f32 v19, v30, v15, -v19
	v_mul_f32_e32 v21, v30, v16
	v_add_f32_e32 v29, v20, v19
	v_mul_f32_e32 v19, v31, v18
	v_mul_f32_e32 v20, v30, v18
	v_fmac_f32_e32 v21, v31, v15
	v_fma_f32 v19, v30, v17, -v19
	v_fmac_f32_e32 v20, v31, v17
	v_add_f32_e32 v27, v27, v21
	v_add_f32_e32 v26, v26, v19
	;; [unrolled: 1-line block ×3, first 2 shown]
	ds_read_b128 v[19:22], v14 offset:1056
	s_waitcnt lgkmcnt(0)
	v_mul_f32_e32 v30, v20, v16
	v_mul_f32_e32 v16, v19, v16
	v_fmac_f32_e32 v16, v20, v15
	v_fma_f32 v30, v19, v15, -v30
	v_add_f32_e32 v25, v25, v16
	v_mul_f32_e32 v15, v20, v18
	v_mul_f32_e32 v16, v19, v18
	v_fma_f32 v15, v19, v17, -v15
	v_fmac_f32_e32 v16, v20, v17
	v_add_f32_e32 v19, v28, v15
	v_add_f32_e32 v10, v10, v16
	ds_read2_b64 v[15:18], v13 offset0:160 offset1:176
	v_add_f32_e32 v24, v24, v30
	s_waitcnt lgkmcnt(0)
	v_mul_f32_e32 v28, v32, v16
	v_fmac_f32_e32 v28, v33, v15
	v_add_f32_e32 v27, v27, v28
	v_mul_f32_e32 v28, v33, v18
	v_fma_f32 v28, v32, v17, -v28
	v_mul_f32_e32 v20, v33, v16
	v_add_f32_e32 v26, v26, v28
	v_mul_f32_e32 v28, v22, v16
	v_mul_f32_e32 v16, v21, v16
	v_fmac_f32_e32 v16, v22, v15
	v_fma_f32 v20, v32, v15, -v20
	v_fma_f32 v28, v21, v15, -v28
	v_add_f32_e32 v25, v25, v16
	v_mul_f32_e32 v15, v22, v18
	v_mul_f32_e32 v16, v21, v18
	v_add_f32_e32 v20, v29, v20
	v_mul_f32_e32 v29, v32, v18
	v_fma_f32 v15, v21, v17, -v15
	v_fmac_f32_e32 v16, v22, v17
	v_fmac_f32_e32 v29, v33, v17
	v_add_f32_e32 v19, v19, v15
	v_add_f32_e32 v10, v10, v16
	ds_read2_b64 v[15:18], v13 offset0:192 offset1:208
	v_add_f32_e32 v24, v24, v28
	v_add_f32_e32 v23, v23, v29
	s_waitcnt lgkmcnt(0)
	v_mul_f32_e32 v21, v3, v16
	v_fma_f32 v21, v2, v15, -v21
	v_add_f32_e32 v28, v20, v21
	v_mul_f32_e32 v20, v3, v18
	v_mul_f32_e32 v22, v2, v16
	v_fma_f32 v20, v2, v17, -v20
	v_mul_f32_e32 v2, v2, v18
	v_fmac_f32_e32 v22, v3, v15
	v_fmac_f32_e32 v2, v3, v17
	v_add_f32_e32 v29, v27, v22
	v_add_f32_e32 v3, v26, v20
	;; [unrolled: 1-line block ×3, first 2 shown]
	ds_read_b128 v[20:23], v14 offset:1072
	s_waitcnt lgkmcnt(0)
	v_mul_f32_e32 v26, v21, v16
	v_fma_f32 v26, v20, v15, -v26
	v_mul_f32_e32 v16, v20, v16
	v_fmac_f32_e32 v16, v21, v15
	v_add_f32_e32 v15, v24, v26
	v_mul_f32_e32 v24, v21, v18
	v_fma_f32 v24, v20, v17, -v24
	v_add_f32_e32 v16, v25, v16
	v_add_f32_e32 v30, v19, v24
	ds_read2_b64 v[24:27], v13 offset0:224 offset1:240
	v_mul_f32_e32 v18, v20, v18
	v_fmac_f32_e32 v18, v21, v17
	v_add_f32_e32 v10, v10, v18
	s_waitcnt lgkmcnt(0)
	v_mul_f32_e32 v17, v5, v25
	v_fma_f32 v17, v4, v24, -v17
	v_add_f32_e32 v20, v28, v17
	v_mul_f32_e32 v17, v5, v27
	v_mul_f32_e32 v18, v4, v25
	v_fma_f32 v17, v4, v26, -v17
	v_mul_f32_e32 v4, v4, v27
	v_fmac_f32_e32 v18, v5, v24
	v_fmac_f32_e32 v4, v5, v26
	v_add_f32_e32 v21, v29, v18
	v_add_f32_e32 v19, v3, v17
	;; [unrolled: 1-line block ×3, first 2 shown]
	v_mul_f32_e32 v2, v23, v25
	v_mul_f32_e32 v3, v22, v25
	v_fma_f32 v2, v22, v24, -v2
	v_fmac_f32_e32 v3, v23, v24
	v_add_f32_e32 v17, v15, v2
	v_add_f32_e32 v16, v16, v3
	v_mul_f32_e32 v2, v23, v27
	v_mul_f32_e32 v3, v22, v27
	v_fma_f32 v2, v22, v26, -v2
	v_fmac_f32_e32 v3, v23, v26
	v_add_f32_e32 v15, v30, v2
	v_add_f32_e32 v10, v10, v3
	v_mov_b32_e32 v3, s1
	v_mov_b32_e32 v2, s0
	v_cmp_le_u64_e32 vcc, s[12:13], v[2:3]
	s_barrier
	s_cbranch_vccz .LBB1081_2
	s_branch .LBB1081_4
.LBB1081_3:
	v_mov_b32_e32 v20, 0
	v_mov_b32_e32 v21, 0
	;; [unrolled: 1-line block ×8, first 2 shown]
.LBB1081_4:
	s_load_dwordx4 s[12:15], s[4:5], 0x48
	s_load_dword s9, s[4:5], 0x0
	v_add_u32_e32 v4, s3, v1
	v_ashrrev_i32_e32 v1, 31, v4
	v_add_u32_e32 v0, s2, v0
	s_waitcnt lgkmcnt(0)
	v_mul_lo_u32 v3, s12, v1
	v_mul_lo_u32 v5, s13, v4
	v_mad_u64_u32 v[1:2], s[4:5], s12, v4, 0
	s_mul_i32 s1, s15, s8
	s_mul_hi_u32 s3, s14, s8
	s_mul_i32 s0, s14, s8
	s_add_i32 s1, s3, s1
	s_lshl_b64 s[0:1], s[0:1], 3
	v_add3_u32 v2, v2, v3, v5
	s_add_u32 s6, s26, s0
	v_lshlrev_b64 v[1:2], 3, v[1:2]
	s_addc_u32 s7, s27, s1
	v_mov_b32_e32 v3, s7
	v_add_co_u32_e32 v5, vcc, s6, v1
	v_addc_co_u32_e32 v6, vcc, v3, v2, vcc
	v_cmp_le_i32_e64 s[0:1], v4, v0
	v_cmp_gt_i32_e32 vcc, s9, v0
	s_and_b64 s[0:1], s[0:1], vcc
	s_and_saveexec_b64 s[2:3], s[0:1]
	s_cbranch_execz .LBB1081_6
; %bb.5:
	v_ashrrev_i32_e32 v1, 31, v0
	v_lshlrev_b64 v[1:2], 3, v[0:1]
	v_add_co_u32_e64 v1, s[0:1], v5, v1
	v_addc_co_u32_e64 v2, s[0:1], v6, v2, s[0:1]
	global_load_dwordx2 v[7:8], v[1:2], off
	s_waitcnt vmcnt(0)
	v_add_f32_e32 v7, v20, v7
	v_add_f32_e32 v8, v21, v8
	global_store_dwordx2 v[1:2], v[7:8], off
.LBB1081_6:
	s_or_b64 exec, exec, s[2:3]
	v_add_u32_e32 v2, 16, v0
	v_cmp_le_i32_e64 s[2:3], v4, v2
	v_cmp_gt_i32_e64 s[0:1], s9, v2
	s_and_b64 s[2:3], s[2:3], s[0:1]
	s_and_saveexec_b64 s[4:5], s[2:3]
	s_cbranch_execz .LBB1081_8
; %bb.7:
	v_ashrrev_i32_e32 v3, 31, v2
	v_lshlrev_b64 v[7:8], 3, v[2:3]
	v_add_co_u32_e64 v5, s[2:3], v5, v7
	v_addc_co_u32_e64 v6, s[2:3], v6, v8, s[2:3]
	global_load_dwordx2 v[7:8], v[5:6], off
	s_waitcnt vmcnt(0)
	v_add_f32_e32 v7, v19, v7
	v_add_f32_e32 v8, v18, v8
	global_store_dwordx2 v[5:6], v[7:8], off
.LBB1081_8:
	s_or_b64 exec, exec, s[4:5]
	v_add_u32_e32 v3, 16, v4
	v_ashrrev_i32_e32 v1, 31, v3
	v_mul_lo_u32 v6, s13, v3
	v_mad_u64_u32 v[4:5], s[2:3], s12, v3, 0
	v_mul_lo_u32 v1, s12, v1
	v_add3_u32 v5, v5, v1, v6
	v_lshlrev_b64 v[4:5], 3, v[4:5]
	v_mov_b32_e32 v1, s7
	v_add_co_u32_e64 v4, s[2:3], s6, v4
	v_addc_co_u32_e64 v5, s[2:3], v1, v5, s[2:3]
	v_cmp_le_i32_e64 s[2:3], v3, v0
	s_and_b64 s[4:5], s[2:3], vcc
	s_and_saveexec_b64 s[2:3], s[4:5]
	s_cbranch_execz .LBB1081_10
; %bb.9:
	v_ashrrev_i32_e32 v1, 31, v0
	v_lshlrev_b64 v[0:1], 3, v[0:1]
	v_add_co_u32_e32 v0, vcc, v4, v0
	v_addc_co_u32_e32 v1, vcc, v5, v1, vcc
	global_load_dwordx2 v[6:7], v[0:1], off
	s_waitcnt vmcnt(0)
	v_add_f32_e32 v6, v17, v6
	v_add_f32_e32 v7, v16, v7
	global_store_dwordx2 v[0:1], v[6:7], off
.LBB1081_10:
	s_or_b64 exec, exec, s[2:3]
	v_cmp_le_i32_e32 vcc, v3, v2
	s_and_b64 s[0:1], vcc, s[0:1]
	s_and_saveexec_b64 s[2:3], s[0:1]
	s_cbranch_execz .LBB1081_12
; %bb.11:
	v_ashrrev_i32_e32 v3, 31, v2
	v_lshlrev_b64 v[0:1], 3, v[2:3]
	v_add_co_u32_e32 v0, vcc, v4, v0
	v_addc_co_u32_e32 v1, vcc, v5, v1, vcc
	global_load_dwordx2 v[2:3], v[0:1], off
	s_waitcnt vmcnt(0)
	v_add_f32_e32 v2, v15, v2
	v_add_f32_e32 v3, v10, v3
	global_store_dwordx2 v[0:1], v[2:3], off
.LBB1081_12:
	s_endpgm
	.section	.rodata,"a",@progbits
	.p2align	6, 0x0
	.amdhsa_kernel _ZL37rocblas_syrkx_herkx_restricted_kernelIl19rocblas_complex_numIfELi16ELi32ELi8ELi1ELi1ELb0ELc67ELc76EKS1_S1_EviT_PT9_S3_lS5_S3_lPT10_S3_li
		.amdhsa_group_segment_fixed_size 4096
		.amdhsa_private_segment_fixed_size 0
		.amdhsa_kernarg_size 92
		.amdhsa_user_sgpr_count 6
		.amdhsa_user_sgpr_private_segment_buffer 1
		.amdhsa_user_sgpr_dispatch_ptr 0
		.amdhsa_user_sgpr_queue_ptr 0
		.amdhsa_user_sgpr_kernarg_segment_ptr 1
		.amdhsa_user_sgpr_dispatch_id 0
		.amdhsa_user_sgpr_flat_scratch_init 0
		.amdhsa_user_sgpr_private_segment_size 0
		.amdhsa_uses_dynamic_stack 0
		.amdhsa_system_sgpr_private_segment_wavefront_offset 0
		.amdhsa_system_sgpr_workgroup_id_x 1
		.amdhsa_system_sgpr_workgroup_id_y 1
		.amdhsa_system_sgpr_workgroup_id_z 1
		.amdhsa_system_sgpr_workgroup_info 0
		.amdhsa_system_vgpr_workitem_id 1
		.amdhsa_next_free_vgpr 41
		.amdhsa_next_free_sgpr 28
		.amdhsa_reserve_vcc 1
		.amdhsa_reserve_flat_scratch 0
		.amdhsa_float_round_mode_32 0
		.amdhsa_float_round_mode_16_64 0
		.amdhsa_float_denorm_mode_32 3
		.amdhsa_float_denorm_mode_16_64 3
		.amdhsa_dx10_clamp 1
		.amdhsa_ieee_mode 1
		.amdhsa_fp16_overflow 0
		.amdhsa_exception_fp_ieee_invalid_op 0
		.amdhsa_exception_fp_denorm_src 0
		.amdhsa_exception_fp_ieee_div_zero 0
		.amdhsa_exception_fp_ieee_overflow 0
		.amdhsa_exception_fp_ieee_underflow 0
		.amdhsa_exception_fp_ieee_inexact 0
		.amdhsa_exception_int_div_zero 0
	.end_amdhsa_kernel
	.section	.text._ZL37rocblas_syrkx_herkx_restricted_kernelIl19rocblas_complex_numIfELi16ELi32ELi8ELi1ELi1ELb0ELc67ELc76EKS1_S1_EviT_PT9_S3_lS5_S3_lPT10_S3_li,"axG",@progbits,_ZL37rocblas_syrkx_herkx_restricted_kernelIl19rocblas_complex_numIfELi16ELi32ELi8ELi1ELi1ELb0ELc67ELc76EKS1_S1_EviT_PT9_S3_lS5_S3_lPT10_S3_li,comdat
.Lfunc_end1081:
	.size	_ZL37rocblas_syrkx_herkx_restricted_kernelIl19rocblas_complex_numIfELi16ELi32ELi8ELi1ELi1ELb0ELc67ELc76EKS1_S1_EviT_PT9_S3_lS5_S3_lPT10_S3_li, .Lfunc_end1081-_ZL37rocblas_syrkx_herkx_restricted_kernelIl19rocblas_complex_numIfELi16ELi32ELi8ELi1ELi1ELb0ELc67ELc76EKS1_S1_EviT_PT9_S3_lS5_S3_lPT10_S3_li
                                        ; -- End function
	.set _ZL37rocblas_syrkx_herkx_restricted_kernelIl19rocblas_complex_numIfELi16ELi32ELi8ELi1ELi1ELb0ELc67ELc76EKS1_S1_EviT_PT9_S3_lS5_S3_lPT10_S3_li.num_vgpr, 41
	.set _ZL37rocblas_syrkx_herkx_restricted_kernelIl19rocblas_complex_numIfELi16ELi32ELi8ELi1ELi1ELb0ELc67ELc76EKS1_S1_EviT_PT9_S3_lS5_S3_lPT10_S3_li.num_agpr, 0
	.set _ZL37rocblas_syrkx_herkx_restricted_kernelIl19rocblas_complex_numIfELi16ELi32ELi8ELi1ELi1ELb0ELc67ELc76EKS1_S1_EviT_PT9_S3_lS5_S3_lPT10_S3_li.numbered_sgpr, 28
	.set _ZL37rocblas_syrkx_herkx_restricted_kernelIl19rocblas_complex_numIfELi16ELi32ELi8ELi1ELi1ELb0ELc67ELc76EKS1_S1_EviT_PT9_S3_lS5_S3_lPT10_S3_li.num_named_barrier, 0
	.set _ZL37rocblas_syrkx_herkx_restricted_kernelIl19rocblas_complex_numIfELi16ELi32ELi8ELi1ELi1ELb0ELc67ELc76EKS1_S1_EviT_PT9_S3_lS5_S3_lPT10_S3_li.private_seg_size, 0
	.set _ZL37rocblas_syrkx_herkx_restricted_kernelIl19rocblas_complex_numIfELi16ELi32ELi8ELi1ELi1ELb0ELc67ELc76EKS1_S1_EviT_PT9_S3_lS5_S3_lPT10_S3_li.uses_vcc, 1
	.set _ZL37rocblas_syrkx_herkx_restricted_kernelIl19rocblas_complex_numIfELi16ELi32ELi8ELi1ELi1ELb0ELc67ELc76EKS1_S1_EviT_PT9_S3_lS5_S3_lPT10_S3_li.uses_flat_scratch, 0
	.set _ZL37rocblas_syrkx_herkx_restricted_kernelIl19rocblas_complex_numIfELi16ELi32ELi8ELi1ELi1ELb0ELc67ELc76EKS1_S1_EviT_PT9_S3_lS5_S3_lPT10_S3_li.has_dyn_sized_stack, 0
	.set _ZL37rocblas_syrkx_herkx_restricted_kernelIl19rocblas_complex_numIfELi16ELi32ELi8ELi1ELi1ELb0ELc67ELc76EKS1_S1_EviT_PT9_S3_lS5_S3_lPT10_S3_li.has_recursion, 0
	.set _ZL37rocblas_syrkx_herkx_restricted_kernelIl19rocblas_complex_numIfELi16ELi32ELi8ELi1ELi1ELb0ELc67ELc76EKS1_S1_EviT_PT9_S3_lS5_S3_lPT10_S3_li.has_indirect_call, 0
	.section	.AMDGPU.csdata,"",@progbits
; Kernel info:
; codeLenInByte = 2040
; TotalNumSgprs: 32
; NumVgprs: 41
; ScratchSize: 0
; MemoryBound: 0
; FloatMode: 240
; IeeeMode: 1
; LDSByteSize: 4096 bytes/workgroup (compile time only)
; SGPRBlocks: 3
; VGPRBlocks: 10
; NumSGPRsForWavesPerEU: 32
; NumVGPRsForWavesPerEU: 41
; Occupancy: 5
; WaveLimiterHint : 1
; COMPUTE_PGM_RSRC2:SCRATCH_EN: 0
; COMPUTE_PGM_RSRC2:USER_SGPR: 6
; COMPUTE_PGM_RSRC2:TRAP_HANDLER: 0
; COMPUTE_PGM_RSRC2:TGID_X_EN: 1
; COMPUTE_PGM_RSRC2:TGID_Y_EN: 1
; COMPUTE_PGM_RSRC2:TGID_Z_EN: 1
; COMPUTE_PGM_RSRC2:TIDIG_COMP_CNT: 1
	.section	.text._ZL37rocblas_syrkx_herkx_restricted_kernelIl19rocblas_complex_numIfELi16ELi32ELi8ELi1ELi1ELb0ELc78ELc76EKS1_S1_EviT_PT9_S3_lS5_S3_lPT10_S3_li,"axG",@progbits,_ZL37rocblas_syrkx_herkx_restricted_kernelIl19rocblas_complex_numIfELi16ELi32ELi8ELi1ELi1ELb0ELc78ELc76EKS1_S1_EviT_PT9_S3_lS5_S3_lPT10_S3_li,comdat
	.globl	_ZL37rocblas_syrkx_herkx_restricted_kernelIl19rocblas_complex_numIfELi16ELi32ELi8ELi1ELi1ELb0ELc78ELc76EKS1_S1_EviT_PT9_S3_lS5_S3_lPT10_S3_li ; -- Begin function _ZL37rocblas_syrkx_herkx_restricted_kernelIl19rocblas_complex_numIfELi16ELi32ELi8ELi1ELi1ELb0ELc78ELc76EKS1_S1_EviT_PT9_S3_lS5_S3_lPT10_S3_li
	.p2align	8
	.type	_ZL37rocblas_syrkx_herkx_restricted_kernelIl19rocblas_complex_numIfELi16ELi32ELi8ELi1ELi1ELb0ELc78ELc76EKS1_S1_EviT_PT9_S3_lS5_S3_lPT10_S3_li,@function
_ZL37rocblas_syrkx_herkx_restricted_kernelIl19rocblas_complex_numIfELi16ELi32ELi8ELi1ELi1ELb0ELc78ELc76EKS1_S1_EviT_PT9_S3_lS5_S3_lPT10_S3_li: ; @_ZL37rocblas_syrkx_herkx_restricted_kernelIl19rocblas_complex_numIfELi16ELi32ELi8ELi1ELi1ELb0ELc78ELc76EKS1_S1_EviT_PT9_S3_lS5_S3_lPT10_S3_li
; %bb.0:
	s_load_dwordx16 s[12:27], s[4:5], 0x8
	s_lshl_b32 s9, s6, 5
	s_lshl_b32 s10, s7, 5
	s_waitcnt lgkmcnt(0)
	v_cmp_lt_i64_e64 s[0:1], s[12:13], 1
	s_and_b64 vcc, exec, s[0:1]
	s_cbranch_vccnz .LBB1082_3
; %bb.1:
	v_lshl_add_u32 v6, v1, 4, v0
	v_lshrrev_b32_e32 v7, 3, v6
	v_add_u32_e32 v2, s10, v7
	v_and_b32_e32 v5, 7, v0
	v_ashrrev_i32_e32 v3, 31, v2
	v_mad_u64_u32 v[2:3], s[0:1], s22, v5, v[2:3]
	v_lshrrev_b32_e32 v8, 5, v6
	s_mul_i32 s2, s19, s8
	v_mad_u64_u32 v[3:4], s[0:1], s23, v5, v[3:4]
	v_and_b32_e32 v4, 31, v6
	v_lshlrev_b32_e32 v5, 3, v5
	v_lshlrev_b32_e32 v6, 3, v4
	v_lshl_or_b32 v5, v7, 6, v5
	v_add_u32_e32 v4, s9, v4
	v_add_u32_e32 v11, 0x800, v5
	v_ashrrev_i32_e32 v5, 31, v4
	v_mad_u64_u32 v[4:5], s[0:1], s16, v8, v[4:5]
	v_lshl_or_b32 v10, v8, 8, v6
	v_mov_b32_e32 v6, 0x800
	v_lshl_add_u32 v13, v1, 6, v6
	v_mad_u64_u32 v[5:6], s[0:1], s17, v8, v[5:6]
	s_mul_hi_u32 s3, s18, s8
	s_add_i32 s1, s3, s2
	s_mul_i32 s0, s18, s8
	s_lshl_b64 s[0:1], s[0:1], 3
	v_lshlrev_b64 v[4:5], 3, v[4:5]
	s_add_u32 s0, s14, s0
	s_addc_u32 s1, s15, s1
	s_mul_i32 s2, s25, s8
	s_mul_hi_u32 s3, s24, s8
	v_mov_b32_e32 v6, s1
	v_add_co_u32_e32 v4, vcc, s0, v4
	s_add_i32 s3, s3, s2
	s_mul_i32 s2, s24, s8
	v_addc_co_u32_e32 v5, vcc, v6, v5, vcc
	s_lshl_b64 s[0:1], s[16:17], 6
	s_lshl_b64 s[2:3], s[2:3], 3
	v_add_co_u32_e32 v6, vcc, 4, v4
	v_lshlrev_b64 v[2:3], 3, v[2:3]
	s_add_u32 s2, s20, s2
	v_addc_co_u32_e32 v7, vcc, 0, v5, vcc
	s_addc_u32 s3, s21, s3
	v_mov_b32_e32 v4, s3
	v_add_co_u32_e32 v2, vcc, s2, v2
	v_addc_co_u32_e32 v3, vcc, v4, v3, vcc
	v_add_co_u32_e32 v8, vcc, 4, v2
	s_lshl_b64 s[2:3], s[22:23], 6
	v_lshlrev_b32_e32 v12, 3, v0
	v_addc_co_u32_e32 v9, vcc, 0, v3, vcc
	v_mov_b32_e32 v16, 0
	s_mov_b64 s[6:7], 0
	v_mov_b32_e32 v14, s1
	v_mov_b32_e32 v15, s3
	;; [unrolled: 1-line block ×9, first 2 shown]
.LBB1082_2:                             ; =>This Inner Loop Header: Depth=1
	global_load_dwordx2 v[2:3], v[6:7], off offset:-4
	v_add_co_u32_e32 v6, vcc, s0, v6
	s_add_u32 s6, s6, 8
	v_addc_co_u32_e32 v7, vcc, v7, v14, vcc
	s_addc_u32 s7, s7, 0
	s_waitcnt vmcnt(0)
	ds_write_b64 v10, v[2:3]
	global_load_dwordx2 v[2:3], v[8:9], off offset:-4
	v_add_co_u32_e32 v8, vcc, s2, v8
	v_addc_co_u32_e32 v9, vcc, v9, v15, vcc
	s_waitcnt vmcnt(0)
	ds_write_b64 v11, v[2:3]
	s_waitcnt lgkmcnt(0)
	s_barrier
	ds_read_b128 v[24:27], v13
	ds_read_b128 v[28:31], v13 offset:16
	ds_read_b128 v[32:35], v13 offset:32
	;; [unrolled: 1-line block ×3, first 2 shown]
	ds_read2_b64 v[36:39], v12 offset1:16
	s_waitcnt lgkmcnt(0)
	v_mul_f32_e32 v40, v25, v37
	v_mul_f32_e32 v41, v24, v37
	v_fma_f32 v40, v24, v36, -v40
	v_fmac_f32_e32 v41, v25, v36
	v_add_f32_e32 v40, v22, v40
	v_add_f32_e32 v41, v23, v41
	v_mul_f32_e32 v22, v25, v39
	v_mul_f32_e32 v23, v24, v39
	v_fma_f32 v22, v24, v38, -v22
	v_fmac_f32_e32 v23, v25, v38
	v_add_f32_e32 v24, v21, v22
	v_add_f32_e32 v25, v20, v23
	ds_read_b128 v[20:23], v13 offset:1024
	s_waitcnt lgkmcnt(0)
	v_mul_f32_e32 v42, v21, v37
	v_mul_f32_e32 v37, v20, v37
	v_fma_f32 v42, v20, v36, -v42
	v_fmac_f32_e32 v37, v21, v36
	v_add_f32_e32 v36, v19, v42
	v_add_f32_e32 v37, v18, v37
	v_mul_f32_e32 v18, v21, v39
	v_mul_f32_e32 v19, v20, v39
	v_fma_f32 v18, v20, v38, -v18
	v_fmac_f32_e32 v19, v21, v38
	v_add_f32_e32 v20, v17, v18
	v_add_f32_e32 v21, v16, v19
	ds_read2_b64 v[16:19], v12 offset0:32 offset1:48
	s_waitcnt lgkmcnt(0)
	v_mul_f32_e32 v38, v27, v17
	v_fma_f32 v38, v26, v16, -v38
	v_add_f32_e32 v38, v40, v38
	v_mul_f32_e32 v40, v27, v19
	v_mul_f32_e32 v39, v26, v17
	v_fma_f32 v40, v26, v18, -v40
	v_mul_f32_e32 v26, v26, v19
	v_fmac_f32_e32 v26, v27, v18
	v_add_f32_e32 v25, v25, v26
	v_mul_f32_e32 v26, v23, v17
	v_mul_f32_e32 v17, v22, v17
	v_fmac_f32_e32 v17, v23, v16
	v_fmac_f32_e32 v39, v27, v16
	v_fma_f32 v26, v22, v16, -v26
	v_add_f32_e32 v27, v37, v17
	v_mul_f32_e32 v16, v23, v19
	v_mul_f32_e32 v17, v22, v19
	v_fma_f32 v16, v22, v18, -v16
	v_fmac_f32_e32 v17, v23, v18
	v_add_f32_e32 v26, v36, v26
	v_add_f32_e32 v36, v20, v16
	;; [unrolled: 1-line block ×3, first 2 shown]
	ds_read2_b64 v[16:19], v12 offset0:64 offset1:80
	v_add_f32_e32 v39, v41, v39
	v_add_f32_e32 v24, v24, v40
	s_waitcnt lgkmcnt(0)
	v_mul_f32_e32 v20, v29, v17
	v_mul_f32_e32 v21, v28, v17
	v_fma_f32 v20, v28, v16, -v20
	v_fmac_f32_e32 v21, v29, v16
	v_add_f32_e32 v38, v38, v20
	v_add_f32_e32 v39, v39, v21
	v_mul_f32_e32 v20, v29, v19
	v_mul_f32_e32 v21, v28, v19
	v_fma_f32 v20, v28, v18, -v20
	v_fmac_f32_e32 v21, v29, v18
	v_add_f32_e32 v24, v24, v20
	v_add_f32_e32 v25, v25, v21
	ds_read_b128 v[20:23], v13 offset:1040
	s_waitcnt lgkmcnt(0)
	v_mul_f32_e32 v28, v21, v17
	v_mul_f32_e32 v17, v20, v17
	v_fmac_f32_e32 v17, v21, v16
	v_fma_f32 v28, v20, v16, -v28
	v_add_f32_e32 v27, v27, v17
	v_mul_f32_e32 v16, v21, v19
	v_mul_f32_e32 v17, v20, v19
	v_fma_f32 v16, v20, v18, -v16
	v_fmac_f32_e32 v17, v21, v18
	v_add_f32_e32 v20, v36, v16
	v_add_f32_e32 v21, v37, v17
	ds_read2_b64 v[16:19], v12 offset0:96 offset1:112
	v_add_f32_e32 v26, v26, v28
	s_waitcnt lgkmcnt(0)
	v_mul_f32_e32 v28, v31, v17
	v_mul_f32_e32 v36, v31, v19
	v_fma_f32 v28, v30, v16, -v28
	v_mul_f32_e32 v29, v30, v17
	v_fma_f32 v36, v30, v18, -v36
	v_mul_f32_e32 v30, v30, v19
	v_fmac_f32_e32 v30, v31, v18
	v_add_f32_e32 v25, v25, v30
	v_mul_f32_e32 v30, v23, v17
	v_mul_f32_e32 v17, v22, v17
	v_fmac_f32_e32 v17, v23, v16
	v_fmac_f32_e32 v29, v31, v16
	v_fma_f32 v30, v22, v16, -v30
	v_add_f32_e32 v27, v27, v17
	v_mul_f32_e32 v16, v23, v19
	v_mul_f32_e32 v17, v22, v19
	v_fma_f32 v16, v22, v18, -v16
	v_fmac_f32_e32 v17, v23, v18
	v_add_f32_e32 v26, v26, v30
	v_add_f32_e32 v30, v20, v16
	;; [unrolled: 1-line block ×3, first 2 shown]
	ds_read2_b64 v[16:19], v12 offset0:128 offset1:144
	v_add_f32_e32 v28, v38, v28
	v_add_f32_e32 v29, v39, v29
	;; [unrolled: 1-line block ×3, first 2 shown]
	s_waitcnt lgkmcnt(0)
	v_mul_f32_e32 v20, v33, v17
	v_mul_f32_e32 v21, v32, v17
	v_fma_f32 v20, v32, v16, -v20
	v_fmac_f32_e32 v21, v33, v16
	v_add_f32_e32 v28, v28, v20
	v_add_f32_e32 v29, v29, v21
	v_mul_f32_e32 v20, v33, v19
	v_mul_f32_e32 v21, v32, v19
	v_fma_f32 v20, v32, v18, -v20
	v_fmac_f32_e32 v21, v33, v18
	v_add_f32_e32 v24, v24, v20
	v_add_f32_e32 v25, v25, v21
	ds_read_b128 v[20:23], v13 offset:1056
	s_waitcnt lgkmcnt(0)
	v_mul_f32_e32 v32, v21, v17
	v_mul_f32_e32 v17, v20, v17
	v_fmac_f32_e32 v17, v21, v16
	v_fma_f32 v32, v20, v16, -v32
	v_add_f32_e32 v27, v27, v17
	v_mul_f32_e32 v16, v21, v19
	v_mul_f32_e32 v17, v20, v19
	v_fma_f32 v16, v20, v18, -v16
	v_fmac_f32_e32 v17, v21, v18
	v_add_f32_e32 v20, v30, v16
	v_add_f32_e32 v21, v31, v17
	ds_read2_b64 v[16:19], v12 offset0:160 offset1:176
	v_add_f32_e32 v26, v26, v32
	s_waitcnt lgkmcnt(0)
	v_mul_f32_e32 v30, v35, v17
	v_fma_f32 v30, v34, v16, -v30
	v_add_f32_e32 v28, v28, v30
	v_mul_f32_e32 v30, v35, v19
	v_fma_f32 v30, v34, v18, -v30
	v_mul_f32_e32 v31, v34, v17
	v_add_f32_e32 v24, v24, v30
	v_mul_f32_e32 v30, v23, v17
	v_mul_f32_e32 v17, v22, v17
	v_fmac_f32_e32 v17, v23, v16
	v_fmac_f32_e32 v31, v35, v16
	v_fma_f32 v30, v22, v16, -v30
	v_add_f32_e32 v27, v27, v17
	v_mul_f32_e32 v16, v23, v19
	v_mul_f32_e32 v17, v22, v19
	v_add_f32_e32 v29, v29, v31
	v_mul_f32_e32 v31, v34, v19
	v_fma_f32 v16, v22, v18, -v16
	v_fmac_f32_e32 v17, v23, v18
	v_fmac_f32_e32 v31, v35, v18
	v_add_f32_e32 v20, v20, v16
	v_add_f32_e32 v21, v21, v17
	ds_read2_b64 v[16:19], v12 offset0:192 offset1:208
	v_add_f32_e32 v26, v26, v30
	v_add_f32_e32 v25, v25, v31
	s_waitcnt lgkmcnt(0)
	v_mul_f32_e32 v22, v3, v17
	v_fma_f32 v22, v2, v16, -v22
	v_add_f32_e32 v30, v28, v22
	v_mul_f32_e32 v22, v3, v19
	v_mul_f32_e32 v23, v2, v17
	v_fma_f32 v22, v2, v18, -v22
	v_mul_f32_e32 v2, v2, v19
	v_fmac_f32_e32 v23, v3, v16
	v_fmac_f32_e32 v2, v3, v18
	v_add_f32_e32 v31, v29, v23
	v_add_f32_e32 v3, v24, v22
	;; [unrolled: 1-line block ×3, first 2 shown]
	ds_read_b128 v[22:25], v13 offset:1072
	s_waitcnt lgkmcnt(0)
	v_mul_f32_e32 v28, v23, v17
	v_fma_f32 v28, v22, v16, -v28
	v_mul_f32_e32 v17, v22, v17
	v_fmac_f32_e32 v17, v23, v16
	v_add_f32_e32 v16, v26, v28
	v_mul_f32_e32 v26, v23, v19
	v_fma_f32 v26, v22, v18, -v26
	v_add_f32_e32 v17, v27, v17
	v_add_f32_e32 v32, v20, v26
	ds_read2_b64 v[26:29], v12 offset0:224 offset1:240
	v_mul_f32_e32 v19, v22, v19
	v_fmac_f32_e32 v19, v23, v18
	v_add_f32_e32 v33, v21, v19
	s_waitcnt lgkmcnt(0)
	v_mul_f32_e32 v18, v5, v27
	v_fma_f32 v18, v4, v26, -v18
	v_add_f32_e32 v22, v30, v18
	v_mul_f32_e32 v18, v5, v29
	v_mul_f32_e32 v19, v4, v27
	v_fma_f32 v18, v4, v28, -v18
	v_mul_f32_e32 v4, v4, v29
	v_fmac_f32_e32 v4, v5, v28
	v_add_f32_e32 v21, v3, v18
	v_add_f32_e32 v20, v2, v4
	v_mul_f32_e32 v2, v25, v27
	v_mul_f32_e32 v3, v24, v27
	v_fmac_f32_e32 v19, v5, v26
	v_fma_f32 v2, v24, v26, -v2
	v_fmac_f32_e32 v3, v25, v26
	v_add_f32_e32 v23, v31, v19
	v_add_f32_e32 v19, v16, v2
	;; [unrolled: 1-line block ×3, first 2 shown]
	v_mul_f32_e32 v2, v25, v29
	v_mul_f32_e32 v3, v24, v29
	v_fma_f32 v2, v24, v28, -v2
	v_fmac_f32_e32 v3, v25, v28
	v_add_f32_e32 v17, v32, v2
	v_add_f32_e32 v16, v33, v3
	v_mov_b32_e32 v2, s6
	v_mov_b32_e32 v3, s7
	v_cmp_le_u64_e32 vcc, s[12:13], v[2:3]
	s_barrier
	s_cbranch_vccz .LBB1082_2
	s_branch .LBB1082_4
.LBB1082_3:
	v_mov_b32_e32 v22, 0
	v_mov_b32_e32 v23, 0
	;; [unrolled: 1-line block ×8, first 2 shown]
.LBB1082_4:
	s_load_dwordx4 s[12:15], s[4:5], 0x48
	s_load_dword s11, s[4:5], 0x0
	v_add_u32_e32 v4, s10, v1
	v_ashrrev_i32_e32 v1, 31, v4
	v_add_u32_e32 v0, s9, v0
	s_waitcnt lgkmcnt(0)
	s_mul_i32 s1, s15, s8
	s_mul_hi_u32 s2, s14, s8
	s_add_i32 s1, s2, s1
	v_mul_lo_u32 v3, s12, v1
	v_mul_lo_u32 v5, s13, v4
	v_mad_u64_u32 v[1:2], s[2:3], s12, v4, 0
	s_mul_i32 s0, s14, s8
	s_lshl_b64 s[0:1], s[0:1], 3
	v_add3_u32 v2, v2, v3, v5
	s_add_u32 s6, s26, s0
	v_lshlrev_b64 v[1:2], 3, v[1:2]
	s_addc_u32 s7, s27, s1
	v_mov_b32_e32 v3, s7
	v_add_co_u32_e32 v5, vcc, s6, v1
	v_addc_co_u32_e32 v6, vcc, v3, v2, vcc
	v_cmp_le_i32_e64 s[0:1], v4, v0
	v_cmp_gt_i32_e32 vcc, s11, v0
	s_and_b64 s[0:1], s[0:1], vcc
	s_and_saveexec_b64 s[2:3], s[0:1]
	s_cbranch_execz .LBB1082_6
; %bb.5:
	v_ashrrev_i32_e32 v1, 31, v0
	v_lshlrev_b64 v[1:2], 3, v[0:1]
	v_add_co_u32_e64 v1, s[0:1], v5, v1
	v_addc_co_u32_e64 v2, s[0:1], v6, v2, s[0:1]
	global_load_dwordx2 v[7:8], v[1:2], off
	s_waitcnt vmcnt(0)
	v_add_f32_e32 v7, v22, v7
	v_add_f32_e32 v8, v23, v8
	global_store_dwordx2 v[1:2], v[7:8], off
.LBB1082_6:
	s_or_b64 exec, exec, s[2:3]
	v_add_u32_e32 v2, 16, v0
	v_cmp_le_i32_e64 s[2:3], v4, v2
	v_cmp_gt_i32_e64 s[0:1], s11, v2
	s_and_b64 s[2:3], s[2:3], s[0:1]
	s_and_saveexec_b64 s[4:5], s[2:3]
	s_cbranch_execz .LBB1082_8
; %bb.7:
	v_ashrrev_i32_e32 v3, 31, v2
	v_lshlrev_b64 v[7:8], 3, v[2:3]
	v_add_co_u32_e64 v5, s[2:3], v5, v7
	v_addc_co_u32_e64 v6, s[2:3], v6, v8, s[2:3]
	global_load_dwordx2 v[7:8], v[5:6], off
	s_waitcnt vmcnt(0)
	v_add_f32_e32 v7, v21, v7
	v_add_f32_e32 v8, v20, v8
	global_store_dwordx2 v[5:6], v[7:8], off
.LBB1082_8:
	s_or_b64 exec, exec, s[4:5]
	v_add_u32_e32 v3, 16, v4
	v_ashrrev_i32_e32 v1, 31, v3
	v_mul_lo_u32 v6, s13, v3
	v_mad_u64_u32 v[4:5], s[2:3], s12, v3, 0
	v_mul_lo_u32 v1, s12, v1
	v_add3_u32 v5, v5, v1, v6
	v_lshlrev_b64 v[4:5], 3, v[4:5]
	v_mov_b32_e32 v1, s7
	v_add_co_u32_e64 v4, s[2:3], s6, v4
	v_addc_co_u32_e64 v5, s[2:3], v1, v5, s[2:3]
	v_cmp_le_i32_e64 s[2:3], v3, v0
	s_and_b64 s[4:5], s[2:3], vcc
	s_and_saveexec_b64 s[2:3], s[4:5]
	s_cbranch_execz .LBB1082_10
; %bb.9:
	v_ashrrev_i32_e32 v1, 31, v0
	v_lshlrev_b64 v[0:1], 3, v[0:1]
	v_add_co_u32_e32 v0, vcc, v4, v0
	v_addc_co_u32_e32 v1, vcc, v5, v1, vcc
	global_load_dwordx2 v[6:7], v[0:1], off
	s_waitcnt vmcnt(0)
	v_add_f32_e32 v6, v19, v6
	v_add_f32_e32 v7, v18, v7
	global_store_dwordx2 v[0:1], v[6:7], off
.LBB1082_10:
	s_or_b64 exec, exec, s[2:3]
	v_cmp_le_i32_e32 vcc, v3, v2
	s_and_b64 s[0:1], vcc, s[0:1]
	s_and_saveexec_b64 s[2:3], s[0:1]
	s_cbranch_execz .LBB1082_12
; %bb.11:
	v_ashrrev_i32_e32 v3, 31, v2
	v_lshlrev_b64 v[0:1], 3, v[2:3]
	v_add_co_u32_e32 v0, vcc, v4, v0
	v_addc_co_u32_e32 v1, vcc, v5, v1, vcc
	global_load_dwordx2 v[2:3], v[0:1], off
	s_waitcnt vmcnt(0)
	v_add_f32_e32 v2, v17, v2
	v_add_f32_e32 v3, v16, v3
	global_store_dwordx2 v[0:1], v[2:3], off
.LBB1082_12:
	s_endpgm
	.section	.rodata,"a",@progbits
	.p2align	6, 0x0
	.amdhsa_kernel _ZL37rocblas_syrkx_herkx_restricted_kernelIl19rocblas_complex_numIfELi16ELi32ELi8ELi1ELi1ELb0ELc78ELc76EKS1_S1_EviT_PT9_S3_lS5_S3_lPT10_S3_li
		.amdhsa_group_segment_fixed_size 4096
		.amdhsa_private_segment_fixed_size 0
		.amdhsa_kernarg_size 92
		.amdhsa_user_sgpr_count 6
		.amdhsa_user_sgpr_private_segment_buffer 1
		.amdhsa_user_sgpr_dispatch_ptr 0
		.amdhsa_user_sgpr_queue_ptr 0
		.amdhsa_user_sgpr_kernarg_segment_ptr 1
		.amdhsa_user_sgpr_dispatch_id 0
		.amdhsa_user_sgpr_flat_scratch_init 0
		.amdhsa_user_sgpr_private_segment_size 0
		.amdhsa_uses_dynamic_stack 0
		.amdhsa_system_sgpr_private_segment_wavefront_offset 0
		.amdhsa_system_sgpr_workgroup_id_x 1
		.amdhsa_system_sgpr_workgroup_id_y 1
		.amdhsa_system_sgpr_workgroup_id_z 1
		.amdhsa_system_sgpr_workgroup_info 0
		.amdhsa_system_vgpr_workitem_id 1
		.amdhsa_next_free_vgpr 43
		.amdhsa_next_free_sgpr 28
		.amdhsa_reserve_vcc 1
		.amdhsa_reserve_flat_scratch 0
		.amdhsa_float_round_mode_32 0
		.amdhsa_float_round_mode_16_64 0
		.amdhsa_float_denorm_mode_32 3
		.amdhsa_float_denorm_mode_16_64 3
		.amdhsa_dx10_clamp 1
		.amdhsa_ieee_mode 1
		.amdhsa_fp16_overflow 0
		.amdhsa_exception_fp_ieee_invalid_op 0
		.amdhsa_exception_fp_denorm_src 0
		.amdhsa_exception_fp_ieee_div_zero 0
		.amdhsa_exception_fp_ieee_overflow 0
		.amdhsa_exception_fp_ieee_underflow 0
		.amdhsa_exception_fp_ieee_inexact 0
		.amdhsa_exception_int_div_zero 0
	.end_amdhsa_kernel
	.section	.text._ZL37rocblas_syrkx_herkx_restricted_kernelIl19rocblas_complex_numIfELi16ELi32ELi8ELi1ELi1ELb0ELc78ELc76EKS1_S1_EviT_PT9_S3_lS5_S3_lPT10_S3_li,"axG",@progbits,_ZL37rocblas_syrkx_herkx_restricted_kernelIl19rocblas_complex_numIfELi16ELi32ELi8ELi1ELi1ELb0ELc78ELc76EKS1_S1_EviT_PT9_S3_lS5_S3_lPT10_S3_li,comdat
.Lfunc_end1082:
	.size	_ZL37rocblas_syrkx_herkx_restricted_kernelIl19rocblas_complex_numIfELi16ELi32ELi8ELi1ELi1ELb0ELc78ELc76EKS1_S1_EviT_PT9_S3_lS5_S3_lPT10_S3_li, .Lfunc_end1082-_ZL37rocblas_syrkx_herkx_restricted_kernelIl19rocblas_complex_numIfELi16ELi32ELi8ELi1ELi1ELb0ELc78ELc76EKS1_S1_EviT_PT9_S3_lS5_S3_lPT10_S3_li
                                        ; -- End function
	.set _ZL37rocblas_syrkx_herkx_restricted_kernelIl19rocblas_complex_numIfELi16ELi32ELi8ELi1ELi1ELb0ELc78ELc76EKS1_S1_EviT_PT9_S3_lS5_S3_lPT10_S3_li.num_vgpr, 43
	.set _ZL37rocblas_syrkx_herkx_restricted_kernelIl19rocblas_complex_numIfELi16ELi32ELi8ELi1ELi1ELb0ELc78ELc76EKS1_S1_EviT_PT9_S3_lS5_S3_lPT10_S3_li.num_agpr, 0
	.set _ZL37rocblas_syrkx_herkx_restricted_kernelIl19rocblas_complex_numIfELi16ELi32ELi8ELi1ELi1ELb0ELc78ELc76EKS1_S1_EviT_PT9_S3_lS5_S3_lPT10_S3_li.numbered_sgpr, 28
	.set _ZL37rocblas_syrkx_herkx_restricted_kernelIl19rocblas_complex_numIfELi16ELi32ELi8ELi1ELi1ELb0ELc78ELc76EKS1_S1_EviT_PT9_S3_lS5_S3_lPT10_S3_li.num_named_barrier, 0
	.set _ZL37rocblas_syrkx_herkx_restricted_kernelIl19rocblas_complex_numIfELi16ELi32ELi8ELi1ELi1ELb0ELc78ELc76EKS1_S1_EviT_PT9_S3_lS5_S3_lPT10_S3_li.private_seg_size, 0
	.set _ZL37rocblas_syrkx_herkx_restricted_kernelIl19rocblas_complex_numIfELi16ELi32ELi8ELi1ELi1ELb0ELc78ELc76EKS1_S1_EviT_PT9_S3_lS5_S3_lPT10_S3_li.uses_vcc, 1
	.set _ZL37rocblas_syrkx_herkx_restricted_kernelIl19rocblas_complex_numIfELi16ELi32ELi8ELi1ELi1ELb0ELc78ELc76EKS1_S1_EviT_PT9_S3_lS5_S3_lPT10_S3_li.uses_flat_scratch, 0
	.set _ZL37rocblas_syrkx_herkx_restricted_kernelIl19rocblas_complex_numIfELi16ELi32ELi8ELi1ELi1ELb0ELc78ELc76EKS1_S1_EviT_PT9_S3_lS5_S3_lPT10_S3_li.has_dyn_sized_stack, 0
	.set _ZL37rocblas_syrkx_herkx_restricted_kernelIl19rocblas_complex_numIfELi16ELi32ELi8ELi1ELi1ELb0ELc78ELc76EKS1_S1_EviT_PT9_S3_lS5_S3_lPT10_S3_li.has_recursion, 0
	.set _ZL37rocblas_syrkx_herkx_restricted_kernelIl19rocblas_complex_numIfELi16ELi32ELi8ELi1ELi1ELb0ELc78ELc76EKS1_S1_EviT_PT9_S3_lS5_S3_lPT10_S3_li.has_indirect_call, 0
	.section	.AMDGPU.csdata,"",@progbits
; Kernel info:
; codeLenInByte = 2020
; TotalNumSgprs: 32
; NumVgprs: 43
; ScratchSize: 0
; MemoryBound: 0
; FloatMode: 240
; IeeeMode: 1
; LDSByteSize: 4096 bytes/workgroup (compile time only)
; SGPRBlocks: 3
; VGPRBlocks: 10
; NumSGPRsForWavesPerEU: 32
; NumVGPRsForWavesPerEU: 43
; Occupancy: 5
; WaveLimiterHint : 1
; COMPUTE_PGM_RSRC2:SCRATCH_EN: 0
; COMPUTE_PGM_RSRC2:USER_SGPR: 6
; COMPUTE_PGM_RSRC2:TRAP_HANDLER: 0
; COMPUTE_PGM_RSRC2:TGID_X_EN: 1
; COMPUTE_PGM_RSRC2:TGID_Y_EN: 1
; COMPUTE_PGM_RSRC2:TGID_Z_EN: 1
; COMPUTE_PGM_RSRC2:TIDIG_COMP_CNT: 1
	.section	.text._ZL37rocblas_syrkx_herkx_restricted_kernelIl19rocblas_complex_numIfELi16ELi32ELi8ELi1ELi1ELb0ELc84ELc85EKS1_S1_EviT_PT9_S3_lS5_S3_lPT10_S3_li,"axG",@progbits,_ZL37rocblas_syrkx_herkx_restricted_kernelIl19rocblas_complex_numIfELi16ELi32ELi8ELi1ELi1ELb0ELc84ELc85EKS1_S1_EviT_PT9_S3_lS5_S3_lPT10_S3_li,comdat
	.globl	_ZL37rocblas_syrkx_herkx_restricted_kernelIl19rocblas_complex_numIfELi16ELi32ELi8ELi1ELi1ELb0ELc84ELc85EKS1_S1_EviT_PT9_S3_lS5_S3_lPT10_S3_li ; -- Begin function _ZL37rocblas_syrkx_herkx_restricted_kernelIl19rocblas_complex_numIfELi16ELi32ELi8ELi1ELi1ELb0ELc84ELc85EKS1_S1_EviT_PT9_S3_lS5_S3_lPT10_S3_li
	.p2align	8
	.type	_ZL37rocblas_syrkx_herkx_restricted_kernelIl19rocblas_complex_numIfELi16ELi32ELi8ELi1ELi1ELb0ELc84ELc85EKS1_S1_EviT_PT9_S3_lS5_S3_lPT10_S3_li,@function
_ZL37rocblas_syrkx_herkx_restricted_kernelIl19rocblas_complex_numIfELi16ELi32ELi8ELi1ELi1ELb0ELc84ELc85EKS1_S1_EviT_PT9_S3_lS5_S3_lPT10_S3_li: ; @_ZL37rocblas_syrkx_herkx_restricted_kernelIl19rocblas_complex_numIfELi16ELi32ELi8ELi1ELi1ELb0ELc84ELc85EKS1_S1_EviT_PT9_S3_lS5_S3_lPT10_S3_li
; %bb.0:
	s_load_dwordx16 s[12:27], s[4:5], 0x8
	s_lshl_b32 s2, s6, 5
	s_lshl_b32 s3, s7, 5
	s_waitcnt lgkmcnt(0)
	v_cmp_lt_i64_e64 s[0:1], s[12:13], 1
	s_and_b64 vcc, exec, s[0:1]
	s_cbranch_vccnz .LBB1083_3
; %bb.1:
	v_lshl_add_u32 v4, v1, 4, v0
	v_lshrrev_b32_e32 v6, 3, v4
	v_add_u32_e32 v2, s3, v6
	v_ashrrev_i32_e32 v3, 31, v2
	v_and_b32_e32 v9, 7, v0
	v_mov_b32_e32 v10, 0
	v_mul_lo_u32 v5, s22, v3
	v_mul_lo_u32 v7, s23, v2
	v_mad_u64_u32 v[2:3], s[0:1], s22, v2, v[9:10]
	s_mul_i32 s6, s19, s8
	s_mul_hi_u32 s7, s18, s8
	v_add3_u32 v3, v7, v3, v5
	v_and_b32_e32 v7, 31, v4
	v_lshrrev_b32_e32 v4, 5, v4
	v_lshlrev_b32_e32 v8, 3, v7
	v_lshl_or_b32 v11, v4, 8, v8
	v_lshlrev_b32_e32 v8, 3, v9
	v_lshl_or_b32 v6, v6, 6, v8
	v_add_u32_e32 v12, 0x800, v6
	v_mov_b32_e32 v6, 0x800
	v_lshl_add_u32 v14, v1, 6, v6
	v_add_u32_e32 v6, s2, v7
	v_mov_b32_e32 v5, v10
	v_ashrrev_i32_e32 v7, 31, v6
	v_mul_lo_u32 v7, s16, v7
	v_mad_u64_u32 v[4:5], s[0:1], s16, v6, v[4:5]
	v_mul_lo_u32 v6, s17, v6
	s_add_i32 s1, s7, s6
	s_mul_i32 s0, s18, s8
	s_lshl_b64 s[0:1], s[0:1], 3
	v_add3_u32 v5, v6, v5, v7
	v_lshlrev_b64 v[4:5], 3, v[4:5]
	s_add_u32 s0, s14, s0
	s_addc_u32 s1, s15, s1
	v_mov_b32_e32 v6, s1
	v_add_co_u32_e32 v4, vcc, s0, v4
	s_mul_i32 s0, s25, s8
	s_mul_hi_u32 s1, s24, s8
	s_add_i32 s1, s1, s0
	s_mul_i32 s0, s24, s8
	v_addc_co_u32_e32 v5, vcc, v6, v5, vcc
	s_lshl_b64 s[0:1], s[0:1], 3
	v_add_co_u32_e32 v6, vcc, 4, v4
	v_lshlrev_b64 v[2:3], 3, v[2:3]
	s_add_u32 s0, s20, s0
	v_addc_co_u32_e32 v7, vcc, 0, v5, vcc
	s_addc_u32 s1, s21, s1
	v_mov_b32_e32 v4, s1
	v_add_co_u32_e32 v2, vcc, s0, v2
	v_addc_co_u32_e32 v3, vcc, v4, v3, vcc
	v_add_co_u32_e32 v8, vcc, 4, v2
	v_lshlrev_b32_e32 v13, 3, v0
	v_addc_co_u32_e32 v9, vcc, 0, v3, vcc
	s_mov_b64 s[0:1], 0
	v_mov_b32_e32 v15, v10
	v_mov_b32_e32 v16, v10
	;; [unrolled: 1-line block ×7, first 2 shown]
.LBB1083_2:                             ; =>This Inner Loop Header: Depth=1
	global_load_dwordx2 v[2:3], v[6:7], off offset:-4
	s_add_u32 s0, s0, 8
	v_add_co_u32_e32 v6, vcc, 64, v6
	s_addc_u32 s1, s1, 0
	v_addc_co_u32_e32 v7, vcc, 0, v7, vcc
	s_waitcnt vmcnt(0)
	ds_write_b64 v11, v[2:3]
	global_load_dwordx2 v[2:3], v[8:9], off offset:-4
	v_add_co_u32_e32 v8, vcc, 64, v8
	v_addc_co_u32_e32 v9, vcc, 0, v9, vcc
	s_waitcnt vmcnt(0)
	ds_write_b64 v12, v[2:3]
	s_waitcnt lgkmcnt(0)
	s_barrier
	ds_read_b128 v[22:25], v14
	ds_read_b128 v[26:29], v14 offset:16
	ds_read_b128 v[30:33], v14 offset:32
	;; [unrolled: 1-line block ×3, first 2 shown]
	ds_read2_b64 v[34:37], v13 offset1:16
	s_waitcnt lgkmcnt(0)
	v_mul_f32_e32 v38, v23, v35
	v_mul_f32_e32 v39, v22, v35
	v_fma_f32 v38, v22, v34, -v38
	v_fmac_f32_e32 v39, v23, v34
	v_add_f32_e32 v38, v20, v38
	v_add_f32_e32 v39, v21, v39
	v_mul_f32_e32 v20, v23, v37
	v_mul_f32_e32 v21, v22, v37
	v_fma_f32 v20, v22, v36, -v20
	v_fmac_f32_e32 v21, v23, v36
	v_add_f32_e32 v22, v19, v20
	v_add_f32_e32 v23, v18, v21
	ds_read_b128 v[18:21], v14 offset:1024
	s_waitcnt lgkmcnt(0)
	v_mul_f32_e32 v40, v19, v35
	v_mul_f32_e32 v35, v18, v35
	v_fma_f32 v40, v18, v34, -v40
	v_fmac_f32_e32 v35, v19, v34
	v_add_f32_e32 v34, v17, v40
	v_add_f32_e32 v35, v16, v35
	v_mul_f32_e32 v16, v19, v37
	v_mul_f32_e32 v17, v18, v37
	v_fma_f32 v16, v18, v36, -v16
	v_fmac_f32_e32 v17, v19, v36
	v_add_f32_e32 v19, v15, v16
	v_add_f32_e32 v10, v10, v17
	ds_read2_b64 v[15:18], v13 offset0:32 offset1:48
	s_waitcnt lgkmcnt(0)
	v_mul_f32_e32 v36, v25, v16
	v_fma_f32 v36, v24, v15, -v36
	v_add_f32_e32 v36, v38, v36
	v_mul_f32_e32 v38, v25, v18
	v_mul_f32_e32 v37, v24, v16
	v_fma_f32 v38, v24, v17, -v38
	v_mul_f32_e32 v24, v24, v18
	v_fmac_f32_e32 v24, v25, v17
	v_add_f32_e32 v23, v23, v24
	v_mul_f32_e32 v24, v21, v16
	v_mul_f32_e32 v16, v20, v16
	v_fmac_f32_e32 v16, v21, v15
	v_fmac_f32_e32 v37, v25, v15
	v_fma_f32 v24, v20, v15, -v24
	v_add_f32_e32 v25, v35, v16
	v_mul_f32_e32 v15, v21, v18
	v_mul_f32_e32 v16, v20, v18
	v_fma_f32 v15, v20, v17, -v15
	v_fmac_f32_e32 v16, v21, v17
	v_add_f32_e32 v24, v34, v24
	v_add_f32_e32 v34, v19, v15
	;; [unrolled: 1-line block ×3, first 2 shown]
	ds_read2_b64 v[15:18], v13 offset0:64 offset1:80
	v_add_f32_e32 v37, v39, v37
	v_add_f32_e32 v22, v22, v38
	s_waitcnt lgkmcnt(0)
	v_mul_f32_e32 v19, v27, v16
	v_mul_f32_e32 v20, v26, v16
	v_fma_f32 v19, v26, v15, -v19
	v_fmac_f32_e32 v20, v27, v15
	v_add_f32_e32 v35, v36, v19
	v_add_f32_e32 v36, v37, v20
	v_mul_f32_e32 v19, v27, v18
	v_mul_f32_e32 v20, v26, v18
	v_fma_f32 v19, v26, v17, -v19
	v_fmac_f32_e32 v20, v27, v17
	v_add_f32_e32 v26, v22, v19
	v_add_f32_e32 v23, v23, v20
	ds_read_b128 v[19:22], v14 offset:1040
	s_waitcnt lgkmcnt(0)
	v_mul_f32_e32 v27, v20, v16
	v_mul_f32_e32 v16, v19, v16
	v_fmac_f32_e32 v16, v20, v15
	v_fma_f32 v27, v19, v15, -v27
	v_add_f32_e32 v25, v25, v16
	v_mul_f32_e32 v15, v20, v18
	v_mul_f32_e32 v16, v19, v18
	v_fma_f32 v15, v19, v17, -v15
	v_fmac_f32_e32 v16, v20, v17
	v_add_f32_e32 v19, v34, v15
	v_add_f32_e32 v10, v10, v16
	ds_read2_b64 v[15:18], v13 offset0:96 offset1:112
	v_add_f32_e32 v24, v24, v27
	s_waitcnt lgkmcnt(0)
	v_mul_f32_e32 v20, v29, v16
	v_mul_f32_e32 v34, v29, v18
	v_fma_f32 v20, v28, v15, -v20
	v_mul_f32_e32 v27, v28, v16
	v_fma_f32 v34, v28, v17, -v34
	v_mul_f32_e32 v28, v28, v18
	v_fmac_f32_e32 v28, v29, v17
	v_add_f32_e32 v23, v23, v28
	v_mul_f32_e32 v28, v22, v16
	v_mul_f32_e32 v16, v21, v16
	v_fmac_f32_e32 v16, v22, v15
	v_fmac_f32_e32 v27, v29, v15
	v_fma_f32 v28, v21, v15, -v28
	v_add_f32_e32 v25, v25, v16
	v_mul_f32_e32 v15, v22, v18
	v_mul_f32_e32 v16, v21, v18
	v_fma_f32 v15, v21, v17, -v15
	v_fmac_f32_e32 v16, v22, v17
	v_add_f32_e32 v24, v24, v28
	v_add_f32_e32 v28, v19, v15
	v_add_f32_e32 v10, v10, v16
	ds_read2_b64 v[15:18], v13 offset0:128 offset1:144
	v_add_f32_e32 v20, v35, v20
	v_add_f32_e32 v27, v36, v27
	;; [unrolled: 1-line block ×3, first 2 shown]
	s_waitcnt lgkmcnt(0)
	v_mul_f32_e32 v19, v31, v16
	v_fma_f32 v19, v30, v15, -v19
	v_mul_f32_e32 v21, v30, v16
	v_add_f32_e32 v29, v20, v19
	v_mul_f32_e32 v19, v31, v18
	v_mul_f32_e32 v20, v30, v18
	v_fmac_f32_e32 v21, v31, v15
	v_fma_f32 v19, v30, v17, -v19
	v_fmac_f32_e32 v20, v31, v17
	v_add_f32_e32 v27, v27, v21
	v_add_f32_e32 v26, v26, v19
	;; [unrolled: 1-line block ×3, first 2 shown]
	ds_read_b128 v[19:22], v14 offset:1056
	s_waitcnt lgkmcnt(0)
	v_mul_f32_e32 v30, v20, v16
	v_mul_f32_e32 v16, v19, v16
	v_fmac_f32_e32 v16, v20, v15
	v_fma_f32 v30, v19, v15, -v30
	v_add_f32_e32 v25, v25, v16
	v_mul_f32_e32 v15, v20, v18
	v_mul_f32_e32 v16, v19, v18
	v_fma_f32 v15, v19, v17, -v15
	v_fmac_f32_e32 v16, v20, v17
	v_add_f32_e32 v19, v28, v15
	v_add_f32_e32 v10, v10, v16
	ds_read2_b64 v[15:18], v13 offset0:160 offset1:176
	v_add_f32_e32 v24, v24, v30
	s_waitcnt lgkmcnt(0)
	v_mul_f32_e32 v28, v32, v16
	v_fmac_f32_e32 v28, v33, v15
	v_add_f32_e32 v27, v27, v28
	v_mul_f32_e32 v28, v33, v18
	v_fma_f32 v28, v32, v17, -v28
	v_mul_f32_e32 v20, v33, v16
	v_add_f32_e32 v26, v26, v28
	v_mul_f32_e32 v28, v22, v16
	v_mul_f32_e32 v16, v21, v16
	v_fmac_f32_e32 v16, v22, v15
	v_fma_f32 v20, v32, v15, -v20
	v_fma_f32 v28, v21, v15, -v28
	v_add_f32_e32 v25, v25, v16
	v_mul_f32_e32 v15, v22, v18
	v_mul_f32_e32 v16, v21, v18
	v_add_f32_e32 v20, v29, v20
	v_mul_f32_e32 v29, v32, v18
	v_fma_f32 v15, v21, v17, -v15
	v_fmac_f32_e32 v16, v22, v17
	v_fmac_f32_e32 v29, v33, v17
	v_add_f32_e32 v19, v19, v15
	v_add_f32_e32 v10, v10, v16
	ds_read2_b64 v[15:18], v13 offset0:192 offset1:208
	v_add_f32_e32 v24, v24, v28
	v_add_f32_e32 v23, v23, v29
	s_waitcnt lgkmcnt(0)
	v_mul_f32_e32 v21, v3, v16
	v_fma_f32 v21, v2, v15, -v21
	v_add_f32_e32 v28, v20, v21
	v_mul_f32_e32 v20, v3, v18
	v_mul_f32_e32 v22, v2, v16
	v_fma_f32 v20, v2, v17, -v20
	v_mul_f32_e32 v2, v2, v18
	v_fmac_f32_e32 v22, v3, v15
	v_fmac_f32_e32 v2, v3, v17
	v_add_f32_e32 v29, v27, v22
	v_add_f32_e32 v3, v26, v20
	;; [unrolled: 1-line block ×3, first 2 shown]
	ds_read_b128 v[20:23], v14 offset:1072
	s_waitcnt lgkmcnt(0)
	v_mul_f32_e32 v26, v21, v16
	v_fma_f32 v26, v20, v15, -v26
	v_mul_f32_e32 v16, v20, v16
	v_fmac_f32_e32 v16, v21, v15
	v_add_f32_e32 v15, v24, v26
	v_mul_f32_e32 v24, v21, v18
	v_fma_f32 v24, v20, v17, -v24
	v_add_f32_e32 v16, v25, v16
	v_add_f32_e32 v30, v19, v24
	ds_read2_b64 v[24:27], v13 offset0:224 offset1:240
	v_mul_f32_e32 v18, v20, v18
	v_fmac_f32_e32 v18, v21, v17
	v_add_f32_e32 v10, v10, v18
	s_waitcnt lgkmcnt(0)
	v_mul_f32_e32 v17, v5, v25
	v_fma_f32 v17, v4, v24, -v17
	v_add_f32_e32 v20, v28, v17
	v_mul_f32_e32 v17, v5, v27
	v_mul_f32_e32 v18, v4, v25
	v_fma_f32 v17, v4, v26, -v17
	v_mul_f32_e32 v4, v4, v27
	v_fmac_f32_e32 v18, v5, v24
	v_fmac_f32_e32 v4, v5, v26
	v_add_f32_e32 v21, v29, v18
	v_add_f32_e32 v19, v3, v17
	;; [unrolled: 1-line block ×3, first 2 shown]
	v_mul_f32_e32 v2, v23, v25
	v_mul_f32_e32 v3, v22, v25
	v_fma_f32 v2, v22, v24, -v2
	v_fmac_f32_e32 v3, v23, v24
	v_add_f32_e32 v17, v15, v2
	v_add_f32_e32 v16, v16, v3
	v_mul_f32_e32 v2, v23, v27
	v_mul_f32_e32 v3, v22, v27
	v_fma_f32 v2, v22, v26, -v2
	v_fmac_f32_e32 v3, v23, v26
	v_add_f32_e32 v15, v30, v2
	v_add_f32_e32 v10, v10, v3
	v_mov_b32_e32 v3, s1
	v_mov_b32_e32 v2, s0
	v_cmp_le_u64_e32 vcc, s[12:13], v[2:3]
	s_barrier
	s_cbranch_vccz .LBB1083_2
	s_branch .LBB1083_4
.LBB1083_3:
	v_mov_b32_e32 v20, 0
	v_mov_b32_e32 v21, 0
	;; [unrolled: 1-line block ×8, first 2 shown]
.LBB1083_4:
	s_load_dwordx4 s[12:15], s[4:5], 0x48
	s_load_dword s6, s[4:5], 0x0
	v_add_u32_e32 v4, s3, v1
	v_ashrrev_i32_e32 v1, 31, v4
	v_add_u32_e32 v0, s2, v0
	s_waitcnt lgkmcnt(0)
	s_mul_i32 s1, s15, s8
	s_mul_hi_u32 s3, s14, s8
	s_mul_i32 s0, s14, s8
	v_mul_lo_u32 v3, s12, v1
	v_mul_lo_u32 v5, s13, v4
	v_mad_u64_u32 v[1:2], s[8:9], s12, v4, 0
	s_add_i32 s1, s3, s1
	s_lshl_b64 s[0:1], s[0:1], 3
	v_add3_u32 v2, v2, v3, v5
	s_add_u32 s4, s26, s0
	v_lshlrev_b64 v[1:2], 3, v[1:2]
	s_addc_u32 s5, s27, s1
	v_mov_b32_e32 v3, s5
	v_add_co_u32_e64 v5, s[0:1], s4, v1
	v_addc_co_u32_e64 v6, s[0:1], v3, v2, s[0:1]
	v_cmp_gt_i32_e32 vcc, s6, v4
	v_cmp_le_i32_e64 s[0:1], v0, v4
	s_and_b64 s[0:1], vcc, s[0:1]
	s_and_saveexec_b64 s[2:3], s[0:1]
	s_cbranch_execz .LBB1083_6
; %bb.5:
	v_ashrrev_i32_e32 v1, 31, v0
	v_lshlrev_b64 v[1:2], 3, v[0:1]
	v_add_co_u32_e64 v1, s[0:1], v5, v1
	v_addc_co_u32_e64 v2, s[0:1], v6, v2, s[0:1]
	global_load_dwordx2 v[7:8], v[1:2], off
	s_waitcnt vmcnt(0)
	v_add_f32_e32 v7, v20, v7
	v_add_f32_e32 v8, v21, v8
	global_store_dwordx2 v[1:2], v[7:8], off
.LBB1083_6:
	s_or_b64 exec, exec, s[2:3]
	v_add_u32_e32 v2, 16, v0
	v_cmp_le_i32_e64 s[0:1], v2, v4
	s_and_b64 s[2:3], vcc, s[0:1]
	s_and_saveexec_b64 s[0:1], s[2:3]
	s_cbranch_execz .LBB1083_8
; %bb.7:
	v_ashrrev_i32_e32 v3, 31, v2
	v_lshlrev_b64 v[7:8], 3, v[2:3]
	v_add_co_u32_e32 v5, vcc, v5, v7
	v_addc_co_u32_e32 v6, vcc, v6, v8, vcc
	global_load_dwordx2 v[7:8], v[5:6], off
	s_waitcnt vmcnt(0)
	v_add_f32_e32 v7, v19, v7
	v_add_f32_e32 v8, v18, v8
	global_store_dwordx2 v[5:6], v[7:8], off
.LBB1083_8:
	s_or_b64 exec, exec, s[0:1]
	v_add_u32_e32 v3, 16, v4
	v_ashrrev_i32_e32 v1, 31, v3
	v_mul_lo_u32 v1, s12, v1
	v_mul_lo_u32 v6, s13, v3
	v_mad_u64_u32 v[4:5], s[0:1], s12, v3, 0
	v_cmp_gt_i32_e32 vcc, s6, v3
	v_add3_u32 v5, v5, v1, v6
	v_lshlrev_b64 v[4:5], 3, v[4:5]
	v_mov_b32_e32 v1, s5
	v_add_co_u32_e64 v4, s[0:1], s4, v4
	v_addc_co_u32_e64 v5, s[0:1], v1, v5, s[0:1]
	v_cmp_le_i32_e64 s[0:1], v0, v3
	s_and_b64 s[0:1], vcc, s[0:1]
	s_and_saveexec_b64 s[2:3], s[0:1]
	s_cbranch_execz .LBB1083_10
; %bb.9:
	v_ashrrev_i32_e32 v1, 31, v0
	v_lshlrev_b64 v[0:1], 3, v[0:1]
	v_add_co_u32_e64 v0, s[0:1], v4, v0
	v_addc_co_u32_e64 v1, s[0:1], v5, v1, s[0:1]
	global_load_dwordx2 v[6:7], v[0:1], off
	s_waitcnt vmcnt(0)
	v_add_f32_e32 v6, v17, v6
	v_add_f32_e32 v7, v16, v7
	global_store_dwordx2 v[0:1], v[6:7], off
.LBB1083_10:
	s_or_b64 exec, exec, s[2:3]
	v_cmp_le_i32_e64 s[0:1], v2, v3
	s_and_b64 s[0:1], vcc, s[0:1]
	s_and_saveexec_b64 s[2:3], s[0:1]
	s_cbranch_execz .LBB1083_12
; %bb.11:
	v_ashrrev_i32_e32 v3, 31, v2
	v_lshlrev_b64 v[0:1], 3, v[2:3]
	v_add_co_u32_e32 v0, vcc, v4, v0
	v_addc_co_u32_e32 v1, vcc, v5, v1, vcc
	global_load_dwordx2 v[2:3], v[0:1], off
	s_waitcnt vmcnt(0)
	v_add_f32_e32 v2, v15, v2
	v_add_f32_e32 v3, v10, v3
	global_store_dwordx2 v[0:1], v[2:3], off
.LBB1083_12:
	s_endpgm
	.section	.rodata,"a",@progbits
	.p2align	6, 0x0
	.amdhsa_kernel _ZL37rocblas_syrkx_herkx_restricted_kernelIl19rocblas_complex_numIfELi16ELi32ELi8ELi1ELi1ELb0ELc84ELc85EKS1_S1_EviT_PT9_S3_lS5_S3_lPT10_S3_li
		.amdhsa_group_segment_fixed_size 4096
		.amdhsa_private_segment_fixed_size 0
		.amdhsa_kernarg_size 92
		.amdhsa_user_sgpr_count 6
		.amdhsa_user_sgpr_private_segment_buffer 1
		.amdhsa_user_sgpr_dispatch_ptr 0
		.amdhsa_user_sgpr_queue_ptr 0
		.amdhsa_user_sgpr_kernarg_segment_ptr 1
		.amdhsa_user_sgpr_dispatch_id 0
		.amdhsa_user_sgpr_flat_scratch_init 0
		.amdhsa_user_sgpr_private_segment_size 0
		.amdhsa_uses_dynamic_stack 0
		.amdhsa_system_sgpr_private_segment_wavefront_offset 0
		.amdhsa_system_sgpr_workgroup_id_x 1
		.amdhsa_system_sgpr_workgroup_id_y 1
		.amdhsa_system_sgpr_workgroup_id_z 1
		.amdhsa_system_sgpr_workgroup_info 0
		.amdhsa_system_vgpr_workitem_id 1
		.amdhsa_next_free_vgpr 41
		.amdhsa_next_free_sgpr 28
		.amdhsa_reserve_vcc 1
		.amdhsa_reserve_flat_scratch 0
		.amdhsa_float_round_mode_32 0
		.amdhsa_float_round_mode_16_64 0
		.amdhsa_float_denorm_mode_32 3
		.amdhsa_float_denorm_mode_16_64 3
		.amdhsa_dx10_clamp 1
		.amdhsa_ieee_mode 1
		.amdhsa_fp16_overflow 0
		.amdhsa_exception_fp_ieee_invalid_op 0
		.amdhsa_exception_fp_denorm_src 0
		.amdhsa_exception_fp_ieee_div_zero 0
		.amdhsa_exception_fp_ieee_overflow 0
		.amdhsa_exception_fp_ieee_underflow 0
		.amdhsa_exception_fp_ieee_inexact 0
		.amdhsa_exception_int_div_zero 0
	.end_amdhsa_kernel
	.section	.text._ZL37rocblas_syrkx_herkx_restricted_kernelIl19rocblas_complex_numIfELi16ELi32ELi8ELi1ELi1ELb0ELc84ELc85EKS1_S1_EviT_PT9_S3_lS5_S3_lPT10_S3_li,"axG",@progbits,_ZL37rocblas_syrkx_herkx_restricted_kernelIl19rocblas_complex_numIfELi16ELi32ELi8ELi1ELi1ELb0ELc84ELc85EKS1_S1_EviT_PT9_S3_lS5_S3_lPT10_S3_li,comdat
.Lfunc_end1083:
	.size	_ZL37rocblas_syrkx_herkx_restricted_kernelIl19rocblas_complex_numIfELi16ELi32ELi8ELi1ELi1ELb0ELc84ELc85EKS1_S1_EviT_PT9_S3_lS5_S3_lPT10_S3_li, .Lfunc_end1083-_ZL37rocblas_syrkx_herkx_restricted_kernelIl19rocblas_complex_numIfELi16ELi32ELi8ELi1ELi1ELb0ELc84ELc85EKS1_S1_EviT_PT9_S3_lS5_S3_lPT10_S3_li
                                        ; -- End function
	.set _ZL37rocblas_syrkx_herkx_restricted_kernelIl19rocblas_complex_numIfELi16ELi32ELi8ELi1ELi1ELb0ELc84ELc85EKS1_S1_EviT_PT9_S3_lS5_S3_lPT10_S3_li.num_vgpr, 41
	.set _ZL37rocblas_syrkx_herkx_restricted_kernelIl19rocblas_complex_numIfELi16ELi32ELi8ELi1ELi1ELb0ELc84ELc85EKS1_S1_EviT_PT9_S3_lS5_S3_lPT10_S3_li.num_agpr, 0
	.set _ZL37rocblas_syrkx_herkx_restricted_kernelIl19rocblas_complex_numIfELi16ELi32ELi8ELi1ELi1ELb0ELc84ELc85EKS1_S1_EviT_PT9_S3_lS5_S3_lPT10_S3_li.numbered_sgpr, 28
	.set _ZL37rocblas_syrkx_herkx_restricted_kernelIl19rocblas_complex_numIfELi16ELi32ELi8ELi1ELi1ELb0ELc84ELc85EKS1_S1_EviT_PT9_S3_lS5_S3_lPT10_S3_li.num_named_barrier, 0
	.set _ZL37rocblas_syrkx_herkx_restricted_kernelIl19rocblas_complex_numIfELi16ELi32ELi8ELi1ELi1ELb0ELc84ELc85EKS1_S1_EviT_PT9_S3_lS5_S3_lPT10_S3_li.private_seg_size, 0
	.set _ZL37rocblas_syrkx_herkx_restricted_kernelIl19rocblas_complex_numIfELi16ELi32ELi8ELi1ELi1ELb0ELc84ELc85EKS1_S1_EviT_PT9_S3_lS5_S3_lPT10_S3_li.uses_vcc, 1
	.set _ZL37rocblas_syrkx_herkx_restricted_kernelIl19rocblas_complex_numIfELi16ELi32ELi8ELi1ELi1ELb0ELc84ELc85EKS1_S1_EviT_PT9_S3_lS5_S3_lPT10_S3_li.uses_flat_scratch, 0
	.set _ZL37rocblas_syrkx_herkx_restricted_kernelIl19rocblas_complex_numIfELi16ELi32ELi8ELi1ELi1ELb0ELc84ELc85EKS1_S1_EviT_PT9_S3_lS5_S3_lPT10_S3_li.has_dyn_sized_stack, 0
	.set _ZL37rocblas_syrkx_herkx_restricted_kernelIl19rocblas_complex_numIfELi16ELi32ELi8ELi1ELi1ELb0ELc84ELc85EKS1_S1_EviT_PT9_S3_lS5_S3_lPT10_S3_li.has_recursion, 0
	.set _ZL37rocblas_syrkx_herkx_restricted_kernelIl19rocblas_complex_numIfELi16ELi32ELi8ELi1ELi1ELb0ELc84ELc85EKS1_S1_EviT_PT9_S3_lS5_S3_lPT10_S3_li.has_indirect_call, 0
	.section	.AMDGPU.csdata,"",@progbits
; Kernel info:
; codeLenInByte = 2048
; TotalNumSgprs: 32
; NumVgprs: 41
; ScratchSize: 0
; MemoryBound: 0
; FloatMode: 240
; IeeeMode: 1
; LDSByteSize: 4096 bytes/workgroup (compile time only)
; SGPRBlocks: 3
; VGPRBlocks: 10
; NumSGPRsForWavesPerEU: 32
; NumVGPRsForWavesPerEU: 41
; Occupancy: 5
; WaveLimiterHint : 1
; COMPUTE_PGM_RSRC2:SCRATCH_EN: 0
; COMPUTE_PGM_RSRC2:USER_SGPR: 6
; COMPUTE_PGM_RSRC2:TRAP_HANDLER: 0
; COMPUTE_PGM_RSRC2:TGID_X_EN: 1
; COMPUTE_PGM_RSRC2:TGID_Y_EN: 1
; COMPUTE_PGM_RSRC2:TGID_Z_EN: 1
; COMPUTE_PGM_RSRC2:TIDIG_COMP_CNT: 1
	.section	.text._ZL37rocblas_syrkx_herkx_restricted_kernelIl19rocblas_complex_numIfELi16ELi32ELi8ELi1ELi1ELb0ELc67ELc85EKS1_S1_EviT_PT9_S3_lS5_S3_lPT10_S3_li,"axG",@progbits,_ZL37rocblas_syrkx_herkx_restricted_kernelIl19rocblas_complex_numIfELi16ELi32ELi8ELi1ELi1ELb0ELc67ELc85EKS1_S1_EviT_PT9_S3_lS5_S3_lPT10_S3_li,comdat
	.globl	_ZL37rocblas_syrkx_herkx_restricted_kernelIl19rocblas_complex_numIfELi16ELi32ELi8ELi1ELi1ELb0ELc67ELc85EKS1_S1_EviT_PT9_S3_lS5_S3_lPT10_S3_li ; -- Begin function _ZL37rocblas_syrkx_herkx_restricted_kernelIl19rocblas_complex_numIfELi16ELi32ELi8ELi1ELi1ELb0ELc67ELc85EKS1_S1_EviT_PT9_S3_lS5_S3_lPT10_S3_li
	.p2align	8
	.type	_ZL37rocblas_syrkx_herkx_restricted_kernelIl19rocblas_complex_numIfELi16ELi32ELi8ELi1ELi1ELb0ELc67ELc85EKS1_S1_EviT_PT9_S3_lS5_S3_lPT10_S3_li,@function
_ZL37rocblas_syrkx_herkx_restricted_kernelIl19rocblas_complex_numIfELi16ELi32ELi8ELi1ELi1ELb0ELc67ELc85EKS1_S1_EviT_PT9_S3_lS5_S3_lPT10_S3_li: ; @_ZL37rocblas_syrkx_herkx_restricted_kernelIl19rocblas_complex_numIfELi16ELi32ELi8ELi1ELi1ELb0ELc67ELc85EKS1_S1_EviT_PT9_S3_lS5_S3_lPT10_S3_li
; %bb.0:
	s_load_dwordx16 s[12:27], s[4:5], 0x8
	s_lshl_b32 s2, s6, 5
	s_lshl_b32 s3, s7, 5
	s_waitcnt lgkmcnt(0)
	v_cmp_lt_i64_e64 s[0:1], s[12:13], 1
	s_and_b64 vcc, exec, s[0:1]
	s_cbranch_vccnz .LBB1084_3
; %bb.1:
	v_lshl_add_u32 v4, v1, 4, v0
	v_lshrrev_b32_e32 v6, 3, v4
	v_add_u32_e32 v2, s3, v6
	v_ashrrev_i32_e32 v3, 31, v2
	v_and_b32_e32 v9, 7, v0
	v_mov_b32_e32 v10, 0
	v_mul_lo_u32 v5, s22, v3
	v_mul_lo_u32 v7, s23, v2
	v_mad_u64_u32 v[2:3], s[0:1], s22, v2, v[9:10]
	s_mul_i32 s6, s19, s8
	s_mul_hi_u32 s7, s18, s8
	v_add3_u32 v3, v7, v3, v5
	v_and_b32_e32 v7, 31, v4
	v_lshrrev_b32_e32 v4, 5, v4
	v_lshlrev_b32_e32 v8, 3, v7
	v_lshl_or_b32 v11, v4, 8, v8
	v_lshlrev_b32_e32 v8, 3, v9
	v_lshl_or_b32 v6, v6, 6, v8
	v_add_u32_e32 v12, 0x800, v6
	v_mov_b32_e32 v6, 0x800
	v_lshl_add_u32 v14, v1, 6, v6
	v_add_u32_e32 v6, s2, v7
	v_mov_b32_e32 v5, v10
	v_ashrrev_i32_e32 v7, 31, v6
	v_mul_lo_u32 v7, s16, v7
	v_mad_u64_u32 v[4:5], s[0:1], s16, v6, v[4:5]
	v_mul_lo_u32 v6, s17, v6
	s_add_i32 s1, s7, s6
	s_mul_i32 s0, s18, s8
	s_lshl_b64 s[0:1], s[0:1], 3
	v_add3_u32 v5, v6, v5, v7
	v_lshlrev_b64 v[4:5], 3, v[4:5]
	s_add_u32 s0, s14, s0
	s_addc_u32 s1, s15, s1
	v_mov_b32_e32 v6, s1
	v_add_co_u32_e32 v4, vcc, s0, v4
	s_mul_i32 s0, s25, s8
	s_mul_hi_u32 s1, s24, s8
	s_add_i32 s1, s1, s0
	s_mul_i32 s0, s24, s8
	v_addc_co_u32_e32 v5, vcc, v6, v5, vcc
	s_lshl_b64 s[0:1], s[0:1], 3
	v_add_co_u32_e32 v6, vcc, 4, v4
	v_lshlrev_b64 v[2:3], 3, v[2:3]
	s_add_u32 s0, s20, s0
	v_addc_co_u32_e32 v7, vcc, 0, v5, vcc
	s_addc_u32 s1, s21, s1
	v_mov_b32_e32 v4, s1
	v_add_co_u32_e32 v2, vcc, s0, v2
	v_addc_co_u32_e32 v3, vcc, v4, v3, vcc
	v_add_co_u32_e32 v8, vcc, 4, v2
	v_lshlrev_b32_e32 v13, 3, v0
	v_addc_co_u32_e32 v9, vcc, 0, v3, vcc
	s_mov_b64 s[0:1], 0
	v_mov_b32_e32 v15, v10
	v_mov_b32_e32 v16, v10
	;; [unrolled: 1-line block ×7, first 2 shown]
.LBB1084_2:                             ; =>This Inner Loop Header: Depth=1
	global_load_dwordx2 v[2:3], v[6:7], off offset:-4
	s_add_u32 s0, s0, 8
	v_add_co_u32_e32 v6, vcc, 64, v6
	s_addc_u32 s1, s1, 0
	v_addc_co_u32_e32 v7, vcc, 0, v7, vcc
	s_waitcnt vmcnt(0)
	ds_write_b64 v11, v[2:3]
	global_load_dwordx2 v[2:3], v[8:9], off offset:-4
	v_add_co_u32_e32 v8, vcc, 64, v8
	v_addc_co_u32_e32 v9, vcc, 0, v9, vcc
	s_waitcnt vmcnt(0)
	ds_write_b64 v12, v[2:3]
	s_waitcnt lgkmcnt(0)
	s_barrier
	ds_read_b128 v[22:25], v14
	ds_read_b128 v[26:29], v14 offset:16
	ds_read_b128 v[30:33], v14 offset:32
	ds_read_b128 v[2:5], v14 offset:48
	ds_read2_b64 v[34:37], v13 offset1:16
	s_waitcnt lgkmcnt(0)
	v_mul_f32_e32 v38, v23, v35
	v_mul_f32_e32 v39, v22, v35
	v_fma_f32 v38, v22, v34, -v38
	v_fmac_f32_e32 v39, v23, v34
	v_add_f32_e32 v38, v20, v38
	v_add_f32_e32 v39, v21, v39
	v_mul_f32_e32 v20, v23, v37
	v_mul_f32_e32 v21, v22, v37
	v_fma_f32 v20, v22, v36, -v20
	v_fmac_f32_e32 v21, v23, v36
	v_add_f32_e32 v22, v19, v20
	v_add_f32_e32 v23, v18, v21
	ds_read_b128 v[18:21], v14 offset:1024
	s_waitcnt lgkmcnt(0)
	v_mul_f32_e32 v40, v19, v35
	v_mul_f32_e32 v35, v18, v35
	v_fma_f32 v40, v18, v34, -v40
	v_fmac_f32_e32 v35, v19, v34
	v_add_f32_e32 v34, v17, v40
	v_add_f32_e32 v35, v16, v35
	v_mul_f32_e32 v16, v19, v37
	v_mul_f32_e32 v17, v18, v37
	v_fma_f32 v16, v18, v36, -v16
	v_fmac_f32_e32 v17, v19, v36
	v_add_f32_e32 v19, v15, v16
	v_add_f32_e32 v10, v10, v17
	ds_read2_b64 v[15:18], v13 offset0:32 offset1:48
	s_waitcnt lgkmcnt(0)
	v_mul_f32_e32 v36, v25, v16
	v_fma_f32 v36, v24, v15, -v36
	v_add_f32_e32 v36, v38, v36
	v_mul_f32_e32 v38, v25, v18
	v_mul_f32_e32 v37, v24, v16
	v_fma_f32 v38, v24, v17, -v38
	v_mul_f32_e32 v24, v24, v18
	v_fmac_f32_e32 v24, v25, v17
	v_add_f32_e32 v23, v23, v24
	v_mul_f32_e32 v24, v21, v16
	v_mul_f32_e32 v16, v20, v16
	v_fmac_f32_e32 v16, v21, v15
	v_fmac_f32_e32 v37, v25, v15
	v_fma_f32 v24, v20, v15, -v24
	v_add_f32_e32 v25, v35, v16
	v_mul_f32_e32 v15, v21, v18
	v_mul_f32_e32 v16, v20, v18
	v_fma_f32 v15, v20, v17, -v15
	v_fmac_f32_e32 v16, v21, v17
	v_add_f32_e32 v24, v34, v24
	v_add_f32_e32 v34, v19, v15
	;; [unrolled: 1-line block ×3, first 2 shown]
	ds_read2_b64 v[15:18], v13 offset0:64 offset1:80
	v_add_f32_e32 v37, v39, v37
	v_add_f32_e32 v22, v22, v38
	s_waitcnt lgkmcnt(0)
	v_mul_f32_e32 v19, v27, v16
	v_mul_f32_e32 v20, v26, v16
	v_fma_f32 v19, v26, v15, -v19
	v_fmac_f32_e32 v20, v27, v15
	v_add_f32_e32 v35, v36, v19
	v_add_f32_e32 v36, v37, v20
	v_mul_f32_e32 v19, v27, v18
	v_mul_f32_e32 v20, v26, v18
	v_fma_f32 v19, v26, v17, -v19
	v_fmac_f32_e32 v20, v27, v17
	v_add_f32_e32 v26, v22, v19
	v_add_f32_e32 v23, v23, v20
	ds_read_b128 v[19:22], v14 offset:1040
	s_waitcnt lgkmcnt(0)
	v_mul_f32_e32 v27, v20, v16
	v_mul_f32_e32 v16, v19, v16
	v_fmac_f32_e32 v16, v20, v15
	v_fma_f32 v27, v19, v15, -v27
	v_add_f32_e32 v25, v25, v16
	v_mul_f32_e32 v15, v20, v18
	v_mul_f32_e32 v16, v19, v18
	v_fma_f32 v15, v19, v17, -v15
	v_fmac_f32_e32 v16, v20, v17
	v_add_f32_e32 v19, v34, v15
	v_add_f32_e32 v10, v10, v16
	ds_read2_b64 v[15:18], v13 offset0:96 offset1:112
	v_add_f32_e32 v24, v24, v27
	s_waitcnt lgkmcnt(0)
	v_mul_f32_e32 v20, v29, v16
	v_mul_f32_e32 v34, v29, v18
	v_fma_f32 v20, v28, v15, -v20
	v_mul_f32_e32 v27, v28, v16
	v_fma_f32 v34, v28, v17, -v34
	v_mul_f32_e32 v28, v28, v18
	v_fmac_f32_e32 v28, v29, v17
	v_add_f32_e32 v23, v23, v28
	v_mul_f32_e32 v28, v22, v16
	v_mul_f32_e32 v16, v21, v16
	v_fmac_f32_e32 v16, v22, v15
	v_fmac_f32_e32 v27, v29, v15
	v_fma_f32 v28, v21, v15, -v28
	v_add_f32_e32 v25, v25, v16
	v_mul_f32_e32 v15, v22, v18
	v_mul_f32_e32 v16, v21, v18
	v_fma_f32 v15, v21, v17, -v15
	v_fmac_f32_e32 v16, v22, v17
	v_add_f32_e32 v24, v24, v28
	v_add_f32_e32 v28, v19, v15
	;; [unrolled: 1-line block ×3, first 2 shown]
	ds_read2_b64 v[15:18], v13 offset0:128 offset1:144
	v_add_f32_e32 v20, v35, v20
	v_add_f32_e32 v27, v36, v27
	;; [unrolled: 1-line block ×3, first 2 shown]
	s_waitcnt lgkmcnt(0)
	v_mul_f32_e32 v19, v31, v16
	v_fma_f32 v19, v30, v15, -v19
	v_mul_f32_e32 v21, v30, v16
	v_add_f32_e32 v29, v20, v19
	v_mul_f32_e32 v19, v31, v18
	v_mul_f32_e32 v20, v30, v18
	v_fmac_f32_e32 v21, v31, v15
	v_fma_f32 v19, v30, v17, -v19
	v_fmac_f32_e32 v20, v31, v17
	v_add_f32_e32 v27, v27, v21
	v_add_f32_e32 v26, v26, v19
	;; [unrolled: 1-line block ×3, first 2 shown]
	ds_read_b128 v[19:22], v14 offset:1056
	s_waitcnt lgkmcnt(0)
	v_mul_f32_e32 v30, v20, v16
	v_mul_f32_e32 v16, v19, v16
	v_fmac_f32_e32 v16, v20, v15
	v_fma_f32 v30, v19, v15, -v30
	v_add_f32_e32 v25, v25, v16
	v_mul_f32_e32 v15, v20, v18
	v_mul_f32_e32 v16, v19, v18
	v_fma_f32 v15, v19, v17, -v15
	v_fmac_f32_e32 v16, v20, v17
	v_add_f32_e32 v19, v28, v15
	v_add_f32_e32 v10, v10, v16
	ds_read2_b64 v[15:18], v13 offset0:160 offset1:176
	v_add_f32_e32 v24, v24, v30
	s_waitcnt lgkmcnt(0)
	v_mul_f32_e32 v28, v32, v16
	v_fmac_f32_e32 v28, v33, v15
	v_add_f32_e32 v27, v27, v28
	v_mul_f32_e32 v28, v33, v18
	v_fma_f32 v28, v32, v17, -v28
	v_mul_f32_e32 v20, v33, v16
	v_add_f32_e32 v26, v26, v28
	v_mul_f32_e32 v28, v22, v16
	v_mul_f32_e32 v16, v21, v16
	v_fmac_f32_e32 v16, v22, v15
	v_fma_f32 v20, v32, v15, -v20
	v_fma_f32 v28, v21, v15, -v28
	v_add_f32_e32 v25, v25, v16
	v_mul_f32_e32 v15, v22, v18
	v_mul_f32_e32 v16, v21, v18
	v_add_f32_e32 v20, v29, v20
	v_mul_f32_e32 v29, v32, v18
	v_fma_f32 v15, v21, v17, -v15
	v_fmac_f32_e32 v16, v22, v17
	v_fmac_f32_e32 v29, v33, v17
	v_add_f32_e32 v19, v19, v15
	v_add_f32_e32 v10, v10, v16
	ds_read2_b64 v[15:18], v13 offset0:192 offset1:208
	v_add_f32_e32 v24, v24, v28
	v_add_f32_e32 v23, v23, v29
	s_waitcnt lgkmcnt(0)
	v_mul_f32_e32 v21, v3, v16
	v_fma_f32 v21, v2, v15, -v21
	v_add_f32_e32 v28, v20, v21
	v_mul_f32_e32 v20, v3, v18
	v_mul_f32_e32 v22, v2, v16
	v_fma_f32 v20, v2, v17, -v20
	v_mul_f32_e32 v2, v2, v18
	v_fmac_f32_e32 v22, v3, v15
	v_fmac_f32_e32 v2, v3, v17
	v_add_f32_e32 v29, v27, v22
	v_add_f32_e32 v3, v26, v20
	;; [unrolled: 1-line block ×3, first 2 shown]
	ds_read_b128 v[20:23], v14 offset:1072
	s_waitcnt lgkmcnt(0)
	v_mul_f32_e32 v26, v21, v16
	v_fma_f32 v26, v20, v15, -v26
	v_mul_f32_e32 v16, v20, v16
	v_fmac_f32_e32 v16, v21, v15
	v_add_f32_e32 v15, v24, v26
	v_mul_f32_e32 v24, v21, v18
	v_fma_f32 v24, v20, v17, -v24
	v_add_f32_e32 v16, v25, v16
	v_add_f32_e32 v30, v19, v24
	ds_read2_b64 v[24:27], v13 offset0:224 offset1:240
	v_mul_f32_e32 v18, v20, v18
	v_fmac_f32_e32 v18, v21, v17
	v_add_f32_e32 v10, v10, v18
	s_waitcnt lgkmcnt(0)
	v_mul_f32_e32 v17, v5, v25
	v_fma_f32 v17, v4, v24, -v17
	v_add_f32_e32 v20, v28, v17
	v_mul_f32_e32 v17, v5, v27
	v_mul_f32_e32 v18, v4, v25
	v_fma_f32 v17, v4, v26, -v17
	v_mul_f32_e32 v4, v4, v27
	v_fmac_f32_e32 v18, v5, v24
	v_fmac_f32_e32 v4, v5, v26
	v_add_f32_e32 v21, v29, v18
	v_add_f32_e32 v19, v3, v17
	;; [unrolled: 1-line block ×3, first 2 shown]
	v_mul_f32_e32 v2, v23, v25
	v_mul_f32_e32 v3, v22, v25
	v_fma_f32 v2, v22, v24, -v2
	v_fmac_f32_e32 v3, v23, v24
	v_add_f32_e32 v17, v15, v2
	v_add_f32_e32 v16, v16, v3
	v_mul_f32_e32 v2, v23, v27
	v_mul_f32_e32 v3, v22, v27
	v_fma_f32 v2, v22, v26, -v2
	v_fmac_f32_e32 v3, v23, v26
	v_add_f32_e32 v15, v30, v2
	v_add_f32_e32 v10, v10, v3
	v_mov_b32_e32 v3, s1
	v_mov_b32_e32 v2, s0
	v_cmp_le_u64_e32 vcc, s[12:13], v[2:3]
	s_barrier
	s_cbranch_vccz .LBB1084_2
	s_branch .LBB1084_4
.LBB1084_3:
	v_mov_b32_e32 v20, 0
	v_mov_b32_e32 v21, 0
	;; [unrolled: 1-line block ×8, first 2 shown]
.LBB1084_4:
	s_load_dwordx4 s[12:15], s[4:5], 0x48
	s_load_dword s6, s[4:5], 0x0
	v_add_u32_e32 v4, s3, v1
	v_ashrrev_i32_e32 v1, 31, v4
	v_add_u32_e32 v0, s2, v0
	s_waitcnt lgkmcnt(0)
	s_mul_i32 s1, s15, s8
	s_mul_hi_u32 s3, s14, s8
	s_mul_i32 s0, s14, s8
	v_mul_lo_u32 v3, s12, v1
	v_mul_lo_u32 v5, s13, v4
	v_mad_u64_u32 v[1:2], s[8:9], s12, v4, 0
	s_add_i32 s1, s3, s1
	s_lshl_b64 s[0:1], s[0:1], 3
	v_add3_u32 v2, v2, v3, v5
	s_add_u32 s4, s26, s0
	v_lshlrev_b64 v[1:2], 3, v[1:2]
	s_addc_u32 s5, s27, s1
	v_mov_b32_e32 v3, s5
	v_add_co_u32_e64 v5, s[0:1], s4, v1
	v_addc_co_u32_e64 v6, s[0:1], v3, v2, s[0:1]
	v_cmp_gt_i32_e32 vcc, s6, v4
	v_cmp_le_i32_e64 s[0:1], v0, v4
	s_and_b64 s[0:1], vcc, s[0:1]
	s_and_saveexec_b64 s[2:3], s[0:1]
	s_cbranch_execz .LBB1084_6
; %bb.5:
	v_ashrrev_i32_e32 v1, 31, v0
	v_lshlrev_b64 v[1:2], 3, v[0:1]
	v_add_co_u32_e64 v1, s[0:1], v5, v1
	v_addc_co_u32_e64 v2, s[0:1], v6, v2, s[0:1]
	global_load_dwordx2 v[7:8], v[1:2], off
	s_waitcnt vmcnt(0)
	v_add_f32_e32 v7, v20, v7
	v_add_f32_e32 v8, v21, v8
	global_store_dwordx2 v[1:2], v[7:8], off
.LBB1084_6:
	s_or_b64 exec, exec, s[2:3]
	v_add_u32_e32 v2, 16, v0
	v_cmp_le_i32_e64 s[0:1], v2, v4
	s_and_b64 s[2:3], vcc, s[0:1]
	s_and_saveexec_b64 s[0:1], s[2:3]
	s_cbranch_execz .LBB1084_8
; %bb.7:
	v_ashrrev_i32_e32 v3, 31, v2
	v_lshlrev_b64 v[7:8], 3, v[2:3]
	v_add_co_u32_e32 v5, vcc, v5, v7
	v_addc_co_u32_e32 v6, vcc, v6, v8, vcc
	global_load_dwordx2 v[7:8], v[5:6], off
	s_waitcnt vmcnt(0)
	v_add_f32_e32 v7, v19, v7
	v_add_f32_e32 v8, v18, v8
	global_store_dwordx2 v[5:6], v[7:8], off
.LBB1084_8:
	s_or_b64 exec, exec, s[0:1]
	v_add_u32_e32 v3, 16, v4
	v_ashrrev_i32_e32 v1, 31, v3
	v_mul_lo_u32 v1, s12, v1
	v_mul_lo_u32 v6, s13, v3
	v_mad_u64_u32 v[4:5], s[0:1], s12, v3, 0
	v_cmp_gt_i32_e32 vcc, s6, v3
	v_add3_u32 v5, v5, v1, v6
	v_lshlrev_b64 v[4:5], 3, v[4:5]
	v_mov_b32_e32 v1, s5
	v_add_co_u32_e64 v4, s[0:1], s4, v4
	v_addc_co_u32_e64 v5, s[0:1], v1, v5, s[0:1]
	v_cmp_le_i32_e64 s[0:1], v0, v3
	s_and_b64 s[0:1], vcc, s[0:1]
	s_and_saveexec_b64 s[2:3], s[0:1]
	s_cbranch_execz .LBB1084_10
; %bb.9:
	v_ashrrev_i32_e32 v1, 31, v0
	v_lshlrev_b64 v[0:1], 3, v[0:1]
	v_add_co_u32_e64 v0, s[0:1], v4, v0
	v_addc_co_u32_e64 v1, s[0:1], v5, v1, s[0:1]
	global_load_dwordx2 v[6:7], v[0:1], off
	s_waitcnt vmcnt(0)
	v_add_f32_e32 v6, v17, v6
	v_add_f32_e32 v7, v16, v7
	global_store_dwordx2 v[0:1], v[6:7], off
.LBB1084_10:
	s_or_b64 exec, exec, s[2:3]
	v_cmp_le_i32_e64 s[0:1], v2, v3
	s_and_b64 s[0:1], vcc, s[0:1]
	s_and_saveexec_b64 s[2:3], s[0:1]
	s_cbranch_execz .LBB1084_12
; %bb.11:
	v_ashrrev_i32_e32 v3, 31, v2
	v_lshlrev_b64 v[0:1], 3, v[2:3]
	v_add_co_u32_e32 v0, vcc, v4, v0
	v_addc_co_u32_e32 v1, vcc, v5, v1, vcc
	global_load_dwordx2 v[2:3], v[0:1], off
	s_waitcnt vmcnt(0)
	v_add_f32_e32 v2, v15, v2
	v_add_f32_e32 v3, v10, v3
	global_store_dwordx2 v[0:1], v[2:3], off
.LBB1084_12:
	s_endpgm
	.section	.rodata,"a",@progbits
	.p2align	6, 0x0
	.amdhsa_kernel _ZL37rocblas_syrkx_herkx_restricted_kernelIl19rocblas_complex_numIfELi16ELi32ELi8ELi1ELi1ELb0ELc67ELc85EKS1_S1_EviT_PT9_S3_lS5_S3_lPT10_S3_li
		.amdhsa_group_segment_fixed_size 4096
		.amdhsa_private_segment_fixed_size 0
		.amdhsa_kernarg_size 92
		.amdhsa_user_sgpr_count 6
		.amdhsa_user_sgpr_private_segment_buffer 1
		.amdhsa_user_sgpr_dispatch_ptr 0
		.amdhsa_user_sgpr_queue_ptr 0
		.amdhsa_user_sgpr_kernarg_segment_ptr 1
		.amdhsa_user_sgpr_dispatch_id 0
		.amdhsa_user_sgpr_flat_scratch_init 0
		.amdhsa_user_sgpr_private_segment_size 0
		.amdhsa_uses_dynamic_stack 0
		.amdhsa_system_sgpr_private_segment_wavefront_offset 0
		.amdhsa_system_sgpr_workgroup_id_x 1
		.amdhsa_system_sgpr_workgroup_id_y 1
		.amdhsa_system_sgpr_workgroup_id_z 1
		.amdhsa_system_sgpr_workgroup_info 0
		.amdhsa_system_vgpr_workitem_id 1
		.amdhsa_next_free_vgpr 41
		.amdhsa_next_free_sgpr 28
		.amdhsa_reserve_vcc 1
		.amdhsa_reserve_flat_scratch 0
		.amdhsa_float_round_mode_32 0
		.amdhsa_float_round_mode_16_64 0
		.amdhsa_float_denorm_mode_32 3
		.amdhsa_float_denorm_mode_16_64 3
		.amdhsa_dx10_clamp 1
		.amdhsa_ieee_mode 1
		.amdhsa_fp16_overflow 0
		.amdhsa_exception_fp_ieee_invalid_op 0
		.amdhsa_exception_fp_denorm_src 0
		.amdhsa_exception_fp_ieee_div_zero 0
		.amdhsa_exception_fp_ieee_overflow 0
		.amdhsa_exception_fp_ieee_underflow 0
		.amdhsa_exception_fp_ieee_inexact 0
		.amdhsa_exception_int_div_zero 0
	.end_amdhsa_kernel
	.section	.text._ZL37rocblas_syrkx_herkx_restricted_kernelIl19rocblas_complex_numIfELi16ELi32ELi8ELi1ELi1ELb0ELc67ELc85EKS1_S1_EviT_PT9_S3_lS5_S3_lPT10_S3_li,"axG",@progbits,_ZL37rocblas_syrkx_herkx_restricted_kernelIl19rocblas_complex_numIfELi16ELi32ELi8ELi1ELi1ELb0ELc67ELc85EKS1_S1_EviT_PT9_S3_lS5_S3_lPT10_S3_li,comdat
.Lfunc_end1084:
	.size	_ZL37rocblas_syrkx_herkx_restricted_kernelIl19rocblas_complex_numIfELi16ELi32ELi8ELi1ELi1ELb0ELc67ELc85EKS1_S1_EviT_PT9_S3_lS5_S3_lPT10_S3_li, .Lfunc_end1084-_ZL37rocblas_syrkx_herkx_restricted_kernelIl19rocblas_complex_numIfELi16ELi32ELi8ELi1ELi1ELb0ELc67ELc85EKS1_S1_EviT_PT9_S3_lS5_S3_lPT10_S3_li
                                        ; -- End function
	.set _ZL37rocblas_syrkx_herkx_restricted_kernelIl19rocblas_complex_numIfELi16ELi32ELi8ELi1ELi1ELb0ELc67ELc85EKS1_S1_EviT_PT9_S3_lS5_S3_lPT10_S3_li.num_vgpr, 41
	.set _ZL37rocblas_syrkx_herkx_restricted_kernelIl19rocblas_complex_numIfELi16ELi32ELi8ELi1ELi1ELb0ELc67ELc85EKS1_S1_EviT_PT9_S3_lS5_S3_lPT10_S3_li.num_agpr, 0
	.set _ZL37rocblas_syrkx_herkx_restricted_kernelIl19rocblas_complex_numIfELi16ELi32ELi8ELi1ELi1ELb0ELc67ELc85EKS1_S1_EviT_PT9_S3_lS5_S3_lPT10_S3_li.numbered_sgpr, 28
	.set _ZL37rocblas_syrkx_herkx_restricted_kernelIl19rocblas_complex_numIfELi16ELi32ELi8ELi1ELi1ELb0ELc67ELc85EKS1_S1_EviT_PT9_S3_lS5_S3_lPT10_S3_li.num_named_barrier, 0
	.set _ZL37rocblas_syrkx_herkx_restricted_kernelIl19rocblas_complex_numIfELi16ELi32ELi8ELi1ELi1ELb0ELc67ELc85EKS1_S1_EviT_PT9_S3_lS5_S3_lPT10_S3_li.private_seg_size, 0
	.set _ZL37rocblas_syrkx_herkx_restricted_kernelIl19rocblas_complex_numIfELi16ELi32ELi8ELi1ELi1ELb0ELc67ELc85EKS1_S1_EviT_PT9_S3_lS5_S3_lPT10_S3_li.uses_vcc, 1
	.set _ZL37rocblas_syrkx_herkx_restricted_kernelIl19rocblas_complex_numIfELi16ELi32ELi8ELi1ELi1ELb0ELc67ELc85EKS1_S1_EviT_PT9_S3_lS5_S3_lPT10_S3_li.uses_flat_scratch, 0
	.set _ZL37rocblas_syrkx_herkx_restricted_kernelIl19rocblas_complex_numIfELi16ELi32ELi8ELi1ELi1ELb0ELc67ELc85EKS1_S1_EviT_PT9_S3_lS5_S3_lPT10_S3_li.has_dyn_sized_stack, 0
	.set _ZL37rocblas_syrkx_herkx_restricted_kernelIl19rocblas_complex_numIfELi16ELi32ELi8ELi1ELi1ELb0ELc67ELc85EKS1_S1_EviT_PT9_S3_lS5_S3_lPT10_S3_li.has_recursion, 0
	.set _ZL37rocblas_syrkx_herkx_restricted_kernelIl19rocblas_complex_numIfELi16ELi32ELi8ELi1ELi1ELb0ELc67ELc85EKS1_S1_EviT_PT9_S3_lS5_S3_lPT10_S3_li.has_indirect_call, 0
	.section	.AMDGPU.csdata,"",@progbits
; Kernel info:
; codeLenInByte = 2048
; TotalNumSgprs: 32
; NumVgprs: 41
; ScratchSize: 0
; MemoryBound: 0
; FloatMode: 240
; IeeeMode: 1
; LDSByteSize: 4096 bytes/workgroup (compile time only)
; SGPRBlocks: 3
; VGPRBlocks: 10
; NumSGPRsForWavesPerEU: 32
; NumVGPRsForWavesPerEU: 41
; Occupancy: 5
; WaveLimiterHint : 1
; COMPUTE_PGM_RSRC2:SCRATCH_EN: 0
; COMPUTE_PGM_RSRC2:USER_SGPR: 6
; COMPUTE_PGM_RSRC2:TRAP_HANDLER: 0
; COMPUTE_PGM_RSRC2:TGID_X_EN: 1
; COMPUTE_PGM_RSRC2:TGID_Y_EN: 1
; COMPUTE_PGM_RSRC2:TGID_Z_EN: 1
; COMPUTE_PGM_RSRC2:TIDIG_COMP_CNT: 1
	.section	.text._ZL37rocblas_syrkx_herkx_restricted_kernelIl19rocblas_complex_numIfELi16ELi32ELi8ELi1ELi1ELb0ELc78ELc85EKS1_S1_EviT_PT9_S3_lS5_S3_lPT10_S3_li,"axG",@progbits,_ZL37rocblas_syrkx_herkx_restricted_kernelIl19rocblas_complex_numIfELi16ELi32ELi8ELi1ELi1ELb0ELc78ELc85EKS1_S1_EviT_PT9_S3_lS5_S3_lPT10_S3_li,comdat
	.globl	_ZL37rocblas_syrkx_herkx_restricted_kernelIl19rocblas_complex_numIfELi16ELi32ELi8ELi1ELi1ELb0ELc78ELc85EKS1_S1_EviT_PT9_S3_lS5_S3_lPT10_S3_li ; -- Begin function _ZL37rocblas_syrkx_herkx_restricted_kernelIl19rocblas_complex_numIfELi16ELi32ELi8ELi1ELi1ELb0ELc78ELc85EKS1_S1_EviT_PT9_S3_lS5_S3_lPT10_S3_li
	.p2align	8
	.type	_ZL37rocblas_syrkx_herkx_restricted_kernelIl19rocblas_complex_numIfELi16ELi32ELi8ELi1ELi1ELb0ELc78ELc85EKS1_S1_EviT_PT9_S3_lS5_S3_lPT10_S3_li,@function
_ZL37rocblas_syrkx_herkx_restricted_kernelIl19rocblas_complex_numIfELi16ELi32ELi8ELi1ELi1ELb0ELc78ELc85EKS1_S1_EviT_PT9_S3_lS5_S3_lPT10_S3_li: ; @_ZL37rocblas_syrkx_herkx_restricted_kernelIl19rocblas_complex_numIfELi16ELi32ELi8ELi1ELi1ELb0ELc78ELc85EKS1_S1_EviT_PT9_S3_lS5_S3_lPT10_S3_li
; %bb.0:
	s_load_dwordx16 s[12:27], s[4:5], 0x8
	s_lshl_b32 s9, s6, 5
	s_lshl_b32 s10, s7, 5
	s_waitcnt lgkmcnt(0)
	v_cmp_lt_i64_e64 s[0:1], s[12:13], 1
	s_and_b64 vcc, exec, s[0:1]
	s_cbranch_vccnz .LBB1085_3
; %bb.1:
	v_lshl_add_u32 v6, v1, 4, v0
	v_lshrrev_b32_e32 v7, 3, v6
	v_add_u32_e32 v2, s10, v7
	v_and_b32_e32 v5, 7, v0
	v_ashrrev_i32_e32 v3, 31, v2
	v_mad_u64_u32 v[2:3], s[0:1], s22, v5, v[2:3]
	v_lshrrev_b32_e32 v8, 5, v6
	s_mul_i32 s2, s19, s8
	v_mad_u64_u32 v[3:4], s[0:1], s23, v5, v[3:4]
	v_and_b32_e32 v4, 31, v6
	v_lshlrev_b32_e32 v5, 3, v5
	v_lshlrev_b32_e32 v6, 3, v4
	v_lshl_or_b32 v5, v7, 6, v5
	v_add_u32_e32 v4, s9, v4
	v_add_u32_e32 v11, 0x800, v5
	v_ashrrev_i32_e32 v5, 31, v4
	v_mad_u64_u32 v[4:5], s[0:1], s16, v8, v[4:5]
	v_lshl_or_b32 v10, v8, 8, v6
	v_mov_b32_e32 v6, 0x800
	v_lshl_add_u32 v13, v1, 6, v6
	v_mad_u64_u32 v[5:6], s[0:1], s17, v8, v[5:6]
	s_mul_hi_u32 s3, s18, s8
	s_add_i32 s1, s3, s2
	s_mul_i32 s0, s18, s8
	s_lshl_b64 s[0:1], s[0:1], 3
	v_lshlrev_b64 v[4:5], 3, v[4:5]
	s_add_u32 s0, s14, s0
	s_addc_u32 s1, s15, s1
	s_mul_i32 s2, s25, s8
	s_mul_hi_u32 s3, s24, s8
	v_mov_b32_e32 v6, s1
	v_add_co_u32_e32 v4, vcc, s0, v4
	s_add_i32 s3, s3, s2
	s_mul_i32 s2, s24, s8
	v_addc_co_u32_e32 v5, vcc, v6, v5, vcc
	s_lshl_b64 s[0:1], s[16:17], 6
	s_lshl_b64 s[2:3], s[2:3], 3
	v_add_co_u32_e32 v6, vcc, 4, v4
	v_lshlrev_b64 v[2:3], 3, v[2:3]
	s_add_u32 s2, s20, s2
	v_addc_co_u32_e32 v7, vcc, 0, v5, vcc
	s_addc_u32 s3, s21, s3
	v_mov_b32_e32 v4, s3
	v_add_co_u32_e32 v2, vcc, s2, v2
	v_addc_co_u32_e32 v3, vcc, v4, v3, vcc
	v_add_co_u32_e32 v8, vcc, 4, v2
	s_lshl_b64 s[2:3], s[22:23], 6
	v_lshlrev_b32_e32 v12, 3, v0
	v_addc_co_u32_e32 v9, vcc, 0, v3, vcc
	v_mov_b32_e32 v16, 0
	s_mov_b64 s[6:7], 0
	v_mov_b32_e32 v14, s1
	v_mov_b32_e32 v15, s3
	v_mov_b32_e32 v17, 0
	v_mov_b32_e32 v18, 0
	v_mov_b32_e32 v19, 0
	v_mov_b32_e32 v20, 0
	v_mov_b32_e32 v21, 0
	v_mov_b32_e32 v23, 0
	v_mov_b32_e32 v22, 0
.LBB1085_2:                             ; =>This Inner Loop Header: Depth=1
	global_load_dwordx2 v[2:3], v[6:7], off offset:-4
	v_add_co_u32_e32 v6, vcc, s0, v6
	s_add_u32 s6, s6, 8
	v_addc_co_u32_e32 v7, vcc, v7, v14, vcc
	s_addc_u32 s7, s7, 0
	s_waitcnt vmcnt(0)
	ds_write_b64 v10, v[2:3]
	global_load_dwordx2 v[2:3], v[8:9], off offset:-4
	v_add_co_u32_e32 v8, vcc, s2, v8
	v_addc_co_u32_e32 v9, vcc, v9, v15, vcc
	s_waitcnt vmcnt(0)
	ds_write_b64 v11, v[2:3]
	s_waitcnt lgkmcnt(0)
	s_barrier
	ds_read_b128 v[24:27], v13
	ds_read_b128 v[28:31], v13 offset:16
	ds_read_b128 v[32:35], v13 offset:32
	;; [unrolled: 1-line block ×3, first 2 shown]
	ds_read2_b64 v[36:39], v12 offset1:16
	s_waitcnt lgkmcnt(0)
	v_mul_f32_e32 v40, v25, v37
	v_mul_f32_e32 v41, v24, v37
	v_fma_f32 v40, v24, v36, -v40
	v_fmac_f32_e32 v41, v25, v36
	v_add_f32_e32 v40, v22, v40
	v_add_f32_e32 v41, v23, v41
	v_mul_f32_e32 v22, v25, v39
	v_mul_f32_e32 v23, v24, v39
	v_fma_f32 v22, v24, v38, -v22
	v_fmac_f32_e32 v23, v25, v38
	v_add_f32_e32 v24, v21, v22
	v_add_f32_e32 v25, v20, v23
	ds_read_b128 v[20:23], v13 offset:1024
	s_waitcnt lgkmcnt(0)
	v_mul_f32_e32 v42, v21, v37
	v_mul_f32_e32 v37, v20, v37
	v_fma_f32 v42, v20, v36, -v42
	v_fmac_f32_e32 v37, v21, v36
	v_add_f32_e32 v36, v19, v42
	v_add_f32_e32 v37, v18, v37
	v_mul_f32_e32 v18, v21, v39
	v_mul_f32_e32 v19, v20, v39
	v_fma_f32 v18, v20, v38, -v18
	v_fmac_f32_e32 v19, v21, v38
	v_add_f32_e32 v20, v17, v18
	v_add_f32_e32 v21, v16, v19
	ds_read2_b64 v[16:19], v12 offset0:32 offset1:48
	s_waitcnt lgkmcnt(0)
	v_mul_f32_e32 v38, v27, v17
	v_fma_f32 v38, v26, v16, -v38
	v_add_f32_e32 v38, v40, v38
	v_mul_f32_e32 v40, v27, v19
	v_mul_f32_e32 v39, v26, v17
	v_fma_f32 v40, v26, v18, -v40
	v_mul_f32_e32 v26, v26, v19
	v_fmac_f32_e32 v26, v27, v18
	v_add_f32_e32 v25, v25, v26
	v_mul_f32_e32 v26, v23, v17
	v_mul_f32_e32 v17, v22, v17
	v_fmac_f32_e32 v17, v23, v16
	v_fmac_f32_e32 v39, v27, v16
	v_fma_f32 v26, v22, v16, -v26
	v_add_f32_e32 v27, v37, v17
	v_mul_f32_e32 v16, v23, v19
	v_mul_f32_e32 v17, v22, v19
	v_fma_f32 v16, v22, v18, -v16
	v_fmac_f32_e32 v17, v23, v18
	v_add_f32_e32 v26, v36, v26
	v_add_f32_e32 v36, v20, v16
	;; [unrolled: 1-line block ×3, first 2 shown]
	ds_read2_b64 v[16:19], v12 offset0:64 offset1:80
	v_add_f32_e32 v39, v41, v39
	v_add_f32_e32 v24, v24, v40
	s_waitcnt lgkmcnt(0)
	v_mul_f32_e32 v20, v29, v17
	v_mul_f32_e32 v21, v28, v17
	v_fma_f32 v20, v28, v16, -v20
	v_fmac_f32_e32 v21, v29, v16
	v_add_f32_e32 v38, v38, v20
	v_add_f32_e32 v39, v39, v21
	v_mul_f32_e32 v20, v29, v19
	v_mul_f32_e32 v21, v28, v19
	v_fma_f32 v20, v28, v18, -v20
	v_fmac_f32_e32 v21, v29, v18
	v_add_f32_e32 v24, v24, v20
	v_add_f32_e32 v25, v25, v21
	ds_read_b128 v[20:23], v13 offset:1040
	s_waitcnt lgkmcnt(0)
	v_mul_f32_e32 v28, v21, v17
	v_mul_f32_e32 v17, v20, v17
	v_fmac_f32_e32 v17, v21, v16
	v_fma_f32 v28, v20, v16, -v28
	v_add_f32_e32 v27, v27, v17
	v_mul_f32_e32 v16, v21, v19
	v_mul_f32_e32 v17, v20, v19
	v_fma_f32 v16, v20, v18, -v16
	v_fmac_f32_e32 v17, v21, v18
	v_add_f32_e32 v20, v36, v16
	v_add_f32_e32 v21, v37, v17
	ds_read2_b64 v[16:19], v12 offset0:96 offset1:112
	v_add_f32_e32 v26, v26, v28
	s_waitcnt lgkmcnt(0)
	v_mul_f32_e32 v28, v31, v17
	v_mul_f32_e32 v36, v31, v19
	v_fma_f32 v28, v30, v16, -v28
	v_mul_f32_e32 v29, v30, v17
	v_fma_f32 v36, v30, v18, -v36
	v_mul_f32_e32 v30, v30, v19
	v_fmac_f32_e32 v30, v31, v18
	v_add_f32_e32 v25, v25, v30
	v_mul_f32_e32 v30, v23, v17
	v_mul_f32_e32 v17, v22, v17
	v_fmac_f32_e32 v17, v23, v16
	v_fmac_f32_e32 v29, v31, v16
	v_fma_f32 v30, v22, v16, -v30
	v_add_f32_e32 v27, v27, v17
	v_mul_f32_e32 v16, v23, v19
	v_mul_f32_e32 v17, v22, v19
	v_fma_f32 v16, v22, v18, -v16
	v_fmac_f32_e32 v17, v23, v18
	v_add_f32_e32 v26, v26, v30
	v_add_f32_e32 v30, v20, v16
	;; [unrolled: 1-line block ×3, first 2 shown]
	ds_read2_b64 v[16:19], v12 offset0:128 offset1:144
	v_add_f32_e32 v28, v38, v28
	v_add_f32_e32 v29, v39, v29
	v_add_f32_e32 v24, v24, v36
	s_waitcnt lgkmcnt(0)
	v_mul_f32_e32 v20, v33, v17
	v_mul_f32_e32 v21, v32, v17
	v_fma_f32 v20, v32, v16, -v20
	v_fmac_f32_e32 v21, v33, v16
	v_add_f32_e32 v28, v28, v20
	v_add_f32_e32 v29, v29, v21
	v_mul_f32_e32 v20, v33, v19
	v_mul_f32_e32 v21, v32, v19
	v_fma_f32 v20, v32, v18, -v20
	v_fmac_f32_e32 v21, v33, v18
	v_add_f32_e32 v24, v24, v20
	v_add_f32_e32 v25, v25, v21
	ds_read_b128 v[20:23], v13 offset:1056
	s_waitcnt lgkmcnt(0)
	v_mul_f32_e32 v32, v21, v17
	v_mul_f32_e32 v17, v20, v17
	v_fmac_f32_e32 v17, v21, v16
	v_fma_f32 v32, v20, v16, -v32
	v_add_f32_e32 v27, v27, v17
	v_mul_f32_e32 v16, v21, v19
	v_mul_f32_e32 v17, v20, v19
	v_fma_f32 v16, v20, v18, -v16
	v_fmac_f32_e32 v17, v21, v18
	v_add_f32_e32 v20, v30, v16
	v_add_f32_e32 v21, v31, v17
	ds_read2_b64 v[16:19], v12 offset0:160 offset1:176
	v_add_f32_e32 v26, v26, v32
	s_waitcnt lgkmcnt(0)
	v_mul_f32_e32 v30, v35, v17
	v_fma_f32 v30, v34, v16, -v30
	v_add_f32_e32 v28, v28, v30
	v_mul_f32_e32 v30, v35, v19
	v_fma_f32 v30, v34, v18, -v30
	v_mul_f32_e32 v31, v34, v17
	v_add_f32_e32 v24, v24, v30
	v_mul_f32_e32 v30, v23, v17
	v_mul_f32_e32 v17, v22, v17
	v_fmac_f32_e32 v17, v23, v16
	v_fmac_f32_e32 v31, v35, v16
	v_fma_f32 v30, v22, v16, -v30
	v_add_f32_e32 v27, v27, v17
	v_mul_f32_e32 v16, v23, v19
	v_mul_f32_e32 v17, v22, v19
	v_add_f32_e32 v29, v29, v31
	v_mul_f32_e32 v31, v34, v19
	v_fma_f32 v16, v22, v18, -v16
	v_fmac_f32_e32 v17, v23, v18
	v_fmac_f32_e32 v31, v35, v18
	v_add_f32_e32 v20, v20, v16
	v_add_f32_e32 v21, v21, v17
	ds_read2_b64 v[16:19], v12 offset0:192 offset1:208
	v_add_f32_e32 v26, v26, v30
	v_add_f32_e32 v25, v25, v31
	s_waitcnt lgkmcnt(0)
	v_mul_f32_e32 v22, v3, v17
	v_fma_f32 v22, v2, v16, -v22
	v_add_f32_e32 v30, v28, v22
	v_mul_f32_e32 v22, v3, v19
	v_mul_f32_e32 v23, v2, v17
	v_fma_f32 v22, v2, v18, -v22
	v_mul_f32_e32 v2, v2, v19
	v_fmac_f32_e32 v23, v3, v16
	v_fmac_f32_e32 v2, v3, v18
	v_add_f32_e32 v31, v29, v23
	v_add_f32_e32 v3, v24, v22
	;; [unrolled: 1-line block ×3, first 2 shown]
	ds_read_b128 v[22:25], v13 offset:1072
	s_waitcnt lgkmcnt(0)
	v_mul_f32_e32 v28, v23, v17
	v_fma_f32 v28, v22, v16, -v28
	v_mul_f32_e32 v17, v22, v17
	v_fmac_f32_e32 v17, v23, v16
	v_add_f32_e32 v16, v26, v28
	v_mul_f32_e32 v26, v23, v19
	v_fma_f32 v26, v22, v18, -v26
	v_add_f32_e32 v17, v27, v17
	v_add_f32_e32 v32, v20, v26
	ds_read2_b64 v[26:29], v12 offset0:224 offset1:240
	v_mul_f32_e32 v19, v22, v19
	v_fmac_f32_e32 v19, v23, v18
	v_add_f32_e32 v33, v21, v19
	s_waitcnt lgkmcnt(0)
	v_mul_f32_e32 v18, v5, v27
	v_fma_f32 v18, v4, v26, -v18
	v_add_f32_e32 v22, v30, v18
	v_mul_f32_e32 v18, v5, v29
	v_mul_f32_e32 v19, v4, v27
	v_fma_f32 v18, v4, v28, -v18
	v_mul_f32_e32 v4, v4, v29
	v_fmac_f32_e32 v4, v5, v28
	v_add_f32_e32 v21, v3, v18
	v_add_f32_e32 v20, v2, v4
	v_mul_f32_e32 v2, v25, v27
	v_mul_f32_e32 v3, v24, v27
	v_fmac_f32_e32 v19, v5, v26
	v_fma_f32 v2, v24, v26, -v2
	v_fmac_f32_e32 v3, v25, v26
	v_add_f32_e32 v23, v31, v19
	v_add_f32_e32 v19, v16, v2
	;; [unrolled: 1-line block ×3, first 2 shown]
	v_mul_f32_e32 v2, v25, v29
	v_mul_f32_e32 v3, v24, v29
	v_fma_f32 v2, v24, v28, -v2
	v_fmac_f32_e32 v3, v25, v28
	v_add_f32_e32 v17, v32, v2
	v_add_f32_e32 v16, v33, v3
	v_mov_b32_e32 v2, s6
	v_mov_b32_e32 v3, s7
	v_cmp_le_u64_e32 vcc, s[12:13], v[2:3]
	s_barrier
	s_cbranch_vccz .LBB1085_2
	s_branch .LBB1085_4
.LBB1085_3:
	v_mov_b32_e32 v22, 0
	v_mov_b32_e32 v23, 0
	;; [unrolled: 1-line block ×8, first 2 shown]
.LBB1085_4:
	s_load_dwordx4 s[12:15], s[4:5], 0x48
	s_load_dword s6, s[4:5], 0x0
	v_add_u32_e32 v4, s10, v1
	v_ashrrev_i32_e32 v1, 31, v4
	v_add_u32_e32 v0, s9, v0
	s_waitcnt lgkmcnt(0)
	s_mul_i32 s1, s15, s8
	s_mul_hi_u32 s2, s14, s8
	s_add_i32 s1, s2, s1
	v_mul_lo_u32 v3, s12, v1
	v_mul_lo_u32 v5, s13, v4
	v_mad_u64_u32 v[1:2], s[2:3], s12, v4, 0
	s_mul_i32 s0, s14, s8
	s_lshl_b64 s[0:1], s[0:1], 3
	v_add3_u32 v2, v2, v3, v5
	s_add_u32 s4, s26, s0
	v_lshlrev_b64 v[1:2], 3, v[1:2]
	s_addc_u32 s5, s27, s1
	v_mov_b32_e32 v3, s5
	v_add_co_u32_e64 v5, s[0:1], s4, v1
	v_addc_co_u32_e64 v6, s[0:1], v3, v2, s[0:1]
	v_cmp_gt_i32_e32 vcc, s6, v4
	v_cmp_le_i32_e64 s[0:1], v0, v4
	s_and_b64 s[0:1], vcc, s[0:1]
	s_and_saveexec_b64 s[2:3], s[0:1]
	s_cbranch_execz .LBB1085_6
; %bb.5:
	v_ashrrev_i32_e32 v1, 31, v0
	v_lshlrev_b64 v[1:2], 3, v[0:1]
	v_add_co_u32_e64 v1, s[0:1], v5, v1
	v_addc_co_u32_e64 v2, s[0:1], v6, v2, s[0:1]
	global_load_dwordx2 v[7:8], v[1:2], off
	s_waitcnt vmcnt(0)
	v_add_f32_e32 v7, v22, v7
	v_add_f32_e32 v8, v23, v8
	global_store_dwordx2 v[1:2], v[7:8], off
.LBB1085_6:
	s_or_b64 exec, exec, s[2:3]
	v_add_u32_e32 v2, 16, v0
	v_cmp_le_i32_e64 s[0:1], v2, v4
	s_and_b64 s[2:3], vcc, s[0:1]
	s_and_saveexec_b64 s[0:1], s[2:3]
	s_cbranch_execz .LBB1085_8
; %bb.7:
	v_ashrrev_i32_e32 v3, 31, v2
	v_lshlrev_b64 v[7:8], 3, v[2:3]
	v_add_co_u32_e32 v5, vcc, v5, v7
	v_addc_co_u32_e32 v6, vcc, v6, v8, vcc
	global_load_dwordx2 v[7:8], v[5:6], off
	s_waitcnt vmcnt(0)
	v_add_f32_e32 v7, v21, v7
	v_add_f32_e32 v8, v20, v8
	global_store_dwordx2 v[5:6], v[7:8], off
.LBB1085_8:
	s_or_b64 exec, exec, s[0:1]
	v_add_u32_e32 v3, 16, v4
	v_ashrrev_i32_e32 v1, 31, v3
	v_mul_lo_u32 v1, s12, v1
	v_mul_lo_u32 v6, s13, v3
	v_mad_u64_u32 v[4:5], s[0:1], s12, v3, 0
	v_cmp_gt_i32_e32 vcc, s6, v3
	v_add3_u32 v5, v5, v1, v6
	v_lshlrev_b64 v[4:5], 3, v[4:5]
	v_mov_b32_e32 v1, s5
	v_add_co_u32_e64 v4, s[0:1], s4, v4
	v_addc_co_u32_e64 v5, s[0:1], v1, v5, s[0:1]
	v_cmp_le_i32_e64 s[0:1], v0, v3
	s_and_b64 s[0:1], vcc, s[0:1]
	s_and_saveexec_b64 s[2:3], s[0:1]
	s_cbranch_execz .LBB1085_10
; %bb.9:
	v_ashrrev_i32_e32 v1, 31, v0
	v_lshlrev_b64 v[0:1], 3, v[0:1]
	v_add_co_u32_e64 v0, s[0:1], v4, v0
	v_addc_co_u32_e64 v1, s[0:1], v5, v1, s[0:1]
	global_load_dwordx2 v[6:7], v[0:1], off
	s_waitcnt vmcnt(0)
	v_add_f32_e32 v6, v19, v6
	v_add_f32_e32 v7, v18, v7
	global_store_dwordx2 v[0:1], v[6:7], off
.LBB1085_10:
	s_or_b64 exec, exec, s[2:3]
	v_cmp_le_i32_e64 s[0:1], v2, v3
	s_and_b64 s[0:1], vcc, s[0:1]
	s_and_saveexec_b64 s[2:3], s[0:1]
	s_cbranch_execz .LBB1085_12
; %bb.11:
	v_ashrrev_i32_e32 v3, 31, v2
	v_lshlrev_b64 v[0:1], 3, v[2:3]
	v_add_co_u32_e32 v0, vcc, v4, v0
	v_addc_co_u32_e32 v1, vcc, v5, v1, vcc
	global_load_dwordx2 v[2:3], v[0:1], off
	s_waitcnt vmcnt(0)
	v_add_f32_e32 v2, v17, v2
	v_add_f32_e32 v3, v16, v3
	global_store_dwordx2 v[0:1], v[2:3], off
.LBB1085_12:
	s_endpgm
	.section	.rodata,"a",@progbits
	.p2align	6, 0x0
	.amdhsa_kernel _ZL37rocblas_syrkx_herkx_restricted_kernelIl19rocblas_complex_numIfELi16ELi32ELi8ELi1ELi1ELb0ELc78ELc85EKS1_S1_EviT_PT9_S3_lS5_S3_lPT10_S3_li
		.amdhsa_group_segment_fixed_size 4096
		.amdhsa_private_segment_fixed_size 0
		.amdhsa_kernarg_size 92
		.amdhsa_user_sgpr_count 6
		.amdhsa_user_sgpr_private_segment_buffer 1
		.amdhsa_user_sgpr_dispatch_ptr 0
		.amdhsa_user_sgpr_queue_ptr 0
		.amdhsa_user_sgpr_kernarg_segment_ptr 1
		.amdhsa_user_sgpr_dispatch_id 0
		.amdhsa_user_sgpr_flat_scratch_init 0
		.amdhsa_user_sgpr_private_segment_size 0
		.amdhsa_uses_dynamic_stack 0
		.amdhsa_system_sgpr_private_segment_wavefront_offset 0
		.amdhsa_system_sgpr_workgroup_id_x 1
		.amdhsa_system_sgpr_workgroup_id_y 1
		.amdhsa_system_sgpr_workgroup_id_z 1
		.amdhsa_system_sgpr_workgroup_info 0
		.amdhsa_system_vgpr_workitem_id 1
		.amdhsa_next_free_vgpr 43
		.amdhsa_next_free_sgpr 28
		.amdhsa_reserve_vcc 1
		.amdhsa_reserve_flat_scratch 0
		.amdhsa_float_round_mode_32 0
		.amdhsa_float_round_mode_16_64 0
		.amdhsa_float_denorm_mode_32 3
		.amdhsa_float_denorm_mode_16_64 3
		.amdhsa_dx10_clamp 1
		.amdhsa_ieee_mode 1
		.amdhsa_fp16_overflow 0
		.amdhsa_exception_fp_ieee_invalid_op 0
		.amdhsa_exception_fp_denorm_src 0
		.amdhsa_exception_fp_ieee_div_zero 0
		.amdhsa_exception_fp_ieee_overflow 0
		.amdhsa_exception_fp_ieee_underflow 0
		.amdhsa_exception_fp_ieee_inexact 0
		.amdhsa_exception_int_div_zero 0
	.end_amdhsa_kernel
	.section	.text._ZL37rocblas_syrkx_herkx_restricted_kernelIl19rocblas_complex_numIfELi16ELi32ELi8ELi1ELi1ELb0ELc78ELc85EKS1_S1_EviT_PT9_S3_lS5_S3_lPT10_S3_li,"axG",@progbits,_ZL37rocblas_syrkx_herkx_restricted_kernelIl19rocblas_complex_numIfELi16ELi32ELi8ELi1ELi1ELb0ELc78ELc85EKS1_S1_EviT_PT9_S3_lS5_S3_lPT10_S3_li,comdat
.Lfunc_end1085:
	.size	_ZL37rocblas_syrkx_herkx_restricted_kernelIl19rocblas_complex_numIfELi16ELi32ELi8ELi1ELi1ELb0ELc78ELc85EKS1_S1_EviT_PT9_S3_lS5_S3_lPT10_S3_li, .Lfunc_end1085-_ZL37rocblas_syrkx_herkx_restricted_kernelIl19rocblas_complex_numIfELi16ELi32ELi8ELi1ELi1ELb0ELc78ELc85EKS1_S1_EviT_PT9_S3_lS5_S3_lPT10_S3_li
                                        ; -- End function
	.set _ZL37rocblas_syrkx_herkx_restricted_kernelIl19rocblas_complex_numIfELi16ELi32ELi8ELi1ELi1ELb0ELc78ELc85EKS1_S1_EviT_PT9_S3_lS5_S3_lPT10_S3_li.num_vgpr, 43
	.set _ZL37rocblas_syrkx_herkx_restricted_kernelIl19rocblas_complex_numIfELi16ELi32ELi8ELi1ELi1ELb0ELc78ELc85EKS1_S1_EviT_PT9_S3_lS5_S3_lPT10_S3_li.num_agpr, 0
	.set _ZL37rocblas_syrkx_herkx_restricted_kernelIl19rocblas_complex_numIfELi16ELi32ELi8ELi1ELi1ELb0ELc78ELc85EKS1_S1_EviT_PT9_S3_lS5_S3_lPT10_S3_li.numbered_sgpr, 28
	.set _ZL37rocblas_syrkx_herkx_restricted_kernelIl19rocblas_complex_numIfELi16ELi32ELi8ELi1ELi1ELb0ELc78ELc85EKS1_S1_EviT_PT9_S3_lS5_S3_lPT10_S3_li.num_named_barrier, 0
	.set _ZL37rocblas_syrkx_herkx_restricted_kernelIl19rocblas_complex_numIfELi16ELi32ELi8ELi1ELi1ELb0ELc78ELc85EKS1_S1_EviT_PT9_S3_lS5_S3_lPT10_S3_li.private_seg_size, 0
	.set _ZL37rocblas_syrkx_herkx_restricted_kernelIl19rocblas_complex_numIfELi16ELi32ELi8ELi1ELi1ELb0ELc78ELc85EKS1_S1_EviT_PT9_S3_lS5_S3_lPT10_S3_li.uses_vcc, 1
	.set _ZL37rocblas_syrkx_herkx_restricted_kernelIl19rocblas_complex_numIfELi16ELi32ELi8ELi1ELi1ELb0ELc78ELc85EKS1_S1_EviT_PT9_S3_lS5_S3_lPT10_S3_li.uses_flat_scratch, 0
	.set _ZL37rocblas_syrkx_herkx_restricted_kernelIl19rocblas_complex_numIfELi16ELi32ELi8ELi1ELi1ELb0ELc78ELc85EKS1_S1_EviT_PT9_S3_lS5_S3_lPT10_S3_li.has_dyn_sized_stack, 0
	.set _ZL37rocblas_syrkx_herkx_restricted_kernelIl19rocblas_complex_numIfELi16ELi32ELi8ELi1ELi1ELb0ELc78ELc85EKS1_S1_EviT_PT9_S3_lS5_S3_lPT10_S3_li.has_recursion, 0
	.set _ZL37rocblas_syrkx_herkx_restricted_kernelIl19rocblas_complex_numIfELi16ELi32ELi8ELi1ELi1ELb0ELc78ELc85EKS1_S1_EviT_PT9_S3_lS5_S3_lPT10_S3_li.has_indirect_call, 0
	.section	.AMDGPU.csdata,"",@progbits
; Kernel info:
; codeLenInByte = 2028
; TotalNumSgprs: 32
; NumVgprs: 43
; ScratchSize: 0
; MemoryBound: 0
; FloatMode: 240
; IeeeMode: 1
; LDSByteSize: 4096 bytes/workgroup (compile time only)
; SGPRBlocks: 3
; VGPRBlocks: 10
; NumSGPRsForWavesPerEU: 32
; NumVGPRsForWavesPerEU: 43
; Occupancy: 5
; WaveLimiterHint : 1
; COMPUTE_PGM_RSRC2:SCRATCH_EN: 0
; COMPUTE_PGM_RSRC2:USER_SGPR: 6
; COMPUTE_PGM_RSRC2:TRAP_HANDLER: 0
; COMPUTE_PGM_RSRC2:TGID_X_EN: 1
; COMPUTE_PGM_RSRC2:TGID_Y_EN: 1
; COMPUTE_PGM_RSRC2:TGID_Z_EN: 1
; COMPUTE_PGM_RSRC2:TIDIG_COMP_CNT: 1
	.section	.text._ZL37rocblas_syrkx_herkx_restricted_kernelIl19rocblas_complex_numIfELi16ELi32ELi8ELi1ELin1ELb0ELc84ELc76EKS1_S1_EviT_PT9_S3_lS5_S3_lPT10_S3_li,"axG",@progbits,_ZL37rocblas_syrkx_herkx_restricted_kernelIl19rocblas_complex_numIfELi16ELi32ELi8ELi1ELin1ELb0ELc84ELc76EKS1_S1_EviT_PT9_S3_lS5_S3_lPT10_S3_li,comdat
	.globl	_ZL37rocblas_syrkx_herkx_restricted_kernelIl19rocblas_complex_numIfELi16ELi32ELi8ELi1ELin1ELb0ELc84ELc76EKS1_S1_EviT_PT9_S3_lS5_S3_lPT10_S3_li ; -- Begin function _ZL37rocblas_syrkx_herkx_restricted_kernelIl19rocblas_complex_numIfELi16ELi32ELi8ELi1ELin1ELb0ELc84ELc76EKS1_S1_EviT_PT9_S3_lS5_S3_lPT10_S3_li
	.p2align	8
	.type	_ZL37rocblas_syrkx_herkx_restricted_kernelIl19rocblas_complex_numIfELi16ELi32ELi8ELi1ELin1ELb0ELc84ELc76EKS1_S1_EviT_PT9_S3_lS5_S3_lPT10_S3_li,@function
_ZL37rocblas_syrkx_herkx_restricted_kernelIl19rocblas_complex_numIfELi16ELi32ELi8ELi1ELin1ELb0ELc84ELc76EKS1_S1_EviT_PT9_S3_lS5_S3_lPT10_S3_li: ; @_ZL37rocblas_syrkx_herkx_restricted_kernelIl19rocblas_complex_numIfELi16ELi32ELi8ELi1ELin1ELb0ELc84ELc76EKS1_S1_EviT_PT9_S3_lS5_S3_lPT10_S3_li
; %bb.0:
	s_load_dwordx16 s[12:27], s[4:5], 0x8
	s_lshl_b32 s2, s6, 5
	s_lshl_b32 s3, s7, 5
	s_waitcnt lgkmcnt(0)
	v_cmp_lt_i64_e64 s[0:1], s[12:13], 1
	s_and_b64 vcc, exec, s[0:1]
	s_cbranch_vccnz .LBB1086_3
; %bb.1:
	v_lshl_add_u32 v4, v1, 4, v0
	v_lshrrev_b32_e32 v6, 3, v4
	v_add_u32_e32 v2, s3, v6
	v_ashrrev_i32_e32 v3, 31, v2
	v_and_b32_e32 v9, 7, v0
	v_mov_b32_e32 v10, 0
	v_mul_lo_u32 v5, s22, v3
	v_mul_lo_u32 v7, s23, v2
	v_mad_u64_u32 v[2:3], s[0:1], s22, v2, v[9:10]
	s_mul_i32 s6, s19, s8
	s_mul_hi_u32 s7, s18, s8
	v_add3_u32 v3, v7, v3, v5
	v_and_b32_e32 v7, 31, v4
	v_lshrrev_b32_e32 v4, 5, v4
	v_lshlrev_b32_e32 v8, 3, v7
	v_lshl_or_b32 v11, v4, 8, v8
	v_lshlrev_b32_e32 v8, 3, v9
	v_lshl_or_b32 v6, v6, 6, v8
	v_add_u32_e32 v12, 0x800, v6
	v_mov_b32_e32 v6, 0x800
	v_lshl_add_u32 v14, v1, 6, v6
	v_add_u32_e32 v6, s2, v7
	v_mov_b32_e32 v5, v10
	v_ashrrev_i32_e32 v7, 31, v6
	v_mul_lo_u32 v7, s16, v7
	v_mad_u64_u32 v[4:5], s[0:1], s16, v6, v[4:5]
	v_mul_lo_u32 v6, s17, v6
	s_add_i32 s1, s7, s6
	s_mul_i32 s0, s18, s8
	s_lshl_b64 s[0:1], s[0:1], 3
	v_add3_u32 v5, v6, v5, v7
	v_lshlrev_b64 v[4:5], 3, v[4:5]
	s_add_u32 s0, s14, s0
	s_addc_u32 s1, s15, s1
	v_mov_b32_e32 v6, s1
	v_add_co_u32_e32 v4, vcc, s0, v4
	s_mul_i32 s0, s25, s8
	s_mul_hi_u32 s1, s24, s8
	s_add_i32 s1, s1, s0
	s_mul_i32 s0, s24, s8
	v_addc_co_u32_e32 v5, vcc, v6, v5, vcc
	s_lshl_b64 s[0:1], s[0:1], 3
	v_add_co_u32_e32 v6, vcc, 4, v4
	v_lshlrev_b64 v[2:3], 3, v[2:3]
	s_add_u32 s0, s20, s0
	v_addc_co_u32_e32 v7, vcc, 0, v5, vcc
	s_addc_u32 s1, s21, s1
	v_mov_b32_e32 v4, s1
	v_add_co_u32_e32 v2, vcc, s0, v2
	v_addc_co_u32_e32 v3, vcc, v4, v3, vcc
	v_add_co_u32_e32 v8, vcc, 4, v2
	v_lshlrev_b32_e32 v13, 3, v0
	v_addc_co_u32_e32 v9, vcc, 0, v3, vcc
	s_mov_b64 s[0:1], 0
	v_mov_b32_e32 v15, v10
	v_mov_b32_e32 v16, v10
	;; [unrolled: 1-line block ×7, first 2 shown]
.LBB1086_2:                             ; =>This Inner Loop Header: Depth=1
	global_load_dwordx2 v[2:3], v[6:7], off offset:-4
	s_add_u32 s0, s0, 8
	v_add_co_u32_e32 v6, vcc, 64, v6
	s_addc_u32 s1, s1, 0
	v_addc_co_u32_e32 v7, vcc, 0, v7, vcc
	s_waitcnt vmcnt(0)
	ds_write_b64 v11, v[2:3]
	global_load_dwordx2 v[2:3], v[8:9], off offset:-4
	v_add_co_u32_e32 v8, vcc, 64, v8
	v_addc_co_u32_e32 v9, vcc, 0, v9, vcc
	s_waitcnt vmcnt(0)
	ds_write_b64 v12, v[2:3]
	s_waitcnt lgkmcnt(0)
	s_barrier
	ds_read_b128 v[22:25], v14
	ds_read_b128 v[26:29], v14 offset:16
	ds_read_b128 v[30:33], v14 offset:32
	;; [unrolled: 1-line block ×3, first 2 shown]
	ds_read2_b64 v[34:37], v13 offset1:16
	s_waitcnt lgkmcnt(0)
	v_mul_f32_e32 v38, v23, v35
	v_mul_f32_e32 v39, v22, v35
	v_fma_f32 v38, v22, v34, -v38
	v_fmac_f32_e32 v39, v23, v34
	v_add_f32_e32 v38, v20, v38
	v_add_f32_e32 v39, v21, v39
	v_mul_f32_e32 v20, v23, v37
	v_mul_f32_e32 v21, v22, v37
	v_fma_f32 v20, v22, v36, -v20
	v_fmac_f32_e32 v21, v23, v36
	v_add_f32_e32 v22, v19, v20
	v_add_f32_e32 v23, v18, v21
	ds_read_b128 v[18:21], v14 offset:1024
	s_waitcnt lgkmcnt(0)
	v_mul_f32_e32 v40, v19, v35
	v_mul_f32_e32 v35, v18, v35
	v_fma_f32 v40, v18, v34, -v40
	v_fmac_f32_e32 v35, v19, v34
	v_add_f32_e32 v34, v17, v40
	v_add_f32_e32 v35, v16, v35
	v_mul_f32_e32 v16, v19, v37
	v_mul_f32_e32 v17, v18, v37
	v_fma_f32 v16, v18, v36, -v16
	v_fmac_f32_e32 v17, v19, v36
	v_add_f32_e32 v19, v15, v16
	v_add_f32_e32 v10, v10, v17
	ds_read2_b64 v[15:18], v13 offset0:32 offset1:48
	s_waitcnt lgkmcnt(0)
	v_mul_f32_e32 v36, v25, v16
	v_fma_f32 v36, v24, v15, -v36
	v_add_f32_e32 v36, v38, v36
	v_mul_f32_e32 v38, v25, v18
	v_mul_f32_e32 v37, v24, v16
	v_fma_f32 v38, v24, v17, -v38
	v_mul_f32_e32 v24, v24, v18
	v_fmac_f32_e32 v24, v25, v17
	v_add_f32_e32 v23, v23, v24
	v_mul_f32_e32 v24, v21, v16
	v_mul_f32_e32 v16, v20, v16
	v_fmac_f32_e32 v16, v21, v15
	v_fmac_f32_e32 v37, v25, v15
	v_fma_f32 v24, v20, v15, -v24
	v_add_f32_e32 v25, v35, v16
	v_mul_f32_e32 v15, v21, v18
	v_mul_f32_e32 v16, v20, v18
	v_fma_f32 v15, v20, v17, -v15
	v_fmac_f32_e32 v16, v21, v17
	v_add_f32_e32 v24, v34, v24
	v_add_f32_e32 v34, v19, v15
	;; [unrolled: 1-line block ×3, first 2 shown]
	ds_read2_b64 v[15:18], v13 offset0:64 offset1:80
	v_add_f32_e32 v37, v39, v37
	v_add_f32_e32 v22, v22, v38
	s_waitcnt lgkmcnt(0)
	v_mul_f32_e32 v19, v27, v16
	v_mul_f32_e32 v20, v26, v16
	v_fma_f32 v19, v26, v15, -v19
	v_fmac_f32_e32 v20, v27, v15
	v_add_f32_e32 v35, v36, v19
	v_add_f32_e32 v36, v37, v20
	v_mul_f32_e32 v19, v27, v18
	v_mul_f32_e32 v20, v26, v18
	v_fma_f32 v19, v26, v17, -v19
	v_fmac_f32_e32 v20, v27, v17
	v_add_f32_e32 v26, v22, v19
	v_add_f32_e32 v23, v23, v20
	ds_read_b128 v[19:22], v14 offset:1040
	s_waitcnt lgkmcnt(0)
	v_mul_f32_e32 v27, v20, v16
	v_mul_f32_e32 v16, v19, v16
	v_fmac_f32_e32 v16, v20, v15
	v_fma_f32 v27, v19, v15, -v27
	v_add_f32_e32 v25, v25, v16
	v_mul_f32_e32 v15, v20, v18
	v_mul_f32_e32 v16, v19, v18
	v_fma_f32 v15, v19, v17, -v15
	v_fmac_f32_e32 v16, v20, v17
	v_add_f32_e32 v19, v34, v15
	v_add_f32_e32 v10, v10, v16
	ds_read2_b64 v[15:18], v13 offset0:96 offset1:112
	v_add_f32_e32 v24, v24, v27
	s_waitcnt lgkmcnt(0)
	v_mul_f32_e32 v20, v29, v16
	v_mul_f32_e32 v34, v29, v18
	v_fma_f32 v20, v28, v15, -v20
	v_mul_f32_e32 v27, v28, v16
	v_fma_f32 v34, v28, v17, -v34
	v_mul_f32_e32 v28, v28, v18
	v_fmac_f32_e32 v28, v29, v17
	v_add_f32_e32 v23, v23, v28
	v_mul_f32_e32 v28, v22, v16
	v_mul_f32_e32 v16, v21, v16
	v_fmac_f32_e32 v16, v22, v15
	v_fmac_f32_e32 v27, v29, v15
	v_fma_f32 v28, v21, v15, -v28
	v_add_f32_e32 v25, v25, v16
	v_mul_f32_e32 v15, v22, v18
	v_mul_f32_e32 v16, v21, v18
	v_fma_f32 v15, v21, v17, -v15
	v_fmac_f32_e32 v16, v22, v17
	v_add_f32_e32 v24, v24, v28
	v_add_f32_e32 v28, v19, v15
	;; [unrolled: 1-line block ×3, first 2 shown]
	ds_read2_b64 v[15:18], v13 offset0:128 offset1:144
	v_add_f32_e32 v20, v35, v20
	v_add_f32_e32 v27, v36, v27
	v_add_f32_e32 v26, v26, v34
	s_waitcnt lgkmcnt(0)
	v_mul_f32_e32 v19, v31, v16
	v_fma_f32 v19, v30, v15, -v19
	v_mul_f32_e32 v21, v30, v16
	v_add_f32_e32 v29, v20, v19
	v_mul_f32_e32 v19, v31, v18
	v_mul_f32_e32 v20, v30, v18
	v_fmac_f32_e32 v21, v31, v15
	v_fma_f32 v19, v30, v17, -v19
	v_fmac_f32_e32 v20, v31, v17
	v_add_f32_e32 v27, v27, v21
	v_add_f32_e32 v26, v26, v19
	;; [unrolled: 1-line block ×3, first 2 shown]
	ds_read_b128 v[19:22], v14 offset:1056
	s_waitcnt lgkmcnt(0)
	v_mul_f32_e32 v30, v20, v16
	v_mul_f32_e32 v16, v19, v16
	v_fmac_f32_e32 v16, v20, v15
	v_fma_f32 v30, v19, v15, -v30
	v_add_f32_e32 v25, v25, v16
	v_mul_f32_e32 v15, v20, v18
	v_mul_f32_e32 v16, v19, v18
	v_fma_f32 v15, v19, v17, -v15
	v_fmac_f32_e32 v16, v20, v17
	v_add_f32_e32 v19, v28, v15
	v_add_f32_e32 v10, v10, v16
	ds_read2_b64 v[15:18], v13 offset0:160 offset1:176
	v_add_f32_e32 v24, v24, v30
	s_waitcnt lgkmcnt(0)
	v_mul_f32_e32 v28, v32, v16
	v_fmac_f32_e32 v28, v33, v15
	v_add_f32_e32 v27, v27, v28
	v_mul_f32_e32 v28, v33, v18
	v_fma_f32 v28, v32, v17, -v28
	v_mul_f32_e32 v20, v33, v16
	v_add_f32_e32 v26, v26, v28
	v_mul_f32_e32 v28, v22, v16
	v_mul_f32_e32 v16, v21, v16
	v_fmac_f32_e32 v16, v22, v15
	v_fma_f32 v20, v32, v15, -v20
	v_fma_f32 v28, v21, v15, -v28
	v_add_f32_e32 v25, v25, v16
	v_mul_f32_e32 v15, v22, v18
	v_mul_f32_e32 v16, v21, v18
	v_add_f32_e32 v20, v29, v20
	v_mul_f32_e32 v29, v32, v18
	v_fma_f32 v15, v21, v17, -v15
	v_fmac_f32_e32 v16, v22, v17
	v_fmac_f32_e32 v29, v33, v17
	v_add_f32_e32 v19, v19, v15
	v_add_f32_e32 v10, v10, v16
	ds_read2_b64 v[15:18], v13 offset0:192 offset1:208
	v_add_f32_e32 v24, v24, v28
	v_add_f32_e32 v23, v23, v29
	s_waitcnt lgkmcnt(0)
	v_mul_f32_e32 v21, v3, v16
	v_fma_f32 v21, v2, v15, -v21
	v_add_f32_e32 v28, v20, v21
	v_mul_f32_e32 v20, v3, v18
	v_mul_f32_e32 v22, v2, v16
	v_fma_f32 v20, v2, v17, -v20
	v_mul_f32_e32 v2, v2, v18
	v_fmac_f32_e32 v22, v3, v15
	v_fmac_f32_e32 v2, v3, v17
	v_add_f32_e32 v29, v27, v22
	v_add_f32_e32 v3, v26, v20
	;; [unrolled: 1-line block ×3, first 2 shown]
	ds_read_b128 v[20:23], v14 offset:1072
	s_waitcnt lgkmcnt(0)
	v_mul_f32_e32 v26, v21, v16
	v_fma_f32 v26, v20, v15, -v26
	v_mul_f32_e32 v16, v20, v16
	v_fmac_f32_e32 v16, v21, v15
	v_add_f32_e32 v15, v24, v26
	v_mul_f32_e32 v24, v21, v18
	v_fma_f32 v24, v20, v17, -v24
	v_add_f32_e32 v16, v25, v16
	v_add_f32_e32 v30, v19, v24
	ds_read2_b64 v[24:27], v13 offset0:224 offset1:240
	v_mul_f32_e32 v18, v20, v18
	v_fmac_f32_e32 v18, v21, v17
	v_add_f32_e32 v10, v10, v18
	s_waitcnt lgkmcnt(0)
	v_mul_f32_e32 v17, v5, v25
	v_fma_f32 v17, v4, v24, -v17
	v_add_f32_e32 v20, v28, v17
	v_mul_f32_e32 v17, v5, v27
	v_mul_f32_e32 v18, v4, v25
	v_fma_f32 v17, v4, v26, -v17
	v_mul_f32_e32 v4, v4, v27
	v_fmac_f32_e32 v18, v5, v24
	v_fmac_f32_e32 v4, v5, v26
	v_add_f32_e32 v21, v29, v18
	v_add_f32_e32 v19, v3, v17
	;; [unrolled: 1-line block ×3, first 2 shown]
	v_mul_f32_e32 v2, v23, v25
	v_mul_f32_e32 v3, v22, v25
	v_fma_f32 v2, v22, v24, -v2
	v_fmac_f32_e32 v3, v23, v24
	v_add_f32_e32 v17, v15, v2
	v_add_f32_e32 v16, v16, v3
	v_mul_f32_e32 v2, v23, v27
	v_mul_f32_e32 v3, v22, v27
	v_fma_f32 v2, v22, v26, -v2
	v_fmac_f32_e32 v3, v23, v26
	v_add_f32_e32 v15, v30, v2
	v_add_f32_e32 v10, v10, v3
	v_mov_b32_e32 v3, s1
	v_mov_b32_e32 v2, s0
	v_cmp_le_u64_e32 vcc, s[12:13], v[2:3]
	s_barrier
	s_cbranch_vccz .LBB1086_2
	s_branch .LBB1086_4
.LBB1086_3:
	v_mov_b32_e32 v20, 0
	v_mov_b32_e32 v21, 0
	;; [unrolled: 1-line block ×8, first 2 shown]
.LBB1086_4:
	s_load_dwordx4 s[12:15], s[4:5], 0x48
	s_load_dword s9, s[4:5], 0x0
	v_add_u32_e32 v4, s3, v1
	v_ashrrev_i32_e32 v1, 31, v4
	v_add_u32_e32 v0, s2, v0
	s_waitcnt lgkmcnt(0)
	v_mul_lo_u32 v3, s12, v1
	v_mul_lo_u32 v5, s13, v4
	v_mad_u64_u32 v[1:2], s[4:5], s12, v4, 0
	s_mul_i32 s1, s15, s8
	s_mul_hi_u32 s3, s14, s8
	s_mul_i32 s0, s14, s8
	s_add_i32 s1, s3, s1
	s_lshl_b64 s[0:1], s[0:1], 3
	v_add3_u32 v2, v2, v3, v5
	s_add_u32 s6, s26, s0
	v_lshlrev_b64 v[1:2], 3, v[1:2]
	s_addc_u32 s7, s27, s1
	v_mov_b32_e32 v3, s7
	v_add_co_u32_e32 v5, vcc, s6, v1
	v_addc_co_u32_e32 v6, vcc, v3, v2, vcc
	v_cmp_le_i32_e64 s[0:1], v4, v0
	v_cmp_gt_i32_e32 vcc, s9, v0
	s_and_b64 s[0:1], s[0:1], vcc
	s_and_saveexec_b64 s[2:3], s[0:1]
	s_cbranch_execz .LBB1086_6
; %bb.5:
	v_ashrrev_i32_e32 v1, 31, v0
	v_lshlrev_b64 v[1:2], 3, v[0:1]
	v_add_co_u32_e64 v1, s[0:1], v5, v1
	v_addc_co_u32_e64 v2, s[0:1], v6, v2, s[0:1]
	global_load_dwordx2 v[7:8], v[1:2], off
	s_waitcnt vmcnt(0)
	v_sub_f32_e32 v7, v20, v7
	v_sub_f32_e32 v8, v21, v8
	global_store_dwordx2 v[1:2], v[7:8], off
.LBB1086_6:
	s_or_b64 exec, exec, s[2:3]
	v_add_u32_e32 v2, 16, v0
	v_cmp_le_i32_e64 s[2:3], v4, v2
	v_cmp_gt_i32_e64 s[0:1], s9, v2
	s_and_b64 s[2:3], s[2:3], s[0:1]
	s_and_saveexec_b64 s[4:5], s[2:3]
	s_cbranch_execz .LBB1086_8
; %bb.7:
	v_ashrrev_i32_e32 v3, 31, v2
	v_lshlrev_b64 v[7:8], 3, v[2:3]
	v_add_co_u32_e64 v5, s[2:3], v5, v7
	v_addc_co_u32_e64 v6, s[2:3], v6, v8, s[2:3]
	global_load_dwordx2 v[7:8], v[5:6], off
	s_waitcnt vmcnt(0)
	v_sub_f32_e32 v7, v19, v7
	v_sub_f32_e32 v8, v18, v8
	global_store_dwordx2 v[5:6], v[7:8], off
.LBB1086_8:
	s_or_b64 exec, exec, s[4:5]
	v_add_u32_e32 v3, 16, v4
	v_ashrrev_i32_e32 v1, 31, v3
	v_mul_lo_u32 v6, s13, v3
	v_mad_u64_u32 v[4:5], s[2:3], s12, v3, 0
	v_mul_lo_u32 v1, s12, v1
	v_add3_u32 v5, v5, v1, v6
	v_lshlrev_b64 v[4:5], 3, v[4:5]
	v_mov_b32_e32 v1, s7
	v_add_co_u32_e64 v4, s[2:3], s6, v4
	v_addc_co_u32_e64 v5, s[2:3], v1, v5, s[2:3]
	v_cmp_le_i32_e64 s[2:3], v3, v0
	s_and_b64 s[4:5], s[2:3], vcc
	s_and_saveexec_b64 s[2:3], s[4:5]
	s_cbranch_execz .LBB1086_10
; %bb.9:
	v_ashrrev_i32_e32 v1, 31, v0
	v_lshlrev_b64 v[0:1], 3, v[0:1]
	v_add_co_u32_e32 v0, vcc, v4, v0
	v_addc_co_u32_e32 v1, vcc, v5, v1, vcc
	global_load_dwordx2 v[6:7], v[0:1], off
	s_waitcnt vmcnt(0)
	v_sub_f32_e32 v6, v17, v6
	v_sub_f32_e32 v7, v16, v7
	global_store_dwordx2 v[0:1], v[6:7], off
.LBB1086_10:
	s_or_b64 exec, exec, s[2:3]
	v_cmp_le_i32_e32 vcc, v3, v2
	s_and_b64 s[0:1], vcc, s[0:1]
	s_and_saveexec_b64 s[2:3], s[0:1]
	s_cbranch_execz .LBB1086_12
; %bb.11:
	v_ashrrev_i32_e32 v3, 31, v2
	v_lshlrev_b64 v[0:1], 3, v[2:3]
	v_add_co_u32_e32 v0, vcc, v4, v0
	v_addc_co_u32_e32 v1, vcc, v5, v1, vcc
	global_load_dwordx2 v[2:3], v[0:1], off
	s_waitcnt vmcnt(0)
	v_sub_f32_e32 v2, v15, v2
	v_sub_f32_e32 v3, v10, v3
	global_store_dwordx2 v[0:1], v[2:3], off
.LBB1086_12:
	s_endpgm
	.section	.rodata,"a",@progbits
	.p2align	6, 0x0
	.amdhsa_kernel _ZL37rocblas_syrkx_herkx_restricted_kernelIl19rocblas_complex_numIfELi16ELi32ELi8ELi1ELin1ELb0ELc84ELc76EKS1_S1_EviT_PT9_S3_lS5_S3_lPT10_S3_li
		.amdhsa_group_segment_fixed_size 4096
		.amdhsa_private_segment_fixed_size 0
		.amdhsa_kernarg_size 92
		.amdhsa_user_sgpr_count 6
		.amdhsa_user_sgpr_private_segment_buffer 1
		.amdhsa_user_sgpr_dispatch_ptr 0
		.amdhsa_user_sgpr_queue_ptr 0
		.amdhsa_user_sgpr_kernarg_segment_ptr 1
		.amdhsa_user_sgpr_dispatch_id 0
		.amdhsa_user_sgpr_flat_scratch_init 0
		.amdhsa_user_sgpr_private_segment_size 0
		.amdhsa_uses_dynamic_stack 0
		.amdhsa_system_sgpr_private_segment_wavefront_offset 0
		.amdhsa_system_sgpr_workgroup_id_x 1
		.amdhsa_system_sgpr_workgroup_id_y 1
		.amdhsa_system_sgpr_workgroup_id_z 1
		.amdhsa_system_sgpr_workgroup_info 0
		.amdhsa_system_vgpr_workitem_id 1
		.amdhsa_next_free_vgpr 41
		.amdhsa_next_free_sgpr 28
		.amdhsa_reserve_vcc 1
		.amdhsa_reserve_flat_scratch 0
		.amdhsa_float_round_mode_32 0
		.amdhsa_float_round_mode_16_64 0
		.amdhsa_float_denorm_mode_32 3
		.amdhsa_float_denorm_mode_16_64 3
		.amdhsa_dx10_clamp 1
		.amdhsa_ieee_mode 1
		.amdhsa_fp16_overflow 0
		.amdhsa_exception_fp_ieee_invalid_op 0
		.amdhsa_exception_fp_denorm_src 0
		.amdhsa_exception_fp_ieee_div_zero 0
		.amdhsa_exception_fp_ieee_overflow 0
		.amdhsa_exception_fp_ieee_underflow 0
		.amdhsa_exception_fp_ieee_inexact 0
		.amdhsa_exception_int_div_zero 0
	.end_amdhsa_kernel
	.section	.text._ZL37rocblas_syrkx_herkx_restricted_kernelIl19rocblas_complex_numIfELi16ELi32ELi8ELi1ELin1ELb0ELc84ELc76EKS1_S1_EviT_PT9_S3_lS5_S3_lPT10_S3_li,"axG",@progbits,_ZL37rocblas_syrkx_herkx_restricted_kernelIl19rocblas_complex_numIfELi16ELi32ELi8ELi1ELin1ELb0ELc84ELc76EKS1_S1_EviT_PT9_S3_lS5_S3_lPT10_S3_li,comdat
.Lfunc_end1086:
	.size	_ZL37rocblas_syrkx_herkx_restricted_kernelIl19rocblas_complex_numIfELi16ELi32ELi8ELi1ELin1ELb0ELc84ELc76EKS1_S1_EviT_PT9_S3_lS5_S3_lPT10_S3_li, .Lfunc_end1086-_ZL37rocblas_syrkx_herkx_restricted_kernelIl19rocblas_complex_numIfELi16ELi32ELi8ELi1ELin1ELb0ELc84ELc76EKS1_S1_EviT_PT9_S3_lS5_S3_lPT10_S3_li
                                        ; -- End function
	.set _ZL37rocblas_syrkx_herkx_restricted_kernelIl19rocblas_complex_numIfELi16ELi32ELi8ELi1ELin1ELb0ELc84ELc76EKS1_S1_EviT_PT9_S3_lS5_S3_lPT10_S3_li.num_vgpr, 41
	.set _ZL37rocblas_syrkx_herkx_restricted_kernelIl19rocblas_complex_numIfELi16ELi32ELi8ELi1ELin1ELb0ELc84ELc76EKS1_S1_EviT_PT9_S3_lS5_S3_lPT10_S3_li.num_agpr, 0
	.set _ZL37rocblas_syrkx_herkx_restricted_kernelIl19rocblas_complex_numIfELi16ELi32ELi8ELi1ELin1ELb0ELc84ELc76EKS1_S1_EviT_PT9_S3_lS5_S3_lPT10_S3_li.numbered_sgpr, 28
	.set _ZL37rocblas_syrkx_herkx_restricted_kernelIl19rocblas_complex_numIfELi16ELi32ELi8ELi1ELin1ELb0ELc84ELc76EKS1_S1_EviT_PT9_S3_lS5_S3_lPT10_S3_li.num_named_barrier, 0
	.set _ZL37rocblas_syrkx_herkx_restricted_kernelIl19rocblas_complex_numIfELi16ELi32ELi8ELi1ELin1ELb0ELc84ELc76EKS1_S1_EviT_PT9_S3_lS5_S3_lPT10_S3_li.private_seg_size, 0
	.set _ZL37rocblas_syrkx_herkx_restricted_kernelIl19rocblas_complex_numIfELi16ELi32ELi8ELi1ELin1ELb0ELc84ELc76EKS1_S1_EviT_PT9_S3_lS5_S3_lPT10_S3_li.uses_vcc, 1
	.set _ZL37rocblas_syrkx_herkx_restricted_kernelIl19rocblas_complex_numIfELi16ELi32ELi8ELi1ELin1ELb0ELc84ELc76EKS1_S1_EviT_PT9_S3_lS5_S3_lPT10_S3_li.uses_flat_scratch, 0
	.set _ZL37rocblas_syrkx_herkx_restricted_kernelIl19rocblas_complex_numIfELi16ELi32ELi8ELi1ELin1ELb0ELc84ELc76EKS1_S1_EviT_PT9_S3_lS5_S3_lPT10_S3_li.has_dyn_sized_stack, 0
	.set _ZL37rocblas_syrkx_herkx_restricted_kernelIl19rocblas_complex_numIfELi16ELi32ELi8ELi1ELin1ELb0ELc84ELc76EKS1_S1_EviT_PT9_S3_lS5_S3_lPT10_S3_li.has_recursion, 0
	.set _ZL37rocblas_syrkx_herkx_restricted_kernelIl19rocblas_complex_numIfELi16ELi32ELi8ELi1ELin1ELb0ELc84ELc76EKS1_S1_EviT_PT9_S3_lS5_S3_lPT10_S3_li.has_indirect_call, 0
	.section	.AMDGPU.csdata,"",@progbits
; Kernel info:
; codeLenInByte = 2040
; TotalNumSgprs: 32
; NumVgprs: 41
; ScratchSize: 0
; MemoryBound: 0
; FloatMode: 240
; IeeeMode: 1
; LDSByteSize: 4096 bytes/workgroup (compile time only)
; SGPRBlocks: 3
; VGPRBlocks: 10
; NumSGPRsForWavesPerEU: 32
; NumVGPRsForWavesPerEU: 41
; Occupancy: 5
; WaveLimiterHint : 1
; COMPUTE_PGM_RSRC2:SCRATCH_EN: 0
; COMPUTE_PGM_RSRC2:USER_SGPR: 6
; COMPUTE_PGM_RSRC2:TRAP_HANDLER: 0
; COMPUTE_PGM_RSRC2:TGID_X_EN: 1
; COMPUTE_PGM_RSRC2:TGID_Y_EN: 1
; COMPUTE_PGM_RSRC2:TGID_Z_EN: 1
; COMPUTE_PGM_RSRC2:TIDIG_COMP_CNT: 1
	.section	.text._ZL37rocblas_syrkx_herkx_restricted_kernelIl19rocblas_complex_numIfELi16ELi32ELi8ELi1ELin1ELb0ELc67ELc76EKS1_S1_EviT_PT9_S3_lS5_S3_lPT10_S3_li,"axG",@progbits,_ZL37rocblas_syrkx_herkx_restricted_kernelIl19rocblas_complex_numIfELi16ELi32ELi8ELi1ELin1ELb0ELc67ELc76EKS1_S1_EviT_PT9_S3_lS5_S3_lPT10_S3_li,comdat
	.globl	_ZL37rocblas_syrkx_herkx_restricted_kernelIl19rocblas_complex_numIfELi16ELi32ELi8ELi1ELin1ELb0ELc67ELc76EKS1_S1_EviT_PT9_S3_lS5_S3_lPT10_S3_li ; -- Begin function _ZL37rocblas_syrkx_herkx_restricted_kernelIl19rocblas_complex_numIfELi16ELi32ELi8ELi1ELin1ELb0ELc67ELc76EKS1_S1_EviT_PT9_S3_lS5_S3_lPT10_S3_li
	.p2align	8
	.type	_ZL37rocblas_syrkx_herkx_restricted_kernelIl19rocblas_complex_numIfELi16ELi32ELi8ELi1ELin1ELb0ELc67ELc76EKS1_S1_EviT_PT9_S3_lS5_S3_lPT10_S3_li,@function
_ZL37rocblas_syrkx_herkx_restricted_kernelIl19rocblas_complex_numIfELi16ELi32ELi8ELi1ELin1ELb0ELc67ELc76EKS1_S1_EviT_PT9_S3_lS5_S3_lPT10_S3_li: ; @_ZL37rocblas_syrkx_herkx_restricted_kernelIl19rocblas_complex_numIfELi16ELi32ELi8ELi1ELin1ELb0ELc67ELc76EKS1_S1_EviT_PT9_S3_lS5_S3_lPT10_S3_li
; %bb.0:
	s_load_dwordx16 s[12:27], s[4:5], 0x8
	s_lshl_b32 s2, s6, 5
	s_lshl_b32 s3, s7, 5
	s_waitcnt lgkmcnt(0)
	v_cmp_lt_i64_e64 s[0:1], s[12:13], 1
	s_and_b64 vcc, exec, s[0:1]
	s_cbranch_vccnz .LBB1087_3
; %bb.1:
	v_lshl_add_u32 v4, v1, 4, v0
	v_lshrrev_b32_e32 v6, 3, v4
	v_add_u32_e32 v2, s3, v6
	v_ashrrev_i32_e32 v3, 31, v2
	v_and_b32_e32 v9, 7, v0
	v_mov_b32_e32 v10, 0
	v_mul_lo_u32 v5, s22, v3
	v_mul_lo_u32 v7, s23, v2
	v_mad_u64_u32 v[2:3], s[0:1], s22, v2, v[9:10]
	s_mul_i32 s6, s19, s8
	s_mul_hi_u32 s7, s18, s8
	v_add3_u32 v3, v7, v3, v5
	v_and_b32_e32 v7, 31, v4
	v_lshrrev_b32_e32 v4, 5, v4
	v_lshlrev_b32_e32 v8, 3, v7
	v_lshl_or_b32 v11, v4, 8, v8
	v_lshlrev_b32_e32 v8, 3, v9
	v_lshl_or_b32 v6, v6, 6, v8
	v_add_u32_e32 v12, 0x800, v6
	v_mov_b32_e32 v6, 0x800
	v_lshl_add_u32 v14, v1, 6, v6
	v_add_u32_e32 v6, s2, v7
	v_mov_b32_e32 v5, v10
	v_ashrrev_i32_e32 v7, 31, v6
	v_mul_lo_u32 v7, s16, v7
	v_mad_u64_u32 v[4:5], s[0:1], s16, v6, v[4:5]
	v_mul_lo_u32 v6, s17, v6
	s_add_i32 s1, s7, s6
	s_mul_i32 s0, s18, s8
	s_lshl_b64 s[0:1], s[0:1], 3
	v_add3_u32 v5, v6, v5, v7
	v_lshlrev_b64 v[4:5], 3, v[4:5]
	s_add_u32 s0, s14, s0
	s_addc_u32 s1, s15, s1
	v_mov_b32_e32 v6, s1
	v_add_co_u32_e32 v4, vcc, s0, v4
	s_mul_i32 s0, s25, s8
	s_mul_hi_u32 s1, s24, s8
	s_add_i32 s1, s1, s0
	s_mul_i32 s0, s24, s8
	v_addc_co_u32_e32 v5, vcc, v6, v5, vcc
	s_lshl_b64 s[0:1], s[0:1], 3
	v_add_co_u32_e32 v6, vcc, 4, v4
	v_lshlrev_b64 v[2:3], 3, v[2:3]
	s_add_u32 s0, s20, s0
	v_addc_co_u32_e32 v7, vcc, 0, v5, vcc
	s_addc_u32 s1, s21, s1
	v_mov_b32_e32 v4, s1
	v_add_co_u32_e32 v2, vcc, s0, v2
	v_addc_co_u32_e32 v3, vcc, v4, v3, vcc
	v_add_co_u32_e32 v8, vcc, 4, v2
	v_lshlrev_b32_e32 v13, 3, v0
	v_addc_co_u32_e32 v9, vcc, 0, v3, vcc
	s_mov_b64 s[0:1], 0
	v_mov_b32_e32 v15, v10
	v_mov_b32_e32 v16, v10
	;; [unrolled: 1-line block ×7, first 2 shown]
.LBB1087_2:                             ; =>This Inner Loop Header: Depth=1
	global_load_dwordx2 v[2:3], v[6:7], off offset:-4
	s_add_u32 s0, s0, 8
	v_add_co_u32_e32 v6, vcc, 64, v6
	s_addc_u32 s1, s1, 0
	v_addc_co_u32_e32 v7, vcc, 0, v7, vcc
	s_waitcnt vmcnt(0)
	ds_write_b64 v11, v[2:3]
	global_load_dwordx2 v[2:3], v[8:9], off offset:-4
	v_add_co_u32_e32 v8, vcc, 64, v8
	v_addc_co_u32_e32 v9, vcc, 0, v9, vcc
	s_waitcnt vmcnt(0)
	ds_write_b64 v12, v[2:3]
	s_waitcnt lgkmcnt(0)
	s_barrier
	ds_read_b128 v[22:25], v14
	ds_read_b128 v[26:29], v14 offset:16
	ds_read_b128 v[30:33], v14 offset:32
	;; [unrolled: 1-line block ×3, first 2 shown]
	ds_read2_b64 v[34:37], v13 offset1:16
	s_waitcnt lgkmcnt(0)
	v_mul_f32_e32 v38, v23, v35
	v_mul_f32_e32 v39, v22, v35
	v_fma_f32 v38, v22, v34, -v38
	v_fmac_f32_e32 v39, v23, v34
	v_add_f32_e32 v38, v20, v38
	v_add_f32_e32 v39, v21, v39
	v_mul_f32_e32 v20, v23, v37
	v_mul_f32_e32 v21, v22, v37
	v_fma_f32 v20, v22, v36, -v20
	v_fmac_f32_e32 v21, v23, v36
	v_add_f32_e32 v22, v19, v20
	v_add_f32_e32 v23, v18, v21
	ds_read_b128 v[18:21], v14 offset:1024
	s_waitcnt lgkmcnt(0)
	v_mul_f32_e32 v40, v19, v35
	v_mul_f32_e32 v35, v18, v35
	v_fma_f32 v40, v18, v34, -v40
	v_fmac_f32_e32 v35, v19, v34
	v_add_f32_e32 v34, v17, v40
	v_add_f32_e32 v35, v16, v35
	v_mul_f32_e32 v16, v19, v37
	v_mul_f32_e32 v17, v18, v37
	v_fma_f32 v16, v18, v36, -v16
	v_fmac_f32_e32 v17, v19, v36
	v_add_f32_e32 v19, v15, v16
	v_add_f32_e32 v10, v10, v17
	ds_read2_b64 v[15:18], v13 offset0:32 offset1:48
	s_waitcnt lgkmcnt(0)
	v_mul_f32_e32 v36, v25, v16
	v_fma_f32 v36, v24, v15, -v36
	v_add_f32_e32 v36, v38, v36
	v_mul_f32_e32 v38, v25, v18
	v_mul_f32_e32 v37, v24, v16
	v_fma_f32 v38, v24, v17, -v38
	v_mul_f32_e32 v24, v24, v18
	v_fmac_f32_e32 v24, v25, v17
	v_add_f32_e32 v23, v23, v24
	v_mul_f32_e32 v24, v21, v16
	v_mul_f32_e32 v16, v20, v16
	v_fmac_f32_e32 v16, v21, v15
	v_fmac_f32_e32 v37, v25, v15
	v_fma_f32 v24, v20, v15, -v24
	v_add_f32_e32 v25, v35, v16
	v_mul_f32_e32 v15, v21, v18
	v_mul_f32_e32 v16, v20, v18
	v_fma_f32 v15, v20, v17, -v15
	v_fmac_f32_e32 v16, v21, v17
	v_add_f32_e32 v24, v34, v24
	v_add_f32_e32 v34, v19, v15
	;; [unrolled: 1-line block ×3, first 2 shown]
	ds_read2_b64 v[15:18], v13 offset0:64 offset1:80
	v_add_f32_e32 v37, v39, v37
	v_add_f32_e32 v22, v22, v38
	s_waitcnt lgkmcnt(0)
	v_mul_f32_e32 v19, v27, v16
	v_mul_f32_e32 v20, v26, v16
	v_fma_f32 v19, v26, v15, -v19
	v_fmac_f32_e32 v20, v27, v15
	v_add_f32_e32 v35, v36, v19
	v_add_f32_e32 v36, v37, v20
	v_mul_f32_e32 v19, v27, v18
	v_mul_f32_e32 v20, v26, v18
	v_fma_f32 v19, v26, v17, -v19
	v_fmac_f32_e32 v20, v27, v17
	v_add_f32_e32 v26, v22, v19
	v_add_f32_e32 v23, v23, v20
	ds_read_b128 v[19:22], v14 offset:1040
	s_waitcnt lgkmcnt(0)
	v_mul_f32_e32 v27, v20, v16
	v_mul_f32_e32 v16, v19, v16
	v_fmac_f32_e32 v16, v20, v15
	v_fma_f32 v27, v19, v15, -v27
	v_add_f32_e32 v25, v25, v16
	v_mul_f32_e32 v15, v20, v18
	v_mul_f32_e32 v16, v19, v18
	v_fma_f32 v15, v19, v17, -v15
	v_fmac_f32_e32 v16, v20, v17
	v_add_f32_e32 v19, v34, v15
	v_add_f32_e32 v10, v10, v16
	ds_read2_b64 v[15:18], v13 offset0:96 offset1:112
	v_add_f32_e32 v24, v24, v27
	s_waitcnt lgkmcnt(0)
	v_mul_f32_e32 v20, v29, v16
	v_mul_f32_e32 v34, v29, v18
	v_fma_f32 v20, v28, v15, -v20
	v_mul_f32_e32 v27, v28, v16
	v_fma_f32 v34, v28, v17, -v34
	v_mul_f32_e32 v28, v28, v18
	v_fmac_f32_e32 v28, v29, v17
	v_add_f32_e32 v23, v23, v28
	v_mul_f32_e32 v28, v22, v16
	v_mul_f32_e32 v16, v21, v16
	v_fmac_f32_e32 v16, v22, v15
	v_fmac_f32_e32 v27, v29, v15
	v_fma_f32 v28, v21, v15, -v28
	v_add_f32_e32 v25, v25, v16
	v_mul_f32_e32 v15, v22, v18
	v_mul_f32_e32 v16, v21, v18
	v_fma_f32 v15, v21, v17, -v15
	v_fmac_f32_e32 v16, v22, v17
	v_add_f32_e32 v24, v24, v28
	v_add_f32_e32 v28, v19, v15
	;; [unrolled: 1-line block ×3, first 2 shown]
	ds_read2_b64 v[15:18], v13 offset0:128 offset1:144
	v_add_f32_e32 v20, v35, v20
	v_add_f32_e32 v27, v36, v27
	;; [unrolled: 1-line block ×3, first 2 shown]
	s_waitcnt lgkmcnt(0)
	v_mul_f32_e32 v19, v31, v16
	v_fma_f32 v19, v30, v15, -v19
	v_mul_f32_e32 v21, v30, v16
	v_add_f32_e32 v29, v20, v19
	v_mul_f32_e32 v19, v31, v18
	v_mul_f32_e32 v20, v30, v18
	v_fmac_f32_e32 v21, v31, v15
	v_fma_f32 v19, v30, v17, -v19
	v_fmac_f32_e32 v20, v31, v17
	v_add_f32_e32 v27, v27, v21
	v_add_f32_e32 v26, v26, v19
	;; [unrolled: 1-line block ×3, first 2 shown]
	ds_read_b128 v[19:22], v14 offset:1056
	s_waitcnt lgkmcnt(0)
	v_mul_f32_e32 v30, v20, v16
	v_mul_f32_e32 v16, v19, v16
	v_fmac_f32_e32 v16, v20, v15
	v_fma_f32 v30, v19, v15, -v30
	v_add_f32_e32 v25, v25, v16
	v_mul_f32_e32 v15, v20, v18
	v_mul_f32_e32 v16, v19, v18
	v_fma_f32 v15, v19, v17, -v15
	v_fmac_f32_e32 v16, v20, v17
	v_add_f32_e32 v19, v28, v15
	v_add_f32_e32 v10, v10, v16
	ds_read2_b64 v[15:18], v13 offset0:160 offset1:176
	v_add_f32_e32 v24, v24, v30
	s_waitcnt lgkmcnt(0)
	v_mul_f32_e32 v28, v32, v16
	v_fmac_f32_e32 v28, v33, v15
	v_add_f32_e32 v27, v27, v28
	v_mul_f32_e32 v28, v33, v18
	v_fma_f32 v28, v32, v17, -v28
	v_mul_f32_e32 v20, v33, v16
	v_add_f32_e32 v26, v26, v28
	v_mul_f32_e32 v28, v22, v16
	v_mul_f32_e32 v16, v21, v16
	v_fmac_f32_e32 v16, v22, v15
	v_fma_f32 v20, v32, v15, -v20
	v_fma_f32 v28, v21, v15, -v28
	v_add_f32_e32 v25, v25, v16
	v_mul_f32_e32 v15, v22, v18
	v_mul_f32_e32 v16, v21, v18
	v_add_f32_e32 v20, v29, v20
	v_mul_f32_e32 v29, v32, v18
	v_fma_f32 v15, v21, v17, -v15
	v_fmac_f32_e32 v16, v22, v17
	v_fmac_f32_e32 v29, v33, v17
	v_add_f32_e32 v19, v19, v15
	v_add_f32_e32 v10, v10, v16
	ds_read2_b64 v[15:18], v13 offset0:192 offset1:208
	v_add_f32_e32 v24, v24, v28
	v_add_f32_e32 v23, v23, v29
	s_waitcnt lgkmcnt(0)
	v_mul_f32_e32 v21, v3, v16
	v_fma_f32 v21, v2, v15, -v21
	v_add_f32_e32 v28, v20, v21
	v_mul_f32_e32 v20, v3, v18
	v_mul_f32_e32 v22, v2, v16
	v_fma_f32 v20, v2, v17, -v20
	v_mul_f32_e32 v2, v2, v18
	v_fmac_f32_e32 v22, v3, v15
	v_fmac_f32_e32 v2, v3, v17
	v_add_f32_e32 v29, v27, v22
	v_add_f32_e32 v3, v26, v20
	;; [unrolled: 1-line block ×3, first 2 shown]
	ds_read_b128 v[20:23], v14 offset:1072
	s_waitcnt lgkmcnt(0)
	v_mul_f32_e32 v26, v21, v16
	v_fma_f32 v26, v20, v15, -v26
	v_mul_f32_e32 v16, v20, v16
	v_fmac_f32_e32 v16, v21, v15
	v_add_f32_e32 v15, v24, v26
	v_mul_f32_e32 v24, v21, v18
	v_fma_f32 v24, v20, v17, -v24
	v_add_f32_e32 v16, v25, v16
	v_add_f32_e32 v30, v19, v24
	ds_read2_b64 v[24:27], v13 offset0:224 offset1:240
	v_mul_f32_e32 v18, v20, v18
	v_fmac_f32_e32 v18, v21, v17
	v_add_f32_e32 v10, v10, v18
	s_waitcnt lgkmcnt(0)
	v_mul_f32_e32 v17, v5, v25
	v_fma_f32 v17, v4, v24, -v17
	v_add_f32_e32 v20, v28, v17
	v_mul_f32_e32 v17, v5, v27
	v_mul_f32_e32 v18, v4, v25
	v_fma_f32 v17, v4, v26, -v17
	v_mul_f32_e32 v4, v4, v27
	v_fmac_f32_e32 v18, v5, v24
	v_fmac_f32_e32 v4, v5, v26
	v_add_f32_e32 v21, v29, v18
	v_add_f32_e32 v19, v3, v17
	v_add_f32_e32 v18, v2, v4
	v_mul_f32_e32 v2, v23, v25
	v_mul_f32_e32 v3, v22, v25
	v_fma_f32 v2, v22, v24, -v2
	v_fmac_f32_e32 v3, v23, v24
	v_add_f32_e32 v17, v15, v2
	v_add_f32_e32 v16, v16, v3
	v_mul_f32_e32 v2, v23, v27
	v_mul_f32_e32 v3, v22, v27
	v_fma_f32 v2, v22, v26, -v2
	v_fmac_f32_e32 v3, v23, v26
	v_add_f32_e32 v15, v30, v2
	v_add_f32_e32 v10, v10, v3
	v_mov_b32_e32 v3, s1
	v_mov_b32_e32 v2, s0
	v_cmp_le_u64_e32 vcc, s[12:13], v[2:3]
	s_barrier
	s_cbranch_vccz .LBB1087_2
	s_branch .LBB1087_4
.LBB1087_3:
	v_mov_b32_e32 v20, 0
	v_mov_b32_e32 v21, 0
	;; [unrolled: 1-line block ×8, first 2 shown]
.LBB1087_4:
	s_load_dwordx4 s[12:15], s[4:5], 0x48
	s_load_dword s9, s[4:5], 0x0
	v_add_u32_e32 v4, s3, v1
	v_ashrrev_i32_e32 v1, 31, v4
	v_add_u32_e32 v0, s2, v0
	s_waitcnt lgkmcnt(0)
	v_mul_lo_u32 v3, s12, v1
	v_mul_lo_u32 v5, s13, v4
	v_mad_u64_u32 v[1:2], s[4:5], s12, v4, 0
	s_mul_i32 s1, s15, s8
	s_mul_hi_u32 s3, s14, s8
	s_mul_i32 s0, s14, s8
	s_add_i32 s1, s3, s1
	s_lshl_b64 s[0:1], s[0:1], 3
	v_add3_u32 v2, v2, v3, v5
	s_add_u32 s6, s26, s0
	v_lshlrev_b64 v[1:2], 3, v[1:2]
	s_addc_u32 s7, s27, s1
	v_mov_b32_e32 v3, s7
	v_add_co_u32_e32 v5, vcc, s6, v1
	v_addc_co_u32_e32 v6, vcc, v3, v2, vcc
	v_cmp_le_i32_e64 s[0:1], v4, v0
	v_cmp_gt_i32_e32 vcc, s9, v0
	s_and_b64 s[0:1], s[0:1], vcc
	s_and_saveexec_b64 s[2:3], s[0:1]
	s_cbranch_execz .LBB1087_6
; %bb.5:
	v_ashrrev_i32_e32 v1, 31, v0
	v_lshlrev_b64 v[1:2], 3, v[0:1]
	v_add_co_u32_e64 v1, s[0:1], v5, v1
	v_addc_co_u32_e64 v2, s[0:1], v6, v2, s[0:1]
	global_load_dwordx2 v[7:8], v[1:2], off
	s_waitcnt vmcnt(0)
	v_sub_f32_e32 v7, v20, v7
	v_sub_f32_e32 v8, v21, v8
	global_store_dwordx2 v[1:2], v[7:8], off
.LBB1087_6:
	s_or_b64 exec, exec, s[2:3]
	v_add_u32_e32 v2, 16, v0
	v_cmp_le_i32_e64 s[2:3], v4, v2
	v_cmp_gt_i32_e64 s[0:1], s9, v2
	s_and_b64 s[2:3], s[2:3], s[0:1]
	s_and_saveexec_b64 s[4:5], s[2:3]
	s_cbranch_execz .LBB1087_8
; %bb.7:
	v_ashrrev_i32_e32 v3, 31, v2
	v_lshlrev_b64 v[7:8], 3, v[2:3]
	v_add_co_u32_e64 v5, s[2:3], v5, v7
	v_addc_co_u32_e64 v6, s[2:3], v6, v8, s[2:3]
	global_load_dwordx2 v[7:8], v[5:6], off
	s_waitcnt vmcnt(0)
	v_sub_f32_e32 v7, v19, v7
	v_sub_f32_e32 v8, v18, v8
	global_store_dwordx2 v[5:6], v[7:8], off
.LBB1087_8:
	s_or_b64 exec, exec, s[4:5]
	v_add_u32_e32 v3, 16, v4
	v_ashrrev_i32_e32 v1, 31, v3
	v_mul_lo_u32 v6, s13, v3
	v_mad_u64_u32 v[4:5], s[2:3], s12, v3, 0
	v_mul_lo_u32 v1, s12, v1
	v_add3_u32 v5, v5, v1, v6
	v_lshlrev_b64 v[4:5], 3, v[4:5]
	v_mov_b32_e32 v1, s7
	v_add_co_u32_e64 v4, s[2:3], s6, v4
	v_addc_co_u32_e64 v5, s[2:3], v1, v5, s[2:3]
	v_cmp_le_i32_e64 s[2:3], v3, v0
	s_and_b64 s[4:5], s[2:3], vcc
	s_and_saveexec_b64 s[2:3], s[4:5]
	s_cbranch_execz .LBB1087_10
; %bb.9:
	v_ashrrev_i32_e32 v1, 31, v0
	v_lshlrev_b64 v[0:1], 3, v[0:1]
	v_add_co_u32_e32 v0, vcc, v4, v0
	v_addc_co_u32_e32 v1, vcc, v5, v1, vcc
	global_load_dwordx2 v[6:7], v[0:1], off
	s_waitcnt vmcnt(0)
	v_sub_f32_e32 v6, v17, v6
	v_sub_f32_e32 v7, v16, v7
	global_store_dwordx2 v[0:1], v[6:7], off
.LBB1087_10:
	s_or_b64 exec, exec, s[2:3]
	v_cmp_le_i32_e32 vcc, v3, v2
	s_and_b64 s[0:1], vcc, s[0:1]
	s_and_saveexec_b64 s[2:3], s[0:1]
	s_cbranch_execz .LBB1087_12
; %bb.11:
	v_ashrrev_i32_e32 v3, 31, v2
	v_lshlrev_b64 v[0:1], 3, v[2:3]
	v_add_co_u32_e32 v0, vcc, v4, v0
	v_addc_co_u32_e32 v1, vcc, v5, v1, vcc
	global_load_dwordx2 v[2:3], v[0:1], off
	s_waitcnt vmcnt(0)
	v_sub_f32_e32 v2, v15, v2
	v_sub_f32_e32 v3, v10, v3
	global_store_dwordx2 v[0:1], v[2:3], off
.LBB1087_12:
	s_endpgm
	.section	.rodata,"a",@progbits
	.p2align	6, 0x0
	.amdhsa_kernel _ZL37rocblas_syrkx_herkx_restricted_kernelIl19rocblas_complex_numIfELi16ELi32ELi8ELi1ELin1ELb0ELc67ELc76EKS1_S1_EviT_PT9_S3_lS5_S3_lPT10_S3_li
		.amdhsa_group_segment_fixed_size 4096
		.amdhsa_private_segment_fixed_size 0
		.amdhsa_kernarg_size 92
		.amdhsa_user_sgpr_count 6
		.amdhsa_user_sgpr_private_segment_buffer 1
		.amdhsa_user_sgpr_dispatch_ptr 0
		.amdhsa_user_sgpr_queue_ptr 0
		.amdhsa_user_sgpr_kernarg_segment_ptr 1
		.amdhsa_user_sgpr_dispatch_id 0
		.amdhsa_user_sgpr_flat_scratch_init 0
		.amdhsa_user_sgpr_private_segment_size 0
		.amdhsa_uses_dynamic_stack 0
		.amdhsa_system_sgpr_private_segment_wavefront_offset 0
		.amdhsa_system_sgpr_workgroup_id_x 1
		.amdhsa_system_sgpr_workgroup_id_y 1
		.amdhsa_system_sgpr_workgroup_id_z 1
		.amdhsa_system_sgpr_workgroup_info 0
		.amdhsa_system_vgpr_workitem_id 1
		.amdhsa_next_free_vgpr 41
		.amdhsa_next_free_sgpr 28
		.amdhsa_reserve_vcc 1
		.amdhsa_reserve_flat_scratch 0
		.amdhsa_float_round_mode_32 0
		.amdhsa_float_round_mode_16_64 0
		.amdhsa_float_denorm_mode_32 3
		.amdhsa_float_denorm_mode_16_64 3
		.amdhsa_dx10_clamp 1
		.amdhsa_ieee_mode 1
		.amdhsa_fp16_overflow 0
		.amdhsa_exception_fp_ieee_invalid_op 0
		.amdhsa_exception_fp_denorm_src 0
		.amdhsa_exception_fp_ieee_div_zero 0
		.amdhsa_exception_fp_ieee_overflow 0
		.amdhsa_exception_fp_ieee_underflow 0
		.amdhsa_exception_fp_ieee_inexact 0
		.amdhsa_exception_int_div_zero 0
	.end_amdhsa_kernel
	.section	.text._ZL37rocblas_syrkx_herkx_restricted_kernelIl19rocblas_complex_numIfELi16ELi32ELi8ELi1ELin1ELb0ELc67ELc76EKS1_S1_EviT_PT9_S3_lS5_S3_lPT10_S3_li,"axG",@progbits,_ZL37rocblas_syrkx_herkx_restricted_kernelIl19rocblas_complex_numIfELi16ELi32ELi8ELi1ELin1ELb0ELc67ELc76EKS1_S1_EviT_PT9_S3_lS5_S3_lPT10_S3_li,comdat
.Lfunc_end1087:
	.size	_ZL37rocblas_syrkx_herkx_restricted_kernelIl19rocblas_complex_numIfELi16ELi32ELi8ELi1ELin1ELb0ELc67ELc76EKS1_S1_EviT_PT9_S3_lS5_S3_lPT10_S3_li, .Lfunc_end1087-_ZL37rocblas_syrkx_herkx_restricted_kernelIl19rocblas_complex_numIfELi16ELi32ELi8ELi1ELin1ELb0ELc67ELc76EKS1_S1_EviT_PT9_S3_lS5_S3_lPT10_S3_li
                                        ; -- End function
	.set _ZL37rocblas_syrkx_herkx_restricted_kernelIl19rocblas_complex_numIfELi16ELi32ELi8ELi1ELin1ELb0ELc67ELc76EKS1_S1_EviT_PT9_S3_lS5_S3_lPT10_S3_li.num_vgpr, 41
	.set _ZL37rocblas_syrkx_herkx_restricted_kernelIl19rocblas_complex_numIfELi16ELi32ELi8ELi1ELin1ELb0ELc67ELc76EKS1_S1_EviT_PT9_S3_lS5_S3_lPT10_S3_li.num_agpr, 0
	.set _ZL37rocblas_syrkx_herkx_restricted_kernelIl19rocblas_complex_numIfELi16ELi32ELi8ELi1ELin1ELb0ELc67ELc76EKS1_S1_EviT_PT9_S3_lS5_S3_lPT10_S3_li.numbered_sgpr, 28
	.set _ZL37rocblas_syrkx_herkx_restricted_kernelIl19rocblas_complex_numIfELi16ELi32ELi8ELi1ELin1ELb0ELc67ELc76EKS1_S1_EviT_PT9_S3_lS5_S3_lPT10_S3_li.num_named_barrier, 0
	.set _ZL37rocblas_syrkx_herkx_restricted_kernelIl19rocblas_complex_numIfELi16ELi32ELi8ELi1ELin1ELb0ELc67ELc76EKS1_S1_EviT_PT9_S3_lS5_S3_lPT10_S3_li.private_seg_size, 0
	.set _ZL37rocblas_syrkx_herkx_restricted_kernelIl19rocblas_complex_numIfELi16ELi32ELi8ELi1ELin1ELb0ELc67ELc76EKS1_S1_EviT_PT9_S3_lS5_S3_lPT10_S3_li.uses_vcc, 1
	.set _ZL37rocblas_syrkx_herkx_restricted_kernelIl19rocblas_complex_numIfELi16ELi32ELi8ELi1ELin1ELb0ELc67ELc76EKS1_S1_EviT_PT9_S3_lS5_S3_lPT10_S3_li.uses_flat_scratch, 0
	.set _ZL37rocblas_syrkx_herkx_restricted_kernelIl19rocblas_complex_numIfELi16ELi32ELi8ELi1ELin1ELb0ELc67ELc76EKS1_S1_EviT_PT9_S3_lS5_S3_lPT10_S3_li.has_dyn_sized_stack, 0
	.set _ZL37rocblas_syrkx_herkx_restricted_kernelIl19rocblas_complex_numIfELi16ELi32ELi8ELi1ELin1ELb0ELc67ELc76EKS1_S1_EviT_PT9_S3_lS5_S3_lPT10_S3_li.has_recursion, 0
	.set _ZL37rocblas_syrkx_herkx_restricted_kernelIl19rocblas_complex_numIfELi16ELi32ELi8ELi1ELin1ELb0ELc67ELc76EKS1_S1_EviT_PT9_S3_lS5_S3_lPT10_S3_li.has_indirect_call, 0
	.section	.AMDGPU.csdata,"",@progbits
; Kernel info:
; codeLenInByte = 2040
; TotalNumSgprs: 32
; NumVgprs: 41
; ScratchSize: 0
; MemoryBound: 0
; FloatMode: 240
; IeeeMode: 1
; LDSByteSize: 4096 bytes/workgroup (compile time only)
; SGPRBlocks: 3
; VGPRBlocks: 10
; NumSGPRsForWavesPerEU: 32
; NumVGPRsForWavesPerEU: 41
; Occupancy: 5
; WaveLimiterHint : 1
; COMPUTE_PGM_RSRC2:SCRATCH_EN: 0
; COMPUTE_PGM_RSRC2:USER_SGPR: 6
; COMPUTE_PGM_RSRC2:TRAP_HANDLER: 0
; COMPUTE_PGM_RSRC2:TGID_X_EN: 1
; COMPUTE_PGM_RSRC2:TGID_Y_EN: 1
; COMPUTE_PGM_RSRC2:TGID_Z_EN: 1
; COMPUTE_PGM_RSRC2:TIDIG_COMP_CNT: 1
	.section	.text._ZL37rocblas_syrkx_herkx_restricted_kernelIl19rocblas_complex_numIfELi16ELi32ELi8ELi1ELin1ELb0ELc78ELc76EKS1_S1_EviT_PT9_S3_lS5_S3_lPT10_S3_li,"axG",@progbits,_ZL37rocblas_syrkx_herkx_restricted_kernelIl19rocblas_complex_numIfELi16ELi32ELi8ELi1ELin1ELb0ELc78ELc76EKS1_S1_EviT_PT9_S3_lS5_S3_lPT10_S3_li,comdat
	.globl	_ZL37rocblas_syrkx_herkx_restricted_kernelIl19rocblas_complex_numIfELi16ELi32ELi8ELi1ELin1ELb0ELc78ELc76EKS1_S1_EviT_PT9_S3_lS5_S3_lPT10_S3_li ; -- Begin function _ZL37rocblas_syrkx_herkx_restricted_kernelIl19rocblas_complex_numIfELi16ELi32ELi8ELi1ELin1ELb0ELc78ELc76EKS1_S1_EviT_PT9_S3_lS5_S3_lPT10_S3_li
	.p2align	8
	.type	_ZL37rocblas_syrkx_herkx_restricted_kernelIl19rocblas_complex_numIfELi16ELi32ELi8ELi1ELin1ELb0ELc78ELc76EKS1_S1_EviT_PT9_S3_lS5_S3_lPT10_S3_li,@function
_ZL37rocblas_syrkx_herkx_restricted_kernelIl19rocblas_complex_numIfELi16ELi32ELi8ELi1ELin1ELb0ELc78ELc76EKS1_S1_EviT_PT9_S3_lS5_S3_lPT10_S3_li: ; @_ZL37rocblas_syrkx_herkx_restricted_kernelIl19rocblas_complex_numIfELi16ELi32ELi8ELi1ELin1ELb0ELc78ELc76EKS1_S1_EviT_PT9_S3_lS5_S3_lPT10_S3_li
; %bb.0:
	s_load_dwordx16 s[12:27], s[4:5], 0x8
	s_lshl_b32 s9, s6, 5
	s_lshl_b32 s10, s7, 5
	s_waitcnt lgkmcnt(0)
	v_cmp_lt_i64_e64 s[0:1], s[12:13], 1
	s_and_b64 vcc, exec, s[0:1]
	s_cbranch_vccnz .LBB1088_3
; %bb.1:
	v_lshl_add_u32 v6, v1, 4, v0
	v_lshrrev_b32_e32 v7, 3, v6
	v_add_u32_e32 v2, s10, v7
	v_and_b32_e32 v5, 7, v0
	v_ashrrev_i32_e32 v3, 31, v2
	v_mad_u64_u32 v[2:3], s[0:1], s22, v5, v[2:3]
	v_lshrrev_b32_e32 v8, 5, v6
	s_mul_i32 s2, s19, s8
	v_mad_u64_u32 v[3:4], s[0:1], s23, v5, v[3:4]
	v_and_b32_e32 v4, 31, v6
	v_lshlrev_b32_e32 v5, 3, v5
	v_lshlrev_b32_e32 v6, 3, v4
	v_lshl_or_b32 v5, v7, 6, v5
	v_add_u32_e32 v4, s9, v4
	v_add_u32_e32 v11, 0x800, v5
	v_ashrrev_i32_e32 v5, 31, v4
	v_mad_u64_u32 v[4:5], s[0:1], s16, v8, v[4:5]
	v_lshl_or_b32 v10, v8, 8, v6
	v_mov_b32_e32 v6, 0x800
	v_lshl_add_u32 v13, v1, 6, v6
	v_mad_u64_u32 v[5:6], s[0:1], s17, v8, v[5:6]
	s_mul_hi_u32 s3, s18, s8
	s_add_i32 s1, s3, s2
	s_mul_i32 s0, s18, s8
	s_lshl_b64 s[0:1], s[0:1], 3
	v_lshlrev_b64 v[4:5], 3, v[4:5]
	s_add_u32 s0, s14, s0
	s_addc_u32 s1, s15, s1
	s_mul_i32 s2, s25, s8
	s_mul_hi_u32 s3, s24, s8
	v_mov_b32_e32 v6, s1
	v_add_co_u32_e32 v4, vcc, s0, v4
	s_add_i32 s3, s3, s2
	s_mul_i32 s2, s24, s8
	v_addc_co_u32_e32 v5, vcc, v6, v5, vcc
	s_lshl_b64 s[0:1], s[16:17], 6
	s_lshl_b64 s[2:3], s[2:3], 3
	v_add_co_u32_e32 v6, vcc, 4, v4
	v_lshlrev_b64 v[2:3], 3, v[2:3]
	s_add_u32 s2, s20, s2
	v_addc_co_u32_e32 v7, vcc, 0, v5, vcc
	s_addc_u32 s3, s21, s3
	v_mov_b32_e32 v4, s3
	v_add_co_u32_e32 v2, vcc, s2, v2
	v_addc_co_u32_e32 v3, vcc, v4, v3, vcc
	v_add_co_u32_e32 v8, vcc, 4, v2
	s_lshl_b64 s[2:3], s[22:23], 6
	v_lshlrev_b32_e32 v12, 3, v0
	v_addc_co_u32_e32 v9, vcc, 0, v3, vcc
	v_mov_b32_e32 v16, 0
	s_mov_b64 s[6:7], 0
	v_mov_b32_e32 v14, s1
	v_mov_b32_e32 v15, s3
	;; [unrolled: 1-line block ×9, first 2 shown]
.LBB1088_2:                             ; =>This Inner Loop Header: Depth=1
	global_load_dwordx2 v[2:3], v[6:7], off offset:-4
	v_add_co_u32_e32 v6, vcc, s0, v6
	s_add_u32 s6, s6, 8
	v_addc_co_u32_e32 v7, vcc, v7, v14, vcc
	s_addc_u32 s7, s7, 0
	s_waitcnt vmcnt(0)
	ds_write_b64 v10, v[2:3]
	global_load_dwordx2 v[2:3], v[8:9], off offset:-4
	v_add_co_u32_e32 v8, vcc, s2, v8
	v_addc_co_u32_e32 v9, vcc, v9, v15, vcc
	s_waitcnt vmcnt(0)
	ds_write_b64 v11, v[2:3]
	s_waitcnt lgkmcnt(0)
	s_barrier
	ds_read_b128 v[24:27], v13
	ds_read_b128 v[28:31], v13 offset:16
	ds_read_b128 v[32:35], v13 offset:32
	;; [unrolled: 1-line block ×3, first 2 shown]
	ds_read2_b64 v[36:39], v12 offset1:16
	s_waitcnt lgkmcnt(0)
	v_mul_f32_e32 v40, v25, v37
	v_mul_f32_e32 v41, v24, v37
	v_fma_f32 v40, v24, v36, -v40
	v_fmac_f32_e32 v41, v25, v36
	v_add_f32_e32 v40, v22, v40
	v_add_f32_e32 v41, v23, v41
	v_mul_f32_e32 v22, v25, v39
	v_mul_f32_e32 v23, v24, v39
	v_fma_f32 v22, v24, v38, -v22
	v_fmac_f32_e32 v23, v25, v38
	v_add_f32_e32 v24, v21, v22
	v_add_f32_e32 v25, v20, v23
	ds_read_b128 v[20:23], v13 offset:1024
	s_waitcnt lgkmcnt(0)
	v_mul_f32_e32 v42, v21, v37
	v_mul_f32_e32 v37, v20, v37
	v_fma_f32 v42, v20, v36, -v42
	v_fmac_f32_e32 v37, v21, v36
	v_add_f32_e32 v36, v19, v42
	v_add_f32_e32 v37, v18, v37
	v_mul_f32_e32 v18, v21, v39
	v_mul_f32_e32 v19, v20, v39
	v_fma_f32 v18, v20, v38, -v18
	v_fmac_f32_e32 v19, v21, v38
	v_add_f32_e32 v20, v17, v18
	v_add_f32_e32 v21, v16, v19
	ds_read2_b64 v[16:19], v12 offset0:32 offset1:48
	s_waitcnt lgkmcnt(0)
	v_mul_f32_e32 v38, v27, v17
	v_fma_f32 v38, v26, v16, -v38
	v_add_f32_e32 v38, v40, v38
	v_mul_f32_e32 v40, v27, v19
	v_mul_f32_e32 v39, v26, v17
	v_fma_f32 v40, v26, v18, -v40
	v_mul_f32_e32 v26, v26, v19
	v_fmac_f32_e32 v26, v27, v18
	v_add_f32_e32 v25, v25, v26
	v_mul_f32_e32 v26, v23, v17
	v_mul_f32_e32 v17, v22, v17
	v_fmac_f32_e32 v17, v23, v16
	v_fmac_f32_e32 v39, v27, v16
	v_fma_f32 v26, v22, v16, -v26
	v_add_f32_e32 v27, v37, v17
	v_mul_f32_e32 v16, v23, v19
	v_mul_f32_e32 v17, v22, v19
	v_fma_f32 v16, v22, v18, -v16
	v_fmac_f32_e32 v17, v23, v18
	v_add_f32_e32 v26, v36, v26
	v_add_f32_e32 v36, v20, v16
	;; [unrolled: 1-line block ×3, first 2 shown]
	ds_read2_b64 v[16:19], v12 offset0:64 offset1:80
	v_add_f32_e32 v39, v41, v39
	v_add_f32_e32 v24, v24, v40
	s_waitcnt lgkmcnt(0)
	v_mul_f32_e32 v20, v29, v17
	v_mul_f32_e32 v21, v28, v17
	v_fma_f32 v20, v28, v16, -v20
	v_fmac_f32_e32 v21, v29, v16
	v_add_f32_e32 v38, v38, v20
	v_add_f32_e32 v39, v39, v21
	v_mul_f32_e32 v20, v29, v19
	v_mul_f32_e32 v21, v28, v19
	v_fma_f32 v20, v28, v18, -v20
	v_fmac_f32_e32 v21, v29, v18
	v_add_f32_e32 v24, v24, v20
	v_add_f32_e32 v25, v25, v21
	ds_read_b128 v[20:23], v13 offset:1040
	s_waitcnt lgkmcnt(0)
	v_mul_f32_e32 v28, v21, v17
	v_mul_f32_e32 v17, v20, v17
	v_fmac_f32_e32 v17, v21, v16
	v_fma_f32 v28, v20, v16, -v28
	v_add_f32_e32 v27, v27, v17
	v_mul_f32_e32 v16, v21, v19
	v_mul_f32_e32 v17, v20, v19
	v_fma_f32 v16, v20, v18, -v16
	v_fmac_f32_e32 v17, v21, v18
	v_add_f32_e32 v20, v36, v16
	v_add_f32_e32 v21, v37, v17
	ds_read2_b64 v[16:19], v12 offset0:96 offset1:112
	v_add_f32_e32 v26, v26, v28
	s_waitcnt lgkmcnt(0)
	v_mul_f32_e32 v28, v31, v17
	v_mul_f32_e32 v36, v31, v19
	v_fma_f32 v28, v30, v16, -v28
	v_mul_f32_e32 v29, v30, v17
	v_fma_f32 v36, v30, v18, -v36
	v_mul_f32_e32 v30, v30, v19
	v_fmac_f32_e32 v30, v31, v18
	v_add_f32_e32 v25, v25, v30
	v_mul_f32_e32 v30, v23, v17
	v_mul_f32_e32 v17, v22, v17
	v_fmac_f32_e32 v17, v23, v16
	v_fmac_f32_e32 v29, v31, v16
	v_fma_f32 v30, v22, v16, -v30
	v_add_f32_e32 v27, v27, v17
	v_mul_f32_e32 v16, v23, v19
	v_mul_f32_e32 v17, v22, v19
	v_fma_f32 v16, v22, v18, -v16
	v_fmac_f32_e32 v17, v23, v18
	v_add_f32_e32 v26, v26, v30
	v_add_f32_e32 v30, v20, v16
	;; [unrolled: 1-line block ×3, first 2 shown]
	ds_read2_b64 v[16:19], v12 offset0:128 offset1:144
	v_add_f32_e32 v28, v38, v28
	v_add_f32_e32 v29, v39, v29
	v_add_f32_e32 v24, v24, v36
	s_waitcnt lgkmcnt(0)
	v_mul_f32_e32 v20, v33, v17
	v_mul_f32_e32 v21, v32, v17
	v_fma_f32 v20, v32, v16, -v20
	v_fmac_f32_e32 v21, v33, v16
	v_add_f32_e32 v28, v28, v20
	v_add_f32_e32 v29, v29, v21
	v_mul_f32_e32 v20, v33, v19
	v_mul_f32_e32 v21, v32, v19
	v_fma_f32 v20, v32, v18, -v20
	v_fmac_f32_e32 v21, v33, v18
	v_add_f32_e32 v24, v24, v20
	v_add_f32_e32 v25, v25, v21
	ds_read_b128 v[20:23], v13 offset:1056
	s_waitcnt lgkmcnt(0)
	v_mul_f32_e32 v32, v21, v17
	v_mul_f32_e32 v17, v20, v17
	v_fmac_f32_e32 v17, v21, v16
	v_fma_f32 v32, v20, v16, -v32
	v_add_f32_e32 v27, v27, v17
	v_mul_f32_e32 v16, v21, v19
	v_mul_f32_e32 v17, v20, v19
	v_fma_f32 v16, v20, v18, -v16
	v_fmac_f32_e32 v17, v21, v18
	v_add_f32_e32 v20, v30, v16
	v_add_f32_e32 v21, v31, v17
	ds_read2_b64 v[16:19], v12 offset0:160 offset1:176
	v_add_f32_e32 v26, v26, v32
	s_waitcnt lgkmcnt(0)
	v_mul_f32_e32 v30, v35, v17
	v_fma_f32 v30, v34, v16, -v30
	v_add_f32_e32 v28, v28, v30
	v_mul_f32_e32 v30, v35, v19
	v_fma_f32 v30, v34, v18, -v30
	v_mul_f32_e32 v31, v34, v17
	v_add_f32_e32 v24, v24, v30
	v_mul_f32_e32 v30, v23, v17
	v_mul_f32_e32 v17, v22, v17
	v_fmac_f32_e32 v17, v23, v16
	v_fmac_f32_e32 v31, v35, v16
	v_fma_f32 v30, v22, v16, -v30
	v_add_f32_e32 v27, v27, v17
	v_mul_f32_e32 v16, v23, v19
	v_mul_f32_e32 v17, v22, v19
	v_add_f32_e32 v29, v29, v31
	v_mul_f32_e32 v31, v34, v19
	v_fma_f32 v16, v22, v18, -v16
	v_fmac_f32_e32 v17, v23, v18
	v_fmac_f32_e32 v31, v35, v18
	v_add_f32_e32 v20, v20, v16
	v_add_f32_e32 v21, v21, v17
	ds_read2_b64 v[16:19], v12 offset0:192 offset1:208
	v_add_f32_e32 v26, v26, v30
	v_add_f32_e32 v25, v25, v31
	s_waitcnt lgkmcnt(0)
	v_mul_f32_e32 v22, v3, v17
	v_fma_f32 v22, v2, v16, -v22
	v_add_f32_e32 v30, v28, v22
	v_mul_f32_e32 v22, v3, v19
	v_mul_f32_e32 v23, v2, v17
	v_fma_f32 v22, v2, v18, -v22
	v_mul_f32_e32 v2, v2, v19
	v_fmac_f32_e32 v23, v3, v16
	v_fmac_f32_e32 v2, v3, v18
	v_add_f32_e32 v31, v29, v23
	v_add_f32_e32 v3, v24, v22
	;; [unrolled: 1-line block ×3, first 2 shown]
	ds_read_b128 v[22:25], v13 offset:1072
	s_waitcnt lgkmcnt(0)
	v_mul_f32_e32 v28, v23, v17
	v_fma_f32 v28, v22, v16, -v28
	v_mul_f32_e32 v17, v22, v17
	v_fmac_f32_e32 v17, v23, v16
	v_add_f32_e32 v16, v26, v28
	v_mul_f32_e32 v26, v23, v19
	v_fma_f32 v26, v22, v18, -v26
	v_add_f32_e32 v17, v27, v17
	v_add_f32_e32 v32, v20, v26
	ds_read2_b64 v[26:29], v12 offset0:224 offset1:240
	v_mul_f32_e32 v19, v22, v19
	v_fmac_f32_e32 v19, v23, v18
	v_add_f32_e32 v33, v21, v19
	s_waitcnt lgkmcnt(0)
	v_mul_f32_e32 v18, v5, v27
	v_fma_f32 v18, v4, v26, -v18
	v_add_f32_e32 v22, v30, v18
	v_mul_f32_e32 v18, v5, v29
	v_mul_f32_e32 v19, v4, v27
	v_fma_f32 v18, v4, v28, -v18
	v_mul_f32_e32 v4, v4, v29
	v_fmac_f32_e32 v4, v5, v28
	v_add_f32_e32 v21, v3, v18
	v_add_f32_e32 v20, v2, v4
	v_mul_f32_e32 v2, v25, v27
	v_mul_f32_e32 v3, v24, v27
	v_fmac_f32_e32 v19, v5, v26
	v_fma_f32 v2, v24, v26, -v2
	v_fmac_f32_e32 v3, v25, v26
	v_add_f32_e32 v23, v31, v19
	v_add_f32_e32 v19, v16, v2
	;; [unrolled: 1-line block ×3, first 2 shown]
	v_mul_f32_e32 v2, v25, v29
	v_mul_f32_e32 v3, v24, v29
	v_fma_f32 v2, v24, v28, -v2
	v_fmac_f32_e32 v3, v25, v28
	v_add_f32_e32 v17, v32, v2
	v_add_f32_e32 v16, v33, v3
	v_mov_b32_e32 v2, s6
	v_mov_b32_e32 v3, s7
	v_cmp_le_u64_e32 vcc, s[12:13], v[2:3]
	s_barrier
	s_cbranch_vccz .LBB1088_2
	s_branch .LBB1088_4
.LBB1088_3:
	v_mov_b32_e32 v22, 0
	v_mov_b32_e32 v23, 0
	;; [unrolled: 1-line block ×8, first 2 shown]
.LBB1088_4:
	s_load_dwordx4 s[12:15], s[4:5], 0x48
	s_load_dword s11, s[4:5], 0x0
	v_add_u32_e32 v4, s10, v1
	v_ashrrev_i32_e32 v1, 31, v4
	v_add_u32_e32 v0, s9, v0
	s_waitcnt lgkmcnt(0)
	s_mul_i32 s1, s15, s8
	s_mul_hi_u32 s2, s14, s8
	s_add_i32 s1, s2, s1
	v_mul_lo_u32 v3, s12, v1
	v_mul_lo_u32 v5, s13, v4
	v_mad_u64_u32 v[1:2], s[2:3], s12, v4, 0
	s_mul_i32 s0, s14, s8
	s_lshl_b64 s[0:1], s[0:1], 3
	v_add3_u32 v2, v2, v3, v5
	s_add_u32 s6, s26, s0
	v_lshlrev_b64 v[1:2], 3, v[1:2]
	s_addc_u32 s7, s27, s1
	v_mov_b32_e32 v3, s7
	v_add_co_u32_e32 v5, vcc, s6, v1
	v_addc_co_u32_e32 v6, vcc, v3, v2, vcc
	v_cmp_le_i32_e64 s[0:1], v4, v0
	v_cmp_gt_i32_e32 vcc, s11, v0
	s_and_b64 s[0:1], s[0:1], vcc
	s_and_saveexec_b64 s[2:3], s[0:1]
	s_cbranch_execz .LBB1088_6
; %bb.5:
	v_ashrrev_i32_e32 v1, 31, v0
	v_lshlrev_b64 v[1:2], 3, v[0:1]
	v_add_co_u32_e64 v1, s[0:1], v5, v1
	v_addc_co_u32_e64 v2, s[0:1], v6, v2, s[0:1]
	global_load_dwordx2 v[7:8], v[1:2], off
	s_waitcnt vmcnt(0)
	v_sub_f32_e32 v7, v22, v7
	v_sub_f32_e32 v8, v23, v8
	global_store_dwordx2 v[1:2], v[7:8], off
.LBB1088_6:
	s_or_b64 exec, exec, s[2:3]
	v_add_u32_e32 v2, 16, v0
	v_cmp_le_i32_e64 s[2:3], v4, v2
	v_cmp_gt_i32_e64 s[0:1], s11, v2
	s_and_b64 s[2:3], s[2:3], s[0:1]
	s_and_saveexec_b64 s[4:5], s[2:3]
	s_cbranch_execz .LBB1088_8
; %bb.7:
	v_ashrrev_i32_e32 v3, 31, v2
	v_lshlrev_b64 v[7:8], 3, v[2:3]
	v_add_co_u32_e64 v5, s[2:3], v5, v7
	v_addc_co_u32_e64 v6, s[2:3], v6, v8, s[2:3]
	global_load_dwordx2 v[7:8], v[5:6], off
	s_waitcnt vmcnt(0)
	v_sub_f32_e32 v7, v21, v7
	v_sub_f32_e32 v8, v20, v8
	global_store_dwordx2 v[5:6], v[7:8], off
.LBB1088_8:
	s_or_b64 exec, exec, s[4:5]
	v_add_u32_e32 v3, 16, v4
	v_ashrrev_i32_e32 v1, 31, v3
	v_mul_lo_u32 v6, s13, v3
	v_mad_u64_u32 v[4:5], s[2:3], s12, v3, 0
	v_mul_lo_u32 v1, s12, v1
	v_add3_u32 v5, v5, v1, v6
	v_lshlrev_b64 v[4:5], 3, v[4:5]
	v_mov_b32_e32 v1, s7
	v_add_co_u32_e64 v4, s[2:3], s6, v4
	v_addc_co_u32_e64 v5, s[2:3], v1, v5, s[2:3]
	v_cmp_le_i32_e64 s[2:3], v3, v0
	s_and_b64 s[4:5], s[2:3], vcc
	s_and_saveexec_b64 s[2:3], s[4:5]
	s_cbranch_execz .LBB1088_10
; %bb.9:
	v_ashrrev_i32_e32 v1, 31, v0
	v_lshlrev_b64 v[0:1], 3, v[0:1]
	v_add_co_u32_e32 v0, vcc, v4, v0
	v_addc_co_u32_e32 v1, vcc, v5, v1, vcc
	global_load_dwordx2 v[6:7], v[0:1], off
	s_waitcnt vmcnt(0)
	v_sub_f32_e32 v6, v19, v6
	v_sub_f32_e32 v7, v18, v7
	global_store_dwordx2 v[0:1], v[6:7], off
.LBB1088_10:
	s_or_b64 exec, exec, s[2:3]
	v_cmp_le_i32_e32 vcc, v3, v2
	s_and_b64 s[0:1], vcc, s[0:1]
	s_and_saveexec_b64 s[2:3], s[0:1]
	s_cbranch_execz .LBB1088_12
; %bb.11:
	v_ashrrev_i32_e32 v3, 31, v2
	v_lshlrev_b64 v[0:1], 3, v[2:3]
	v_add_co_u32_e32 v0, vcc, v4, v0
	v_addc_co_u32_e32 v1, vcc, v5, v1, vcc
	global_load_dwordx2 v[2:3], v[0:1], off
	s_waitcnt vmcnt(0)
	v_sub_f32_e32 v2, v17, v2
	v_sub_f32_e32 v3, v16, v3
	global_store_dwordx2 v[0:1], v[2:3], off
.LBB1088_12:
	s_endpgm
	.section	.rodata,"a",@progbits
	.p2align	6, 0x0
	.amdhsa_kernel _ZL37rocblas_syrkx_herkx_restricted_kernelIl19rocblas_complex_numIfELi16ELi32ELi8ELi1ELin1ELb0ELc78ELc76EKS1_S1_EviT_PT9_S3_lS5_S3_lPT10_S3_li
		.amdhsa_group_segment_fixed_size 4096
		.amdhsa_private_segment_fixed_size 0
		.amdhsa_kernarg_size 92
		.amdhsa_user_sgpr_count 6
		.amdhsa_user_sgpr_private_segment_buffer 1
		.amdhsa_user_sgpr_dispatch_ptr 0
		.amdhsa_user_sgpr_queue_ptr 0
		.amdhsa_user_sgpr_kernarg_segment_ptr 1
		.amdhsa_user_sgpr_dispatch_id 0
		.amdhsa_user_sgpr_flat_scratch_init 0
		.amdhsa_user_sgpr_private_segment_size 0
		.amdhsa_uses_dynamic_stack 0
		.amdhsa_system_sgpr_private_segment_wavefront_offset 0
		.amdhsa_system_sgpr_workgroup_id_x 1
		.amdhsa_system_sgpr_workgroup_id_y 1
		.amdhsa_system_sgpr_workgroup_id_z 1
		.amdhsa_system_sgpr_workgroup_info 0
		.amdhsa_system_vgpr_workitem_id 1
		.amdhsa_next_free_vgpr 43
		.amdhsa_next_free_sgpr 28
		.amdhsa_reserve_vcc 1
		.amdhsa_reserve_flat_scratch 0
		.amdhsa_float_round_mode_32 0
		.amdhsa_float_round_mode_16_64 0
		.amdhsa_float_denorm_mode_32 3
		.amdhsa_float_denorm_mode_16_64 3
		.amdhsa_dx10_clamp 1
		.amdhsa_ieee_mode 1
		.amdhsa_fp16_overflow 0
		.amdhsa_exception_fp_ieee_invalid_op 0
		.amdhsa_exception_fp_denorm_src 0
		.amdhsa_exception_fp_ieee_div_zero 0
		.amdhsa_exception_fp_ieee_overflow 0
		.amdhsa_exception_fp_ieee_underflow 0
		.amdhsa_exception_fp_ieee_inexact 0
		.amdhsa_exception_int_div_zero 0
	.end_amdhsa_kernel
	.section	.text._ZL37rocblas_syrkx_herkx_restricted_kernelIl19rocblas_complex_numIfELi16ELi32ELi8ELi1ELin1ELb0ELc78ELc76EKS1_S1_EviT_PT9_S3_lS5_S3_lPT10_S3_li,"axG",@progbits,_ZL37rocblas_syrkx_herkx_restricted_kernelIl19rocblas_complex_numIfELi16ELi32ELi8ELi1ELin1ELb0ELc78ELc76EKS1_S1_EviT_PT9_S3_lS5_S3_lPT10_S3_li,comdat
.Lfunc_end1088:
	.size	_ZL37rocblas_syrkx_herkx_restricted_kernelIl19rocblas_complex_numIfELi16ELi32ELi8ELi1ELin1ELb0ELc78ELc76EKS1_S1_EviT_PT9_S3_lS5_S3_lPT10_S3_li, .Lfunc_end1088-_ZL37rocblas_syrkx_herkx_restricted_kernelIl19rocblas_complex_numIfELi16ELi32ELi8ELi1ELin1ELb0ELc78ELc76EKS1_S1_EviT_PT9_S3_lS5_S3_lPT10_S3_li
                                        ; -- End function
	.set _ZL37rocblas_syrkx_herkx_restricted_kernelIl19rocblas_complex_numIfELi16ELi32ELi8ELi1ELin1ELb0ELc78ELc76EKS1_S1_EviT_PT9_S3_lS5_S3_lPT10_S3_li.num_vgpr, 43
	.set _ZL37rocblas_syrkx_herkx_restricted_kernelIl19rocblas_complex_numIfELi16ELi32ELi8ELi1ELin1ELb0ELc78ELc76EKS1_S1_EviT_PT9_S3_lS5_S3_lPT10_S3_li.num_agpr, 0
	.set _ZL37rocblas_syrkx_herkx_restricted_kernelIl19rocblas_complex_numIfELi16ELi32ELi8ELi1ELin1ELb0ELc78ELc76EKS1_S1_EviT_PT9_S3_lS5_S3_lPT10_S3_li.numbered_sgpr, 28
	.set _ZL37rocblas_syrkx_herkx_restricted_kernelIl19rocblas_complex_numIfELi16ELi32ELi8ELi1ELin1ELb0ELc78ELc76EKS1_S1_EviT_PT9_S3_lS5_S3_lPT10_S3_li.num_named_barrier, 0
	.set _ZL37rocblas_syrkx_herkx_restricted_kernelIl19rocblas_complex_numIfELi16ELi32ELi8ELi1ELin1ELb0ELc78ELc76EKS1_S1_EviT_PT9_S3_lS5_S3_lPT10_S3_li.private_seg_size, 0
	.set _ZL37rocblas_syrkx_herkx_restricted_kernelIl19rocblas_complex_numIfELi16ELi32ELi8ELi1ELin1ELb0ELc78ELc76EKS1_S1_EviT_PT9_S3_lS5_S3_lPT10_S3_li.uses_vcc, 1
	.set _ZL37rocblas_syrkx_herkx_restricted_kernelIl19rocblas_complex_numIfELi16ELi32ELi8ELi1ELin1ELb0ELc78ELc76EKS1_S1_EviT_PT9_S3_lS5_S3_lPT10_S3_li.uses_flat_scratch, 0
	.set _ZL37rocblas_syrkx_herkx_restricted_kernelIl19rocblas_complex_numIfELi16ELi32ELi8ELi1ELin1ELb0ELc78ELc76EKS1_S1_EviT_PT9_S3_lS5_S3_lPT10_S3_li.has_dyn_sized_stack, 0
	.set _ZL37rocblas_syrkx_herkx_restricted_kernelIl19rocblas_complex_numIfELi16ELi32ELi8ELi1ELin1ELb0ELc78ELc76EKS1_S1_EviT_PT9_S3_lS5_S3_lPT10_S3_li.has_recursion, 0
	.set _ZL37rocblas_syrkx_herkx_restricted_kernelIl19rocblas_complex_numIfELi16ELi32ELi8ELi1ELin1ELb0ELc78ELc76EKS1_S1_EviT_PT9_S3_lS5_S3_lPT10_S3_li.has_indirect_call, 0
	.section	.AMDGPU.csdata,"",@progbits
; Kernel info:
; codeLenInByte = 2020
; TotalNumSgprs: 32
; NumVgprs: 43
; ScratchSize: 0
; MemoryBound: 0
; FloatMode: 240
; IeeeMode: 1
; LDSByteSize: 4096 bytes/workgroup (compile time only)
; SGPRBlocks: 3
; VGPRBlocks: 10
; NumSGPRsForWavesPerEU: 32
; NumVGPRsForWavesPerEU: 43
; Occupancy: 5
; WaveLimiterHint : 1
; COMPUTE_PGM_RSRC2:SCRATCH_EN: 0
; COMPUTE_PGM_RSRC2:USER_SGPR: 6
; COMPUTE_PGM_RSRC2:TRAP_HANDLER: 0
; COMPUTE_PGM_RSRC2:TGID_X_EN: 1
; COMPUTE_PGM_RSRC2:TGID_Y_EN: 1
; COMPUTE_PGM_RSRC2:TGID_Z_EN: 1
; COMPUTE_PGM_RSRC2:TIDIG_COMP_CNT: 1
	.section	.text._ZL37rocblas_syrkx_herkx_restricted_kernelIl19rocblas_complex_numIfELi16ELi32ELi8ELi1ELin1ELb0ELc84ELc85EKS1_S1_EviT_PT9_S3_lS5_S3_lPT10_S3_li,"axG",@progbits,_ZL37rocblas_syrkx_herkx_restricted_kernelIl19rocblas_complex_numIfELi16ELi32ELi8ELi1ELin1ELb0ELc84ELc85EKS1_S1_EviT_PT9_S3_lS5_S3_lPT10_S3_li,comdat
	.globl	_ZL37rocblas_syrkx_herkx_restricted_kernelIl19rocblas_complex_numIfELi16ELi32ELi8ELi1ELin1ELb0ELc84ELc85EKS1_S1_EviT_PT9_S3_lS5_S3_lPT10_S3_li ; -- Begin function _ZL37rocblas_syrkx_herkx_restricted_kernelIl19rocblas_complex_numIfELi16ELi32ELi8ELi1ELin1ELb0ELc84ELc85EKS1_S1_EviT_PT9_S3_lS5_S3_lPT10_S3_li
	.p2align	8
	.type	_ZL37rocblas_syrkx_herkx_restricted_kernelIl19rocblas_complex_numIfELi16ELi32ELi8ELi1ELin1ELb0ELc84ELc85EKS1_S1_EviT_PT9_S3_lS5_S3_lPT10_S3_li,@function
_ZL37rocblas_syrkx_herkx_restricted_kernelIl19rocblas_complex_numIfELi16ELi32ELi8ELi1ELin1ELb0ELc84ELc85EKS1_S1_EviT_PT9_S3_lS5_S3_lPT10_S3_li: ; @_ZL37rocblas_syrkx_herkx_restricted_kernelIl19rocblas_complex_numIfELi16ELi32ELi8ELi1ELin1ELb0ELc84ELc85EKS1_S1_EviT_PT9_S3_lS5_S3_lPT10_S3_li
; %bb.0:
	s_load_dwordx16 s[12:27], s[4:5], 0x8
	s_lshl_b32 s2, s6, 5
	s_lshl_b32 s3, s7, 5
	s_waitcnt lgkmcnt(0)
	v_cmp_lt_i64_e64 s[0:1], s[12:13], 1
	s_and_b64 vcc, exec, s[0:1]
	s_cbranch_vccnz .LBB1089_3
; %bb.1:
	v_lshl_add_u32 v4, v1, 4, v0
	v_lshrrev_b32_e32 v6, 3, v4
	v_add_u32_e32 v2, s3, v6
	v_ashrrev_i32_e32 v3, 31, v2
	v_and_b32_e32 v9, 7, v0
	v_mov_b32_e32 v10, 0
	v_mul_lo_u32 v5, s22, v3
	v_mul_lo_u32 v7, s23, v2
	v_mad_u64_u32 v[2:3], s[0:1], s22, v2, v[9:10]
	s_mul_i32 s6, s19, s8
	s_mul_hi_u32 s7, s18, s8
	v_add3_u32 v3, v7, v3, v5
	v_and_b32_e32 v7, 31, v4
	v_lshrrev_b32_e32 v4, 5, v4
	v_lshlrev_b32_e32 v8, 3, v7
	v_lshl_or_b32 v11, v4, 8, v8
	v_lshlrev_b32_e32 v8, 3, v9
	v_lshl_or_b32 v6, v6, 6, v8
	v_add_u32_e32 v12, 0x800, v6
	v_mov_b32_e32 v6, 0x800
	v_lshl_add_u32 v14, v1, 6, v6
	v_add_u32_e32 v6, s2, v7
	v_mov_b32_e32 v5, v10
	v_ashrrev_i32_e32 v7, 31, v6
	v_mul_lo_u32 v7, s16, v7
	v_mad_u64_u32 v[4:5], s[0:1], s16, v6, v[4:5]
	v_mul_lo_u32 v6, s17, v6
	s_add_i32 s1, s7, s6
	s_mul_i32 s0, s18, s8
	s_lshl_b64 s[0:1], s[0:1], 3
	v_add3_u32 v5, v6, v5, v7
	v_lshlrev_b64 v[4:5], 3, v[4:5]
	s_add_u32 s0, s14, s0
	s_addc_u32 s1, s15, s1
	v_mov_b32_e32 v6, s1
	v_add_co_u32_e32 v4, vcc, s0, v4
	s_mul_i32 s0, s25, s8
	s_mul_hi_u32 s1, s24, s8
	s_add_i32 s1, s1, s0
	s_mul_i32 s0, s24, s8
	v_addc_co_u32_e32 v5, vcc, v6, v5, vcc
	s_lshl_b64 s[0:1], s[0:1], 3
	v_add_co_u32_e32 v6, vcc, 4, v4
	v_lshlrev_b64 v[2:3], 3, v[2:3]
	s_add_u32 s0, s20, s0
	v_addc_co_u32_e32 v7, vcc, 0, v5, vcc
	s_addc_u32 s1, s21, s1
	v_mov_b32_e32 v4, s1
	v_add_co_u32_e32 v2, vcc, s0, v2
	v_addc_co_u32_e32 v3, vcc, v4, v3, vcc
	v_add_co_u32_e32 v8, vcc, 4, v2
	v_lshlrev_b32_e32 v13, 3, v0
	v_addc_co_u32_e32 v9, vcc, 0, v3, vcc
	s_mov_b64 s[0:1], 0
	v_mov_b32_e32 v15, v10
	v_mov_b32_e32 v16, v10
	;; [unrolled: 1-line block ×7, first 2 shown]
.LBB1089_2:                             ; =>This Inner Loop Header: Depth=1
	global_load_dwordx2 v[2:3], v[6:7], off offset:-4
	s_add_u32 s0, s0, 8
	v_add_co_u32_e32 v6, vcc, 64, v6
	s_addc_u32 s1, s1, 0
	v_addc_co_u32_e32 v7, vcc, 0, v7, vcc
	s_waitcnt vmcnt(0)
	ds_write_b64 v11, v[2:3]
	global_load_dwordx2 v[2:3], v[8:9], off offset:-4
	v_add_co_u32_e32 v8, vcc, 64, v8
	v_addc_co_u32_e32 v9, vcc, 0, v9, vcc
	s_waitcnt vmcnt(0)
	ds_write_b64 v12, v[2:3]
	s_waitcnt lgkmcnt(0)
	s_barrier
	ds_read_b128 v[22:25], v14
	ds_read_b128 v[26:29], v14 offset:16
	ds_read_b128 v[30:33], v14 offset:32
	ds_read_b128 v[2:5], v14 offset:48
	ds_read2_b64 v[34:37], v13 offset1:16
	s_waitcnt lgkmcnt(0)
	v_mul_f32_e32 v38, v23, v35
	v_mul_f32_e32 v39, v22, v35
	v_fma_f32 v38, v22, v34, -v38
	v_fmac_f32_e32 v39, v23, v34
	v_add_f32_e32 v38, v20, v38
	v_add_f32_e32 v39, v21, v39
	v_mul_f32_e32 v20, v23, v37
	v_mul_f32_e32 v21, v22, v37
	v_fma_f32 v20, v22, v36, -v20
	v_fmac_f32_e32 v21, v23, v36
	v_add_f32_e32 v22, v19, v20
	v_add_f32_e32 v23, v18, v21
	ds_read_b128 v[18:21], v14 offset:1024
	s_waitcnt lgkmcnt(0)
	v_mul_f32_e32 v40, v19, v35
	v_mul_f32_e32 v35, v18, v35
	v_fma_f32 v40, v18, v34, -v40
	v_fmac_f32_e32 v35, v19, v34
	v_add_f32_e32 v34, v17, v40
	v_add_f32_e32 v35, v16, v35
	v_mul_f32_e32 v16, v19, v37
	v_mul_f32_e32 v17, v18, v37
	v_fma_f32 v16, v18, v36, -v16
	v_fmac_f32_e32 v17, v19, v36
	v_add_f32_e32 v19, v15, v16
	v_add_f32_e32 v10, v10, v17
	ds_read2_b64 v[15:18], v13 offset0:32 offset1:48
	s_waitcnt lgkmcnt(0)
	v_mul_f32_e32 v36, v25, v16
	v_fma_f32 v36, v24, v15, -v36
	v_add_f32_e32 v36, v38, v36
	v_mul_f32_e32 v38, v25, v18
	v_mul_f32_e32 v37, v24, v16
	v_fma_f32 v38, v24, v17, -v38
	v_mul_f32_e32 v24, v24, v18
	v_fmac_f32_e32 v24, v25, v17
	v_add_f32_e32 v23, v23, v24
	v_mul_f32_e32 v24, v21, v16
	v_mul_f32_e32 v16, v20, v16
	v_fmac_f32_e32 v16, v21, v15
	v_fmac_f32_e32 v37, v25, v15
	v_fma_f32 v24, v20, v15, -v24
	v_add_f32_e32 v25, v35, v16
	v_mul_f32_e32 v15, v21, v18
	v_mul_f32_e32 v16, v20, v18
	v_fma_f32 v15, v20, v17, -v15
	v_fmac_f32_e32 v16, v21, v17
	v_add_f32_e32 v24, v34, v24
	v_add_f32_e32 v34, v19, v15
	;; [unrolled: 1-line block ×3, first 2 shown]
	ds_read2_b64 v[15:18], v13 offset0:64 offset1:80
	v_add_f32_e32 v37, v39, v37
	v_add_f32_e32 v22, v22, v38
	s_waitcnt lgkmcnt(0)
	v_mul_f32_e32 v19, v27, v16
	v_mul_f32_e32 v20, v26, v16
	v_fma_f32 v19, v26, v15, -v19
	v_fmac_f32_e32 v20, v27, v15
	v_add_f32_e32 v35, v36, v19
	v_add_f32_e32 v36, v37, v20
	v_mul_f32_e32 v19, v27, v18
	v_mul_f32_e32 v20, v26, v18
	v_fma_f32 v19, v26, v17, -v19
	v_fmac_f32_e32 v20, v27, v17
	v_add_f32_e32 v26, v22, v19
	v_add_f32_e32 v23, v23, v20
	ds_read_b128 v[19:22], v14 offset:1040
	s_waitcnt lgkmcnt(0)
	v_mul_f32_e32 v27, v20, v16
	v_mul_f32_e32 v16, v19, v16
	v_fmac_f32_e32 v16, v20, v15
	v_fma_f32 v27, v19, v15, -v27
	v_add_f32_e32 v25, v25, v16
	v_mul_f32_e32 v15, v20, v18
	v_mul_f32_e32 v16, v19, v18
	v_fma_f32 v15, v19, v17, -v15
	v_fmac_f32_e32 v16, v20, v17
	v_add_f32_e32 v19, v34, v15
	v_add_f32_e32 v10, v10, v16
	ds_read2_b64 v[15:18], v13 offset0:96 offset1:112
	v_add_f32_e32 v24, v24, v27
	s_waitcnt lgkmcnt(0)
	v_mul_f32_e32 v20, v29, v16
	v_mul_f32_e32 v34, v29, v18
	v_fma_f32 v20, v28, v15, -v20
	v_mul_f32_e32 v27, v28, v16
	v_fma_f32 v34, v28, v17, -v34
	v_mul_f32_e32 v28, v28, v18
	v_fmac_f32_e32 v28, v29, v17
	v_add_f32_e32 v23, v23, v28
	v_mul_f32_e32 v28, v22, v16
	v_mul_f32_e32 v16, v21, v16
	v_fmac_f32_e32 v16, v22, v15
	v_fmac_f32_e32 v27, v29, v15
	v_fma_f32 v28, v21, v15, -v28
	v_add_f32_e32 v25, v25, v16
	v_mul_f32_e32 v15, v22, v18
	v_mul_f32_e32 v16, v21, v18
	v_fma_f32 v15, v21, v17, -v15
	v_fmac_f32_e32 v16, v22, v17
	v_add_f32_e32 v24, v24, v28
	v_add_f32_e32 v28, v19, v15
	;; [unrolled: 1-line block ×3, first 2 shown]
	ds_read2_b64 v[15:18], v13 offset0:128 offset1:144
	v_add_f32_e32 v20, v35, v20
	v_add_f32_e32 v27, v36, v27
	;; [unrolled: 1-line block ×3, first 2 shown]
	s_waitcnt lgkmcnt(0)
	v_mul_f32_e32 v19, v31, v16
	v_fma_f32 v19, v30, v15, -v19
	v_mul_f32_e32 v21, v30, v16
	v_add_f32_e32 v29, v20, v19
	v_mul_f32_e32 v19, v31, v18
	v_mul_f32_e32 v20, v30, v18
	v_fmac_f32_e32 v21, v31, v15
	v_fma_f32 v19, v30, v17, -v19
	v_fmac_f32_e32 v20, v31, v17
	v_add_f32_e32 v27, v27, v21
	v_add_f32_e32 v26, v26, v19
	;; [unrolled: 1-line block ×3, first 2 shown]
	ds_read_b128 v[19:22], v14 offset:1056
	s_waitcnt lgkmcnt(0)
	v_mul_f32_e32 v30, v20, v16
	v_mul_f32_e32 v16, v19, v16
	v_fmac_f32_e32 v16, v20, v15
	v_fma_f32 v30, v19, v15, -v30
	v_add_f32_e32 v25, v25, v16
	v_mul_f32_e32 v15, v20, v18
	v_mul_f32_e32 v16, v19, v18
	v_fma_f32 v15, v19, v17, -v15
	v_fmac_f32_e32 v16, v20, v17
	v_add_f32_e32 v19, v28, v15
	v_add_f32_e32 v10, v10, v16
	ds_read2_b64 v[15:18], v13 offset0:160 offset1:176
	v_add_f32_e32 v24, v24, v30
	s_waitcnt lgkmcnt(0)
	v_mul_f32_e32 v28, v32, v16
	v_fmac_f32_e32 v28, v33, v15
	v_add_f32_e32 v27, v27, v28
	v_mul_f32_e32 v28, v33, v18
	v_fma_f32 v28, v32, v17, -v28
	v_mul_f32_e32 v20, v33, v16
	v_add_f32_e32 v26, v26, v28
	v_mul_f32_e32 v28, v22, v16
	v_mul_f32_e32 v16, v21, v16
	v_fmac_f32_e32 v16, v22, v15
	v_fma_f32 v20, v32, v15, -v20
	v_fma_f32 v28, v21, v15, -v28
	v_add_f32_e32 v25, v25, v16
	v_mul_f32_e32 v15, v22, v18
	v_mul_f32_e32 v16, v21, v18
	v_add_f32_e32 v20, v29, v20
	v_mul_f32_e32 v29, v32, v18
	v_fma_f32 v15, v21, v17, -v15
	v_fmac_f32_e32 v16, v22, v17
	v_fmac_f32_e32 v29, v33, v17
	v_add_f32_e32 v19, v19, v15
	v_add_f32_e32 v10, v10, v16
	ds_read2_b64 v[15:18], v13 offset0:192 offset1:208
	v_add_f32_e32 v24, v24, v28
	v_add_f32_e32 v23, v23, v29
	s_waitcnt lgkmcnt(0)
	v_mul_f32_e32 v21, v3, v16
	v_fma_f32 v21, v2, v15, -v21
	v_add_f32_e32 v28, v20, v21
	v_mul_f32_e32 v20, v3, v18
	v_mul_f32_e32 v22, v2, v16
	v_fma_f32 v20, v2, v17, -v20
	v_mul_f32_e32 v2, v2, v18
	v_fmac_f32_e32 v22, v3, v15
	v_fmac_f32_e32 v2, v3, v17
	v_add_f32_e32 v29, v27, v22
	v_add_f32_e32 v3, v26, v20
	;; [unrolled: 1-line block ×3, first 2 shown]
	ds_read_b128 v[20:23], v14 offset:1072
	s_waitcnt lgkmcnt(0)
	v_mul_f32_e32 v26, v21, v16
	v_fma_f32 v26, v20, v15, -v26
	v_mul_f32_e32 v16, v20, v16
	v_fmac_f32_e32 v16, v21, v15
	v_add_f32_e32 v15, v24, v26
	v_mul_f32_e32 v24, v21, v18
	v_fma_f32 v24, v20, v17, -v24
	v_add_f32_e32 v16, v25, v16
	v_add_f32_e32 v30, v19, v24
	ds_read2_b64 v[24:27], v13 offset0:224 offset1:240
	v_mul_f32_e32 v18, v20, v18
	v_fmac_f32_e32 v18, v21, v17
	v_add_f32_e32 v10, v10, v18
	s_waitcnt lgkmcnt(0)
	v_mul_f32_e32 v17, v5, v25
	v_fma_f32 v17, v4, v24, -v17
	v_add_f32_e32 v20, v28, v17
	v_mul_f32_e32 v17, v5, v27
	v_mul_f32_e32 v18, v4, v25
	v_fma_f32 v17, v4, v26, -v17
	v_mul_f32_e32 v4, v4, v27
	v_fmac_f32_e32 v18, v5, v24
	v_fmac_f32_e32 v4, v5, v26
	v_add_f32_e32 v21, v29, v18
	v_add_f32_e32 v19, v3, v17
	;; [unrolled: 1-line block ×3, first 2 shown]
	v_mul_f32_e32 v2, v23, v25
	v_mul_f32_e32 v3, v22, v25
	v_fma_f32 v2, v22, v24, -v2
	v_fmac_f32_e32 v3, v23, v24
	v_add_f32_e32 v17, v15, v2
	v_add_f32_e32 v16, v16, v3
	v_mul_f32_e32 v2, v23, v27
	v_mul_f32_e32 v3, v22, v27
	v_fma_f32 v2, v22, v26, -v2
	v_fmac_f32_e32 v3, v23, v26
	v_add_f32_e32 v15, v30, v2
	v_add_f32_e32 v10, v10, v3
	v_mov_b32_e32 v3, s1
	v_mov_b32_e32 v2, s0
	v_cmp_le_u64_e32 vcc, s[12:13], v[2:3]
	s_barrier
	s_cbranch_vccz .LBB1089_2
	s_branch .LBB1089_4
.LBB1089_3:
	v_mov_b32_e32 v20, 0
	v_mov_b32_e32 v21, 0
	;; [unrolled: 1-line block ×8, first 2 shown]
.LBB1089_4:
	s_load_dwordx4 s[12:15], s[4:5], 0x48
	s_load_dword s6, s[4:5], 0x0
	v_add_u32_e32 v4, s3, v1
	v_ashrrev_i32_e32 v1, 31, v4
	v_add_u32_e32 v0, s2, v0
	s_waitcnt lgkmcnt(0)
	s_mul_i32 s1, s15, s8
	s_mul_hi_u32 s3, s14, s8
	s_mul_i32 s0, s14, s8
	v_mul_lo_u32 v3, s12, v1
	v_mul_lo_u32 v5, s13, v4
	v_mad_u64_u32 v[1:2], s[8:9], s12, v4, 0
	s_add_i32 s1, s3, s1
	s_lshl_b64 s[0:1], s[0:1], 3
	v_add3_u32 v2, v2, v3, v5
	s_add_u32 s4, s26, s0
	v_lshlrev_b64 v[1:2], 3, v[1:2]
	s_addc_u32 s5, s27, s1
	v_mov_b32_e32 v3, s5
	v_add_co_u32_e64 v5, s[0:1], s4, v1
	v_addc_co_u32_e64 v6, s[0:1], v3, v2, s[0:1]
	v_cmp_gt_i32_e32 vcc, s6, v4
	v_cmp_le_i32_e64 s[0:1], v0, v4
	s_and_b64 s[0:1], vcc, s[0:1]
	s_and_saveexec_b64 s[2:3], s[0:1]
	s_cbranch_execz .LBB1089_6
; %bb.5:
	v_ashrrev_i32_e32 v1, 31, v0
	v_lshlrev_b64 v[1:2], 3, v[0:1]
	v_add_co_u32_e64 v1, s[0:1], v5, v1
	v_addc_co_u32_e64 v2, s[0:1], v6, v2, s[0:1]
	global_load_dwordx2 v[7:8], v[1:2], off
	s_waitcnt vmcnt(0)
	v_sub_f32_e32 v7, v20, v7
	v_sub_f32_e32 v8, v21, v8
	global_store_dwordx2 v[1:2], v[7:8], off
.LBB1089_6:
	s_or_b64 exec, exec, s[2:3]
	v_add_u32_e32 v2, 16, v0
	v_cmp_le_i32_e64 s[0:1], v2, v4
	s_and_b64 s[2:3], vcc, s[0:1]
	s_and_saveexec_b64 s[0:1], s[2:3]
	s_cbranch_execz .LBB1089_8
; %bb.7:
	v_ashrrev_i32_e32 v3, 31, v2
	v_lshlrev_b64 v[7:8], 3, v[2:3]
	v_add_co_u32_e32 v5, vcc, v5, v7
	v_addc_co_u32_e32 v6, vcc, v6, v8, vcc
	global_load_dwordx2 v[7:8], v[5:6], off
	s_waitcnt vmcnt(0)
	v_sub_f32_e32 v7, v19, v7
	v_sub_f32_e32 v8, v18, v8
	global_store_dwordx2 v[5:6], v[7:8], off
.LBB1089_8:
	s_or_b64 exec, exec, s[0:1]
	v_add_u32_e32 v3, 16, v4
	v_ashrrev_i32_e32 v1, 31, v3
	v_mul_lo_u32 v1, s12, v1
	v_mul_lo_u32 v6, s13, v3
	v_mad_u64_u32 v[4:5], s[0:1], s12, v3, 0
	v_cmp_gt_i32_e32 vcc, s6, v3
	v_add3_u32 v5, v5, v1, v6
	v_lshlrev_b64 v[4:5], 3, v[4:5]
	v_mov_b32_e32 v1, s5
	v_add_co_u32_e64 v4, s[0:1], s4, v4
	v_addc_co_u32_e64 v5, s[0:1], v1, v5, s[0:1]
	v_cmp_le_i32_e64 s[0:1], v0, v3
	s_and_b64 s[0:1], vcc, s[0:1]
	s_and_saveexec_b64 s[2:3], s[0:1]
	s_cbranch_execz .LBB1089_10
; %bb.9:
	v_ashrrev_i32_e32 v1, 31, v0
	v_lshlrev_b64 v[0:1], 3, v[0:1]
	v_add_co_u32_e64 v0, s[0:1], v4, v0
	v_addc_co_u32_e64 v1, s[0:1], v5, v1, s[0:1]
	global_load_dwordx2 v[6:7], v[0:1], off
	s_waitcnt vmcnt(0)
	v_sub_f32_e32 v6, v17, v6
	v_sub_f32_e32 v7, v16, v7
	global_store_dwordx2 v[0:1], v[6:7], off
.LBB1089_10:
	s_or_b64 exec, exec, s[2:3]
	v_cmp_le_i32_e64 s[0:1], v2, v3
	s_and_b64 s[0:1], vcc, s[0:1]
	s_and_saveexec_b64 s[2:3], s[0:1]
	s_cbranch_execz .LBB1089_12
; %bb.11:
	v_ashrrev_i32_e32 v3, 31, v2
	v_lshlrev_b64 v[0:1], 3, v[2:3]
	v_add_co_u32_e32 v0, vcc, v4, v0
	v_addc_co_u32_e32 v1, vcc, v5, v1, vcc
	global_load_dwordx2 v[2:3], v[0:1], off
	s_waitcnt vmcnt(0)
	v_sub_f32_e32 v2, v15, v2
	v_sub_f32_e32 v3, v10, v3
	global_store_dwordx2 v[0:1], v[2:3], off
.LBB1089_12:
	s_endpgm
	.section	.rodata,"a",@progbits
	.p2align	6, 0x0
	.amdhsa_kernel _ZL37rocblas_syrkx_herkx_restricted_kernelIl19rocblas_complex_numIfELi16ELi32ELi8ELi1ELin1ELb0ELc84ELc85EKS1_S1_EviT_PT9_S3_lS5_S3_lPT10_S3_li
		.amdhsa_group_segment_fixed_size 4096
		.amdhsa_private_segment_fixed_size 0
		.amdhsa_kernarg_size 92
		.amdhsa_user_sgpr_count 6
		.amdhsa_user_sgpr_private_segment_buffer 1
		.amdhsa_user_sgpr_dispatch_ptr 0
		.amdhsa_user_sgpr_queue_ptr 0
		.amdhsa_user_sgpr_kernarg_segment_ptr 1
		.amdhsa_user_sgpr_dispatch_id 0
		.amdhsa_user_sgpr_flat_scratch_init 0
		.amdhsa_user_sgpr_private_segment_size 0
		.amdhsa_uses_dynamic_stack 0
		.amdhsa_system_sgpr_private_segment_wavefront_offset 0
		.amdhsa_system_sgpr_workgroup_id_x 1
		.amdhsa_system_sgpr_workgroup_id_y 1
		.amdhsa_system_sgpr_workgroup_id_z 1
		.amdhsa_system_sgpr_workgroup_info 0
		.amdhsa_system_vgpr_workitem_id 1
		.amdhsa_next_free_vgpr 41
		.amdhsa_next_free_sgpr 28
		.amdhsa_reserve_vcc 1
		.amdhsa_reserve_flat_scratch 0
		.amdhsa_float_round_mode_32 0
		.amdhsa_float_round_mode_16_64 0
		.amdhsa_float_denorm_mode_32 3
		.amdhsa_float_denorm_mode_16_64 3
		.amdhsa_dx10_clamp 1
		.amdhsa_ieee_mode 1
		.amdhsa_fp16_overflow 0
		.amdhsa_exception_fp_ieee_invalid_op 0
		.amdhsa_exception_fp_denorm_src 0
		.amdhsa_exception_fp_ieee_div_zero 0
		.amdhsa_exception_fp_ieee_overflow 0
		.amdhsa_exception_fp_ieee_underflow 0
		.amdhsa_exception_fp_ieee_inexact 0
		.amdhsa_exception_int_div_zero 0
	.end_amdhsa_kernel
	.section	.text._ZL37rocblas_syrkx_herkx_restricted_kernelIl19rocblas_complex_numIfELi16ELi32ELi8ELi1ELin1ELb0ELc84ELc85EKS1_S1_EviT_PT9_S3_lS5_S3_lPT10_S3_li,"axG",@progbits,_ZL37rocblas_syrkx_herkx_restricted_kernelIl19rocblas_complex_numIfELi16ELi32ELi8ELi1ELin1ELb0ELc84ELc85EKS1_S1_EviT_PT9_S3_lS5_S3_lPT10_S3_li,comdat
.Lfunc_end1089:
	.size	_ZL37rocblas_syrkx_herkx_restricted_kernelIl19rocblas_complex_numIfELi16ELi32ELi8ELi1ELin1ELb0ELc84ELc85EKS1_S1_EviT_PT9_S3_lS5_S3_lPT10_S3_li, .Lfunc_end1089-_ZL37rocblas_syrkx_herkx_restricted_kernelIl19rocblas_complex_numIfELi16ELi32ELi8ELi1ELin1ELb0ELc84ELc85EKS1_S1_EviT_PT9_S3_lS5_S3_lPT10_S3_li
                                        ; -- End function
	.set _ZL37rocblas_syrkx_herkx_restricted_kernelIl19rocblas_complex_numIfELi16ELi32ELi8ELi1ELin1ELb0ELc84ELc85EKS1_S1_EviT_PT9_S3_lS5_S3_lPT10_S3_li.num_vgpr, 41
	.set _ZL37rocblas_syrkx_herkx_restricted_kernelIl19rocblas_complex_numIfELi16ELi32ELi8ELi1ELin1ELb0ELc84ELc85EKS1_S1_EviT_PT9_S3_lS5_S3_lPT10_S3_li.num_agpr, 0
	.set _ZL37rocblas_syrkx_herkx_restricted_kernelIl19rocblas_complex_numIfELi16ELi32ELi8ELi1ELin1ELb0ELc84ELc85EKS1_S1_EviT_PT9_S3_lS5_S3_lPT10_S3_li.numbered_sgpr, 28
	.set _ZL37rocblas_syrkx_herkx_restricted_kernelIl19rocblas_complex_numIfELi16ELi32ELi8ELi1ELin1ELb0ELc84ELc85EKS1_S1_EviT_PT9_S3_lS5_S3_lPT10_S3_li.num_named_barrier, 0
	.set _ZL37rocblas_syrkx_herkx_restricted_kernelIl19rocblas_complex_numIfELi16ELi32ELi8ELi1ELin1ELb0ELc84ELc85EKS1_S1_EviT_PT9_S3_lS5_S3_lPT10_S3_li.private_seg_size, 0
	.set _ZL37rocblas_syrkx_herkx_restricted_kernelIl19rocblas_complex_numIfELi16ELi32ELi8ELi1ELin1ELb0ELc84ELc85EKS1_S1_EviT_PT9_S3_lS5_S3_lPT10_S3_li.uses_vcc, 1
	.set _ZL37rocblas_syrkx_herkx_restricted_kernelIl19rocblas_complex_numIfELi16ELi32ELi8ELi1ELin1ELb0ELc84ELc85EKS1_S1_EviT_PT9_S3_lS5_S3_lPT10_S3_li.uses_flat_scratch, 0
	.set _ZL37rocblas_syrkx_herkx_restricted_kernelIl19rocblas_complex_numIfELi16ELi32ELi8ELi1ELin1ELb0ELc84ELc85EKS1_S1_EviT_PT9_S3_lS5_S3_lPT10_S3_li.has_dyn_sized_stack, 0
	.set _ZL37rocblas_syrkx_herkx_restricted_kernelIl19rocblas_complex_numIfELi16ELi32ELi8ELi1ELin1ELb0ELc84ELc85EKS1_S1_EviT_PT9_S3_lS5_S3_lPT10_S3_li.has_recursion, 0
	.set _ZL37rocblas_syrkx_herkx_restricted_kernelIl19rocblas_complex_numIfELi16ELi32ELi8ELi1ELin1ELb0ELc84ELc85EKS1_S1_EviT_PT9_S3_lS5_S3_lPT10_S3_li.has_indirect_call, 0
	.section	.AMDGPU.csdata,"",@progbits
; Kernel info:
; codeLenInByte = 2048
; TotalNumSgprs: 32
; NumVgprs: 41
; ScratchSize: 0
; MemoryBound: 0
; FloatMode: 240
; IeeeMode: 1
; LDSByteSize: 4096 bytes/workgroup (compile time only)
; SGPRBlocks: 3
; VGPRBlocks: 10
; NumSGPRsForWavesPerEU: 32
; NumVGPRsForWavesPerEU: 41
; Occupancy: 5
; WaveLimiterHint : 1
; COMPUTE_PGM_RSRC2:SCRATCH_EN: 0
; COMPUTE_PGM_RSRC2:USER_SGPR: 6
; COMPUTE_PGM_RSRC2:TRAP_HANDLER: 0
; COMPUTE_PGM_RSRC2:TGID_X_EN: 1
; COMPUTE_PGM_RSRC2:TGID_Y_EN: 1
; COMPUTE_PGM_RSRC2:TGID_Z_EN: 1
; COMPUTE_PGM_RSRC2:TIDIG_COMP_CNT: 1
	.section	.text._ZL37rocblas_syrkx_herkx_restricted_kernelIl19rocblas_complex_numIfELi16ELi32ELi8ELi1ELin1ELb0ELc67ELc85EKS1_S1_EviT_PT9_S3_lS5_S3_lPT10_S3_li,"axG",@progbits,_ZL37rocblas_syrkx_herkx_restricted_kernelIl19rocblas_complex_numIfELi16ELi32ELi8ELi1ELin1ELb0ELc67ELc85EKS1_S1_EviT_PT9_S3_lS5_S3_lPT10_S3_li,comdat
	.globl	_ZL37rocblas_syrkx_herkx_restricted_kernelIl19rocblas_complex_numIfELi16ELi32ELi8ELi1ELin1ELb0ELc67ELc85EKS1_S1_EviT_PT9_S3_lS5_S3_lPT10_S3_li ; -- Begin function _ZL37rocblas_syrkx_herkx_restricted_kernelIl19rocblas_complex_numIfELi16ELi32ELi8ELi1ELin1ELb0ELc67ELc85EKS1_S1_EviT_PT9_S3_lS5_S3_lPT10_S3_li
	.p2align	8
	.type	_ZL37rocblas_syrkx_herkx_restricted_kernelIl19rocblas_complex_numIfELi16ELi32ELi8ELi1ELin1ELb0ELc67ELc85EKS1_S1_EviT_PT9_S3_lS5_S3_lPT10_S3_li,@function
_ZL37rocblas_syrkx_herkx_restricted_kernelIl19rocblas_complex_numIfELi16ELi32ELi8ELi1ELin1ELb0ELc67ELc85EKS1_S1_EviT_PT9_S3_lS5_S3_lPT10_S3_li: ; @_ZL37rocblas_syrkx_herkx_restricted_kernelIl19rocblas_complex_numIfELi16ELi32ELi8ELi1ELin1ELb0ELc67ELc85EKS1_S1_EviT_PT9_S3_lS5_S3_lPT10_S3_li
; %bb.0:
	s_load_dwordx16 s[12:27], s[4:5], 0x8
	s_lshl_b32 s2, s6, 5
	s_lshl_b32 s3, s7, 5
	s_waitcnt lgkmcnt(0)
	v_cmp_lt_i64_e64 s[0:1], s[12:13], 1
	s_and_b64 vcc, exec, s[0:1]
	s_cbranch_vccnz .LBB1090_3
; %bb.1:
	v_lshl_add_u32 v4, v1, 4, v0
	v_lshrrev_b32_e32 v6, 3, v4
	v_add_u32_e32 v2, s3, v6
	v_ashrrev_i32_e32 v3, 31, v2
	v_and_b32_e32 v9, 7, v0
	v_mov_b32_e32 v10, 0
	v_mul_lo_u32 v5, s22, v3
	v_mul_lo_u32 v7, s23, v2
	v_mad_u64_u32 v[2:3], s[0:1], s22, v2, v[9:10]
	s_mul_i32 s6, s19, s8
	s_mul_hi_u32 s7, s18, s8
	v_add3_u32 v3, v7, v3, v5
	v_and_b32_e32 v7, 31, v4
	v_lshrrev_b32_e32 v4, 5, v4
	v_lshlrev_b32_e32 v8, 3, v7
	v_lshl_or_b32 v11, v4, 8, v8
	v_lshlrev_b32_e32 v8, 3, v9
	v_lshl_or_b32 v6, v6, 6, v8
	v_add_u32_e32 v12, 0x800, v6
	v_mov_b32_e32 v6, 0x800
	v_lshl_add_u32 v14, v1, 6, v6
	v_add_u32_e32 v6, s2, v7
	v_mov_b32_e32 v5, v10
	v_ashrrev_i32_e32 v7, 31, v6
	v_mul_lo_u32 v7, s16, v7
	v_mad_u64_u32 v[4:5], s[0:1], s16, v6, v[4:5]
	v_mul_lo_u32 v6, s17, v6
	s_add_i32 s1, s7, s6
	s_mul_i32 s0, s18, s8
	s_lshl_b64 s[0:1], s[0:1], 3
	v_add3_u32 v5, v6, v5, v7
	v_lshlrev_b64 v[4:5], 3, v[4:5]
	s_add_u32 s0, s14, s0
	s_addc_u32 s1, s15, s1
	v_mov_b32_e32 v6, s1
	v_add_co_u32_e32 v4, vcc, s0, v4
	s_mul_i32 s0, s25, s8
	s_mul_hi_u32 s1, s24, s8
	s_add_i32 s1, s1, s0
	s_mul_i32 s0, s24, s8
	v_addc_co_u32_e32 v5, vcc, v6, v5, vcc
	s_lshl_b64 s[0:1], s[0:1], 3
	v_add_co_u32_e32 v6, vcc, 4, v4
	v_lshlrev_b64 v[2:3], 3, v[2:3]
	s_add_u32 s0, s20, s0
	v_addc_co_u32_e32 v7, vcc, 0, v5, vcc
	s_addc_u32 s1, s21, s1
	v_mov_b32_e32 v4, s1
	v_add_co_u32_e32 v2, vcc, s0, v2
	v_addc_co_u32_e32 v3, vcc, v4, v3, vcc
	v_add_co_u32_e32 v8, vcc, 4, v2
	v_lshlrev_b32_e32 v13, 3, v0
	v_addc_co_u32_e32 v9, vcc, 0, v3, vcc
	s_mov_b64 s[0:1], 0
	v_mov_b32_e32 v15, v10
	v_mov_b32_e32 v16, v10
	v_mov_b32_e32 v17, v10
	v_mov_b32_e32 v18, v10
	v_mov_b32_e32 v19, v10
	v_mov_b32_e32 v21, v10
	v_mov_b32_e32 v20, v10
.LBB1090_2:                             ; =>This Inner Loop Header: Depth=1
	global_load_dwordx2 v[2:3], v[6:7], off offset:-4
	s_add_u32 s0, s0, 8
	v_add_co_u32_e32 v6, vcc, 64, v6
	s_addc_u32 s1, s1, 0
	v_addc_co_u32_e32 v7, vcc, 0, v7, vcc
	s_waitcnt vmcnt(0)
	ds_write_b64 v11, v[2:3]
	global_load_dwordx2 v[2:3], v[8:9], off offset:-4
	v_add_co_u32_e32 v8, vcc, 64, v8
	v_addc_co_u32_e32 v9, vcc, 0, v9, vcc
	s_waitcnt vmcnt(0)
	ds_write_b64 v12, v[2:3]
	s_waitcnt lgkmcnt(0)
	s_barrier
	ds_read_b128 v[22:25], v14
	ds_read_b128 v[26:29], v14 offset:16
	ds_read_b128 v[30:33], v14 offset:32
	;; [unrolled: 1-line block ×3, first 2 shown]
	ds_read2_b64 v[34:37], v13 offset1:16
	s_waitcnt lgkmcnt(0)
	v_mul_f32_e32 v38, v23, v35
	v_mul_f32_e32 v39, v22, v35
	v_fma_f32 v38, v22, v34, -v38
	v_fmac_f32_e32 v39, v23, v34
	v_add_f32_e32 v38, v20, v38
	v_add_f32_e32 v39, v21, v39
	v_mul_f32_e32 v20, v23, v37
	v_mul_f32_e32 v21, v22, v37
	v_fma_f32 v20, v22, v36, -v20
	v_fmac_f32_e32 v21, v23, v36
	v_add_f32_e32 v22, v19, v20
	v_add_f32_e32 v23, v18, v21
	ds_read_b128 v[18:21], v14 offset:1024
	s_waitcnt lgkmcnt(0)
	v_mul_f32_e32 v40, v19, v35
	v_mul_f32_e32 v35, v18, v35
	v_fma_f32 v40, v18, v34, -v40
	v_fmac_f32_e32 v35, v19, v34
	v_add_f32_e32 v34, v17, v40
	v_add_f32_e32 v35, v16, v35
	v_mul_f32_e32 v16, v19, v37
	v_mul_f32_e32 v17, v18, v37
	v_fma_f32 v16, v18, v36, -v16
	v_fmac_f32_e32 v17, v19, v36
	v_add_f32_e32 v19, v15, v16
	v_add_f32_e32 v10, v10, v17
	ds_read2_b64 v[15:18], v13 offset0:32 offset1:48
	s_waitcnt lgkmcnt(0)
	v_mul_f32_e32 v36, v25, v16
	v_fma_f32 v36, v24, v15, -v36
	v_add_f32_e32 v36, v38, v36
	v_mul_f32_e32 v38, v25, v18
	v_mul_f32_e32 v37, v24, v16
	v_fma_f32 v38, v24, v17, -v38
	v_mul_f32_e32 v24, v24, v18
	v_fmac_f32_e32 v24, v25, v17
	v_add_f32_e32 v23, v23, v24
	v_mul_f32_e32 v24, v21, v16
	v_mul_f32_e32 v16, v20, v16
	v_fmac_f32_e32 v16, v21, v15
	v_fmac_f32_e32 v37, v25, v15
	v_fma_f32 v24, v20, v15, -v24
	v_add_f32_e32 v25, v35, v16
	v_mul_f32_e32 v15, v21, v18
	v_mul_f32_e32 v16, v20, v18
	v_fma_f32 v15, v20, v17, -v15
	v_fmac_f32_e32 v16, v21, v17
	v_add_f32_e32 v24, v34, v24
	v_add_f32_e32 v34, v19, v15
	;; [unrolled: 1-line block ×3, first 2 shown]
	ds_read2_b64 v[15:18], v13 offset0:64 offset1:80
	v_add_f32_e32 v37, v39, v37
	v_add_f32_e32 v22, v22, v38
	s_waitcnt lgkmcnt(0)
	v_mul_f32_e32 v19, v27, v16
	v_mul_f32_e32 v20, v26, v16
	v_fma_f32 v19, v26, v15, -v19
	v_fmac_f32_e32 v20, v27, v15
	v_add_f32_e32 v35, v36, v19
	v_add_f32_e32 v36, v37, v20
	v_mul_f32_e32 v19, v27, v18
	v_mul_f32_e32 v20, v26, v18
	v_fma_f32 v19, v26, v17, -v19
	v_fmac_f32_e32 v20, v27, v17
	v_add_f32_e32 v26, v22, v19
	v_add_f32_e32 v23, v23, v20
	ds_read_b128 v[19:22], v14 offset:1040
	s_waitcnt lgkmcnt(0)
	v_mul_f32_e32 v27, v20, v16
	v_mul_f32_e32 v16, v19, v16
	v_fmac_f32_e32 v16, v20, v15
	v_fma_f32 v27, v19, v15, -v27
	v_add_f32_e32 v25, v25, v16
	v_mul_f32_e32 v15, v20, v18
	v_mul_f32_e32 v16, v19, v18
	v_fma_f32 v15, v19, v17, -v15
	v_fmac_f32_e32 v16, v20, v17
	v_add_f32_e32 v19, v34, v15
	v_add_f32_e32 v10, v10, v16
	ds_read2_b64 v[15:18], v13 offset0:96 offset1:112
	v_add_f32_e32 v24, v24, v27
	s_waitcnt lgkmcnt(0)
	v_mul_f32_e32 v20, v29, v16
	v_mul_f32_e32 v34, v29, v18
	v_fma_f32 v20, v28, v15, -v20
	v_mul_f32_e32 v27, v28, v16
	v_fma_f32 v34, v28, v17, -v34
	v_mul_f32_e32 v28, v28, v18
	v_fmac_f32_e32 v28, v29, v17
	v_add_f32_e32 v23, v23, v28
	v_mul_f32_e32 v28, v22, v16
	v_mul_f32_e32 v16, v21, v16
	v_fmac_f32_e32 v16, v22, v15
	v_fmac_f32_e32 v27, v29, v15
	v_fma_f32 v28, v21, v15, -v28
	v_add_f32_e32 v25, v25, v16
	v_mul_f32_e32 v15, v22, v18
	v_mul_f32_e32 v16, v21, v18
	v_fma_f32 v15, v21, v17, -v15
	v_fmac_f32_e32 v16, v22, v17
	v_add_f32_e32 v24, v24, v28
	v_add_f32_e32 v28, v19, v15
	;; [unrolled: 1-line block ×3, first 2 shown]
	ds_read2_b64 v[15:18], v13 offset0:128 offset1:144
	v_add_f32_e32 v20, v35, v20
	v_add_f32_e32 v27, v36, v27
	;; [unrolled: 1-line block ×3, first 2 shown]
	s_waitcnt lgkmcnt(0)
	v_mul_f32_e32 v19, v31, v16
	v_fma_f32 v19, v30, v15, -v19
	v_mul_f32_e32 v21, v30, v16
	v_add_f32_e32 v29, v20, v19
	v_mul_f32_e32 v19, v31, v18
	v_mul_f32_e32 v20, v30, v18
	v_fmac_f32_e32 v21, v31, v15
	v_fma_f32 v19, v30, v17, -v19
	v_fmac_f32_e32 v20, v31, v17
	v_add_f32_e32 v27, v27, v21
	v_add_f32_e32 v26, v26, v19
	;; [unrolled: 1-line block ×3, first 2 shown]
	ds_read_b128 v[19:22], v14 offset:1056
	s_waitcnt lgkmcnt(0)
	v_mul_f32_e32 v30, v20, v16
	v_mul_f32_e32 v16, v19, v16
	v_fmac_f32_e32 v16, v20, v15
	v_fma_f32 v30, v19, v15, -v30
	v_add_f32_e32 v25, v25, v16
	v_mul_f32_e32 v15, v20, v18
	v_mul_f32_e32 v16, v19, v18
	v_fma_f32 v15, v19, v17, -v15
	v_fmac_f32_e32 v16, v20, v17
	v_add_f32_e32 v19, v28, v15
	v_add_f32_e32 v10, v10, v16
	ds_read2_b64 v[15:18], v13 offset0:160 offset1:176
	v_add_f32_e32 v24, v24, v30
	s_waitcnt lgkmcnt(0)
	v_mul_f32_e32 v28, v32, v16
	v_fmac_f32_e32 v28, v33, v15
	v_add_f32_e32 v27, v27, v28
	v_mul_f32_e32 v28, v33, v18
	v_fma_f32 v28, v32, v17, -v28
	v_mul_f32_e32 v20, v33, v16
	v_add_f32_e32 v26, v26, v28
	v_mul_f32_e32 v28, v22, v16
	v_mul_f32_e32 v16, v21, v16
	v_fmac_f32_e32 v16, v22, v15
	v_fma_f32 v20, v32, v15, -v20
	v_fma_f32 v28, v21, v15, -v28
	v_add_f32_e32 v25, v25, v16
	v_mul_f32_e32 v15, v22, v18
	v_mul_f32_e32 v16, v21, v18
	v_add_f32_e32 v20, v29, v20
	v_mul_f32_e32 v29, v32, v18
	v_fma_f32 v15, v21, v17, -v15
	v_fmac_f32_e32 v16, v22, v17
	v_fmac_f32_e32 v29, v33, v17
	v_add_f32_e32 v19, v19, v15
	v_add_f32_e32 v10, v10, v16
	ds_read2_b64 v[15:18], v13 offset0:192 offset1:208
	v_add_f32_e32 v24, v24, v28
	v_add_f32_e32 v23, v23, v29
	s_waitcnt lgkmcnt(0)
	v_mul_f32_e32 v21, v3, v16
	v_fma_f32 v21, v2, v15, -v21
	v_add_f32_e32 v28, v20, v21
	v_mul_f32_e32 v20, v3, v18
	v_mul_f32_e32 v22, v2, v16
	v_fma_f32 v20, v2, v17, -v20
	v_mul_f32_e32 v2, v2, v18
	v_fmac_f32_e32 v22, v3, v15
	v_fmac_f32_e32 v2, v3, v17
	v_add_f32_e32 v29, v27, v22
	v_add_f32_e32 v3, v26, v20
	;; [unrolled: 1-line block ×3, first 2 shown]
	ds_read_b128 v[20:23], v14 offset:1072
	s_waitcnt lgkmcnt(0)
	v_mul_f32_e32 v26, v21, v16
	v_fma_f32 v26, v20, v15, -v26
	v_mul_f32_e32 v16, v20, v16
	v_fmac_f32_e32 v16, v21, v15
	v_add_f32_e32 v15, v24, v26
	v_mul_f32_e32 v24, v21, v18
	v_fma_f32 v24, v20, v17, -v24
	v_add_f32_e32 v16, v25, v16
	v_add_f32_e32 v30, v19, v24
	ds_read2_b64 v[24:27], v13 offset0:224 offset1:240
	v_mul_f32_e32 v18, v20, v18
	v_fmac_f32_e32 v18, v21, v17
	v_add_f32_e32 v10, v10, v18
	s_waitcnt lgkmcnt(0)
	v_mul_f32_e32 v17, v5, v25
	v_fma_f32 v17, v4, v24, -v17
	v_add_f32_e32 v20, v28, v17
	v_mul_f32_e32 v17, v5, v27
	v_mul_f32_e32 v18, v4, v25
	v_fma_f32 v17, v4, v26, -v17
	v_mul_f32_e32 v4, v4, v27
	v_fmac_f32_e32 v18, v5, v24
	v_fmac_f32_e32 v4, v5, v26
	v_add_f32_e32 v21, v29, v18
	v_add_f32_e32 v19, v3, v17
	;; [unrolled: 1-line block ×3, first 2 shown]
	v_mul_f32_e32 v2, v23, v25
	v_mul_f32_e32 v3, v22, v25
	v_fma_f32 v2, v22, v24, -v2
	v_fmac_f32_e32 v3, v23, v24
	v_add_f32_e32 v17, v15, v2
	v_add_f32_e32 v16, v16, v3
	v_mul_f32_e32 v2, v23, v27
	v_mul_f32_e32 v3, v22, v27
	v_fma_f32 v2, v22, v26, -v2
	v_fmac_f32_e32 v3, v23, v26
	v_add_f32_e32 v15, v30, v2
	v_add_f32_e32 v10, v10, v3
	v_mov_b32_e32 v3, s1
	v_mov_b32_e32 v2, s0
	v_cmp_le_u64_e32 vcc, s[12:13], v[2:3]
	s_barrier
	s_cbranch_vccz .LBB1090_2
	s_branch .LBB1090_4
.LBB1090_3:
	v_mov_b32_e32 v20, 0
	v_mov_b32_e32 v21, 0
	;; [unrolled: 1-line block ×8, first 2 shown]
.LBB1090_4:
	s_load_dwordx4 s[12:15], s[4:5], 0x48
	s_load_dword s6, s[4:5], 0x0
	v_add_u32_e32 v4, s3, v1
	v_ashrrev_i32_e32 v1, 31, v4
	v_add_u32_e32 v0, s2, v0
	s_waitcnt lgkmcnt(0)
	s_mul_i32 s1, s15, s8
	s_mul_hi_u32 s3, s14, s8
	s_mul_i32 s0, s14, s8
	v_mul_lo_u32 v3, s12, v1
	v_mul_lo_u32 v5, s13, v4
	v_mad_u64_u32 v[1:2], s[8:9], s12, v4, 0
	s_add_i32 s1, s3, s1
	s_lshl_b64 s[0:1], s[0:1], 3
	v_add3_u32 v2, v2, v3, v5
	s_add_u32 s4, s26, s0
	v_lshlrev_b64 v[1:2], 3, v[1:2]
	s_addc_u32 s5, s27, s1
	v_mov_b32_e32 v3, s5
	v_add_co_u32_e64 v5, s[0:1], s4, v1
	v_addc_co_u32_e64 v6, s[0:1], v3, v2, s[0:1]
	v_cmp_gt_i32_e32 vcc, s6, v4
	v_cmp_le_i32_e64 s[0:1], v0, v4
	s_and_b64 s[0:1], vcc, s[0:1]
	s_and_saveexec_b64 s[2:3], s[0:1]
	s_cbranch_execz .LBB1090_6
; %bb.5:
	v_ashrrev_i32_e32 v1, 31, v0
	v_lshlrev_b64 v[1:2], 3, v[0:1]
	v_add_co_u32_e64 v1, s[0:1], v5, v1
	v_addc_co_u32_e64 v2, s[0:1], v6, v2, s[0:1]
	global_load_dwordx2 v[7:8], v[1:2], off
	s_waitcnt vmcnt(0)
	v_sub_f32_e32 v7, v20, v7
	v_sub_f32_e32 v8, v21, v8
	global_store_dwordx2 v[1:2], v[7:8], off
.LBB1090_6:
	s_or_b64 exec, exec, s[2:3]
	v_add_u32_e32 v2, 16, v0
	v_cmp_le_i32_e64 s[0:1], v2, v4
	s_and_b64 s[2:3], vcc, s[0:1]
	s_and_saveexec_b64 s[0:1], s[2:3]
	s_cbranch_execz .LBB1090_8
; %bb.7:
	v_ashrrev_i32_e32 v3, 31, v2
	v_lshlrev_b64 v[7:8], 3, v[2:3]
	v_add_co_u32_e32 v5, vcc, v5, v7
	v_addc_co_u32_e32 v6, vcc, v6, v8, vcc
	global_load_dwordx2 v[7:8], v[5:6], off
	s_waitcnt vmcnt(0)
	v_sub_f32_e32 v7, v19, v7
	v_sub_f32_e32 v8, v18, v8
	global_store_dwordx2 v[5:6], v[7:8], off
.LBB1090_8:
	s_or_b64 exec, exec, s[0:1]
	v_add_u32_e32 v3, 16, v4
	v_ashrrev_i32_e32 v1, 31, v3
	v_mul_lo_u32 v1, s12, v1
	v_mul_lo_u32 v6, s13, v3
	v_mad_u64_u32 v[4:5], s[0:1], s12, v3, 0
	v_cmp_gt_i32_e32 vcc, s6, v3
	v_add3_u32 v5, v5, v1, v6
	v_lshlrev_b64 v[4:5], 3, v[4:5]
	v_mov_b32_e32 v1, s5
	v_add_co_u32_e64 v4, s[0:1], s4, v4
	v_addc_co_u32_e64 v5, s[0:1], v1, v5, s[0:1]
	v_cmp_le_i32_e64 s[0:1], v0, v3
	s_and_b64 s[0:1], vcc, s[0:1]
	s_and_saveexec_b64 s[2:3], s[0:1]
	s_cbranch_execz .LBB1090_10
; %bb.9:
	v_ashrrev_i32_e32 v1, 31, v0
	v_lshlrev_b64 v[0:1], 3, v[0:1]
	v_add_co_u32_e64 v0, s[0:1], v4, v0
	v_addc_co_u32_e64 v1, s[0:1], v5, v1, s[0:1]
	global_load_dwordx2 v[6:7], v[0:1], off
	s_waitcnt vmcnt(0)
	v_sub_f32_e32 v6, v17, v6
	v_sub_f32_e32 v7, v16, v7
	global_store_dwordx2 v[0:1], v[6:7], off
.LBB1090_10:
	s_or_b64 exec, exec, s[2:3]
	v_cmp_le_i32_e64 s[0:1], v2, v3
	s_and_b64 s[0:1], vcc, s[0:1]
	s_and_saveexec_b64 s[2:3], s[0:1]
	s_cbranch_execz .LBB1090_12
; %bb.11:
	v_ashrrev_i32_e32 v3, 31, v2
	v_lshlrev_b64 v[0:1], 3, v[2:3]
	v_add_co_u32_e32 v0, vcc, v4, v0
	v_addc_co_u32_e32 v1, vcc, v5, v1, vcc
	global_load_dwordx2 v[2:3], v[0:1], off
	s_waitcnt vmcnt(0)
	v_sub_f32_e32 v2, v15, v2
	v_sub_f32_e32 v3, v10, v3
	global_store_dwordx2 v[0:1], v[2:3], off
.LBB1090_12:
	s_endpgm
	.section	.rodata,"a",@progbits
	.p2align	6, 0x0
	.amdhsa_kernel _ZL37rocblas_syrkx_herkx_restricted_kernelIl19rocblas_complex_numIfELi16ELi32ELi8ELi1ELin1ELb0ELc67ELc85EKS1_S1_EviT_PT9_S3_lS5_S3_lPT10_S3_li
		.amdhsa_group_segment_fixed_size 4096
		.amdhsa_private_segment_fixed_size 0
		.amdhsa_kernarg_size 92
		.amdhsa_user_sgpr_count 6
		.amdhsa_user_sgpr_private_segment_buffer 1
		.amdhsa_user_sgpr_dispatch_ptr 0
		.amdhsa_user_sgpr_queue_ptr 0
		.amdhsa_user_sgpr_kernarg_segment_ptr 1
		.amdhsa_user_sgpr_dispatch_id 0
		.amdhsa_user_sgpr_flat_scratch_init 0
		.amdhsa_user_sgpr_private_segment_size 0
		.amdhsa_uses_dynamic_stack 0
		.amdhsa_system_sgpr_private_segment_wavefront_offset 0
		.amdhsa_system_sgpr_workgroup_id_x 1
		.amdhsa_system_sgpr_workgroup_id_y 1
		.amdhsa_system_sgpr_workgroup_id_z 1
		.amdhsa_system_sgpr_workgroup_info 0
		.amdhsa_system_vgpr_workitem_id 1
		.amdhsa_next_free_vgpr 41
		.amdhsa_next_free_sgpr 28
		.amdhsa_reserve_vcc 1
		.amdhsa_reserve_flat_scratch 0
		.amdhsa_float_round_mode_32 0
		.amdhsa_float_round_mode_16_64 0
		.amdhsa_float_denorm_mode_32 3
		.amdhsa_float_denorm_mode_16_64 3
		.amdhsa_dx10_clamp 1
		.amdhsa_ieee_mode 1
		.amdhsa_fp16_overflow 0
		.amdhsa_exception_fp_ieee_invalid_op 0
		.amdhsa_exception_fp_denorm_src 0
		.amdhsa_exception_fp_ieee_div_zero 0
		.amdhsa_exception_fp_ieee_overflow 0
		.amdhsa_exception_fp_ieee_underflow 0
		.amdhsa_exception_fp_ieee_inexact 0
		.amdhsa_exception_int_div_zero 0
	.end_amdhsa_kernel
	.section	.text._ZL37rocblas_syrkx_herkx_restricted_kernelIl19rocblas_complex_numIfELi16ELi32ELi8ELi1ELin1ELb0ELc67ELc85EKS1_S1_EviT_PT9_S3_lS5_S3_lPT10_S3_li,"axG",@progbits,_ZL37rocblas_syrkx_herkx_restricted_kernelIl19rocblas_complex_numIfELi16ELi32ELi8ELi1ELin1ELb0ELc67ELc85EKS1_S1_EviT_PT9_S3_lS5_S3_lPT10_S3_li,comdat
.Lfunc_end1090:
	.size	_ZL37rocblas_syrkx_herkx_restricted_kernelIl19rocblas_complex_numIfELi16ELi32ELi8ELi1ELin1ELb0ELc67ELc85EKS1_S1_EviT_PT9_S3_lS5_S3_lPT10_S3_li, .Lfunc_end1090-_ZL37rocblas_syrkx_herkx_restricted_kernelIl19rocblas_complex_numIfELi16ELi32ELi8ELi1ELin1ELb0ELc67ELc85EKS1_S1_EviT_PT9_S3_lS5_S3_lPT10_S3_li
                                        ; -- End function
	.set _ZL37rocblas_syrkx_herkx_restricted_kernelIl19rocblas_complex_numIfELi16ELi32ELi8ELi1ELin1ELb0ELc67ELc85EKS1_S1_EviT_PT9_S3_lS5_S3_lPT10_S3_li.num_vgpr, 41
	.set _ZL37rocblas_syrkx_herkx_restricted_kernelIl19rocblas_complex_numIfELi16ELi32ELi8ELi1ELin1ELb0ELc67ELc85EKS1_S1_EviT_PT9_S3_lS5_S3_lPT10_S3_li.num_agpr, 0
	.set _ZL37rocblas_syrkx_herkx_restricted_kernelIl19rocblas_complex_numIfELi16ELi32ELi8ELi1ELin1ELb0ELc67ELc85EKS1_S1_EviT_PT9_S3_lS5_S3_lPT10_S3_li.numbered_sgpr, 28
	.set _ZL37rocblas_syrkx_herkx_restricted_kernelIl19rocblas_complex_numIfELi16ELi32ELi8ELi1ELin1ELb0ELc67ELc85EKS1_S1_EviT_PT9_S3_lS5_S3_lPT10_S3_li.num_named_barrier, 0
	.set _ZL37rocblas_syrkx_herkx_restricted_kernelIl19rocblas_complex_numIfELi16ELi32ELi8ELi1ELin1ELb0ELc67ELc85EKS1_S1_EviT_PT9_S3_lS5_S3_lPT10_S3_li.private_seg_size, 0
	.set _ZL37rocblas_syrkx_herkx_restricted_kernelIl19rocblas_complex_numIfELi16ELi32ELi8ELi1ELin1ELb0ELc67ELc85EKS1_S1_EviT_PT9_S3_lS5_S3_lPT10_S3_li.uses_vcc, 1
	.set _ZL37rocblas_syrkx_herkx_restricted_kernelIl19rocblas_complex_numIfELi16ELi32ELi8ELi1ELin1ELb0ELc67ELc85EKS1_S1_EviT_PT9_S3_lS5_S3_lPT10_S3_li.uses_flat_scratch, 0
	.set _ZL37rocblas_syrkx_herkx_restricted_kernelIl19rocblas_complex_numIfELi16ELi32ELi8ELi1ELin1ELb0ELc67ELc85EKS1_S1_EviT_PT9_S3_lS5_S3_lPT10_S3_li.has_dyn_sized_stack, 0
	.set _ZL37rocblas_syrkx_herkx_restricted_kernelIl19rocblas_complex_numIfELi16ELi32ELi8ELi1ELin1ELb0ELc67ELc85EKS1_S1_EviT_PT9_S3_lS5_S3_lPT10_S3_li.has_recursion, 0
	.set _ZL37rocblas_syrkx_herkx_restricted_kernelIl19rocblas_complex_numIfELi16ELi32ELi8ELi1ELin1ELb0ELc67ELc85EKS1_S1_EviT_PT9_S3_lS5_S3_lPT10_S3_li.has_indirect_call, 0
	.section	.AMDGPU.csdata,"",@progbits
; Kernel info:
; codeLenInByte = 2048
; TotalNumSgprs: 32
; NumVgprs: 41
; ScratchSize: 0
; MemoryBound: 0
; FloatMode: 240
; IeeeMode: 1
; LDSByteSize: 4096 bytes/workgroup (compile time only)
; SGPRBlocks: 3
; VGPRBlocks: 10
; NumSGPRsForWavesPerEU: 32
; NumVGPRsForWavesPerEU: 41
; Occupancy: 5
; WaveLimiterHint : 1
; COMPUTE_PGM_RSRC2:SCRATCH_EN: 0
; COMPUTE_PGM_RSRC2:USER_SGPR: 6
; COMPUTE_PGM_RSRC2:TRAP_HANDLER: 0
; COMPUTE_PGM_RSRC2:TGID_X_EN: 1
; COMPUTE_PGM_RSRC2:TGID_Y_EN: 1
; COMPUTE_PGM_RSRC2:TGID_Z_EN: 1
; COMPUTE_PGM_RSRC2:TIDIG_COMP_CNT: 1
	.section	.text._ZL37rocblas_syrkx_herkx_restricted_kernelIl19rocblas_complex_numIfELi16ELi32ELi8ELi1ELin1ELb0ELc78ELc85EKS1_S1_EviT_PT9_S3_lS5_S3_lPT10_S3_li,"axG",@progbits,_ZL37rocblas_syrkx_herkx_restricted_kernelIl19rocblas_complex_numIfELi16ELi32ELi8ELi1ELin1ELb0ELc78ELc85EKS1_S1_EviT_PT9_S3_lS5_S3_lPT10_S3_li,comdat
	.globl	_ZL37rocblas_syrkx_herkx_restricted_kernelIl19rocblas_complex_numIfELi16ELi32ELi8ELi1ELin1ELb0ELc78ELc85EKS1_S1_EviT_PT9_S3_lS5_S3_lPT10_S3_li ; -- Begin function _ZL37rocblas_syrkx_herkx_restricted_kernelIl19rocblas_complex_numIfELi16ELi32ELi8ELi1ELin1ELb0ELc78ELc85EKS1_S1_EviT_PT9_S3_lS5_S3_lPT10_S3_li
	.p2align	8
	.type	_ZL37rocblas_syrkx_herkx_restricted_kernelIl19rocblas_complex_numIfELi16ELi32ELi8ELi1ELin1ELb0ELc78ELc85EKS1_S1_EviT_PT9_S3_lS5_S3_lPT10_S3_li,@function
_ZL37rocblas_syrkx_herkx_restricted_kernelIl19rocblas_complex_numIfELi16ELi32ELi8ELi1ELin1ELb0ELc78ELc85EKS1_S1_EviT_PT9_S3_lS5_S3_lPT10_S3_li: ; @_ZL37rocblas_syrkx_herkx_restricted_kernelIl19rocblas_complex_numIfELi16ELi32ELi8ELi1ELin1ELb0ELc78ELc85EKS1_S1_EviT_PT9_S3_lS5_S3_lPT10_S3_li
; %bb.0:
	s_load_dwordx16 s[12:27], s[4:5], 0x8
	s_lshl_b32 s9, s6, 5
	s_lshl_b32 s10, s7, 5
	s_waitcnt lgkmcnt(0)
	v_cmp_lt_i64_e64 s[0:1], s[12:13], 1
	s_and_b64 vcc, exec, s[0:1]
	s_cbranch_vccnz .LBB1091_3
; %bb.1:
	v_lshl_add_u32 v6, v1, 4, v0
	v_lshrrev_b32_e32 v7, 3, v6
	v_add_u32_e32 v2, s10, v7
	v_and_b32_e32 v5, 7, v0
	v_ashrrev_i32_e32 v3, 31, v2
	v_mad_u64_u32 v[2:3], s[0:1], s22, v5, v[2:3]
	v_lshrrev_b32_e32 v8, 5, v6
	s_mul_i32 s2, s19, s8
	v_mad_u64_u32 v[3:4], s[0:1], s23, v5, v[3:4]
	v_and_b32_e32 v4, 31, v6
	v_lshlrev_b32_e32 v5, 3, v5
	v_lshlrev_b32_e32 v6, 3, v4
	v_lshl_or_b32 v5, v7, 6, v5
	v_add_u32_e32 v4, s9, v4
	v_add_u32_e32 v11, 0x800, v5
	v_ashrrev_i32_e32 v5, 31, v4
	v_mad_u64_u32 v[4:5], s[0:1], s16, v8, v[4:5]
	v_lshl_or_b32 v10, v8, 8, v6
	v_mov_b32_e32 v6, 0x800
	v_lshl_add_u32 v13, v1, 6, v6
	v_mad_u64_u32 v[5:6], s[0:1], s17, v8, v[5:6]
	s_mul_hi_u32 s3, s18, s8
	s_add_i32 s1, s3, s2
	s_mul_i32 s0, s18, s8
	s_lshl_b64 s[0:1], s[0:1], 3
	v_lshlrev_b64 v[4:5], 3, v[4:5]
	s_add_u32 s0, s14, s0
	s_addc_u32 s1, s15, s1
	s_mul_i32 s2, s25, s8
	s_mul_hi_u32 s3, s24, s8
	v_mov_b32_e32 v6, s1
	v_add_co_u32_e32 v4, vcc, s0, v4
	s_add_i32 s3, s3, s2
	s_mul_i32 s2, s24, s8
	v_addc_co_u32_e32 v5, vcc, v6, v5, vcc
	s_lshl_b64 s[0:1], s[16:17], 6
	s_lshl_b64 s[2:3], s[2:3], 3
	v_add_co_u32_e32 v6, vcc, 4, v4
	v_lshlrev_b64 v[2:3], 3, v[2:3]
	s_add_u32 s2, s20, s2
	v_addc_co_u32_e32 v7, vcc, 0, v5, vcc
	s_addc_u32 s3, s21, s3
	v_mov_b32_e32 v4, s3
	v_add_co_u32_e32 v2, vcc, s2, v2
	v_addc_co_u32_e32 v3, vcc, v4, v3, vcc
	v_add_co_u32_e32 v8, vcc, 4, v2
	s_lshl_b64 s[2:3], s[22:23], 6
	v_lshlrev_b32_e32 v12, 3, v0
	v_addc_co_u32_e32 v9, vcc, 0, v3, vcc
	v_mov_b32_e32 v16, 0
	s_mov_b64 s[6:7], 0
	v_mov_b32_e32 v14, s1
	v_mov_b32_e32 v15, s3
	;; [unrolled: 1-line block ×9, first 2 shown]
.LBB1091_2:                             ; =>This Inner Loop Header: Depth=1
	global_load_dwordx2 v[2:3], v[6:7], off offset:-4
	v_add_co_u32_e32 v6, vcc, s0, v6
	s_add_u32 s6, s6, 8
	v_addc_co_u32_e32 v7, vcc, v7, v14, vcc
	s_addc_u32 s7, s7, 0
	s_waitcnt vmcnt(0)
	ds_write_b64 v10, v[2:3]
	global_load_dwordx2 v[2:3], v[8:9], off offset:-4
	v_add_co_u32_e32 v8, vcc, s2, v8
	v_addc_co_u32_e32 v9, vcc, v9, v15, vcc
	s_waitcnt vmcnt(0)
	ds_write_b64 v11, v[2:3]
	s_waitcnt lgkmcnt(0)
	s_barrier
	ds_read_b128 v[24:27], v13
	ds_read_b128 v[28:31], v13 offset:16
	ds_read_b128 v[32:35], v13 offset:32
	;; [unrolled: 1-line block ×3, first 2 shown]
	ds_read2_b64 v[36:39], v12 offset1:16
	s_waitcnt lgkmcnt(0)
	v_mul_f32_e32 v40, v25, v37
	v_mul_f32_e32 v41, v24, v37
	v_fma_f32 v40, v24, v36, -v40
	v_fmac_f32_e32 v41, v25, v36
	v_add_f32_e32 v40, v22, v40
	v_add_f32_e32 v41, v23, v41
	v_mul_f32_e32 v22, v25, v39
	v_mul_f32_e32 v23, v24, v39
	v_fma_f32 v22, v24, v38, -v22
	v_fmac_f32_e32 v23, v25, v38
	v_add_f32_e32 v24, v21, v22
	v_add_f32_e32 v25, v20, v23
	ds_read_b128 v[20:23], v13 offset:1024
	s_waitcnt lgkmcnt(0)
	v_mul_f32_e32 v42, v21, v37
	v_mul_f32_e32 v37, v20, v37
	v_fma_f32 v42, v20, v36, -v42
	v_fmac_f32_e32 v37, v21, v36
	v_add_f32_e32 v36, v19, v42
	v_add_f32_e32 v37, v18, v37
	v_mul_f32_e32 v18, v21, v39
	v_mul_f32_e32 v19, v20, v39
	v_fma_f32 v18, v20, v38, -v18
	v_fmac_f32_e32 v19, v21, v38
	v_add_f32_e32 v20, v17, v18
	v_add_f32_e32 v21, v16, v19
	ds_read2_b64 v[16:19], v12 offset0:32 offset1:48
	s_waitcnt lgkmcnt(0)
	v_mul_f32_e32 v38, v27, v17
	v_fma_f32 v38, v26, v16, -v38
	v_add_f32_e32 v38, v40, v38
	v_mul_f32_e32 v40, v27, v19
	v_mul_f32_e32 v39, v26, v17
	v_fma_f32 v40, v26, v18, -v40
	v_mul_f32_e32 v26, v26, v19
	v_fmac_f32_e32 v26, v27, v18
	v_add_f32_e32 v25, v25, v26
	v_mul_f32_e32 v26, v23, v17
	v_mul_f32_e32 v17, v22, v17
	v_fmac_f32_e32 v17, v23, v16
	v_fmac_f32_e32 v39, v27, v16
	v_fma_f32 v26, v22, v16, -v26
	v_add_f32_e32 v27, v37, v17
	v_mul_f32_e32 v16, v23, v19
	v_mul_f32_e32 v17, v22, v19
	v_fma_f32 v16, v22, v18, -v16
	v_fmac_f32_e32 v17, v23, v18
	v_add_f32_e32 v26, v36, v26
	v_add_f32_e32 v36, v20, v16
	;; [unrolled: 1-line block ×3, first 2 shown]
	ds_read2_b64 v[16:19], v12 offset0:64 offset1:80
	v_add_f32_e32 v39, v41, v39
	v_add_f32_e32 v24, v24, v40
	s_waitcnt lgkmcnt(0)
	v_mul_f32_e32 v20, v29, v17
	v_mul_f32_e32 v21, v28, v17
	v_fma_f32 v20, v28, v16, -v20
	v_fmac_f32_e32 v21, v29, v16
	v_add_f32_e32 v38, v38, v20
	v_add_f32_e32 v39, v39, v21
	v_mul_f32_e32 v20, v29, v19
	v_mul_f32_e32 v21, v28, v19
	v_fma_f32 v20, v28, v18, -v20
	v_fmac_f32_e32 v21, v29, v18
	v_add_f32_e32 v24, v24, v20
	v_add_f32_e32 v25, v25, v21
	ds_read_b128 v[20:23], v13 offset:1040
	s_waitcnt lgkmcnt(0)
	v_mul_f32_e32 v28, v21, v17
	v_mul_f32_e32 v17, v20, v17
	v_fmac_f32_e32 v17, v21, v16
	v_fma_f32 v28, v20, v16, -v28
	v_add_f32_e32 v27, v27, v17
	v_mul_f32_e32 v16, v21, v19
	v_mul_f32_e32 v17, v20, v19
	v_fma_f32 v16, v20, v18, -v16
	v_fmac_f32_e32 v17, v21, v18
	v_add_f32_e32 v20, v36, v16
	v_add_f32_e32 v21, v37, v17
	ds_read2_b64 v[16:19], v12 offset0:96 offset1:112
	v_add_f32_e32 v26, v26, v28
	s_waitcnt lgkmcnt(0)
	v_mul_f32_e32 v28, v31, v17
	v_mul_f32_e32 v36, v31, v19
	v_fma_f32 v28, v30, v16, -v28
	v_mul_f32_e32 v29, v30, v17
	v_fma_f32 v36, v30, v18, -v36
	v_mul_f32_e32 v30, v30, v19
	v_fmac_f32_e32 v30, v31, v18
	v_add_f32_e32 v25, v25, v30
	v_mul_f32_e32 v30, v23, v17
	v_mul_f32_e32 v17, v22, v17
	v_fmac_f32_e32 v17, v23, v16
	v_fmac_f32_e32 v29, v31, v16
	v_fma_f32 v30, v22, v16, -v30
	v_add_f32_e32 v27, v27, v17
	v_mul_f32_e32 v16, v23, v19
	v_mul_f32_e32 v17, v22, v19
	v_fma_f32 v16, v22, v18, -v16
	v_fmac_f32_e32 v17, v23, v18
	v_add_f32_e32 v26, v26, v30
	v_add_f32_e32 v30, v20, v16
	;; [unrolled: 1-line block ×3, first 2 shown]
	ds_read2_b64 v[16:19], v12 offset0:128 offset1:144
	v_add_f32_e32 v28, v38, v28
	v_add_f32_e32 v29, v39, v29
	v_add_f32_e32 v24, v24, v36
	s_waitcnt lgkmcnt(0)
	v_mul_f32_e32 v20, v33, v17
	v_mul_f32_e32 v21, v32, v17
	v_fma_f32 v20, v32, v16, -v20
	v_fmac_f32_e32 v21, v33, v16
	v_add_f32_e32 v28, v28, v20
	v_add_f32_e32 v29, v29, v21
	v_mul_f32_e32 v20, v33, v19
	v_mul_f32_e32 v21, v32, v19
	v_fma_f32 v20, v32, v18, -v20
	v_fmac_f32_e32 v21, v33, v18
	v_add_f32_e32 v24, v24, v20
	v_add_f32_e32 v25, v25, v21
	ds_read_b128 v[20:23], v13 offset:1056
	s_waitcnt lgkmcnt(0)
	v_mul_f32_e32 v32, v21, v17
	v_mul_f32_e32 v17, v20, v17
	v_fmac_f32_e32 v17, v21, v16
	v_fma_f32 v32, v20, v16, -v32
	v_add_f32_e32 v27, v27, v17
	v_mul_f32_e32 v16, v21, v19
	v_mul_f32_e32 v17, v20, v19
	v_fma_f32 v16, v20, v18, -v16
	v_fmac_f32_e32 v17, v21, v18
	v_add_f32_e32 v20, v30, v16
	v_add_f32_e32 v21, v31, v17
	ds_read2_b64 v[16:19], v12 offset0:160 offset1:176
	v_add_f32_e32 v26, v26, v32
	s_waitcnt lgkmcnt(0)
	v_mul_f32_e32 v30, v35, v17
	v_fma_f32 v30, v34, v16, -v30
	v_add_f32_e32 v28, v28, v30
	v_mul_f32_e32 v30, v35, v19
	v_fma_f32 v30, v34, v18, -v30
	v_mul_f32_e32 v31, v34, v17
	v_add_f32_e32 v24, v24, v30
	v_mul_f32_e32 v30, v23, v17
	v_mul_f32_e32 v17, v22, v17
	v_fmac_f32_e32 v17, v23, v16
	v_fmac_f32_e32 v31, v35, v16
	v_fma_f32 v30, v22, v16, -v30
	v_add_f32_e32 v27, v27, v17
	v_mul_f32_e32 v16, v23, v19
	v_mul_f32_e32 v17, v22, v19
	v_add_f32_e32 v29, v29, v31
	v_mul_f32_e32 v31, v34, v19
	v_fma_f32 v16, v22, v18, -v16
	v_fmac_f32_e32 v17, v23, v18
	v_fmac_f32_e32 v31, v35, v18
	v_add_f32_e32 v20, v20, v16
	v_add_f32_e32 v21, v21, v17
	ds_read2_b64 v[16:19], v12 offset0:192 offset1:208
	v_add_f32_e32 v26, v26, v30
	v_add_f32_e32 v25, v25, v31
	s_waitcnt lgkmcnt(0)
	v_mul_f32_e32 v22, v3, v17
	v_fma_f32 v22, v2, v16, -v22
	v_add_f32_e32 v30, v28, v22
	v_mul_f32_e32 v22, v3, v19
	v_mul_f32_e32 v23, v2, v17
	v_fma_f32 v22, v2, v18, -v22
	v_mul_f32_e32 v2, v2, v19
	v_fmac_f32_e32 v23, v3, v16
	v_fmac_f32_e32 v2, v3, v18
	v_add_f32_e32 v31, v29, v23
	v_add_f32_e32 v3, v24, v22
	;; [unrolled: 1-line block ×3, first 2 shown]
	ds_read_b128 v[22:25], v13 offset:1072
	s_waitcnt lgkmcnt(0)
	v_mul_f32_e32 v28, v23, v17
	v_fma_f32 v28, v22, v16, -v28
	v_mul_f32_e32 v17, v22, v17
	v_fmac_f32_e32 v17, v23, v16
	v_add_f32_e32 v16, v26, v28
	v_mul_f32_e32 v26, v23, v19
	v_fma_f32 v26, v22, v18, -v26
	v_add_f32_e32 v17, v27, v17
	v_add_f32_e32 v32, v20, v26
	ds_read2_b64 v[26:29], v12 offset0:224 offset1:240
	v_mul_f32_e32 v19, v22, v19
	v_fmac_f32_e32 v19, v23, v18
	v_add_f32_e32 v33, v21, v19
	s_waitcnt lgkmcnt(0)
	v_mul_f32_e32 v18, v5, v27
	v_fma_f32 v18, v4, v26, -v18
	v_add_f32_e32 v22, v30, v18
	v_mul_f32_e32 v18, v5, v29
	v_mul_f32_e32 v19, v4, v27
	v_fma_f32 v18, v4, v28, -v18
	v_mul_f32_e32 v4, v4, v29
	v_fmac_f32_e32 v4, v5, v28
	v_add_f32_e32 v21, v3, v18
	v_add_f32_e32 v20, v2, v4
	v_mul_f32_e32 v2, v25, v27
	v_mul_f32_e32 v3, v24, v27
	v_fmac_f32_e32 v19, v5, v26
	v_fma_f32 v2, v24, v26, -v2
	v_fmac_f32_e32 v3, v25, v26
	v_add_f32_e32 v23, v31, v19
	v_add_f32_e32 v19, v16, v2
	;; [unrolled: 1-line block ×3, first 2 shown]
	v_mul_f32_e32 v2, v25, v29
	v_mul_f32_e32 v3, v24, v29
	v_fma_f32 v2, v24, v28, -v2
	v_fmac_f32_e32 v3, v25, v28
	v_add_f32_e32 v17, v32, v2
	v_add_f32_e32 v16, v33, v3
	v_mov_b32_e32 v2, s6
	v_mov_b32_e32 v3, s7
	v_cmp_le_u64_e32 vcc, s[12:13], v[2:3]
	s_barrier
	s_cbranch_vccz .LBB1091_2
	s_branch .LBB1091_4
.LBB1091_3:
	v_mov_b32_e32 v22, 0
	v_mov_b32_e32 v23, 0
	v_mov_b32_e32 v21, 0
	v_mov_b32_e32 v20, 0
	v_mov_b32_e32 v19, 0
	v_mov_b32_e32 v18, 0
	v_mov_b32_e32 v17, 0
	v_mov_b32_e32 v16, 0
.LBB1091_4:
	s_load_dwordx4 s[12:15], s[4:5], 0x48
	s_load_dword s6, s[4:5], 0x0
	v_add_u32_e32 v4, s10, v1
	v_ashrrev_i32_e32 v1, 31, v4
	v_add_u32_e32 v0, s9, v0
	s_waitcnt lgkmcnt(0)
	s_mul_i32 s1, s15, s8
	s_mul_hi_u32 s2, s14, s8
	s_add_i32 s1, s2, s1
	v_mul_lo_u32 v3, s12, v1
	v_mul_lo_u32 v5, s13, v4
	v_mad_u64_u32 v[1:2], s[2:3], s12, v4, 0
	s_mul_i32 s0, s14, s8
	s_lshl_b64 s[0:1], s[0:1], 3
	v_add3_u32 v2, v2, v3, v5
	s_add_u32 s4, s26, s0
	v_lshlrev_b64 v[1:2], 3, v[1:2]
	s_addc_u32 s5, s27, s1
	v_mov_b32_e32 v3, s5
	v_add_co_u32_e64 v5, s[0:1], s4, v1
	v_addc_co_u32_e64 v6, s[0:1], v3, v2, s[0:1]
	v_cmp_gt_i32_e32 vcc, s6, v4
	v_cmp_le_i32_e64 s[0:1], v0, v4
	s_and_b64 s[0:1], vcc, s[0:1]
	s_and_saveexec_b64 s[2:3], s[0:1]
	s_cbranch_execz .LBB1091_6
; %bb.5:
	v_ashrrev_i32_e32 v1, 31, v0
	v_lshlrev_b64 v[1:2], 3, v[0:1]
	v_add_co_u32_e64 v1, s[0:1], v5, v1
	v_addc_co_u32_e64 v2, s[0:1], v6, v2, s[0:1]
	global_load_dwordx2 v[7:8], v[1:2], off
	s_waitcnt vmcnt(0)
	v_sub_f32_e32 v7, v22, v7
	v_sub_f32_e32 v8, v23, v8
	global_store_dwordx2 v[1:2], v[7:8], off
.LBB1091_6:
	s_or_b64 exec, exec, s[2:3]
	v_add_u32_e32 v2, 16, v0
	v_cmp_le_i32_e64 s[0:1], v2, v4
	s_and_b64 s[2:3], vcc, s[0:1]
	s_and_saveexec_b64 s[0:1], s[2:3]
	s_cbranch_execz .LBB1091_8
; %bb.7:
	v_ashrrev_i32_e32 v3, 31, v2
	v_lshlrev_b64 v[7:8], 3, v[2:3]
	v_add_co_u32_e32 v5, vcc, v5, v7
	v_addc_co_u32_e32 v6, vcc, v6, v8, vcc
	global_load_dwordx2 v[7:8], v[5:6], off
	s_waitcnt vmcnt(0)
	v_sub_f32_e32 v7, v21, v7
	v_sub_f32_e32 v8, v20, v8
	global_store_dwordx2 v[5:6], v[7:8], off
.LBB1091_8:
	s_or_b64 exec, exec, s[0:1]
	v_add_u32_e32 v3, 16, v4
	v_ashrrev_i32_e32 v1, 31, v3
	v_mul_lo_u32 v1, s12, v1
	v_mul_lo_u32 v6, s13, v3
	v_mad_u64_u32 v[4:5], s[0:1], s12, v3, 0
	v_cmp_gt_i32_e32 vcc, s6, v3
	v_add3_u32 v5, v5, v1, v6
	v_lshlrev_b64 v[4:5], 3, v[4:5]
	v_mov_b32_e32 v1, s5
	v_add_co_u32_e64 v4, s[0:1], s4, v4
	v_addc_co_u32_e64 v5, s[0:1], v1, v5, s[0:1]
	v_cmp_le_i32_e64 s[0:1], v0, v3
	s_and_b64 s[0:1], vcc, s[0:1]
	s_and_saveexec_b64 s[2:3], s[0:1]
	s_cbranch_execz .LBB1091_10
; %bb.9:
	v_ashrrev_i32_e32 v1, 31, v0
	v_lshlrev_b64 v[0:1], 3, v[0:1]
	v_add_co_u32_e64 v0, s[0:1], v4, v0
	v_addc_co_u32_e64 v1, s[0:1], v5, v1, s[0:1]
	global_load_dwordx2 v[6:7], v[0:1], off
	s_waitcnt vmcnt(0)
	v_sub_f32_e32 v6, v19, v6
	v_sub_f32_e32 v7, v18, v7
	global_store_dwordx2 v[0:1], v[6:7], off
.LBB1091_10:
	s_or_b64 exec, exec, s[2:3]
	v_cmp_le_i32_e64 s[0:1], v2, v3
	s_and_b64 s[0:1], vcc, s[0:1]
	s_and_saveexec_b64 s[2:3], s[0:1]
	s_cbranch_execz .LBB1091_12
; %bb.11:
	v_ashrrev_i32_e32 v3, 31, v2
	v_lshlrev_b64 v[0:1], 3, v[2:3]
	v_add_co_u32_e32 v0, vcc, v4, v0
	v_addc_co_u32_e32 v1, vcc, v5, v1, vcc
	global_load_dwordx2 v[2:3], v[0:1], off
	s_waitcnt vmcnt(0)
	v_sub_f32_e32 v2, v17, v2
	v_sub_f32_e32 v3, v16, v3
	global_store_dwordx2 v[0:1], v[2:3], off
.LBB1091_12:
	s_endpgm
	.section	.rodata,"a",@progbits
	.p2align	6, 0x0
	.amdhsa_kernel _ZL37rocblas_syrkx_herkx_restricted_kernelIl19rocblas_complex_numIfELi16ELi32ELi8ELi1ELin1ELb0ELc78ELc85EKS1_S1_EviT_PT9_S3_lS5_S3_lPT10_S3_li
		.amdhsa_group_segment_fixed_size 4096
		.amdhsa_private_segment_fixed_size 0
		.amdhsa_kernarg_size 92
		.amdhsa_user_sgpr_count 6
		.amdhsa_user_sgpr_private_segment_buffer 1
		.amdhsa_user_sgpr_dispatch_ptr 0
		.amdhsa_user_sgpr_queue_ptr 0
		.amdhsa_user_sgpr_kernarg_segment_ptr 1
		.amdhsa_user_sgpr_dispatch_id 0
		.amdhsa_user_sgpr_flat_scratch_init 0
		.amdhsa_user_sgpr_private_segment_size 0
		.amdhsa_uses_dynamic_stack 0
		.amdhsa_system_sgpr_private_segment_wavefront_offset 0
		.amdhsa_system_sgpr_workgroup_id_x 1
		.amdhsa_system_sgpr_workgroup_id_y 1
		.amdhsa_system_sgpr_workgroup_id_z 1
		.amdhsa_system_sgpr_workgroup_info 0
		.amdhsa_system_vgpr_workitem_id 1
		.amdhsa_next_free_vgpr 43
		.amdhsa_next_free_sgpr 28
		.amdhsa_reserve_vcc 1
		.amdhsa_reserve_flat_scratch 0
		.amdhsa_float_round_mode_32 0
		.amdhsa_float_round_mode_16_64 0
		.amdhsa_float_denorm_mode_32 3
		.amdhsa_float_denorm_mode_16_64 3
		.amdhsa_dx10_clamp 1
		.amdhsa_ieee_mode 1
		.amdhsa_fp16_overflow 0
		.amdhsa_exception_fp_ieee_invalid_op 0
		.amdhsa_exception_fp_denorm_src 0
		.amdhsa_exception_fp_ieee_div_zero 0
		.amdhsa_exception_fp_ieee_overflow 0
		.amdhsa_exception_fp_ieee_underflow 0
		.amdhsa_exception_fp_ieee_inexact 0
		.amdhsa_exception_int_div_zero 0
	.end_amdhsa_kernel
	.section	.text._ZL37rocblas_syrkx_herkx_restricted_kernelIl19rocblas_complex_numIfELi16ELi32ELi8ELi1ELin1ELb0ELc78ELc85EKS1_S1_EviT_PT9_S3_lS5_S3_lPT10_S3_li,"axG",@progbits,_ZL37rocblas_syrkx_herkx_restricted_kernelIl19rocblas_complex_numIfELi16ELi32ELi8ELi1ELin1ELb0ELc78ELc85EKS1_S1_EviT_PT9_S3_lS5_S3_lPT10_S3_li,comdat
.Lfunc_end1091:
	.size	_ZL37rocblas_syrkx_herkx_restricted_kernelIl19rocblas_complex_numIfELi16ELi32ELi8ELi1ELin1ELb0ELc78ELc85EKS1_S1_EviT_PT9_S3_lS5_S3_lPT10_S3_li, .Lfunc_end1091-_ZL37rocblas_syrkx_herkx_restricted_kernelIl19rocblas_complex_numIfELi16ELi32ELi8ELi1ELin1ELb0ELc78ELc85EKS1_S1_EviT_PT9_S3_lS5_S3_lPT10_S3_li
                                        ; -- End function
	.set _ZL37rocblas_syrkx_herkx_restricted_kernelIl19rocblas_complex_numIfELi16ELi32ELi8ELi1ELin1ELb0ELc78ELc85EKS1_S1_EviT_PT9_S3_lS5_S3_lPT10_S3_li.num_vgpr, 43
	.set _ZL37rocblas_syrkx_herkx_restricted_kernelIl19rocblas_complex_numIfELi16ELi32ELi8ELi1ELin1ELb0ELc78ELc85EKS1_S1_EviT_PT9_S3_lS5_S3_lPT10_S3_li.num_agpr, 0
	.set _ZL37rocblas_syrkx_herkx_restricted_kernelIl19rocblas_complex_numIfELi16ELi32ELi8ELi1ELin1ELb0ELc78ELc85EKS1_S1_EviT_PT9_S3_lS5_S3_lPT10_S3_li.numbered_sgpr, 28
	.set _ZL37rocblas_syrkx_herkx_restricted_kernelIl19rocblas_complex_numIfELi16ELi32ELi8ELi1ELin1ELb0ELc78ELc85EKS1_S1_EviT_PT9_S3_lS5_S3_lPT10_S3_li.num_named_barrier, 0
	.set _ZL37rocblas_syrkx_herkx_restricted_kernelIl19rocblas_complex_numIfELi16ELi32ELi8ELi1ELin1ELb0ELc78ELc85EKS1_S1_EviT_PT9_S3_lS5_S3_lPT10_S3_li.private_seg_size, 0
	.set _ZL37rocblas_syrkx_herkx_restricted_kernelIl19rocblas_complex_numIfELi16ELi32ELi8ELi1ELin1ELb0ELc78ELc85EKS1_S1_EviT_PT9_S3_lS5_S3_lPT10_S3_li.uses_vcc, 1
	.set _ZL37rocblas_syrkx_herkx_restricted_kernelIl19rocblas_complex_numIfELi16ELi32ELi8ELi1ELin1ELb0ELc78ELc85EKS1_S1_EviT_PT9_S3_lS5_S3_lPT10_S3_li.uses_flat_scratch, 0
	.set _ZL37rocblas_syrkx_herkx_restricted_kernelIl19rocblas_complex_numIfELi16ELi32ELi8ELi1ELin1ELb0ELc78ELc85EKS1_S1_EviT_PT9_S3_lS5_S3_lPT10_S3_li.has_dyn_sized_stack, 0
	.set _ZL37rocblas_syrkx_herkx_restricted_kernelIl19rocblas_complex_numIfELi16ELi32ELi8ELi1ELin1ELb0ELc78ELc85EKS1_S1_EviT_PT9_S3_lS5_S3_lPT10_S3_li.has_recursion, 0
	.set _ZL37rocblas_syrkx_herkx_restricted_kernelIl19rocblas_complex_numIfELi16ELi32ELi8ELi1ELin1ELb0ELc78ELc85EKS1_S1_EviT_PT9_S3_lS5_S3_lPT10_S3_li.has_indirect_call, 0
	.section	.AMDGPU.csdata,"",@progbits
; Kernel info:
; codeLenInByte = 2028
; TotalNumSgprs: 32
; NumVgprs: 43
; ScratchSize: 0
; MemoryBound: 0
; FloatMode: 240
; IeeeMode: 1
; LDSByteSize: 4096 bytes/workgroup (compile time only)
; SGPRBlocks: 3
; VGPRBlocks: 10
; NumSGPRsForWavesPerEU: 32
; NumVGPRsForWavesPerEU: 43
; Occupancy: 5
; WaveLimiterHint : 1
; COMPUTE_PGM_RSRC2:SCRATCH_EN: 0
; COMPUTE_PGM_RSRC2:USER_SGPR: 6
; COMPUTE_PGM_RSRC2:TRAP_HANDLER: 0
; COMPUTE_PGM_RSRC2:TGID_X_EN: 1
; COMPUTE_PGM_RSRC2:TGID_Y_EN: 1
; COMPUTE_PGM_RSRC2:TGID_Z_EN: 1
; COMPUTE_PGM_RSRC2:TIDIG_COMP_CNT: 1
	.section	.text._ZL37rocblas_syrkx_herkx_restricted_kernelIl19rocblas_complex_numIfELi16ELi32ELi8ELi1ELi0ELb0ELc84ELc76EKS1_S1_EviT_PT9_S3_lS5_S3_lPT10_S3_li,"axG",@progbits,_ZL37rocblas_syrkx_herkx_restricted_kernelIl19rocblas_complex_numIfELi16ELi32ELi8ELi1ELi0ELb0ELc84ELc76EKS1_S1_EviT_PT9_S3_lS5_S3_lPT10_S3_li,comdat
	.globl	_ZL37rocblas_syrkx_herkx_restricted_kernelIl19rocblas_complex_numIfELi16ELi32ELi8ELi1ELi0ELb0ELc84ELc76EKS1_S1_EviT_PT9_S3_lS5_S3_lPT10_S3_li ; -- Begin function _ZL37rocblas_syrkx_herkx_restricted_kernelIl19rocblas_complex_numIfELi16ELi32ELi8ELi1ELi0ELb0ELc84ELc76EKS1_S1_EviT_PT9_S3_lS5_S3_lPT10_S3_li
	.p2align	8
	.type	_ZL37rocblas_syrkx_herkx_restricted_kernelIl19rocblas_complex_numIfELi16ELi32ELi8ELi1ELi0ELb0ELc84ELc76EKS1_S1_EviT_PT9_S3_lS5_S3_lPT10_S3_li,@function
_ZL37rocblas_syrkx_herkx_restricted_kernelIl19rocblas_complex_numIfELi16ELi32ELi8ELi1ELi0ELb0ELc84ELc76EKS1_S1_EviT_PT9_S3_lS5_S3_lPT10_S3_li: ; @_ZL37rocblas_syrkx_herkx_restricted_kernelIl19rocblas_complex_numIfELi16ELi32ELi8ELi1ELi0ELb0ELc84ELc76EKS1_S1_EviT_PT9_S3_lS5_S3_lPT10_S3_li
; %bb.0:
	s_load_dwordx16 s[12:27], s[4:5], 0x8
	s_lshl_b32 s2, s6, 5
	s_lshl_b32 s3, s7, 5
	s_waitcnt lgkmcnt(0)
	v_cmp_lt_i64_e64 s[0:1], s[12:13], 1
	s_and_b64 vcc, exec, s[0:1]
	s_cbranch_vccnz .LBB1092_3
; %bb.1:
	v_lshl_add_u32 v4, v1, 4, v0
	v_lshrrev_b32_e32 v6, 3, v4
	v_add_u32_e32 v2, s3, v6
	v_ashrrev_i32_e32 v3, 31, v2
	v_and_b32_e32 v10, 7, v0
	v_mov_b32_e32 v11, 0
	v_mul_lo_u32 v5, s22, v3
	v_mul_lo_u32 v7, s23, v2
	v_mad_u64_u32 v[2:3], s[0:1], s22, v2, v[10:11]
	s_mul_i32 s6, s19, s8
	s_mul_hi_u32 s7, s18, s8
	v_add3_u32 v3, v7, v3, v5
	v_and_b32_e32 v7, 31, v4
	v_lshrrev_b32_e32 v4, 5, v4
	v_lshlrev_b32_e32 v8, 3, v7
	v_lshl_or_b32 v18, v4, 8, v8
	v_lshlrev_b32_e32 v8, 3, v10
	v_lshl_or_b32 v6, v6, 6, v8
	v_add_u32_e32 v19, 0x800, v6
	v_mov_b32_e32 v6, 0x800
	v_lshl_add_u32 v21, v1, 6, v6
	v_add_u32_e32 v6, s2, v7
	v_mov_b32_e32 v5, v11
	v_ashrrev_i32_e32 v7, 31, v6
	v_mul_lo_u32 v7, s16, v7
	v_mad_u64_u32 v[4:5], s[0:1], s16, v6, v[4:5]
	v_mul_lo_u32 v6, s17, v6
	s_add_i32 s1, s7, s6
	s_mul_i32 s0, s18, s8
	s_lshl_b64 s[0:1], s[0:1], 3
	v_add3_u32 v5, v6, v5, v7
	v_lshlrev_b64 v[4:5], 3, v[4:5]
	s_add_u32 s0, s14, s0
	s_addc_u32 s1, s15, s1
	v_mov_b32_e32 v6, s1
	v_add_co_u32_e32 v4, vcc, s0, v4
	s_mul_i32 s0, s25, s8
	s_mul_hi_u32 s1, s24, s8
	s_add_i32 s1, s1, s0
	s_mul_i32 s0, s24, s8
	v_addc_co_u32_e32 v5, vcc, v6, v5, vcc
	s_lshl_b64 s[0:1], s[0:1], 3
	v_add_co_u32_e32 v6, vcc, 4, v4
	v_lshlrev_b64 v[2:3], 3, v[2:3]
	s_add_u32 s0, s20, s0
	v_addc_co_u32_e32 v7, vcc, 0, v5, vcc
	s_addc_u32 s1, s21, s1
	v_mov_b32_e32 v4, s1
	v_add_co_u32_e32 v2, vcc, s0, v2
	v_addc_co_u32_e32 v3, vcc, v4, v3, vcc
	v_add_co_u32_e32 v8, vcc, 4, v2
	v_lshlrev_b32_e32 v20, 3, v0
	v_addc_co_u32_e32 v9, vcc, 0, v3, vcc
	s_mov_b64 s[0:1], 0
	v_mov_b32_e32 v10, v11
	v_mov_b32_e32 v13, v11
	;; [unrolled: 1-line block ×7, first 2 shown]
.LBB1092_2:                             ; =>This Inner Loop Header: Depth=1
	global_load_dwordx2 v[2:3], v[6:7], off offset:-4
	s_add_u32 s0, s0, 8
	v_add_co_u32_e32 v6, vcc, 64, v6
	s_addc_u32 s1, s1, 0
	v_addc_co_u32_e32 v7, vcc, 0, v7, vcc
	s_waitcnt vmcnt(0)
	ds_write_b64 v18, v[2:3]
	global_load_dwordx2 v[2:3], v[8:9], off offset:-4
	v_add_co_u32_e32 v8, vcc, 64, v8
	v_addc_co_u32_e32 v9, vcc, 0, v9, vcc
	s_waitcnt vmcnt(0)
	ds_write_b64 v19, v[2:3]
	s_waitcnt lgkmcnt(0)
	s_barrier
	ds_read_b128 v[22:25], v21
	ds_read_b128 v[26:29], v21 offset:16
	ds_read_b128 v[30:33], v21 offset:32
	;; [unrolled: 1-line block ×3, first 2 shown]
	ds_read2_b64 v[34:37], v20 offset1:16
	s_waitcnt lgkmcnt(0)
	v_mul_f32_e32 v38, v23, v35
	v_mul_f32_e32 v39, v22, v35
	v_fma_f32 v38, v22, v34, -v38
	v_fmac_f32_e32 v39, v23, v34
	v_add_f32_e32 v38, v16, v38
	v_add_f32_e32 v39, v17, v39
	v_mul_f32_e32 v16, v23, v37
	v_mul_f32_e32 v17, v22, v37
	v_fma_f32 v16, v22, v36, -v16
	v_fmac_f32_e32 v17, v23, v36
	v_add_f32_e32 v22, v14, v16
	v_add_f32_e32 v23, v15, v17
	ds_read_b128 v[14:17], v21 offset:1024
	s_waitcnt lgkmcnt(0)
	v_mul_f32_e32 v40, v15, v35
	v_mul_f32_e32 v35, v14, v35
	v_fma_f32 v40, v14, v34, -v40
	v_fmac_f32_e32 v35, v15, v34
	v_add_f32_e32 v34, v12, v40
	v_add_f32_e32 v35, v13, v35
	v_mul_f32_e32 v12, v15, v37
	v_mul_f32_e32 v13, v14, v37
	v_fma_f32 v12, v14, v36, -v12
	v_fmac_f32_e32 v13, v15, v36
	v_add_f32_e32 v14, v10, v12
	v_add_f32_e32 v15, v11, v13
	ds_read2_b64 v[10:13], v20 offset0:32 offset1:48
	s_waitcnt lgkmcnt(0)
	v_mul_f32_e32 v36, v25, v11
	v_fma_f32 v36, v24, v10, -v36
	v_add_f32_e32 v36, v38, v36
	v_mul_f32_e32 v38, v25, v13
	v_mul_f32_e32 v37, v24, v11
	v_fma_f32 v38, v24, v12, -v38
	v_mul_f32_e32 v24, v24, v13
	v_fmac_f32_e32 v24, v25, v12
	v_add_f32_e32 v23, v23, v24
	v_mul_f32_e32 v24, v17, v11
	v_mul_f32_e32 v11, v16, v11
	v_fmac_f32_e32 v11, v17, v10
	v_fmac_f32_e32 v37, v25, v10
	v_fma_f32 v24, v16, v10, -v24
	v_add_f32_e32 v25, v35, v11
	v_mul_f32_e32 v10, v17, v13
	v_mul_f32_e32 v11, v16, v13
	v_fma_f32 v10, v16, v12, -v10
	v_fmac_f32_e32 v11, v17, v12
	v_add_f32_e32 v24, v34, v24
	v_add_f32_e32 v34, v14, v10
	;; [unrolled: 1-line block ×3, first 2 shown]
	ds_read2_b64 v[10:13], v20 offset0:64 offset1:80
	v_add_f32_e32 v37, v39, v37
	v_add_f32_e32 v22, v22, v38
	s_waitcnt lgkmcnt(0)
	v_mul_f32_e32 v14, v27, v11
	v_mul_f32_e32 v15, v26, v11
	v_fma_f32 v14, v26, v10, -v14
	v_fmac_f32_e32 v15, v27, v10
	v_add_f32_e32 v36, v36, v14
	v_add_f32_e32 v37, v37, v15
	v_mul_f32_e32 v14, v27, v13
	v_mul_f32_e32 v15, v26, v13
	v_fma_f32 v14, v26, v12, -v14
	v_fmac_f32_e32 v15, v27, v12
	v_add_f32_e32 v22, v22, v14
	v_add_f32_e32 v23, v23, v15
	ds_read_b128 v[14:17], v21 offset:1040
	s_waitcnt lgkmcnt(0)
	v_mul_f32_e32 v26, v15, v11
	v_mul_f32_e32 v11, v14, v11
	v_fmac_f32_e32 v11, v15, v10
	v_fma_f32 v26, v14, v10, -v26
	v_add_f32_e32 v25, v25, v11
	v_mul_f32_e32 v10, v15, v13
	v_mul_f32_e32 v11, v14, v13
	v_fma_f32 v10, v14, v12, -v10
	v_fmac_f32_e32 v11, v15, v12
	v_add_f32_e32 v14, v34, v10
	v_add_f32_e32 v15, v35, v11
	ds_read2_b64 v[10:13], v20 offset0:96 offset1:112
	v_add_f32_e32 v24, v24, v26
	s_waitcnt lgkmcnt(0)
	v_mul_f32_e32 v26, v29, v11
	v_mul_f32_e32 v34, v29, v13
	v_fma_f32 v26, v28, v10, -v26
	v_mul_f32_e32 v27, v28, v11
	v_fma_f32 v34, v28, v12, -v34
	v_mul_f32_e32 v28, v28, v13
	v_fmac_f32_e32 v28, v29, v12
	v_add_f32_e32 v23, v23, v28
	v_mul_f32_e32 v28, v17, v11
	v_mul_f32_e32 v11, v16, v11
	v_fmac_f32_e32 v11, v17, v10
	v_fmac_f32_e32 v27, v29, v10
	v_fma_f32 v28, v16, v10, -v28
	v_add_f32_e32 v25, v25, v11
	v_mul_f32_e32 v10, v17, v13
	v_mul_f32_e32 v11, v16, v13
	v_fma_f32 v10, v16, v12, -v10
	v_fmac_f32_e32 v11, v17, v12
	v_add_f32_e32 v24, v24, v28
	v_add_f32_e32 v28, v14, v10
	;; [unrolled: 1-line block ×3, first 2 shown]
	ds_read2_b64 v[10:13], v20 offset0:128 offset1:144
	v_add_f32_e32 v26, v36, v26
	v_add_f32_e32 v27, v37, v27
	;; [unrolled: 1-line block ×3, first 2 shown]
	s_waitcnt lgkmcnt(0)
	v_mul_f32_e32 v14, v31, v11
	v_mul_f32_e32 v15, v30, v11
	v_fma_f32 v14, v30, v10, -v14
	v_fmac_f32_e32 v15, v31, v10
	v_add_f32_e32 v26, v26, v14
	v_add_f32_e32 v27, v27, v15
	v_mul_f32_e32 v14, v31, v13
	v_mul_f32_e32 v15, v30, v13
	v_fma_f32 v14, v30, v12, -v14
	v_fmac_f32_e32 v15, v31, v12
	v_add_f32_e32 v22, v22, v14
	v_add_f32_e32 v23, v23, v15
	ds_read_b128 v[14:17], v21 offset:1056
	s_waitcnt lgkmcnt(0)
	v_mul_f32_e32 v30, v15, v11
	v_mul_f32_e32 v11, v14, v11
	v_fmac_f32_e32 v11, v15, v10
	v_fma_f32 v30, v14, v10, -v30
	v_add_f32_e32 v25, v25, v11
	v_mul_f32_e32 v10, v15, v13
	v_mul_f32_e32 v11, v14, v13
	v_fma_f32 v10, v14, v12, -v10
	v_fmac_f32_e32 v11, v15, v12
	v_add_f32_e32 v14, v28, v10
	v_add_f32_e32 v15, v29, v11
	ds_read2_b64 v[10:13], v20 offset0:160 offset1:176
	v_add_f32_e32 v24, v24, v30
	s_waitcnt lgkmcnt(0)
	v_mul_f32_e32 v28, v33, v11
	v_fma_f32 v28, v32, v10, -v28
	v_mul_f32_e32 v29, v32, v11
	v_add_f32_e32 v26, v26, v28
	v_mul_f32_e32 v28, v33, v13
	v_fmac_f32_e32 v29, v33, v10
	v_fma_f32 v28, v32, v12, -v28
	v_add_f32_e32 v27, v27, v29
	v_mul_f32_e32 v29, v32, v13
	v_add_f32_e32 v22, v22, v28
	v_mul_f32_e32 v28, v17, v11
	v_mul_f32_e32 v11, v16, v11
	v_fmac_f32_e32 v29, v33, v12
	v_fmac_f32_e32 v11, v17, v10
	v_add_f32_e32 v23, v23, v29
	v_fma_f32 v28, v16, v10, -v28
	v_add_f32_e32 v29, v25, v11
	v_mul_f32_e32 v10, v17, v13
	v_mul_f32_e32 v11, v16, v13
	v_fma_f32 v10, v16, v12, -v10
	v_fmac_f32_e32 v11, v17, v12
	v_add_f32_e32 v14, v14, v10
	v_add_f32_e32 v15, v15, v11
	ds_read2_b64 v[10:13], v20 offset0:192 offset1:208
	v_add_f32_e32 v28, v24, v28
	s_waitcnt lgkmcnt(0)
	v_mul_f32_e32 v16, v3, v11
	v_mul_f32_e32 v24, v3, v13
	v_fma_f32 v16, v2, v10, -v16
	v_mul_f32_e32 v17, v2, v11
	v_fma_f32 v24, v2, v12, -v24
	v_mul_f32_e32 v2, v2, v13
	v_fmac_f32_e32 v2, v3, v12
	v_fmac_f32_e32 v17, v3, v10
	v_add_f32_e32 v3, v22, v24
	v_add_f32_e32 v2, v23, v2
	ds_read_b128 v[22:25], v21 offset:1072
	v_add_f32_e32 v16, v26, v16
	v_add_f32_e32 v17, v27, v17
	s_waitcnt lgkmcnt(0)
	v_mul_f32_e32 v26, v23, v11
	v_fma_f32 v26, v22, v10, -v26
	v_mul_f32_e32 v11, v22, v11
	v_fmac_f32_e32 v11, v23, v10
	v_add_f32_e32 v10, v28, v26
	v_mul_f32_e32 v26, v23, v13
	v_fma_f32 v26, v22, v12, -v26
	v_add_f32_e32 v11, v29, v11
	v_mul_f32_e32 v13, v22, v13
	v_add_f32_e32 v22, v14, v26
	ds_read2_b64 v[26:29], v20 offset0:224 offset1:240
	v_fmac_f32_e32 v13, v23, v12
	v_add_f32_e32 v23, v15, v13
	s_waitcnt lgkmcnt(0)
	s_barrier
	v_mul_f32_e32 v12, v5, v27
	v_fma_f32 v12, v4, v26, -v12
	v_add_f32_e32 v16, v16, v12
	v_mul_f32_e32 v12, v5, v29
	v_mul_f32_e32 v13, v4, v27
	v_fma_f32 v12, v4, v28, -v12
	v_mul_f32_e32 v4, v4, v29
	v_fmac_f32_e32 v4, v5, v28
	v_add_f32_e32 v14, v3, v12
	v_add_f32_e32 v15, v2, v4
	v_mul_f32_e32 v2, v25, v27
	v_mul_f32_e32 v3, v24, v27
	v_fmac_f32_e32 v13, v5, v26
	v_fma_f32 v2, v24, v26, -v2
	v_fmac_f32_e32 v3, v25, v26
	v_add_f32_e32 v17, v17, v13
	v_add_f32_e32 v12, v10, v2
	;; [unrolled: 1-line block ×3, first 2 shown]
	v_mul_f32_e32 v2, v25, v29
	v_mul_f32_e32 v3, v24, v29
	v_fma_f32 v2, v24, v28, -v2
	v_fmac_f32_e32 v3, v25, v28
	v_add_f32_e32 v10, v22, v2
	v_add_f32_e32 v11, v23, v3
	v_mov_b32_e32 v3, s1
	v_mov_b32_e32 v2, s0
	v_cmp_le_u64_e32 vcc, s[12:13], v[2:3]
	s_cbranch_vccz .LBB1092_2
	s_branch .LBB1092_4
.LBB1092_3:
	v_mov_b32_e32 v16, 0
	v_mov_b32_e32 v17, 0
	;; [unrolled: 1-line block ×8, first 2 shown]
.LBB1092_4:
	s_load_dwordx4 s[12:15], s[4:5], 0x48
	s_load_dword s9, s[4:5], 0x0
	v_add_u32_e32 v4, s3, v1
	v_ashrrev_i32_e32 v1, 31, v4
	v_add_u32_e32 v0, s2, v0
	s_waitcnt lgkmcnt(0)
	v_mul_lo_u32 v3, s12, v1
	v_mul_lo_u32 v5, s13, v4
	v_mad_u64_u32 v[1:2], s[4:5], s12, v4, 0
	s_mul_i32 s1, s15, s8
	s_mul_hi_u32 s3, s14, s8
	s_mul_i32 s0, s14, s8
	s_add_i32 s1, s3, s1
	s_lshl_b64 s[0:1], s[0:1], 3
	v_add3_u32 v2, v2, v3, v5
	s_add_u32 s6, s26, s0
	v_lshlrev_b64 v[1:2], 3, v[1:2]
	s_addc_u32 s7, s27, s1
	v_mov_b32_e32 v3, s7
	v_add_co_u32_e32 v5, vcc, s6, v1
	v_addc_co_u32_e32 v6, vcc, v3, v2, vcc
	v_cmp_le_i32_e64 s[0:1], v4, v0
	v_cmp_gt_i32_e32 vcc, s9, v0
	s_and_b64 s[0:1], s[0:1], vcc
	s_and_saveexec_b64 s[2:3], s[0:1]
	s_cbranch_execz .LBB1092_6
; %bb.5:
	v_ashrrev_i32_e32 v1, 31, v0
	v_lshlrev_b64 v[1:2], 3, v[0:1]
	v_add_co_u32_e64 v1, s[0:1], v5, v1
	v_addc_co_u32_e64 v2, s[0:1], v6, v2, s[0:1]
	global_store_dwordx2 v[1:2], v[16:17], off
.LBB1092_6:
	s_or_b64 exec, exec, s[2:3]
	v_add_u32_e32 v2, 16, v0
	v_cmp_le_i32_e64 s[2:3], v4, v2
	v_cmp_gt_i32_e64 s[0:1], s9, v2
	s_and_b64 s[2:3], s[2:3], s[0:1]
	s_and_saveexec_b64 s[4:5], s[2:3]
	s_cbranch_execz .LBB1092_8
; %bb.7:
	v_ashrrev_i32_e32 v3, 31, v2
	v_lshlrev_b64 v[7:8], 3, v[2:3]
	v_add_co_u32_e64 v5, s[2:3], v5, v7
	v_addc_co_u32_e64 v6, s[2:3], v6, v8, s[2:3]
	global_store_dwordx2 v[5:6], v[14:15], off
.LBB1092_8:
	s_or_b64 exec, exec, s[4:5]
	v_add_u32_e32 v3, 16, v4
	v_ashrrev_i32_e32 v1, 31, v3
	v_mul_lo_u32 v6, s13, v3
	v_mad_u64_u32 v[4:5], s[2:3], s12, v3, 0
	v_mul_lo_u32 v1, s12, v1
	v_add3_u32 v5, v5, v1, v6
	v_lshlrev_b64 v[4:5], 3, v[4:5]
	v_mov_b32_e32 v1, s7
	v_add_co_u32_e64 v4, s[2:3], s6, v4
	v_addc_co_u32_e64 v5, s[2:3], v1, v5, s[2:3]
	v_cmp_le_i32_e64 s[2:3], v3, v0
	s_and_b64 s[4:5], s[2:3], vcc
	s_and_saveexec_b64 s[2:3], s[4:5]
	s_cbranch_execz .LBB1092_10
; %bb.9:
	v_ashrrev_i32_e32 v1, 31, v0
	v_lshlrev_b64 v[0:1], 3, v[0:1]
	v_add_co_u32_e32 v0, vcc, v4, v0
	v_addc_co_u32_e32 v1, vcc, v5, v1, vcc
	global_store_dwordx2 v[0:1], v[12:13], off
.LBB1092_10:
	s_or_b64 exec, exec, s[2:3]
	v_cmp_le_i32_e32 vcc, v3, v2
	s_and_b64 s[0:1], vcc, s[0:1]
	s_and_saveexec_b64 s[2:3], s[0:1]
	s_cbranch_execz .LBB1092_12
; %bb.11:
	v_ashrrev_i32_e32 v3, 31, v2
	v_lshlrev_b64 v[0:1], 3, v[2:3]
	v_add_co_u32_e32 v0, vcc, v4, v0
	v_addc_co_u32_e32 v1, vcc, v5, v1, vcc
	global_store_dwordx2 v[0:1], v[10:11], off
.LBB1092_12:
	s_endpgm
	.section	.rodata,"a",@progbits
	.p2align	6, 0x0
	.amdhsa_kernel _ZL37rocblas_syrkx_herkx_restricted_kernelIl19rocblas_complex_numIfELi16ELi32ELi8ELi1ELi0ELb0ELc84ELc76EKS1_S1_EviT_PT9_S3_lS5_S3_lPT10_S3_li
		.amdhsa_group_segment_fixed_size 4096
		.amdhsa_private_segment_fixed_size 0
		.amdhsa_kernarg_size 92
		.amdhsa_user_sgpr_count 6
		.amdhsa_user_sgpr_private_segment_buffer 1
		.amdhsa_user_sgpr_dispatch_ptr 0
		.amdhsa_user_sgpr_queue_ptr 0
		.amdhsa_user_sgpr_kernarg_segment_ptr 1
		.amdhsa_user_sgpr_dispatch_id 0
		.amdhsa_user_sgpr_flat_scratch_init 0
		.amdhsa_user_sgpr_private_segment_size 0
		.amdhsa_uses_dynamic_stack 0
		.amdhsa_system_sgpr_private_segment_wavefront_offset 0
		.amdhsa_system_sgpr_workgroup_id_x 1
		.amdhsa_system_sgpr_workgroup_id_y 1
		.amdhsa_system_sgpr_workgroup_id_z 1
		.amdhsa_system_sgpr_workgroup_info 0
		.amdhsa_system_vgpr_workitem_id 1
		.amdhsa_next_free_vgpr 41
		.amdhsa_next_free_sgpr 28
		.amdhsa_reserve_vcc 1
		.amdhsa_reserve_flat_scratch 0
		.amdhsa_float_round_mode_32 0
		.amdhsa_float_round_mode_16_64 0
		.amdhsa_float_denorm_mode_32 3
		.amdhsa_float_denorm_mode_16_64 3
		.amdhsa_dx10_clamp 1
		.amdhsa_ieee_mode 1
		.amdhsa_fp16_overflow 0
		.amdhsa_exception_fp_ieee_invalid_op 0
		.amdhsa_exception_fp_denorm_src 0
		.amdhsa_exception_fp_ieee_div_zero 0
		.amdhsa_exception_fp_ieee_overflow 0
		.amdhsa_exception_fp_ieee_underflow 0
		.amdhsa_exception_fp_ieee_inexact 0
		.amdhsa_exception_int_div_zero 0
	.end_amdhsa_kernel
	.section	.text._ZL37rocblas_syrkx_herkx_restricted_kernelIl19rocblas_complex_numIfELi16ELi32ELi8ELi1ELi0ELb0ELc84ELc76EKS1_S1_EviT_PT9_S3_lS5_S3_lPT10_S3_li,"axG",@progbits,_ZL37rocblas_syrkx_herkx_restricted_kernelIl19rocblas_complex_numIfELi16ELi32ELi8ELi1ELi0ELb0ELc84ELc76EKS1_S1_EviT_PT9_S3_lS5_S3_lPT10_S3_li,comdat
.Lfunc_end1092:
	.size	_ZL37rocblas_syrkx_herkx_restricted_kernelIl19rocblas_complex_numIfELi16ELi32ELi8ELi1ELi0ELb0ELc84ELc76EKS1_S1_EviT_PT9_S3_lS5_S3_lPT10_S3_li, .Lfunc_end1092-_ZL37rocblas_syrkx_herkx_restricted_kernelIl19rocblas_complex_numIfELi16ELi32ELi8ELi1ELi0ELb0ELc84ELc76EKS1_S1_EviT_PT9_S3_lS5_S3_lPT10_S3_li
                                        ; -- End function
	.set _ZL37rocblas_syrkx_herkx_restricted_kernelIl19rocblas_complex_numIfELi16ELi32ELi8ELi1ELi0ELb0ELc84ELc76EKS1_S1_EviT_PT9_S3_lS5_S3_lPT10_S3_li.num_vgpr, 41
	.set _ZL37rocblas_syrkx_herkx_restricted_kernelIl19rocblas_complex_numIfELi16ELi32ELi8ELi1ELi0ELb0ELc84ELc76EKS1_S1_EviT_PT9_S3_lS5_S3_lPT10_S3_li.num_agpr, 0
	.set _ZL37rocblas_syrkx_herkx_restricted_kernelIl19rocblas_complex_numIfELi16ELi32ELi8ELi1ELi0ELb0ELc84ELc76EKS1_S1_EviT_PT9_S3_lS5_S3_lPT10_S3_li.numbered_sgpr, 28
	.set _ZL37rocblas_syrkx_herkx_restricted_kernelIl19rocblas_complex_numIfELi16ELi32ELi8ELi1ELi0ELb0ELc84ELc76EKS1_S1_EviT_PT9_S3_lS5_S3_lPT10_S3_li.num_named_barrier, 0
	.set _ZL37rocblas_syrkx_herkx_restricted_kernelIl19rocblas_complex_numIfELi16ELi32ELi8ELi1ELi0ELb0ELc84ELc76EKS1_S1_EviT_PT9_S3_lS5_S3_lPT10_S3_li.private_seg_size, 0
	.set _ZL37rocblas_syrkx_herkx_restricted_kernelIl19rocblas_complex_numIfELi16ELi32ELi8ELi1ELi0ELb0ELc84ELc76EKS1_S1_EviT_PT9_S3_lS5_S3_lPT10_S3_li.uses_vcc, 1
	.set _ZL37rocblas_syrkx_herkx_restricted_kernelIl19rocblas_complex_numIfELi16ELi32ELi8ELi1ELi0ELb0ELc84ELc76EKS1_S1_EviT_PT9_S3_lS5_S3_lPT10_S3_li.uses_flat_scratch, 0
	.set _ZL37rocblas_syrkx_herkx_restricted_kernelIl19rocblas_complex_numIfELi16ELi32ELi8ELi1ELi0ELb0ELc84ELc76EKS1_S1_EviT_PT9_S3_lS5_S3_lPT10_S3_li.has_dyn_sized_stack, 0
	.set _ZL37rocblas_syrkx_herkx_restricted_kernelIl19rocblas_complex_numIfELi16ELi32ELi8ELi1ELi0ELb0ELc84ELc76EKS1_S1_EviT_PT9_S3_lS5_S3_lPT10_S3_li.has_recursion, 0
	.set _ZL37rocblas_syrkx_herkx_restricted_kernelIl19rocblas_complex_numIfELi16ELi32ELi8ELi1ELi0ELb0ELc84ELc76EKS1_S1_EviT_PT9_S3_lS5_S3_lPT10_S3_li.has_indirect_call, 0
	.section	.AMDGPU.csdata,"",@progbits
; Kernel info:
; codeLenInByte = 1960
; TotalNumSgprs: 32
; NumVgprs: 41
; ScratchSize: 0
; MemoryBound: 0
; FloatMode: 240
; IeeeMode: 1
; LDSByteSize: 4096 bytes/workgroup (compile time only)
; SGPRBlocks: 3
; VGPRBlocks: 10
; NumSGPRsForWavesPerEU: 32
; NumVGPRsForWavesPerEU: 41
; Occupancy: 5
; WaveLimiterHint : 1
; COMPUTE_PGM_RSRC2:SCRATCH_EN: 0
; COMPUTE_PGM_RSRC2:USER_SGPR: 6
; COMPUTE_PGM_RSRC2:TRAP_HANDLER: 0
; COMPUTE_PGM_RSRC2:TGID_X_EN: 1
; COMPUTE_PGM_RSRC2:TGID_Y_EN: 1
; COMPUTE_PGM_RSRC2:TGID_Z_EN: 1
; COMPUTE_PGM_RSRC2:TIDIG_COMP_CNT: 1
	.section	.text._ZL37rocblas_syrkx_herkx_restricted_kernelIl19rocblas_complex_numIfELi16ELi32ELi8ELi1ELi0ELb0ELc67ELc76EKS1_S1_EviT_PT9_S3_lS5_S3_lPT10_S3_li,"axG",@progbits,_ZL37rocblas_syrkx_herkx_restricted_kernelIl19rocblas_complex_numIfELi16ELi32ELi8ELi1ELi0ELb0ELc67ELc76EKS1_S1_EviT_PT9_S3_lS5_S3_lPT10_S3_li,comdat
	.globl	_ZL37rocblas_syrkx_herkx_restricted_kernelIl19rocblas_complex_numIfELi16ELi32ELi8ELi1ELi0ELb0ELc67ELc76EKS1_S1_EviT_PT9_S3_lS5_S3_lPT10_S3_li ; -- Begin function _ZL37rocblas_syrkx_herkx_restricted_kernelIl19rocblas_complex_numIfELi16ELi32ELi8ELi1ELi0ELb0ELc67ELc76EKS1_S1_EviT_PT9_S3_lS5_S3_lPT10_S3_li
	.p2align	8
	.type	_ZL37rocblas_syrkx_herkx_restricted_kernelIl19rocblas_complex_numIfELi16ELi32ELi8ELi1ELi0ELb0ELc67ELc76EKS1_S1_EviT_PT9_S3_lS5_S3_lPT10_S3_li,@function
_ZL37rocblas_syrkx_herkx_restricted_kernelIl19rocblas_complex_numIfELi16ELi32ELi8ELi1ELi0ELb0ELc67ELc76EKS1_S1_EviT_PT9_S3_lS5_S3_lPT10_S3_li: ; @_ZL37rocblas_syrkx_herkx_restricted_kernelIl19rocblas_complex_numIfELi16ELi32ELi8ELi1ELi0ELb0ELc67ELc76EKS1_S1_EviT_PT9_S3_lS5_S3_lPT10_S3_li
; %bb.0:
	s_load_dwordx16 s[12:27], s[4:5], 0x8
	s_lshl_b32 s2, s6, 5
	s_lshl_b32 s3, s7, 5
	s_waitcnt lgkmcnt(0)
	v_cmp_lt_i64_e64 s[0:1], s[12:13], 1
	s_and_b64 vcc, exec, s[0:1]
	s_cbranch_vccnz .LBB1093_3
; %bb.1:
	v_lshl_add_u32 v4, v1, 4, v0
	v_lshrrev_b32_e32 v6, 3, v4
	v_add_u32_e32 v2, s3, v6
	v_ashrrev_i32_e32 v3, 31, v2
	v_and_b32_e32 v10, 7, v0
	v_mov_b32_e32 v11, 0
	v_mul_lo_u32 v5, s22, v3
	v_mul_lo_u32 v7, s23, v2
	v_mad_u64_u32 v[2:3], s[0:1], s22, v2, v[10:11]
	s_mul_i32 s6, s19, s8
	s_mul_hi_u32 s7, s18, s8
	v_add3_u32 v3, v7, v3, v5
	v_and_b32_e32 v7, 31, v4
	v_lshrrev_b32_e32 v4, 5, v4
	v_lshlrev_b32_e32 v8, 3, v7
	v_lshl_or_b32 v18, v4, 8, v8
	v_lshlrev_b32_e32 v8, 3, v10
	v_lshl_or_b32 v6, v6, 6, v8
	v_add_u32_e32 v19, 0x800, v6
	v_mov_b32_e32 v6, 0x800
	v_lshl_add_u32 v21, v1, 6, v6
	v_add_u32_e32 v6, s2, v7
	v_mov_b32_e32 v5, v11
	v_ashrrev_i32_e32 v7, 31, v6
	v_mul_lo_u32 v7, s16, v7
	v_mad_u64_u32 v[4:5], s[0:1], s16, v6, v[4:5]
	v_mul_lo_u32 v6, s17, v6
	s_add_i32 s1, s7, s6
	s_mul_i32 s0, s18, s8
	s_lshl_b64 s[0:1], s[0:1], 3
	v_add3_u32 v5, v6, v5, v7
	v_lshlrev_b64 v[4:5], 3, v[4:5]
	s_add_u32 s0, s14, s0
	s_addc_u32 s1, s15, s1
	v_mov_b32_e32 v6, s1
	v_add_co_u32_e32 v4, vcc, s0, v4
	s_mul_i32 s0, s25, s8
	s_mul_hi_u32 s1, s24, s8
	s_add_i32 s1, s1, s0
	s_mul_i32 s0, s24, s8
	v_addc_co_u32_e32 v5, vcc, v6, v5, vcc
	s_lshl_b64 s[0:1], s[0:1], 3
	v_add_co_u32_e32 v6, vcc, 4, v4
	v_lshlrev_b64 v[2:3], 3, v[2:3]
	s_add_u32 s0, s20, s0
	v_addc_co_u32_e32 v7, vcc, 0, v5, vcc
	s_addc_u32 s1, s21, s1
	v_mov_b32_e32 v4, s1
	v_add_co_u32_e32 v2, vcc, s0, v2
	v_addc_co_u32_e32 v3, vcc, v4, v3, vcc
	v_add_co_u32_e32 v8, vcc, 4, v2
	v_lshlrev_b32_e32 v20, 3, v0
	v_addc_co_u32_e32 v9, vcc, 0, v3, vcc
	s_mov_b64 s[0:1], 0
	v_mov_b32_e32 v10, v11
	v_mov_b32_e32 v13, v11
	;; [unrolled: 1-line block ×7, first 2 shown]
.LBB1093_2:                             ; =>This Inner Loop Header: Depth=1
	global_load_dwordx2 v[2:3], v[6:7], off offset:-4
	s_add_u32 s0, s0, 8
	v_add_co_u32_e32 v6, vcc, 64, v6
	s_addc_u32 s1, s1, 0
	v_addc_co_u32_e32 v7, vcc, 0, v7, vcc
	s_waitcnt vmcnt(0)
	ds_write_b64 v18, v[2:3]
	global_load_dwordx2 v[2:3], v[8:9], off offset:-4
	v_add_co_u32_e32 v8, vcc, 64, v8
	v_addc_co_u32_e32 v9, vcc, 0, v9, vcc
	s_waitcnt vmcnt(0)
	ds_write_b64 v19, v[2:3]
	s_waitcnt lgkmcnt(0)
	s_barrier
	ds_read_b128 v[22:25], v21
	ds_read_b128 v[26:29], v21 offset:16
	ds_read_b128 v[30:33], v21 offset:32
	;; [unrolled: 1-line block ×3, first 2 shown]
	ds_read2_b64 v[34:37], v20 offset1:16
	s_waitcnt lgkmcnt(0)
	v_mul_f32_e32 v38, v23, v35
	v_mul_f32_e32 v39, v22, v35
	v_fma_f32 v38, v22, v34, -v38
	v_fmac_f32_e32 v39, v23, v34
	v_add_f32_e32 v38, v16, v38
	v_add_f32_e32 v39, v17, v39
	v_mul_f32_e32 v16, v23, v37
	v_mul_f32_e32 v17, v22, v37
	v_fma_f32 v16, v22, v36, -v16
	v_fmac_f32_e32 v17, v23, v36
	v_add_f32_e32 v22, v14, v16
	v_add_f32_e32 v23, v15, v17
	ds_read_b128 v[14:17], v21 offset:1024
	s_waitcnt lgkmcnt(0)
	v_mul_f32_e32 v40, v15, v35
	v_mul_f32_e32 v35, v14, v35
	v_fma_f32 v40, v14, v34, -v40
	v_fmac_f32_e32 v35, v15, v34
	v_add_f32_e32 v34, v12, v40
	v_add_f32_e32 v35, v13, v35
	v_mul_f32_e32 v12, v15, v37
	v_mul_f32_e32 v13, v14, v37
	v_fma_f32 v12, v14, v36, -v12
	v_fmac_f32_e32 v13, v15, v36
	v_add_f32_e32 v14, v10, v12
	v_add_f32_e32 v15, v11, v13
	ds_read2_b64 v[10:13], v20 offset0:32 offset1:48
	s_waitcnt lgkmcnt(0)
	v_mul_f32_e32 v36, v25, v11
	v_fma_f32 v36, v24, v10, -v36
	v_add_f32_e32 v36, v38, v36
	v_mul_f32_e32 v38, v25, v13
	v_mul_f32_e32 v37, v24, v11
	v_fma_f32 v38, v24, v12, -v38
	v_mul_f32_e32 v24, v24, v13
	v_fmac_f32_e32 v24, v25, v12
	v_add_f32_e32 v23, v23, v24
	v_mul_f32_e32 v24, v17, v11
	v_mul_f32_e32 v11, v16, v11
	v_fmac_f32_e32 v11, v17, v10
	v_fmac_f32_e32 v37, v25, v10
	v_fma_f32 v24, v16, v10, -v24
	v_add_f32_e32 v25, v35, v11
	v_mul_f32_e32 v10, v17, v13
	v_mul_f32_e32 v11, v16, v13
	v_fma_f32 v10, v16, v12, -v10
	v_fmac_f32_e32 v11, v17, v12
	v_add_f32_e32 v24, v34, v24
	v_add_f32_e32 v34, v14, v10
	;; [unrolled: 1-line block ×3, first 2 shown]
	ds_read2_b64 v[10:13], v20 offset0:64 offset1:80
	v_add_f32_e32 v37, v39, v37
	v_add_f32_e32 v22, v22, v38
	s_waitcnt lgkmcnt(0)
	v_mul_f32_e32 v14, v27, v11
	v_mul_f32_e32 v15, v26, v11
	v_fma_f32 v14, v26, v10, -v14
	v_fmac_f32_e32 v15, v27, v10
	v_add_f32_e32 v36, v36, v14
	v_add_f32_e32 v37, v37, v15
	v_mul_f32_e32 v14, v27, v13
	v_mul_f32_e32 v15, v26, v13
	v_fma_f32 v14, v26, v12, -v14
	v_fmac_f32_e32 v15, v27, v12
	v_add_f32_e32 v22, v22, v14
	v_add_f32_e32 v23, v23, v15
	ds_read_b128 v[14:17], v21 offset:1040
	s_waitcnt lgkmcnt(0)
	v_mul_f32_e32 v26, v15, v11
	v_mul_f32_e32 v11, v14, v11
	v_fmac_f32_e32 v11, v15, v10
	v_fma_f32 v26, v14, v10, -v26
	v_add_f32_e32 v25, v25, v11
	v_mul_f32_e32 v10, v15, v13
	v_mul_f32_e32 v11, v14, v13
	v_fma_f32 v10, v14, v12, -v10
	v_fmac_f32_e32 v11, v15, v12
	v_add_f32_e32 v14, v34, v10
	v_add_f32_e32 v15, v35, v11
	ds_read2_b64 v[10:13], v20 offset0:96 offset1:112
	v_add_f32_e32 v24, v24, v26
	s_waitcnt lgkmcnt(0)
	v_mul_f32_e32 v26, v29, v11
	v_mul_f32_e32 v34, v29, v13
	v_fma_f32 v26, v28, v10, -v26
	v_mul_f32_e32 v27, v28, v11
	v_fma_f32 v34, v28, v12, -v34
	v_mul_f32_e32 v28, v28, v13
	v_fmac_f32_e32 v28, v29, v12
	v_add_f32_e32 v23, v23, v28
	v_mul_f32_e32 v28, v17, v11
	v_mul_f32_e32 v11, v16, v11
	v_fmac_f32_e32 v11, v17, v10
	v_fmac_f32_e32 v27, v29, v10
	v_fma_f32 v28, v16, v10, -v28
	v_add_f32_e32 v25, v25, v11
	v_mul_f32_e32 v10, v17, v13
	v_mul_f32_e32 v11, v16, v13
	v_fma_f32 v10, v16, v12, -v10
	v_fmac_f32_e32 v11, v17, v12
	v_add_f32_e32 v24, v24, v28
	v_add_f32_e32 v28, v14, v10
	;; [unrolled: 1-line block ×3, first 2 shown]
	ds_read2_b64 v[10:13], v20 offset0:128 offset1:144
	v_add_f32_e32 v26, v36, v26
	v_add_f32_e32 v27, v37, v27
	;; [unrolled: 1-line block ×3, first 2 shown]
	s_waitcnt lgkmcnt(0)
	v_mul_f32_e32 v14, v31, v11
	v_mul_f32_e32 v15, v30, v11
	v_fma_f32 v14, v30, v10, -v14
	v_fmac_f32_e32 v15, v31, v10
	v_add_f32_e32 v26, v26, v14
	v_add_f32_e32 v27, v27, v15
	v_mul_f32_e32 v14, v31, v13
	v_mul_f32_e32 v15, v30, v13
	v_fma_f32 v14, v30, v12, -v14
	v_fmac_f32_e32 v15, v31, v12
	v_add_f32_e32 v22, v22, v14
	v_add_f32_e32 v23, v23, v15
	ds_read_b128 v[14:17], v21 offset:1056
	s_waitcnt lgkmcnt(0)
	v_mul_f32_e32 v30, v15, v11
	v_mul_f32_e32 v11, v14, v11
	v_fmac_f32_e32 v11, v15, v10
	v_fma_f32 v30, v14, v10, -v30
	v_add_f32_e32 v25, v25, v11
	v_mul_f32_e32 v10, v15, v13
	v_mul_f32_e32 v11, v14, v13
	v_fma_f32 v10, v14, v12, -v10
	v_fmac_f32_e32 v11, v15, v12
	v_add_f32_e32 v14, v28, v10
	v_add_f32_e32 v15, v29, v11
	ds_read2_b64 v[10:13], v20 offset0:160 offset1:176
	v_add_f32_e32 v24, v24, v30
	s_waitcnt lgkmcnt(0)
	v_mul_f32_e32 v28, v33, v11
	v_fma_f32 v28, v32, v10, -v28
	v_mul_f32_e32 v29, v32, v11
	v_add_f32_e32 v26, v26, v28
	v_mul_f32_e32 v28, v33, v13
	v_fmac_f32_e32 v29, v33, v10
	v_fma_f32 v28, v32, v12, -v28
	v_add_f32_e32 v27, v27, v29
	v_mul_f32_e32 v29, v32, v13
	v_add_f32_e32 v22, v22, v28
	v_mul_f32_e32 v28, v17, v11
	v_mul_f32_e32 v11, v16, v11
	v_fmac_f32_e32 v29, v33, v12
	v_fmac_f32_e32 v11, v17, v10
	v_add_f32_e32 v23, v23, v29
	v_fma_f32 v28, v16, v10, -v28
	v_add_f32_e32 v29, v25, v11
	v_mul_f32_e32 v10, v17, v13
	v_mul_f32_e32 v11, v16, v13
	v_fma_f32 v10, v16, v12, -v10
	v_fmac_f32_e32 v11, v17, v12
	v_add_f32_e32 v14, v14, v10
	v_add_f32_e32 v15, v15, v11
	ds_read2_b64 v[10:13], v20 offset0:192 offset1:208
	v_add_f32_e32 v28, v24, v28
	s_waitcnt lgkmcnt(0)
	v_mul_f32_e32 v16, v3, v11
	v_mul_f32_e32 v24, v3, v13
	v_fma_f32 v16, v2, v10, -v16
	v_mul_f32_e32 v17, v2, v11
	v_fma_f32 v24, v2, v12, -v24
	v_mul_f32_e32 v2, v2, v13
	v_fmac_f32_e32 v2, v3, v12
	v_fmac_f32_e32 v17, v3, v10
	v_add_f32_e32 v3, v22, v24
	v_add_f32_e32 v2, v23, v2
	ds_read_b128 v[22:25], v21 offset:1072
	v_add_f32_e32 v16, v26, v16
	v_add_f32_e32 v17, v27, v17
	s_waitcnt lgkmcnt(0)
	v_mul_f32_e32 v26, v23, v11
	v_fma_f32 v26, v22, v10, -v26
	v_mul_f32_e32 v11, v22, v11
	v_fmac_f32_e32 v11, v23, v10
	v_add_f32_e32 v10, v28, v26
	v_mul_f32_e32 v26, v23, v13
	v_fma_f32 v26, v22, v12, -v26
	v_add_f32_e32 v11, v29, v11
	v_mul_f32_e32 v13, v22, v13
	v_add_f32_e32 v22, v14, v26
	ds_read2_b64 v[26:29], v20 offset0:224 offset1:240
	v_fmac_f32_e32 v13, v23, v12
	v_add_f32_e32 v23, v15, v13
	s_waitcnt lgkmcnt(0)
	s_barrier
	v_mul_f32_e32 v12, v5, v27
	v_fma_f32 v12, v4, v26, -v12
	v_add_f32_e32 v16, v16, v12
	v_mul_f32_e32 v12, v5, v29
	v_mul_f32_e32 v13, v4, v27
	v_fma_f32 v12, v4, v28, -v12
	v_mul_f32_e32 v4, v4, v29
	v_fmac_f32_e32 v4, v5, v28
	v_add_f32_e32 v14, v3, v12
	v_add_f32_e32 v15, v2, v4
	v_mul_f32_e32 v2, v25, v27
	v_mul_f32_e32 v3, v24, v27
	v_fmac_f32_e32 v13, v5, v26
	v_fma_f32 v2, v24, v26, -v2
	v_fmac_f32_e32 v3, v25, v26
	v_add_f32_e32 v17, v17, v13
	v_add_f32_e32 v12, v10, v2
	;; [unrolled: 1-line block ×3, first 2 shown]
	v_mul_f32_e32 v2, v25, v29
	v_mul_f32_e32 v3, v24, v29
	v_fma_f32 v2, v24, v28, -v2
	v_fmac_f32_e32 v3, v25, v28
	v_add_f32_e32 v10, v22, v2
	v_add_f32_e32 v11, v23, v3
	v_mov_b32_e32 v3, s1
	v_mov_b32_e32 v2, s0
	v_cmp_le_u64_e32 vcc, s[12:13], v[2:3]
	s_cbranch_vccz .LBB1093_2
	s_branch .LBB1093_4
.LBB1093_3:
	v_mov_b32_e32 v16, 0
	v_mov_b32_e32 v17, 0
	;; [unrolled: 1-line block ×8, first 2 shown]
.LBB1093_4:
	s_load_dwordx4 s[12:15], s[4:5], 0x48
	s_load_dword s9, s[4:5], 0x0
	v_add_u32_e32 v4, s3, v1
	v_ashrrev_i32_e32 v1, 31, v4
	v_add_u32_e32 v0, s2, v0
	s_waitcnt lgkmcnt(0)
	v_mul_lo_u32 v3, s12, v1
	v_mul_lo_u32 v5, s13, v4
	v_mad_u64_u32 v[1:2], s[4:5], s12, v4, 0
	s_mul_i32 s1, s15, s8
	s_mul_hi_u32 s3, s14, s8
	s_mul_i32 s0, s14, s8
	s_add_i32 s1, s3, s1
	s_lshl_b64 s[0:1], s[0:1], 3
	v_add3_u32 v2, v2, v3, v5
	s_add_u32 s6, s26, s0
	v_lshlrev_b64 v[1:2], 3, v[1:2]
	s_addc_u32 s7, s27, s1
	v_mov_b32_e32 v3, s7
	v_add_co_u32_e32 v5, vcc, s6, v1
	v_addc_co_u32_e32 v6, vcc, v3, v2, vcc
	v_cmp_le_i32_e64 s[0:1], v4, v0
	v_cmp_gt_i32_e32 vcc, s9, v0
	s_and_b64 s[0:1], s[0:1], vcc
	s_and_saveexec_b64 s[2:3], s[0:1]
	s_cbranch_execz .LBB1093_6
; %bb.5:
	v_ashrrev_i32_e32 v1, 31, v0
	v_lshlrev_b64 v[1:2], 3, v[0:1]
	v_add_co_u32_e64 v1, s[0:1], v5, v1
	v_addc_co_u32_e64 v2, s[0:1], v6, v2, s[0:1]
	global_store_dwordx2 v[1:2], v[16:17], off
.LBB1093_6:
	s_or_b64 exec, exec, s[2:3]
	v_add_u32_e32 v2, 16, v0
	v_cmp_le_i32_e64 s[2:3], v4, v2
	v_cmp_gt_i32_e64 s[0:1], s9, v2
	s_and_b64 s[2:3], s[2:3], s[0:1]
	s_and_saveexec_b64 s[4:5], s[2:3]
	s_cbranch_execz .LBB1093_8
; %bb.7:
	v_ashrrev_i32_e32 v3, 31, v2
	v_lshlrev_b64 v[7:8], 3, v[2:3]
	v_add_co_u32_e64 v5, s[2:3], v5, v7
	v_addc_co_u32_e64 v6, s[2:3], v6, v8, s[2:3]
	global_store_dwordx2 v[5:6], v[14:15], off
.LBB1093_8:
	s_or_b64 exec, exec, s[4:5]
	v_add_u32_e32 v3, 16, v4
	v_ashrrev_i32_e32 v1, 31, v3
	v_mul_lo_u32 v6, s13, v3
	v_mad_u64_u32 v[4:5], s[2:3], s12, v3, 0
	v_mul_lo_u32 v1, s12, v1
	v_add3_u32 v5, v5, v1, v6
	v_lshlrev_b64 v[4:5], 3, v[4:5]
	v_mov_b32_e32 v1, s7
	v_add_co_u32_e64 v4, s[2:3], s6, v4
	v_addc_co_u32_e64 v5, s[2:3], v1, v5, s[2:3]
	v_cmp_le_i32_e64 s[2:3], v3, v0
	s_and_b64 s[4:5], s[2:3], vcc
	s_and_saveexec_b64 s[2:3], s[4:5]
	s_cbranch_execz .LBB1093_10
; %bb.9:
	v_ashrrev_i32_e32 v1, 31, v0
	v_lshlrev_b64 v[0:1], 3, v[0:1]
	v_add_co_u32_e32 v0, vcc, v4, v0
	v_addc_co_u32_e32 v1, vcc, v5, v1, vcc
	global_store_dwordx2 v[0:1], v[12:13], off
.LBB1093_10:
	s_or_b64 exec, exec, s[2:3]
	v_cmp_le_i32_e32 vcc, v3, v2
	s_and_b64 s[0:1], vcc, s[0:1]
	s_and_saveexec_b64 s[2:3], s[0:1]
	s_cbranch_execz .LBB1093_12
; %bb.11:
	v_ashrrev_i32_e32 v3, 31, v2
	v_lshlrev_b64 v[0:1], 3, v[2:3]
	v_add_co_u32_e32 v0, vcc, v4, v0
	v_addc_co_u32_e32 v1, vcc, v5, v1, vcc
	global_store_dwordx2 v[0:1], v[10:11], off
.LBB1093_12:
	s_endpgm
	.section	.rodata,"a",@progbits
	.p2align	6, 0x0
	.amdhsa_kernel _ZL37rocblas_syrkx_herkx_restricted_kernelIl19rocblas_complex_numIfELi16ELi32ELi8ELi1ELi0ELb0ELc67ELc76EKS1_S1_EviT_PT9_S3_lS5_S3_lPT10_S3_li
		.amdhsa_group_segment_fixed_size 4096
		.amdhsa_private_segment_fixed_size 0
		.amdhsa_kernarg_size 92
		.amdhsa_user_sgpr_count 6
		.amdhsa_user_sgpr_private_segment_buffer 1
		.amdhsa_user_sgpr_dispatch_ptr 0
		.amdhsa_user_sgpr_queue_ptr 0
		.amdhsa_user_sgpr_kernarg_segment_ptr 1
		.amdhsa_user_sgpr_dispatch_id 0
		.amdhsa_user_sgpr_flat_scratch_init 0
		.amdhsa_user_sgpr_private_segment_size 0
		.amdhsa_uses_dynamic_stack 0
		.amdhsa_system_sgpr_private_segment_wavefront_offset 0
		.amdhsa_system_sgpr_workgroup_id_x 1
		.amdhsa_system_sgpr_workgroup_id_y 1
		.amdhsa_system_sgpr_workgroup_id_z 1
		.amdhsa_system_sgpr_workgroup_info 0
		.amdhsa_system_vgpr_workitem_id 1
		.amdhsa_next_free_vgpr 41
		.amdhsa_next_free_sgpr 28
		.amdhsa_reserve_vcc 1
		.amdhsa_reserve_flat_scratch 0
		.amdhsa_float_round_mode_32 0
		.amdhsa_float_round_mode_16_64 0
		.amdhsa_float_denorm_mode_32 3
		.amdhsa_float_denorm_mode_16_64 3
		.amdhsa_dx10_clamp 1
		.amdhsa_ieee_mode 1
		.amdhsa_fp16_overflow 0
		.amdhsa_exception_fp_ieee_invalid_op 0
		.amdhsa_exception_fp_denorm_src 0
		.amdhsa_exception_fp_ieee_div_zero 0
		.amdhsa_exception_fp_ieee_overflow 0
		.amdhsa_exception_fp_ieee_underflow 0
		.amdhsa_exception_fp_ieee_inexact 0
		.amdhsa_exception_int_div_zero 0
	.end_amdhsa_kernel
	.section	.text._ZL37rocblas_syrkx_herkx_restricted_kernelIl19rocblas_complex_numIfELi16ELi32ELi8ELi1ELi0ELb0ELc67ELc76EKS1_S1_EviT_PT9_S3_lS5_S3_lPT10_S3_li,"axG",@progbits,_ZL37rocblas_syrkx_herkx_restricted_kernelIl19rocblas_complex_numIfELi16ELi32ELi8ELi1ELi0ELb0ELc67ELc76EKS1_S1_EviT_PT9_S3_lS5_S3_lPT10_S3_li,comdat
.Lfunc_end1093:
	.size	_ZL37rocblas_syrkx_herkx_restricted_kernelIl19rocblas_complex_numIfELi16ELi32ELi8ELi1ELi0ELb0ELc67ELc76EKS1_S1_EviT_PT9_S3_lS5_S3_lPT10_S3_li, .Lfunc_end1093-_ZL37rocblas_syrkx_herkx_restricted_kernelIl19rocblas_complex_numIfELi16ELi32ELi8ELi1ELi0ELb0ELc67ELc76EKS1_S1_EviT_PT9_S3_lS5_S3_lPT10_S3_li
                                        ; -- End function
	.set _ZL37rocblas_syrkx_herkx_restricted_kernelIl19rocblas_complex_numIfELi16ELi32ELi8ELi1ELi0ELb0ELc67ELc76EKS1_S1_EviT_PT9_S3_lS5_S3_lPT10_S3_li.num_vgpr, 41
	.set _ZL37rocblas_syrkx_herkx_restricted_kernelIl19rocblas_complex_numIfELi16ELi32ELi8ELi1ELi0ELb0ELc67ELc76EKS1_S1_EviT_PT9_S3_lS5_S3_lPT10_S3_li.num_agpr, 0
	.set _ZL37rocblas_syrkx_herkx_restricted_kernelIl19rocblas_complex_numIfELi16ELi32ELi8ELi1ELi0ELb0ELc67ELc76EKS1_S1_EviT_PT9_S3_lS5_S3_lPT10_S3_li.numbered_sgpr, 28
	.set _ZL37rocblas_syrkx_herkx_restricted_kernelIl19rocblas_complex_numIfELi16ELi32ELi8ELi1ELi0ELb0ELc67ELc76EKS1_S1_EviT_PT9_S3_lS5_S3_lPT10_S3_li.num_named_barrier, 0
	.set _ZL37rocblas_syrkx_herkx_restricted_kernelIl19rocblas_complex_numIfELi16ELi32ELi8ELi1ELi0ELb0ELc67ELc76EKS1_S1_EviT_PT9_S3_lS5_S3_lPT10_S3_li.private_seg_size, 0
	.set _ZL37rocblas_syrkx_herkx_restricted_kernelIl19rocblas_complex_numIfELi16ELi32ELi8ELi1ELi0ELb0ELc67ELc76EKS1_S1_EviT_PT9_S3_lS5_S3_lPT10_S3_li.uses_vcc, 1
	.set _ZL37rocblas_syrkx_herkx_restricted_kernelIl19rocblas_complex_numIfELi16ELi32ELi8ELi1ELi0ELb0ELc67ELc76EKS1_S1_EviT_PT9_S3_lS5_S3_lPT10_S3_li.uses_flat_scratch, 0
	.set _ZL37rocblas_syrkx_herkx_restricted_kernelIl19rocblas_complex_numIfELi16ELi32ELi8ELi1ELi0ELb0ELc67ELc76EKS1_S1_EviT_PT9_S3_lS5_S3_lPT10_S3_li.has_dyn_sized_stack, 0
	.set _ZL37rocblas_syrkx_herkx_restricted_kernelIl19rocblas_complex_numIfELi16ELi32ELi8ELi1ELi0ELb0ELc67ELc76EKS1_S1_EviT_PT9_S3_lS5_S3_lPT10_S3_li.has_recursion, 0
	.set _ZL37rocblas_syrkx_herkx_restricted_kernelIl19rocblas_complex_numIfELi16ELi32ELi8ELi1ELi0ELb0ELc67ELc76EKS1_S1_EviT_PT9_S3_lS5_S3_lPT10_S3_li.has_indirect_call, 0
	.section	.AMDGPU.csdata,"",@progbits
; Kernel info:
; codeLenInByte = 1960
; TotalNumSgprs: 32
; NumVgprs: 41
; ScratchSize: 0
; MemoryBound: 0
; FloatMode: 240
; IeeeMode: 1
; LDSByteSize: 4096 bytes/workgroup (compile time only)
; SGPRBlocks: 3
; VGPRBlocks: 10
; NumSGPRsForWavesPerEU: 32
; NumVGPRsForWavesPerEU: 41
; Occupancy: 5
; WaveLimiterHint : 1
; COMPUTE_PGM_RSRC2:SCRATCH_EN: 0
; COMPUTE_PGM_RSRC2:USER_SGPR: 6
; COMPUTE_PGM_RSRC2:TRAP_HANDLER: 0
; COMPUTE_PGM_RSRC2:TGID_X_EN: 1
; COMPUTE_PGM_RSRC2:TGID_Y_EN: 1
; COMPUTE_PGM_RSRC2:TGID_Z_EN: 1
; COMPUTE_PGM_RSRC2:TIDIG_COMP_CNT: 1
	.section	.text._ZL37rocblas_syrkx_herkx_restricted_kernelIl19rocblas_complex_numIfELi16ELi32ELi8ELi1ELi0ELb0ELc78ELc76EKS1_S1_EviT_PT9_S3_lS5_S3_lPT10_S3_li,"axG",@progbits,_ZL37rocblas_syrkx_herkx_restricted_kernelIl19rocblas_complex_numIfELi16ELi32ELi8ELi1ELi0ELb0ELc78ELc76EKS1_S1_EviT_PT9_S3_lS5_S3_lPT10_S3_li,comdat
	.globl	_ZL37rocblas_syrkx_herkx_restricted_kernelIl19rocblas_complex_numIfELi16ELi32ELi8ELi1ELi0ELb0ELc78ELc76EKS1_S1_EviT_PT9_S3_lS5_S3_lPT10_S3_li ; -- Begin function _ZL37rocblas_syrkx_herkx_restricted_kernelIl19rocblas_complex_numIfELi16ELi32ELi8ELi1ELi0ELb0ELc78ELc76EKS1_S1_EviT_PT9_S3_lS5_S3_lPT10_S3_li
	.p2align	8
	.type	_ZL37rocblas_syrkx_herkx_restricted_kernelIl19rocblas_complex_numIfELi16ELi32ELi8ELi1ELi0ELb0ELc78ELc76EKS1_S1_EviT_PT9_S3_lS5_S3_lPT10_S3_li,@function
_ZL37rocblas_syrkx_herkx_restricted_kernelIl19rocblas_complex_numIfELi16ELi32ELi8ELi1ELi0ELb0ELc78ELc76EKS1_S1_EviT_PT9_S3_lS5_S3_lPT10_S3_li: ; @_ZL37rocblas_syrkx_herkx_restricted_kernelIl19rocblas_complex_numIfELi16ELi32ELi8ELi1ELi0ELb0ELc78ELc76EKS1_S1_EviT_PT9_S3_lS5_S3_lPT10_S3_li
; %bb.0:
	s_load_dwordx16 s[12:27], s[4:5], 0x8
	s_lshl_b32 s9, s6, 5
	s_lshl_b32 s10, s7, 5
	s_waitcnt lgkmcnt(0)
	v_cmp_lt_i64_e64 s[0:1], s[12:13], 1
	s_and_b64 vcc, exec, s[0:1]
	s_cbranch_vccnz .LBB1094_3
; %bb.1:
	v_lshl_add_u32 v6, v1, 4, v0
	v_lshrrev_b32_e32 v7, 3, v6
	v_add_u32_e32 v2, s10, v7
	v_and_b32_e32 v5, 7, v0
	v_ashrrev_i32_e32 v3, 31, v2
	v_mad_u64_u32 v[2:3], s[0:1], s22, v5, v[2:3]
	v_lshrrev_b32_e32 v8, 5, v6
	s_mul_i32 s2, s19, s8
	v_mad_u64_u32 v[3:4], s[0:1], s23, v5, v[3:4]
	v_and_b32_e32 v4, 31, v6
	v_lshlrev_b32_e32 v5, 3, v5
	v_lshlrev_b32_e32 v6, 3, v4
	v_lshl_or_b32 v5, v7, 6, v5
	v_add_u32_e32 v4, s9, v4
	v_add_u32_e32 v19, 0x800, v5
	v_ashrrev_i32_e32 v5, 31, v4
	v_mad_u64_u32 v[4:5], s[0:1], s16, v8, v[4:5]
	v_lshl_or_b32 v18, v8, 8, v6
	v_mov_b32_e32 v6, 0x800
	v_lshl_add_u32 v21, v1, 6, v6
	v_mad_u64_u32 v[5:6], s[0:1], s17, v8, v[5:6]
	s_mul_hi_u32 s3, s18, s8
	s_add_i32 s1, s3, s2
	s_mul_i32 s0, s18, s8
	s_lshl_b64 s[0:1], s[0:1], 3
	v_lshlrev_b64 v[4:5], 3, v[4:5]
	s_add_u32 s0, s14, s0
	s_addc_u32 s1, s15, s1
	s_mul_i32 s2, s25, s8
	s_mul_hi_u32 s3, s24, s8
	v_mov_b32_e32 v6, s1
	v_add_co_u32_e32 v4, vcc, s0, v4
	s_add_i32 s3, s3, s2
	s_mul_i32 s2, s24, s8
	v_addc_co_u32_e32 v5, vcc, v6, v5, vcc
	s_lshl_b64 s[0:1], s[16:17], 6
	s_lshl_b64 s[2:3], s[2:3], 3
	v_add_co_u32_e32 v6, vcc, 4, v4
	v_lshlrev_b64 v[2:3], 3, v[2:3]
	s_add_u32 s2, s20, s2
	v_addc_co_u32_e32 v7, vcc, 0, v5, vcc
	s_addc_u32 s3, s21, s3
	v_mov_b32_e32 v4, s3
	v_add_co_u32_e32 v2, vcc, s2, v2
	v_addc_co_u32_e32 v3, vcc, v4, v3, vcc
	v_add_co_u32_e32 v8, vcc, 4, v2
	s_lshl_b64 s[2:3], s[22:23], 6
	v_lshlrev_b32_e32 v20, 3, v0
	v_addc_co_u32_e32 v9, vcc, 0, v3, vcc
	v_mov_b32_e32 v11, 0
	s_mov_b64 s[6:7], 0
	v_mov_b32_e32 v22, s1
	v_mov_b32_e32 v23, s3
	;; [unrolled: 1-line block ×9, first 2 shown]
.LBB1094_2:                             ; =>This Inner Loop Header: Depth=1
	global_load_dwordx2 v[2:3], v[6:7], off offset:-4
	v_add_co_u32_e32 v6, vcc, s0, v6
	s_add_u32 s6, s6, 8
	v_addc_co_u32_e32 v7, vcc, v7, v22, vcc
	s_addc_u32 s7, s7, 0
	s_waitcnt vmcnt(0)
	ds_write_b64 v18, v[2:3]
	global_load_dwordx2 v[2:3], v[8:9], off offset:-4
	v_add_co_u32_e32 v8, vcc, s2, v8
	v_addc_co_u32_e32 v9, vcc, v9, v23, vcc
	s_waitcnt vmcnt(0)
	ds_write_b64 v19, v[2:3]
	s_waitcnt lgkmcnt(0)
	s_barrier
	ds_read_b128 v[24:27], v21
	ds_read_b128 v[28:31], v21 offset:16
	ds_read_b128 v[32:35], v21 offset:32
	;; [unrolled: 1-line block ×3, first 2 shown]
	ds_read2_b64 v[36:39], v20 offset1:16
	s_waitcnt lgkmcnt(0)
	v_mul_f32_e32 v40, v25, v37
	v_mul_f32_e32 v41, v24, v37
	v_fma_f32 v40, v24, v36, -v40
	v_fmac_f32_e32 v41, v25, v36
	v_add_f32_e32 v40, v16, v40
	v_add_f32_e32 v41, v17, v41
	v_mul_f32_e32 v16, v25, v39
	v_mul_f32_e32 v17, v24, v39
	v_fma_f32 v16, v24, v38, -v16
	v_fmac_f32_e32 v17, v25, v38
	v_add_f32_e32 v24, v14, v16
	v_add_f32_e32 v25, v15, v17
	ds_read_b128 v[14:17], v21 offset:1024
	s_waitcnt lgkmcnt(0)
	v_mul_f32_e32 v42, v15, v37
	v_mul_f32_e32 v37, v14, v37
	v_fma_f32 v42, v14, v36, -v42
	v_fmac_f32_e32 v37, v15, v36
	v_add_f32_e32 v36, v12, v42
	v_add_f32_e32 v37, v13, v37
	v_mul_f32_e32 v12, v15, v39
	v_mul_f32_e32 v13, v14, v39
	v_fma_f32 v12, v14, v38, -v12
	v_fmac_f32_e32 v13, v15, v38
	v_add_f32_e32 v14, v10, v12
	v_add_f32_e32 v15, v11, v13
	ds_read2_b64 v[10:13], v20 offset0:32 offset1:48
	s_waitcnt lgkmcnt(0)
	v_mul_f32_e32 v38, v27, v11
	v_fma_f32 v38, v26, v10, -v38
	v_add_f32_e32 v38, v40, v38
	v_mul_f32_e32 v40, v27, v13
	v_mul_f32_e32 v39, v26, v11
	v_fma_f32 v40, v26, v12, -v40
	v_mul_f32_e32 v26, v26, v13
	v_fmac_f32_e32 v26, v27, v12
	v_add_f32_e32 v25, v25, v26
	v_mul_f32_e32 v26, v17, v11
	v_mul_f32_e32 v11, v16, v11
	v_fmac_f32_e32 v11, v17, v10
	v_fmac_f32_e32 v39, v27, v10
	v_fma_f32 v26, v16, v10, -v26
	v_add_f32_e32 v27, v37, v11
	v_mul_f32_e32 v10, v17, v13
	v_mul_f32_e32 v11, v16, v13
	v_fma_f32 v10, v16, v12, -v10
	v_fmac_f32_e32 v11, v17, v12
	v_add_f32_e32 v26, v36, v26
	v_add_f32_e32 v36, v14, v10
	;; [unrolled: 1-line block ×3, first 2 shown]
	ds_read2_b64 v[10:13], v20 offset0:64 offset1:80
	v_add_f32_e32 v39, v41, v39
	v_add_f32_e32 v24, v24, v40
	s_waitcnt lgkmcnt(0)
	v_mul_f32_e32 v14, v29, v11
	v_mul_f32_e32 v15, v28, v11
	v_fma_f32 v14, v28, v10, -v14
	v_fmac_f32_e32 v15, v29, v10
	v_add_f32_e32 v38, v38, v14
	v_add_f32_e32 v39, v39, v15
	v_mul_f32_e32 v14, v29, v13
	v_mul_f32_e32 v15, v28, v13
	v_fma_f32 v14, v28, v12, -v14
	v_fmac_f32_e32 v15, v29, v12
	v_add_f32_e32 v24, v24, v14
	v_add_f32_e32 v25, v25, v15
	ds_read_b128 v[14:17], v21 offset:1040
	s_waitcnt lgkmcnt(0)
	v_mul_f32_e32 v28, v15, v11
	v_mul_f32_e32 v11, v14, v11
	v_fmac_f32_e32 v11, v15, v10
	v_fma_f32 v28, v14, v10, -v28
	v_add_f32_e32 v27, v27, v11
	v_mul_f32_e32 v10, v15, v13
	v_mul_f32_e32 v11, v14, v13
	v_fma_f32 v10, v14, v12, -v10
	v_fmac_f32_e32 v11, v15, v12
	v_add_f32_e32 v14, v36, v10
	v_add_f32_e32 v15, v37, v11
	ds_read2_b64 v[10:13], v20 offset0:96 offset1:112
	v_add_f32_e32 v26, v26, v28
	s_waitcnt lgkmcnt(0)
	v_mul_f32_e32 v28, v31, v11
	v_mul_f32_e32 v36, v31, v13
	v_fma_f32 v28, v30, v10, -v28
	v_mul_f32_e32 v29, v30, v11
	v_fma_f32 v36, v30, v12, -v36
	v_mul_f32_e32 v30, v30, v13
	v_fmac_f32_e32 v30, v31, v12
	v_add_f32_e32 v25, v25, v30
	v_mul_f32_e32 v30, v17, v11
	v_mul_f32_e32 v11, v16, v11
	v_fmac_f32_e32 v11, v17, v10
	v_fmac_f32_e32 v29, v31, v10
	v_fma_f32 v30, v16, v10, -v30
	v_add_f32_e32 v27, v27, v11
	v_mul_f32_e32 v10, v17, v13
	v_mul_f32_e32 v11, v16, v13
	v_fma_f32 v10, v16, v12, -v10
	v_fmac_f32_e32 v11, v17, v12
	v_add_f32_e32 v26, v26, v30
	v_add_f32_e32 v30, v14, v10
	;; [unrolled: 1-line block ×3, first 2 shown]
	ds_read2_b64 v[10:13], v20 offset0:128 offset1:144
	v_add_f32_e32 v28, v38, v28
	v_add_f32_e32 v29, v39, v29
	;; [unrolled: 1-line block ×3, first 2 shown]
	s_waitcnt lgkmcnt(0)
	v_mul_f32_e32 v14, v33, v11
	v_mul_f32_e32 v15, v32, v11
	v_fma_f32 v14, v32, v10, -v14
	v_fmac_f32_e32 v15, v33, v10
	v_add_f32_e32 v28, v28, v14
	v_add_f32_e32 v29, v29, v15
	v_mul_f32_e32 v14, v33, v13
	v_mul_f32_e32 v15, v32, v13
	v_fma_f32 v14, v32, v12, -v14
	v_fmac_f32_e32 v15, v33, v12
	v_add_f32_e32 v24, v24, v14
	v_add_f32_e32 v25, v25, v15
	ds_read_b128 v[14:17], v21 offset:1056
	s_waitcnt lgkmcnt(0)
	v_mul_f32_e32 v32, v15, v11
	v_mul_f32_e32 v11, v14, v11
	v_fmac_f32_e32 v11, v15, v10
	v_fma_f32 v32, v14, v10, -v32
	v_add_f32_e32 v27, v27, v11
	v_mul_f32_e32 v10, v15, v13
	v_mul_f32_e32 v11, v14, v13
	v_fma_f32 v10, v14, v12, -v10
	v_fmac_f32_e32 v11, v15, v12
	v_add_f32_e32 v14, v30, v10
	v_add_f32_e32 v15, v31, v11
	ds_read2_b64 v[10:13], v20 offset0:160 offset1:176
	v_add_f32_e32 v26, v26, v32
	s_waitcnt lgkmcnt(0)
	v_mul_f32_e32 v30, v35, v11
	v_fma_f32 v30, v34, v10, -v30
	v_mul_f32_e32 v31, v34, v11
	v_add_f32_e32 v28, v28, v30
	v_mul_f32_e32 v30, v35, v13
	v_fmac_f32_e32 v31, v35, v10
	v_fma_f32 v30, v34, v12, -v30
	v_add_f32_e32 v29, v29, v31
	v_mul_f32_e32 v31, v34, v13
	v_add_f32_e32 v24, v24, v30
	v_mul_f32_e32 v30, v17, v11
	v_mul_f32_e32 v11, v16, v11
	v_fmac_f32_e32 v31, v35, v12
	v_fmac_f32_e32 v11, v17, v10
	v_add_f32_e32 v25, v25, v31
	v_fma_f32 v30, v16, v10, -v30
	v_add_f32_e32 v31, v27, v11
	v_mul_f32_e32 v10, v17, v13
	v_mul_f32_e32 v11, v16, v13
	v_fma_f32 v10, v16, v12, -v10
	v_fmac_f32_e32 v11, v17, v12
	v_add_f32_e32 v14, v14, v10
	v_add_f32_e32 v15, v15, v11
	ds_read2_b64 v[10:13], v20 offset0:192 offset1:208
	v_add_f32_e32 v30, v26, v30
	s_waitcnt lgkmcnt(0)
	v_mul_f32_e32 v16, v3, v11
	v_mul_f32_e32 v26, v3, v13
	v_fma_f32 v16, v2, v10, -v16
	v_mul_f32_e32 v17, v2, v11
	v_fma_f32 v26, v2, v12, -v26
	v_mul_f32_e32 v2, v2, v13
	v_fmac_f32_e32 v2, v3, v12
	v_fmac_f32_e32 v17, v3, v10
	v_add_f32_e32 v3, v24, v26
	v_add_f32_e32 v2, v25, v2
	ds_read_b128 v[24:27], v21 offset:1072
	v_add_f32_e32 v16, v28, v16
	v_add_f32_e32 v17, v29, v17
	s_waitcnt lgkmcnt(0)
	v_mul_f32_e32 v28, v25, v11
	v_fma_f32 v28, v24, v10, -v28
	v_mul_f32_e32 v11, v24, v11
	v_fmac_f32_e32 v11, v25, v10
	v_add_f32_e32 v10, v30, v28
	v_mul_f32_e32 v28, v25, v13
	v_fma_f32 v28, v24, v12, -v28
	v_add_f32_e32 v11, v31, v11
	v_mul_f32_e32 v13, v24, v13
	v_add_f32_e32 v24, v14, v28
	ds_read2_b64 v[28:31], v20 offset0:224 offset1:240
	v_fmac_f32_e32 v13, v25, v12
	v_add_f32_e32 v25, v15, v13
	s_waitcnt lgkmcnt(0)
	s_barrier
	v_mul_f32_e32 v12, v5, v29
	v_fma_f32 v12, v4, v28, -v12
	v_add_f32_e32 v16, v16, v12
	v_mul_f32_e32 v12, v5, v31
	v_mul_f32_e32 v13, v4, v29
	v_fma_f32 v12, v4, v30, -v12
	v_mul_f32_e32 v4, v4, v31
	v_fmac_f32_e32 v4, v5, v30
	v_add_f32_e32 v14, v3, v12
	v_add_f32_e32 v15, v2, v4
	v_mul_f32_e32 v2, v27, v29
	v_mul_f32_e32 v3, v26, v29
	v_fmac_f32_e32 v13, v5, v28
	v_fma_f32 v2, v26, v28, -v2
	v_fmac_f32_e32 v3, v27, v28
	v_add_f32_e32 v17, v17, v13
	v_add_f32_e32 v12, v10, v2
	;; [unrolled: 1-line block ×3, first 2 shown]
	v_mul_f32_e32 v2, v27, v31
	v_mul_f32_e32 v3, v26, v31
	v_fma_f32 v2, v26, v30, -v2
	v_fmac_f32_e32 v3, v27, v30
	v_add_f32_e32 v10, v24, v2
	v_add_f32_e32 v11, v25, v3
	v_mov_b32_e32 v2, s6
	v_mov_b32_e32 v3, s7
	v_cmp_le_u64_e32 vcc, s[12:13], v[2:3]
	s_cbranch_vccz .LBB1094_2
	s_branch .LBB1094_4
.LBB1094_3:
	v_mov_b32_e32 v16, 0
	v_mov_b32_e32 v17, 0
	;; [unrolled: 1-line block ×8, first 2 shown]
.LBB1094_4:
	s_load_dwordx4 s[12:15], s[4:5], 0x48
	s_load_dword s11, s[4:5], 0x0
	v_add_u32_e32 v4, s10, v1
	v_ashrrev_i32_e32 v1, 31, v4
	v_add_u32_e32 v0, s9, v0
	s_waitcnt lgkmcnt(0)
	s_mul_i32 s1, s15, s8
	s_mul_hi_u32 s2, s14, s8
	s_add_i32 s1, s2, s1
	v_mul_lo_u32 v3, s12, v1
	v_mul_lo_u32 v5, s13, v4
	v_mad_u64_u32 v[1:2], s[2:3], s12, v4, 0
	s_mul_i32 s0, s14, s8
	s_lshl_b64 s[0:1], s[0:1], 3
	v_add3_u32 v2, v2, v3, v5
	s_add_u32 s6, s26, s0
	v_lshlrev_b64 v[1:2], 3, v[1:2]
	s_addc_u32 s7, s27, s1
	v_mov_b32_e32 v3, s7
	v_add_co_u32_e32 v5, vcc, s6, v1
	v_addc_co_u32_e32 v6, vcc, v3, v2, vcc
	v_cmp_le_i32_e64 s[0:1], v4, v0
	v_cmp_gt_i32_e32 vcc, s11, v0
	s_and_b64 s[0:1], s[0:1], vcc
	s_and_saveexec_b64 s[2:3], s[0:1]
	s_cbranch_execz .LBB1094_6
; %bb.5:
	v_ashrrev_i32_e32 v1, 31, v0
	v_lshlrev_b64 v[1:2], 3, v[0:1]
	v_add_co_u32_e64 v1, s[0:1], v5, v1
	v_addc_co_u32_e64 v2, s[0:1], v6, v2, s[0:1]
	global_store_dwordx2 v[1:2], v[16:17], off
.LBB1094_6:
	s_or_b64 exec, exec, s[2:3]
	v_add_u32_e32 v2, 16, v0
	v_cmp_le_i32_e64 s[2:3], v4, v2
	v_cmp_gt_i32_e64 s[0:1], s11, v2
	s_and_b64 s[2:3], s[2:3], s[0:1]
	s_and_saveexec_b64 s[4:5], s[2:3]
	s_cbranch_execz .LBB1094_8
; %bb.7:
	v_ashrrev_i32_e32 v3, 31, v2
	v_lshlrev_b64 v[7:8], 3, v[2:3]
	v_add_co_u32_e64 v5, s[2:3], v5, v7
	v_addc_co_u32_e64 v6, s[2:3], v6, v8, s[2:3]
	global_store_dwordx2 v[5:6], v[14:15], off
.LBB1094_8:
	s_or_b64 exec, exec, s[4:5]
	v_add_u32_e32 v3, 16, v4
	v_ashrrev_i32_e32 v1, 31, v3
	v_mul_lo_u32 v6, s13, v3
	v_mad_u64_u32 v[4:5], s[2:3], s12, v3, 0
	v_mul_lo_u32 v1, s12, v1
	v_add3_u32 v5, v5, v1, v6
	v_lshlrev_b64 v[4:5], 3, v[4:5]
	v_mov_b32_e32 v1, s7
	v_add_co_u32_e64 v4, s[2:3], s6, v4
	v_addc_co_u32_e64 v5, s[2:3], v1, v5, s[2:3]
	v_cmp_le_i32_e64 s[2:3], v3, v0
	s_and_b64 s[4:5], s[2:3], vcc
	s_and_saveexec_b64 s[2:3], s[4:5]
	s_cbranch_execz .LBB1094_10
; %bb.9:
	v_ashrrev_i32_e32 v1, 31, v0
	v_lshlrev_b64 v[0:1], 3, v[0:1]
	v_add_co_u32_e32 v0, vcc, v4, v0
	v_addc_co_u32_e32 v1, vcc, v5, v1, vcc
	global_store_dwordx2 v[0:1], v[12:13], off
.LBB1094_10:
	s_or_b64 exec, exec, s[2:3]
	v_cmp_le_i32_e32 vcc, v3, v2
	s_and_b64 s[0:1], vcc, s[0:1]
	s_and_saveexec_b64 s[2:3], s[0:1]
	s_cbranch_execz .LBB1094_12
; %bb.11:
	v_ashrrev_i32_e32 v3, 31, v2
	v_lshlrev_b64 v[0:1], 3, v[2:3]
	v_add_co_u32_e32 v0, vcc, v4, v0
	v_addc_co_u32_e32 v1, vcc, v5, v1, vcc
	global_store_dwordx2 v[0:1], v[10:11], off
.LBB1094_12:
	s_endpgm
	.section	.rodata,"a",@progbits
	.p2align	6, 0x0
	.amdhsa_kernel _ZL37rocblas_syrkx_herkx_restricted_kernelIl19rocblas_complex_numIfELi16ELi32ELi8ELi1ELi0ELb0ELc78ELc76EKS1_S1_EviT_PT9_S3_lS5_S3_lPT10_S3_li
		.amdhsa_group_segment_fixed_size 4096
		.amdhsa_private_segment_fixed_size 0
		.amdhsa_kernarg_size 92
		.amdhsa_user_sgpr_count 6
		.amdhsa_user_sgpr_private_segment_buffer 1
		.amdhsa_user_sgpr_dispatch_ptr 0
		.amdhsa_user_sgpr_queue_ptr 0
		.amdhsa_user_sgpr_kernarg_segment_ptr 1
		.amdhsa_user_sgpr_dispatch_id 0
		.amdhsa_user_sgpr_flat_scratch_init 0
		.amdhsa_user_sgpr_private_segment_size 0
		.amdhsa_uses_dynamic_stack 0
		.amdhsa_system_sgpr_private_segment_wavefront_offset 0
		.amdhsa_system_sgpr_workgroup_id_x 1
		.amdhsa_system_sgpr_workgroup_id_y 1
		.amdhsa_system_sgpr_workgroup_id_z 1
		.amdhsa_system_sgpr_workgroup_info 0
		.amdhsa_system_vgpr_workitem_id 1
		.amdhsa_next_free_vgpr 43
		.amdhsa_next_free_sgpr 28
		.amdhsa_reserve_vcc 1
		.amdhsa_reserve_flat_scratch 0
		.amdhsa_float_round_mode_32 0
		.amdhsa_float_round_mode_16_64 0
		.amdhsa_float_denorm_mode_32 3
		.amdhsa_float_denorm_mode_16_64 3
		.amdhsa_dx10_clamp 1
		.amdhsa_ieee_mode 1
		.amdhsa_fp16_overflow 0
		.amdhsa_exception_fp_ieee_invalid_op 0
		.amdhsa_exception_fp_denorm_src 0
		.amdhsa_exception_fp_ieee_div_zero 0
		.amdhsa_exception_fp_ieee_overflow 0
		.amdhsa_exception_fp_ieee_underflow 0
		.amdhsa_exception_fp_ieee_inexact 0
		.amdhsa_exception_int_div_zero 0
	.end_amdhsa_kernel
	.section	.text._ZL37rocblas_syrkx_herkx_restricted_kernelIl19rocblas_complex_numIfELi16ELi32ELi8ELi1ELi0ELb0ELc78ELc76EKS1_S1_EviT_PT9_S3_lS5_S3_lPT10_S3_li,"axG",@progbits,_ZL37rocblas_syrkx_herkx_restricted_kernelIl19rocblas_complex_numIfELi16ELi32ELi8ELi1ELi0ELb0ELc78ELc76EKS1_S1_EviT_PT9_S3_lS5_S3_lPT10_S3_li,comdat
.Lfunc_end1094:
	.size	_ZL37rocblas_syrkx_herkx_restricted_kernelIl19rocblas_complex_numIfELi16ELi32ELi8ELi1ELi0ELb0ELc78ELc76EKS1_S1_EviT_PT9_S3_lS5_S3_lPT10_S3_li, .Lfunc_end1094-_ZL37rocblas_syrkx_herkx_restricted_kernelIl19rocblas_complex_numIfELi16ELi32ELi8ELi1ELi0ELb0ELc78ELc76EKS1_S1_EviT_PT9_S3_lS5_S3_lPT10_S3_li
                                        ; -- End function
	.set _ZL37rocblas_syrkx_herkx_restricted_kernelIl19rocblas_complex_numIfELi16ELi32ELi8ELi1ELi0ELb0ELc78ELc76EKS1_S1_EviT_PT9_S3_lS5_S3_lPT10_S3_li.num_vgpr, 43
	.set _ZL37rocblas_syrkx_herkx_restricted_kernelIl19rocblas_complex_numIfELi16ELi32ELi8ELi1ELi0ELb0ELc78ELc76EKS1_S1_EviT_PT9_S3_lS5_S3_lPT10_S3_li.num_agpr, 0
	.set _ZL37rocblas_syrkx_herkx_restricted_kernelIl19rocblas_complex_numIfELi16ELi32ELi8ELi1ELi0ELb0ELc78ELc76EKS1_S1_EviT_PT9_S3_lS5_S3_lPT10_S3_li.numbered_sgpr, 28
	.set _ZL37rocblas_syrkx_herkx_restricted_kernelIl19rocblas_complex_numIfELi16ELi32ELi8ELi1ELi0ELb0ELc78ELc76EKS1_S1_EviT_PT9_S3_lS5_S3_lPT10_S3_li.num_named_barrier, 0
	.set _ZL37rocblas_syrkx_herkx_restricted_kernelIl19rocblas_complex_numIfELi16ELi32ELi8ELi1ELi0ELb0ELc78ELc76EKS1_S1_EviT_PT9_S3_lS5_S3_lPT10_S3_li.private_seg_size, 0
	.set _ZL37rocblas_syrkx_herkx_restricted_kernelIl19rocblas_complex_numIfELi16ELi32ELi8ELi1ELi0ELb0ELc78ELc76EKS1_S1_EviT_PT9_S3_lS5_S3_lPT10_S3_li.uses_vcc, 1
	.set _ZL37rocblas_syrkx_herkx_restricted_kernelIl19rocblas_complex_numIfELi16ELi32ELi8ELi1ELi0ELb0ELc78ELc76EKS1_S1_EviT_PT9_S3_lS5_S3_lPT10_S3_li.uses_flat_scratch, 0
	.set _ZL37rocblas_syrkx_herkx_restricted_kernelIl19rocblas_complex_numIfELi16ELi32ELi8ELi1ELi0ELb0ELc78ELc76EKS1_S1_EviT_PT9_S3_lS5_S3_lPT10_S3_li.has_dyn_sized_stack, 0
	.set _ZL37rocblas_syrkx_herkx_restricted_kernelIl19rocblas_complex_numIfELi16ELi32ELi8ELi1ELi0ELb0ELc78ELc76EKS1_S1_EviT_PT9_S3_lS5_S3_lPT10_S3_li.has_recursion, 0
	.set _ZL37rocblas_syrkx_herkx_restricted_kernelIl19rocblas_complex_numIfELi16ELi32ELi8ELi1ELi0ELb0ELc78ELc76EKS1_S1_EviT_PT9_S3_lS5_S3_lPT10_S3_li.has_indirect_call, 0
	.section	.AMDGPU.csdata,"",@progbits
; Kernel info:
; codeLenInByte = 1940
; TotalNumSgprs: 32
; NumVgprs: 43
; ScratchSize: 0
; MemoryBound: 0
; FloatMode: 240
; IeeeMode: 1
; LDSByteSize: 4096 bytes/workgroup (compile time only)
; SGPRBlocks: 3
; VGPRBlocks: 10
; NumSGPRsForWavesPerEU: 32
; NumVGPRsForWavesPerEU: 43
; Occupancy: 5
; WaveLimiterHint : 1
; COMPUTE_PGM_RSRC2:SCRATCH_EN: 0
; COMPUTE_PGM_RSRC2:USER_SGPR: 6
; COMPUTE_PGM_RSRC2:TRAP_HANDLER: 0
; COMPUTE_PGM_RSRC2:TGID_X_EN: 1
; COMPUTE_PGM_RSRC2:TGID_Y_EN: 1
; COMPUTE_PGM_RSRC2:TGID_Z_EN: 1
; COMPUTE_PGM_RSRC2:TIDIG_COMP_CNT: 1
	.section	.text._ZL37rocblas_syrkx_herkx_restricted_kernelIl19rocblas_complex_numIfELi16ELi32ELi8ELi1ELi0ELb0ELc84ELc85EKS1_S1_EviT_PT9_S3_lS5_S3_lPT10_S3_li,"axG",@progbits,_ZL37rocblas_syrkx_herkx_restricted_kernelIl19rocblas_complex_numIfELi16ELi32ELi8ELi1ELi0ELb0ELc84ELc85EKS1_S1_EviT_PT9_S3_lS5_S3_lPT10_S3_li,comdat
	.globl	_ZL37rocblas_syrkx_herkx_restricted_kernelIl19rocblas_complex_numIfELi16ELi32ELi8ELi1ELi0ELb0ELc84ELc85EKS1_S1_EviT_PT9_S3_lS5_S3_lPT10_S3_li ; -- Begin function _ZL37rocblas_syrkx_herkx_restricted_kernelIl19rocblas_complex_numIfELi16ELi32ELi8ELi1ELi0ELb0ELc84ELc85EKS1_S1_EviT_PT9_S3_lS5_S3_lPT10_S3_li
	.p2align	8
	.type	_ZL37rocblas_syrkx_herkx_restricted_kernelIl19rocblas_complex_numIfELi16ELi32ELi8ELi1ELi0ELb0ELc84ELc85EKS1_S1_EviT_PT9_S3_lS5_S3_lPT10_S3_li,@function
_ZL37rocblas_syrkx_herkx_restricted_kernelIl19rocblas_complex_numIfELi16ELi32ELi8ELi1ELi0ELb0ELc84ELc85EKS1_S1_EviT_PT9_S3_lS5_S3_lPT10_S3_li: ; @_ZL37rocblas_syrkx_herkx_restricted_kernelIl19rocblas_complex_numIfELi16ELi32ELi8ELi1ELi0ELb0ELc84ELc85EKS1_S1_EviT_PT9_S3_lS5_S3_lPT10_S3_li
; %bb.0:
	s_load_dwordx16 s[12:27], s[4:5], 0x8
	s_lshl_b32 s2, s6, 5
	s_lshl_b32 s3, s7, 5
	s_waitcnt lgkmcnt(0)
	v_cmp_lt_i64_e64 s[0:1], s[12:13], 1
	s_and_b64 vcc, exec, s[0:1]
	s_cbranch_vccnz .LBB1095_3
; %bb.1:
	v_lshl_add_u32 v4, v1, 4, v0
	v_lshrrev_b32_e32 v6, 3, v4
	v_add_u32_e32 v2, s3, v6
	v_ashrrev_i32_e32 v3, 31, v2
	v_and_b32_e32 v10, 7, v0
	v_mov_b32_e32 v11, 0
	v_mul_lo_u32 v5, s22, v3
	v_mul_lo_u32 v7, s23, v2
	v_mad_u64_u32 v[2:3], s[0:1], s22, v2, v[10:11]
	s_mul_i32 s6, s19, s8
	s_mul_hi_u32 s7, s18, s8
	v_add3_u32 v3, v7, v3, v5
	v_and_b32_e32 v7, 31, v4
	v_lshrrev_b32_e32 v4, 5, v4
	v_lshlrev_b32_e32 v8, 3, v7
	v_lshl_or_b32 v18, v4, 8, v8
	v_lshlrev_b32_e32 v8, 3, v10
	v_lshl_or_b32 v6, v6, 6, v8
	v_add_u32_e32 v19, 0x800, v6
	v_mov_b32_e32 v6, 0x800
	v_lshl_add_u32 v21, v1, 6, v6
	v_add_u32_e32 v6, s2, v7
	v_mov_b32_e32 v5, v11
	v_ashrrev_i32_e32 v7, 31, v6
	v_mul_lo_u32 v7, s16, v7
	v_mad_u64_u32 v[4:5], s[0:1], s16, v6, v[4:5]
	v_mul_lo_u32 v6, s17, v6
	s_add_i32 s1, s7, s6
	s_mul_i32 s0, s18, s8
	s_lshl_b64 s[0:1], s[0:1], 3
	v_add3_u32 v5, v6, v5, v7
	v_lshlrev_b64 v[4:5], 3, v[4:5]
	s_add_u32 s0, s14, s0
	s_addc_u32 s1, s15, s1
	v_mov_b32_e32 v6, s1
	v_add_co_u32_e32 v4, vcc, s0, v4
	s_mul_i32 s0, s25, s8
	s_mul_hi_u32 s1, s24, s8
	s_add_i32 s1, s1, s0
	s_mul_i32 s0, s24, s8
	v_addc_co_u32_e32 v5, vcc, v6, v5, vcc
	s_lshl_b64 s[0:1], s[0:1], 3
	v_add_co_u32_e32 v6, vcc, 4, v4
	v_lshlrev_b64 v[2:3], 3, v[2:3]
	s_add_u32 s0, s20, s0
	v_addc_co_u32_e32 v7, vcc, 0, v5, vcc
	s_addc_u32 s1, s21, s1
	v_mov_b32_e32 v4, s1
	v_add_co_u32_e32 v2, vcc, s0, v2
	v_addc_co_u32_e32 v3, vcc, v4, v3, vcc
	v_add_co_u32_e32 v8, vcc, 4, v2
	v_lshlrev_b32_e32 v20, 3, v0
	v_addc_co_u32_e32 v9, vcc, 0, v3, vcc
	s_mov_b64 s[0:1], 0
	v_mov_b32_e32 v10, v11
	v_mov_b32_e32 v13, v11
	;; [unrolled: 1-line block ×7, first 2 shown]
.LBB1095_2:                             ; =>This Inner Loop Header: Depth=1
	global_load_dwordx2 v[2:3], v[6:7], off offset:-4
	s_add_u32 s0, s0, 8
	v_add_co_u32_e32 v6, vcc, 64, v6
	s_addc_u32 s1, s1, 0
	v_addc_co_u32_e32 v7, vcc, 0, v7, vcc
	s_waitcnt vmcnt(0)
	ds_write_b64 v18, v[2:3]
	global_load_dwordx2 v[2:3], v[8:9], off offset:-4
	v_add_co_u32_e32 v8, vcc, 64, v8
	v_addc_co_u32_e32 v9, vcc, 0, v9, vcc
	s_waitcnt vmcnt(0)
	ds_write_b64 v19, v[2:3]
	s_waitcnt lgkmcnt(0)
	s_barrier
	ds_read_b128 v[22:25], v21
	ds_read_b128 v[26:29], v21 offset:16
	ds_read_b128 v[30:33], v21 offset:32
	;; [unrolled: 1-line block ×3, first 2 shown]
	ds_read2_b64 v[34:37], v20 offset1:16
	s_waitcnt lgkmcnt(0)
	v_mul_f32_e32 v38, v23, v35
	v_mul_f32_e32 v39, v22, v35
	v_fma_f32 v38, v22, v34, -v38
	v_fmac_f32_e32 v39, v23, v34
	v_add_f32_e32 v38, v16, v38
	v_add_f32_e32 v39, v17, v39
	v_mul_f32_e32 v16, v23, v37
	v_mul_f32_e32 v17, v22, v37
	v_fma_f32 v16, v22, v36, -v16
	v_fmac_f32_e32 v17, v23, v36
	v_add_f32_e32 v22, v14, v16
	v_add_f32_e32 v23, v15, v17
	ds_read_b128 v[14:17], v21 offset:1024
	s_waitcnt lgkmcnt(0)
	v_mul_f32_e32 v40, v15, v35
	v_mul_f32_e32 v35, v14, v35
	v_fma_f32 v40, v14, v34, -v40
	v_fmac_f32_e32 v35, v15, v34
	v_add_f32_e32 v34, v12, v40
	v_add_f32_e32 v35, v13, v35
	v_mul_f32_e32 v12, v15, v37
	v_mul_f32_e32 v13, v14, v37
	v_fma_f32 v12, v14, v36, -v12
	v_fmac_f32_e32 v13, v15, v36
	v_add_f32_e32 v14, v10, v12
	v_add_f32_e32 v15, v11, v13
	ds_read2_b64 v[10:13], v20 offset0:32 offset1:48
	s_waitcnt lgkmcnt(0)
	v_mul_f32_e32 v36, v25, v11
	v_fma_f32 v36, v24, v10, -v36
	v_add_f32_e32 v36, v38, v36
	v_mul_f32_e32 v38, v25, v13
	v_mul_f32_e32 v37, v24, v11
	v_fma_f32 v38, v24, v12, -v38
	v_mul_f32_e32 v24, v24, v13
	v_fmac_f32_e32 v24, v25, v12
	v_add_f32_e32 v23, v23, v24
	v_mul_f32_e32 v24, v17, v11
	v_mul_f32_e32 v11, v16, v11
	v_fmac_f32_e32 v11, v17, v10
	v_fmac_f32_e32 v37, v25, v10
	v_fma_f32 v24, v16, v10, -v24
	v_add_f32_e32 v25, v35, v11
	v_mul_f32_e32 v10, v17, v13
	v_mul_f32_e32 v11, v16, v13
	v_fma_f32 v10, v16, v12, -v10
	v_fmac_f32_e32 v11, v17, v12
	v_add_f32_e32 v24, v34, v24
	v_add_f32_e32 v34, v14, v10
	;; [unrolled: 1-line block ×3, first 2 shown]
	ds_read2_b64 v[10:13], v20 offset0:64 offset1:80
	v_add_f32_e32 v37, v39, v37
	v_add_f32_e32 v22, v22, v38
	s_waitcnt lgkmcnt(0)
	v_mul_f32_e32 v14, v27, v11
	v_mul_f32_e32 v15, v26, v11
	v_fma_f32 v14, v26, v10, -v14
	v_fmac_f32_e32 v15, v27, v10
	v_add_f32_e32 v36, v36, v14
	v_add_f32_e32 v37, v37, v15
	v_mul_f32_e32 v14, v27, v13
	v_mul_f32_e32 v15, v26, v13
	v_fma_f32 v14, v26, v12, -v14
	v_fmac_f32_e32 v15, v27, v12
	v_add_f32_e32 v22, v22, v14
	v_add_f32_e32 v23, v23, v15
	ds_read_b128 v[14:17], v21 offset:1040
	s_waitcnt lgkmcnt(0)
	v_mul_f32_e32 v26, v15, v11
	v_mul_f32_e32 v11, v14, v11
	v_fmac_f32_e32 v11, v15, v10
	v_fma_f32 v26, v14, v10, -v26
	v_add_f32_e32 v25, v25, v11
	v_mul_f32_e32 v10, v15, v13
	v_mul_f32_e32 v11, v14, v13
	v_fma_f32 v10, v14, v12, -v10
	v_fmac_f32_e32 v11, v15, v12
	v_add_f32_e32 v14, v34, v10
	v_add_f32_e32 v15, v35, v11
	ds_read2_b64 v[10:13], v20 offset0:96 offset1:112
	v_add_f32_e32 v24, v24, v26
	s_waitcnt lgkmcnt(0)
	v_mul_f32_e32 v26, v29, v11
	v_mul_f32_e32 v34, v29, v13
	v_fma_f32 v26, v28, v10, -v26
	v_mul_f32_e32 v27, v28, v11
	v_fma_f32 v34, v28, v12, -v34
	v_mul_f32_e32 v28, v28, v13
	v_fmac_f32_e32 v28, v29, v12
	v_add_f32_e32 v23, v23, v28
	v_mul_f32_e32 v28, v17, v11
	v_mul_f32_e32 v11, v16, v11
	v_fmac_f32_e32 v11, v17, v10
	v_fmac_f32_e32 v27, v29, v10
	v_fma_f32 v28, v16, v10, -v28
	v_add_f32_e32 v25, v25, v11
	v_mul_f32_e32 v10, v17, v13
	v_mul_f32_e32 v11, v16, v13
	v_fma_f32 v10, v16, v12, -v10
	v_fmac_f32_e32 v11, v17, v12
	v_add_f32_e32 v24, v24, v28
	v_add_f32_e32 v28, v14, v10
	;; [unrolled: 1-line block ×3, first 2 shown]
	ds_read2_b64 v[10:13], v20 offset0:128 offset1:144
	v_add_f32_e32 v26, v36, v26
	v_add_f32_e32 v27, v37, v27
	;; [unrolled: 1-line block ×3, first 2 shown]
	s_waitcnt lgkmcnt(0)
	v_mul_f32_e32 v14, v31, v11
	v_mul_f32_e32 v15, v30, v11
	v_fma_f32 v14, v30, v10, -v14
	v_fmac_f32_e32 v15, v31, v10
	v_add_f32_e32 v26, v26, v14
	v_add_f32_e32 v27, v27, v15
	v_mul_f32_e32 v14, v31, v13
	v_mul_f32_e32 v15, v30, v13
	v_fma_f32 v14, v30, v12, -v14
	v_fmac_f32_e32 v15, v31, v12
	v_add_f32_e32 v22, v22, v14
	v_add_f32_e32 v23, v23, v15
	ds_read_b128 v[14:17], v21 offset:1056
	s_waitcnt lgkmcnt(0)
	v_mul_f32_e32 v30, v15, v11
	v_mul_f32_e32 v11, v14, v11
	v_fmac_f32_e32 v11, v15, v10
	v_fma_f32 v30, v14, v10, -v30
	v_add_f32_e32 v25, v25, v11
	v_mul_f32_e32 v10, v15, v13
	v_mul_f32_e32 v11, v14, v13
	v_fma_f32 v10, v14, v12, -v10
	v_fmac_f32_e32 v11, v15, v12
	v_add_f32_e32 v14, v28, v10
	v_add_f32_e32 v15, v29, v11
	ds_read2_b64 v[10:13], v20 offset0:160 offset1:176
	v_add_f32_e32 v24, v24, v30
	s_waitcnt lgkmcnt(0)
	v_mul_f32_e32 v28, v33, v11
	v_fma_f32 v28, v32, v10, -v28
	v_mul_f32_e32 v29, v32, v11
	v_add_f32_e32 v26, v26, v28
	v_mul_f32_e32 v28, v33, v13
	v_fmac_f32_e32 v29, v33, v10
	v_fma_f32 v28, v32, v12, -v28
	v_add_f32_e32 v27, v27, v29
	v_mul_f32_e32 v29, v32, v13
	v_add_f32_e32 v22, v22, v28
	v_mul_f32_e32 v28, v17, v11
	v_mul_f32_e32 v11, v16, v11
	v_fmac_f32_e32 v29, v33, v12
	v_fmac_f32_e32 v11, v17, v10
	v_add_f32_e32 v23, v23, v29
	v_fma_f32 v28, v16, v10, -v28
	v_add_f32_e32 v29, v25, v11
	v_mul_f32_e32 v10, v17, v13
	v_mul_f32_e32 v11, v16, v13
	v_fma_f32 v10, v16, v12, -v10
	v_fmac_f32_e32 v11, v17, v12
	v_add_f32_e32 v14, v14, v10
	v_add_f32_e32 v15, v15, v11
	ds_read2_b64 v[10:13], v20 offset0:192 offset1:208
	v_add_f32_e32 v28, v24, v28
	s_waitcnt lgkmcnt(0)
	v_mul_f32_e32 v16, v3, v11
	v_mul_f32_e32 v24, v3, v13
	v_fma_f32 v16, v2, v10, -v16
	v_mul_f32_e32 v17, v2, v11
	v_fma_f32 v24, v2, v12, -v24
	v_mul_f32_e32 v2, v2, v13
	v_fmac_f32_e32 v2, v3, v12
	v_fmac_f32_e32 v17, v3, v10
	v_add_f32_e32 v3, v22, v24
	v_add_f32_e32 v2, v23, v2
	ds_read_b128 v[22:25], v21 offset:1072
	v_add_f32_e32 v16, v26, v16
	v_add_f32_e32 v17, v27, v17
	s_waitcnt lgkmcnt(0)
	v_mul_f32_e32 v26, v23, v11
	v_fma_f32 v26, v22, v10, -v26
	v_mul_f32_e32 v11, v22, v11
	v_fmac_f32_e32 v11, v23, v10
	v_add_f32_e32 v10, v28, v26
	v_mul_f32_e32 v26, v23, v13
	v_fma_f32 v26, v22, v12, -v26
	v_add_f32_e32 v11, v29, v11
	v_mul_f32_e32 v13, v22, v13
	v_add_f32_e32 v22, v14, v26
	ds_read2_b64 v[26:29], v20 offset0:224 offset1:240
	v_fmac_f32_e32 v13, v23, v12
	v_add_f32_e32 v23, v15, v13
	s_waitcnt lgkmcnt(0)
	s_barrier
	v_mul_f32_e32 v12, v5, v27
	v_fma_f32 v12, v4, v26, -v12
	v_add_f32_e32 v16, v16, v12
	v_mul_f32_e32 v12, v5, v29
	v_mul_f32_e32 v13, v4, v27
	v_fma_f32 v12, v4, v28, -v12
	v_mul_f32_e32 v4, v4, v29
	v_fmac_f32_e32 v4, v5, v28
	v_add_f32_e32 v14, v3, v12
	v_add_f32_e32 v15, v2, v4
	v_mul_f32_e32 v2, v25, v27
	v_mul_f32_e32 v3, v24, v27
	v_fmac_f32_e32 v13, v5, v26
	v_fma_f32 v2, v24, v26, -v2
	v_fmac_f32_e32 v3, v25, v26
	v_add_f32_e32 v17, v17, v13
	v_add_f32_e32 v12, v10, v2
	;; [unrolled: 1-line block ×3, first 2 shown]
	v_mul_f32_e32 v2, v25, v29
	v_mul_f32_e32 v3, v24, v29
	v_fma_f32 v2, v24, v28, -v2
	v_fmac_f32_e32 v3, v25, v28
	v_add_f32_e32 v10, v22, v2
	v_add_f32_e32 v11, v23, v3
	v_mov_b32_e32 v3, s1
	v_mov_b32_e32 v2, s0
	v_cmp_le_u64_e32 vcc, s[12:13], v[2:3]
	s_cbranch_vccz .LBB1095_2
	s_branch .LBB1095_4
.LBB1095_3:
	v_mov_b32_e32 v16, 0
	v_mov_b32_e32 v17, 0
	;; [unrolled: 1-line block ×8, first 2 shown]
.LBB1095_4:
	s_load_dwordx4 s[12:15], s[4:5], 0x48
	s_load_dword s6, s[4:5], 0x0
	v_add_u32_e32 v4, s3, v1
	v_ashrrev_i32_e32 v1, 31, v4
	v_add_u32_e32 v0, s2, v0
	s_waitcnt lgkmcnt(0)
	s_mul_i32 s1, s15, s8
	s_mul_hi_u32 s3, s14, s8
	s_mul_i32 s0, s14, s8
	v_mul_lo_u32 v3, s12, v1
	v_mul_lo_u32 v5, s13, v4
	v_mad_u64_u32 v[1:2], s[8:9], s12, v4, 0
	s_add_i32 s1, s3, s1
	s_lshl_b64 s[0:1], s[0:1], 3
	v_add3_u32 v2, v2, v3, v5
	s_add_u32 s4, s26, s0
	v_lshlrev_b64 v[1:2], 3, v[1:2]
	s_addc_u32 s5, s27, s1
	v_mov_b32_e32 v3, s5
	v_add_co_u32_e64 v5, s[0:1], s4, v1
	v_addc_co_u32_e64 v6, s[0:1], v3, v2, s[0:1]
	v_cmp_gt_i32_e32 vcc, s6, v4
	v_cmp_le_i32_e64 s[0:1], v0, v4
	s_and_b64 s[0:1], vcc, s[0:1]
	s_and_saveexec_b64 s[2:3], s[0:1]
	s_cbranch_execz .LBB1095_6
; %bb.5:
	v_ashrrev_i32_e32 v1, 31, v0
	v_lshlrev_b64 v[1:2], 3, v[0:1]
	v_add_co_u32_e64 v1, s[0:1], v5, v1
	v_addc_co_u32_e64 v2, s[0:1], v6, v2, s[0:1]
	global_store_dwordx2 v[1:2], v[16:17], off
.LBB1095_6:
	s_or_b64 exec, exec, s[2:3]
	v_add_u32_e32 v2, 16, v0
	v_cmp_le_i32_e64 s[0:1], v2, v4
	s_and_b64 s[2:3], vcc, s[0:1]
	s_and_saveexec_b64 s[0:1], s[2:3]
	s_cbranch_execz .LBB1095_8
; %bb.7:
	v_ashrrev_i32_e32 v3, 31, v2
	v_lshlrev_b64 v[7:8], 3, v[2:3]
	v_add_co_u32_e32 v5, vcc, v5, v7
	v_addc_co_u32_e32 v6, vcc, v6, v8, vcc
	global_store_dwordx2 v[5:6], v[14:15], off
.LBB1095_8:
	s_or_b64 exec, exec, s[0:1]
	v_add_u32_e32 v3, 16, v4
	v_ashrrev_i32_e32 v1, 31, v3
	v_mul_lo_u32 v1, s12, v1
	v_mul_lo_u32 v6, s13, v3
	v_mad_u64_u32 v[4:5], s[0:1], s12, v3, 0
	v_cmp_gt_i32_e32 vcc, s6, v3
	v_add3_u32 v5, v5, v1, v6
	v_lshlrev_b64 v[4:5], 3, v[4:5]
	v_mov_b32_e32 v1, s5
	v_add_co_u32_e64 v4, s[0:1], s4, v4
	v_addc_co_u32_e64 v5, s[0:1], v1, v5, s[0:1]
	v_cmp_le_i32_e64 s[0:1], v0, v3
	s_and_b64 s[0:1], vcc, s[0:1]
	s_and_saveexec_b64 s[2:3], s[0:1]
	s_cbranch_execz .LBB1095_10
; %bb.9:
	v_ashrrev_i32_e32 v1, 31, v0
	v_lshlrev_b64 v[0:1], 3, v[0:1]
	v_add_co_u32_e64 v0, s[0:1], v4, v0
	v_addc_co_u32_e64 v1, s[0:1], v5, v1, s[0:1]
	global_store_dwordx2 v[0:1], v[12:13], off
.LBB1095_10:
	s_or_b64 exec, exec, s[2:3]
	v_cmp_le_i32_e64 s[0:1], v2, v3
	s_and_b64 s[0:1], vcc, s[0:1]
	s_and_saveexec_b64 s[2:3], s[0:1]
	s_cbranch_execz .LBB1095_12
; %bb.11:
	v_ashrrev_i32_e32 v3, 31, v2
	v_lshlrev_b64 v[0:1], 3, v[2:3]
	v_add_co_u32_e32 v0, vcc, v4, v0
	v_addc_co_u32_e32 v1, vcc, v5, v1, vcc
	global_store_dwordx2 v[0:1], v[10:11], off
.LBB1095_12:
	s_endpgm
	.section	.rodata,"a",@progbits
	.p2align	6, 0x0
	.amdhsa_kernel _ZL37rocblas_syrkx_herkx_restricted_kernelIl19rocblas_complex_numIfELi16ELi32ELi8ELi1ELi0ELb0ELc84ELc85EKS1_S1_EviT_PT9_S3_lS5_S3_lPT10_S3_li
		.amdhsa_group_segment_fixed_size 4096
		.amdhsa_private_segment_fixed_size 0
		.amdhsa_kernarg_size 92
		.amdhsa_user_sgpr_count 6
		.amdhsa_user_sgpr_private_segment_buffer 1
		.amdhsa_user_sgpr_dispatch_ptr 0
		.amdhsa_user_sgpr_queue_ptr 0
		.amdhsa_user_sgpr_kernarg_segment_ptr 1
		.amdhsa_user_sgpr_dispatch_id 0
		.amdhsa_user_sgpr_flat_scratch_init 0
		.amdhsa_user_sgpr_private_segment_size 0
		.amdhsa_uses_dynamic_stack 0
		.amdhsa_system_sgpr_private_segment_wavefront_offset 0
		.amdhsa_system_sgpr_workgroup_id_x 1
		.amdhsa_system_sgpr_workgroup_id_y 1
		.amdhsa_system_sgpr_workgroup_id_z 1
		.amdhsa_system_sgpr_workgroup_info 0
		.amdhsa_system_vgpr_workitem_id 1
		.amdhsa_next_free_vgpr 41
		.amdhsa_next_free_sgpr 28
		.amdhsa_reserve_vcc 1
		.amdhsa_reserve_flat_scratch 0
		.amdhsa_float_round_mode_32 0
		.amdhsa_float_round_mode_16_64 0
		.amdhsa_float_denorm_mode_32 3
		.amdhsa_float_denorm_mode_16_64 3
		.amdhsa_dx10_clamp 1
		.amdhsa_ieee_mode 1
		.amdhsa_fp16_overflow 0
		.amdhsa_exception_fp_ieee_invalid_op 0
		.amdhsa_exception_fp_denorm_src 0
		.amdhsa_exception_fp_ieee_div_zero 0
		.amdhsa_exception_fp_ieee_overflow 0
		.amdhsa_exception_fp_ieee_underflow 0
		.amdhsa_exception_fp_ieee_inexact 0
		.amdhsa_exception_int_div_zero 0
	.end_amdhsa_kernel
	.section	.text._ZL37rocblas_syrkx_herkx_restricted_kernelIl19rocblas_complex_numIfELi16ELi32ELi8ELi1ELi0ELb0ELc84ELc85EKS1_S1_EviT_PT9_S3_lS5_S3_lPT10_S3_li,"axG",@progbits,_ZL37rocblas_syrkx_herkx_restricted_kernelIl19rocblas_complex_numIfELi16ELi32ELi8ELi1ELi0ELb0ELc84ELc85EKS1_S1_EviT_PT9_S3_lS5_S3_lPT10_S3_li,comdat
.Lfunc_end1095:
	.size	_ZL37rocblas_syrkx_herkx_restricted_kernelIl19rocblas_complex_numIfELi16ELi32ELi8ELi1ELi0ELb0ELc84ELc85EKS1_S1_EviT_PT9_S3_lS5_S3_lPT10_S3_li, .Lfunc_end1095-_ZL37rocblas_syrkx_herkx_restricted_kernelIl19rocblas_complex_numIfELi16ELi32ELi8ELi1ELi0ELb0ELc84ELc85EKS1_S1_EviT_PT9_S3_lS5_S3_lPT10_S3_li
                                        ; -- End function
	.set _ZL37rocblas_syrkx_herkx_restricted_kernelIl19rocblas_complex_numIfELi16ELi32ELi8ELi1ELi0ELb0ELc84ELc85EKS1_S1_EviT_PT9_S3_lS5_S3_lPT10_S3_li.num_vgpr, 41
	.set _ZL37rocblas_syrkx_herkx_restricted_kernelIl19rocblas_complex_numIfELi16ELi32ELi8ELi1ELi0ELb0ELc84ELc85EKS1_S1_EviT_PT9_S3_lS5_S3_lPT10_S3_li.num_agpr, 0
	.set _ZL37rocblas_syrkx_herkx_restricted_kernelIl19rocblas_complex_numIfELi16ELi32ELi8ELi1ELi0ELb0ELc84ELc85EKS1_S1_EviT_PT9_S3_lS5_S3_lPT10_S3_li.numbered_sgpr, 28
	.set _ZL37rocblas_syrkx_herkx_restricted_kernelIl19rocblas_complex_numIfELi16ELi32ELi8ELi1ELi0ELb0ELc84ELc85EKS1_S1_EviT_PT9_S3_lS5_S3_lPT10_S3_li.num_named_barrier, 0
	.set _ZL37rocblas_syrkx_herkx_restricted_kernelIl19rocblas_complex_numIfELi16ELi32ELi8ELi1ELi0ELb0ELc84ELc85EKS1_S1_EviT_PT9_S3_lS5_S3_lPT10_S3_li.private_seg_size, 0
	.set _ZL37rocblas_syrkx_herkx_restricted_kernelIl19rocblas_complex_numIfELi16ELi32ELi8ELi1ELi0ELb0ELc84ELc85EKS1_S1_EviT_PT9_S3_lS5_S3_lPT10_S3_li.uses_vcc, 1
	.set _ZL37rocblas_syrkx_herkx_restricted_kernelIl19rocblas_complex_numIfELi16ELi32ELi8ELi1ELi0ELb0ELc84ELc85EKS1_S1_EviT_PT9_S3_lS5_S3_lPT10_S3_li.uses_flat_scratch, 0
	.set _ZL37rocblas_syrkx_herkx_restricted_kernelIl19rocblas_complex_numIfELi16ELi32ELi8ELi1ELi0ELb0ELc84ELc85EKS1_S1_EviT_PT9_S3_lS5_S3_lPT10_S3_li.has_dyn_sized_stack, 0
	.set _ZL37rocblas_syrkx_herkx_restricted_kernelIl19rocblas_complex_numIfELi16ELi32ELi8ELi1ELi0ELb0ELc84ELc85EKS1_S1_EviT_PT9_S3_lS5_S3_lPT10_S3_li.has_recursion, 0
	.set _ZL37rocblas_syrkx_herkx_restricted_kernelIl19rocblas_complex_numIfELi16ELi32ELi8ELi1ELi0ELb0ELc84ELc85EKS1_S1_EviT_PT9_S3_lS5_S3_lPT10_S3_li.has_indirect_call, 0
	.section	.AMDGPU.csdata,"",@progbits
; Kernel info:
; codeLenInByte = 1968
; TotalNumSgprs: 32
; NumVgprs: 41
; ScratchSize: 0
; MemoryBound: 0
; FloatMode: 240
; IeeeMode: 1
; LDSByteSize: 4096 bytes/workgroup (compile time only)
; SGPRBlocks: 3
; VGPRBlocks: 10
; NumSGPRsForWavesPerEU: 32
; NumVGPRsForWavesPerEU: 41
; Occupancy: 5
; WaveLimiterHint : 1
; COMPUTE_PGM_RSRC2:SCRATCH_EN: 0
; COMPUTE_PGM_RSRC2:USER_SGPR: 6
; COMPUTE_PGM_RSRC2:TRAP_HANDLER: 0
; COMPUTE_PGM_RSRC2:TGID_X_EN: 1
; COMPUTE_PGM_RSRC2:TGID_Y_EN: 1
; COMPUTE_PGM_RSRC2:TGID_Z_EN: 1
; COMPUTE_PGM_RSRC2:TIDIG_COMP_CNT: 1
	.section	.text._ZL37rocblas_syrkx_herkx_restricted_kernelIl19rocblas_complex_numIfELi16ELi32ELi8ELi1ELi0ELb0ELc67ELc85EKS1_S1_EviT_PT9_S3_lS5_S3_lPT10_S3_li,"axG",@progbits,_ZL37rocblas_syrkx_herkx_restricted_kernelIl19rocblas_complex_numIfELi16ELi32ELi8ELi1ELi0ELb0ELc67ELc85EKS1_S1_EviT_PT9_S3_lS5_S3_lPT10_S3_li,comdat
	.globl	_ZL37rocblas_syrkx_herkx_restricted_kernelIl19rocblas_complex_numIfELi16ELi32ELi8ELi1ELi0ELb0ELc67ELc85EKS1_S1_EviT_PT9_S3_lS5_S3_lPT10_S3_li ; -- Begin function _ZL37rocblas_syrkx_herkx_restricted_kernelIl19rocblas_complex_numIfELi16ELi32ELi8ELi1ELi0ELb0ELc67ELc85EKS1_S1_EviT_PT9_S3_lS5_S3_lPT10_S3_li
	.p2align	8
	.type	_ZL37rocblas_syrkx_herkx_restricted_kernelIl19rocblas_complex_numIfELi16ELi32ELi8ELi1ELi0ELb0ELc67ELc85EKS1_S1_EviT_PT9_S3_lS5_S3_lPT10_S3_li,@function
_ZL37rocblas_syrkx_herkx_restricted_kernelIl19rocblas_complex_numIfELi16ELi32ELi8ELi1ELi0ELb0ELc67ELc85EKS1_S1_EviT_PT9_S3_lS5_S3_lPT10_S3_li: ; @_ZL37rocblas_syrkx_herkx_restricted_kernelIl19rocblas_complex_numIfELi16ELi32ELi8ELi1ELi0ELb0ELc67ELc85EKS1_S1_EviT_PT9_S3_lS5_S3_lPT10_S3_li
; %bb.0:
	s_load_dwordx16 s[12:27], s[4:5], 0x8
	s_lshl_b32 s2, s6, 5
	s_lshl_b32 s3, s7, 5
	s_waitcnt lgkmcnt(0)
	v_cmp_lt_i64_e64 s[0:1], s[12:13], 1
	s_and_b64 vcc, exec, s[0:1]
	s_cbranch_vccnz .LBB1096_3
; %bb.1:
	v_lshl_add_u32 v4, v1, 4, v0
	v_lshrrev_b32_e32 v6, 3, v4
	v_add_u32_e32 v2, s3, v6
	v_ashrrev_i32_e32 v3, 31, v2
	v_and_b32_e32 v10, 7, v0
	v_mov_b32_e32 v11, 0
	v_mul_lo_u32 v5, s22, v3
	v_mul_lo_u32 v7, s23, v2
	v_mad_u64_u32 v[2:3], s[0:1], s22, v2, v[10:11]
	s_mul_i32 s6, s19, s8
	s_mul_hi_u32 s7, s18, s8
	v_add3_u32 v3, v7, v3, v5
	v_and_b32_e32 v7, 31, v4
	v_lshrrev_b32_e32 v4, 5, v4
	v_lshlrev_b32_e32 v8, 3, v7
	v_lshl_or_b32 v18, v4, 8, v8
	v_lshlrev_b32_e32 v8, 3, v10
	v_lshl_or_b32 v6, v6, 6, v8
	v_add_u32_e32 v19, 0x800, v6
	v_mov_b32_e32 v6, 0x800
	v_lshl_add_u32 v21, v1, 6, v6
	v_add_u32_e32 v6, s2, v7
	v_mov_b32_e32 v5, v11
	v_ashrrev_i32_e32 v7, 31, v6
	v_mul_lo_u32 v7, s16, v7
	v_mad_u64_u32 v[4:5], s[0:1], s16, v6, v[4:5]
	v_mul_lo_u32 v6, s17, v6
	s_add_i32 s1, s7, s6
	s_mul_i32 s0, s18, s8
	s_lshl_b64 s[0:1], s[0:1], 3
	v_add3_u32 v5, v6, v5, v7
	v_lshlrev_b64 v[4:5], 3, v[4:5]
	s_add_u32 s0, s14, s0
	s_addc_u32 s1, s15, s1
	v_mov_b32_e32 v6, s1
	v_add_co_u32_e32 v4, vcc, s0, v4
	s_mul_i32 s0, s25, s8
	s_mul_hi_u32 s1, s24, s8
	s_add_i32 s1, s1, s0
	s_mul_i32 s0, s24, s8
	v_addc_co_u32_e32 v5, vcc, v6, v5, vcc
	s_lshl_b64 s[0:1], s[0:1], 3
	v_add_co_u32_e32 v6, vcc, 4, v4
	v_lshlrev_b64 v[2:3], 3, v[2:3]
	s_add_u32 s0, s20, s0
	v_addc_co_u32_e32 v7, vcc, 0, v5, vcc
	s_addc_u32 s1, s21, s1
	v_mov_b32_e32 v4, s1
	v_add_co_u32_e32 v2, vcc, s0, v2
	v_addc_co_u32_e32 v3, vcc, v4, v3, vcc
	v_add_co_u32_e32 v8, vcc, 4, v2
	v_lshlrev_b32_e32 v20, 3, v0
	v_addc_co_u32_e32 v9, vcc, 0, v3, vcc
	s_mov_b64 s[0:1], 0
	v_mov_b32_e32 v10, v11
	v_mov_b32_e32 v13, v11
	;; [unrolled: 1-line block ×7, first 2 shown]
.LBB1096_2:                             ; =>This Inner Loop Header: Depth=1
	global_load_dwordx2 v[2:3], v[6:7], off offset:-4
	s_add_u32 s0, s0, 8
	v_add_co_u32_e32 v6, vcc, 64, v6
	s_addc_u32 s1, s1, 0
	v_addc_co_u32_e32 v7, vcc, 0, v7, vcc
	s_waitcnt vmcnt(0)
	ds_write_b64 v18, v[2:3]
	global_load_dwordx2 v[2:3], v[8:9], off offset:-4
	v_add_co_u32_e32 v8, vcc, 64, v8
	v_addc_co_u32_e32 v9, vcc, 0, v9, vcc
	s_waitcnt vmcnt(0)
	ds_write_b64 v19, v[2:3]
	s_waitcnt lgkmcnt(0)
	s_barrier
	ds_read_b128 v[22:25], v21
	ds_read_b128 v[26:29], v21 offset:16
	ds_read_b128 v[30:33], v21 offset:32
	;; [unrolled: 1-line block ×3, first 2 shown]
	ds_read2_b64 v[34:37], v20 offset1:16
	s_waitcnt lgkmcnt(0)
	v_mul_f32_e32 v38, v23, v35
	v_mul_f32_e32 v39, v22, v35
	v_fma_f32 v38, v22, v34, -v38
	v_fmac_f32_e32 v39, v23, v34
	v_add_f32_e32 v38, v16, v38
	v_add_f32_e32 v39, v17, v39
	v_mul_f32_e32 v16, v23, v37
	v_mul_f32_e32 v17, v22, v37
	v_fma_f32 v16, v22, v36, -v16
	v_fmac_f32_e32 v17, v23, v36
	v_add_f32_e32 v22, v14, v16
	v_add_f32_e32 v23, v15, v17
	ds_read_b128 v[14:17], v21 offset:1024
	s_waitcnt lgkmcnt(0)
	v_mul_f32_e32 v40, v15, v35
	v_mul_f32_e32 v35, v14, v35
	v_fma_f32 v40, v14, v34, -v40
	v_fmac_f32_e32 v35, v15, v34
	v_add_f32_e32 v34, v12, v40
	v_add_f32_e32 v35, v13, v35
	v_mul_f32_e32 v12, v15, v37
	v_mul_f32_e32 v13, v14, v37
	v_fma_f32 v12, v14, v36, -v12
	v_fmac_f32_e32 v13, v15, v36
	v_add_f32_e32 v14, v10, v12
	v_add_f32_e32 v15, v11, v13
	ds_read2_b64 v[10:13], v20 offset0:32 offset1:48
	s_waitcnt lgkmcnt(0)
	v_mul_f32_e32 v36, v25, v11
	v_fma_f32 v36, v24, v10, -v36
	v_add_f32_e32 v36, v38, v36
	v_mul_f32_e32 v38, v25, v13
	v_mul_f32_e32 v37, v24, v11
	v_fma_f32 v38, v24, v12, -v38
	v_mul_f32_e32 v24, v24, v13
	v_fmac_f32_e32 v24, v25, v12
	v_add_f32_e32 v23, v23, v24
	v_mul_f32_e32 v24, v17, v11
	v_mul_f32_e32 v11, v16, v11
	v_fmac_f32_e32 v11, v17, v10
	v_fmac_f32_e32 v37, v25, v10
	v_fma_f32 v24, v16, v10, -v24
	v_add_f32_e32 v25, v35, v11
	v_mul_f32_e32 v10, v17, v13
	v_mul_f32_e32 v11, v16, v13
	v_fma_f32 v10, v16, v12, -v10
	v_fmac_f32_e32 v11, v17, v12
	v_add_f32_e32 v24, v34, v24
	v_add_f32_e32 v34, v14, v10
	;; [unrolled: 1-line block ×3, first 2 shown]
	ds_read2_b64 v[10:13], v20 offset0:64 offset1:80
	v_add_f32_e32 v37, v39, v37
	v_add_f32_e32 v22, v22, v38
	s_waitcnt lgkmcnt(0)
	v_mul_f32_e32 v14, v27, v11
	v_mul_f32_e32 v15, v26, v11
	v_fma_f32 v14, v26, v10, -v14
	v_fmac_f32_e32 v15, v27, v10
	v_add_f32_e32 v36, v36, v14
	v_add_f32_e32 v37, v37, v15
	v_mul_f32_e32 v14, v27, v13
	v_mul_f32_e32 v15, v26, v13
	v_fma_f32 v14, v26, v12, -v14
	v_fmac_f32_e32 v15, v27, v12
	v_add_f32_e32 v22, v22, v14
	v_add_f32_e32 v23, v23, v15
	ds_read_b128 v[14:17], v21 offset:1040
	s_waitcnt lgkmcnt(0)
	v_mul_f32_e32 v26, v15, v11
	v_mul_f32_e32 v11, v14, v11
	v_fmac_f32_e32 v11, v15, v10
	v_fma_f32 v26, v14, v10, -v26
	v_add_f32_e32 v25, v25, v11
	v_mul_f32_e32 v10, v15, v13
	v_mul_f32_e32 v11, v14, v13
	v_fma_f32 v10, v14, v12, -v10
	v_fmac_f32_e32 v11, v15, v12
	v_add_f32_e32 v14, v34, v10
	v_add_f32_e32 v15, v35, v11
	ds_read2_b64 v[10:13], v20 offset0:96 offset1:112
	v_add_f32_e32 v24, v24, v26
	s_waitcnt lgkmcnt(0)
	v_mul_f32_e32 v26, v29, v11
	v_mul_f32_e32 v34, v29, v13
	v_fma_f32 v26, v28, v10, -v26
	v_mul_f32_e32 v27, v28, v11
	v_fma_f32 v34, v28, v12, -v34
	v_mul_f32_e32 v28, v28, v13
	v_fmac_f32_e32 v28, v29, v12
	v_add_f32_e32 v23, v23, v28
	v_mul_f32_e32 v28, v17, v11
	v_mul_f32_e32 v11, v16, v11
	v_fmac_f32_e32 v11, v17, v10
	v_fmac_f32_e32 v27, v29, v10
	v_fma_f32 v28, v16, v10, -v28
	v_add_f32_e32 v25, v25, v11
	v_mul_f32_e32 v10, v17, v13
	v_mul_f32_e32 v11, v16, v13
	v_fma_f32 v10, v16, v12, -v10
	v_fmac_f32_e32 v11, v17, v12
	v_add_f32_e32 v24, v24, v28
	v_add_f32_e32 v28, v14, v10
	;; [unrolled: 1-line block ×3, first 2 shown]
	ds_read2_b64 v[10:13], v20 offset0:128 offset1:144
	v_add_f32_e32 v26, v36, v26
	v_add_f32_e32 v27, v37, v27
	;; [unrolled: 1-line block ×3, first 2 shown]
	s_waitcnt lgkmcnt(0)
	v_mul_f32_e32 v14, v31, v11
	v_mul_f32_e32 v15, v30, v11
	v_fma_f32 v14, v30, v10, -v14
	v_fmac_f32_e32 v15, v31, v10
	v_add_f32_e32 v26, v26, v14
	v_add_f32_e32 v27, v27, v15
	v_mul_f32_e32 v14, v31, v13
	v_mul_f32_e32 v15, v30, v13
	v_fma_f32 v14, v30, v12, -v14
	v_fmac_f32_e32 v15, v31, v12
	v_add_f32_e32 v22, v22, v14
	v_add_f32_e32 v23, v23, v15
	ds_read_b128 v[14:17], v21 offset:1056
	s_waitcnt lgkmcnt(0)
	v_mul_f32_e32 v30, v15, v11
	v_mul_f32_e32 v11, v14, v11
	v_fmac_f32_e32 v11, v15, v10
	v_fma_f32 v30, v14, v10, -v30
	v_add_f32_e32 v25, v25, v11
	v_mul_f32_e32 v10, v15, v13
	v_mul_f32_e32 v11, v14, v13
	v_fma_f32 v10, v14, v12, -v10
	v_fmac_f32_e32 v11, v15, v12
	v_add_f32_e32 v14, v28, v10
	v_add_f32_e32 v15, v29, v11
	ds_read2_b64 v[10:13], v20 offset0:160 offset1:176
	v_add_f32_e32 v24, v24, v30
	s_waitcnt lgkmcnt(0)
	v_mul_f32_e32 v28, v33, v11
	v_fma_f32 v28, v32, v10, -v28
	v_mul_f32_e32 v29, v32, v11
	v_add_f32_e32 v26, v26, v28
	v_mul_f32_e32 v28, v33, v13
	v_fmac_f32_e32 v29, v33, v10
	v_fma_f32 v28, v32, v12, -v28
	v_add_f32_e32 v27, v27, v29
	v_mul_f32_e32 v29, v32, v13
	v_add_f32_e32 v22, v22, v28
	v_mul_f32_e32 v28, v17, v11
	v_mul_f32_e32 v11, v16, v11
	v_fmac_f32_e32 v29, v33, v12
	v_fmac_f32_e32 v11, v17, v10
	v_add_f32_e32 v23, v23, v29
	v_fma_f32 v28, v16, v10, -v28
	v_add_f32_e32 v29, v25, v11
	v_mul_f32_e32 v10, v17, v13
	v_mul_f32_e32 v11, v16, v13
	v_fma_f32 v10, v16, v12, -v10
	v_fmac_f32_e32 v11, v17, v12
	v_add_f32_e32 v14, v14, v10
	v_add_f32_e32 v15, v15, v11
	ds_read2_b64 v[10:13], v20 offset0:192 offset1:208
	v_add_f32_e32 v28, v24, v28
	s_waitcnt lgkmcnt(0)
	v_mul_f32_e32 v16, v3, v11
	v_mul_f32_e32 v24, v3, v13
	v_fma_f32 v16, v2, v10, -v16
	v_mul_f32_e32 v17, v2, v11
	v_fma_f32 v24, v2, v12, -v24
	v_mul_f32_e32 v2, v2, v13
	v_fmac_f32_e32 v2, v3, v12
	v_fmac_f32_e32 v17, v3, v10
	v_add_f32_e32 v3, v22, v24
	v_add_f32_e32 v2, v23, v2
	ds_read_b128 v[22:25], v21 offset:1072
	v_add_f32_e32 v16, v26, v16
	v_add_f32_e32 v17, v27, v17
	s_waitcnt lgkmcnt(0)
	v_mul_f32_e32 v26, v23, v11
	v_fma_f32 v26, v22, v10, -v26
	v_mul_f32_e32 v11, v22, v11
	v_fmac_f32_e32 v11, v23, v10
	v_add_f32_e32 v10, v28, v26
	v_mul_f32_e32 v26, v23, v13
	v_fma_f32 v26, v22, v12, -v26
	v_add_f32_e32 v11, v29, v11
	v_mul_f32_e32 v13, v22, v13
	v_add_f32_e32 v22, v14, v26
	ds_read2_b64 v[26:29], v20 offset0:224 offset1:240
	v_fmac_f32_e32 v13, v23, v12
	v_add_f32_e32 v23, v15, v13
	s_waitcnt lgkmcnt(0)
	s_barrier
	v_mul_f32_e32 v12, v5, v27
	v_fma_f32 v12, v4, v26, -v12
	v_add_f32_e32 v16, v16, v12
	v_mul_f32_e32 v12, v5, v29
	v_mul_f32_e32 v13, v4, v27
	v_fma_f32 v12, v4, v28, -v12
	v_mul_f32_e32 v4, v4, v29
	v_fmac_f32_e32 v4, v5, v28
	v_add_f32_e32 v14, v3, v12
	v_add_f32_e32 v15, v2, v4
	v_mul_f32_e32 v2, v25, v27
	v_mul_f32_e32 v3, v24, v27
	v_fmac_f32_e32 v13, v5, v26
	v_fma_f32 v2, v24, v26, -v2
	v_fmac_f32_e32 v3, v25, v26
	v_add_f32_e32 v17, v17, v13
	v_add_f32_e32 v12, v10, v2
	v_add_f32_e32 v13, v11, v3
	v_mul_f32_e32 v2, v25, v29
	v_mul_f32_e32 v3, v24, v29
	v_fma_f32 v2, v24, v28, -v2
	v_fmac_f32_e32 v3, v25, v28
	v_add_f32_e32 v10, v22, v2
	v_add_f32_e32 v11, v23, v3
	v_mov_b32_e32 v3, s1
	v_mov_b32_e32 v2, s0
	v_cmp_le_u64_e32 vcc, s[12:13], v[2:3]
	s_cbranch_vccz .LBB1096_2
	s_branch .LBB1096_4
.LBB1096_3:
	v_mov_b32_e32 v16, 0
	v_mov_b32_e32 v17, 0
	;; [unrolled: 1-line block ×8, first 2 shown]
.LBB1096_4:
	s_load_dwordx4 s[12:15], s[4:5], 0x48
	s_load_dword s6, s[4:5], 0x0
	v_add_u32_e32 v4, s3, v1
	v_ashrrev_i32_e32 v1, 31, v4
	v_add_u32_e32 v0, s2, v0
	s_waitcnt lgkmcnt(0)
	s_mul_i32 s1, s15, s8
	s_mul_hi_u32 s3, s14, s8
	s_mul_i32 s0, s14, s8
	v_mul_lo_u32 v3, s12, v1
	v_mul_lo_u32 v5, s13, v4
	v_mad_u64_u32 v[1:2], s[8:9], s12, v4, 0
	s_add_i32 s1, s3, s1
	s_lshl_b64 s[0:1], s[0:1], 3
	v_add3_u32 v2, v2, v3, v5
	s_add_u32 s4, s26, s0
	v_lshlrev_b64 v[1:2], 3, v[1:2]
	s_addc_u32 s5, s27, s1
	v_mov_b32_e32 v3, s5
	v_add_co_u32_e64 v5, s[0:1], s4, v1
	v_addc_co_u32_e64 v6, s[0:1], v3, v2, s[0:1]
	v_cmp_gt_i32_e32 vcc, s6, v4
	v_cmp_le_i32_e64 s[0:1], v0, v4
	s_and_b64 s[0:1], vcc, s[0:1]
	s_and_saveexec_b64 s[2:3], s[0:1]
	s_cbranch_execz .LBB1096_6
; %bb.5:
	v_ashrrev_i32_e32 v1, 31, v0
	v_lshlrev_b64 v[1:2], 3, v[0:1]
	v_add_co_u32_e64 v1, s[0:1], v5, v1
	v_addc_co_u32_e64 v2, s[0:1], v6, v2, s[0:1]
	global_store_dwordx2 v[1:2], v[16:17], off
.LBB1096_6:
	s_or_b64 exec, exec, s[2:3]
	v_add_u32_e32 v2, 16, v0
	v_cmp_le_i32_e64 s[0:1], v2, v4
	s_and_b64 s[2:3], vcc, s[0:1]
	s_and_saveexec_b64 s[0:1], s[2:3]
	s_cbranch_execz .LBB1096_8
; %bb.7:
	v_ashrrev_i32_e32 v3, 31, v2
	v_lshlrev_b64 v[7:8], 3, v[2:3]
	v_add_co_u32_e32 v5, vcc, v5, v7
	v_addc_co_u32_e32 v6, vcc, v6, v8, vcc
	global_store_dwordx2 v[5:6], v[14:15], off
.LBB1096_8:
	s_or_b64 exec, exec, s[0:1]
	v_add_u32_e32 v3, 16, v4
	v_ashrrev_i32_e32 v1, 31, v3
	v_mul_lo_u32 v1, s12, v1
	v_mul_lo_u32 v6, s13, v3
	v_mad_u64_u32 v[4:5], s[0:1], s12, v3, 0
	v_cmp_gt_i32_e32 vcc, s6, v3
	v_add3_u32 v5, v5, v1, v6
	v_lshlrev_b64 v[4:5], 3, v[4:5]
	v_mov_b32_e32 v1, s5
	v_add_co_u32_e64 v4, s[0:1], s4, v4
	v_addc_co_u32_e64 v5, s[0:1], v1, v5, s[0:1]
	v_cmp_le_i32_e64 s[0:1], v0, v3
	s_and_b64 s[0:1], vcc, s[0:1]
	s_and_saveexec_b64 s[2:3], s[0:1]
	s_cbranch_execz .LBB1096_10
; %bb.9:
	v_ashrrev_i32_e32 v1, 31, v0
	v_lshlrev_b64 v[0:1], 3, v[0:1]
	v_add_co_u32_e64 v0, s[0:1], v4, v0
	v_addc_co_u32_e64 v1, s[0:1], v5, v1, s[0:1]
	global_store_dwordx2 v[0:1], v[12:13], off
.LBB1096_10:
	s_or_b64 exec, exec, s[2:3]
	v_cmp_le_i32_e64 s[0:1], v2, v3
	s_and_b64 s[0:1], vcc, s[0:1]
	s_and_saveexec_b64 s[2:3], s[0:1]
	s_cbranch_execz .LBB1096_12
; %bb.11:
	v_ashrrev_i32_e32 v3, 31, v2
	v_lshlrev_b64 v[0:1], 3, v[2:3]
	v_add_co_u32_e32 v0, vcc, v4, v0
	v_addc_co_u32_e32 v1, vcc, v5, v1, vcc
	global_store_dwordx2 v[0:1], v[10:11], off
.LBB1096_12:
	s_endpgm
	.section	.rodata,"a",@progbits
	.p2align	6, 0x0
	.amdhsa_kernel _ZL37rocblas_syrkx_herkx_restricted_kernelIl19rocblas_complex_numIfELi16ELi32ELi8ELi1ELi0ELb0ELc67ELc85EKS1_S1_EviT_PT9_S3_lS5_S3_lPT10_S3_li
		.amdhsa_group_segment_fixed_size 4096
		.amdhsa_private_segment_fixed_size 0
		.amdhsa_kernarg_size 92
		.amdhsa_user_sgpr_count 6
		.amdhsa_user_sgpr_private_segment_buffer 1
		.amdhsa_user_sgpr_dispatch_ptr 0
		.amdhsa_user_sgpr_queue_ptr 0
		.amdhsa_user_sgpr_kernarg_segment_ptr 1
		.amdhsa_user_sgpr_dispatch_id 0
		.amdhsa_user_sgpr_flat_scratch_init 0
		.amdhsa_user_sgpr_private_segment_size 0
		.amdhsa_uses_dynamic_stack 0
		.amdhsa_system_sgpr_private_segment_wavefront_offset 0
		.amdhsa_system_sgpr_workgroup_id_x 1
		.amdhsa_system_sgpr_workgroup_id_y 1
		.amdhsa_system_sgpr_workgroup_id_z 1
		.amdhsa_system_sgpr_workgroup_info 0
		.amdhsa_system_vgpr_workitem_id 1
		.amdhsa_next_free_vgpr 41
		.amdhsa_next_free_sgpr 28
		.amdhsa_reserve_vcc 1
		.amdhsa_reserve_flat_scratch 0
		.amdhsa_float_round_mode_32 0
		.amdhsa_float_round_mode_16_64 0
		.amdhsa_float_denorm_mode_32 3
		.amdhsa_float_denorm_mode_16_64 3
		.amdhsa_dx10_clamp 1
		.amdhsa_ieee_mode 1
		.amdhsa_fp16_overflow 0
		.amdhsa_exception_fp_ieee_invalid_op 0
		.amdhsa_exception_fp_denorm_src 0
		.amdhsa_exception_fp_ieee_div_zero 0
		.amdhsa_exception_fp_ieee_overflow 0
		.amdhsa_exception_fp_ieee_underflow 0
		.amdhsa_exception_fp_ieee_inexact 0
		.amdhsa_exception_int_div_zero 0
	.end_amdhsa_kernel
	.section	.text._ZL37rocblas_syrkx_herkx_restricted_kernelIl19rocblas_complex_numIfELi16ELi32ELi8ELi1ELi0ELb0ELc67ELc85EKS1_S1_EviT_PT9_S3_lS5_S3_lPT10_S3_li,"axG",@progbits,_ZL37rocblas_syrkx_herkx_restricted_kernelIl19rocblas_complex_numIfELi16ELi32ELi8ELi1ELi0ELb0ELc67ELc85EKS1_S1_EviT_PT9_S3_lS5_S3_lPT10_S3_li,comdat
.Lfunc_end1096:
	.size	_ZL37rocblas_syrkx_herkx_restricted_kernelIl19rocblas_complex_numIfELi16ELi32ELi8ELi1ELi0ELb0ELc67ELc85EKS1_S1_EviT_PT9_S3_lS5_S3_lPT10_S3_li, .Lfunc_end1096-_ZL37rocblas_syrkx_herkx_restricted_kernelIl19rocblas_complex_numIfELi16ELi32ELi8ELi1ELi0ELb0ELc67ELc85EKS1_S1_EviT_PT9_S3_lS5_S3_lPT10_S3_li
                                        ; -- End function
	.set _ZL37rocblas_syrkx_herkx_restricted_kernelIl19rocblas_complex_numIfELi16ELi32ELi8ELi1ELi0ELb0ELc67ELc85EKS1_S1_EviT_PT9_S3_lS5_S3_lPT10_S3_li.num_vgpr, 41
	.set _ZL37rocblas_syrkx_herkx_restricted_kernelIl19rocblas_complex_numIfELi16ELi32ELi8ELi1ELi0ELb0ELc67ELc85EKS1_S1_EviT_PT9_S3_lS5_S3_lPT10_S3_li.num_agpr, 0
	.set _ZL37rocblas_syrkx_herkx_restricted_kernelIl19rocblas_complex_numIfELi16ELi32ELi8ELi1ELi0ELb0ELc67ELc85EKS1_S1_EviT_PT9_S3_lS5_S3_lPT10_S3_li.numbered_sgpr, 28
	.set _ZL37rocblas_syrkx_herkx_restricted_kernelIl19rocblas_complex_numIfELi16ELi32ELi8ELi1ELi0ELb0ELc67ELc85EKS1_S1_EviT_PT9_S3_lS5_S3_lPT10_S3_li.num_named_barrier, 0
	.set _ZL37rocblas_syrkx_herkx_restricted_kernelIl19rocblas_complex_numIfELi16ELi32ELi8ELi1ELi0ELb0ELc67ELc85EKS1_S1_EviT_PT9_S3_lS5_S3_lPT10_S3_li.private_seg_size, 0
	.set _ZL37rocblas_syrkx_herkx_restricted_kernelIl19rocblas_complex_numIfELi16ELi32ELi8ELi1ELi0ELb0ELc67ELc85EKS1_S1_EviT_PT9_S3_lS5_S3_lPT10_S3_li.uses_vcc, 1
	.set _ZL37rocblas_syrkx_herkx_restricted_kernelIl19rocblas_complex_numIfELi16ELi32ELi8ELi1ELi0ELb0ELc67ELc85EKS1_S1_EviT_PT9_S3_lS5_S3_lPT10_S3_li.uses_flat_scratch, 0
	.set _ZL37rocblas_syrkx_herkx_restricted_kernelIl19rocblas_complex_numIfELi16ELi32ELi8ELi1ELi0ELb0ELc67ELc85EKS1_S1_EviT_PT9_S3_lS5_S3_lPT10_S3_li.has_dyn_sized_stack, 0
	.set _ZL37rocblas_syrkx_herkx_restricted_kernelIl19rocblas_complex_numIfELi16ELi32ELi8ELi1ELi0ELb0ELc67ELc85EKS1_S1_EviT_PT9_S3_lS5_S3_lPT10_S3_li.has_recursion, 0
	.set _ZL37rocblas_syrkx_herkx_restricted_kernelIl19rocblas_complex_numIfELi16ELi32ELi8ELi1ELi0ELb0ELc67ELc85EKS1_S1_EviT_PT9_S3_lS5_S3_lPT10_S3_li.has_indirect_call, 0
	.section	.AMDGPU.csdata,"",@progbits
; Kernel info:
; codeLenInByte = 1968
; TotalNumSgprs: 32
; NumVgprs: 41
; ScratchSize: 0
; MemoryBound: 0
; FloatMode: 240
; IeeeMode: 1
; LDSByteSize: 4096 bytes/workgroup (compile time only)
; SGPRBlocks: 3
; VGPRBlocks: 10
; NumSGPRsForWavesPerEU: 32
; NumVGPRsForWavesPerEU: 41
; Occupancy: 5
; WaveLimiterHint : 1
; COMPUTE_PGM_RSRC2:SCRATCH_EN: 0
; COMPUTE_PGM_RSRC2:USER_SGPR: 6
; COMPUTE_PGM_RSRC2:TRAP_HANDLER: 0
; COMPUTE_PGM_RSRC2:TGID_X_EN: 1
; COMPUTE_PGM_RSRC2:TGID_Y_EN: 1
; COMPUTE_PGM_RSRC2:TGID_Z_EN: 1
; COMPUTE_PGM_RSRC2:TIDIG_COMP_CNT: 1
	.section	.text._ZL37rocblas_syrkx_herkx_restricted_kernelIl19rocblas_complex_numIfELi16ELi32ELi8ELi1ELi0ELb0ELc78ELc85EKS1_S1_EviT_PT9_S3_lS5_S3_lPT10_S3_li,"axG",@progbits,_ZL37rocblas_syrkx_herkx_restricted_kernelIl19rocblas_complex_numIfELi16ELi32ELi8ELi1ELi0ELb0ELc78ELc85EKS1_S1_EviT_PT9_S3_lS5_S3_lPT10_S3_li,comdat
	.globl	_ZL37rocblas_syrkx_herkx_restricted_kernelIl19rocblas_complex_numIfELi16ELi32ELi8ELi1ELi0ELb0ELc78ELc85EKS1_S1_EviT_PT9_S3_lS5_S3_lPT10_S3_li ; -- Begin function _ZL37rocblas_syrkx_herkx_restricted_kernelIl19rocblas_complex_numIfELi16ELi32ELi8ELi1ELi0ELb0ELc78ELc85EKS1_S1_EviT_PT9_S3_lS5_S3_lPT10_S3_li
	.p2align	8
	.type	_ZL37rocblas_syrkx_herkx_restricted_kernelIl19rocblas_complex_numIfELi16ELi32ELi8ELi1ELi0ELb0ELc78ELc85EKS1_S1_EviT_PT9_S3_lS5_S3_lPT10_S3_li,@function
_ZL37rocblas_syrkx_herkx_restricted_kernelIl19rocblas_complex_numIfELi16ELi32ELi8ELi1ELi0ELb0ELc78ELc85EKS1_S1_EviT_PT9_S3_lS5_S3_lPT10_S3_li: ; @_ZL37rocblas_syrkx_herkx_restricted_kernelIl19rocblas_complex_numIfELi16ELi32ELi8ELi1ELi0ELb0ELc78ELc85EKS1_S1_EviT_PT9_S3_lS5_S3_lPT10_S3_li
; %bb.0:
	s_load_dwordx16 s[12:27], s[4:5], 0x8
	s_lshl_b32 s9, s6, 5
	s_lshl_b32 s10, s7, 5
	s_waitcnt lgkmcnt(0)
	v_cmp_lt_i64_e64 s[0:1], s[12:13], 1
	s_and_b64 vcc, exec, s[0:1]
	s_cbranch_vccnz .LBB1097_3
; %bb.1:
	v_lshl_add_u32 v6, v1, 4, v0
	v_lshrrev_b32_e32 v7, 3, v6
	v_add_u32_e32 v2, s10, v7
	v_and_b32_e32 v5, 7, v0
	v_ashrrev_i32_e32 v3, 31, v2
	v_mad_u64_u32 v[2:3], s[0:1], s22, v5, v[2:3]
	v_lshrrev_b32_e32 v8, 5, v6
	s_mul_i32 s2, s19, s8
	v_mad_u64_u32 v[3:4], s[0:1], s23, v5, v[3:4]
	v_and_b32_e32 v4, 31, v6
	v_lshlrev_b32_e32 v5, 3, v5
	v_lshlrev_b32_e32 v6, 3, v4
	v_lshl_or_b32 v5, v7, 6, v5
	v_add_u32_e32 v4, s9, v4
	v_add_u32_e32 v19, 0x800, v5
	v_ashrrev_i32_e32 v5, 31, v4
	v_mad_u64_u32 v[4:5], s[0:1], s16, v8, v[4:5]
	v_lshl_or_b32 v18, v8, 8, v6
	v_mov_b32_e32 v6, 0x800
	v_lshl_add_u32 v21, v1, 6, v6
	v_mad_u64_u32 v[5:6], s[0:1], s17, v8, v[5:6]
	s_mul_hi_u32 s3, s18, s8
	s_add_i32 s1, s3, s2
	s_mul_i32 s0, s18, s8
	s_lshl_b64 s[0:1], s[0:1], 3
	v_lshlrev_b64 v[4:5], 3, v[4:5]
	s_add_u32 s0, s14, s0
	s_addc_u32 s1, s15, s1
	s_mul_i32 s2, s25, s8
	s_mul_hi_u32 s3, s24, s8
	v_mov_b32_e32 v6, s1
	v_add_co_u32_e32 v4, vcc, s0, v4
	s_add_i32 s3, s3, s2
	s_mul_i32 s2, s24, s8
	v_addc_co_u32_e32 v5, vcc, v6, v5, vcc
	s_lshl_b64 s[0:1], s[16:17], 6
	s_lshl_b64 s[2:3], s[2:3], 3
	v_add_co_u32_e32 v6, vcc, 4, v4
	v_lshlrev_b64 v[2:3], 3, v[2:3]
	s_add_u32 s2, s20, s2
	v_addc_co_u32_e32 v7, vcc, 0, v5, vcc
	s_addc_u32 s3, s21, s3
	v_mov_b32_e32 v4, s3
	v_add_co_u32_e32 v2, vcc, s2, v2
	v_addc_co_u32_e32 v3, vcc, v4, v3, vcc
	v_add_co_u32_e32 v8, vcc, 4, v2
	s_lshl_b64 s[2:3], s[22:23], 6
	v_lshlrev_b32_e32 v20, 3, v0
	v_addc_co_u32_e32 v9, vcc, 0, v3, vcc
	v_mov_b32_e32 v11, 0
	s_mov_b64 s[6:7], 0
	v_mov_b32_e32 v22, s1
	v_mov_b32_e32 v23, s3
	;; [unrolled: 1-line block ×9, first 2 shown]
.LBB1097_2:                             ; =>This Inner Loop Header: Depth=1
	global_load_dwordx2 v[2:3], v[6:7], off offset:-4
	v_add_co_u32_e32 v6, vcc, s0, v6
	s_add_u32 s6, s6, 8
	v_addc_co_u32_e32 v7, vcc, v7, v22, vcc
	s_addc_u32 s7, s7, 0
	s_waitcnt vmcnt(0)
	ds_write_b64 v18, v[2:3]
	global_load_dwordx2 v[2:3], v[8:9], off offset:-4
	v_add_co_u32_e32 v8, vcc, s2, v8
	v_addc_co_u32_e32 v9, vcc, v9, v23, vcc
	s_waitcnt vmcnt(0)
	ds_write_b64 v19, v[2:3]
	s_waitcnt lgkmcnt(0)
	s_barrier
	ds_read_b128 v[24:27], v21
	ds_read_b128 v[28:31], v21 offset:16
	ds_read_b128 v[32:35], v21 offset:32
	;; [unrolled: 1-line block ×3, first 2 shown]
	ds_read2_b64 v[36:39], v20 offset1:16
	s_waitcnt lgkmcnt(0)
	v_mul_f32_e32 v40, v25, v37
	v_mul_f32_e32 v41, v24, v37
	v_fma_f32 v40, v24, v36, -v40
	v_fmac_f32_e32 v41, v25, v36
	v_add_f32_e32 v40, v16, v40
	v_add_f32_e32 v41, v17, v41
	v_mul_f32_e32 v16, v25, v39
	v_mul_f32_e32 v17, v24, v39
	v_fma_f32 v16, v24, v38, -v16
	v_fmac_f32_e32 v17, v25, v38
	v_add_f32_e32 v24, v14, v16
	v_add_f32_e32 v25, v15, v17
	ds_read_b128 v[14:17], v21 offset:1024
	s_waitcnt lgkmcnt(0)
	v_mul_f32_e32 v42, v15, v37
	v_mul_f32_e32 v37, v14, v37
	v_fma_f32 v42, v14, v36, -v42
	v_fmac_f32_e32 v37, v15, v36
	v_add_f32_e32 v36, v12, v42
	v_add_f32_e32 v37, v13, v37
	v_mul_f32_e32 v12, v15, v39
	v_mul_f32_e32 v13, v14, v39
	v_fma_f32 v12, v14, v38, -v12
	v_fmac_f32_e32 v13, v15, v38
	v_add_f32_e32 v14, v10, v12
	v_add_f32_e32 v15, v11, v13
	ds_read2_b64 v[10:13], v20 offset0:32 offset1:48
	s_waitcnt lgkmcnt(0)
	v_mul_f32_e32 v38, v27, v11
	v_fma_f32 v38, v26, v10, -v38
	v_add_f32_e32 v38, v40, v38
	v_mul_f32_e32 v40, v27, v13
	v_mul_f32_e32 v39, v26, v11
	v_fma_f32 v40, v26, v12, -v40
	v_mul_f32_e32 v26, v26, v13
	v_fmac_f32_e32 v26, v27, v12
	v_add_f32_e32 v25, v25, v26
	v_mul_f32_e32 v26, v17, v11
	v_mul_f32_e32 v11, v16, v11
	v_fmac_f32_e32 v11, v17, v10
	v_fmac_f32_e32 v39, v27, v10
	v_fma_f32 v26, v16, v10, -v26
	v_add_f32_e32 v27, v37, v11
	v_mul_f32_e32 v10, v17, v13
	v_mul_f32_e32 v11, v16, v13
	v_fma_f32 v10, v16, v12, -v10
	v_fmac_f32_e32 v11, v17, v12
	v_add_f32_e32 v26, v36, v26
	v_add_f32_e32 v36, v14, v10
	;; [unrolled: 1-line block ×3, first 2 shown]
	ds_read2_b64 v[10:13], v20 offset0:64 offset1:80
	v_add_f32_e32 v39, v41, v39
	v_add_f32_e32 v24, v24, v40
	s_waitcnt lgkmcnt(0)
	v_mul_f32_e32 v14, v29, v11
	v_mul_f32_e32 v15, v28, v11
	v_fma_f32 v14, v28, v10, -v14
	v_fmac_f32_e32 v15, v29, v10
	v_add_f32_e32 v38, v38, v14
	v_add_f32_e32 v39, v39, v15
	v_mul_f32_e32 v14, v29, v13
	v_mul_f32_e32 v15, v28, v13
	v_fma_f32 v14, v28, v12, -v14
	v_fmac_f32_e32 v15, v29, v12
	v_add_f32_e32 v24, v24, v14
	v_add_f32_e32 v25, v25, v15
	ds_read_b128 v[14:17], v21 offset:1040
	s_waitcnt lgkmcnt(0)
	v_mul_f32_e32 v28, v15, v11
	v_mul_f32_e32 v11, v14, v11
	v_fmac_f32_e32 v11, v15, v10
	v_fma_f32 v28, v14, v10, -v28
	v_add_f32_e32 v27, v27, v11
	v_mul_f32_e32 v10, v15, v13
	v_mul_f32_e32 v11, v14, v13
	v_fma_f32 v10, v14, v12, -v10
	v_fmac_f32_e32 v11, v15, v12
	v_add_f32_e32 v14, v36, v10
	v_add_f32_e32 v15, v37, v11
	ds_read2_b64 v[10:13], v20 offset0:96 offset1:112
	v_add_f32_e32 v26, v26, v28
	s_waitcnt lgkmcnt(0)
	v_mul_f32_e32 v28, v31, v11
	v_mul_f32_e32 v36, v31, v13
	v_fma_f32 v28, v30, v10, -v28
	v_mul_f32_e32 v29, v30, v11
	v_fma_f32 v36, v30, v12, -v36
	v_mul_f32_e32 v30, v30, v13
	v_fmac_f32_e32 v30, v31, v12
	v_add_f32_e32 v25, v25, v30
	v_mul_f32_e32 v30, v17, v11
	v_mul_f32_e32 v11, v16, v11
	v_fmac_f32_e32 v11, v17, v10
	v_fmac_f32_e32 v29, v31, v10
	v_fma_f32 v30, v16, v10, -v30
	v_add_f32_e32 v27, v27, v11
	v_mul_f32_e32 v10, v17, v13
	v_mul_f32_e32 v11, v16, v13
	v_fma_f32 v10, v16, v12, -v10
	v_fmac_f32_e32 v11, v17, v12
	v_add_f32_e32 v26, v26, v30
	v_add_f32_e32 v30, v14, v10
	;; [unrolled: 1-line block ×3, first 2 shown]
	ds_read2_b64 v[10:13], v20 offset0:128 offset1:144
	v_add_f32_e32 v28, v38, v28
	v_add_f32_e32 v29, v39, v29
	;; [unrolled: 1-line block ×3, first 2 shown]
	s_waitcnt lgkmcnt(0)
	v_mul_f32_e32 v14, v33, v11
	v_mul_f32_e32 v15, v32, v11
	v_fma_f32 v14, v32, v10, -v14
	v_fmac_f32_e32 v15, v33, v10
	v_add_f32_e32 v28, v28, v14
	v_add_f32_e32 v29, v29, v15
	v_mul_f32_e32 v14, v33, v13
	v_mul_f32_e32 v15, v32, v13
	v_fma_f32 v14, v32, v12, -v14
	v_fmac_f32_e32 v15, v33, v12
	v_add_f32_e32 v24, v24, v14
	v_add_f32_e32 v25, v25, v15
	ds_read_b128 v[14:17], v21 offset:1056
	s_waitcnt lgkmcnt(0)
	v_mul_f32_e32 v32, v15, v11
	v_mul_f32_e32 v11, v14, v11
	v_fmac_f32_e32 v11, v15, v10
	v_fma_f32 v32, v14, v10, -v32
	v_add_f32_e32 v27, v27, v11
	v_mul_f32_e32 v10, v15, v13
	v_mul_f32_e32 v11, v14, v13
	v_fma_f32 v10, v14, v12, -v10
	v_fmac_f32_e32 v11, v15, v12
	v_add_f32_e32 v14, v30, v10
	v_add_f32_e32 v15, v31, v11
	ds_read2_b64 v[10:13], v20 offset0:160 offset1:176
	v_add_f32_e32 v26, v26, v32
	s_waitcnt lgkmcnt(0)
	v_mul_f32_e32 v30, v35, v11
	v_fma_f32 v30, v34, v10, -v30
	v_mul_f32_e32 v31, v34, v11
	v_add_f32_e32 v28, v28, v30
	v_mul_f32_e32 v30, v35, v13
	v_fmac_f32_e32 v31, v35, v10
	v_fma_f32 v30, v34, v12, -v30
	v_add_f32_e32 v29, v29, v31
	v_mul_f32_e32 v31, v34, v13
	v_add_f32_e32 v24, v24, v30
	v_mul_f32_e32 v30, v17, v11
	v_mul_f32_e32 v11, v16, v11
	v_fmac_f32_e32 v31, v35, v12
	v_fmac_f32_e32 v11, v17, v10
	v_add_f32_e32 v25, v25, v31
	v_fma_f32 v30, v16, v10, -v30
	v_add_f32_e32 v31, v27, v11
	v_mul_f32_e32 v10, v17, v13
	v_mul_f32_e32 v11, v16, v13
	v_fma_f32 v10, v16, v12, -v10
	v_fmac_f32_e32 v11, v17, v12
	v_add_f32_e32 v14, v14, v10
	v_add_f32_e32 v15, v15, v11
	ds_read2_b64 v[10:13], v20 offset0:192 offset1:208
	v_add_f32_e32 v30, v26, v30
	s_waitcnt lgkmcnt(0)
	v_mul_f32_e32 v16, v3, v11
	v_mul_f32_e32 v26, v3, v13
	v_fma_f32 v16, v2, v10, -v16
	v_mul_f32_e32 v17, v2, v11
	v_fma_f32 v26, v2, v12, -v26
	v_mul_f32_e32 v2, v2, v13
	v_fmac_f32_e32 v2, v3, v12
	v_fmac_f32_e32 v17, v3, v10
	v_add_f32_e32 v3, v24, v26
	v_add_f32_e32 v2, v25, v2
	ds_read_b128 v[24:27], v21 offset:1072
	v_add_f32_e32 v16, v28, v16
	v_add_f32_e32 v17, v29, v17
	s_waitcnt lgkmcnt(0)
	v_mul_f32_e32 v28, v25, v11
	v_fma_f32 v28, v24, v10, -v28
	v_mul_f32_e32 v11, v24, v11
	v_fmac_f32_e32 v11, v25, v10
	v_add_f32_e32 v10, v30, v28
	v_mul_f32_e32 v28, v25, v13
	v_fma_f32 v28, v24, v12, -v28
	v_add_f32_e32 v11, v31, v11
	v_mul_f32_e32 v13, v24, v13
	v_add_f32_e32 v24, v14, v28
	ds_read2_b64 v[28:31], v20 offset0:224 offset1:240
	v_fmac_f32_e32 v13, v25, v12
	v_add_f32_e32 v25, v15, v13
	s_waitcnt lgkmcnt(0)
	s_barrier
	v_mul_f32_e32 v12, v5, v29
	v_fma_f32 v12, v4, v28, -v12
	v_add_f32_e32 v16, v16, v12
	v_mul_f32_e32 v12, v5, v31
	v_mul_f32_e32 v13, v4, v29
	v_fma_f32 v12, v4, v30, -v12
	v_mul_f32_e32 v4, v4, v31
	v_fmac_f32_e32 v4, v5, v30
	v_add_f32_e32 v14, v3, v12
	v_add_f32_e32 v15, v2, v4
	v_mul_f32_e32 v2, v27, v29
	v_mul_f32_e32 v3, v26, v29
	v_fmac_f32_e32 v13, v5, v28
	v_fma_f32 v2, v26, v28, -v2
	v_fmac_f32_e32 v3, v27, v28
	v_add_f32_e32 v17, v17, v13
	v_add_f32_e32 v12, v10, v2
	;; [unrolled: 1-line block ×3, first 2 shown]
	v_mul_f32_e32 v2, v27, v31
	v_mul_f32_e32 v3, v26, v31
	v_fma_f32 v2, v26, v30, -v2
	v_fmac_f32_e32 v3, v27, v30
	v_add_f32_e32 v10, v24, v2
	v_add_f32_e32 v11, v25, v3
	v_mov_b32_e32 v2, s6
	v_mov_b32_e32 v3, s7
	v_cmp_le_u64_e32 vcc, s[12:13], v[2:3]
	s_cbranch_vccz .LBB1097_2
	s_branch .LBB1097_4
.LBB1097_3:
	v_mov_b32_e32 v16, 0
	v_mov_b32_e32 v17, 0
	v_mov_b32_e32 v14, 0
	v_mov_b32_e32 v15, 0
	v_mov_b32_e32 v12, 0
	v_mov_b32_e32 v13, 0
	v_mov_b32_e32 v10, 0
	v_mov_b32_e32 v11, 0
.LBB1097_4:
	s_load_dwordx4 s[12:15], s[4:5], 0x48
	s_load_dword s6, s[4:5], 0x0
	v_add_u32_e32 v4, s10, v1
	v_ashrrev_i32_e32 v1, 31, v4
	v_add_u32_e32 v0, s9, v0
	s_waitcnt lgkmcnt(0)
	s_mul_i32 s1, s15, s8
	s_mul_hi_u32 s2, s14, s8
	s_add_i32 s1, s2, s1
	v_mul_lo_u32 v3, s12, v1
	v_mul_lo_u32 v5, s13, v4
	v_mad_u64_u32 v[1:2], s[2:3], s12, v4, 0
	s_mul_i32 s0, s14, s8
	s_lshl_b64 s[0:1], s[0:1], 3
	v_add3_u32 v2, v2, v3, v5
	s_add_u32 s4, s26, s0
	v_lshlrev_b64 v[1:2], 3, v[1:2]
	s_addc_u32 s5, s27, s1
	v_mov_b32_e32 v3, s5
	v_add_co_u32_e64 v5, s[0:1], s4, v1
	v_addc_co_u32_e64 v6, s[0:1], v3, v2, s[0:1]
	v_cmp_gt_i32_e32 vcc, s6, v4
	v_cmp_le_i32_e64 s[0:1], v0, v4
	s_and_b64 s[0:1], vcc, s[0:1]
	s_and_saveexec_b64 s[2:3], s[0:1]
	s_cbranch_execz .LBB1097_6
; %bb.5:
	v_ashrrev_i32_e32 v1, 31, v0
	v_lshlrev_b64 v[1:2], 3, v[0:1]
	v_add_co_u32_e64 v1, s[0:1], v5, v1
	v_addc_co_u32_e64 v2, s[0:1], v6, v2, s[0:1]
	global_store_dwordx2 v[1:2], v[16:17], off
.LBB1097_6:
	s_or_b64 exec, exec, s[2:3]
	v_add_u32_e32 v2, 16, v0
	v_cmp_le_i32_e64 s[0:1], v2, v4
	s_and_b64 s[2:3], vcc, s[0:1]
	s_and_saveexec_b64 s[0:1], s[2:3]
	s_cbranch_execz .LBB1097_8
; %bb.7:
	v_ashrrev_i32_e32 v3, 31, v2
	v_lshlrev_b64 v[7:8], 3, v[2:3]
	v_add_co_u32_e32 v5, vcc, v5, v7
	v_addc_co_u32_e32 v6, vcc, v6, v8, vcc
	global_store_dwordx2 v[5:6], v[14:15], off
.LBB1097_8:
	s_or_b64 exec, exec, s[0:1]
	v_add_u32_e32 v3, 16, v4
	v_ashrrev_i32_e32 v1, 31, v3
	v_mul_lo_u32 v1, s12, v1
	v_mul_lo_u32 v6, s13, v3
	v_mad_u64_u32 v[4:5], s[0:1], s12, v3, 0
	v_cmp_gt_i32_e32 vcc, s6, v3
	v_add3_u32 v5, v5, v1, v6
	v_lshlrev_b64 v[4:5], 3, v[4:5]
	v_mov_b32_e32 v1, s5
	v_add_co_u32_e64 v4, s[0:1], s4, v4
	v_addc_co_u32_e64 v5, s[0:1], v1, v5, s[0:1]
	v_cmp_le_i32_e64 s[0:1], v0, v3
	s_and_b64 s[0:1], vcc, s[0:1]
	s_and_saveexec_b64 s[2:3], s[0:1]
	s_cbranch_execz .LBB1097_10
; %bb.9:
	v_ashrrev_i32_e32 v1, 31, v0
	v_lshlrev_b64 v[0:1], 3, v[0:1]
	v_add_co_u32_e64 v0, s[0:1], v4, v0
	v_addc_co_u32_e64 v1, s[0:1], v5, v1, s[0:1]
	global_store_dwordx2 v[0:1], v[12:13], off
.LBB1097_10:
	s_or_b64 exec, exec, s[2:3]
	v_cmp_le_i32_e64 s[0:1], v2, v3
	s_and_b64 s[0:1], vcc, s[0:1]
	s_and_saveexec_b64 s[2:3], s[0:1]
	s_cbranch_execz .LBB1097_12
; %bb.11:
	v_ashrrev_i32_e32 v3, 31, v2
	v_lshlrev_b64 v[0:1], 3, v[2:3]
	v_add_co_u32_e32 v0, vcc, v4, v0
	v_addc_co_u32_e32 v1, vcc, v5, v1, vcc
	global_store_dwordx2 v[0:1], v[10:11], off
.LBB1097_12:
	s_endpgm
	.section	.rodata,"a",@progbits
	.p2align	6, 0x0
	.amdhsa_kernel _ZL37rocblas_syrkx_herkx_restricted_kernelIl19rocblas_complex_numIfELi16ELi32ELi8ELi1ELi0ELb0ELc78ELc85EKS1_S1_EviT_PT9_S3_lS5_S3_lPT10_S3_li
		.amdhsa_group_segment_fixed_size 4096
		.amdhsa_private_segment_fixed_size 0
		.amdhsa_kernarg_size 92
		.amdhsa_user_sgpr_count 6
		.amdhsa_user_sgpr_private_segment_buffer 1
		.amdhsa_user_sgpr_dispatch_ptr 0
		.amdhsa_user_sgpr_queue_ptr 0
		.amdhsa_user_sgpr_kernarg_segment_ptr 1
		.amdhsa_user_sgpr_dispatch_id 0
		.amdhsa_user_sgpr_flat_scratch_init 0
		.amdhsa_user_sgpr_private_segment_size 0
		.amdhsa_uses_dynamic_stack 0
		.amdhsa_system_sgpr_private_segment_wavefront_offset 0
		.amdhsa_system_sgpr_workgroup_id_x 1
		.amdhsa_system_sgpr_workgroup_id_y 1
		.amdhsa_system_sgpr_workgroup_id_z 1
		.amdhsa_system_sgpr_workgroup_info 0
		.amdhsa_system_vgpr_workitem_id 1
		.amdhsa_next_free_vgpr 43
		.amdhsa_next_free_sgpr 28
		.amdhsa_reserve_vcc 1
		.amdhsa_reserve_flat_scratch 0
		.amdhsa_float_round_mode_32 0
		.amdhsa_float_round_mode_16_64 0
		.amdhsa_float_denorm_mode_32 3
		.amdhsa_float_denorm_mode_16_64 3
		.amdhsa_dx10_clamp 1
		.amdhsa_ieee_mode 1
		.amdhsa_fp16_overflow 0
		.amdhsa_exception_fp_ieee_invalid_op 0
		.amdhsa_exception_fp_denorm_src 0
		.amdhsa_exception_fp_ieee_div_zero 0
		.amdhsa_exception_fp_ieee_overflow 0
		.amdhsa_exception_fp_ieee_underflow 0
		.amdhsa_exception_fp_ieee_inexact 0
		.amdhsa_exception_int_div_zero 0
	.end_amdhsa_kernel
	.section	.text._ZL37rocblas_syrkx_herkx_restricted_kernelIl19rocblas_complex_numIfELi16ELi32ELi8ELi1ELi0ELb0ELc78ELc85EKS1_S1_EviT_PT9_S3_lS5_S3_lPT10_S3_li,"axG",@progbits,_ZL37rocblas_syrkx_herkx_restricted_kernelIl19rocblas_complex_numIfELi16ELi32ELi8ELi1ELi0ELb0ELc78ELc85EKS1_S1_EviT_PT9_S3_lS5_S3_lPT10_S3_li,comdat
.Lfunc_end1097:
	.size	_ZL37rocblas_syrkx_herkx_restricted_kernelIl19rocblas_complex_numIfELi16ELi32ELi8ELi1ELi0ELb0ELc78ELc85EKS1_S1_EviT_PT9_S3_lS5_S3_lPT10_S3_li, .Lfunc_end1097-_ZL37rocblas_syrkx_herkx_restricted_kernelIl19rocblas_complex_numIfELi16ELi32ELi8ELi1ELi0ELb0ELc78ELc85EKS1_S1_EviT_PT9_S3_lS5_S3_lPT10_S3_li
                                        ; -- End function
	.set _ZL37rocblas_syrkx_herkx_restricted_kernelIl19rocblas_complex_numIfELi16ELi32ELi8ELi1ELi0ELb0ELc78ELc85EKS1_S1_EviT_PT9_S3_lS5_S3_lPT10_S3_li.num_vgpr, 43
	.set _ZL37rocblas_syrkx_herkx_restricted_kernelIl19rocblas_complex_numIfELi16ELi32ELi8ELi1ELi0ELb0ELc78ELc85EKS1_S1_EviT_PT9_S3_lS5_S3_lPT10_S3_li.num_agpr, 0
	.set _ZL37rocblas_syrkx_herkx_restricted_kernelIl19rocblas_complex_numIfELi16ELi32ELi8ELi1ELi0ELb0ELc78ELc85EKS1_S1_EviT_PT9_S3_lS5_S3_lPT10_S3_li.numbered_sgpr, 28
	.set _ZL37rocblas_syrkx_herkx_restricted_kernelIl19rocblas_complex_numIfELi16ELi32ELi8ELi1ELi0ELb0ELc78ELc85EKS1_S1_EviT_PT9_S3_lS5_S3_lPT10_S3_li.num_named_barrier, 0
	.set _ZL37rocblas_syrkx_herkx_restricted_kernelIl19rocblas_complex_numIfELi16ELi32ELi8ELi1ELi0ELb0ELc78ELc85EKS1_S1_EviT_PT9_S3_lS5_S3_lPT10_S3_li.private_seg_size, 0
	.set _ZL37rocblas_syrkx_herkx_restricted_kernelIl19rocblas_complex_numIfELi16ELi32ELi8ELi1ELi0ELb0ELc78ELc85EKS1_S1_EviT_PT9_S3_lS5_S3_lPT10_S3_li.uses_vcc, 1
	.set _ZL37rocblas_syrkx_herkx_restricted_kernelIl19rocblas_complex_numIfELi16ELi32ELi8ELi1ELi0ELb0ELc78ELc85EKS1_S1_EviT_PT9_S3_lS5_S3_lPT10_S3_li.uses_flat_scratch, 0
	.set _ZL37rocblas_syrkx_herkx_restricted_kernelIl19rocblas_complex_numIfELi16ELi32ELi8ELi1ELi0ELb0ELc78ELc85EKS1_S1_EviT_PT9_S3_lS5_S3_lPT10_S3_li.has_dyn_sized_stack, 0
	.set _ZL37rocblas_syrkx_herkx_restricted_kernelIl19rocblas_complex_numIfELi16ELi32ELi8ELi1ELi0ELb0ELc78ELc85EKS1_S1_EviT_PT9_S3_lS5_S3_lPT10_S3_li.has_recursion, 0
	.set _ZL37rocblas_syrkx_herkx_restricted_kernelIl19rocblas_complex_numIfELi16ELi32ELi8ELi1ELi0ELb0ELc78ELc85EKS1_S1_EviT_PT9_S3_lS5_S3_lPT10_S3_li.has_indirect_call, 0
	.section	.AMDGPU.csdata,"",@progbits
; Kernel info:
; codeLenInByte = 1948
; TotalNumSgprs: 32
; NumVgprs: 43
; ScratchSize: 0
; MemoryBound: 0
; FloatMode: 240
; IeeeMode: 1
; LDSByteSize: 4096 bytes/workgroup (compile time only)
; SGPRBlocks: 3
; VGPRBlocks: 10
; NumSGPRsForWavesPerEU: 32
; NumVGPRsForWavesPerEU: 43
; Occupancy: 5
; WaveLimiterHint : 1
; COMPUTE_PGM_RSRC2:SCRATCH_EN: 0
; COMPUTE_PGM_RSRC2:USER_SGPR: 6
; COMPUTE_PGM_RSRC2:TRAP_HANDLER: 0
; COMPUTE_PGM_RSRC2:TGID_X_EN: 1
; COMPUTE_PGM_RSRC2:TGID_Y_EN: 1
; COMPUTE_PGM_RSRC2:TGID_Z_EN: 1
; COMPUTE_PGM_RSRC2:TIDIG_COMP_CNT: 1
	.section	.text._ZL37rocblas_syrkx_herkx_restricted_kernelIl19rocblas_complex_numIfELi16ELi32ELi8ELin1ELi0ELb0ELc84ELc76EKS1_S1_EviT_PT9_S3_lS5_S3_lPT10_S3_li,"axG",@progbits,_ZL37rocblas_syrkx_herkx_restricted_kernelIl19rocblas_complex_numIfELi16ELi32ELi8ELin1ELi0ELb0ELc84ELc76EKS1_S1_EviT_PT9_S3_lS5_S3_lPT10_S3_li,comdat
	.globl	_ZL37rocblas_syrkx_herkx_restricted_kernelIl19rocblas_complex_numIfELi16ELi32ELi8ELin1ELi0ELb0ELc84ELc76EKS1_S1_EviT_PT9_S3_lS5_S3_lPT10_S3_li ; -- Begin function _ZL37rocblas_syrkx_herkx_restricted_kernelIl19rocblas_complex_numIfELi16ELi32ELi8ELin1ELi0ELb0ELc84ELc76EKS1_S1_EviT_PT9_S3_lS5_S3_lPT10_S3_li
	.p2align	8
	.type	_ZL37rocblas_syrkx_herkx_restricted_kernelIl19rocblas_complex_numIfELi16ELi32ELi8ELin1ELi0ELb0ELc84ELc76EKS1_S1_EviT_PT9_S3_lS5_S3_lPT10_S3_li,@function
_ZL37rocblas_syrkx_herkx_restricted_kernelIl19rocblas_complex_numIfELi16ELi32ELi8ELin1ELi0ELb0ELc84ELc76EKS1_S1_EviT_PT9_S3_lS5_S3_lPT10_S3_li: ; @_ZL37rocblas_syrkx_herkx_restricted_kernelIl19rocblas_complex_numIfELi16ELi32ELi8ELin1ELi0ELb0ELc84ELc76EKS1_S1_EviT_PT9_S3_lS5_S3_lPT10_S3_li
; %bb.0:
	s_load_dwordx16 s[12:27], s[4:5], 0x8
	s_lshl_b32 s2, s6, 5
	s_lshl_b32 s3, s7, 5
	s_waitcnt lgkmcnt(0)
	v_cmp_lt_i64_e64 s[0:1], s[12:13], 1
	s_and_b64 vcc, exec, s[0:1]
	s_cbranch_vccnz .LBB1098_3
; %bb.1:
	v_lshl_add_u32 v4, v1, 4, v0
	v_lshrrev_b32_e32 v6, 3, v4
	v_add_u32_e32 v2, s3, v6
	v_ashrrev_i32_e32 v3, 31, v2
	v_and_b32_e32 v9, 7, v0
	v_mov_b32_e32 v10, 0
	v_mul_lo_u32 v5, s22, v3
	v_mul_lo_u32 v7, s23, v2
	v_mad_u64_u32 v[2:3], s[0:1], s22, v2, v[9:10]
	s_mul_i32 s6, s19, s8
	s_mul_hi_u32 s7, s18, s8
	v_add3_u32 v3, v7, v3, v5
	v_and_b32_e32 v7, 31, v4
	v_lshrrev_b32_e32 v4, 5, v4
	v_lshlrev_b32_e32 v8, 3, v7
	v_lshl_or_b32 v11, v4, 8, v8
	v_lshlrev_b32_e32 v8, 3, v9
	v_lshl_or_b32 v6, v6, 6, v8
	v_add_u32_e32 v12, 0x800, v6
	v_mov_b32_e32 v6, 0x800
	v_lshl_add_u32 v14, v1, 6, v6
	v_add_u32_e32 v6, s2, v7
	v_mov_b32_e32 v5, v10
	v_ashrrev_i32_e32 v7, 31, v6
	v_mul_lo_u32 v7, s16, v7
	v_mad_u64_u32 v[4:5], s[0:1], s16, v6, v[4:5]
	v_mul_lo_u32 v6, s17, v6
	s_add_i32 s1, s7, s6
	s_mul_i32 s0, s18, s8
	s_lshl_b64 s[0:1], s[0:1], 3
	v_add3_u32 v5, v6, v5, v7
	v_lshlrev_b64 v[4:5], 3, v[4:5]
	s_add_u32 s0, s14, s0
	s_addc_u32 s1, s15, s1
	v_mov_b32_e32 v6, s1
	v_add_co_u32_e32 v4, vcc, s0, v4
	s_mul_i32 s0, s25, s8
	s_mul_hi_u32 s1, s24, s8
	s_add_i32 s1, s1, s0
	s_mul_i32 s0, s24, s8
	v_addc_co_u32_e32 v5, vcc, v6, v5, vcc
	s_lshl_b64 s[0:1], s[0:1], 3
	v_add_co_u32_e32 v6, vcc, 4, v4
	v_lshlrev_b64 v[2:3], 3, v[2:3]
	s_add_u32 s0, s20, s0
	v_addc_co_u32_e32 v7, vcc, 0, v5, vcc
	s_addc_u32 s1, s21, s1
	v_mov_b32_e32 v4, s1
	v_add_co_u32_e32 v2, vcc, s0, v2
	v_addc_co_u32_e32 v3, vcc, v4, v3, vcc
	v_add_co_u32_e32 v8, vcc, 4, v2
	v_lshlrev_b32_e32 v13, 3, v0
	v_addc_co_u32_e32 v9, vcc, 0, v3, vcc
	s_mov_b64 s[0:1], 0
	v_mov_b32_e32 v15, v10
	v_mov_b32_e32 v16, v10
	;; [unrolled: 1-line block ×7, first 2 shown]
.LBB1098_2:                             ; =>This Inner Loop Header: Depth=1
	global_load_dwordx2 v[2:3], v[6:7], off offset:-4
	s_add_u32 s0, s0, 8
	v_add_co_u32_e32 v6, vcc, 64, v6
	s_addc_u32 s1, s1, 0
	v_addc_co_u32_e32 v7, vcc, 0, v7, vcc
	s_waitcnt vmcnt(0)
	ds_write_b64 v11, v[2:3]
	global_load_dwordx2 v[2:3], v[8:9], off offset:-4
	v_add_co_u32_e32 v8, vcc, 64, v8
	v_addc_co_u32_e32 v9, vcc, 0, v9, vcc
	s_waitcnt vmcnt(0)
	ds_write_b64 v12, v[2:3]
	s_waitcnt lgkmcnt(0)
	s_barrier
	ds_read_b128 v[22:25], v14
	ds_read_b128 v[26:29], v14 offset:16
	ds_read_b128 v[30:33], v14 offset:32
	;; [unrolled: 1-line block ×3, first 2 shown]
	ds_read2_b64 v[34:37], v13 offset1:16
	s_waitcnt lgkmcnt(0)
	v_mul_f32_e32 v38, v23, v35
	v_mul_f32_e32 v39, v22, v35
	v_fma_f32 v38, v22, v34, -v38
	v_fmac_f32_e32 v39, v23, v34
	v_add_f32_e32 v38, v20, v38
	v_add_f32_e32 v39, v21, v39
	v_mul_f32_e32 v20, v23, v37
	v_mul_f32_e32 v21, v22, v37
	v_fma_f32 v20, v22, v36, -v20
	v_fmac_f32_e32 v21, v23, v36
	v_add_f32_e32 v22, v19, v20
	v_add_f32_e32 v23, v18, v21
	ds_read_b128 v[18:21], v14 offset:1024
	s_waitcnt lgkmcnt(0)
	v_mul_f32_e32 v40, v19, v35
	v_mul_f32_e32 v35, v18, v35
	v_fma_f32 v40, v18, v34, -v40
	v_fmac_f32_e32 v35, v19, v34
	v_add_f32_e32 v34, v17, v40
	v_add_f32_e32 v35, v16, v35
	v_mul_f32_e32 v16, v19, v37
	v_mul_f32_e32 v17, v18, v37
	v_fma_f32 v16, v18, v36, -v16
	v_fmac_f32_e32 v17, v19, v36
	v_add_f32_e32 v19, v15, v16
	v_add_f32_e32 v10, v10, v17
	ds_read2_b64 v[15:18], v13 offset0:32 offset1:48
	s_waitcnt lgkmcnt(0)
	v_mul_f32_e32 v36, v25, v16
	v_fma_f32 v36, v24, v15, -v36
	v_add_f32_e32 v36, v38, v36
	v_mul_f32_e32 v38, v25, v18
	v_mul_f32_e32 v37, v24, v16
	v_fma_f32 v38, v24, v17, -v38
	v_mul_f32_e32 v24, v24, v18
	v_fmac_f32_e32 v24, v25, v17
	v_add_f32_e32 v23, v23, v24
	v_mul_f32_e32 v24, v21, v16
	v_mul_f32_e32 v16, v20, v16
	v_fmac_f32_e32 v16, v21, v15
	v_fmac_f32_e32 v37, v25, v15
	v_fma_f32 v24, v20, v15, -v24
	v_add_f32_e32 v25, v35, v16
	v_mul_f32_e32 v15, v21, v18
	v_mul_f32_e32 v16, v20, v18
	v_fma_f32 v15, v20, v17, -v15
	v_fmac_f32_e32 v16, v21, v17
	v_add_f32_e32 v24, v34, v24
	v_add_f32_e32 v34, v19, v15
	v_add_f32_e32 v10, v10, v16
	ds_read2_b64 v[15:18], v13 offset0:64 offset1:80
	v_add_f32_e32 v37, v39, v37
	v_add_f32_e32 v22, v22, v38
	s_waitcnt lgkmcnt(0)
	v_mul_f32_e32 v19, v27, v16
	v_mul_f32_e32 v20, v26, v16
	v_fma_f32 v19, v26, v15, -v19
	v_fmac_f32_e32 v20, v27, v15
	v_add_f32_e32 v35, v36, v19
	v_add_f32_e32 v36, v37, v20
	v_mul_f32_e32 v19, v27, v18
	v_mul_f32_e32 v20, v26, v18
	v_fma_f32 v19, v26, v17, -v19
	v_fmac_f32_e32 v20, v27, v17
	v_add_f32_e32 v26, v22, v19
	v_add_f32_e32 v23, v23, v20
	ds_read_b128 v[19:22], v14 offset:1040
	s_waitcnt lgkmcnt(0)
	v_mul_f32_e32 v27, v20, v16
	v_mul_f32_e32 v16, v19, v16
	v_fmac_f32_e32 v16, v20, v15
	v_fma_f32 v27, v19, v15, -v27
	v_add_f32_e32 v25, v25, v16
	v_mul_f32_e32 v15, v20, v18
	v_mul_f32_e32 v16, v19, v18
	v_fma_f32 v15, v19, v17, -v15
	v_fmac_f32_e32 v16, v20, v17
	v_add_f32_e32 v19, v34, v15
	v_add_f32_e32 v10, v10, v16
	ds_read2_b64 v[15:18], v13 offset0:96 offset1:112
	v_add_f32_e32 v24, v24, v27
	s_waitcnt lgkmcnt(0)
	v_mul_f32_e32 v20, v29, v16
	v_mul_f32_e32 v34, v29, v18
	v_fma_f32 v20, v28, v15, -v20
	v_mul_f32_e32 v27, v28, v16
	v_fma_f32 v34, v28, v17, -v34
	v_mul_f32_e32 v28, v28, v18
	v_fmac_f32_e32 v28, v29, v17
	v_add_f32_e32 v23, v23, v28
	v_mul_f32_e32 v28, v22, v16
	v_mul_f32_e32 v16, v21, v16
	v_fmac_f32_e32 v16, v22, v15
	v_fmac_f32_e32 v27, v29, v15
	v_fma_f32 v28, v21, v15, -v28
	v_add_f32_e32 v25, v25, v16
	v_mul_f32_e32 v15, v22, v18
	v_mul_f32_e32 v16, v21, v18
	v_fma_f32 v15, v21, v17, -v15
	v_fmac_f32_e32 v16, v22, v17
	v_add_f32_e32 v24, v24, v28
	v_add_f32_e32 v28, v19, v15
	v_add_f32_e32 v10, v10, v16
	ds_read2_b64 v[15:18], v13 offset0:128 offset1:144
	v_add_f32_e32 v20, v35, v20
	v_add_f32_e32 v27, v36, v27
	;; [unrolled: 1-line block ×3, first 2 shown]
	s_waitcnt lgkmcnt(0)
	v_mul_f32_e32 v19, v31, v16
	v_fma_f32 v19, v30, v15, -v19
	v_mul_f32_e32 v21, v30, v16
	v_add_f32_e32 v29, v20, v19
	v_mul_f32_e32 v19, v31, v18
	v_mul_f32_e32 v20, v30, v18
	v_fmac_f32_e32 v21, v31, v15
	v_fma_f32 v19, v30, v17, -v19
	v_fmac_f32_e32 v20, v31, v17
	v_add_f32_e32 v27, v27, v21
	v_add_f32_e32 v26, v26, v19
	;; [unrolled: 1-line block ×3, first 2 shown]
	ds_read_b128 v[19:22], v14 offset:1056
	s_waitcnt lgkmcnt(0)
	v_mul_f32_e32 v30, v20, v16
	v_mul_f32_e32 v16, v19, v16
	v_fmac_f32_e32 v16, v20, v15
	v_fma_f32 v30, v19, v15, -v30
	v_add_f32_e32 v25, v25, v16
	v_mul_f32_e32 v15, v20, v18
	v_mul_f32_e32 v16, v19, v18
	v_fma_f32 v15, v19, v17, -v15
	v_fmac_f32_e32 v16, v20, v17
	v_add_f32_e32 v19, v28, v15
	v_add_f32_e32 v10, v10, v16
	ds_read2_b64 v[15:18], v13 offset0:160 offset1:176
	v_add_f32_e32 v24, v24, v30
	s_waitcnt lgkmcnt(0)
	v_mul_f32_e32 v28, v32, v16
	v_fmac_f32_e32 v28, v33, v15
	v_add_f32_e32 v27, v27, v28
	v_mul_f32_e32 v28, v33, v18
	v_fma_f32 v28, v32, v17, -v28
	v_mul_f32_e32 v20, v33, v16
	v_add_f32_e32 v26, v26, v28
	v_mul_f32_e32 v28, v22, v16
	v_mul_f32_e32 v16, v21, v16
	v_fmac_f32_e32 v16, v22, v15
	v_fma_f32 v20, v32, v15, -v20
	v_fma_f32 v28, v21, v15, -v28
	v_add_f32_e32 v25, v25, v16
	v_mul_f32_e32 v15, v22, v18
	v_mul_f32_e32 v16, v21, v18
	v_add_f32_e32 v20, v29, v20
	v_mul_f32_e32 v29, v32, v18
	v_fma_f32 v15, v21, v17, -v15
	v_fmac_f32_e32 v16, v22, v17
	v_fmac_f32_e32 v29, v33, v17
	v_add_f32_e32 v19, v19, v15
	v_add_f32_e32 v10, v10, v16
	ds_read2_b64 v[15:18], v13 offset0:192 offset1:208
	v_add_f32_e32 v24, v24, v28
	v_add_f32_e32 v23, v23, v29
	s_waitcnt lgkmcnt(0)
	v_mul_f32_e32 v21, v3, v16
	v_fma_f32 v21, v2, v15, -v21
	v_add_f32_e32 v28, v20, v21
	v_mul_f32_e32 v20, v3, v18
	v_mul_f32_e32 v22, v2, v16
	v_fma_f32 v20, v2, v17, -v20
	v_mul_f32_e32 v2, v2, v18
	v_fmac_f32_e32 v22, v3, v15
	v_fmac_f32_e32 v2, v3, v17
	v_add_f32_e32 v29, v27, v22
	v_add_f32_e32 v3, v26, v20
	;; [unrolled: 1-line block ×3, first 2 shown]
	ds_read_b128 v[20:23], v14 offset:1072
	s_waitcnt lgkmcnt(0)
	v_mul_f32_e32 v26, v21, v16
	v_fma_f32 v26, v20, v15, -v26
	v_mul_f32_e32 v16, v20, v16
	v_fmac_f32_e32 v16, v21, v15
	v_add_f32_e32 v15, v24, v26
	v_mul_f32_e32 v24, v21, v18
	v_fma_f32 v24, v20, v17, -v24
	v_add_f32_e32 v16, v25, v16
	v_add_f32_e32 v30, v19, v24
	ds_read2_b64 v[24:27], v13 offset0:224 offset1:240
	v_mul_f32_e32 v18, v20, v18
	v_fmac_f32_e32 v18, v21, v17
	v_add_f32_e32 v10, v10, v18
	s_waitcnt lgkmcnt(0)
	v_mul_f32_e32 v17, v5, v25
	v_fma_f32 v17, v4, v24, -v17
	v_add_f32_e32 v20, v28, v17
	v_mul_f32_e32 v17, v5, v27
	v_mul_f32_e32 v18, v4, v25
	v_fma_f32 v17, v4, v26, -v17
	v_mul_f32_e32 v4, v4, v27
	v_fmac_f32_e32 v18, v5, v24
	v_fmac_f32_e32 v4, v5, v26
	v_add_f32_e32 v21, v29, v18
	v_add_f32_e32 v19, v3, v17
	;; [unrolled: 1-line block ×3, first 2 shown]
	v_mul_f32_e32 v2, v23, v25
	v_mul_f32_e32 v3, v22, v25
	v_fma_f32 v2, v22, v24, -v2
	v_fmac_f32_e32 v3, v23, v24
	v_add_f32_e32 v17, v15, v2
	v_add_f32_e32 v16, v16, v3
	v_mul_f32_e32 v2, v23, v27
	v_mul_f32_e32 v3, v22, v27
	v_fma_f32 v2, v22, v26, -v2
	v_fmac_f32_e32 v3, v23, v26
	v_add_f32_e32 v15, v30, v2
	v_add_f32_e32 v10, v10, v3
	v_mov_b32_e32 v3, s1
	v_mov_b32_e32 v2, s0
	v_cmp_le_u64_e32 vcc, s[12:13], v[2:3]
	s_barrier
	s_cbranch_vccz .LBB1098_2
	s_branch .LBB1098_4
.LBB1098_3:
	v_mov_b32_e32 v20, 0
	v_mov_b32_e32 v21, 0
	;; [unrolled: 1-line block ×8, first 2 shown]
.LBB1098_4:
	s_load_dwordx4 s[12:15], s[4:5], 0x48
	s_load_dword s9, s[4:5], 0x0
	v_add_u32_e32 v4, s3, v1
	v_ashrrev_i32_e32 v1, 31, v4
	v_add_u32_e32 v0, s2, v0
	s_waitcnt lgkmcnt(0)
	v_mul_lo_u32 v3, s12, v1
	v_mul_lo_u32 v5, s13, v4
	v_mad_u64_u32 v[1:2], s[4:5], s12, v4, 0
	s_mul_i32 s1, s15, s8
	s_mul_hi_u32 s3, s14, s8
	s_mul_i32 s0, s14, s8
	s_add_i32 s1, s3, s1
	s_lshl_b64 s[0:1], s[0:1], 3
	v_add3_u32 v2, v2, v3, v5
	s_add_u32 s6, s26, s0
	v_lshlrev_b64 v[1:2], 3, v[1:2]
	s_addc_u32 s7, s27, s1
	v_mov_b32_e32 v3, s7
	v_add_co_u32_e32 v5, vcc, s6, v1
	v_addc_co_u32_e32 v6, vcc, v3, v2, vcc
	v_cmp_le_i32_e64 s[0:1], v4, v0
	v_cmp_gt_i32_e32 vcc, s9, v0
	s_and_b64 s[0:1], s[0:1], vcc
	s_and_saveexec_b64 s[2:3], s[0:1]
	s_cbranch_execz .LBB1098_6
; %bb.5:
	v_ashrrev_i32_e32 v1, 31, v0
	v_lshlrev_b64 v[7:8], 3, v[0:1]
	v_xor_b32_e32 v2, 0x80000000, v20
	v_add_co_u32_e64 v7, s[0:1], v5, v7
	v_xor_b32_e32 v3, 0x80000000, v21
	v_addc_co_u32_e64 v8, s[0:1], v6, v8, s[0:1]
	global_store_dwordx2 v[7:8], v[2:3], off
.LBB1098_6:
	s_or_b64 exec, exec, s[2:3]
	v_add_u32_e32 v2, 16, v0
	v_cmp_le_i32_e64 s[2:3], v4, v2
	v_cmp_gt_i32_e64 s[0:1], s9, v2
	s_and_b64 s[2:3], s[2:3], s[0:1]
	s_and_saveexec_b64 s[4:5], s[2:3]
	s_cbranch_execz .LBB1098_8
; %bb.7:
	v_ashrrev_i32_e32 v3, 31, v2
	v_lshlrev_b64 v[11:12], 3, v[2:3]
	v_xor_b32_e32 v7, 0x80000000, v19
	v_add_co_u32_e64 v5, s[2:3], v5, v11
	v_xor_b32_e32 v8, 0x80000000, v18
	v_addc_co_u32_e64 v6, s[2:3], v6, v12, s[2:3]
	global_store_dwordx2 v[5:6], v[7:8], off
.LBB1098_8:
	s_or_b64 exec, exec, s[4:5]
	v_add_u32_e32 v3, 16, v4
	v_ashrrev_i32_e32 v1, 31, v3
	v_mul_lo_u32 v6, s13, v3
	v_mad_u64_u32 v[4:5], s[2:3], s12, v3, 0
	v_mul_lo_u32 v1, s12, v1
	v_add3_u32 v5, v5, v1, v6
	v_lshlrev_b64 v[4:5], 3, v[4:5]
	v_mov_b32_e32 v1, s7
	v_add_co_u32_e64 v4, s[2:3], s6, v4
	v_addc_co_u32_e64 v5, s[2:3], v1, v5, s[2:3]
	v_cmp_le_i32_e64 s[2:3], v3, v0
	s_and_b64 s[4:5], s[2:3], vcc
	s_and_saveexec_b64 s[2:3], s[4:5]
	s_cbranch_execz .LBB1098_10
; %bb.9:
	v_ashrrev_i32_e32 v1, 31, v0
	v_lshlrev_b64 v[0:1], 3, v[0:1]
	v_xor_b32_e32 v6, 0x80000000, v17
	v_add_co_u32_e32 v0, vcc, v4, v0
	v_xor_b32_e32 v7, 0x80000000, v16
	v_addc_co_u32_e32 v1, vcc, v5, v1, vcc
	global_store_dwordx2 v[0:1], v[6:7], off
.LBB1098_10:
	s_or_b64 exec, exec, s[2:3]
	v_cmp_le_i32_e32 vcc, v3, v2
	s_and_b64 s[0:1], vcc, s[0:1]
	s_and_saveexec_b64 s[2:3], s[0:1]
	s_cbranch_execz .LBB1098_12
; %bb.11:
	v_ashrrev_i32_e32 v3, 31, v2
	v_lshlrev_b64 v[2:3], 3, v[2:3]
	v_xor_b32_e32 v0, 0x80000000, v15
	v_add_co_u32_e32 v2, vcc, v4, v2
	v_xor_b32_e32 v1, 0x80000000, v10
	v_addc_co_u32_e32 v3, vcc, v5, v3, vcc
	global_store_dwordx2 v[2:3], v[0:1], off
.LBB1098_12:
	s_endpgm
	.section	.rodata,"a",@progbits
	.p2align	6, 0x0
	.amdhsa_kernel _ZL37rocblas_syrkx_herkx_restricted_kernelIl19rocblas_complex_numIfELi16ELi32ELi8ELin1ELi0ELb0ELc84ELc76EKS1_S1_EviT_PT9_S3_lS5_S3_lPT10_S3_li
		.amdhsa_group_segment_fixed_size 4096
		.amdhsa_private_segment_fixed_size 0
		.amdhsa_kernarg_size 92
		.amdhsa_user_sgpr_count 6
		.amdhsa_user_sgpr_private_segment_buffer 1
		.amdhsa_user_sgpr_dispatch_ptr 0
		.amdhsa_user_sgpr_queue_ptr 0
		.amdhsa_user_sgpr_kernarg_segment_ptr 1
		.amdhsa_user_sgpr_dispatch_id 0
		.amdhsa_user_sgpr_flat_scratch_init 0
		.amdhsa_user_sgpr_private_segment_size 0
		.amdhsa_uses_dynamic_stack 0
		.amdhsa_system_sgpr_private_segment_wavefront_offset 0
		.amdhsa_system_sgpr_workgroup_id_x 1
		.amdhsa_system_sgpr_workgroup_id_y 1
		.amdhsa_system_sgpr_workgroup_id_z 1
		.amdhsa_system_sgpr_workgroup_info 0
		.amdhsa_system_vgpr_workitem_id 1
		.amdhsa_next_free_vgpr 41
		.amdhsa_next_free_sgpr 28
		.amdhsa_reserve_vcc 1
		.amdhsa_reserve_flat_scratch 0
		.amdhsa_float_round_mode_32 0
		.amdhsa_float_round_mode_16_64 0
		.amdhsa_float_denorm_mode_32 3
		.amdhsa_float_denorm_mode_16_64 3
		.amdhsa_dx10_clamp 1
		.amdhsa_ieee_mode 1
		.amdhsa_fp16_overflow 0
		.amdhsa_exception_fp_ieee_invalid_op 0
		.amdhsa_exception_fp_denorm_src 0
		.amdhsa_exception_fp_ieee_div_zero 0
		.amdhsa_exception_fp_ieee_overflow 0
		.amdhsa_exception_fp_ieee_underflow 0
		.amdhsa_exception_fp_ieee_inexact 0
		.amdhsa_exception_int_div_zero 0
	.end_amdhsa_kernel
	.section	.text._ZL37rocblas_syrkx_herkx_restricted_kernelIl19rocblas_complex_numIfELi16ELi32ELi8ELin1ELi0ELb0ELc84ELc76EKS1_S1_EviT_PT9_S3_lS5_S3_lPT10_S3_li,"axG",@progbits,_ZL37rocblas_syrkx_herkx_restricted_kernelIl19rocblas_complex_numIfELi16ELi32ELi8ELin1ELi0ELb0ELc84ELc76EKS1_S1_EviT_PT9_S3_lS5_S3_lPT10_S3_li,comdat
.Lfunc_end1098:
	.size	_ZL37rocblas_syrkx_herkx_restricted_kernelIl19rocblas_complex_numIfELi16ELi32ELi8ELin1ELi0ELb0ELc84ELc76EKS1_S1_EviT_PT9_S3_lS5_S3_lPT10_S3_li, .Lfunc_end1098-_ZL37rocblas_syrkx_herkx_restricted_kernelIl19rocblas_complex_numIfELi16ELi32ELi8ELin1ELi0ELb0ELc84ELc76EKS1_S1_EviT_PT9_S3_lS5_S3_lPT10_S3_li
                                        ; -- End function
	.set _ZL37rocblas_syrkx_herkx_restricted_kernelIl19rocblas_complex_numIfELi16ELi32ELi8ELin1ELi0ELb0ELc84ELc76EKS1_S1_EviT_PT9_S3_lS5_S3_lPT10_S3_li.num_vgpr, 41
	.set _ZL37rocblas_syrkx_herkx_restricted_kernelIl19rocblas_complex_numIfELi16ELi32ELi8ELin1ELi0ELb0ELc84ELc76EKS1_S1_EviT_PT9_S3_lS5_S3_lPT10_S3_li.num_agpr, 0
	.set _ZL37rocblas_syrkx_herkx_restricted_kernelIl19rocblas_complex_numIfELi16ELi32ELi8ELin1ELi0ELb0ELc84ELc76EKS1_S1_EviT_PT9_S3_lS5_S3_lPT10_S3_li.numbered_sgpr, 28
	.set _ZL37rocblas_syrkx_herkx_restricted_kernelIl19rocblas_complex_numIfELi16ELi32ELi8ELin1ELi0ELb0ELc84ELc76EKS1_S1_EviT_PT9_S3_lS5_S3_lPT10_S3_li.num_named_barrier, 0
	.set _ZL37rocblas_syrkx_herkx_restricted_kernelIl19rocblas_complex_numIfELi16ELi32ELi8ELin1ELi0ELb0ELc84ELc76EKS1_S1_EviT_PT9_S3_lS5_S3_lPT10_S3_li.private_seg_size, 0
	.set _ZL37rocblas_syrkx_herkx_restricted_kernelIl19rocblas_complex_numIfELi16ELi32ELi8ELin1ELi0ELb0ELc84ELc76EKS1_S1_EviT_PT9_S3_lS5_S3_lPT10_S3_li.uses_vcc, 1
	.set _ZL37rocblas_syrkx_herkx_restricted_kernelIl19rocblas_complex_numIfELi16ELi32ELi8ELin1ELi0ELb0ELc84ELc76EKS1_S1_EviT_PT9_S3_lS5_S3_lPT10_S3_li.uses_flat_scratch, 0
	.set _ZL37rocblas_syrkx_herkx_restricted_kernelIl19rocblas_complex_numIfELi16ELi32ELi8ELin1ELi0ELb0ELc84ELc76EKS1_S1_EviT_PT9_S3_lS5_S3_lPT10_S3_li.has_dyn_sized_stack, 0
	.set _ZL37rocblas_syrkx_herkx_restricted_kernelIl19rocblas_complex_numIfELi16ELi32ELi8ELin1ELi0ELb0ELc84ELc76EKS1_S1_EviT_PT9_S3_lS5_S3_lPT10_S3_li.has_recursion, 0
	.set _ZL37rocblas_syrkx_herkx_restricted_kernelIl19rocblas_complex_numIfELi16ELi32ELi8ELin1ELi0ELb0ELc84ELc76EKS1_S1_EviT_PT9_S3_lS5_S3_lPT10_S3_li.has_indirect_call, 0
	.section	.AMDGPU.csdata,"",@progbits
; Kernel info:
; codeLenInByte = 2024
; TotalNumSgprs: 32
; NumVgprs: 41
; ScratchSize: 0
; MemoryBound: 0
; FloatMode: 240
; IeeeMode: 1
; LDSByteSize: 4096 bytes/workgroup (compile time only)
; SGPRBlocks: 3
; VGPRBlocks: 10
; NumSGPRsForWavesPerEU: 32
; NumVGPRsForWavesPerEU: 41
; Occupancy: 5
; WaveLimiterHint : 1
; COMPUTE_PGM_RSRC2:SCRATCH_EN: 0
; COMPUTE_PGM_RSRC2:USER_SGPR: 6
; COMPUTE_PGM_RSRC2:TRAP_HANDLER: 0
; COMPUTE_PGM_RSRC2:TGID_X_EN: 1
; COMPUTE_PGM_RSRC2:TGID_Y_EN: 1
; COMPUTE_PGM_RSRC2:TGID_Z_EN: 1
; COMPUTE_PGM_RSRC2:TIDIG_COMP_CNT: 1
	.section	.text._ZL37rocblas_syrkx_herkx_restricted_kernelIl19rocblas_complex_numIfELi16ELi32ELi8ELin1ELi0ELb0ELc67ELc76EKS1_S1_EviT_PT9_S3_lS5_S3_lPT10_S3_li,"axG",@progbits,_ZL37rocblas_syrkx_herkx_restricted_kernelIl19rocblas_complex_numIfELi16ELi32ELi8ELin1ELi0ELb0ELc67ELc76EKS1_S1_EviT_PT9_S3_lS5_S3_lPT10_S3_li,comdat
	.globl	_ZL37rocblas_syrkx_herkx_restricted_kernelIl19rocblas_complex_numIfELi16ELi32ELi8ELin1ELi0ELb0ELc67ELc76EKS1_S1_EviT_PT9_S3_lS5_S3_lPT10_S3_li ; -- Begin function _ZL37rocblas_syrkx_herkx_restricted_kernelIl19rocblas_complex_numIfELi16ELi32ELi8ELin1ELi0ELb0ELc67ELc76EKS1_S1_EviT_PT9_S3_lS5_S3_lPT10_S3_li
	.p2align	8
	.type	_ZL37rocblas_syrkx_herkx_restricted_kernelIl19rocblas_complex_numIfELi16ELi32ELi8ELin1ELi0ELb0ELc67ELc76EKS1_S1_EviT_PT9_S3_lS5_S3_lPT10_S3_li,@function
_ZL37rocblas_syrkx_herkx_restricted_kernelIl19rocblas_complex_numIfELi16ELi32ELi8ELin1ELi0ELb0ELc67ELc76EKS1_S1_EviT_PT9_S3_lS5_S3_lPT10_S3_li: ; @_ZL37rocblas_syrkx_herkx_restricted_kernelIl19rocblas_complex_numIfELi16ELi32ELi8ELin1ELi0ELb0ELc67ELc76EKS1_S1_EviT_PT9_S3_lS5_S3_lPT10_S3_li
; %bb.0:
	s_load_dwordx16 s[12:27], s[4:5], 0x8
	s_lshl_b32 s2, s6, 5
	s_lshl_b32 s3, s7, 5
	s_waitcnt lgkmcnt(0)
	v_cmp_lt_i64_e64 s[0:1], s[12:13], 1
	s_and_b64 vcc, exec, s[0:1]
	s_cbranch_vccnz .LBB1099_3
; %bb.1:
	v_lshl_add_u32 v4, v1, 4, v0
	v_lshrrev_b32_e32 v6, 3, v4
	v_add_u32_e32 v2, s3, v6
	v_ashrrev_i32_e32 v3, 31, v2
	v_and_b32_e32 v9, 7, v0
	v_mov_b32_e32 v10, 0
	v_mul_lo_u32 v5, s22, v3
	v_mul_lo_u32 v7, s23, v2
	v_mad_u64_u32 v[2:3], s[0:1], s22, v2, v[9:10]
	s_mul_i32 s6, s19, s8
	s_mul_hi_u32 s7, s18, s8
	v_add3_u32 v3, v7, v3, v5
	v_and_b32_e32 v7, 31, v4
	v_lshrrev_b32_e32 v4, 5, v4
	v_lshlrev_b32_e32 v8, 3, v7
	v_lshl_or_b32 v11, v4, 8, v8
	v_lshlrev_b32_e32 v8, 3, v9
	v_lshl_or_b32 v6, v6, 6, v8
	v_add_u32_e32 v12, 0x800, v6
	v_mov_b32_e32 v6, 0x800
	v_lshl_add_u32 v14, v1, 6, v6
	v_add_u32_e32 v6, s2, v7
	v_mov_b32_e32 v5, v10
	v_ashrrev_i32_e32 v7, 31, v6
	v_mul_lo_u32 v7, s16, v7
	v_mad_u64_u32 v[4:5], s[0:1], s16, v6, v[4:5]
	v_mul_lo_u32 v6, s17, v6
	s_add_i32 s1, s7, s6
	s_mul_i32 s0, s18, s8
	s_lshl_b64 s[0:1], s[0:1], 3
	v_add3_u32 v5, v6, v5, v7
	v_lshlrev_b64 v[4:5], 3, v[4:5]
	s_add_u32 s0, s14, s0
	s_addc_u32 s1, s15, s1
	v_mov_b32_e32 v6, s1
	v_add_co_u32_e32 v4, vcc, s0, v4
	s_mul_i32 s0, s25, s8
	s_mul_hi_u32 s1, s24, s8
	s_add_i32 s1, s1, s0
	s_mul_i32 s0, s24, s8
	v_addc_co_u32_e32 v5, vcc, v6, v5, vcc
	s_lshl_b64 s[0:1], s[0:1], 3
	v_add_co_u32_e32 v6, vcc, 4, v4
	v_lshlrev_b64 v[2:3], 3, v[2:3]
	s_add_u32 s0, s20, s0
	v_addc_co_u32_e32 v7, vcc, 0, v5, vcc
	s_addc_u32 s1, s21, s1
	v_mov_b32_e32 v4, s1
	v_add_co_u32_e32 v2, vcc, s0, v2
	v_addc_co_u32_e32 v3, vcc, v4, v3, vcc
	v_add_co_u32_e32 v8, vcc, 4, v2
	v_lshlrev_b32_e32 v13, 3, v0
	v_addc_co_u32_e32 v9, vcc, 0, v3, vcc
	s_mov_b64 s[0:1], 0
	v_mov_b32_e32 v15, v10
	v_mov_b32_e32 v16, v10
	;; [unrolled: 1-line block ×7, first 2 shown]
.LBB1099_2:                             ; =>This Inner Loop Header: Depth=1
	global_load_dwordx2 v[2:3], v[6:7], off offset:-4
	s_add_u32 s0, s0, 8
	v_add_co_u32_e32 v6, vcc, 64, v6
	s_addc_u32 s1, s1, 0
	v_addc_co_u32_e32 v7, vcc, 0, v7, vcc
	s_waitcnt vmcnt(0)
	ds_write_b64 v11, v[2:3]
	global_load_dwordx2 v[2:3], v[8:9], off offset:-4
	v_add_co_u32_e32 v8, vcc, 64, v8
	v_addc_co_u32_e32 v9, vcc, 0, v9, vcc
	s_waitcnt vmcnt(0)
	ds_write_b64 v12, v[2:3]
	s_waitcnt lgkmcnt(0)
	s_barrier
	ds_read_b128 v[22:25], v14
	ds_read_b128 v[26:29], v14 offset:16
	ds_read_b128 v[30:33], v14 offset:32
	;; [unrolled: 1-line block ×3, first 2 shown]
	ds_read2_b64 v[34:37], v13 offset1:16
	s_waitcnt lgkmcnt(0)
	v_mul_f32_e32 v38, v23, v35
	v_mul_f32_e32 v39, v22, v35
	v_fma_f32 v38, v22, v34, -v38
	v_fmac_f32_e32 v39, v23, v34
	v_add_f32_e32 v38, v20, v38
	v_add_f32_e32 v39, v21, v39
	v_mul_f32_e32 v20, v23, v37
	v_mul_f32_e32 v21, v22, v37
	v_fma_f32 v20, v22, v36, -v20
	v_fmac_f32_e32 v21, v23, v36
	v_add_f32_e32 v22, v19, v20
	v_add_f32_e32 v23, v18, v21
	ds_read_b128 v[18:21], v14 offset:1024
	s_waitcnt lgkmcnt(0)
	v_mul_f32_e32 v40, v19, v35
	v_mul_f32_e32 v35, v18, v35
	v_fma_f32 v40, v18, v34, -v40
	v_fmac_f32_e32 v35, v19, v34
	v_add_f32_e32 v34, v17, v40
	v_add_f32_e32 v35, v16, v35
	v_mul_f32_e32 v16, v19, v37
	v_mul_f32_e32 v17, v18, v37
	v_fma_f32 v16, v18, v36, -v16
	v_fmac_f32_e32 v17, v19, v36
	v_add_f32_e32 v19, v15, v16
	v_add_f32_e32 v10, v10, v17
	ds_read2_b64 v[15:18], v13 offset0:32 offset1:48
	s_waitcnt lgkmcnt(0)
	v_mul_f32_e32 v36, v25, v16
	v_fma_f32 v36, v24, v15, -v36
	v_add_f32_e32 v36, v38, v36
	v_mul_f32_e32 v38, v25, v18
	v_mul_f32_e32 v37, v24, v16
	v_fma_f32 v38, v24, v17, -v38
	v_mul_f32_e32 v24, v24, v18
	v_fmac_f32_e32 v24, v25, v17
	v_add_f32_e32 v23, v23, v24
	v_mul_f32_e32 v24, v21, v16
	v_mul_f32_e32 v16, v20, v16
	v_fmac_f32_e32 v16, v21, v15
	v_fmac_f32_e32 v37, v25, v15
	v_fma_f32 v24, v20, v15, -v24
	v_add_f32_e32 v25, v35, v16
	v_mul_f32_e32 v15, v21, v18
	v_mul_f32_e32 v16, v20, v18
	v_fma_f32 v15, v20, v17, -v15
	v_fmac_f32_e32 v16, v21, v17
	v_add_f32_e32 v24, v34, v24
	v_add_f32_e32 v34, v19, v15
	v_add_f32_e32 v10, v10, v16
	ds_read2_b64 v[15:18], v13 offset0:64 offset1:80
	v_add_f32_e32 v37, v39, v37
	v_add_f32_e32 v22, v22, v38
	s_waitcnt lgkmcnt(0)
	v_mul_f32_e32 v19, v27, v16
	v_mul_f32_e32 v20, v26, v16
	v_fma_f32 v19, v26, v15, -v19
	v_fmac_f32_e32 v20, v27, v15
	v_add_f32_e32 v35, v36, v19
	v_add_f32_e32 v36, v37, v20
	v_mul_f32_e32 v19, v27, v18
	v_mul_f32_e32 v20, v26, v18
	v_fma_f32 v19, v26, v17, -v19
	v_fmac_f32_e32 v20, v27, v17
	v_add_f32_e32 v26, v22, v19
	v_add_f32_e32 v23, v23, v20
	ds_read_b128 v[19:22], v14 offset:1040
	s_waitcnt lgkmcnt(0)
	v_mul_f32_e32 v27, v20, v16
	v_mul_f32_e32 v16, v19, v16
	v_fmac_f32_e32 v16, v20, v15
	v_fma_f32 v27, v19, v15, -v27
	v_add_f32_e32 v25, v25, v16
	v_mul_f32_e32 v15, v20, v18
	v_mul_f32_e32 v16, v19, v18
	v_fma_f32 v15, v19, v17, -v15
	v_fmac_f32_e32 v16, v20, v17
	v_add_f32_e32 v19, v34, v15
	v_add_f32_e32 v10, v10, v16
	ds_read2_b64 v[15:18], v13 offset0:96 offset1:112
	v_add_f32_e32 v24, v24, v27
	s_waitcnt lgkmcnt(0)
	v_mul_f32_e32 v20, v29, v16
	v_mul_f32_e32 v34, v29, v18
	v_fma_f32 v20, v28, v15, -v20
	v_mul_f32_e32 v27, v28, v16
	v_fma_f32 v34, v28, v17, -v34
	v_mul_f32_e32 v28, v28, v18
	v_fmac_f32_e32 v28, v29, v17
	v_add_f32_e32 v23, v23, v28
	v_mul_f32_e32 v28, v22, v16
	v_mul_f32_e32 v16, v21, v16
	v_fmac_f32_e32 v16, v22, v15
	v_fmac_f32_e32 v27, v29, v15
	v_fma_f32 v28, v21, v15, -v28
	v_add_f32_e32 v25, v25, v16
	v_mul_f32_e32 v15, v22, v18
	v_mul_f32_e32 v16, v21, v18
	v_fma_f32 v15, v21, v17, -v15
	v_fmac_f32_e32 v16, v22, v17
	v_add_f32_e32 v24, v24, v28
	v_add_f32_e32 v28, v19, v15
	;; [unrolled: 1-line block ×3, first 2 shown]
	ds_read2_b64 v[15:18], v13 offset0:128 offset1:144
	v_add_f32_e32 v20, v35, v20
	v_add_f32_e32 v27, v36, v27
	;; [unrolled: 1-line block ×3, first 2 shown]
	s_waitcnt lgkmcnt(0)
	v_mul_f32_e32 v19, v31, v16
	v_fma_f32 v19, v30, v15, -v19
	v_mul_f32_e32 v21, v30, v16
	v_add_f32_e32 v29, v20, v19
	v_mul_f32_e32 v19, v31, v18
	v_mul_f32_e32 v20, v30, v18
	v_fmac_f32_e32 v21, v31, v15
	v_fma_f32 v19, v30, v17, -v19
	v_fmac_f32_e32 v20, v31, v17
	v_add_f32_e32 v27, v27, v21
	v_add_f32_e32 v26, v26, v19
	;; [unrolled: 1-line block ×3, first 2 shown]
	ds_read_b128 v[19:22], v14 offset:1056
	s_waitcnt lgkmcnt(0)
	v_mul_f32_e32 v30, v20, v16
	v_mul_f32_e32 v16, v19, v16
	v_fmac_f32_e32 v16, v20, v15
	v_fma_f32 v30, v19, v15, -v30
	v_add_f32_e32 v25, v25, v16
	v_mul_f32_e32 v15, v20, v18
	v_mul_f32_e32 v16, v19, v18
	v_fma_f32 v15, v19, v17, -v15
	v_fmac_f32_e32 v16, v20, v17
	v_add_f32_e32 v19, v28, v15
	v_add_f32_e32 v10, v10, v16
	ds_read2_b64 v[15:18], v13 offset0:160 offset1:176
	v_add_f32_e32 v24, v24, v30
	s_waitcnt lgkmcnt(0)
	v_mul_f32_e32 v28, v32, v16
	v_fmac_f32_e32 v28, v33, v15
	v_add_f32_e32 v27, v27, v28
	v_mul_f32_e32 v28, v33, v18
	v_fma_f32 v28, v32, v17, -v28
	v_mul_f32_e32 v20, v33, v16
	v_add_f32_e32 v26, v26, v28
	v_mul_f32_e32 v28, v22, v16
	v_mul_f32_e32 v16, v21, v16
	v_fmac_f32_e32 v16, v22, v15
	v_fma_f32 v20, v32, v15, -v20
	v_fma_f32 v28, v21, v15, -v28
	v_add_f32_e32 v25, v25, v16
	v_mul_f32_e32 v15, v22, v18
	v_mul_f32_e32 v16, v21, v18
	v_add_f32_e32 v20, v29, v20
	v_mul_f32_e32 v29, v32, v18
	v_fma_f32 v15, v21, v17, -v15
	v_fmac_f32_e32 v16, v22, v17
	v_fmac_f32_e32 v29, v33, v17
	v_add_f32_e32 v19, v19, v15
	v_add_f32_e32 v10, v10, v16
	ds_read2_b64 v[15:18], v13 offset0:192 offset1:208
	v_add_f32_e32 v24, v24, v28
	v_add_f32_e32 v23, v23, v29
	s_waitcnt lgkmcnt(0)
	v_mul_f32_e32 v21, v3, v16
	v_fma_f32 v21, v2, v15, -v21
	v_add_f32_e32 v28, v20, v21
	v_mul_f32_e32 v20, v3, v18
	v_mul_f32_e32 v22, v2, v16
	v_fma_f32 v20, v2, v17, -v20
	v_mul_f32_e32 v2, v2, v18
	v_fmac_f32_e32 v22, v3, v15
	v_fmac_f32_e32 v2, v3, v17
	v_add_f32_e32 v29, v27, v22
	v_add_f32_e32 v3, v26, v20
	;; [unrolled: 1-line block ×3, first 2 shown]
	ds_read_b128 v[20:23], v14 offset:1072
	s_waitcnt lgkmcnt(0)
	v_mul_f32_e32 v26, v21, v16
	v_fma_f32 v26, v20, v15, -v26
	v_mul_f32_e32 v16, v20, v16
	v_fmac_f32_e32 v16, v21, v15
	v_add_f32_e32 v15, v24, v26
	v_mul_f32_e32 v24, v21, v18
	v_fma_f32 v24, v20, v17, -v24
	v_add_f32_e32 v16, v25, v16
	v_add_f32_e32 v30, v19, v24
	ds_read2_b64 v[24:27], v13 offset0:224 offset1:240
	v_mul_f32_e32 v18, v20, v18
	v_fmac_f32_e32 v18, v21, v17
	v_add_f32_e32 v10, v10, v18
	s_waitcnt lgkmcnt(0)
	v_mul_f32_e32 v17, v5, v25
	v_fma_f32 v17, v4, v24, -v17
	v_add_f32_e32 v20, v28, v17
	v_mul_f32_e32 v17, v5, v27
	v_mul_f32_e32 v18, v4, v25
	v_fma_f32 v17, v4, v26, -v17
	v_mul_f32_e32 v4, v4, v27
	v_fmac_f32_e32 v18, v5, v24
	v_fmac_f32_e32 v4, v5, v26
	v_add_f32_e32 v21, v29, v18
	v_add_f32_e32 v19, v3, v17
	v_add_f32_e32 v18, v2, v4
	v_mul_f32_e32 v2, v23, v25
	v_mul_f32_e32 v3, v22, v25
	v_fma_f32 v2, v22, v24, -v2
	v_fmac_f32_e32 v3, v23, v24
	v_add_f32_e32 v17, v15, v2
	v_add_f32_e32 v16, v16, v3
	v_mul_f32_e32 v2, v23, v27
	v_mul_f32_e32 v3, v22, v27
	v_fma_f32 v2, v22, v26, -v2
	v_fmac_f32_e32 v3, v23, v26
	v_add_f32_e32 v15, v30, v2
	v_add_f32_e32 v10, v10, v3
	v_mov_b32_e32 v3, s1
	v_mov_b32_e32 v2, s0
	v_cmp_le_u64_e32 vcc, s[12:13], v[2:3]
	s_barrier
	s_cbranch_vccz .LBB1099_2
	s_branch .LBB1099_4
.LBB1099_3:
	v_mov_b32_e32 v20, 0
	v_mov_b32_e32 v21, 0
	;; [unrolled: 1-line block ×8, first 2 shown]
.LBB1099_4:
	s_load_dwordx4 s[12:15], s[4:5], 0x48
	s_load_dword s9, s[4:5], 0x0
	v_add_u32_e32 v4, s3, v1
	v_ashrrev_i32_e32 v1, 31, v4
	v_add_u32_e32 v0, s2, v0
	s_waitcnt lgkmcnt(0)
	v_mul_lo_u32 v3, s12, v1
	v_mul_lo_u32 v5, s13, v4
	v_mad_u64_u32 v[1:2], s[4:5], s12, v4, 0
	s_mul_i32 s1, s15, s8
	s_mul_hi_u32 s3, s14, s8
	s_mul_i32 s0, s14, s8
	s_add_i32 s1, s3, s1
	s_lshl_b64 s[0:1], s[0:1], 3
	v_add3_u32 v2, v2, v3, v5
	s_add_u32 s6, s26, s0
	v_lshlrev_b64 v[1:2], 3, v[1:2]
	s_addc_u32 s7, s27, s1
	v_mov_b32_e32 v3, s7
	v_add_co_u32_e32 v5, vcc, s6, v1
	v_addc_co_u32_e32 v6, vcc, v3, v2, vcc
	v_cmp_le_i32_e64 s[0:1], v4, v0
	v_cmp_gt_i32_e32 vcc, s9, v0
	s_and_b64 s[0:1], s[0:1], vcc
	s_and_saveexec_b64 s[2:3], s[0:1]
	s_cbranch_execz .LBB1099_6
; %bb.5:
	v_ashrrev_i32_e32 v1, 31, v0
	v_lshlrev_b64 v[7:8], 3, v[0:1]
	v_xor_b32_e32 v2, 0x80000000, v20
	v_add_co_u32_e64 v7, s[0:1], v5, v7
	v_xor_b32_e32 v3, 0x80000000, v21
	v_addc_co_u32_e64 v8, s[0:1], v6, v8, s[0:1]
	global_store_dwordx2 v[7:8], v[2:3], off
.LBB1099_6:
	s_or_b64 exec, exec, s[2:3]
	v_add_u32_e32 v2, 16, v0
	v_cmp_le_i32_e64 s[2:3], v4, v2
	v_cmp_gt_i32_e64 s[0:1], s9, v2
	s_and_b64 s[2:3], s[2:3], s[0:1]
	s_and_saveexec_b64 s[4:5], s[2:3]
	s_cbranch_execz .LBB1099_8
; %bb.7:
	v_ashrrev_i32_e32 v3, 31, v2
	v_lshlrev_b64 v[11:12], 3, v[2:3]
	v_xor_b32_e32 v7, 0x80000000, v19
	v_add_co_u32_e64 v5, s[2:3], v5, v11
	v_xor_b32_e32 v8, 0x80000000, v18
	v_addc_co_u32_e64 v6, s[2:3], v6, v12, s[2:3]
	global_store_dwordx2 v[5:6], v[7:8], off
.LBB1099_8:
	s_or_b64 exec, exec, s[4:5]
	v_add_u32_e32 v3, 16, v4
	v_ashrrev_i32_e32 v1, 31, v3
	v_mul_lo_u32 v6, s13, v3
	v_mad_u64_u32 v[4:5], s[2:3], s12, v3, 0
	v_mul_lo_u32 v1, s12, v1
	v_add3_u32 v5, v5, v1, v6
	v_lshlrev_b64 v[4:5], 3, v[4:5]
	v_mov_b32_e32 v1, s7
	v_add_co_u32_e64 v4, s[2:3], s6, v4
	v_addc_co_u32_e64 v5, s[2:3], v1, v5, s[2:3]
	v_cmp_le_i32_e64 s[2:3], v3, v0
	s_and_b64 s[4:5], s[2:3], vcc
	s_and_saveexec_b64 s[2:3], s[4:5]
	s_cbranch_execz .LBB1099_10
; %bb.9:
	v_ashrrev_i32_e32 v1, 31, v0
	v_lshlrev_b64 v[0:1], 3, v[0:1]
	v_xor_b32_e32 v6, 0x80000000, v17
	v_add_co_u32_e32 v0, vcc, v4, v0
	v_xor_b32_e32 v7, 0x80000000, v16
	v_addc_co_u32_e32 v1, vcc, v5, v1, vcc
	global_store_dwordx2 v[0:1], v[6:7], off
.LBB1099_10:
	s_or_b64 exec, exec, s[2:3]
	v_cmp_le_i32_e32 vcc, v3, v2
	s_and_b64 s[0:1], vcc, s[0:1]
	s_and_saveexec_b64 s[2:3], s[0:1]
	s_cbranch_execz .LBB1099_12
; %bb.11:
	v_ashrrev_i32_e32 v3, 31, v2
	v_lshlrev_b64 v[2:3], 3, v[2:3]
	v_xor_b32_e32 v0, 0x80000000, v15
	v_add_co_u32_e32 v2, vcc, v4, v2
	v_xor_b32_e32 v1, 0x80000000, v10
	v_addc_co_u32_e32 v3, vcc, v5, v3, vcc
	global_store_dwordx2 v[2:3], v[0:1], off
.LBB1099_12:
	s_endpgm
	.section	.rodata,"a",@progbits
	.p2align	6, 0x0
	.amdhsa_kernel _ZL37rocblas_syrkx_herkx_restricted_kernelIl19rocblas_complex_numIfELi16ELi32ELi8ELin1ELi0ELb0ELc67ELc76EKS1_S1_EviT_PT9_S3_lS5_S3_lPT10_S3_li
		.amdhsa_group_segment_fixed_size 4096
		.amdhsa_private_segment_fixed_size 0
		.amdhsa_kernarg_size 92
		.amdhsa_user_sgpr_count 6
		.amdhsa_user_sgpr_private_segment_buffer 1
		.amdhsa_user_sgpr_dispatch_ptr 0
		.amdhsa_user_sgpr_queue_ptr 0
		.amdhsa_user_sgpr_kernarg_segment_ptr 1
		.amdhsa_user_sgpr_dispatch_id 0
		.amdhsa_user_sgpr_flat_scratch_init 0
		.amdhsa_user_sgpr_private_segment_size 0
		.amdhsa_uses_dynamic_stack 0
		.amdhsa_system_sgpr_private_segment_wavefront_offset 0
		.amdhsa_system_sgpr_workgroup_id_x 1
		.amdhsa_system_sgpr_workgroup_id_y 1
		.amdhsa_system_sgpr_workgroup_id_z 1
		.amdhsa_system_sgpr_workgroup_info 0
		.amdhsa_system_vgpr_workitem_id 1
		.amdhsa_next_free_vgpr 41
		.amdhsa_next_free_sgpr 28
		.amdhsa_reserve_vcc 1
		.amdhsa_reserve_flat_scratch 0
		.amdhsa_float_round_mode_32 0
		.amdhsa_float_round_mode_16_64 0
		.amdhsa_float_denorm_mode_32 3
		.amdhsa_float_denorm_mode_16_64 3
		.amdhsa_dx10_clamp 1
		.amdhsa_ieee_mode 1
		.amdhsa_fp16_overflow 0
		.amdhsa_exception_fp_ieee_invalid_op 0
		.amdhsa_exception_fp_denorm_src 0
		.amdhsa_exception_fp_ieee_div_zero 0
		.amdhsa_exception_fp_ieee_overflow 0
		.amdhsa_exception_fp_ieee_underflow 0
		.amdhsa_exception_fp_ieee_inexact 0
		.amdhsa_exception_int_div_zero 0
	.end_amdhsa_kernel
	.section	.text._ZL37rocblas_syrkx_herkx_restricted_kernelIl19rocblas_complex_numIfELi16ELi32ELi8ELin1ELi0ELb0ELc67ELc76EKS1_S1_EviT_PT9_S3_lS5_S3_lPT10_S3_li,"axG",@progbits,_ZL37rocblas_syrkx_herkx_restricted_kernelIl19rocblas_complex_numIfELi16ELi32ELi8ELin1ELi0ELb0ELc67ELc76EKS1_S1_EviT_PT9_S3_lS5_S3_lPT10_S3_li,comdat
.Lfunc_end1099:
	.size	_ZL37rocblas_syrkx_herkx_restricted_kernelIl19rocblas_complex_numIfELi16ELi32ELi8ELin1ELi0ELb0ELc67ELc76EKS1_S1_EviT_PT9_S3_lS5_S3_lPT10_S3_li, .Lfunc_end1099-_ZL37rocblas_syrkx_herkx_restricted_kernelIl19rocblas_complex_numIfELi16ELi32ELi8ELin1ELi0ELb0ELc67ELc76EKS1_S1_EviT_PT9_S3_lS5_S3_lPT10_S3_li
                                        ; -- End function
	.set _ZL37rocblas_syrkx_herkx_restricted_kernelIl19rocblas_complex_numIfELi16ELi32ELi8ELin1ELi0ELb0ELc67ELc76EKS1_S1_EviT_PT9_S3_lS5_S3_lPT10_S3_li.num_vgpr, 41
	.set _ZL37rocblas_syrkx_herkx_restricted_kernelIl19rocblas_complex_numIfELi16ELi32ELi8ELin1ELi0ELb0ELc67ELc76EKS1_S1_EviT_PT9_S3_lS5_S3_lPT10_S3_li.num_agpr, 0
	.set _ZL37rocblas_syrkx_herkx_restricted_kernelIl19rocblas_complex_numIfELi16ELi32ELi8ELin1ELi0ELb0ELc67ELc76EKS1_S1_EviT_PT9_S3_lS5_S3_lPT10_S3_li.numbered_sgpr, 28
	.set _ZL37rocblas_syrkx_herkx_restricted_kernelIl19rocblas_complex_numIfELi16ELi32ELi8ELin1ELi0ELb0ELc67ELc76EKS1_S1_EviT_PT9_S3_lS5_S3_lPT10_S3_li.num_named_barrier, 0
	.set _ZL37rocblas_syrkx_herkx_restricted_kernelIl19rocblas_complex_numIfELi16ELi32ELi8ELin1ELi0ELb0ELc67ELc76EKS1_S1_EviT_PT9_S3_lS5_S3_lPT10_S3_li.private_seg_size, 0
	.set _ZL37rocblas_syrkx_herkx_restricted_kernelIl19rocblas_complex_numIfELi16ELi32ELi8ELin1ELi0ELb0ELc67ELc76EKS1_S1_EviT_PT9_S3_lS5_S3_lPT10_S3_li.uses_vcc, 1
	.set _ZL37rocblas_syrkx_herkx_restricted_kernelIl19rocblas_complex_numIfELi16ELi32ELi8ELin1ELi0ELb0ELc67ELc76EKS1_S1_EviT_PT9_S3_lS5_S3_lPT10_S3_li.uses_flat_scratch, 0
	.set _ZL37rocblas_syrkx_herkx_restricted_kernelIl19rocblas_complex_numIfELi16ELi32ELi8ELin1ELi0ELb0ELc67ELc76EKS1_S1_EviT_PT9_S3_lS5_S3_lPT10_S3_li.has_dyn_sized_stack, 0
	.set _ZL37rocblas_syrkx_herkx_restricted_kernelIl19rocblas_complex_numIfELi16ELi32ELi8ELin1ELi0ELb0ELc67ELc76EKS1_S1_EviT_PT9_S3_lS5_S3_lPT10_S3_li.has_recursion, 0
	.set _ZL37rocblas_syrkx_herkx_restricted_kernelIl19rocblas_complex_numIfELi16ELi32ELi8ELin1ELi0ELb0ELc67ELc76EKS1_S1_EviT_PT9_S3_lS5_S3_lPT10_S3_li.has_indirect_call, 0
	.section	.AMDGPU.csdata,"",@progbits
; Kernel info:
; codeLenInByte = 2024
; TotalNumSgprs: 32
; NumVgprs: 41
; ScratchSize: 0
; MemoryBound: 0
; FloatMode: 240
; IeeeMode: 1
; LDSByteSize: 4096 bytes/workgroup (compile time only)
; SGPRBlocks: 3
; VGPRBlocks: 10
; NumSGPRsForWavesPerEU: 32
; NumVGPRsForWavesPerEU: 41
; Occupancy: 5
; WaveLimiterHint : 1
; COMPUTE_PGM_RSRC2:SCRATCH_EN: 0
; COMPUTE_PGM_RSRC2:USER_SGPR: 6
; COMPUTE_PGM_RSRC2:TRAP_HANDLER: 0
; COMPUTE_PGM_RSRC2:TGID_X_EN: 1
; COMPUTE_PGM_RSRC2:TGID_Y_EN: 1
; COMPUTE_PGM_RSRC2:TGID_Z_EN: 1
; COMPUTE_PGM_RSRC2:TIDIG_COMP_CNT: 1
	.section	.text._ZL37rocblas_syrkx_herkx_restricted_kernelIl19rocblas_complex_numIfELi16ELi32ELi8ELin1ELi0ELb0ELc78ELc76EKS1_S1_EviT_PT9_S3_lS5_S3_lPT10_S3_li,"axG",@progbits,_ZL37rocblas_syrkx_herkx_restricted_kernelIl19rocblas_complex_numIfELi16ELi32ELi8ELin1ELi0ELb0ELc78ELc76EKS1_S1_EviT_PT9_S3_lS5_S3_lPT10_S3_li,comdat
	.globl	_ZL37rocblas_syrkx_herkx_restricted_kernelIl19rocblas_complex_numIfELi16ELi32ELi8ELin1ELi0ELb0ELc78ELc76EKS1_S1_EviT_PT9_S3_lS5_S3_lPT10_S3_li ; -- Begin function _ZL37rocblas_syrkx_herkx_restricted_kernelIl19rocblas_complex_numIfELi16ELi32ELi8ELin1ELi0ELb0ELc78ELc76EKS1_S1_EviT_PT9_S3_lS5_S3_lPT10_S3_li
	.p2align	8
	.type	_ZL37rocblas_syrkx_herkx_restricted_kernelIl19rocblas_complex_numIfELi16ELi32ELi8ELin1ELi0ELb0ELc78ELc76EKS1_S1_EviT_PT9_S3_lS5_S3_lPT10_S3_li,@function
_ZL37rocblas_syrkx_herkx_restricted_kernelIl19rocblas_complex_numIfELi16ELi32ELi8ELin1ELi0ELb0ELc78ELc76EKS1_S1_EviT_PT9_S3_lS5_S3_lPT10_S3_li: ; @_ZL37rocblas_syrkx_herkx_restricted_kernelIl19rocblas_complex_numIfELi16ELi32ELi8ELin1ELi0ELb0ELc78ELc76EKS1_S1_EviT_PT9_S3_lS5_S3_lPT10_S3_li
; %bb.0:
	s_load_dwordx16 s[12:27], s[4:5], 0x8
	s_lshl_b32 s9, s6, 5
	s_lshl_b32 s10, s7, 5
	s_waitcnt lgkmcnt(0)
	v_cmp_lt_i64_e64 s[0:1], s[12:13], 1
	s_and_b64 vcc, exec, s[0:1]
	s_cbranch_vccnz .LBB1100_3
; %bb.1:
	v_lshl_add_u32 v6, v1, 4, v0
	v_lshrrev_b32_e32 v7, 3, v6
	v_add_u32_e32 v2, s10, v7
	v_and_b32_e32 v5, 7, v0
	v_ashrrev_i32_e32 v3, 31, v2
	v_mad_u64_u32 v[2:3], s[0:1], s22, v5, v[2:3]
	v_lshrrev_b32_e32 v8, 5, v6
	s_mul_i32 s2, s19, s8
	v_mad_u64_u32 v[3:4], s[0:1], s23, v5, v[3:4]
	v_and_b32_e32 v4, 31, v6
	v_lshlrev_b32_e32 v5, 3, v5
	v_lshlrev_b32_e32 v6, 3, v4
	v_lshl_or_b32 v5, v7, 6, v5
	v_add_u32_e32 v4, s9, v4
	v_add_u32_e32 v11, 0x800, v5
	v_ashrrev_i32_e32 v5, 31, v4
	v_mad_u64_u32 v[4:5], s[0:1], s16, v8, v[4:5]
	v_lshl_or_b32 v10, v8, 8, v6
	v_mov_b32_e32 v6, 0x800
	v_lshl_add_u32 v13, v1, 6, v6
	v_mad_u64_u32 v[5:6], s[0:1], s17, v8, v[5:6]
	s_mul_hi_u32 s3, s18, s8
	s_add_i32 s1, s3, s2
	s_mul_i32 s0, s18, s8
	s_lshl_b64 s[0:1], s[0:1], 3
	v_lshlrev_b64 v[4:5], 3, v[4:5]
	s_add_u32 s0, s14, s0
	s_addc_u32 s1, s15, s1
	s_mul_i32 s2, s25, s8
	s_mul_hi_u32 s3, s24, s8
	v_mov_b32_e32 v6, s1
	v_add_co_u32_e32 v4, vcc, s0, v4
	s_add_i32 s3, s3, s2
	s_mul_i32 s2, s24, s8
	v_addc_co_u32_e32 v5, vcc, v6, v5, vcc
	s_lshl_b64 s[0:1], s[16:17], 6
	s_lshl_b64 s[2:3], s[2:3], 3
	v_add_co_u32_e32 v6, vcc, 4, v4
	v_lshlrev_b64 v[2:3], 3, v[2:3]
	s_add_u32 s2, s20, s2
	v_addc_co_u32_e32 v7, vcc, 0, v5, vcc
	s_addc_u32 s3, s21, s3
	v_mov_b32_e32 v4, s3
	v_add_co_u32_e32 v2, vcc, s2, v2
	v_addc_co_u32_e32 v3, vcc, v4, v3, vcc
	v_add_co_u32_e32 v8, vcc, 4, v2
	s_lshl_b64 s[2:3], s[22:23], 6
	v_lshlrev_b32_e32 v12, 3, v0
	v_addc_co_u32_e32 v9, vcc, 0, v3, vcc
	v_mov_b32_e32 v16, 0
	s_mov_b64 s[6:7], 0
	v_mov_b32_e32 v14, s1
	v_mov_b32_e32 v15, s3
	;; [unrolled: 1-line block ×9, first 2 shown]
.LBB1100_2:                             ; =>This Inner Loop Header: Depth=1
	global_load_dwordx2 v[2:3], v[6:7], off offset:-4
	v_add_co_u32_e32 v6, vcc, s0, v6
	s_add_u32 s6, s6, 8
	v_addc_co_u32_e32 v7, vcc, v7, v14, vcc
	s_addc_u32 s7, s7, 0
	s_waitcnt vmcnt(0)
	ds_write_b64 v10, v[2:3]
	global_load_dwordx2 v[2:3], v[8:9], off offset:-4
	v_add_co_u32_e32 v8, vcc, s2, v8
	v_addc_co_u32_e32 v9, vcc, v9, v15, vcc
	s_waitcnt vmcnt(0)
	ds_write_b64 v11, v[2:3]
	s_waitcnt lgkmcnt(0)
	s_barrier
	ds_read_b128 v[24:27], v13
	ds_read_b128 v[28:31], v13 offset:16
	ds_read_b128 v[32:35], v13 offset:32
	;; [unrolled: 1-line block ×3, first 2 shown]
	ds_read2_b64 v[36:39], v12 offset1:16
	s_waitcnt lgkmcnt(0)
	v_mul_f32_e32 v40, v25, v37
	v_mul_f32_e32 v41, v24, v37
	v_fma_f32 v40, v24, v36, -v40
	v_fmac_f32_e32 v41, v25, v36
	v_add_f32_e32 v40, v22, v40
	v_add_f32_e32 v41, v23, v41
	v_mul_f32_e32 v22, v25, v39
	v_mul_f32_e32 v23, v24, v39
	v_fma_f32 v22, v24, v38, -v22
	v_fmac_f32_e32 v23, v25, v38
	v_add_f32_e32 v24, v21, v22
	v_add_f32_e32 v25, v20, v23
	ds_read_b128 v[20:23], v13 offset:1024
	s_waitcnt lgkmcnt(0)
	v_mul_f32_e32 v42, v21, v37
	v_mul_f32_e32 v37, v20, v37
	v_fma_f32 v42, v20, v36, -v42
	v_fmac_f32_e32 v37, v21, v36
	v_add_f32_e32 v36, v19, v42
	v_add_f32_e32 v37, v18, v37
	v_mul_f32_e32 v18, v21, v39
	v_mul_f32_e32 v19, v20, v39
	v_fma_f32 v18, v20, v38, -v18
	v_fmac_f32_e32 v19, v21, v38
	v_add_f32_e32 v20, v17, v18
	v_add_f32_e32 v21, v16, v19
	ds_read2_b64 v[16:19], v12 offset0:32 offset1:48
	s_waitcnt lgkmcnt(0)
	v_mul_f32_e32 v38, v27, v17
	v_fma_f32 v38, v26, v16, -v38
	v_add_f32_e32 v38, v40, v38
	v_mul_f32_e32 v40, v27, v19
	v_mul_f32_e32 v39, v26, v17
	v_fma_f32 v40, v26, v18, -v40
	v_mul_f32_e32 v26, v26, v19
	v_fmac_f32_e32 v26, v27, v18
	v_add_f32_e32 v25, v25, v26
	v_mul_f32_e32 v26, v23, v17
	v_mul_f32_e32 v17, v22, v17
	v_fmac_f32_e32 v17, v23, v16
	v_fmac_f32_e32 v39, v27, v16
	v_fma_f32 v26, v22, v16, -v26
	v_add_f32_e32 v27, v37, v17
	v_mul_f32_e32 v16, v23, v19
	v_mul_f32_e32 v17, v22, v19
	v_fma_f32 v16, v22, v18, -v16
	v_fmac_f32_e32 v17, v23, v18
	v_add_f32_e32 v26, v36, v26
	v_add_f32_e32 v36, v20, v16
	v_add_f32_e32 v37, v21, v17
	ds_read2_b64 v[16:19], v12 offset0:64 offset1:80
	v_add_f32_e32 v39, v41, v39
	v_add_f32_e32 v24, v24, v40
	s_waitcnt lgkmcnt(0)
	v_mul_f32_e32 v20, v29, v17
	v_mul_f32_e32 v21, v28, v17
	v_fma_f32 v20, v28, v16, -v20
	v_fmac_f32_e32 v21, v29, v16
	v_add_f32_e32 v38, v38, v20
	v_add_f32_e32 v39, v39, v21
	v_mul_f32_e32 v20, v29, v19
	v_mul_f32_e32 v21, v28, v19
	v_fma_f32 v20, v28, v18, -v20
	v_fmac_f32_e32 v21, v29, v18
	v_add_f32_e32 v24, v24, v20
	v_add_f32_e32 v25, v25, v21
	ds_read_b128 v[20:23], v13 offset:1040
	s_waitcnt lgkmcnt(0)
	v_mul_f32_e32 v28, v21, v17
	v_mul_f32_e32 v17, v20, v17
	v_fmac_f32_e32 v17, v21, v16
	v_fma_f32 v28, v20, v16, -v28
	v_add_f32_e32 v27, v27, v17
	v_mul_f32_e32 v16, v21, v19
	v_mul_f32_e32 v17, v20, v19
	v_fma_f32 v16, v20, v18, -v16
	v_fmac_f32_e32 v17, v21, v18
	v_add_f32_e32 v20, v36, v16
	v_add_f32_e32 v21, v37, v17
	ds_read2_b64 v[16:19], v12 offset0:96 offset1:112
	v_add_f32_e32 v26, v26, v28
	s_waitcnt lgkmcnt(0)
	v_mul_f32_e32 v28, v31, v17
	v_mul_f32_e32 v36, v31, v19
	v_fma_f32 v28, v30, v16, -v28
	v_mul_f32_e32 v29, v30, v17
	v_fma_f32 v36, v30, v18, -v36
	v_mul_f32_e32 v30, v30, v19
	v_fmac_f32_e32 v30, v31, v18
	v_add_f32_e32 v25, v25, v30
	v_mul_f32_e32 v30, v23, v17
	v_mul_f32_e32 v17, v22, v17
	v_fmac_f32_e32 v17, v23, v16
	v_fmac_f32_e32 v29, v31, v16
	v_fma_f32 v30, v22, v16, -v30
	v_add_f32_e32 v27, v27, v17
	v_mul_f32_e32 v16, v23, v19
	v_mul_f32_e32 v17, v22, v19
	v_fma_f32 v16, v22, v18, -v16
	v_fmac_f32_e32 v17, v23, v18
	v_add_f32_e32 v26, v26, v30
	v_add_f32_e32 v30, v20, v16
	;; [unrolled: 1-line block ×3, first 2 shown]
	ds_read2_b64 v[16:19], v12 offset0:128 offset1:144
	v_add_f32_e32 v28, v38, v28
	v_add_f32_e32 v29, v39, v29
	;; [unrolled: 1-line block ×3, first 2 shown]
	s_waitcnt lgkmcnt(0)
	v_mul_f32_e32 v20, v33, v17
	v_mul_f32_e32 v21, v32, v17
	v_fma_f32 v20, v32, v16, -v20
	v_fmac_f32_e32 v21, v33, v16
	v_add_f32_e32 v28, v28, v20
	v_add_f32_e32 v29, v29, v21
	v_mul_f32_e32 v20, v33, v19
	v_mul_f32_e32 v21, v32, v19
	v_fma_f32 v20, v32, v18, -v20
	v_fmac_f32_e32 v21, v33, v18
	v_add_f32_e32 v24, v24, v20
	v_add_f32_e32 v25, v25, v21
	ds_read_b128 v[20:23], v13 offset:1056
	s_waitcnt lgkmcnt(0)
	v_mul_f32_e32 v32, v21, v17
	v_mul_f32_e32 v17, v20, v17
	v_fmac_f32_e32 v17, v21, v16
	v_fma_f32 v32, v20, v16, -v32
	v_add_f32_e32 v27, v27, v17
	v_mul_f32_e32 v16, v21, v19
	v_mul_f32_e32 v17, v20, v19
	v_fma_f32 v16, v20, v18, -v16
	v_fmac_f32_e32 v17, v21, v18
	v_add_f32_e32 v20, v30, v16
	v_add_f32_e32 v21, v31, v17
	ds_read2_b64 v[16:19], v12 offset0:160 offset1:176
	v_add_f32_e32 v26, v26, v32
	s_waitcnt lgkmcnt(0)
	v_mul_f32_e32 v30, v35, v17
	v_fma_f32 v30, v34, v16, -v30
	v_add_f32_e32 v28, v28, v30
	v_mul_f32_e32 v30, v35, v19
	v_fma_f32 v30, v34, v18, -v30
	v_mul_f32_e32 v31, v34, v17
	v_add_f32_e32 v24, v24, v30
	v_mul_f32_e32 v30, v23, v17
	v_mul_f32_e32 v17, v22, v17
	v_fmac_f32_e32 v17, v23, v16
	v_fmac_f32_e32 v31, v35, v16
	v_fma_f32 v30, v22, v16, -v30
	v_add_f32_e32 v27, v27, v17
	v_mul_f32_e32 v16, v23, v19
	v_mul_f32_e32 v17, v22, v19
	v_add_f32_e32 v29, v29, v31
	v_mul_f32_e32 v31, v34, v19
	v_fma_f32 v16, v22, v18, -v16
	v_fmac_f32_e32 v17, v23, v18
	v_fmac_f32_e32 v31, v35, v18
	v_add_f32_e32 v20, v20, v16
	v_add_f32_e32 v21, v21, v17
	ds_read2_b64 v[16:19], v12 offset0:192 offset1:208
	v_add_f32_e32 v26, v26, v30
	v_add_f32_e32 v25, v25, v31
	s_waitcnt lgkmcnt(0)
	v_mul_f32_e32 v22, v3, v17
	v_fma_f32 v22, v2, v16, -v22
	v_add_f32_e32 v30, v28, v22
	v_mul_f32_e32 v22, v3, v19
	v_mul_f32_e32 v23, v2, v17
	v_fma_f32 v22, v2, v18, -v22
	v_mul_f32_e32 v2, v2, v19
	v_fmac_f32_e32 v23, v3, v16
	v_fmac_f32_e32 v2, v3, v18
	v_add_f32_e32 v31, v29, v23
	v_add_f32_e32 v3, v24, v22
	;; [unrolled: 1-line block ×3, first 2 shown]
	ds_read_b128 v[22:25], v13 offset:1072
	s_waitcnt lgkmcnt(0)
	v_mul_f32_e32 v28, v23, v17
	v_fma_f32 v28, v22, v16, -v28
	v_mul_f32_e32 v17, v22, v17
	v_fmac_f32_e32 v17, v23, v16
	v_add_f32_e32 v16, v26, v28
	v_mul_f32_e32 v26, v23, v19
	v_fma_f32 v26, v22, v18, -v26
	v_add_f32_e32 v17, v27, v17
	v_add_f32_e32 v32, v20, v26
	ds_read2_b64 v[26:29], v12 offset0:224 offset1:240
	v_mul_f32_e32 v19, v22, v19
	v_fmac_f32_e32 v19, v23, v18
	v_add_f32_e32 v33, v21, v19
	s_waitcnt lgkmcnt(0)
	v_mul_f32_e32 v18, v5, v27
	v_fma_f32 v18, v4, v26, -v18
	v_add_f32_e32 v22, v30, v18
	v_mul_f32_e32 v18, v5, v29
	v_mul_f32_e32 v19, v4, v27
	v_fma_f32 v18, v4, v28, -v18
	v_mul_f32_e32 v4, v4, v29
	v_fmac_f32_e32 v4, v5, v28
	v_add_f32_e32 v21, v3, v18
	v_add_f32_e32 v20, v2, v4
	v_mul_f32_e32 v2, v25, v27
	v_mul_f32_e32 v3, v24, v27
	v_fmac_f32_e32 v19, v5, v26
	v_fma_f32 v2, v24, v26, -v2
	v_fmac_f32_e32 v3, v25, v26
	v_add_f32_e32 v23, v31, v19
	v_add_f32_e32 v19, v16, v2
	;; [unrolled: 1-line block ×3, first 2 shown]
	v_mul_f32_e32 v2, v25, v29
	v_mul_f32_e32 v3, v24, v29
	v_fma_f32 v2, v24, v28, -v2
	v_fmac_f32_e32 v3, v25, v28
	v_add_f32_e32 v17, v32, v2
	v_add_f32_e32 v16, v33, v3
	v_mov_b32_e32 v2, s6
	v_mov_b32_e32 v3, s7
	v_cmp_le_u64_e32 vcc, s[12:13], v[2:3]
	s_barrier
	s_cbranch_vccz .LBB1100_2
	s_branch .LBB1100_4
.LBB1100_3:
	v_mov_b32_e32 v22, 0
	v_mov_b32_e32 v23, 0
	;; [unrolled: 1-line block ×8, first 2 shown]
.LBB1100_4:
	s_load_dwordx4 s[12:15], s[4:5], 0x48
	s_load_dword s11, s[4:5], 0x0
	v_add_u32_e32 v4, s10, v1
	v_ashrrev_i32_e32 v1, 31, v4
	v_add_u32_e32 v0, s9, v0
	s_waitcnt lgkmcnt(0)
	s_mul_i32 s1, s15, s8
	s_mul_hi_u32 s2, s14, s8
	s_add_i32 s1, s2, s1
	v_mul_lo_u32 v3, s12, v1
	v_mul_lo_u32 v5, s13, v4
	v_mad_u64_u32 v[1:2], s[2:3], s12, v4, 0
	s_mul_i32 s0, s14, s8
	s_lshl_b64 s[0:1], s[0:1], 3
	v_add3_u32 v2, v2, v3, v5
	s_add_u32 s6, s26, s0
	v_lshlrev_b64 v[1:2], 3, v[1:2]
	s_addc_u32 s7, s27, s1
	v_mov_b32_e32 v3, s7
	v_add_co_u32_e32 v5, vcc, s6, v1
	v_addc_co_u32_e32 v6, vcc, v3, v2, vcc
	v_cmp_le_i32_e64 s[0:1], v4, v0
	v_cmp_gt_i32_e32 vcc, s11, v0
	s_and_b64 s[0:1], s[0:1], vcc
	s_and_saveexec_b64 s[2:3], s[0:1]
	s_cbranch_execz .LBB1100_6
; %bb.5:
	v_ashrrev_i32_e32 v1, 31, v0
	v_lshlrev_b64 v[7:8], 3, v[0:1]
	v_xor_b32_e32 v2, 0x80000000, v22
	v_add_co_u32_e64 v7, s[0:1], v5, v7
	v_xor_b32_e32 v3, 0x80000000, v23
	v_addc_co_u32_e64 v8, s[0:1], v6, v8, s[0:1]
	global_store_dwordx2 v[7:8], v[2:3], off
.LBB1100_6:
	s_or_b64 exec, exec, s[2:3]
	v_add_u32_e32 v2, 16, v0
	v_cmp_le_i32_e64 s[2:3], v4, v2
	v_cmp_gt_i32_e64 s[0:1], s11, v2
	s_and_b64 s[2:3], s[2:3], s[0:1]
	s_and_saveexec_b64 s[4:5], s[2:3]
	s_cbranch_execz .LBB1100_8
; %bb.7:
	v_ashrrev_i32_e32 v3, 31, v2
	v_lshlrev_b64 v[9:10], 3, v[2:3]
	v_xor_b32_e32 v7, 0x80000000, v21
	v_add_co_u32_e64 v5, s[2:3], v5, v9
	v_xor_b32_e32 v8, 0x80000000, v20
	v_addc_co_u32_e64 v6, s[2:3], v6, v10, s[2:3]
	global_store_dwordx2 v[5:6], v[7:8], off
.LBB1100_8:
	s_or_b64 exec, exec, s[4:5]
	v_add_u32_e32 v3, 16, v4
	v_ashrrev_i32_e32 v1, 31, v3
	v_mul_lo_u32 v6, s13, v3
	v_mad_u64_u32 v[4:5], s[2:3], s12, v3, 0
	v_mul_lo_u32 v1, s12, v1
	v_add3_u32 v5, v5, v1, v6
	v_lshlrev_b64 v[4:5], 3, v[4:5]
	v_mov_b32_e32 v1, s7
	v_add_co_u32_e64 v4, s[2:3], s6, v4
	v_addc_co_u32_e64 v5, s[2:3], v1, v5, s[2:3]
	v_cmp_le_i32_e64 s[2:3], v3, v0
	s_and_b64 s[4:5], s[2:3], vcc
	s_and_saveexec_b64 s[2:3], s[4:5]
	s_cbranch_execz .LBB1100_10
; %bb.9:
	v_ashrrev_i32_e32 v1, 31, v0
	v_lshlrev_b64 v[0:1], 3, v[0:1]
	v_xor_b32_e32 v6, 0x80000000, v19
	v_add_co_u32_e32 v0, vcc, v4, v0
	v_xor_b32_e32 v7, 0x80000000, v18
	v_addc_co_u32_e32 v1, vcc, v5, v1, vcc
	global_store_dwordx2 v[0:1], v[6:7], off
.LBB1100_10:
	s_or_b64 exec, exec, s[2:3]
	v_cmp_le_i32_e32 vcc, v3, v2
	s_and_b64 s[0:1], vcc, s[0:1]
	s_and_saveexec_b64 s[2:3], s[0:1]
	s_cbranch_execz .LBB1100_12
; %bb.11:
	v_ashrrev_i32_e32 v3, 31, v2
	v_lshlrev_b64 v[2:3], 3, v[2:3]
	v_xor_b32_e32 v0, 0x80000000, v17
	v_add_co_u32_e32 v2, vcc, v4, v2
	v_xor_b32_e32 v1, 0x80000000, v16
	v_addc_co_u32_e32 v3, vcc, v5, v3, vcc
	global_store_dwordx2 v[2:3], v[0:1], off
.LBB1100_12:
	s_endpgm
	.section	.rodata,"a",@progbits
	.p2align	6, 0x0
	.amdhsa_kernel _ZL37rocblas_syrkx_herkx_restricted_kernelIl19rocblas_complex_numIfELi16ELi32ELi8ELin1ELi0ELb0ELc78ELc76EKS1_S1_EviT_PT9_S3_lS5_S3_lPT10_S3_li
		.amdhsa_group_segment_fixed_size 4096
		.amdhsa_private_segment_fixed_size 0
		.amdhsa_kernarg_size 92
		.amdhsa_user_sgpr_count 6
		.amdhsa_user_sgpr_private_segment_buffer 1
		.amdhsa_user_sgpr_dispatch_ptr 0
		.amdhsa_user_sgpr_queue_ptr 0
		.amdhsa_user_sgpr_kernarg_segment_ptr 1
		.amdhsa_user_sgpr_dispatch_id 0
		.amdhsa_user_sgpr_flat_scratch_init 0
		.amdhsa_user_sgpr_private_segment_size 0
		.amdhsa_uses_dynamic_stack 0
		.amdhsa_system_sgpr_private_segment_wavefront_offset 0
		.amdhsa_system_sgpr_workgroup_id_x 1
		.amdhsa_system_sgpr_workgroup_id_y 1
		.amdhsa_system_sgpr_workgroup_id_z 1
		.amdhsa_system_sgpr_workgroup_info 0
		.amdhsa_system_vgpr_workitem_id 1
		.amdhsa_next_free_vgpr 43
		.amdhsa_next_free_sgpr 28
		.amdhsa_reserve_vcc 1
		.amdhsa_reserve_flat_scratch 0
		.amdhsa_float_round_mode_32 0
		.amdhsa_float_round_mode_16_64 0
		.amdhsa_float_denorm_mode_32 3
		.amdhsa_float_denorm_mode_16_64 3
		.amdhsa_dx10_clamp 1
		.amdhsa_ieee_mode 1
		.amdhsa_fp16_overflow 0
		.amdhsa_exception_fp_ieee_invalid_op 0
		.amdhsa_exception_fp_denorm_src 0
		.amdhsa_exception_fp_ieee_div_zero 0
		.amdhsa_exception_fp_ieee_overflow 0
		.amdhsa_exception_fp_ieee_underflow 0
		.amdhsa_exception_fp_ieee_inexact 0
		.amdhsa_exception_int_div_zero 0
	.end_amdhsa_kernel
	.section	.text._ZL37rocblas_syrkx_herkx_restricted_kernelIl19rocblas_complex_numIfELi16ELi32ELi8ELin1ELi0ELb0ELc78ELc76EKS1_S1_EviT_PT9_S3_lS5_S3_lPT10_S3_li,"axG",@progbits,_ZL37rocblas_syrkx_herkx_restricted_kernelIl19rocblas_complex_numIfELi16ELi32ELi8ELin1ELi0ELb0ELc78ELc76EKS1_S1_EviT_PT9_S3_lS5_S3_lPT10_S3_li,comdat
.Lfunc_end1100:
	.size	_ZL37rocblas_syrkx_herkx_restricted_kernelIl19rocblas_complex_numIfELi16ELi32ELi8ELin1ELi0ELb0ELc78ELc76EKS1_S1_EviT_PT9_S3_lS5_S3_lPT10_S3_li, .Lfunc_end1100-_ZL37rocblas_syrkx_herkx_restricted_kernelIl19rocblas_complex_numIfELi16ELi32ELi8ELin1ELi0ELb0ELc78ELc76EKS1_S1_EviT_PT9_S3_lS5_S3_lPT10_S3_li
                                        ; -- End function
	.set _ZL37rocblas_syrkx_herkx_restricted_kernelIl19rocblas_complex_numIfELi16ELi32ELi8ELin1ELi0ELb0ELc78ELc76EKS1_S1_EviT_PT9_S3_lS5_S3_lPT10_S3_li.num_vgpr, 43
	.set _ZL37rocblas_syrkx_herkx_restricted_kernelIl19rocblas_complex_numIfELi16ELi32ELi8ELin1ELi0ELb0ELc78ELc76EKS1_S1_EviT_PT9_S3_lS5_S3_lPT10_S3_li.num_agpr, 0
	.set _ZL37rocblas_syrkx_herkx_restricted_kernelIl19rocblas_complex_numIfELi16ELi32ELi8ELin1ELi0ELb0ELc78ELc76EKS1_S1_EviT_PT9_S3_lS5_S3_lPT10_S3_li.numbered_sgpr, 28
	.set _ZL37rocblas_syrkx_herkx_restricted_kernelIl19rocblas_complex_numIfELi16ELi32ELi8ELin1ELi0ELb0ELc78ELc76EKS1_S1_EviT_PT9_S3_lS5_S3_lPT10_S3_li.num_named_barrier, 0
	.set _ZL37rocblas_syrkx_herkx_restricted_kernelIl19rocblas_complex_numIfELi16ELi32ELi8ELin1ELi0ELb0ELc78ELc76EKS1_S1_EviT_PT9_S3_lS5_S3_lPT10_S3_li.private_seg_size, 0
	.set _ZL37rocblas_syrkx_herkx_restricted_kernelIl19rocblas_complex_numIfELi16ELi32ELi8ELin1ELi0ELb0ELc78ELc76EKS1_S1_EviT_PT9_S3_lS5_S3_lPT10_S3_li.uses_vcc, 1
	.set _ZL37rocblas_syrkx_herkx_restricted_kernelIl19rocblas_complex_numIfELi16ELi32ELi8ELin1ELi0ELb0ELc78ELc76EKS1_S1_EviT_PT9_S3_lS5_S3_lPT10_S3_li.uses_flat_scratch, 0
	.set _ZL37rocblas_syrkx_herkx_restricted_kernelIl19rocblas_complex_numIfELi16ELi32ELi8ELin1ELi0ELb0ELc78ELc76EKS1_S1_EviT_PT9_S3_lS5_S3_lPT10_S3_li.has_dyn_sized_stack, 0
	.set _ZL37rocblas_syrkx_herkx_restricted_kernelIl19rocblas_complex_numIfELi16ELi32ELi8ELin1ELi0ELb0ELc78ELc76EKS1_S1_EviT_PT9_S3_lS5_S3_lPT10_S3_li.has_recursion, 0
	.set _ZL37rocblas_syrkx_herkx_restricted_kernelIl19rocblas_complex_numIfELi16ELi32ELi8ELin1ELi0ELb0ELc78ELc76EKS1_S1_EviT_PT9_S3_lS5_S3_lPT10_S3_li.has_indirect_call, 0
	.section	.AMDGPU.csdata,"",@progbits
; Kernel info:
; codeLenInByte = 2004
; TotalNumSgprs: 32
; NumVgprs: 43
; ScratchSize: 0
; MemoryBound: 0
; FloatMode: 240
; IeeeMode: 1
; LDSByteSize: 4096 bytes/workgroup (compile time only)
; SGPRBlocks: 3
; VGPRBlocks: 10
; NumSGPRsForWavesPerEU: 32
; NumVGPRsForWavesPerEU: 43
; Occupancy: 5
; WaveLimiterHint : 1
; COMPUTE_PGM_RSRC2:SCRATCH_EN: 0
; COMPUTE_PGM_RSRC2:USER_SGPR: 6
; COMPUTE_PGM_RSRC2:TRAP_HANDLER: 0
; COMPUTE_PGM_RSRC2:TGID_X_EN: 1
; COMPUTE_PGM_RSRC2:TGID_Y_EN: 1
; COMPUTE_PGM_RSRC2:TGID_Z_EN: 1
; COMPUTE_PGM_RSRC2:TIDIG_COMP_CNT: 1
	.section	.text._ZL37rocblas_syrkx_herkx_restricted_kernelIl19rocblas_complex_numIfELi16ELi32ELi8ELin1ELi0ELb0ELc84ELc85EKS1_S1_EviT_PT9_S3_lS5_S3_lPT10_S3_li,"axG",@progbits,_ZL37rocblas_syrkx_herkx_restricted_kernelIl19rocblas_complex_numIfELi16ELi32ELi8ELin1ELi0ELb0ELc84ELc85EKS1_S1_EviT_PT9_S3_lS5_S3_lPT10_S3_li,comdat
	.globl	_ZL37rocblas_syrkx_herkx_restricted_kernelIl19rocblas_complex_numIfELi16ELi32ELi8ELin1ELi0ELb0ELc84ELc85EKS1_S1_EviT_PT9_S3_lS5_S3_lPT10_S3_li ; -- Begin function _ZL37rocblas_syrkx_herkx_restricted_kernelIl19rocblas_complex_numIfELi16ELi32ELi8ELin1ELi0ELb0ELc84ELc85EKS1_S1_EviT_PT9_S3_lS5_S3_lPT10_S3_li
	.p2align	8
	.type	_ZL37rocblas_syrkx_herkx_restricted_kernelIl19rocblas_complex_numIfELi16ELi32ELi8ELin1ELi0ELb0ELc84ELc85EKS1_S1_EviT_PT9_S3_lS5_S3_lPT10_S3_li,@function
_ZL37rocblas_syrkx_herkx_restricted_kernelIl19rocblas_complex_numIfELi16ELi32ELi8ELin1ELi0ELb0ELc84ELc85EKS1_S1_EviT_PT9_S3_lS5_S3_lPT10_S3_li: ; @_ZL37rocblas_syrkx_herkx_restricted_kernelIl19rocblas_complex_numIfELi16ELi32ELi8ELin1ELi0ELb0ELc84ELc85EKS1_S1_EviT_PT9_S3_lS5_S3_lPT10_S3_li
; %bb.0:
	s_load_dwordx16 s[12:27], s[4:5], 0x8
	s_lshl_b32 s2, s6, 5
	s_lshl_b32 s3, s7, 5
	s_waitcnt lgkmcnt(0)
	v_cmp_lt_i64_e64 s[0:1], s[12:13], 1
	s_and_b64 vcc, exec, s[0:1]
	s_cbranch_vccnz .LBB1101_3
; %bb.1:
	v_lshl_add_u32 v4, v1, 4, v0
	v_lshrrev_b32_e32 v6, 3, v4
	v_add_u32_e32 v2, s3, v6
	v_ashrrev_i32_e32 v3, 31, v2
	v_and_b32_e32 v9, 7, v0
	v_mov_b32_e32 v10, 0
	v_mul_lo_u32 v5, s22, v3
	v_mul_lo_u32 v7, s23, v2
	v_mad_u64_u32 v[2:3], s[0:1], s22, v2, v[9:10]
	s_mul_i32 s6, s19, s8
	s_mul_hi_u32 s7, s18, s8
	v_add3_u32 v3, v7, v3, v5
	v_and_b32_e32 v7, 31, v4
	v_lshrrev_b32_e32 v4, 5, v4
	v_lshlrev_b32_e32 v8, 3, v7
	v_lshl_or_b32 v11, v4, 8, v8
	v_lshlrev_b32_e32 v8, 3, v9
	v_lshl_or_b32 v6, v6, 6, v8
	v_add_u32_e32 v12, 0x800, v6
	v_mov_b32_e32 v6, 0x800
	v_lshl_add_u32 v14, v1, 6, v6
	v_add_u32_e32 v6, s2, v7
	v_mov_b32_e32 v5, v10
	v_ashrrev_i32_e32 v7, 31, v6
	v_mul_lo_u32 v7, s16, v7
	v_mad_u64_u32 v[4:5], s[0:1], s16, v6, v[4:5]
	v_mul_lo_u32 v6, s17, v6
	s_add_i32 s1, s7, s6
	s_mul_i32 s0, s18, s8
	s_lshl_b64 s[0:1], s[0:1], 3
	v_add3_u32 v5, v6, v5, v7
	v_lshlrev_b64 v[4:5], 3, v[4:5]
	s_add_u32 s0, s14, s0
	s_addc_u32 s1, s15, s1
	v_mov_b32_e32 v6, s1
	v_add_co_u32_e32 v4, vcc, s0, v4
	s_mul_i32 s0, s25, s8
	s_mul_hi_u32 s1, s24, s8
	s_add_i32 s1, s1, s0
	s_mul_i32 s0, s24, s8
	v_addc_co_u32_e32 v5, vcc, v6, v5, vcc
	s_lshl_b64 s[0:1], s[0:1], 3
	v_add_co_u32_e32 v6, vcc, 4, v4
	v_lshlrev_b64 v[2:3], 3, v[2:3]
	s_add_u32 s0, s20, s0
	v_addc_co_u32_e32 v7, vcc, 0, v5, vcc
	s_addc_u32 s1, s21, s1
	v_mov_b32_e32 v4, s1
	v_add_co_u32_e32 v2, vcc, s0, v2
	v_addc_co_u32_e32 v3, vcc, v4, v3, vcc
	v_add_co_u32_e32 v8, vcc, 4, v2
	v_lshlrev_b32_e32 v13, 3, v0
	v_addc_co_u32_e32 v9, vcc, 0, v3, vcc
	s_mov_b64 s[0:1], 0
	v_mov_b32_e32 v15, v10
	v_mov_b32_e32 v16, v10
	;; [unrolled: 1-line block ×7, first 2 shown]
.LBB1101_2:                             ; =>This Inner Loop Header: Depth=1
	global_load_dwordx2 v[2:3], v[6:7], off offset:-4
	s_add_u32 s0, s0, 8
	v_add_co_u32_e32 v6, vcc, 64, v6
	s_addc_u32 s1, s1, 0
	v_addc_co_u32_e32 v7, vcc, 0, v7, vcc
	s_waitcnt vmcnt(0)
	ds_write_b64 v11, v[2:3]
	global_load_dwordx2 v[2:3], v[8:9], off offset:-4
	v_add_co_u32_e32 v8, vcc, 64, v8
	v_addc_co_u32_e32 v9, vcc, 0, v9, vcc
	s_waitcnt vmcnt(0)
	ds_write_b64 v12, v[2:3]
	s_waitcnt lgkmcnt(0)
	s_barrier
	ds_read_b128 v[22:25], v14
	ds_read_b128 v[26:29], v14 offset:16
	ds_read_b128 v[30:33], v14 offset:32
	ds_read_b128 v[2:5], v14 offset:48
	ds_read2_b64 v[34:37], v13 offset1:16
	s_waitcnt lgkmcnt(0)
	v_mul_f32_e32 v38, v23, v35
	v_mul_f32_e32 v39, v22, v35
	v_fma_f32 v38, v22, v34, -v38
	v_fmac_f32_e32 v39, v23, v34
	v_add_f32_e32 v38, v20, v38
	v_add_f32_e32 v39, v21, v39
	v_mul_f32_e32 v20, v23, v37
	v_mul_f32_e32 v21, v22, v37
	v_fma_f32 v20, v22, v36, -v20
	v_fmac_f32_e32 v21, v23, v36
	v_add_f32_e32 v22, v19, v20
	v_add_f32_e32 v23, v18, v21
	ds_read_b128 v[18:21], v14 offset:1024
	s_waitcnt lgkmcnt(0)
	v_mul_f32_e32 v40, v19, v35
	v_mul_f32_e32 v35, v18, v35
	v_fma_f32 v40, v18, v34, -v40
	v_fmac_f32_e32 v35, v19, v34
	v_add_f32_e32 v34, v17, v40
	v_add_f32_e32 v35, v16, v35
	v_mul_f32_e32 v16, v19, v37
	v_mul_f32_e32 v17, v18, v37
	v_fma_f32 v16, v18, v36, -v16
	v_fmac_f32_e32 v17, v19, v36
	v_add_f32_e32 v19, v15, v16
	v_add_f32_e32 v10, v10, v17
	ds_read2_b64 v[15:18], v13 offset0:32 offset1:48
	s_waitcnt lgkmcnt(0)
	v_mul_f32_e32 v36, v25, v16
	v_fma_f32 v36, v24, v15, -v36
	v_add_f32_e32 v36, v38, v36
	v_mul_f32_e32 v38, v25, v18
	v_mul_f32_e32 v37, v24, v16
	v_fma_f32 v38, v24, v17, -v38
	v_mul_f32_e32 v24, v24, v18
	v_fmac_f32_e32 v24, v25, v17
	v_add_f32_e32 v23, v23, v24
	v_mul_f32_e32 v24, v21, v16
	v_mul_f32_e32 v16, v20, v16
	v_fmac_f32_e32 v16, v21, v15
	v_fmac_f32_e32 v37, v25, v15
	v_fma_f32 v24, v20, v15, -v24
	v_add_f32_e32 v25, v35, v16
	v_mul_f32_e32 v15, v21, v18
	v_mul_f32_e32 v16, v20, v18
	v_fma_f32 v15, v20, v17, -v15
	v_fmac_f32_e32 v16, v21, v17
	v_add_f32_e32 v24, v34, v24
	v_add_f32_e32 v34, v19, v15
	;; [unrolled: 1-line block ×3, first 2 shown]
	ds_read2_b64 v[15:18], v13 offset0:64 offset1:80
	v_add_f32_e32 v37, v39, v37
	v_add_f32_e32 v22, v22, v38
	s_waitcnt lgkmcnt(0)
	v_mul_f32_e32 v19, v27, v16
	v_mul_f32_e32 v20, v26, v16
	v_fma_f32 v19, v26, v15, -v19
	v_fmac_f32_e32 v20, v27, v15
	v_add_f32_e32 v35, v36, v19
	v_add_f32_e32 v36, v37, v20
	v_mul_f32_e32 v19, v27, v18
	v_mul_f32_e32 v20, v26, v18
	v_fma_f32 v19, v26, v17, -v19
	v_fmac_f32_e32 v20, v27, v17
	v_add_f32_e32 v26, v22, v19
	v_add_f32_e32 v23, v23, v20
	ds_read_b128 v[19:22], v14 offset:1040
	s_waitcnt lgkmcnt(0)
	v_mul_f32_e32 v27, v20, v16
	v_mul_f32_e32 v16, v19, v16
	v_fmac_f32_e32 v16, v20, v15
	v_fma_f32 v27, v19, v15, -v27
	v_add_f32_e32 v25, v25, v16
	v_mul_f32_e32 v15, v20, v18
	v_mul_f32_e32 v16, v19, v18
	v_fma_f32 v15, v19, v17, -v15
	v_fmac_f32_e32 v16, v20, v17
	v_add_f32_e32 v19, v34, v15
	v_add_f32_e32 v10, v10, v16
	ds_read2_b64 v[15:18], v13 offset0:96 offset1:112
	v_add_f32_e32 v24, v24, v27
	s_waitcnt lgkmcnt(0)
	v_mul_f32_e32 v20, v29, v16
	v_mul_f32_e32 v34, v29, v18
	v_fma_f32 v20, v28, v15, -v20
	v_mul_f32_e32 v27, v28, v16
	v_fma_f32 v34, v28, v17, -v34
	v_mul_f32_e32 v28, v28, v18
	v_fmac_f32_e32 v28, v29, v17
	v_add_f32_e32 v23, v23, v28
	v_mul_f32_e32 v28, v22, v16
	v_mul_f32_e32 v16, v21, v16
	v_fmac_f32_e32 v16, v22, v15
	v_fmac_f32_e32 v27, v29, v15
	v_fma_f32 v28, v21, v15, -v28
	v_add_f32_e32 v25, v25, v16
	v_mul_f32_e32 v15, v22, v18
	v_mul_f32_e32 v16, v21, v18
	v_fma_f32 v15, v21, v17, -v15
	v_fmac_f32_e32 v16, v22, v17
	v_add_f32_e32 v24, v24, v28
	v_add_f32_e32 v28, v19, v15
	;; [unrolled: 1-line block ×3, first 2 shown]
	ds_read2_b64 v[15:18], v13 offset0:128 offset1:144
	v_add_f32_e32 v20, v35, v20
	v_add_f32_e32 v27, v36, v27
	;; [unrolled: 1-line block ×3, first 2 shown]
	s_waitcnt lgkmcnt(0)
	v_mul_f32_e32 v19, v31, v16
	v_fma_f32 v19, v30, v15, -v19
	v_mul_f32_e32 v21, v30, v16
	v_add_f32_e32 v29, v20, v19
	v_mul_f32_e32 v19, v31, v18
	v_mul_f32_e32 v20, v30, v18
	v_fmac_f32_e32 v21, v31, v15
	v_fma_f32 v19, v30, v17, -v19
	v_fmac_f32_e32 v20, v31, v17
	v_add_f32_e32 v27, v27, v21
	v_add_f32_e32 v26, v26, v19
	;; [unrolled: 1-line block ×3, first 2 shown]
	ds_read_b128 v[19:22], v14 offset:1056
	s_waitcnt lgkmcnt(0)
	v_mul_f32_e32 v30, v20, v16
	v_mul_f32_e32 v16, v19, v16
	v_fmac_f32_e32 v16, v20, v15
	v_fma_f32 v30, v19, v15, -v30
	v_add_f32_e32 v25, v25, v16
	v_mul_f32_e32 v15, v20, v18
	v_mul_f32_e32 v16, v19, v18
	v_fma_f32 v15, v19, v17, -v15
	v_fmac_f32_e32 v16, v20, v17
	v_add_f32_e32 v19, v28, v15
	v_add_f32_e32 v10, v10, v16
	ds_read2_b64 v[15:18], v13 offset0:160 offset1:176
	v_add_f32_e32 v24, v24, v30
	s_waitcnt lgkmcnt(0)
	v_mul_f32_e32 v28, v32, v16
	v_fmac_f32_e32 v28, v33, v15
	v_add_f32_e32 v27, v27, v28
	v_mul_f32_e32 v28, v33, v18
	v_fma_f32 v28, v32, v17, -v28
	v_mul_f32_e32 v20, v33, v16
	v_add_f32_e32 v26, v26, v28
	v_mul_f32_e32 v28, v22, v16
	v_mul_f32_e32 v16, v21, v16
	v_fmac_f32_e32 v16, v22, v15
	v_fma_f32 v20, v32, v15, -v20
	v_fma_f32 v28, v21, v15, -v28
	v_add_f32_e32 v25, v25, v16
	v_mul_f32_e32 v15, v22, v18
	v_mul_f32_e32 v16, v21, v18
	v_add_f32_e32 v20, v29, v20
	v_mul_f32_e32 v29, v32, v18
	v_fma_f32 v15, v21, v17, -v15
	v_fmac_f32_e32 v16, v22, v17
	v_fmac_f32_e32 v29, v33, v17
	v_add_f32_e32 v19, v19, v15
	v_add_f32_e32 v10, v10, v16
	ds_read2_b64 v[15:18], v13 offset0:192 offset1:208
	v_add_f32_e32 v24, v24, v28
	v_add_f32_e32 v23, v23, v29
	s_waitcnt lgkmcnt(0)
	v_mul_f32_e32 v21, v3, v16
	v_fma_f32 v21, v2, v15, -v21
	v_add_f32_e32 v28, v20, v21
	v_mul_f32_e32 v20, v3, v18
	v_mul_f32_e32 v22, v2, v16
	v_fma_f32 v20, v2, v17, -v20
	v_mul_f32_e32 v2, v2, v18
	v_fmac_f32_e32 v22, v3, v15
	v_fmac_f32_e32 v2, v3, v17
	v_add_f32_e32 v29, v27, v22
	v_add_f32_e32 v3, v26, v20
	;; [unrolled: 1-line block ×3, first 2 shown]
	ds_read_b128 v[20:23], v14 offset:1072
	s_waitcnt lgkmcnt(0)
	v_mul_f32_e32 v26, v21, v16
	v_fma_f32 v26, v20, v15, -v26
	v_mul_f32_e32 v16, v20, v16
	v_fmac_f32_e32 v16, v21, v15
	v_add_f32_e32 v15, v24, v26
	v_mul_f32_e32 v24, v21, v18
	v_fma_f32 v24, v20, v17, -v24
	v_add_f32_e32 v16, v25, v16
	v_add_f32_e32 v30, v19, v24
	ds_read2_b64 v[24:27], v13 offset0:224 offset1:240
	v_mul_f32_e32 v18, v20, v18
	v_fmac_f32_e32 v18, v21, v17
	v_add_f32_e32 v10, v10, v18
	s_waitcnt lgkmcnt(0)
	v_mul_f32_e32 v17, v5, v25
	v_fma_f32 v17, v4, v24, -v17
	v_add_f32_e32 v20, v28, v17
	v_mul_f32_e32 v17, v5, v27
	v_mul_f32_e32 v18, v4, v25
	v_fma_f32 v17, v4, v26, -v17
	v_mul_f32_e32 v4, v4, v27
	v_fmac_f32_e32 v18, v5, v24
	v_fmac_f32_e32 v4, v5, v26
	v_add_f32_e32 v21, v29, v18
	v_add_f32_e32 v19, v3, v17
	;; [unrolled: 1-line block ×3, first 2 shown]
	v_mul_f32_e32 v2, v23, v25
	v_mul_f32_e32 v3, v22, v25
	v_fma_f32 v2, v22, v24, -v2
	v_fmac_f32_e32 v3, v23, v24
	v_add_f32_e32 v17, v15, v2
	v_add_f32_e32 v16, v16, v3
	v_mul_f32_e32 v2, v23, v27
	v_mul_f32_e32 v3, v22, v27
	v_fma_f32 v2, v22, v26, -v2
	v_fmac_f32_e32 v3, v23, v26
	v_add_f32_e32 v15, v30, v2
	v_add_f32_e32 v10, v10, v3
	v_mov_b32_e32 v3, s1
	v_mov_b32_e32 v2, s0
	v_cmp_le_u64_e32 vcc, s[12:13], v[2:3]
	s_barrier
	s_cbranch_vccz .LBB1101_2
	s_branch .LBB1101_4
.LBB1101_3:
	v_mov_b32_e32 v20, 0
	v_mov_b32_e32 v21, 0
	;; [unrolled: 1-line block ×8, first 2 shown]
.LBB1101_4:
	s_load_dwordx4 s[12:15], s[4:5], 0x48
	s_load_dword s6, s[4:5], 0x0
	v_add_u32_e32 v4, s3, v1
	v_ashrrev_i32_e32 v1, 31, v4
	v_add_u32_e32 v0, s2, v0
	s_waitcnt lgkmcnt(0)
	s_mul_i32 s1, s15, s8
	s_mul_hi_u32 s3, s14, s8
	s_mul_i32 s0, s14, s8
	v_mul_lo_u32 v3, s12, v1
	v_mul_lo_u32 v5, s13, v4
	v_mad_u64_u32 v[1:2], s[8:9], s12, v4, 0
	s_add_i32 s1, s3, s1
	s_lshl_b64 s[0:1], s[0:1], 3
	v_add3_u32 v2, v2, v3, v5
	s_add_u32 s4, s26, s0
	v_lshlrev_b64 v[1:2], 3, v[1:2]
	s_addc_u32 s5, s27, s1
	v_mov_b32_e32 v3, s5
	v_add_co_u32_e64 v5, s[0:1], s4, v1
	v_addc_co_u32_e64 v6, s[0:1], v3, v2, s[0:1]
	v_cmp_gt_i32_e32 vcc, s6, v4
	v_cmp_le_i32_e64 s[0:1], v0, v4
	s_and_b64 s[0:1], vcc, s[0:1]
	s_and_saveexec_b64 s[2:3], s[0:1]
	s_cbranch_execz .LBB1101_6
; %bb.5:
	v_ashrrev_i32_e32 v1, 31, v0
	v_lshlrev_b64 v[7:8], 3, v[0:1]
	v_xor_b32_e32 v2, 0x80000000, v20
	v_add_co_u32_e64 v7, s[0:1], v5, v7
	v_xor_b32_e32 v3, 0x80000000, v21
	v_addc_co_u32_e64 v8, s[0:1], v6, v8, s[0:1]
	global_store_dwordx2 v[7:8], v[2:3], off
.LBB1101_6:
	s_or_b64 exec, exec, s[2:3]
	v_add_u32_e32 v2, 16, v0
	v_cmp_le_i32_e64 s[0:1], v2, v4
	s_and_b64 s[2:3], vcc, s[0:1]
	s_and_saveexec_b64 s[0:1], s[2:3]
	s_cbranch_execz .LBB1101_8
; %bb.7:
	v_ashrrev_i32_e32 v3, 31, v2
	v_lshlrev_b64 v[11:12], 3, v[2:3]
	v_xor_b32_e32 v7, 0x80000000, v19
	v_add_co_u32_e32 v5, vcc, v5, v11
	v_xor_b32_e32 v8, 0x80000000, v18
	v_addc_co_u32_e32 v6, vcc, v6, v12, vcc
	global_store_dwordx2 v[5:6], v[7:8], off
.LBB1101_8:
	s_or_b64 exec, exec, s[0:1]
	v_add_u32_e32 v3, 16, v4
	v_ashrrev_i32_e32 v1, 31, v3
	v_mul_lo_u32 v1, s12, v1
	v_mul_lo_u32 v6, s13, v3
	v_mad_u64_u32 v[4:5], s[0:1], s12, v3, 0
	v_cmp_gt_i32_e32 vcc, s6, v3
	v_add3_u32 v5, v5, v1, v6
	v_lshlrev_b64 v[4:5], 3, v[4:5]
	v_mov_b32_e32 v1, s5
	v_add_co_u32_e64 v4, s[0:1], s4, v4
	v_addc_co_u32_e64 v5, s[0:1], v1, v5, s[0:1]
	v_cmp_le_i32_e64 s[0:1], v0, v3
	s_and_b64 s[0:1], vcc, s[0:1]
	s_and_saveexec_b64 s[2:3], s[0:1]
	s_cbranch_execz .LBB1101_10
; %bb.9:
	v_ashrrev_i32_e32 v1, 31, v0
	v_lshlrev_b64 v[0:1], 3, v[0:1]
	v_xor_b32_e32 v6, 0x80000000, v17
	v_add_co_u32_e64 v0, s[0:1], v4, v0
	v_xor_b32_e32 v7, 0x80000000, v16
	v_addc_co_u32_e64 v1, s[0:1], v5, v1, s[0:1]
	global_store_dwordx2 v[0:1], v[6:7], off
.LBB1101_10:
	s_or_b64 exec, exec, s[2:3]
	v_cmp_le_i32_e64 s[0:1], v2, v3
	s_and_b64 s[0:1], vcc, s[0:1]
	s_and_saveexec_b64 s[2:3], s[0:1]
	s_cbranch_execz .LBB1101_12
; %bb.11:
	v_ashrrev_i32_e32 v3, 31, v2
	v_lshlrev_b64 v[2:3], 3, v[2:3]
	v_xor_b32_e32 v0, 0x80000000, v15
	v_add_co_u32_e32 v2, vcc, v4, v2
	v_xor_b32_e32 v1, 0x80000000, v10
	v_addc_co_u32_e32 v3, vcc, v5, v3, vcc
	global_store_dwordx2 v[2:3], v[0:1], off
.LBB1101_12:
	s_endpgm
	.section	.rodata,"a",@progbits
	.p2align	6, 0x0
	.amdhsa_kernel _ZL37rocblas_syrkx_herkx_restricted_kernelIl19rocblas_complex_numIfELi16ELi32ELi8ELin1ELi0ELb0ELc84ELc85EKS1_S1_EviT_PT9_S3_lS5_S3_lPT10_S3_li
		.amdhsa_group_segment_fixed_size 4096
		.amdhsa_private_segment_fixed_size 0
		.amdhsa_kernarg_size 92
		.amdhsa_user_sgpr_count 6
		.amdhsa_user_sgpr_private_segment_buffer 1
		.amdhsa_user_sgpr_dispatch_ptr 0
		.amdhsa_user_sgpr_queue_ptr 0
		.amdhsa_user_sgpr_kernarg_segment_ptr 1
		.amdhsa_user_sgpr_dispatch_id 0
		.amdhsa_user_sgpr_flat_scratch_init 0
		.amdhsa_user_sgpr_private_segment_size 0
		.amdhsa_uses_dynamic_stack 0
		.amdhsa_system_sgpr_private_segment_wavefront_offset 0
		.amdhsa_system_sgpr_workgroup_id_x 1
		.amdhsa_system_sgpr_workgroup_id_y 1
		.amdhsa_system_sgpr_workgroup_id_z 1
		.amdhsa_system_sgpr_workgroup_info 0
		.amdhsa_system_vgpr_workitem_id 1
		.amdhsa_next_free_vgpr 41
		.amdhsa_next_free_sgpr 28
		.amdhsa_reserve_vcc 1
		.amdhsa_reserve_flat_scratch 0
		.amdhsa_float_round_mode_32 0
		.amdhsa_float_round_mode_16_64 0
		.amdhsa_float_denorm_mode_32 3
		.amdhsa_float_denorm_mode_16_64 3
		.amdhsa_dx10_clamp 1
		.amdhsa_ieee_mode 1
		.amdhsa_fp16_overflow 0
		.amdhsa_exception_fp_ieee_invalid_op 0
		.amdhsa_exception_fp_denorm_src 0
		.amdhsa_exception_fp_ieee_div_zero 0
		.amdhsa_exception_fp_ieee_overflow 0
		.amdhsa_exception_fp_ieee_underflow 0
		.amdhsa_exception_fp_ieee_inexact 0
		.amdhsa_exception_int_div_zero 0
	.end_amdhsa_kernel
	.section	.text._ZL37rocblas_syrkx_herkx_restricted_kernelIl19rocblas_complex_numIfELi16ELi32ELi8ELin1ELi0ELb0ELc84ELc85EKS1_S1_EviT_PT9_S3_lS5_S3_lPT10_S3_li,"axG",@progbits,_ZL37rocblas_syrkx_herkx_restricted_kernelIl19rocblas_complex_numIfELi16ELi32ELi8ELin1ELi0ELb0ELc84ELc85EKS1_S1_EviT_PT9_S3_lS5_S3_lPT10_S3_li,comdat
.Lfunc_end1101:
	.size	_ZL37rocblas_syrkx_herkx_restricted_kernelIl19rocblas_complex_numIfELi16ELi32ELi8ELin1ELi0ELb0ELc84ELc85EKS1_S1_EviT_PT9_S3_lS5_S3_lPT10_S3_li, .Lfunc_end1101-_ZL37rocblas_syrkx_herkx_restricted_kernelIl19rocblas_complex_numIfELi16ELi32ELi8ELin1ELi0ELb0ELc84ELc85EKS1_S1_EviT_PT9_S3_lS5_S3_lPT10_S3_li
                                        ; -- End function
	.set _ZL37rocblas_syrkx_herkx_restricted_kernelIl19rocblas_complex_numIfELi16ELi32ELi8ELin1ELi0ELb0ELc84ELc85EKS1_S1_EviT_PT9_S3_lS5_S3_lPT10_S3_li.num_vgpr, 41
	.set _ZL37rocblas_syrkx_herkx_restricted_kernelIl19rocblas_complex_numIfELi16ELi32ELi8ELin1ELi0ELb0ELc84ELc85EKS1_S1_EviT_PT9_S3_lS5_S3_lPT10_S3_li.num_agpr, 0
	.set _ZL37rocblas_syrkx_herkx_restricted_kernelIl19rocblas_complex_numIfELi16ELi32ELi8ELin1ELi0ELb0ELc84ELc85EKS1_S1_EviT_PT9_S3_lS5_S3_lPT10_S3_li.numbered_sgpr, 28
	.set _ZL37rocblas_syrkx_herkx_restricted_kernelIl19rocblas_complex_numIfELi16ELi32ELi8ELin1ELi0ELb0ELc84ELc85EKS1_S1_EviT_PT9_S3_lS5_S3_lPT10_S3_li.num_named_barrier, 0
	.set _ZL37rocblas_syrkx_herkx_restricted_kernelIl19rocblas_complex_numIfELi16ELi32ELi8ELin1ELi0ELb0ELc84ELc85EKS1_S1_EviT_PT9_S3_lS5_S3_lPT10_S3_li.private_seg_size, 0
	.set _ZL37rocblas_syrkx_herkx_restricted_kernelIl19rocblas_complex_numIfELi16ELi32ELi8ELin1ELi0ELb0ELc84ELc85EKS1_S1_EviT_PT9_S3_lS5_S3_lPT10_S3_li.uses_vcc, 1
	.set _ZL37rocblas_syrkx_herkx_restricted_kernelIl19rocblas_complex_numIfELi16ELi32ELi8ELin1ELi0ELb0ELc84ELc85EKS1_S1_EviT_PT9_S3_lS5_S3_lPT10_S3_li.uses_flat_scratch, 0
	.set _ZL37rocblas_syrkx_herkx_restricted_kernelIl19rocblas_complex_numIfELi16ELi32ELi8ELin1ELi0ELb0ELc84ELc85EKS1_S1_EviT_PT9_S3_lS5_S3_lPT10_S3_li.has_dyn_sized_stack, 0
	.set _ZL37rocblas_syrkx_herkx_restricted_kernelIl19rocblas_complex_numIfELi16ELi32ELi8ELin1ELi0ELb0ELc84ELc85EKS1_S1_EviT_PT9_S3_lS5_S3_lPT10_S3_li.has_recursion, 0
	.set _ZL37rocblas_syrkx_herkx_restricted_kernelIl19rocblas_complex_numIfELi16ELi32ELi8ELin1ELi0ELb0ELc84ELc85EKS1_S1_EviT_PT9_S3_lS5_S3_lPT10_S3_li.has_indirect_call, 0
	.section	.AMDGPU.csdata,"",@progbits
; Kernel info:
; codeLenInByte = 2032
; TotalNumSgprs: 32
; NumVgprs: 41
; ScratchSize: 0
; MemoryBound: 0
; FloatMode: 240
; IeeeMode: 1
; LDSByteSize: 4096 bytes/workgroup (compile time only)
; SGPRBlocks: 3
; VGPRBlocks: 10
; NumSGPRsForWavesPerEU: 32
; NumVGPRsForWavesPerEU: 41
; Occupancy: 5
; WaveLimiterHint : 1
; COMPUTE_PGM_RSRC2:SCRATCH_EN: 0
; COMPUTE_PGM_RSRC2:USER_SGPR: 6
; COMPUTE_PGM_RSRC2:TRAP_HANDLER: 0
; COMPUTE_PGM_RSRC2:TGID_X_EN: 1
; COMPUTE_PGM_RSRC2:TGID_Y_EN: 1
; COMPUTE_PGM_RSRC2:TGID_Z_EN: 1
; COMPUTE_PGM_RSRC2:TIDIG_COMP_CNT: 1
	.section	.text._ZL37rocblas_syrkx_herkx_restricted_kernelIl19rocblas_complex_numIfELi16ELi32ELi8ELin1ELi0ELb0ELc67ELc85EKS1_S1_EviT_PT9_S3_lS5_S3_lPT10_S3_li,"axG",@progbits,_ZL37rocblas_syrkx_herkx_restricted_kernelIl19rocblas_complex_numIfELi16ELi32ELi8ELin1ELi0ELb0ELc67ELc85EKS1_S1_EviT_PT9_S3_lS5_S3_lPT10_S3_li,comdat
	.globl	_ZL37rocblas_syrkx_herkx_restricted_kernelIl19rocblas_complex_numIfELi16ELi32ELi8ELin1ELi0ELb0ELc67ELc85EKS1_S1_EviT_PT9_S3_lS5_S3_lPT10_S3_li ; -- Begin function _ZL37rocblas_syrkx_herkx_restricted_kernelIl19rocblas_complex_numIfELi16ELi32ELi8ELin1ELi0ELb0ELc67ELc85EKS1_S1_EviT_PT9_S3_lS5_S3_lPT10_S3_li
	.p2align	8
	.type	_ZL37rocblas_syrkx_herkx_restricted_kernelIl19rocblas_complex_numIfELi16ELi32ELi8ELin1ELi0ELb0ELc67ELc85EKS1_S1_EviT_PT9_S3_lS5_S3_lPT10_S3_li,@function
_ZL37rocblas_syrkx_herkx_restricted_kernelIl19rocblas_complex_numIfELi16ELi32ELi8ELin1ELi0ELb0ELc67ELc85EKS1_S1_EviT_PT9_S3_lS5_S3_lPT10_S3_li: ; @_ZL37rocblas_syrkx_herkx_restricted_kernelIl19rocblas_complex_numIfELi16ELi32ELi8ELin1ELi0ELb0ELc67ELc85EKS1_S1_EviT_PT9_S3_lS5_S3_lPT10_S3_li
; %bb.0:
	s_load_dwordx16 s[12:27], s[4:5], 0x8
	s_lshl_b32 s2, s6, 5
	s_lshl_b32 s3, s7, 5
	s_waitcnt lgkmcnt(0)
	v_cmp_lt_i64_e64 s[0:1], s[12:13], 1
	s_and_b64 vcc, exec, s[0:1]
	s_cbranch_vccnz .LBB1102_3
; %bb.1:
	v_lshl_add_u32 v4, v1, 4, v0
	v_lshrrev_b32_e32 v6, 3, v4
	v_add_u32_e32 v2, s3, v6
	v_ashrrev_i32_e32 v3, 31, v2
	v_and_b32_e32 v9, 7, v0
	v_mov_b32_e32 v10, 0
	v_mul_lo_u32 v5, s22, v3
	v_mul_lo_u32 v7, s23, v2
	v_mad_u64_u32 v[2:3], s[0:1], s22, v2, v[9:10]
	s_mul_i32 s6, s19, s8
	s_mul_hi_u32 s7, s18, s8
	v_add3_u32 v3, v7, v3, v5
	v_and_b32_e32 v7, 31, v4
	v_lshrrev_b32_e32 v4, 5, v4
	v_lshlrev_b32_e32 v8, 3, v7
	v_lshl_or_b32 v11, v4, 8, v8
	v_lshlrev_b32_e32 v8, 3, v9
	v_lshl_or_b32 v6, v6, 6, v8
	v_add_u32_e32 v12, 0x800, v6
	v_mov_b32_e32 v6, 0x800
	v_lshl_add_u32 v14, v1, 6, v6
	v_add_u32_e32 v6, s2, v7
	v_mov_b32_e32 v5, v10
	v_ashrrev_i32_e32 v7, 31, v6
	v_mul_lo_u32 v7, s16, v7
	v_mad_u64_u32 v[4:5], s[0:1], s16, v6, v[4:5]
	v_mul_lo_u32 v6, s17, v6
	s_add_i32 s1, s7, s6
	s_mul_i32 s0, s18, s8
	s_lshl_b64 s[0:1], s[0:1], 3
	v_add3_u32 v5, v6, v5, v7
	v_lshlrev_b64 v[4:5], 3, v[4:5]
	s_add_u32 s0, s14, s0
	s_addc_u32 s1, s15, s1
	v_mov_b32_e32 v6, s1
	v_add_co_u32_e32 v4, vcc, s0, v4
	s_mul_i32 s0, s25, s8
	s_mul_hi_u32 s1, s24, s8
	s_add_i32 s1, s1, s0
	s_mul_i32 s0, s24, s8
	v_addc_co_u32_e32 v5, vcc, v6, v5, vcc
	s_lshl_b64 s[0:1], s[0:1], 3
	v_add_co_u32_e32 v6, vcc, 4, v4
	v_lshlrev_b64 v[2:3], 3, v[2:3]
	s_add_u32 s0, s20, s0
	v_addc_co_u32_e32 v7, vcc, 0, v5, vcc
	s_addc_u32 s1, s21, s1
	v_mov_b32_e32 v4, s1
	v_add_co_u32_e32 v2, vcc, s0, v2
	v_addc_co_u32_e32 v3, vcc, v4, v3, vcc
	v_add_co_u32_e32 v8, vcc, 4, v2
	v_lshlrev_b32_e32 v13, 3, v0
	v_addc_co_u32_e32 v9, vcc, 0, v3, vcc
	s_mov_b64 s[0:1], 0
	v_mov_b32_e32 v15, v10
	v_mov_b32_e32 v16, v10
	;; [unrolled: 1-line block ×7, first 2 shown]
.LBB1102_2:                             ; =>This Inner Loop Header: Depth=1
	global_load_dwordx2 v[2:3], v[6:7], off offset:-4
	s_add_u32 s0, s0, 8
	v_add_co_u32_e32 v6, vcc, 64, v6
	s_addc_u32 s1, s1, 0
	v_addc_co_u32_e32 v7, vcc, 0, v7, vcc
	s_waitcnt vmcnt(0)
	ds_write_b64 v11, v[2:3]
	global_load_dwordx2 v[2:3], v[8:9], off offset:-4
	v_add_co_u32_e32 v8, vcc, 64, v8
	v_addc_co_u32_e32 v9, vcc, 0, v9, vcc
	s_waitcnt vmcnt(0)
	ds_write_b64 v12, v[2:3]
	s_waitcnt lgkmcnt(0)
	s_barrier
	ds_read_b128 v[22:25], v14
	ds_read_b128 v[26:29], v14 offset:16
	ds_read_b128 v[30:33], v14 offset:32
	;; [unrolled: 1-line block ×3, first 2 shown]
	ds_read2_b64 v[34:37], v13 offset1:16
	s_waitcnt lgkmcnt(0)
	v_mul_f32_e32 v38, v23, v35
	v_mul_f32_e32 v39, v22, v35
	v_fma_f32 v38, v22, v34, -v38
	v_fmac_f32_e32 v39, v23, v34
	v_add_f32_e32 v38, v20, v38
	v_add_f32_e32 v39, v21, v39
	v_mul_f32_e32 v20, v23, v37
	v_mul_f32_e32 v21, v22, v37
	v_fma_f32 v20, v22, v36, -v20
	v_fmac_f32_e32 v21, v23, v36
	v_add_f32_e32 v22, v19, v20
	v_add_f32_e32 v23, v18, v21
	ds_read_b128 v[18:21], v14 offset:1024
	s_waitcnt lgkmcnt(0)
	v_mul_f32_e32 v40, v19, v35
	v_mul_f32_e32 v35, v18, v35
	v_fma_f32 v40, v18, v34, -v40
	v_fmac_f32_e32 v35, v19, v34
	v_add_f32_e32 v34, v17, v40
	v_add_f32_e32 v35, v16, v35
	v_mul_f32_e32 v16, v19, v37
	v_mul_f32_e32 v17, v18, v37
	v_fma_f32 v16, v18, v36, -v16
	v_fmac_f32_e32 v17, v19, v36
	v_add_f32_e32 v19, v15, v16
	v_add_f32_e32 v10, v10, v17
	ds_read2_b64 v[15:18], v13 offset0:32 offset1:48
	s_waitcnt lgkmcnt(0)
	v_mul_f32_e32 v36, v25, v16
	v_fma_f32 v36, v24, v15, -v36
	v_add_f32_e32 v36, v38, v36
	v_mul_f32_e32 v38, v25, v18
	v_mul_f32_e32 v37, v24, v16
	v_fma_f32 v38, v24, v17, -v38
	v_mul_f32_e32 v24, v24, v18
	v_fmac_f32_e32 v24, v25, v17
	v_add_f32_e32 v23, v23, v24
	v_mul_f32_e32 v24, v21, v16
	v_mul_f32_e32 v16, v20, v16
	v_fmac_f32_e32 v16, v21, v15
	v_fmac_f32_e32 v37, v25, v15
	v_fma_f32 v24, v20, v15, -v24
	v_add_f32_e32 v25, v35, v16
	v_mul_f32_e32 v15, v21, v18
	v_mul_f32_e32 v16, v20, v18
	v_fma_f32 v15, v20, v17, -v15
	v_fmac_f32_e32 v16, v21, v17
	v_add_f32_e32 v24, v34, v24
	v_add_f32_e32 v34, v19, v15
	;; [unrolled: 1-line block ×3, first 2 shown]
	ds_read2_b64 v[15:18], v13 offset0:64 offset1:80
	v_add_f32_e32 v37, v39, v37
	v_add_f32_e32 v22, v22, v38
	s_waitcnt lgkmcnt(0)
	v_mul_f32_e32 v19, v27, v16
	v_mul_f32_e32 v20, v26, v16
	v_fma_f32 v19, v26, v15, -v19
	v_fmac_f32_e32 v20, v27, v15
	v_add_f32_e32 v35, v36, v19
	v_add_f32_e32 v36, v37, v20
	v_mul_f32_e32 v19, v27, v18
	v_mul_f32_e32 v20, v26, v18
	v_fma_f32 v19, v26, v17, -v19
	v_fmac_f32_e32 v20, v27, v17
	v_add_f32_e32 v26, v22, v19
	v_add_f32_e32 v23, v23, v20
	ds_read_b128 v[19:22], v14 offset:1040
	s_waitcnt lgkmcnt(0)
	v_mul_f32_e32 v27, v20, v16
	v_mul_f32_e32 v16, v19, v16
	v_fmac_f32_e32 v16, v20, v15
	v_fma_f32 v27, v19, v15, -v27
	v_add_f32_e32 v25, v25, v16
	v_mul_f32_e32 v15, v20, v18
	v_mul_f32_e32 v16, v19, v18
	v_fma_f32 v15, v19, v17, -v15
	v_fmac_f32_e32 v16, v20, v17
	v_add_f32_e32 v19, v34, v15
	v_add_f32_e32 v10, v10, v16
	ds_read2_b64 v[15:18], v13 offset0:96 offset1:112
	v_add_f32_e32 v24, v24, v27
	s_waitcnt lgkmcnt(0)
	v_mul_f32_e32 v20, v29, v16
	v_mul_f32_e32 v34, v29, v18
	v_fma_f32 v20, v28, v15, -v20
	v_mul_f32_e32 v27, v28, v16
	v_fma_f32 v34, v28, v17, -v34
	v_mul_f32_e32 v28, v28, v18
	v_fmac_f32_e32 v28, v29, v17
	v_add_f32_e32 v23, v23, v28
	v_mul_f32_e32 v28, v22, v16
	v_mul_f32_e32 v16, v21, v16
	v_fmac_f32_e32 v16, v22, v15
	v_fmac_f32_e32 v27, v29, v15
	v_fma_f32 v28, v21, v15, -v28
	v_add_f32_e32 v25, v25, v16
	v_mul_f32_e32 v15, v22, v18
	v_mul_f32_e32 v16, v21, v18
	v_fma_f32 v15, v21, v17, -v15
	v_fmac_f32_e32 v16, v22, v17
	v_add_f32_e32 v24, v24, v28
	v_add_f32_e32 v28, v19, v15
	v_add_f32_e32 v10, v10, v16
	ds_read2_b64 v[15:18], v13 offset0:128 offset1:144
	v_add_f32_e32 v20, v35, v20
	v_add_f32_e32 v27, v36, v27
	;; [unrolled: 1-line block ×3, first 2 shown]
	s_waitcnt lgkmcnt(0)
	v_mul_f32_e32 v19, v31, v16
	v_fma_f32 v19, v30, v15, -v19
	v_mul_f32_e32 v21, v30, v16
	v_add_f32_e32 v29, v20, v19
	v_mul_f32_e32 v19, v31, v18
	v_mul_f32_e32 v20, v30, v18
	v_fmac_f32_e32 v21, v31, v15
	v_fma_f32 v19, v30, v17, -v19
	v_fmac_f32_e32 v20, v31, v17
	v_add_f32_e32 v27, v27, v21
	v_add_f32_e32 v26, v26, v19
	;; [unrolled: 1-line block ×3, first 2 shown]
	ds_read_b128 v[19:22], v14 offset:1056
	s_waitcnt lgkmcnt(0)
	v_mul_f32_e32 v30, v20, v16
	v_mul_f32_e32 v16, v19, v16
	v_fmac_f32_e32 v16, v20, v15
	v_fma_f32 v30, v19, v15, -v30
	v_add_f32_e32 v25, v25, v16
	v_mul_f32_e32 v15, v20, v18
	v_mul_f32_e32 v16, v19, v18
	v_fma_f32 v15, v19, v17, -v15
	v_fmac_f32_e32 v16, v20, v17
	v_add_f32_e32 v19, v28, v15
	v_add_f32_e32 v10, v10, v16
	ds_read2_b64 v[15:18], v13 offset0:160 offset1:176
	v_add_f32_e32 v24, v24, v30
	s_waitcnt lgkmcnt(0)
	v_mul_f32_e32 v28, v32, v16
	v_fmac_f32_e32 v28, v33, v15
	v_add_f32_e32 v27, v27, v28
	v_mul_f32_e32 v28, v33, v18
	v_fma_f32 v28, v32, v17, -v28
	v_mul_f32_e32 v20, v33, v16
	v_add_f32_e32 v26, v26, v28
	v_mul_f32_e32 v28, v22, v16
	v_mul_f32_e32 v16, v21, v16
	v_fmac_f32_e32 v16, v22, v15
	v_fma_f32 v20, v32, v15, -v20
	v_fma_f32 v28, v21, v15, -v28
	v_add_f32_e32 v25, v25, v16
	v_mul_f32_e32 v15, v22, v18
	v_mul_f32_e32 v16, v21, v18
	v_add_f32_e32 v20, v29, v20
	v_mul_f32_e32 v29, v32, v18
	v_fma_f32 v15, v21, v17, -v15
	v_fmac_f32_e32 v16, v22, v17
	v_fmac_f32_e32 v29, v33, v17
	v_add_f32_e32 v19, v19, v15
	v_add_f32_e32 v10, v10, v16
	ds_read2_b64 v[15:18], v13 offset0:192 offset1:208
	v_add_f32_e32 v24, v24, v28
	v_add_f32_e32 v23, v23, v29
	s_waitcnt lgkmcnt(0)
	v_mul_f32_e32 v21, v3, v16
	v_fma_f32 v21, v2, v15, -v21
	v_add_f32_e32 v28, v20, v21
	v_mul_f32_e32 v20, v3, v18
	v_mul_f32_e32 v22, v2, v16
	v_fma_f32 v20, v2, v17, -v20
	v_mul_f32_e32 v2, v2, v18
	v_fmac_f32_e32 v22, v3, v15
	v_fmac_f32_e32 v2, v3, v17
	v_add_f32_e32 v29, v27, v22
	v_add_f32_e32 v3, v26, v20
	;; [unrolled: 1-line block ×3, first 2 shown]
	ds_read_b128 v[20:23], v14 offset:1072
	s_waitcnt lgkmcnt(0)
	v_mul_f32_e32 v26, v21, v16
	v_fma_f32 v26, v20, v15, -v26
	v_mul_f32_e32 v16, v20, v16
	v_fmac_f32_e32 v16, v21, v15
	v_add_f32_e32 v15, v24, v26
	v_mul_f32_e32 v24, v21, v18
	v_fma_f32 v24, v20, v17, -v24
	v_add_f32_e32 v16, v25, v16
	v_add_f32_e32 v30, v19, v24
	ds_read2_b64 v[24:27], v13 offset0:224 offset1:240
	v_mul_f32_e32 v18, v20, v18
	v_fmac_f32_e32 v18, v21, v17
	v_add_f32_e32 v10, v10, v18
	s_waitcnt lgkmcnt(0)
	v_mul_f32_e32 v17, v5, v25
	v_fma_f32 v17, v4, v24, -v17
	v_add_f32_e32 v20, v28, v17
	v_mul_f32_e32 v17, v5, v27
	v_mul_f32_e32 v18, v4, v25
	v_fma_f32 v17, v4, v26, -v17
	v_mul_f32_e32 v4, v4, v27
	v_fmac_f32_e32 v18, v5, v24
	v_fmac_f32_e32 v4, v5, v26
	v_add_f32_e32 v21, v29, v18
	v_add_f32_e32 v19, v3, v17
	;; [unrolled: 1-line block ×3, first 2 shown]
	v_mul_f32_e32 v2, v23, v25
	v_mul_f32_e32 v3, v22, v25
	v_fma_f32 v2, v22, v24, -v2
	v_fmac_f32_e32 v3, v23, v24
	v_add_f32_e32 v17, v15, v2
	v_add_f32_e32 v16, v16, v3
	v_mul_f32_e32 v2, v23, v27
	v_mul_f32_e32 v3, v22, v27
	v_fma_f32 v2, v22, v26, -v2
	v_fmac_f32_e32 v3, v23, v26
	v_add_f32_e32 v15, v30, v2
	v_add_f32_e32 v10, v10, v3
	v_mov_b32_e32 v3, s1
	v_mov_b32_e32 v2, s0
	v_cmp_le_u64_e32 vcc, s[12:13], v[2:3]
	s_barrier
	s_cbranch_vccz .LBB1102_2
	s_branch .LBB1102_4
.LBB1102_3:
	v_mov_b32_e32 v20, 0
	v_mov_b32_e32 v21, 0
	;; [unrolled: 1-line block ×8, first 2 shown]
.LBB1102_4:
	s_load_dwordx4 s[12:15], s[4:5], 0x48
	s_load_dword s6, s[4:5], 0x0
	v_add_u32_e32 v4, s3, v1
	v_ashrrev_i32_e32 v1, 31, v4
	v_add_u32_e32 v0, s2, v0
	s_waitcnt lgkmcnt(0)
	s_mul_i32 s1, s15, s8
	s_mul_hi_u32 s3, s14, s8
	s_mul_i32 s0, s14, s8
	v_mul_lo_u32 v3, s12, v1
	v_mul_lo_u32 v5, s13, v4
	v_mad_u64_u32 v[1:2], s[8:9], s12, v4, 0
	s_add_i32 s1, s3, s1
	s_lshl_b64 s[0:1], s[0:1], 3
	v_add3_u32 v2, v2, v3, v5
	s_add_u32 s4, s26, s0
	v_lshlrev_b64 v[1:2], 3, v[1:2]
	s_addc_u32 s5, s27, s1
	v_mov_b32_e32 v3, s5
	v_add_co_u32_e64 v5, s[0:1], s4, v1
	v_addc_co_u32_e64 v6, s[0:1], v3, v2, s[0:1]
	v_cmp_gt_i32_e32 vcc, s6, v4
	v_cmp_le_i32_e64 s[0:1], v0, v4
	s_and_b64 s[0:1], vcc, s[0:1]
	s_and_saveexec_b64 s[2:3], s[0:1]
	s_cbranch_execz .LBB1102_6
; %bb.5:
	v_ashrrev_i32_e32 v1, 31, v0
	v_lshlrev_b64 v[7:8], 3, v[0:1]
	v_xor_b32_e32 v2, 0x80000000, v20
	v_add_co_u32_e64 v7, s[0:1], v5, v7
	v_xor_b32_e32 v3, 0x80000000, v21
	v_addc_co_u32_e64 v8, s[0:1], v6, v8, s[0:1]
	global_store_dwordx2 v[7:8], v[2:3], off
.LBB1102_6:
	s_or_b64 exec, exec, s[2:3]
	v_add_u32_e32 v2, 16, v0
	v_cmp_le_i32_e64 s[0:1], v2, v4
	s_and_b64 s[2:3], vcc, s[0:1]
	s_and_saveexec_b64 s[0:1], s[2:3]
	s_cbranch_execz .LBB1102_8
; %bb.7:
	v_ashrrev_i32_e32 v3, 31, v2
	v_lshlrev_b64 v[11:12], 3, v[2:3]
	v_xor_b32_e32 v7, 0x80000000, v19
	v_add_co_u32_e32 v5, vcc, v5, v11
	v_xor_b32_e32 v8, 0x80000000, v18
	v_addc_co_u32_e32 v6, vcc, v6, v12, vcc
	global_store_dwordx2 v[5:6], v[7:8], off
.LBB1102_8:
	s_or_b64 exec, exec, s[0:1]
	v_add_u32_e32 v3, 16, v4
	v_ashrrev_i32_e32 v1, 31, v3
	v_mul_lo_u32 v1, s12, v1
	v_mul_lo_u32 v6, s13, v3
	v_mad_u64_u32 v[4:5], s[0:1], s12, v3, 0
	v_cmp_gt_i32_e32 vcc, s6, v3
	v_add3_u32 v5, v5, v1, v6
	v_lshlrev_b64 v[4:5], 3, v[4:5]
	v_mov_b32_e32 v1, s5
	v_add_co_u32_e64 v4, s[0:1], s4, v4
	v_addc_co_u32_e64 v5, s[0:1], v1, v5, s[0:1]
	v_cmp_le_i32_e64 s[0:1], v0, v3
	s_and_b64 s[0:1], vcc, s[0:1]
	s_and_saveexec_b64 s[2:3], s[0:1]
	s_cbranch_execz .LBB1102_10
; %bb.9:
	v_ashrrev_i32_e32 v1, 31, v0
	v_lshlrev_b64 v[0:1], 3, v[0:1]
	v_xor_b32_e32 v6, 0x80000000, v17
	v_add_co_u32_e64 v0, s[0:1], v4, v0
	v_xor_b32_e32 v7, 0x80000000, v16
	v_addc_co_u32_e64 v1, s[0:1], v5, v1, s[0:1]
	global_store_dwordx2 v[0:1], v[6:7], off
.LBB1102_10:
	s_or_b64 exec, exec, s[2:3]
	v_cmp_le_i32_e64 s[0:1], v2, v3
	s_and_b64 s[0:1], vcc, s[0:1]
	s_and_saveexec_b64 s[2:3], s[0:1]
	s_cbranch_execz .LBB1102_12
; %bb.11:
	v_ashrrev_i32_e32 v3, 31, v2
	v_lshlrev_b64 v[2:3], 3, v[2:3]
	v_xor_b32_e32 v0, 0x80000000, v15
	v_add_co_u32_e32 v2, vcc, v4, v2
	v_xor_b32_e32 v1, 0x80000000, v10
	v_addc_co_u32_e32 v3, vcc, v5, v3, vcc
	global_store_dwordx2 v[2:3], v[0:1], off
.LBB1102_12:
	s_endpgm
	.section	.rodata,"a",@progbits
	.p2align	6, 0x0
	.amdhsa_kernel _ZL37rocblas_syrkx_herkx_restricted_kernelIl19rocblas_complex_numIfELi16ELi32ELi8ELin1ELi0ELb0ELc67ELc85EKS1_S1_EviT_PT9_S3_lS5_S3_lPT10_S3_li
		.amdhsa_group_segment_fixed_size 4096
		.amdhsa_private_segment_fixed_size 0
		.amdhsa_kernarg_size 92
		.amdhsa_user_sgpr_count 6
		.amdhsa_user_sgpr_private_segment_buffer 1
		.amdhsa_user_sgpr_dispatch_ptr 0
		.amdhsa_user_sgpr_queue_ptr 0
		.amdhsa_user_sgpr_kernarg_segment_ptr 1
		.amdhsa_user_sgpr_dispatch_id 0
		.amdhsa_user_sgpr_flat_scratch_init 0
		.amdhsa_user_sgpr_private_segment_size 0
		.amdhsa_uses_dynamic_stack 0
		.amdhsa_system_sgpr_private_segment_wavefront_offset 0
		.amdhsa_system_sgpr_workgroup_id_x 1
		.amdhsa_system_sgpr_workgroup_id_y 1
		.amdhsa_system_sgpr_workgroup_id_z 1
		.amdhsa_system_sgpr_workgroup_info 0
		.amdhsa_system_vgpr_workitem_id 1
		.amdhsa_next_free_vgpr 41
		.amdhsa_next_free_sgpr 28
		.amdhsa_reserve_vcc 1
		.amdhsa_reserve_flat_scratch 0
		.amdhsa_float_round_mode_32 0
		.amdhsa_float_round_mode_16_64 0
		.amdhsa_float_denorm_mode_32 3
		.amdhsa_float_denorm_mode_16_64 3
		.amdhsa_dx10_clamp 1
		.amdhsa_ieee_mode 1
		.amdhsa_fp16_overflow 0
		.amdhsa_exception_fp_ieee_invalid_op 0
		.amdhsa_exception_fp_denorm_src 0
		.amdhsa_exception_fp_ieee_div_zero 0
		.amdhsa_exception_fp_ieee_overflow 0
		.amdhsa_exception_fp_ieee_underflow 0
		.amdhsa_exception_fp_ieee_inexact 0
		.amdhsa_exception_int_div_zero 0
	.end_amdhsa_kernel
	.section	.text._ZL37rocblas_syrkx_herkx_restricted_kernelIl19rocblas_complex_numIfELi16ELi32ELi8ELin1ELi0ELb0ELc67ELc85EKS1_S1_EviT_PT9_S3_lS5_S3_lPT10_S3_li,"axG",@progbits,_ZL37rocblas_syrkx_herkx_restricted_kernelIl19rocblas_complex_numIfELi16ELi32ELi8ELin1ELi0ELb0ELc67ELc85EKS1_S1_EviT_PT9_S3_lS5_S3_lPT10_S3_li,comdat
.Lfunc_end1102:
	.size	_ZL37rocblas_syrkx_herkx_restricted_kernelIl19rocblas_complex_numIfELi16ELi32ELi8ELin1ELi0ELb0ELc67ELc85EKS1_S1_EviT_PT9_S3_lS5_S3_lPT10_S3_li, .Lfunc_end1102-_ZL37rocblas_syrkx_herkx_restricted_kernelIl19rocblas_complex_numIfELi16ELi32ELi8ELin1ELi0ELb0ELc67ELc85EKS1_S1_EviT_PT9_S3_lS5_S3_lPT10_S3_li
                                        ; -- End function
	.set _ZL37rocblas_syrkx_herkx_restricted_kernelIl19rocblas_complex_numIfELi16ELi32ELi8ELin1ELi0ELb0ELc67ELc85EKS1_S1_EviT_PT9_S3_lS5_S3_lPT10_S3_li.num_vgpr, 41
	.set _ZL37rocblas_syrkx_herkx_restricted_kernelIl19rocblas_complex_numIfELi16ELi32ELi8ELin1ELi0ELb0ELc67ELc85EKS1_S1_EviT_PT9_S3_lS5_S3_lPT10_S3_li.num_agpr, 0
	.set _ZL37rocblas_syrkx_herkx_restricted_kernelIl19rocblas_complex_numIfELi16ELi32ELi8ELin1ELi0ELb0ELc67ELc85EKS1_S1_EviT_PT9_S3_lS5_S3_lPT10_S3_li.numbered_sgpr, 28
	.set _ZL37rocblas_syrkx_herkx_restricted_kernelIl19rocblas_complex_numIfELi16ELi32ELi8ELin1ELi0ELb0ELc67ELc85EKS1_S1_EviT_PT9_S3_lS5_S3_lPT10_S3_li.num_named_barrier, 0
	.set _ZL37rocblas_syrkx_herkx_restricted_kernelIl19rocblas_complex_numIfELi16ELi32ELi8ELin1ELi0ELb0ELc67ELc85EKS1_S1_EviT_PT9_S3_lS5_S3_lPT10_S3_li.private_seg_size, 0
	.set _ZL37rocblas_syrkx_herkx_restricted_kernelIl19rocblas_complex_numIfELi16ELi32ELi8ELin1ELi0ELb0ELc67ELc85EKS1_S1_EviT_PT9_S3_lS5_S3_lPT10_S3_li.uses_vcc, 1
	.set _ZL37rocblas_syrkx_herkx_restricted_kernelIl19rocblas_complex_numIfELi16ELi32ELi8ELin1ELi0ELb0ELc67ELc85EKS1_S1_EviT_PT9_S3_lS5_S3_lPT10_S3_li.uses_flat_scratch, 0
	.set _ZL37rocblas_syrkx_herkx_restricted_kernelIl19rocblas_complex_numIfELi16ELi32ELi8ELin1ELi0ELb0ELc67ELc85EKS1_S1_EviT_PT9_S3_lS5_S3_lPT10_S3_li.has_dyn_sized_stack, 0
	.set _ZL37rocblas_syrkx_herkx_restricted_kernelIl19rocblas_complex_numIfELi16ELi32ELi8ELin1ELi0ELb0ELc67ELc85EKS1_S1_EviT_PT9_S3_lS5_S3_lPT10_S3_li.has_recursion, 0
	.set _ZL37rocblas_syrkx_herkx_restricted_kernelIl19rocblas_complex_numIfELi16ELi32ELi8ELin1ELi0ELb0ELc67ELc85EKS1_S1_EviT_PT9_S3_lS5_S3_lPT10_S3_li.has_indirect_call, 0
	.section	.AMDGPU.csdata,"",@progbits
; Kernel info:
; codeLenInByte = 2032
; TotalNumSgprs: 32
; NumVgprs: 41
; ScratchSize: 0
; MemoryBound: 0
; FloatMode: 240
; IeeeMode: 1
; LDSByteSize: 4096 bytes/workgroup (compile time only)
; SGPRBlocks: 3
; VGPRBlocks: 10
; NumSGPRsForWavesPerEU: 32
; NumVGPRsForWavesPerEU: 41
; Occupancy: 5
; WaveLimiterHint : 1
; COMPUTE_PGM_RSRC2:SCRATCH_EN: 0
; COMPUTE_PGM_RSRC2:USER_SGPR: 6
; COMPUTE_PGM_RSRC2:TRAP_HANDLER: 0
; COMPUTE_PGM_RSRC2:TGID_X_EN: 1
; COMPUTE_PGM_RSRC2:TGID_Y_EN: 1
; COMPUTE_PGM_RSRC2:TGID_Z_EN: 1
; COMPUTE_PGM_RSRC2:TIDIG_COMP_CNT: 1
	.section	.text._ZL37rocblas_syrkx_herkx_restricted_kernelIl19rocblas_complex_numIfELi16ELi32ELi8ELin1ELi0ELb0ELc78ELc85EKS1_S1_EviT_PT9_S3_lS5_S3_lPT10_S3_li,"axG",@progbits,_ZL37rocblas_syrkx_herkx_restricted_kernelIl19rocblas_complex_numIfELi16ELi32ELi8ELin1ELi0ELb0ELc78ELc85EKS1_S1_EviT_PT9_S3_lS5_S3_lPT10_S3_li,comdat
	.globl	_ZL37rocblas_syrkx_herkx_restricted_kernelIl19rocblas_complex_numIfELi16ELi32ELi8ELin1ELi0ELb0ELc78ELc85EKS1_S1_EviT_PT9_S3_lS5_S3_lPT10_S3_li ; -- Begin function _ZL37rocblas_syrkx_herkx_restricted_kernelIl19rocblas_complex_numIfELi16ELi32ELi8ELin1ELi0ELb0ELc78ELc85EKS1_S1_EviT_PT9_S3_lS5_S3_lPT10_S3_li
	.p2align	8
	.type	_ZL37rocblas_syrkx_herkx_restricted_kernelIl19rocblas_complex_numIfELi16ELi32ELi8ELin1ELi0ELb0ELc78ELc85EKS1_S1_EviT_PT9_S3_lS5_S3_lPT10_S3_li,@function
_ZL37rocblas_syrkx_herkx_restricted_kernelIl19rocblas_complex_numIfELi16ELi32ELi8ELin1ELi0ELb0ELc78ELc85EKS1_S1_EviT_PT9_S3_lS5_S3_lPT10_S3_li: ; @_ZL37rocblas_syrkx_herkx_restricted_kernelIl19rocblas_complex_numIfELi16ELi32ELi8ELin1ELi0ELb0ELc78ELc85EKS1_S1_EviT_PT9_S3_lS5_S3_lPT10_S3_li
; %bb.0:
	s_load_dwordx16 s[12:27], s[4:5], 0x8
	s_lshl_b32 s9, s6, 5
	s_lshl_b32 s10, s7, 5
	s_waitcnt lgkmcnt(0)
	v_cmp_lt_i64_e64 s[0:1], s[12:13], 1
	s_and_b64 vcc, exec, s[0:1]
	s_cbranch_vccnz .LBB1103_3
; %bb.1:
	v_lshl_add_u32 v6, v1, 4, v0
	v_lshrrev_b32_e32 v7, 3, v6
	v_add_u32_e32 v2, s10, v7
	v_and_b32_e32 v5, 7, v0
	v_ashrrev_i32_e32 v3, 31, v2
	v_mad_u64_u32 v[2:3], s[0:1], s22, v5, v[2:3]
	v_lshrrev_b32_e32 v8, 5, v6
	s_mul_i32 s2, s19, s8
	v_mad_u64_u32 v[3:4], s[0:1], s23, v5, v[3:4]
	v_and_b32_e32 v4, 31, v6
	v_lshlrev_b32_e32 v5, 3, v5
	v_lshlrev_b32_e32 v6, 3, v4
	v_lshl_or_b32 v5, v7, 6, v5
	v_add_u32_e32 v4, s9, v4
	v_add_u32_e32 v11, 0x800, v5
	v_ashrrev_i32_e32 v5, 31, v4
	v_mad_u64_u32 v[4:5], s[0:1], s16, v8, v[4:5]
	v_lshl_or_b32 v10, v8, 8, v6
	v_mov_b32_e32 v6, 0x800
	v_lshl_add_u32 v13, v1, 6, v6
	v_mad_u64_u32 v[5:6], s[0:1], s17, v8, v[5:6]
	s_mul_hi_u32 s3, s18, s8
	s_add_i32 s1, s3, s2
	s_mul_i32 s0, s18, s8
	s_lshl_b64 s[0:1], s[0:1], 3
	v_lshlrev_b64 v[4:5], 3, v[4:5]
	s_add_u32 s0, s14, s0
	s_addc_u32 s1, s15, s1
	s_mul_i32 s2, s25, s8
	s_mul_hi_u32 s3, s24, s8
	v_mov_b32_e32 v6, s1
	v_add_co_u32_e32 v4, vcc, s0, v4
	s_add_i32 s3, s3, s2
	s_mul_i32 s2, s24, s8
	v_addc_co_u32_e32 v5, vcc, v6, v5, vcc
	s_lshl_b64 s[0:1], s[16:17], 6
	s_lshl_b64 s[2:3], s[2:3], 3
	v_add_co_u32_e32 v6, vcc, 4, v4
	v_lshlrev_b64 v[2:3], 3, v[2:3]
	s_add_u32 s2, s20, s2
	v_addc_co_u32_e32 v7, vcc, 0, v5, vcc
	s_addc_u32 s3, s21, s3
	v_mov_b32_e32 v4, s3
	v_add_co_u32_e32 v2, vcc, s2, v2
	v_addc_co_u32_e32 v3, vcc, v4, v3, vcc
	v_add_co_u32_e32 v8, vcc, 4, v2
	s_lshl_b64 s[2:3], s[22:23], 6
	v_lshlrev_b32_e32 v12, 3, v0
	v_addc_co_u32_e32 v9, vcc, 0, v3, vcc
	v_mov_b32_e32 v16, 0
	s_mov_b64 s[6:7], 0
	v_mov_b32_e32 v14, s1
	v_mov_b32_e32 v15, s3
	;; [unrolled: 1-line block ×9, first 2 shown]
.LBB1103_2:                             ; =>This Inner Loop Header: Depth=1
	global_load_dwordx2 v[2:3], v[6:7], off offset:-4
	v_add_co_u32_e32 v6, vcc, s0, v6
	s_add_u32 s6, s6, 8
	v_addc_co_u32_e32 v7, vcc, v7, v14, vcc
	s_addc_u32 s7, s7, 0
	s_waitcnt vmcnt(0)
	ds_write_b64 v10, v[2:3]
	global_load_dwordx2 v[2:3], v[8:9], off offset:-4
	v_add_co_u32_e32 v8, vcc, s2, v8
	v_addc_co_u32_e32 v9, vcc, v9, v15, vcc
	s_waitcnt vmcnt(0)
	ds_write_b64 v11, v[2:3]
	s_waitcnt lgkmcnt(0)
	s_barrier
	ds_read_b128 v[24:27], v13
	ds_read_b128 v[28:31], v13 offset:16
	ds_read_b128 v[32:35], v13 offset:32
	;; [unrolled: 1-line block ×3, first 2 shown]
	ds_read2_b64 v[36:39], v12 offset1:16
	s_waitcnt lgkmcnt(0)
	v_mul_f32_e32 v40, v25, v37
	v_mul_f32_e32 v41, v24, v37
	v_fma_f32 v40, v24, v36, -v40
	v_fmac_f32_e32 v41, v25, v36
	v_add_f32_e32 v40, v22, v40
	v_add_f32_e32 v41, v23, v41
	v_mul_f32_e32 v22, v25, v39
	v_mul_f32_e32 v23, v24, v39
	v_fma_f32 v22, v24, v38, -v22
	v_fmac_f32_e32 v23, v25, v38
	v_add_f32_e32 v24, v21, v22
	v_add_f32_e32 v25, v20, v23
	ds_read_b128 v[20:23], v13 offset:1024
	s_waitcnt lgkmcnt(0)
	v_mul_f32_e32 v42, v21, v37
	v_mul_f32_e32 v37, v20, v37
	v_fma_f32 v42, v20, v36, -v42
	v_fmac_f32_e32 v37, v21, v36
	v_add_f32_e32 v36, v19, v42
	v_add_f32_e32 v37, v18, v37
	v_mul_f32_e32 v18, v21, v39
	v_mul_f32_e32 v19, v20, v39
	v_fma_f32 v18, v20, v38, -v18
	v_fmac_f32_e32 v19, v21, v38
	v_add_f32_e32 v20, v17, v18
	v_add_f32_e32 v21, v16, v19
	ds_read2_b64 v[16:19], v12 offset0:32 offset1:48
	s_waitcnt lgkmcnt(0)
	v_mul_f32_e32 v38, v27, v17
	v_fma_f32 v38, v26, v16, -v38
	v_add_f32_e32 v38, v40, v38
	v_mul_f32_e32 v40, v27, v19
	v_mul_f32_e32 v39, v26, v17
	v_fma_f32 v40, v26, v18, -v40
	v_mul_f32_e32 v26, v26, v19
	v_fmac_f32_e32 v26, v27, v18
	v_add_f32_e32 v25, v25, v26
	v_mul_f32_e32 v26, v23, v17
	v_mul_f32_e32 v17, v22, v17
	v_fmac_f32_e32 v17, v23, v16
	v_fmac_f32_e32 v39, v27, v16
	v_fma_f32 v26, v22, v16, -v26
	v_add_f32_e32 v27, v37, v17
	v_mul_f32_e32 v16, v23, v19
	v_mul_f32_e32 v17, v22, v19
	v_fma_f32 v16, v22, v18, -v16
	v_fmac_f32_e32 v17, v23, v18
	v_add_f32_e32 v26, v36, v26
	v_add_f32_e32 v36, v20, v16
	;; [unrolled: 1-line block ×3, first 2 shown]
	ds_read2_b64 v[16:19], v12 offset0:64 offset1:80
	v_add_f32_e32 v39, v41, v39
	v_add_f32_e32 v24, v24, v40
	s_waitcnt lgkmcnt(0)
	v_mul_f32_e32 v20, v29, v17
	v_mul_f32_e32 v21, v28, v17
	v_fma_f32 v20, v28, v16, -v20
	v_fmac_f32_e32 v21, v29, v16
	v_add_f32_e32 v38, v38, v20
	v_add_f32_e32 v39, v39, v21
	v_mul_f32_e32 v20, v29, v19
	v_mul_f32_e32 v21, v28, v19
	v_fma_f32 v20, v28, v18, -v20
	v_fmac_f32_e32 v21, v29, v18
	v_add_f32_e32 v24, v24, v20
	v_add_f32_e32 v25, v25, v21
	ds_read_b128 v[20:23], v13 offset:1040
	s_waitcnt lgkmcnt(0)
	v_mul_f32_e32 v28, v21, v17
	v_mul_f32_e32 v17, v20, v17
	v_fmac_f32_e32 v17, v21, v16
	v_fma_f32 v28, v20, v16, -v28
	v_add_f32_e32 v27, v27, v17
	v_mul_f32_e32 v16, v21, v19
	v_mul_f32_e32 v17, v20, v19
	v_fma_f32 v16, v20, v18, -v16
	v_fmac_f32_e32 v17, v21, v18
	v_add_f32_e32 v20, v36, v16
	v_add_f32_e32 v21, v37, v17
	ds_read2_b64 v[16:19], v12 offset0:96 offset1:112
	v_add_f32_e32 v26, v26, v28
	s_waitcnt lgkmcnt(0)
	v_mul_f32_e32 v28, v31, v17
	v_mul_f32_e32 v36, v31, v19
	v_fma_f32 v28, v30, v16, -v28
	v_mul_f32_e32 v29, v30, v17
	v_fma_f32 v36, v30, v18, -v36
	v_mul_f32_e32 v30, v30, v19
	v_fmac_f32_e32 v30, v31, v18
	v_add_f32_e32 v25, v25, v30
	v_mul_f32_e32 v30, v23, v17
	v_mul_f32_e32 v17, v22, v17
	v_fmac_f32_e32 v17, v23, v16
	v_fmac_f32_e32 v29, v31, v16
	v_fma_f32 v30, v22, v16, -v30
	v_add_f32_e32 v27, v27, v17
	v_mul_f32_e32 v16, v23, v19
	v_mul_f32_e32 v17, v22, v19
	v_fma_f32 v16, v22, v18, -v16
	v_fmac_f32_e32 v17, v23, v18
	v_add_f32_e32 v26, v26, v30
	v_add_f32_e32 v30, v20, v16
	;; [unrolled: 1-line block ×3, first 2 shown]
	ds_read2_b64 v[16:19], v12 offset0:128 offset1:144
	v_add_f32_e32 v28, v38, v28
	v_add_f32_e32 v29, v39, v29
	;; [unrolled: 1-line block ×3, first 2 shown]
	s_waitcnt lgkmcnt(0)
	v_mul_f32_e32 v20, v33, v17
	v_mul_f32_e32 v21, v32, v17
	v_fma_f32 v20, v32, v16, -v20
	v_fmac_f32_e32 v21, v33, v16
	v_add_f32_e32 v28, v28, v20
	v_add_f32_e32 v29, v29, v21
	v_mul_f32_e32 v20, v33, v19
	v_mul_f32_e32 v21, v32, v19
	v_fma_f32 v20, v32, v18, -v20
	v_fmac_f32_e32 v21, v33, v18
	v_add_f32_e32 v24, v24, v20
	v_add_f32_e32 v25, v25, v21
	ds_read_b128 v[20:23], v13 offset:1056
	s_waitcnt lgkmcnt(0)
	v_mul_f32_e32 v32, v21, v17
	v_mul_f32_e32 v17, v20, v17
	v_fmac_f32_e32 v17, v21, v16
	v_fma_f32 v32, v20, v16, -v32
	v_add_f32_e32 v27, v27, v17
	v_mul_f32_e32 v16, v21, v19
	v_mul_f32_e32 v17, v20, v19
	v_fma_f32 v16, v20, v18, -v16
	v_fmac_f32_e32 v17, v21, v18
	v_add_f32_e32 v20, v30, v16
	v_add_f32_e32 v21, v31, v17
	ds_read2_b64 v[16:19], v12 offset0:160 offset1:176
	v_add_f32_e32 v26, v26, v32
	s_waitcnt lgkmcnt(0)
	v_mul_f32_e32 v30, v35, v17
	v_fma_f32 v30, v34, v16, -v30
	v_add_f32_e32 v28, v28, v30
	v_mul_f32_e32 v30, v35, v19
	v_fma_f32 v30, v34, v18, -v30
	v_mul_f32_e32 v31, v34, v17
	v_add_f32_e32 v24, v24, v30
	v_mul_f32_e32 v30, v23, v17
	v_mul_f32_e32 v17, v22, v17
	v_fmac_f32_e32 v17, v23, v16
	v_fmac_f32_e32 v31, v35, v16
	v_fma_f32 v30, v22, v16, -v30
	v_add_f32_e32 v27, v27, v17
	v_mul_f32_e32 v16, v23, v19
	v_mul_f32_e32 v17, v22, v19
	v_add_f32_e32 v29, v29, v31
	v_mul_f32_e32 v31, v34, v19
	v_fma_f32 v16, v22, v18, -v16
	v_fmac_f32_e32 v17, v23, v18
	v_fmac_f32_e32 v31, v35, v18
	v_add_f32_e32 v20, v20, v16
	v_add_f32_e32 v21, v21, v17
	ds_read2_b64 v[16:19], v12 offset0:192 offset1:208
	v_add_f32_e32 v26, v26, v30
	v_add_f32_e32 v25, v25, v31
	s_waitcnt lgkmcnt(0)
	v_mul_f32_e32 v22, v3, v17
	v_fma_f32 v22, v2, v16, -v22
	v_add_f32_e32 v30, v28, v22
	v_mul_f32_e32 v22, v3, v19
	v_mul_f32_e32 v23, v2, v17
	v_fma_f32 v22, v2, v18, -v22
	v_mul_f32_e32 v2, v2, v19
	v_fmac_f32_e32 v23, v3, v16
	v_fmac_f32_e32 v2, v3, v18
	v_add_f32_e32 v31, v29, v23
	v_add_f32_e32 v3, v24, v22
	;; [unrolled: 1-line block ×3, first 2 shown]
	ds_read_b128 v[22:25], v13 offset:1072
	s_waitcnt lgkmcnt(0)
	v_mul_f32_e32 v28, v23, v17
	v_fma_f32 v28, v22, v16, -v28
	v_mul_f32_e32 v17, v22, v17
	v_fmac_f32_e32 v17, v23, v16
	v_add_f32_e32 v16, v26, v28
	v_mul_f32_e32 v26, v23, v19
	v_fma_f32 v26, v22, v18, -v26
	v_add_f32_e32 v17, v27, v17
	v_add_f32_e32 v32, v20, v26
	ds_read2_b64 v[26:29], v12 offset0:224 offset1:240
	v_mul_f32_e32 v19, v22, v19
	v_fmac_f32_e32 v19, v23, v18
	v_add_f32_e32 v33, v21, v19
	s_waitcnt lgkmcnt(0)
	v_mul_f32_e32 v18, v5, v27
	v_fma_f32 v18, v4, v26, -v18
	v_add_f32_e32 v22, v30, v18
	v_mul_f32_e32 v18, v5, v29
	v_mul_f32_e32 v19, v4, v27
	v_fma_f32 v18, v4, v28, -v18
	v_mul_f32_e32 v4, v4, v29
	v_fmac_f32_e32 v4, v5, v28
	v_add_f32_e32 v21, v3, v18
	v_add_f32_e32 v20, v2, v4
	v_mul_f32_e32 v2, v25, v27
	v_mul_f32_e32 v3, v24, v27
	v_fmac_f32_e32 v19, v5, v26
	v_fma_f32 v2, v24, v26, -v2
	v_fmac_f32_e32 v3, v25, v26
	v_add_f32_e32 v23, v31, v19
	v_add_f32_e32 v19, v16, v2
	;; [unrolled: 1-line block ×3, first 2 shown]
	v_mul_f32_e32 v2, v25, v29
	v_mul_f32_e32 v3, v24, v29
	v_fma_f32 v2, v24, v28, -v2
	v_fmac_f32_e32 v3, v25, v28
	v_add_f32_e32 v17, v32, v2
	v_add_f32_e32 v16, v33, v3
	v_mov_b32_e32 v2, s6
	v_mov_b32_e32 v3, s7
	v_cmp_le_u64_e32 vcc, s[12:13], v[2:3]
	s_barrier
	s_cbranch_vccz .LBB1103_2
	s_branch .LBB1103_4
.LBB1103_3:
	v_mov_b32_e32 v22, 0
	v_mov_b32_e32 v23, 0
	;; [unrolled: 1-line block ×8, first 2 shown]
.LBB1103_4:
	s_load_dwordx4 s[12:15], s[4:5], 0x48
	s_load_dword s6, s[4:5], 0x0
	v_add_u32_e32 v4, s10, v1
	v_ashrrev_i32_e32 v1, 31, v4
	v_add_u32_e32 v0, s9, v0
	s_waitcnt lgkmcnt(0)
	s_mul_i32 s1, s15, s8
	s_mul_hi_u32 s2, s14, s8
	s_add_i32 s1, s2, s1
	v_mul_lo_u32 v3, s12, v1
	v_mul_lo_u32 v5, s13, v4
	v_mad_u64_u32 v[1:2], s[2:3], s12, v4, 0
	s_mul_i32 s0, s14, s8
	s_lshl_b64 s[0:1], s[0:1], 3
	v_add3_u32 v2, v2, v3, v5
	s_add_u32 s4, s26, s0
	v_lshlrev_b64 v[1:2], 3, v[1:2]
	s_addc_u32 s5, s27, s1
	v_mov_b32_e32 v3, s5
	v_add_co_u32_e64 v5, s[0:1], s4, v1
	v_addc_co_u32_e64 v6, s[0:1], v3, v2, s[0:1]
	v_cmp_gt_i32_e32 vcc, s6, v4
	v_cmp_le_i32_e64 s[0:1], v0, v4
	s_and_b64 s[0:1], vcc, s[0:1]
	s_and_saveexec_b64 s[2:3], s[0:1]
	s_cbranch_execz .LBB1103_6
; %bb.5:
	v_ashrrev_i32_e32 v1, 31, v0
	v_lshlrev_b64 v[7:8], 3, v[0:1]
	v_xor_b32_e32 v2, 0x80000000, v22
	v_add_co_u32_e64 v7, s[0:1], v5, v7
	v_xor_b32_e32 v3, 0x80000000, v23
	v_addc_co_u32_e64 v8, s[0:1], v6, v8, s[0:1]
	global_store_dwordx2 v[7:8], v[2:3], off
.LBB1103_6:
	s_or_b64 exec, exec, s[2:3]
	v_add_u32_e32 v2, 16, v0
	v_cmp_le_i32_e64 s[0:1], v2, v4
	s_and_b64 s[2:3], vcc, s[0:1]
	s_and_saveexec_b64 s[0:1], s[2:3]
	s_cbranch_execz .LBB1103_8
; %bb.7:
	v_ashrrev_i32_e32 v3, 31, v2
	v_lshlrev_b64 v[9:10], 3, v[2:3]
	v_xor_b32_e32 v7, 0x80000000, v21
	v_add_co_u32_e32 v5, vcc, v5, v9
	v_xor_b32_e32 v8, 0x80000000, v20
	v_addc_co_u32_e32 v6, vcc, v6, v10, vcc
	global_store_dwordx2 v[5:6], v[7:8], off
.LBB1103_8:
	s_or_b64 exec, exec, s[0:1]
	v_add_u32_e32 v3, 16, v4
	v_ashrrev_i32_e32 v1, 31, v3
	v_mul_lo_u32 v1, s12, v1
	v_mul_lo_u32 v6, s13, v3
	v_mad_u64_u32 v[4:5], s[0:1], s12, v3, 0
	v_cmp_gt_i32_e32 vcc, s6, v3
	v_add3_u32 v5, v5, v1, v6
	v_lshlrev_b64 v[4:5], 3, v[4:5]
	v_mov_b32_e32 v1, s5
	v_add_co_u32_e64 v4, s[0:1], s4, v4
	v_addc_co_u32_e64 v5, s[0:1], v1, v5, s[0:1]
	v_cmp_le_i32_e64 s[0:1], v0, v3
	s_and_b64 s[0:1], vcc, s[0:1]
	s_and_saveexec_b64 s[2:3], s[0:1]
	s_cbranch_execz .LBB1103_10
; %bb.9:
	v_ashrrev_i32_e32 v1, 31, v0
	v_lshlrev_b64 v[0:1], 3, v[0:1]
	v_xor_b32_e32 v6, 0x80000000, v19
	v_add_co_u32_e64 v0, s[0:1], v4, v0
	v_xor_b32_e32 v7, 0x80000000, v18
	v_addc_co_u32_e64 v1, s[0:1], v5, v1, s[0:1]
	global_store_dwordx2 v[0:1], v[6:7], off
.LBB1103_10:
	s_or_b64 exec, exec, s[2:3]
	v_cmp_le_i32_e64 s[0:1], v2, v3
	s_and_b64 s[0:1], vcc, s[0:1]
	s_and_saveexec_b64 s[2:3], s[0:1]
	s_cbranch_execz .LBB1103_12
; %bb.11:
	v_ashrrev_i32_e32 v3, 31, v2
	v_lshlrev_b64 v[2:3], 3, v[2:3]
	v_xor_b32_e32 v0, 0x80000000, v17
	v_add_co_u32_e32 v2, vcc, v4, v2
	v_xor_b32_e32 v1, 0x80000000, v16
	v_addc_co_u32_e32 v3, vcc, v5, v3, vcc
	global_store_dwordx2 v[2:3], v[0:1], off
.LBB1103_12:
	s_endpgm
	.section	.rodata,"a",@progbits
	.p2align	6, 0x0
	.amdhsa_kernel _ZL37rocblas_syrkx_herkx_restricted_kernelIl19rocblas_complex_numIfELi16ELi32ELi8ELin1ELi0ELb0ELc78ELc85EKS1_S1_EviT_PT9_S3_lS5_S3_lPT10_S3_li
		.amdhsa_group_segment_fixed_size 4096
		.amdhsa_private_segment_fixed_size 0
		.amdhsa_kernarg_size 92
		.amdhsa_user_sgpr_count 6
		.amdhsa_user_sgpr_private_segment_buffer 1
		.amdhsa_user_sgpr_dispatch_ptr 0
		.amdhsa_user_sgpr_queue_ptr 0
		.amdhsa_user_sgpr_kernarg_segment_ptr 1
		.amdhsa_user_sgpr_dispatch_id 0
		.amdhsa_user_sgpr_flat_scratch_init 0
		.amdhsa_user_sgpr_private_segment_size 0
		.amdhsa_uses_dynamic_stack 0
		.amdhsa_system_sgpr_private_segment_wavefront_offset 0
		.amdhsa_system_sgpr_workgroup_id_x 1
		.amdhsa_system_sgpr_workgroup_id_y 1
		.amdhsa_system_sgpr_workgroup_id_z 1
		.amdhsa_system_sgpr_workgroup_info 0
		.amdhsa_system_vgpr_workitem_id 1
		.amdhsa_next_free_vgpr 43
		.amdhsa_next_free_sgpr 28
		.amdhsa_reserve_vcc 1
		.amdhsa_reserve_flat_scratch 0
		.amdhsa_float_round_mode_32 0
		.amdhsa_float_round_mode_16_64 0
		.amdhsa_float_denorm_mode_32 3
		.amdhsa_float_denorm_mode_16_64 3
		.amdhsa_dx10_clamp 1
		.amdhsa_ieee_mode 1
		.amdhsa_fp16_overflow 0
		.amdhsa_exception_fp_ieee_invalid_op 0
		.amdhsa_exception_fp_denorm_src 0
		.amdhsa_exception_fp_ieee_div_zero 0
		.amdhsa_exception_fp_ieee_overflow 0
		.amdhsa_exception_fp_ieee_underflow 0
		.amdhsa_exception_fp_ieee_inexact 0
		.amdhsa_exception_int_div_zero 0
	.end_amdhsa_kernel
	.section	.text._ZL37rocblas_syrkx_herkx_restricted_kernelIl19rocblas_complex_numIfELi16ELi32ELi8ELin1ELi0ELb0ELc78ELc85EKS1_S1_EviT_PT9_S3_lS5_S3_lPT10_S3_li,"axG",@progbits,_ZL37rocblas_syrkx_herkx_restricted_kernelIl19rocblas_complex_numIfELi16ELi32ELi8ELin1ELi0ELb0ELc78ELc85EKS1_S1_EviT_PT9_S3_lS5_S3_lPT10_S3_li,comdat
.Lfunc_end1103:
	.size	_ZL37rocblas_syrkx_herkx_restricted_kernelIl19rocblas_complex_numIfELi16ELi32ELi8ELin1ELi0ELb0ELc78ELc85EKS1_S1_EviT_PT9_S3_lS5_S3_lPT10_S3_li, .Lfunc_end1103-_ZL37rocblas_syrkx_herkx_restricted_kernelIl19rocblas_complex_numIfELi16ELi32ELi8ELin1ELi0ELb0ELc78ELc85EKS1_S1_EviT_PT9_S3_lS5_S3_lPT10_S3_li
                                        ; -- End function
	.set _ZL37rocblas_syrkx_herkx_restricted_kernelIl19rocblas_complex_numIfELi16ELi32ELi8ELin1ELi0ELb0ELc78ELc85EKS1_S1_EviT_PT9_S3_lS5_S3_lPT10_S3_li.num_vgpr, 43
	.set _ZL37rocblas_syrkx_herkx_restricted_kernelIl19rocblas_complex_numIfELi16ELi32ELi8ELin1ELi0ELb0ELc78ELc85EKS1_S1_EviT_PT9_S3_lS5_S3_lPT10_S3_li.num_agpr, 0
	.set _ZL37rocblas_syrkx_herkx_restricted_kernelIl19rocblas_complex_numIfELi16ELi32ELi8ELin1ELi0ELb0ELc78ELc85EKS1_S1_EviT_PT9_S3_lS5_S3_lPT10_S3_li.numbered_sgpr, 28
	.set _ZL37rocblas_syrkx_herkx_restricted_kernelIl19rocblas_complex_numIfELi16ELi32ELi8ELin1ELi0ELb0ELc78ELc85EKS1_S1_EviT_PT9_S3_lS5_S3_lPT10_S3_li.num_named_barrier, 0
	.set _ZL37rocblas_syrkx_herkx_restricted_kernelIl19rocblas_complex_numIfELi16ELi32ELi8ELin1ELi0ELb0ELc78ELc85EKS1_S1_EviT_PT9_S3_lS5_S3_lPT10_S3_li.private_seg_size, 0
	.set _ZL37rocblas_syrkx_herkx_restricted_kernelIl19rocblas_complex_numIfELi16ELi32ELi8ELin1ELi0ELb0ELc78ELc85EKS1_S1_EviT_PT9_S3_lS5_S3_lPT10_S3_li.uses_vcc, 1
	.set _ZL37rocblas_syrkx_herkx_restricted_kernelIl19rocblas_complex_numIfELi16ELi32ELi8ELin1ELi0ELb0ELc78ELc85EKS1_S1_EviT_PT9_S3_lS5_S3_lPT10_S3_li.uses_flat_scratch, 0
	.set _ZL37rocblas_syrkx_herkx_restricted_kernelIl19rocblas_complex_numIfELi16ELi32ELi8ELin1ELi0ELb0ELc78ELc85EKS1_S1_EviT_PT9_S3_lS5_S3_lPT10_S3_li.has_dyn_sized_stack, 0
	.set _ZL37rocblas_syrkx_herkx_restricted_kernelIl19rocblas_complex_numIfELi16ELi32ELi8ELin1ELi0ELb0ELc78ELc85EKS1_S1_EviT_PT9_S3_lS5_S3_lPT10_S3_li.has_recursion, 0
	.set _ZL37rocblas_syrkx_herkx_restricted_kernelIl19rocblas_complex_numIfELi16ELi32ELi8ELin1ELi0ELb0ELc78ELc85EKS1_S1_EviT_PT9_S3_lS5_S3_lPT10_S3_li.has_indirect_call, 0
	.section	.AMDGPU.csdata,"",@progbits
; Kernel info:
; codeLenInByte = 2012
; TotalNumSgprs: 32
; NumVgprs: 43
; ScratchSize: 0
; MemoryBound: 0
; FloatMode: 240
; IeeeMode: 1
; LDSByteSize: 4096 bytes/workgroup (compile time only)
; SGPRBlocks: 3
; VGPRBlocks: 10
; NumSGPRsForWavesPerEU: 32
; NumVGPRsForWavesPerEU: 43
; Occupancy: 5
; WaveLimiterHint : 1
; COMPUTE_PGM_RSRC2:SCRATCH_EN: 0
; COMPUTE_PGM_RSRC2:USER_SGPR: 6
; COMPUTE_PGM_RSRC2:TRAP_HANDLER: 0
; COMPUTE_PGM_RSRC2:TGID_X_EN: 1
; COMPUTE_PGM_RSRC2:TGID_Y_EN: 1
; COMPUTE_PGM_RSRC2:TGID_Z_EN: 1
; COMPUTE_PGM_RSRC2:TIDIG_COMP_CNT: 1
	.section	.text._ZL37rocblas_syrkx_herkx_restricted_kernelIl19rocblas_complex_numIfELi16ELi32ELi8ELb1ELb0ELc84ELc76EKS1_S1_EviT_T0_PT8_S3_lS6_S3_lS4_PT9_S3_li,"axG",@progbits,_ZL37rocblas_syrkx_herkx_restricted_kernelIl19rocblas_complex_numIfELi16ELi32ELi8ELb1ELb0ELc84ELc76EKS1_S1_EviT_T0_PT8_S3_lS6_S3_lS4_PT9_S3_li,comdat
	.globl	_ZL37rocblas_syrkx_herkx_restricted_kernelIl19rocblas_complex_numIfELi16ELi32ELi8ELb1ELb0ELc84ELc76EKS1_S1_EviT_T0_PT8_S3_lS6_S3_lS4_PT9_S3_li ; -- Begin function _ZL37rocblas_syrkx_herkx_restricted_kernelIl19rocblas_complex_numIfELi16ELi32ELi8ELb1ELb0ELc84ELc76EKS1_S1_EviT_T0_PT8_S3_lS6_S3_lS4_PT9_S3_li
	.p2align	8
	.type	_ZL37rocblas_syrkx_herkx_restricted_kernelIl19rocblas_complex_numIfELi16ELi32ELi8ELb1ELb0ELc84ELc76EKS1_S1_EviT_T0_PT8_S3_lS6_S3_lS4_PT9_S3_li,@function
_ZL37rocblas_syrkx_herkx_restricted_kernelIl19rocblas_complex_numIfELi16ELi32ELi8ELb1ELb0ELc84ELc76EKS1_S1_EviT_T0_PT8_S3_lS6_S3_lS4_PT9_S3_li: ; @_ZL37rocblas_syrkx_herkx_restricted_kernelIl19rocblas_complex_numIfELi16ELi32ELi8ELb1ELb0ELc84ELc76EKS1_S1_EviT_T0_PT8_S3_lS6_S3_lS4_PT9_S3_li
; %bb.0:
	s_load_dwordx16 s[12:27], s[4:5], 0x8
	s_lshl_b32 s2, s6, 5
	s_lshl_b32 s3, s7, 5
	s_waitcnt lgkmcnt(0)
	v_cmp_lt_i64_e64 s[0:1], s[12:13], 1
	s_and_b64 vcc, exec, s[0:1]
	s_cbranch_vccnz .LBB1104_3
; %bb.1:
	v_lshl_add_u32 v5, v1, 4, v0
	v_lshrrev_b32_e32 v6, 3, v5
	v_add_u32_e32 v2, s3, v6
	v_and_b32_e32 v9, 7, v0
	v_ashrrev_i32_e32 v3, 31, v2
	v_mov_b32_e32 v10, 0
	v_mul_lo_u32 v7, s24, v3
	v_mul_lo_u32 v8, s25, v2
	v_mad_u64_u32 v[2:3], s[0:1], s24, v2, v[9:10]
	v_and_b32_e32 v15, 31, v5
	v_lshrrev_b32_e32 v4, 5, v5
	v_add3_u32 v3, v8, v3, v7
	v_lshlrev_b32_e32 v7, 3, v15
	v_lshl_or_b32 v11, v4, 8, v7
	v_lshlrev_b32_e32 v7, 3, v9
	v_lshl_or_b32 v6, v6, 6, v7
	v_add_u32_e32 v12, 0x800, v6
	v_mov_b32_e32 v6, 0x800
	v_lshl_add_u32 v14, v1, 6, v6
	v_add_u32_e32 v6, s2, v15
	v_mov_b32_e32 v5, v10
	v_ashrrev_i32_e32 v7, 31, v6
	v_mul_lo_u32 v7, s18, v7
	v_mad_u64_u32 v[4:5], s[0:1], s18, v6, v[4:5]
	v_mul_lo_u32 v6, s19, v6
	s_mul_i32 s6, s21, s8
	s_mul_hi_u32 s7, s20, s8
	s_add_i32 s1, s7, s6
	s_mul_i32 s0, s20, s8
	s_lshl_b64 s[0:1], s[0:1], 3
	v_add3_u32 v5, v6, v5, v7
	v_lshlrev_b64 v[4:5], 3, v[4:5]
	s_add_u32 s0, s16, s0
	s_addc_u32 s1, s17, s1
	v_mov_b32_e32 v6, s1
	v_add_co_u32_e32 v4, vcc, s0, v4
	s_mul_i32 s0, s27, s8
	s_mul_hi_u32 s1, s26, s8
	s_add_i32 s1, s1, s0
	s_mul_i32 s0, s26, s8
	v_addc_co_u32_e32 v5, vcc, v6, v5, vcc
	s_lshl_b64 s[0:1], s[0:1], 3
	v_add_co_u32_e32 v6, vcc, 4, v4
	v_lshlrev_b64 v[2:3], 3, v[2:3]
	s_add_u32 s0, s22, s0
	v_addc_co_u32_e32 v7, vcc, 0, v5, vcc
	s_addc_u32 s1, s23, s1
	v_mov_b32_e32 v4, s1
	v_add_co_u32_e32 v2, vcc, s0, v2
	v_addc_co_u32_e32 v3, vcc, v4, v3, vcc
	v_add_co_u32_e32 v8, vcc, 4, v2
	v_lshlrev_b32_e32 v13, 3, v0
	v_addc_co_u32_e32 v9, vcc, 0, v3, vcc
	s_mov_b64 s[0:1], 0
	v_mov_b32_e32 v15, v10
	v_mov_b32_e32 v17, v10
	v_mov_b32_e32 v16, v10
	v_mov_b32_e32 v19, v10
	v_mov_b32_e32 v18, v10
	v_mov_b32_e32 v21, v10
	v_mov_b32_e32 v20, v10
.LBB1104_2:                             ; =>This Inner Loop Header: Depth=1
	global_load_dwordx2 v[2:3], v[6:7], off offset:-4
	s_add_u32 s0, s0, 8
	v_add_co_u32_e32 v6, vcc, 64, v6
	s_addc_u32 s1, s1, 0
	v_addc_co_u32_e32 v7, vcc, 0, v7, vcc
	s_waitcnt vmcnt(0)
	ds_write_b64 v11, v[2:3]
	global_load_dwordx2 v[2:3], v[8:9], off offset:-4
	v_add_co_u32_e32 v8, vcc, 64, v8
	v_addc_co_u32_e32 v9, vcc, 0, v9, vcc
	s_waitcnt vmcnt(0)
	ds_write_b64 v12, v[2:3]
	s_waitcnt lgkmcnt(0)
	s_barrier
	ds_read_b128 v[22:25], v14
	ds_read_b128 v[26:29], v14 offset:16
	ds_read_b128 v[30:33], v14 offset:32
	;; [unrolled: 1-line block ×3, first 2 shown]
	ds_read2_b64 v[34:37], v13 offset1:16
	s_waitcnt lgkmcnt(0)
	v_mul_f32_e32 v38, v23, v35
	v_mul_f32_e32 v39, v22, v35
	v_fma_f32 v38, v22, v34, -v38
	v_fmac_f32_e32 v39, v23, v34
	v_add_f32_e32 v38, v20, v38
	v_add_f32_e32 v39, v21, v39
	v_mul_f32_e32 v20, v23, v37
	v_mul_f32_e32 v21, v22, v37
	v_fma_f32 v20, v22, v36, -v20
	v_fmac_f32_e32 v21, v23, v36
	v_add_f32_e32 v22, v18, v20
	v_add_f32_e32 v23, v19, v21
	ds_read_b128 v[18:21], v14 offset:1024
	s_waitcnt lgkmcnt(0)
	v_mul_f32_e32 v40, v19, v35
	v_mul_f32_e32 v35, v18, v35
	v_fma_f32 v40, v18, v34, -v40
	v_fmac_f32_e32 v35, v19, v34
	v_add_f32_e32 v34, v16, v40
	v_add_f32_e32 v35, v17, v35
	v_mul_f32_e32 v16, v19, v37
	v_mul_f32_e32 v17, v18, v37
	v_fma_f32 v16, v18, v36, -v16
	v_fmac_f32_e32 v17, v19, v36
	v_add_f32_e32 v19, v15, v16
	v_add_f32_e32 v10, v10, v17
	ds_read2_b64 v[15:18], v13 offset0:32 offset1:48
	s_waitcnt lgkmcnt(0)
	v_mul_f32_e32 v36, v25, v16
	v_fma_f32 v36, v24, v15, -v36
	v_add_f32_e32 v36, v38, v36
	v_mul_f32_e32 v38, v25, v18
	v_mul_f32_e32 v37, v24, v16
	v_fma_f32 v38, v24, v17, -v38
	v_mul_f32_e32 v24, v24, v18
	v_fmac_f32_e32 v24, v25, v17
	v_add_f32_e32 v23, v23, v24
	v_mul_f32_e32 v24, v21, v16
	v_mul_f32_e32 v16, v20, v16
	v_fmac_f32_e32 v16, v21, v15
	v_fmac_f32_e32 v37, v25, v15
	v_fma_f32 v24, v20, v15, -v24
	v_add_f32_e32 v25, v35, v16
	v_mul_f32_e32 v15, v21, v18
	v_mul_f32_e32 v16, v20, v18
	v_fma_f32 v15, v20, v17, -v15
	v_fmac_f32_e32 v16, v21, v17
	v_add_f32_e32 v24, v34, v24
	v_add_f32_e32 v34, v19, v15
	;; [unrolled: 1-line block ×3, first 2 shown]
	ds_read2_b64 v[15:18], v13 offset0:64 offset1:80
	v_add_f32_e32 v37, v39, v37
	v_add_f32_e32 v22, v22, v38
	s_waitcnt lgkmcnt(0)
	v_mul_f32_e32 v19, v27, v16
	v_mul_f32_e32 v20, v26, v16
	v_fma_f32 v19, v26, v15, -v19
	v_fmac_f32_e32 v20, v27, v15
	v_add_f32_e32 v35, v36, v19
	v_add_f32_e32 v36, v37, v20
	v_mul_f32_e32 v19, v27, v18
	v_mul_f32_e32 v20, v26, v18
	v_fma_f32 v19, v26, v17, -v19
	v_fmac_f32_e32 v20, v27, v17
	v_add_f32_e32 v26, v22, v19
	v_add_f32_e32 v23, v23, v20
	ds_read_b128 v[19:22], v14 offset:1040
	s_waitcnt lgkmcnt(0)
	v_mul_f32_e32 v27, v20, v16
	v_mul_f32_e32 v16, v19, v16
	v_fmac_f32_e32 v16, v20, v15
	v_fma_f32 v27, v19, v15, -v27
	v_add_f32_e32 v25, v25, v16
	v_mul_f32_e32 v15, v20, v18
	v_mul_f32_e32 v16, v19, v18
	v_fma_f32 v15, v19, v17, -v15
	v_fmac_f32_e32 v16, v20, v17
	v_add_f32_e32 v19, v34, v15
	v_add_f32_e32 v10, v10, v16
	ds_read2_b64 v[15:18], v13 offset0:96 offset1:112
	v_add_f32_e32 v24, v24, v27
	s_waitcnt lgkmcnt(0)
	v_mul_f32_e32 v20, v29, v16
	v_mul_f32_e32 v34, v29, v18
	v_fma_f32 v20, v28, v15, -v20
	v_mul_f32_e32 v27, v28, v16
	v_fma_f32 v34, v28, v17, -v34
	v_mul_f32_e32 v28, v28, v18
	v_fmac_f32_e32 v28, v29, v17
	v_add_f32_e32 v23, v23, v28
	v_mul_f32_e32 v28, v22, v16
	v_mul_f32_e32 v16, v21, v16
	v_fmac_f32_e32 v16, v22, v15
	v_fmac_f32_e32 v27, v29, v15
	v_fma_f32 v28, v21, v15, -v28
	v_add_f32_e32 v25, v25, v16
	v_mul_f32_e32 v15, v22, v18
	v_mul_f32_e32 v16, v21, v18
	v_fma_f32 v15, v21, v17, -v15
	v_fmac_f32_e32 v16, v22, v17
	v_add_f32_e32 v24, v24, v28
	v_add_f32_e32 v28, v19, v15
	;; [unrolled: 1-line block ×3, first 2 shown]
	ds_read2_b64 v[15:18], v13 offset0:128 offset1:144
	v_add_f32_e32 v20, v35, v20
	v_add_f32_e32 v27, v36, v27
	;; [unrolled: 1-line block ×3, first 2 shown]
	s_waitcnt lgkmcnt(0)
	v_mul_f32_e32 v19, v31, v16
	v_fma_f32 v19, v30, v15, -v19
	v_mul_f32_e32 v21, v30, v16
	v_add_f32_e32 v29, v20, v19
	v_mul_f32_e32 v19, v31, v18
	v_mul_f32_e32 v20, v30, v18
	v_fmac_f32_e32 v21, v31, v15
	v_fma_f32 v19, v30, v17, -v19
	v_fmac_f32_e32 v20, v31, v17
	v_add_f32_e32 v27, v27, v21
	v_add_f32_e32 v26, v26, v19
	;; [unrolled: 1-line block ×3, first 2 shown]
	ds_read_b128 v[19:22], v14 offset:1056
	s_waitcnt lgkmcnt(0)
	v_mul_f32_e32 v30, v20, v16
	v_mul_f32_e32 v16, v19, v16
	v_fmac_f32_e32 v16, v20, v15
	v_fma_f32 v30, v19, v15, -v30
	v_add_f32_e32 v25, v25, v16
	v_mul_f32_e32 v15, v20, v18
	v_mul_f32_e32 v16, v19, v18
	v_fma_f32 v15, v19, v17, -v15
	v_fmac_f32_e32 v16, v20, v17
	v_add_f32_e32 v19, v28, v15
	v_add_f32_e32 v10, v10, v16
	ds_read2_b64 v[15:18], v13 offset0:160 offset1:176
	v_add_f32_e32 v24, v24, v30
	s_waitcnt lgkmcnt(0)
	v_mul_f32_e32 v28, v32, v16
	v_fmac_f32_e32 v28, v33, v15
	v_add_f32_e32 v27, v27, v28
	v_mul_f32_e32 v28, v33, v18
	v_fma_f32 v28, v32, v17, -v28
	v_mul_f32_e32 v20, v33, v16
	v_add_f32_e32 v26, v26, v28
	v_mul_f32_e32 v28, v22, v16
	v_mul_f32_e32 v16, v21, v16
	v_fmac_f32_e32 v16, v22, v15
	v_fma_f32 v20, v32, v15, -v20
	v_fma_f32 v28, v21, v15, -v28
	v_add_f32_e32 v25, v25, v16
	v_mul_f32_e32 v15, v22, v18
	v_mul_f32_e32 v16, v21, v18
	v_add_f32_e32 v20, v29, v20
	v_mul_f32_e32 v29, v32, v18
	v_fma_f32 v15, v21, v17, -v15
	v_fmac_f32_e32 v16, v22, v17
	v_fmac_f32_e32 v29, v33, v17
	v_add_f32_e32 v19, v19, v15
	v_add_f32_e32 v10, v10, v16
	ds_read2_b64 v[15:18], v13 offset0:192 offset1:208
	v_add_f32_e32 v24, v24, v28
	v_add_f32_e32 v23, v23, v29
	s_waitcnt lgkmcnt(0)
	v_mul_f32_e32 v21, v3, v16
	v_fma_f32 v21, v2, v15, -v21
	v_add_f32_e32 v28, v20, v21
	v_mul_f32_e32 v20, v3, v18
	v_mul_f32_e32 v22, v2, v16
	v_fma_f32 v20, v2, v17, -v20
	v_mul_f32_e32 v2, v2, v18
	v_fmac_f32_e32 v22, v3, v15
	v_fmac_f32_e32 v2, v3, v17
	v_add_f32_e32 v29, v27, v22
	v_add_f32_e32 v3, v26, v20
	;; [unrolled: 1-line block ×3, first 2 shown]
	ds_read_b128 v[20:23], v14 offset:1072
	s_waitcnt lgkmcnt(0)
	v_mul_f32_e32 v26, v21, v16
	v_mul_f32_e32 v16, v20, v16
	v_fma_f32 v26, v20, v15, -v26
	v_fmac_f32_e32 v16, v21, v15
	v_add_f32_e32 v15, v24, v26
	v_add_f32_e32 v30, v25, v16
	ds_read2_b64 v[24:27], v13 offset0:224 offset1:240
	v_mul_f32_e32 v16, v21, v18
	v_fma_f32 v16, v20, v17, -v16
	v_add_f32_e32 v31, v19, v16
	v_mul_f32_e32 v18, v20, v18
	s_waitcnt lgkmcnt(0)
	v_mul_f32_e32 v16, v5, v25
	v_fma_f32 v16, v4, v24, -v16
	v_add_f32_e32 v20, v28, v16
	v_mul_f32_e32 v16, v5, v27
	v_fmac_f32_e32 v18, v21, v17
	v_mul_f32_e32 v17, v4, v25
	v_fma_f32 v16, v4, v26, -v16
	v_mul_f32_e32 v4, v4, v27
	v_fmac_f32_e32 v4, v5, v26
	v_add_f32_e32 v10, v10, v18
	v_add_f32_e32 v18, v3, v16
	;; [unrolled: 1-line block ×3, first 2 shown]
	v_mul_f32_e32 v2, v23, v25
	v_mul_f32_e32 v3, v22, v25
	v_fmac_f32_e32 v17, v5, v24
	v_fma_f32 v2, v22, v24, -v2
	v_fmac_f32_e32 v3, v23, v24
	v_add_f32_e32 v21, v29, v17
	v_add_f32_e32 v16, v15, v2
	;; [unrolled: 1-line block ×3, first 2 shown]
	v_mul_f32_e32 v2, v23, v27
	v_mul_f32_e32 v3, v22, v27
	v_fma_f32 v2, v22, v26, -v2
	v_fmac_f32_e32 v3, v23, v26
	v_add_f32_e32 v15, v31, v2
	v_add_f32_e32 v10, v10, v3
	v_mov_b32_e32 v3, s1
	v_mov_b32_e32 v2, s0
	v_cmp_le_u64_e32 vcc, s[12:13], v[2:3]
	s_barrier
	s_cbranch_vccz .LBB1104_2
	s_branch .LBB1104_4
.LBB1104_3:
	v_mov_b32_e32 v20, 0
	v_mov_b32_e32 v21, 0
	;; [unrolled: 1-line block ×8, first 2 shown]
.LBB1104_4:
	s_load_dwordx2 s[0:1], s[4:5], 0x60
	s_load_dword s9, s[4:5], 0x0
	s_load_dwordx4 s[16:19], s[4:5], 0x50
	v_add_u32_e32 v4, s3, v1
	v_ashrrev_i32_e32 v1, 31, v4
	s_waitcnt lgkmcnt(0)
	s_mul_i32 s1, s1, s8
	s_mul_hi_u32 s4, s0, s8
	s_add_i32 s1, s4, s1
	v_mul_lo_u32 v3, s18, v1
	v_mul_lo_u32 v5, s19, v4
	v_mad_u64_u32 v[1:2], s[4:5], s18, v4, 0
	s_mul_i32 s0, s0, s8
	s_lshl_b64 s[0:1], s[0:1], 3
	v_add3_u32 v2, v2, v3, v5
	s_add_u32 s6, s16, s0
	v_lshlrev_b64 v[1:2], 3, v[1:2]
	s_addc_u32 s7, s17, s1
	v_mov_b32_e32 v3, s7
	v_add_co_u32_e32 v5, vcc, s6, v1
	v_add_u32_e32 v0, s2, v0
	v_addc_co_u32_e32 v6, vcc, v3, v2, vcc
	v_cmp_le_i32_e64 s[0:1], v4, v0
	v_cmp_gt_i32_e32 vcc, s9, v0
	s_and_b64 s[0:1], s[0:1], vcc
	s_and_saveexec_b64 s[2:3], s[0:1]
	s_cbranch_execz .LBB1104_6
; %bb.5:
	v_mul_f32_e32 v1, s15, v21
	v_fma_f32 v2, v20, s14, -v1
	v_ashrrev_i32_e32 v1, 31, v0
	v_lshlrev_b64 v[7:8], 3, v[0:1]
	v_mul_f32_e32 v3, s14, v21
	v_add_co_u32_e64 v7, s[0:1], v5, v7
	v_fmac_f32_e32 v3, s15, v20
	v_addc_co_u32_e64 v8, s[0:1], v6, v8, s[0:1]
	global_store_dwordx2 v[7:8], v[2:3], off
.LBB1104_6:
	s_or_b64 exec, exec, s[2:3]
	v_add_u32_e32 v2, 16, v0
	v_cmp_le_i32_e64 s[2:3], v4, v2
	v_cmp_gt_i32_e64 s[0:1], s9, v2
	s_and_b64 s[2:3], s[2:3], s[0:1]
	s_and_saveexec_b64 s[4:5], s[2:3]
	s_cbranch_execz .LBB1104_8
; %bb.7:
	v_ashrrev_i32_e32 v3, 31, v2
	v_lshlrev_b64 v[11:12], 3, v[2:3]
	v_mul_f32_e32 v1, s15, v19
	v_mul_f32_e32 v8, s14, v19
	v_add_co_u32_e64 v5, s[2:3], v5, v11
	v_fma_f32 v7, v18, s14, -v1
	v_fmac_f32_e32 v8, s15, v18
	v_addc_co_u32_e64 v6, s[2:3], v6, v12, s[2:3]
	global_store_dwordx2 v[5:6], v[7:8], off
.LBB1104_8:
	s_or_b64 exec, exec, s[4:5]
	v_add_u32_e32 v3, 16, v4
	v_ashrrev_i32_e32 v1, 31, v3
	v_mul_lo_u32 v6, s19, v3
	v_mad_u64_u32 v[4:5], s[2:3], s18, v3, 0
	v_mul_lo_u32 v1, s18, v1
	v_add3_u32 v5, v5, v1, v6
	v_lshlrev_b64 v[4:5], 3, v[4:5]
	v_mov_b32_e32 v1, s7
	v_add_co_u32_e64 v4, s[2:3], s6, v4
	v_addc_co_u32_e64 v5, s[2:3], v1, v5, s[2:3]
	v_cmp_le_i32_e64 s[2:3], v3, v0
	s_and_b64 s[4:5], s[2:3], vcc
	s_and_saveexec_b64 s[2:3], s[4:5]
	s_cbranch_execz .LBB1104_10
; %bb.9:
	v_mul_f32_e32 v1, s15, v17
	v_fma_f32 v6, v16, s14, -v1
	v_ashrrev_i32_e32 v1, 31, v0
	v_lshlrev_b64 v[0:1], 3, v[0:1]
	v_mul_f32_e32 v7, s14, v17
	v_add_co_u32_e32 v0, vcc, v4, v0
	v_fmac_f32_e32 v7, s15, v16
	v_addc_co_u32_e32 v1, vcc, v5, v1, vcc
	global_store_dwordx2 v[0:1], v[6:7], off
.LBB1104_10:
	s_or_b64 exec, exec, s[2:3]
	v_cmp_le_i32_e32 vcc, v3, v2
	s_and_b64 s[0:1], vcc, s[0:1]
	s_and_saveexec_b64 s[2:3], s[0:1]
	s_cbranch_execz .LBB1104_12
; %bb.11:
	v_ashrrev_i32_e32 v3, 31, v2
	v_lshlrev_b64 v[2:3], 3, v[2:3]
	v_mul_f32_e32 v0, s15, v10
	v_mul_f32_e32 v1, s14, v10
	v_add_co_u32_e32 v2, vcc, v4, v2
	v_fma_f32 v0, v15, s14, -v0
	v_fmac_f32_e32 v1, s15, v15
	v_addc_co_u32_e32 v3, vcc, v5, v3, vcc
	global_store_dwordx2 v[2:3], v[0:1], off
.LBB1104_12:
	s_endpgm
	.section	.rodata,"a",@progbits
	.p2align	6, 0x0
	.amdhsa_kernel _ZL37rocblas_syrkx_herkx_restricted_kernelIl19rocblas_complex_numIfELi16ELi32ELi8ELb1ELb0ELc84ELc76EKS1_S1_EviT_T0_PT8_S3_lS6_S3_lS4_PT9_S3_li
		.amdhsa_group_segment_fixed_size 4096
		.amdhsa_private_segment_fixed_size 0
		.amdhsa_kernarg_size 108
		.amdhsa_user_sgpr_count 6
		.amdhsa_user_sgpr_private_segment_buffer 1
		.amdhsa_user_sgpr_dispatch_ptr 0
		.amdhsa_user_sgpr_queue_ptr 0
		.amdhsa_user_sgpr_kernarg_segment_ptr 1
		.amdhsa_user_sgpr_dispatch_id 0
		.amdhsa_user_sgpr_flat_scratch_init 0
		.amdhsa_user_sgpr_private_segment_size 0
		.amdhsa_uses_dynamic_stack 0
		.amdhsa_system_sgpr_private_segment_wavefront_offset 0
		.amdhsa_system_sgpr_workgroup_id_x 1
		.amdhsa_system_sgpr_workgroup_id_y 1
		.amdhsa_system_sgpr_workgroup_id_z 1
		.amdhsa_system_sgpr_workgroup_info 0
		.amdhsa_system_vgpr_workitem_id 1
		.amdhsa_next_free_vgpr 41
		.amdhsa_next_free_sgpr 28
		.amdhsa_reserve_vcc 1
		.amdhsa_reserve_flat_scratch 0
		.amdhsa_float_round_mode_32 0
		.amdhsa_float_round_mode_16_64 0
		.amdhsa_float_denorm_mode_32 3
		.amdhsa_float_denorm_mode_16_64 3
		.amdhsa_dx10_clamp 1
		.amdhsa_ieee_mode 1
		.amdhsa_fp16_overflow 0
		.amdhsa_exception_fp_ieee_invalid_op 0
		.amdhsa_exception_fp_denorm_src 0
		.amdhsa_exception_fp_ieee_div_zero 0
		.amdhsa_exception_fp_ieee_overflow 0
		.amdhsa_exception_fp_ieee_underflow 0
		.amdhsa_exception_fp_ieee_inexact 0
		.amdhsa_exception_int_div_zero 0
	.end_amdhsa_kernel
	.section	.text._ZL37rocblas_syrkx_herkx_restricted_kernelIl19rocblas_complex_numIfELi16ELi32ELi8ELb1ELb0ELc84ELc76EKS1_S1_EviT_T0_PT8_S3_lS6_S3_lS4_PT9_S3_li,"axG",@progbits,_ZL37rocblas_syrkx_herkx_restricted_kernelIl19rocblas_complex_numIfELi16ELi32ELi8ELb1ELb0ELc84ELc76EKS1_S1_EviT_T0_PT8_S3_lS6_S3_lS4_PT9_S3_li,comdat
.Lfunc_end1104:
	.size	_ZL37rocblas_syrkx_herkx_restricted_kernelIl19rocblas_complex_numIfELi16ELi32ELi8ELb1ELb0ELc84ELc76EKS1_S1_EviT_T0_PT8_S3_lS6_S3_lS4_PT9_S3_li, .Lfunc_end1104-_ZL37rocblas_syrkx_herkx_restricted_kernelIl19rocblas_complex_numIfELi16ELi32ELi8ELb1ELb0ELc84ELc76EKS1_S1_EviT_T0_PT8_S3_lS6_S3_lS4_PT9_S3_li
                                        ; -- End function
	.set _ZL37rocblas_syrkx_herkx_restricted_kernelIl19rocblas_complex_numIfELi16ELi32ELi8ELb1ELb0ELc84ELc76EKS1_S1_EviT_T0_PT8_S3_lS6_S3_lS4_PT9_S3_li.num_vgpr, 41
	.set _ZL37rocblas_syrkx_herkx_restricted_kernelIl19rocblas_complex_numIfELi16ELi32ELi8ELb1ELb0ELc84ELc76EKS1_S1_EviT_T0_PT8_S3_lS6_S3_lS4_PT9_S3_li.num_agpr, 0
	.set _ZL37rocblas_syrkx_herkx_restricted_kernelIl19rocblas_complex_numIfELi16ELi32ELi8ELb1ELb0ELc84ELc76EKS1_S1_EviT_T0_PT8_S3_lS6_S3_lS4_PT9_S3_li.numbered_sgpr, 28
	.set _ZL37rocblas_syrkx_herkx_restricted_kernelIl19rocblas_complex_numIfELi16ELi32ELi8ELb1ELb0ELc84ELc76EKS1_S1_EviT_T0_PT8_S3_lS6_S3_lS4_PT9_S3_li.num_named_barrier, 0
	.set _ZL37rocblas_syrkx_herkx_restricted_kernelIl19rocblas_complex_numIfELi16ELi32ELi8ELb1ELb0ELc84ELc76EKS1_S1_EviT_T0_PT8_S3_lS6_S3_lS4_PT9_S3_li.private_seg_size, 0
	.set _ZL37rocblas_syrkx_herkx_restricted_kernelIl19rocblas_complex_numIfELi16ELi32ELi8ELb1ELb0ELc84ELc76EKS1_S1_EviT_T0_PT8_S3_lS6_S3_lS4_PT9_S3_li.uses_vcc, 1
	.set _ZL37rocblas_syrkx_herkx_restricted_kernelIl19rocblas_complex_numIfELi16ELi32ELi8ELb1ELb0ELc84ELc76EKS1_S1_EviT_T0_PT8_S3_lS6_S3_lS4_PT9_S3_li.uses_flat_scratch, 0
	.set _ZL37rocblas_syrkx_herkx_restricted_kernelIl19rocblas_complex_numIfELi16ELi32ELi8ELb1ELb0ELc84ELc76EKS1_S1_EviT_T0_PT8_S3_lS6_S3_lS4_PT9_S3_li.has_dyn_sized_stack, 0
	.set _ZL37rocblas_syrkx_herkx_restricted_kernelIl19rocblas_complex_numIfELi16ELi32ELi8ELb1ELb0ELc84ELc76EKS1_S1_EviT_T0_PT8_S3_lS6_S3_lS4_PT9_S3_li.has_recursion, 0
	.set _ZL37rocblas_syrkx_herkx_restricted_kernelIl19rocblas_complex_numIfELi16ELi32ELi8ELb1ELb0ELc84ELc76EKS1_S1_EviT_T0_PT8_S3_lS6_S3_lS4_PT9_S3_li.has_indirect_call, 0
	.section	.AMDGPU.csdata,"",@progbits
; Kernel info:
; codeLenInByte = 2048
; TotalNumSgprs: 32
; NumVgprs: 41
; ScratchSize: 0
; MemoryBound: 0
; FloatMode: 240
; IeeeMode: 1
; LDSByteSize: 4096 bytes/workgroup (compile time only)
; SGPRBlocks: 3
; VGPRBlocks: 10
; NumSGPRsForWavesPerEU: 32
; NumVGPRsForWavesPerEU: 41
; Occupancy: 5
; WaveLimiterHint : 1
; COMPUTE_PGM_RSRC2:SCRATCH_EN: 0
; COMPUTE_PGM_RSRC2:USER_SGPR: 6
; COMPUTE_PGM_RSRC2:TRAP_HANDLER: 0
; COMPUTE_PGM_RSRC2:TGID_X_EN: 1
; COMPUTE_PGM_RSRC2:TGID_Y_EN: 1
; COMPUTE_PGM_RSRC2:TGID_Z_EN: 1
; COMPUTE_PGM_RSRC2:TIDIG_COMP_CNT: 1
	.section	.text._ZL37rocblas_syrkx_herkx_restricted_kernelIl19rocblas_complex_numIfELi16ELi32ELi8ELb1ELb0ELc67ELc76EKS1_S1_EviT_T0_PT8_S3_lS6_S3_lS4_PT9_S3_li,"axG",@progbits,_ZL37rocblas_syrkx_herkx_restricted_kernelIl19rocblas_complex_numIfELi16ELi32ELi8ELb1ELb0ELc67ELc76EKS1_S1_EviT_T0_PT8_S3_lS6_S3_lS4_PT9_S3_li,comdat
	.globl	_ZL37rocblas_syrkx_herkx_restricted_kernelIl19rocblas_complex_numIfELi16ELi32ELi8ELb1ELb0ELc67ELc76EKS1_S1_EviT_T0_PT8_S3_lS6_S3_lS4_PT9_S3_li ; -- Begin function _ZL37rocblas_syrkx_herkx_restricted_kernelIl19rocblas_complex_numIfELi16ELi32ELi8ELb1ELb0ELc67ELc76EKS1_S1_EviT_T0_PT8_S3_lS6_S3_lS4_PT9_S3_li
	.p2align	8
	.type	_ZL37rocblas_syrkx_herkx_restricted_kernelIl19rocblas_complex_numIfELi16ELi32ELi8ELb1ELb0ELc67ELc76EKS1_S1_EviT_T0_PT8_S3_lS6_S3_lS4_PT9_S3_li,@function
_ZL37rocblas_syrkx_herkx_restricted_kernelIl19rocblas_complex_numIfELi16ELi32ELi8ELb1ELb0ELc67ELc76EKS1_S1_EviT_T0_PT8_S3_lS6_S3_lS4_PT9_S3_li: ; @_ZL37rocblas_syrkx_herkx_restricted_kernelIl19rocblas_complex_numIfELi16ELi32ELi8ELb1ELb0ELc67ELc76EKS1_S1_EviT_T0_PT8_S3_lS6_S3_lS4_PT9_S3_li
; %bb.0:
	s_load_dwordx16 s[12:27], s[4:5], 0x8
	s_lshl_b32 s2, s6, 5
	s_lshl_b32 s3, s7, 5
	s_waitcnt lgkmcnt(0)
	v_cmp_lt_i64_e64 s[0:1], s[12:13], 1
	s_and_b64 vcc, exec, s[0:1]
	s_cbranch_vccnz .LBB1105_3
; %bb.1:
	v_lshl_add_u32 v5, v1, 4, v0
	v_lshrrev_b32_e32 v6, 3, v5
	v_add_u32_e32 v2, s3, v6
	v_and_b32_e32 v9, 7, v0
	v_ashrrev_i32_e32 v3, 31, v2
	v_mov_b32_e32 v10, 0
	v_mul_lo_u32 v7, s24, v3
	v_mul_lo_u32 v8, s25, v2
	v_mad_u64_u32 v[2:3], s[0:1], s24, v2, v[9:10]
	v_and_b32_e32 v15, 31, v5
	v_lshrrev_b32_e32 v4, 5, v5
	v_add3_u32 v3, v8, v3, v7
	v_lshlrev_b32_e32 v7, 3, v15
	v_lshl_or_b32 v11, v4, 8, v7
	v_lshlrev_b32_e32 v7, 3, v9
	v_lshl_or_b32 v6, v6, 6, v7
	v_add_u32_e32 v12, 0x800, v6
	v_mov_b32_e32 v6, 0x800
	v_lshl_add_u32 v14, v1, 6, v6
	v_add_u32_e32 v6, s2, v15
	v_mov_b32_e32 v5, v10
	v_ashrrev_i32_e32 v7, 31, v6
	v_mul_lo_u32 v7, s18, v7
	v_mad_u64_u32 v[4:5], s[0:1], s18, v6, v[4:5]
	v_mul_lo_u32 v6, s19, v6
	s_mul_i32 s6, s21, s8
	s_mul_hi_u32 s7, s20, s8
	s_add_i32 s1, s7, s6
	s_mul_i32 s0, s20, s8
	s_lshl_b64 s[0:1], s[0:1], 3
	v_add3_u32 v5, v6, v5, v7
	v_lshlrev_b64 v[4:5], 3, v[4:5]
	s_add_u32 s0, s16, s0
	s_addc_u32 s1, s17, s1
	v_mov_b32_e32 v6, s1
	v_add_co_u32_e32 v4, vcc, s0, v4
	s_mul_i32 s0, s27, s8
	s_mul_hi_u32 s1, s26, s8
	s_add_i32 s1, s1, s0
	s_mul_i32 s0, s26, s8
	v_addc_co_u32_e32 v5, vcc, v6, v5, vcc
	s_lshl_b64 s[0:1], s[0:1], 3
	v_add_co_u32_e32 v6, vcc, 4, v4
	v_lshlrev_b64 v[2:3], 3, v[2:3]
	s_add_u32 s0, s22, s0
	v_addc_co_u32_e32 v7, vcc, 0, v5, vcc
	s_addc_u32 s1, s23, s1
	v_mov_b32_e32 v4, s1
	v_add_co_u32_e32 v2, vcc, s0, v2
	v_addc_co_u32_e32 v3, vcc, v4, v3, vcc
	v_add_co_u32_e32 v8, vcc, 4, v2
	v_lshlrev_b32_e32 v13, 3, v0
	v_addc_co_u32_e32 v9, vcc, 0, v3, vcc
	s_mov_b64 s[0:1], 0
	v_mov_b32_e32 v15, v10
	v_mov_b32_e32 v17, v10
	;; [unrolled: 1-line block ×7, first 2 shown]
.LBB1105_2:                             ; =>This Inner Loop Header: Depth=1
	global_load_dwordx2 v[2:3], v[6:7], off offset:-4
	s_add_u32 s0, s0, 8
	v_add_co_u32_e32 v6, vcc, 64, v6
	s_addc_u32 s1, s1, 0
	v_addc_co_u32_e32 v7, vcc, 0, v7, vcc
	s_waitcnt vmcnt(0)
	ds_write_b64 v11, v[2:3]
	global_load_dwordx2 v[2:3], v[8:9], off offset:-4
	v_add_co_u32_e32 v8, vcc, 64, v8
	v_addc_co_u32_e32 v9, vcc, 0, v9, vcc
	s_waitcnt vmcnt(0)
	ds_write_b64 v12, v[2:3]
	s_waitcnt lgkmcnt(0)
	s_barrier
	ds_read_b128 v[22:25], v14
	ds_read_b128 v[26:29], v14 offset:16
	ds_read_b128 v[30:33], v14 offset:32
	;; [unrolled: 1-line block ×3, first 2 shown]
	ds_read2_b64 v[34:37], v13 offset1:16
	s_waitcnt lgkmcnt(0)
	v_mul_f32_e32 v38, v23, v35
	v_mul_f32_e32 v39, v22, v35
	v_fma_f32 v38, v22, v34, -v38
	v_fmac_f32_e32 v39, v23, v34
	v_add_f32_e32 v38, v20, v38
	v_add_f32_e32 v39, v21, v39
	v_mul_f32_e32 v20, v23, v37
	v_mul_f32_e32 v21, v22, v37
	v_fma_f32 v20, v22, v36, -v20
	v_fmac_f32_e32 v21, v23, v36
	v_add_f32_e32 v22, v18, v20
	v_add_f32_e32 v23, v19, v21
	ds_read_b128 v[18:21], v14 offset:1024
	s_waitcnt lgkmcnt(0)
	v_mul_f32_e32 v40, v19, v35
	v_mul_f32_e32 v35, v18, v35
	v_fma_f32 v40, v18, v34, -v40
	v_fmac_f32_e32 v35, v19, v34
	v_add_f32_e32 v34, v16, v40
	v_add_f32_e32 v35, v17, v35
	v_mul_f32_e32 v16, v19, v37
	v_mul_f32_e32 v17, v18, v37
	v_fma_f32 v16, v18, v36, -v16
	v_fmac_f32_e32 v17, v19, v36
	v_add_f32_e32 v19, v15, v16
	v_add_f32_e32 v10, v10, v17
	ds_read2_b64 v[15:18], v13 offset0:32 offset1:48
	s_waitcnt lgkmcnt(0)
	v_mul_f32_e32 v36, v25, v16
	v_fma_f32 v36, v24, v15, -v36
	v_add_f32_e32 v36, v38, v36
	v_mul_f32_e32 v38, v25, v18
	v_mul_f32_e32 v37, v24, v16
	v_fma_f32 v38, v24, v17, -v38
	v_mul_f32_e32 v24, v24, v18
	v_fmac_f32_e32 v24, v25, v17
	v_add_f32_e32 v23, v23, v24
	v_mul_f32_e32 v24, v21, v16
	v_mul_f32_e32 v16, v20, v16
	v_fmac_f32_e32 v16, v21, v15
	v_fmac_f32_e32 v37, v25, v15
	v_fma_f32 v24, v20, v15, -v24
	v_add_f32_e32 v25, v35, v16
	v_mul_f32_e32 v15, v21, v18
	v_mul_f32_e32 v16, v20, v18
	v_fma_f32 v15, v20, v17, -v15
	v_fmac_f32_e32 v16, v21, v17
	v_add_f32_e32 v24, v34, v24
	v_add_f32_e32 v34, v19, v15
	;; [unrolled: 1-line block ×3, first 2 shown]
	ds_read2_b64 v[15:18], v13 offset0:64 offset1:80
	v_add_f32_e32 v37, v39, v37
	v_add_f32_e32 v22, v22, v38
	s_waitcnt lgkmcnt(0)
	v_mul_f32_e32 v19, v27, v16
	v_mul_f32_e32 v20, v26, v16
	v_fma_f32 v19, v26, v15, -v19
	v_fmac_f32_e32 v20, v27, v15
	v_add_f32_e32 v35, v36, v19
	v_add_f32_e32 v36, v37, v20
	v_mul_f32_e32 v19, v27, v18
	v_mul_f32_e32 v20, v26, v18
	v_fma_f32 v19, v26, v17, -v19
	v_fmac_f32_e32 v20, v27, v17
	v_add_f32_e32 v26, v22, v19
	v_add_f32_e32 v23, v23, v20
	ds_read_b128 v[19:22], v14 offset:1040
	s_waitcnt lgkmcnt(0)
	v_mul_f32_e32 v27, v20, v16
	v_mul_f32_e32 v16, v19, v16
	v_fmac_f32_e32 v16, v20, v15
	v_fma_f32 v27, v19, v15, -v27
	v_add_f32_e32 v25, v25, v16
	v_mul_f32_e32 v15, v20, v18
	v_mul_f32_e32 v16, v19, v18
	v_fma_f32 v15, v19, v17, -v15
	v_fmac_f32_e32 v16, v20, v17
	v_add_f32_e32 v19, v34, v15
	v_add_f32_e32 v10, v10, v16
	ds_read2_b64 v[15:18], v13 offset0:96 offset1:112
	v_add_f32_e32 v24, v24, v27
	s_waitcnt lgkmcnt(0)
	v_mul_f32_e32 v20, v29, v16
	v_mul_f32_e32 v34, v29, v18
	v_fma_f32 v20, v28, v15, -v20
	v_mul_f32_e32 v27, v28, v16
	v_fma_f32 v34, v28, v17, -v34
	v_mul_f32_e32 v28, v28, v18
	v_fmac_f32_e32 v28, v29, v17
	v_add_f32_e32 v23, v23, v28
	v_mul_f32_e32 v28, v22, v16
	v_mul_f32_e32 v16, v21, v16
	v_fmac_f32_e32 v16, v22, v15
	v_fmac_f32_e32 v27, v29, v15
	v_fma_f32 v28, v21, v15, -v28
	v_add_f32_e32 v25, v25, v16
	v_mul_f32_e32 v15, v22, v18
	v_mul_f32_e32 v16, v21, v18
	v_fma_f32 v15, v21, v17, -v15
	v_fmac_f32_e32 v16, v22, v17
	v_add_f32_e32 v24, v24, v28
	v_add_f32_e32 v28, v19, v15
	;; [unrolled: 1-line block ×3, first 2 shown]
	ds_read2_b64 v[15:18], v13 offset0:128 offset1:144
	v_add_f32_e32 v20, v35, v20
	v_add_f32_e32 v27, v36, v27
	;; [unrolled: 1-line block ×3, first 2 shown]
	s_waitcnt lgkmcnt(0)
	v_mul_f32_e32 v19, v31, v16
	v_fma_f32 v19, v30, v15, -v19
	v_mul_f32_e32 v21, v30, v16
	v_add_f32_e32 v29, v20, v19
	v_mul_f32_e32 v19, v31, v18
	v_mul_f32_e32 v20, v30, v18
	v_fmac_f32_e32 v21, v31, v15
	v_fma_f32 v19, v30, v17, -v19
	v_fmac_f32_e32 v20, v31, v17
	v_add_f32_e32 v27, v27, v21
	v_add_f32_e32 v26, v26, v19
	;; [unrolled: 1-line block ×3, first 2 shown]
	ds_read_b128 v[19:22], v14 offset:1056
	s_waitcnt lgkmcnt(0)
	v_mul_f32_e32 v30, v20, v16
	v_mul_f32_e32 v16, v19, v16
	v_fmac_f32_e32 v16, v20, v15
	v_fma_f32 v30, v19, v15, -v30
	v_add_f32_e32 v25, v25, v16
	v_mul_f32_e32 v15, v20, v18
	v_mul_f32_e32 v16, v19, v18
	v_fma_f32 v15, v19, v17, -v15
	v_fmac_f32_e32 v16, v20, v17
	v_add_f32_e32 v19, v28, v15
	v_add_f32_e32 v10, v10, v16
	ds_read2_b64 v[15:18], v13 offset0:160 offset1:176
	v_add_f32_e32 v24, v24, v30
	s_waitcnt lgkmcnt(0)
	v_mul_f32_e32 v28, v32, v16
	v_fmac_f32_e32 v28, v33, v15
	v_add_f32_e32 v27, v27, v28
	v_mul_f32_e32 v28, v33, v18
	v_fma_f32 v28, v32, v17, -v28
	v_mul_f32_e32 v20, v33, v16
	v_add_f32_e32 v26, v26, v28
	v_mul_f32_e32 v28, v22, v16
	v_mul_f32_e32 v16, v21, v16
	v_fmac_f32_e32 v16, v22, v15
	v_fma_f32 v20, v32, v15, -v20
	v_fma_f32 v28, v21, v15, -v28
	v_add_f32_e32 v25, v25, v16
	v_mul_f32_e32 v15, v22, v18
	v_mul_f32_e32 v16, v21, v18
	v_add_f32_e32 v20, v29, v20
	v_mul_f32_e32 v29, v32, v18
	v_fma_f32 v15, v21, v17, -v15
	v_fmac_f32_e32 v16, v22, v17
	v_fmac_f32_e32 v29, v33, v17
	v_add_f32_e32 v19, v19, v15
	v_add_f32_e32 v10, v10, v16
	ds_read2_b64 v[15:18], v13 offset0:192 offset1:208
	v_add_f32_e32 v24, v24, v28
	v_add_f32_e32 v23, v23, v29
	s_waitcnt lgkmcnt(0)
	v_mul_f32_e32 v21, v3, v16
	v_fma_f32 v21, v2, v15, -v21
	v_add_f32_e32 v28, v20, v21
	v_mul_f32_e32 v20, v3, v18
	v_mul_f32_e32 v22, v2, v16
	v_fma_f32 v20, v2, v17, -v20
	v_mul_f32_e32 v2, v2, v18
	v_fmac_f32_e32 v22, v3, v15
	v_fmac_f32_e32 v2, v3, v17
	v_add_f32_e32 v29, v27, v22
	v_add_f32_e32 v3, v26, v20
	;; [unrolled: 1-line block ×3, first 2 shown]
	ds_read_b128 v[20:23], v14 offset:1072
	s_waitcnt lgkmcnt(0)
	v_mul_f32_e32 v26, v21, v16
	v_mul_f32_e32 v16, v20, v16
	v_fma_f32 v26, v20, v15, -v26
	v_fmac_f32_e32 v16, v21, v15
	v_add_f32_e32 v15, v24, v26
	v_add_f32_e32 v30, v25, v16
	ds_read2_b64 v[24:27], v13 offset0:224 offset1:240
	v_mul_f32_e32 v16, v21, v18
	v_fma_f32 v16, v20, v17, -v16
	v_add_f32_e32 v31, v19, v16
	v_mul_f32_e32 v18, v20, v18
	s_waitcnt lgkmcnt(0)
	v_mul_f32_e32 v16, v5, v25
	v_fma_f32 v16, v4, v24, -v16
	v_add_f32_e32 v20, v28, v16
	v_mul_f32_e32 v16, v5, v27
	v_fmac_f32_e32 v18, v21, v17
	v_mul_f32_e32 v17, v4, v25
	v_fma_f32 v16, v4, v26, -v16
	v_mul_f32_e32 v4, v4, v27
	v_fmac_f32_e32 v4, v5, v26
	v_add_f32_e32 v10, v10, v18
	v_add_f32_e32 v18, v3, v16
	;; [unrolled: 1-line block ×3, first 2 shown]
	v_mul_f32_e32 v2, v23, v25
	v_mul_f32_e32 v3, v22, v25
	v_fmac_f32_e32 v17, v5, v24
	v_fma_f32 v2, v22, v24, -v2
	v_fmac_f32_e32 v3, v23, v24
	v_add_f32_e32 v21, v29, v17
	v_add_f32_e32 v16, v15, v2
	;; [unrolled: 1-line block ×3, first 2 shown]
	v_mul_f32_e32 v2, v23, v27
	v_mul_f32_e32 v3, v22, v27
	v_fma_f32 v2, v22, v26, -v2
	v_fmac_f32_e32 v3, v23, v26
	v_add_f32_e32 v15, v31, v2
	v_add_f32_e32 v10, v10, v3
	v_mov_b32_e32 v3, s1
	v_mov_b32_e32 v2, s0
	v_cmp_le_u64_e32 vcc, s[12:13], v[2:3]
	s_barrier
	s_cbranch_vccz .LBB1105_2
	s_branch .LBB1105_4
.LBB1105_3:
	v_mov_b32_e32 v20, 0
	v_mov_b32_e32 v21, 0
	;; [unrolled: 1-line block ×8, first 2 shown]
.LBB1105_4:
	s_load_dwordx2 s[0:1], s[4:5], 0x60
	s_load_dword s9, s[4:5], 0x0
	s_load_dwordx4 s[16:19], s[4:5], 0x50
	v_add_u32_e32 v4, s3, v1
	v_ashrrev_i32_e32 v1, 31, v4
	s_waitcnt lgkmcnt(0)
	s_mul_i32 s1, s1, s8
	s_mul_hi_u32 s4, s0, s8
	s_add_i32 s1, s4, s1
	v_mul_lo_u32 v3, s18, v1
	v_mul_lo_u32 v5, s19, v4
	v_mad_u64_u32 v[1:2], s[4:5], s18, v4, 0
	s_mul_i32 s0, s0, s8
	s_lshl_b64 s[0:1], s[0:1], 3
	v_add3_u32 v2, v2, v3, v5
	s_add_u32 s6, s16, s0
	v_lshlrev_b64 v[1:2], 3, v[1:2]
	s_addc_u32 s7, s17, s1
	v_mov_b32_e32 v3, s7
	v_add_co_u32_e32 v5, vcc, s6, v1
	v_add_u32_e32 v0, s2, v0
	v_addc_co_u32_e32 v6, vcc, v3, v2, vcc
	v_cmp_le_i32_e64 s[0:1], v4, v0
	v_cmp_gt_i32_e32 vcc, s9, v0
	s_and_b64 s[0:1], s[0:1], vcc
	s_and_saveexec_b64 s[2:3], s[0:1]
	s_cbranch_execz .LBB1105_6
; %bb.5:
	v_mul_f32_e32 v1, s15, v21
	v_fma_f32 v2, v20, s14, -v1
	v_ashrrev_i32_e32 v1, 31, v0
	v_lshlrev_b64 v[7:8], 3, v[0:1]
	v_mul_f32_e32 v3, s14, v21
	v_add_co_u32_e64 v7, s[0:1], v5, v7
	v_fmac_f32_e32 v3, s15, v20
	v_addc_co_u32_e64 v8, s[0:1], v6, v8, s[0:1]
	global_store_dwordx2 v[7:8], v[2:3], off
.LBB1105_6:
	s_or_b64 exec, exec, s[2:3]
	v_add_u32_e32 v2, 16, v0
	v_cmp_le_i32_e64 s[2:3], v4, v2
	v_cmp_gt_i32_e64 s[0:1], s9, v2
	s_and_b64 s[2:3], s[2:3], s[0:1]
	s_and_saveexec_b64 s[4:5], s[2:3]
	s_cbranch_execz .LBB1105_8
; %bb.7:
	v_ashrrev_i32_e32 v3, 31, v2
	v_lshlrev_b64 v[11:12], 3, v[2:3]
	v_mul_f32_e32 v1, s15, v19
	v_mul_f32_e32 v8, s14, v19
	v_add_co_u32_e64 v5, s[2:3], v5, v11
	v_fma_f32 v7, v18, s14, -v1
	v_fmac_f32_e32 v8, s15, v18
	v_addc_co_u32_e64 v6, s[2:3], v6, v12, s[2:3]
	global_store_dwordx2 v[5:6], v[7:8], off
.LBB1105_8:
	s_or_b64 exec, exec, s[4:5]
	v_add_u32_e32 v3, 16, v4
	v_ashrrev_i32_e32 v1, 31, v3
	v_mul_lo_u32 v6, s19, v3
	v_mad_u64_u32 v[4:5], s[2:3], s18, v3, 0
	v_mul_lo_u32 v1, s18, v1
	v_add3_u32 v5, v5, v1, v6
	v_lshlrev_b64 v[4:5], 3, v[4:5]
	v_mov_b32_e32 v1, s7
	v_add_co_u32_e64 v4, s[2:3], s6, v4
	v_addc_co_u32_e64 v5, s[2:3], v1, v5, s[2:3]
	v_cmp_le_i32_e64 s[2:3], v3, v0
	s_and_b64 s[4:5], s[2:3], vcc
	s_and_saveexec_b64 s[2:3], s[4:5]
	s_cbranch_execz .LBB1105_10
; %bb.9:
	v_mul_f32_e32 v1, s15, v17
	v_fma_f32 v6, v16, s14, -v1
	v_ashrrev_i32_e32 v1, 31, v0
	v_lshlrev_b64 v[0:1], 3, v[0:1]
	v_mul_f32_e32 v7, s14, v17
	v_add_co_u32_e32 v0, vcc, v4, v0
	v_fmac_f32_e32 v7, s15, v16
	v_addc_co_u32_e32 v1, vcc, v5, v1, vcc
	global_store_dwordx2 v[0:1], v[6:7], off
.LBB1105_10:
	s_or_b64 exec, exec, s[2:3]
	v_cmp_le_i32_e32 vcc, v3, v2
	s_and_b64 s[0:1], vcc, s[0:1]
	s_and_saveexec_b64 s[2:3], s[0:1]
	s_cbranch_execz .LBB1105_12
; %bb.11:
	v_ashrrev_i32_e32 v3, 31, v2
	v_lshlrev_b64 v[2:3], 3, v[2:3]
	v_mul_f32_e32 v0, s15, v10
	v_mul_f32_e32 v1, s14, v10
	v_add_co_u32_e32 v2, vcc, v4, v2
	v_fma_f32 v0, v15, s14, -v0
	v_fmac_f32_e32 v1, s15, v15
	v_addc_co_u32_e32 v3, vcc, v5, v3, vcc
	global_store_dwordx2 v[2:3], v[0:1], off
.LBB1105_12:
	s_endpgm
	.section	.rodata,"a",@progbits
	.p2align	6, 0x0
	.amdhsa_kernel _ZL37rocblas_syrkx_herkx_restricted_kernelIl19rocblas_complex_numIfELi16ELi32ELi8ELb1ELb0ELc67ELc76EKS1_S1_EviT_T0_PT8_S3_lS6_S3_lS4_PT9_S3_li
		.amdhsa_group_segment_fixed_size 4096
		.amdhsa_private_segment_fixed_size 0
		.amdhsa_kernarg_size 108
		.amdhsa_user_sgpr_count 6
		.amdhsa_user_sgpr_private_segment_buffer 1
		.amdhsa_user_sgpr_dispatch_ptr 0
		.amdhsa_user_sgpr_queue_ptr 0
		.amdhsa_user_sgpr_kernarg_segment_ptr 1
		.amdhsa_user_sgpr_dispatch_id 0
		.amdhsa_user_sgpr_flat_scratch_init 0
		.amdhsa_user_sgpr_private_segment_size 0
		.amdhsa_uses_dynamic_stack 0
		.amdhsa_system_sgpr_private_segment_wavefront_offset 0
		.amdhsa_system_sgpr_workgroup_id_x 1
		.amdhsa_system_sgpr_workgroup_id_y 1
		.amdhsa_system_sgpr_workgroup_id_z 1
		.amdhsa_system_sgpr_workgroup_info 0
		.amdhsa_system_vgpr_workitem_id 1
		.amdhsa_next_free_vgpr 41
		.amdhsa_next_free_sgpr 28
		.amdhsa_reserve_vcc 1
		.amdhsa_reserve_flat_scratch 0
		.amdhsa_float_round_mode_32 0
		.amdhsa_float_round_mode_16_64 0
		.amdhsa_float_denorm_mode_32 3
		.amdhsa_float_denorm_mode_16_64 3
		.amdhsa_dx10_clamp 1
		.amdhsa_ieee_mode 1
		.amdhsa_fp16_overflow 0
		.amdhsa_exception_fp_ieee_invalid_op 0
		.amdhsa_exception_fp_denorm_src 0
		.amdhsa_exception_fp_ieee_div_zero 0
		.amdhsa_exception_fp_ieee_overflow 0
		.amdhsa_exception_fp_ieee_underflow 0
		.amdhsa_exception_fp_ieee_inexact 0
		.amdhsa_exception_int_div_zero 0
	.end_amdhsa_kernel
	.section	.text._ZL37rocblas_syrkx_herkx_restricted_kernelIl19rocblas_complex_numIfELi16ELi32ELi8ELb1ELb0ELc67ELc76EKS1_S1_EviT_T0_PT8_S3_lS6_S3_lS4_PT9_S3_li,"axG",@progbits,_ZL37rocblas_syrkx_herkx_restricted_kernelIl19rocblas_complex_numIfELi16ELi32ELi8ELb1ELb0ELc67ELc76EKS1_S1_EviT_T0_PT8_S3_lS6_S3_lS4_PT9_S3_li,comdat
.Lfunc_end1105:
	.size	_ZL37rocblas_syrkx_herkx_restricted_kernelIl19rocblas_complex_numIfELi16ELi32ELi8ELb1ELb0ELc67ELc76EKS1_S1_EviT_T0_PT8_S3_lS6_S3_lS4_PT9_S3_li, .Lfunc_end1105-_ZL37rocblas_syrkx_herkx_restricted_kernelIl19rocblas_complex_numIfELi16ELi32ELi8ELb1ELb0ELc67ELc76EKS1_S1_EviT_T0_PT8_S3_lS6_S3_lS4_PT9_S3_li
                                        ; -- End function
	.set _ZL37rocblas_syrkx_herkx_restricted_kernelIl19rocblas_complex_numIfELi16ELi32ELi8ELb1ELb0ELc67ELc76EKS1_S1_EviT_T0_PT8_S3_lS6_S3_lS4_PT9_S3_li.num_vgpr, 41
	.set _ZL37rocblas_syrkx_herkx_restricted_kernelIl19rocblas_complex_numIfELi16ELi32ELi8ELb1ELb0ELc67ELc76EKS1_S1_EviT_T0_PT8_S3_lS6_S3_lS4_PT9_S3_li.num_agpr, 0
	.set _ZL37rocblas_syrkx_herkx_restricted_kernelIl19rocblas_complex_numIfELi16ELi32ELi8ELb1ELb0ELc67ELc76EKS1_S1_EviT_T0_PT8_S3_lS6_S3_lS4_PT9_S3_li.numbered_sgpr, 28
	.set _ZL37rocblas_syrkx_herkx_restricted_kernelIl19rocblas_complex_numIfELi16ELi32ELi8ELb1ELb0ELc67ELc76EKS1_S1_EviT_T0_PT8_S3_lS6_S3_lS4_PT9_S3_li.num_named_barrier, 0
	.set _ZL37rocblas_syrkx_herkx_restricted_kernelIl19rocblas_complex_numIfELi16ELi32ELi8ELb1ELb0ELc67ELc76EKS1_S1_EviT_T0_PT8_S3_lS6_S3_lS4_PT9_S3_li.private_seg_size, 0
	.set _ZL37rocblas_syrkx_herkx_restricted_kernelIl19rocblas_complex_numIfELi16ELi32ELi8ELb1ELb0ELc67ELc76EKS1_S1_EviT_T0_PT8_S3_lS6_S3_lS4_PT9_S3_li.uses_vcc, 1
	.set _ZL37rocblas_syrkx_herkx_restricted_kernelIl19rocblas_complex_numIfELi16ELi32ELi8ELb1ELb0ELc67ELc76EKS1_S1_EviT_T0_PT8_S3_lS6_S3_lS4_PT9_S3_li.uses_flat_scratch, 0
	.set _ZL37rocblas_syrkx_herkx_restricted_kernelIl19rocblas_complex_numIfELi16ELi32ELi8ELb1ELb0ELc67ELc76EKS1_S1_EviT_T0_PT8_S3_lS6_S3_lS4_PT9_S3_li.has_dyn_sized_stack, 0
	.set _ZL37rocblas_syrkx_herkx_restricted_kernelIl19rocblas_complex_numIfELi16ELi32ELi8ELb1ELb0ELc67ELc76EKS1_S1_EviT_T0_PT8_S3_lS6_S3_lS4_PT9_S3_li.has_recursion, 0
	.set _ZL37rocblas_syrkx_herkx_restricted_kernelIl19rocblas_complex_numIfELi16ELi32ELi8ELb1ELb0ELc67ELc76EKS1_S1_EviT_T0_PT8_S3_lS6_S3_lS4_PT9_S3_li.has_indirect_call, 0
	.section	.AMDGPU.csdata,"",@progbits
; Kernel info:
; codeLenInByte = 2048
; TotalNumSgprs: 32
; NumVgprs: 41
; ScratchSize: 0
; MemoryBound: 0
; FloatMode: 240
; IeeeMode: 1
; LDSByteSize: 4096 bytes/workgroup (compile time only)
; SGPRBlocks: 3
; VGPRBlocks: 10
; NumSGPRsForWavesPerEU: 32
; NumVGPRsForWavesPerEU: 41
; Occupancy: 5
; WaveLimiterHint : 1
; COMPUTE_PGM_RSRC2:SCRATCH_EN: 0
; COMPUTE_PGM_RSRC2:USER_SGPR: 6
; COMPUTE_PGM_RSRC2:TRAP_HANDLER: 0
; COMPUTE_PGM_RSRC2:TGID_X_EN: 1
; COMPUTE_PGM_RSRC2:TGID_Y_EN: 1
; COMPUTE_PGM_RSRC2:TGID_Z_EN: 1
; COMPUTE_PGM_RSRC2:TIDIG_COMP_CNT: 1
	.section	.text._ZL37rocblas_syrkx_herkx_restricted_kernelIl19rocblas_complex_numIfELi16ELi32ELi8ELb1ELb0ELc78ELc76EKS1_S1_EviT_T0_PT8_S3_lS6_S3_lS4_PT9_S3_li,"axG",@progbits,_ZL37rocblas_syrkx_herkx_restricted_kernelIl19rocblas_complex_numIfELi16ELi32ELi8ELb1ELb0ELc78ELc76EKS1_S1_EviT_T0_PT8_S3_lS6_S3_lS4_PT9_S3_li,comdat
	.globl	_ZL37rocblas_syrkx_herkx_restricted_kernelIl19rocblas_complex_numIfELi16ELi32ELi8ELb1ELb0ELc78ELc76EKS1_S1_EviT_T0_PT8_S3_lS6_S3_lS4_PT9_S3_li ; -- Begin function _ZL37rocblas_syrkx_herkx_restricted_kernelIl19rocblas_complex_numIfELi16ELi32ELi8ELb1ELb0ELc78ELc76EKS1_S1_EviT_T0_PT8_S3_lS6_S3_lS4_PT9_S3_li
	.p2align	8
	.type	_ZL37rocblas_syrkx_herkx_restricted_kernelIl19rocblas_complex_numIfELi16ELi32ELi8ELb1ELb0ELc78ELc76EKS1_S1_EviT_T0_PT8_S3_lS6_S3_lS4_PT9_S3_li,@function
_ZL37rocblas_syrkx_herkx_restricted_kernelIl19rocblas_complex_numIfELi16ELi32ELi8ELb1ELb0ELc78ELc76EKS1_S1_EviT_T0_PT8_S3_lS6_S3_lS4_PT9_S3_li: ; @_ZL37rocblas_syrkx_herkx_restricted_kernelIl19rocblas_complex_numIfELi16ELi32ELi8ELb1ELb0ELc78ELc76EKS1_S1_EviT_T0_PT8_S3_lS6_S3_lS4_PT9_S3_li
; %bb.0:
	s_load_dwordx16 s[12:27], s[4:5], 0x8
	s_lshl_b32 s9, s6, 5
	s_lshl_b32 s10, s7, 5
	s_waitcnt lgkmcnt(0)
	v_cmp_lt_i64_e64 s[0:1], s[12:13], 1
	s_and_b64 vcc, exec, s[0:1]
	s_cbranch_vccnz .LBB1106_3
; %bb.1:
	v_lshl_add_u32 v5, v1, 4, v0
	v_lshrrev_b32_e32 v6, 3, v5
	v_add_u32_e32 v2, s10, v6
	v_and_b32_e32 v7, 7, v0
	v_ashrrev_i32_e32 v3, 31, v2
	v_mad_u64_u32 v[2:3], s[0:1], s24, v7, v[2:3]
	v_lshrrev_b32_e32 v8, 5, v5
	s_mul_i32 s2, s21, s8
	v_mad_u64_u32 v[3:4], s[0:1], s25, v7, v[3:4]
	v_and_b32_e32 v4, 31, v5
	v_lshlrev_b32_e32 v5, 3, v4
	v_lshl_or_b32 v10, v8, 8, v5
	v_lshlrev_b32_e32 v5, 3, v7
	v_lshl_or_b32 v5, v6, 6, v5
	v_add_u32_e32 v4, s9, v4
	v_add_u32_e32 v11, 0x800, v5
	v_ashrrev_i32_e32 v5, 31, v4
	v_mad_u64_u32 v[4:5], s[0:1], s18, v8, v[4:5]
	v_mov_b32_e32 v6, 0x800
	v_lshl_add_u32 v13, v1, 6, v6
	v_mad_u64_u32 v[5:6], s[0:1], s19, v8, v[5:6]
	s_mul_hi_u32 s3, s20, s8
	s_add_i32 s1, s3, s2
	s_mul_i32 s0, s20, s8
	s_lshl_b64 s[0:1], s[0:1], 3
	v_lshlrev_b64 v[4:5], 3, v[4:5]
	s_add_u32 s0, s16, s0
	s_addc_u32 s1, s17, s1
	s_mul_i32 s2, s27, s8
	s_mul_hi_u32 s3, s26, s8
	v_mov_b32_e32 v6, s1
	v_add_co_u32_e32 v4, vcc, s0, v4
	s_add_i32 s3, s3, s2
	s_mul_i32 s2, s26, s8
	v_addc_co_u32_e32 v5, vcc, v6, v5, vcc
	s_lshl_b64 s[0:1], s[18:19], 6
	s_lshl_b64 s[2:3], s[2:3], 3
	v_add_co_u32_e32 v6, vcc, 4, v4
	v_lshlrev_b64 v[2:3], 3, v[2:3]
	s_add_u32 s2, s22, s2
	v_addc_co_u32_e32 v7, vcc, 0, v5, vcc
	s_addc_u32 s3, s23, s3
	v_mov_b32_e32 v4, s3
	v_add_co_u32_e32 v2, vcc, s2, v2
	v_addc_co_u32_e32 v3, vcc, v4, v3, vcc
	v_add_co_u32_e32 v8, vcc, 4, v2
	s_lshl_b64 s[2:3], s[24:25], 6
	v_lshlrev_b32_e32 v12, 3, v0
	v_addc_co_u32_e32 v9, vcc, 0, v3, vcc
	v_mov_b32_e32 v16, 0
	s_mov_b64 s[6:7], 0
	v_mov_b32_e32 v14, s1
	v_mov_b32_e32 v15, s3
	v_mov_b32_e32 v17, 0
	v_mov_b32_e32 v19, 0
	v_mov_b32_e32 v18, 0
	v_mov_b32_e32 v21, 0
	v_mov_b32_e32 v20, 0
	v_mov_b32_e32 v23, 0
	v_mov_b32_e32 v22, 0
.LBB1106_2:                             ; =>This Inner Loop Header: Depth=1
	global_load_dwordx2 v[2:3], v[6:7], off offset:-4
	v_add_co_u32_e32 v6, vcc, s0, v6
	s_add_u32 s6, s6, 8
	v_addc_co_u32_e32 v7, vcc, v7, v14, vcc
	s_addc_u32 s7, s7, 0
	s_waitcnt vmcnt(0)
	ds_write_b64 v10, v[2:3]
	global_load_dwordx2 v[2:3], v[8:9], off offset:-4
	v_add_co_u32_e32 v8, vcc, s2, v8
	v_addc_co_u32_e32 v9, vcc, v9, v15, vcc
	s_waitcnt vmcnt(0)
	ds_write_b64 v11, v[2:3]
	s_waitcnt lgkmcnt(0)
	s_barrier
	ds_read_b128 v[24:27], v13
	ds_read_b128 v[28:31], v13 offset:16
	ds_read_b128 v[32:35], v13 offset:32
	;; [unrolled: 1-line block ×3, first 2 shown]
	ds_read2_b64 v[36:39], v12 offset1:16
	s_waitcnt lgkmcnt(0)
	v_mul_f32_e32 v40, v25, v37
	v_mul_f32_e32 v41, v24, v37
	v_fma_f32 v40, v24, v36, -v40
	v_fmac_f32_e32 v41, v25, v36
	v_add_f32_e32 v40, v22, v40
	v_add_f32_e32 v41, v23, v41
	v_mul_f32_e32 v22, v25, v39
	v_mul_f32_e32 v23, v24, v39
	v_fma_f32 v22, v24, v38, -v22
	v_fmac_f32_e32 v23, v25, v38
	v_add_f32_e32 v24, v20, v22
	v_add_f32_e32 v25, v21, v23
	ds_read_b128 v[20:23], v13 offset:1024
	s_waitcnt lgkmcnt(0)
	v_mul_f32_e32 v42, v21, v37
	v_mul_f32_e32 v37, v20, v37
	v_fma_f32 v42, v20, v36, -v42
	v_fmac_f32_e32 v37, v21, v36
	v_add_f32_e32 v36, v18, v42
	v_add_f32_e32 v37, v19, v37
	v_mul_f32_e32 v18, v21, v39
	v_mul_f32_e32 v19, v20, v39
	v_fma_f32 v18, v20, v38, -v18
	v_fmac_f32_e32 v19, v21, v38
	v_add_f32_e32 v20, v17, v18
	v_add_f32_e32 v21, v16, v19
	ds_read2_b64 v[16:19], v12 offset0:32 offset1:48
	s_waitcnt lgkmcnt(0)
	v_mul_f32_e32 v38, v27, v17
	v_fma_f32 v38, v26, v16, -v38
	v_add_f32_e32 v38, v40, v38
	v_mul_f32_e32 v40, v27, v19
	v_mul_f32_e32 v39, v26, v17
	v_fma_f32 v40, v26, v18, -v40
	v_mul_f32_e32 v26, v26, v19
	v_fmac_f32_e32 v26, v27, v18
	v_add_f32_e32 v25, v25, v26
	v_mul_f32_e32 v26, v23, v17
	v_mul_f32_e32 v17, v22, v17
	v_fmac_f32_e32 v17, v23, v16
	v_fmac_f32_e32 v39, v27, v16
	v_fma_f32 v26, v22, v16, -v26
	v_add_f32_e32 v27, v37, v17
	v_mul_f32_e32 v16, v23, v19
	v_mul_f32_e32 v17, v22, v19
	v_fma_f32 v16, v22, v18, -v16
	v_fmac_f32_e32 v17, v23, v18
	v_add_f32_e32 v26, v36, v26
	v_add_f32_e32 v36, v20, v16
	;; [unrolled: 1-line block ×3, first 2 shown]
	ds_read2_b64 v[16:19], v12 offset0:64 offset1:80
	v_add_f32_e32 v39, v41, v39
	v_add_f32_e32 v24, v24, v40
	s_waitcnt lgkmcnt(0)
	v_mul_f32_e32 v20, v29, v17
	v_mul_f32_e32 v21, v28, v17
	v_fma_f32 v20, v28, v16, -v20
	v_fmac_f32_e32 v21, v29, v16
	v_add_f32_e32 v38, v38, v20
	v_add_f32_e32 v39, v39, v21
	v_mul_f32_e32 v20, v29, v19
	v_mul_f32_e32 v21, v28, v19
	v_fma_f32 v20, v28, v18, -v20
	v_fmac_f32_e32 v21, v29, v18
	v_add_f32_e32 v24, v24, v20
	v_add_f32_e32 v25, v25, v21
	ds_read_b128 v[20:23], v13 offset:1040
	s_waitcnt lgkmcnt(0)
	v_mul_f32_e32 v28, v21, v17
	v_mul_f32_e32 v17, v20, v17
	v_fmac_f32_e32 v17, v21, v16
	v_fma_f32 v28, v20, v16, -v28
	v_add_f32_e32 v27, v27, v17
	v_mul_f32_e32 v16, v21, v19
	v_mul_f32_e32 v17, v20, v19
	v_fma_f32 v16, v20, v18, -v16
	v_fmac_f32_e32 v17, v21, v18
	v_add_f32_e32 v20, v36, v16
	v_add_f32_e32 v21, v37, v17
	ds_read2_b64 v[16:19], v12 offset0:96 offset1:112
	v_add_f32_e32 v26, v26, v28
	s_waitcnt lgkmcnt(0)
	v_mul_f32_e32 v28, v31, v17
	v_mul_f32_e32 v36, v31, v19
	v_fma_f32 v28, v30, v16, -v28
	v_mul_f32_e32 v29, v30, v17
	v_fma_f32 v36, v30, v18, -v36
	v_mul_f32_e32 v30, v30, v19
	v_fmac_f32_e32 v30, v31, v18
	v_add_f32_e32 v25, v25, v30
	v_mul_f32_e32 v30, v23, v17
	v_mul_f32_e32 v17, v22, v17
	v_fmac_f32_e32 v17, v23, v16
	v_fmac_f32_e32 v29, v31, v16
	v_fma_f32 v30, v22, v16, -v30
	v_add_f32_e32 v27, v27, v17
	v_mul_f32_e32 v16, v23, v19
	v_mul_f32_e32 v17, v22, v19
	v_fma_f32 v16, v22, v18, -v16
	v_fmac_f32_e32 v17, v23, v18
	v_add_f32_e32 v26, v26, v30
	v_add_f32_e32 v30, v20, v16
	;; [unrolled: 1-line block ×3, first 2 shown]
	ds_read2_b64 v[16:19], v12 offset0:128 offset1:144
	v_add_f32_e32 v28, v38, v28
	v_add_f32_e32 v29, v39, v29
	;; [unrolled: 1-line block ×3, first 2 shown]
	s_waitcnt lgkmcnt(0)
	v_mul_f32_e32 v20, v33, v17
	v_mul_f32_e32 v21, v32, v17
	v_fma_f32 v20, v32, v16, -v20
	v_fmac_f32_e32 v21, v33, v16
	v_add_f32_e32 v28, v28, v20
	v_add_f32_e32 v29, v29, v21
	v_mul_f32_e32 v20, v33, v19
	v_mul_f32_e32 v21, v32, v19
	v_fma_f32 v20, v32, v18, -v20
	v_fmac_f32_e32 v21, v33, v18
	v_add_f32_e32 v24, v24, v20
	v_add_f32_e32 v25, v25, v21
	ds_read_b128 v[20:23], v13 offset:1056
	s_waitcnt lgkmcnt(0)
	v_mul_f32_e32 v32, v21, v17
	v_mul_f32_e32 v17, v20, v17
	v_fmac_f32_e32 v17, v21, v16
	v_fma_f32 v32, v20, v16, -v32
	v_add_f32_e32 v27, v27, v17
	v_mul_f32_e32 v16, v21, v19
	v_mul_f32_e32 v17, v20, v19
	v_fma_f32 v16, v20, v18, -v16
	v_fmac_f32_e32 v17, v21, v18
	v_add_f32_e32 v20, v30, v16
	v_add_f32_e32 v21, v31, v17
	ds_read2_b64 v[16:19], v12 offset0:160 offset1:176
	v_add_f32_e32 v26, v26, v32
	s_waitcnt lgkmcnt(0)
	v_mul_f32_e32 v30, v35, v17
	v_fma_f32 v30, v34, v16, -v30
	v_add_f32_e32 v28, v28, v30
	v_mul_f32_e32 v30, v35, v19
	v_fma_f32 v30, v34, v18, -v30
	v_mul_f32_e32 v31, v34, v17
	v_add_f32_e32 v24, v24, v30
	v_mul_f32_e32 v30, v23, v17
	v_mul_f32_e32 v17, v22, v17
	v_fmac_f32_e32 v17, v23, v16
	v_fmac_f32_e32 v31, v35, v16
	v_fma_f32 v30, v22, v16, -v30
	v_add_f32_e32 v27, v27, v17
	v_mul_f32_e32 v16, v23, v19
	v_mul_f32_e32 v17, v22, v19
	v_add_f32_e32 v29, v29, v31
	v_mul_f32_e32 v31, v34, v19
	v_fma_f32 v16, v22, v18, -v16
	v_fmac_f32_e32 v17, v23, v18
	v_fmac_f32_e32 v31, v35, v18
	v_add_f32_e32 v20, v20, v16
	v_add_f32_e32 v21, v21, v17
	ds_read2_b64 v[16:19], v12 offset0:192 offset1:208
	v_add_f32_e32 v26, v26, v30
	v_add_f32_e32 v25, v25, v31
	s_waitcnt lgkmcnt(0)
	v_mul_f32_e32 v22, v3, v17
	v_fma_f32 v22, v2, v16, -v22
	v_add_f32_e32 v30, v28, v22
	v_mul_f32_e32 v22, v3, v19
	v_mul_f32_e32 v23, v2, v17
	v_fma_f32 v22, v2, v18, -v22
	v_mul_f32_e32 v2, v2, v19
	v_fmac_f32_e32 v23, v3, v16
	v_fmac_f32_e32 v2, v3, v18
	v_add_f32_e32 v31, v29, v23
	v_add_f32_e32 v3, v24, v22
	v_add_f32_e32 v2, v25, v2
	ds_read_b128 v[22:25], v13 offset:1072
	s_waitcnt lgkmcnt(0)
	v_mul_f32_e32 v28, v23, v17
	v_fma_f32 v28, v22, v16, -v28
	v_mul_f32_e32 v17, v22, v17
	v_fmac_f32_e32 v17, v23, v16
	v_add_f32_e32 v16, v26, v28
	v_mul_f32_e32 v26, v23, v19
	v_fma_f32 v26, v22, v18, -v26
	v_add_f32_e32 v17, v27, v17
	v_add_f32_e32 v32, v20, v26
	ds_read2_b64 v[26:29], v12 offset0:224 offset1:240
	v_mul_f32_e32 v19, v22, v19
	v_fmac_f32_e32 v19, v23, v18
	v_add_f32_e32 v33, v21, v19
	s_waitcnt lgkmcnt(0)
	v_mul_f32_e32 v18, v5, v27
	v_fma_f32 v18, v4, v26, -v18
	v_add_f32_e32 v22, v30, v18
	v_mul_f32_e32 v18, v5, v29
	v_mul_f32_e32 v19, v4, v27
	v_fma_f32 v18, v4, v28, -v18
	v_mul_f32_e32 v4, v4, v29
	v_fmac_f32_e32 v4, v5, v28
	v_add_f32_e32 v20, v3, v18
	v_add_f32_e32 v21, v2, v4
	v_mul_f32_e32 v2, v25, v27
	v_mul_f32_e32 v3, v24, v27
	v_fmac_f32_e32 v19, v5, v26
	v_fma_f32 v2, v24, v26, -v2
	v_fmac_f32_e32 v3, v25, v26
	v_add_f32_e32 v23, v31, v19
	v_add_f32_e32 v18, v16, v2
	;; [unrolled: 1-line block ×3, first 2 shown]
	v_mul_f32_e32 v2, v25, v29
	v_mul_f32_e32 v3, v24, v29
	v_fma_f32 v2, v24, v28, -v2
	v_fmac_f32_e32 v3, v25, v28
	v_add_f32_e32 v17, v32, v2
	v_add_f32_e32 v16, v33, v3
	v_mov_b32_e32 v2, s6
	v_mov_b32_e32 v3, s7
	v_cmp_le_u64_e32 vcc, s[12:13], v[2:3]
	s_barrier
	s_cbranch_vccz .LBB1106_2
	s_branch .LBB1106_4
.LBB1106_3:
	v_mov_b32_e32 v22, 0
	v_mov_b32_e32 v23, 0
	;; [unrolled: 1-line block ×8, first 2 shown]
.LBB1106_4:
	s_load_dwordx2 s[0:1], s[4:5], 0x60
	s_load_dword s11, s[4:5], 0x0
	s_load_dwordx4 s[16:19], s[4:5], 0x50
	v_add_u32_e32 v4, s10, v1
	v_ashrrev_i32_e32 v1, 31, v4
	s_waitcnt lgkmcnt(0)
	s_mul_i32 s1, s1, s8
	s_mul_hi_u32 s2, s0, s8
	s_add_i32 s1, s2, s1
	v_mul_lo_u32 v3, s18, v1
	v_mul_lo_u32 v5, s19, v4
	v_mad_u64_u32 v[1:2], s[2:3], s18, v4, 0
	s_mul_i32 s0, s0, s8
	s_lshl_b64 s[0:1], s[0:1], 3
	v_add3_u32 v2, v2, v3, v5
	s_add_u32 s6, s16, s0
	v_lshlrev_b64 v[1:2], 3, v[1:2]
	s_addc_u32 s7, s17, s1
	v_mov_b32_e32 v3, s7
	v_add_co_u32_e32 v5, vcc, s6, v1
	v_add_u32_e32 v0, s9, v0
	v_addc_co_u32_e32 v6, vcc, v3, v2, vcc
	v_cmp_le_i32_e64 s[0:1], v4, v0
	v_cmp_gt_i32_e32 vcc, s11, v0
	s_and_b64 s[0:1], s[0:1], vcc
	s_and_saveexec_b64 s[2:3], s[0:1]
	s_cbranch_execz .LBB1106_6
; %bb.5:
	v_mul_f32_e32 v1, s15, v23
	v_fma_f32 v2, v22, s14, -v1
	v_ashrrev_i32_e32 v1, 31, v0
	v_lshlrev_b64 v[7:8], 3, v[0:1]
	v_mul_f32_e32 v3, s14, v23
	v_add_co_u32_e64 v7, s[0:1], v5, v7
	v_fmac_f32_e32 v3, s15, v22
	v_addc_co_u32_e64 v8, s[0:1], v6, v8, s[0:1]
	global_store_dwordx2 v[7:8], v[2:3], off
.LBB1106_6:
	s_or_b64 exec, exec, s[2:3]
	v_add_u32_e32 v2, 16, v0
	v_cmp_le_i32_e64 s[2:3], v4, v2
	v_cmp_gt_i32_e64 s[0:1], s11, v2
	s_and_b64 s[2:3], s[2:3], s[0:1]
	s_and_saveexec_b64 s[4:5], s[2:3]
	s_cbranch_execz .LBB1106_8
; %bb.7:
	v_ashrrev_i32_e32 v3, 31, v2
	v_lshlrev_b64 v[9:10], 3, v[2:3]
	v_mul_f32_e32 v1, s15, v21
	v_mul_f32_e32 v8, s14, v21
	v_add_co_u32_e64 v5, s[2:3], v5, v9
	v_fma_f32 v7, v20, s14, -v1
	v_fmac_f32_e32 v8, s15, v20
	v_addc_co_u32_e64 v6, s[2:3], v6, v10, s[2:3]
	global_store_dwordx2 v[5:6], v[7:8], off
.LBB1106_8:
	s_or_b64 exec, exec, s[4:5]
	v_add_u32_e32 v3, 16, v4
	v_ashrrev_i32_e32 v1, 31, v3
	v_mul_lo_u32 v6, s19, v3
	v_mad_u64_u32 v[4:5], s[2:3], s18, v3, 0
	v_mul_lo_u32 v1, s18, v1
	v_add3_u32 v5, v5, v1, v6
	v_lshlrev_b64 v[4:5], 3, v[4:5]
	v_mov_b32_e32 v1, s7
	v_add_co_u32_e64 v4, s[2:3], s6, v4
	v_addc_co_u32_e64 v5, s[2:3], v1, v5, s[2:3]
	v_cmp_le_i32_e64 s[2:3], v3, v0
	s_and_b64 s[4:5], s[2:3], vcc
	s_and_saveexec_b64 s[2:3], s[4:5]
	s_cbranch_execz .LBB1106_10
; %bb.9:
	v_mul_f32_e32 v1, s15, v19
	v_fma_f32 v6, v18, s14, -v1
	v_ashrrev_i32_e32 v1, 31, v0
	v_lshlrev_b64 v[0:1], 3, v[0:1]
	v_mul_f32_e32 v7, s14, v19
	v_add_co_u32_e32 v0, vcc, v4, v0
	v_fmac_f32_e32 v7, s15, v18
	v_addc_co_u32_e32 v1, vcc, v5, v1, vcc
	global_store_dwordx2 v[0:1], v[6:7], off
.LBB1106_10:
	s_or_b64 exec, exec, s[2:3]
	v_cmp_le_i32_e32 vcc, v3, v2
	s_and_b64 s[0:1], vcc, s[0:1]
	s_and_saveexec_b64 s[2:3], s[0:1]
	s_cbranch_execz .LBB1106_12
; %bb.11:
	v_ashrrev_i32_e32 v3, 31, v2
	v_lshlrev_b64 v[2:3], 3, v[2:3]
	v_mul_f32_e32 v0, s15, v16
	v_mul_f32_e32 v1, s14, v16
	v_add_co_u32_e32 v2, vcc, v4, v2
	v_fma_f32 v0, v17, s14, -v0
	v_fmac_f32_e32 v1, s15, v17
	v_addc_co_u32_e32 v3, vcc, v5, v3, vcc
	global_store_dwordx2 v[2:3], v[0:1], off
.LBB1106_12:
	s_endpgm
	.section	.rodata,"a",@progbits
	.p2align	6, 0x0
	.amdhsa_kernel _ZL37rocblas_syrkx_herkx_restricted_kernelIl19rocblas_complex_numIfELi16ELi32ELi8ELb1ELb0ELc78ELc76EKS1_S1_EviT_T0_PT8_S3_lS6_S3_lS4_PT9_S3_li
		.amdhsa_group_segment_fixed_size 4096
		.amdhsa_private_segment_fixed_size 0
		.amdhsa_kernarg_size 108
		.amdhsa_user_sgpr_count 6
		.amdhsa_user_sgpr_private_segment_buffer 1
		.amdhsa_user_sgpr_dispatch_ptr 0
		.amdhsa_user_sgpr_queue_ptr 0
		.amdhsa_user_sgpr_kernarg_segment_ptr 1
		.amdhsa_user_sgpr_dispatch_id 0
		.amdhsa_user_sgpr_flat_scratch_init 0
		.amdhsa_user_sgpr_private_segment_size 0
		.amdhsa_uses_dynamic_stack 0
		.amdhsa_system_sgpr_private_segment_wavefront_offset 0
		.amdhsa_system_sgpr_workgroup_id_x 1
		.amdhsa_system_sgpr_workgroup_id_y 1
		.amdhsa_system_sgpr_workgroup_id_z 1
		.amdhsa_system_sgpr_workgroup_info 0
		.amdhsa_system_vgpr_workitem_id 1
		.amdhsa_next_free_vgpr 43
		.amdhsa_next_free_sgpr 28
		.amdhsa_reserve_vcc 1
		.amdhsa_reserve_flat_scratch 0
		.amdhsa_float_round_mode_32 0
		.amdhsa_float_round_mode_16_64 0
		.amdhsa_float_denorm_mode_32 3
		.amdhsa_float_denorm_mode_16_64 3
		.amdhsa_dx10_clamp 1
		.amdhsa_ieee_mode 1
		.amdhsa_fp16_overflow 0
		.amdhsa_exception_fp_ieee_invalid_op 0
		.amdhsa_exception_fp_denorm_src 0
		.amdhsa_exception_fp_ieee_div_zero 0
		.amdhsa_exception_fp_ieee_overflow 0
		.amdhsa_exception_fp_ieee_underflow 0
		.amdhsa_exception_fp_ieee_inexact 0
		.amdhsa_exception_int_div_zero 0
	.end_amdhsa_kernel
	.section	.text._ZL37rocblas_syrkx_herkx_restricted_kernelIl19rocblas_complex_numIfELi16ELi32ELi8ELb1ELb0ELc78ELc76EKS1_S1_EviT_T0_PT8_S3_lS6_S3_lS4_PT9_S3_li,"axG",@progbits,_ZL37rocblas_syrkx_herkx_restricted_kernelIl19rocblas_complex_numIfELi16ELi32ELi8ELb1ELb0ELc78ELc76EKS1_S1_EviT_T0_PT8_S3_lS6_S3_lS4_PT9_S3_li,comdat
.Lfunc_end1106:
	.size	_ZL37rocblas_syrkx_herkx_restricted_kernelIl19rocblas_complex_numIfELi16ELi32ELi8ELb1ELb0ELc78ELc76EKS1_S1_EviT_T0_PT8_S3_lS6_S3_lS4_PT9_S3_li, .Lfunc_end1106-_ZL37rocblas_syrkx_herkx_restricted_kernelIl19rocblas_complex_numIfELi16ELi32ELi8ELb1ELb0ELc78ELc76EKS1_S1_EviT_T0_PT8_S3_lS6_S3_lS4_PT9_S3_li
                                        ; -- End function
	.set _ZL37rocblas_syrkx_herkx_restricted_kernelIl19rocblas_complex_numIfELi16ELi32ELi8ELb1ELb0ELc78ELc76EKS1_S1_EviT_T0_PT8_S3_lS6_S3_lS4_PT9_S3_li.num_vgpr, 43
	.set _ZL37rocblas_syrkx_herkx_restricted_kernelIl19rocblas_complex_numIfELi16ELi32ELi8ELb1ELb0ELc78ELc76EKS1_S1_EviT_T0_PT8_S3_lS6_S3_lS4_PT9_S3_li.num_agpr, 0
	.set _ZL37rocblas_syrkx_herkx_restricted_kernelIl19rocblas_complex_numIfELi16ELi32ELi8ELb1ELb0ELc78ELc76EKS1_S1_EviT_T0_PT8_S3_lS6_S3_lS4_PT9_S3_li.numbered_sgpr, 28
	.set _ZL37rocblas_syrkx_herkx_restricted_kernelIl19rocblas_complex_numIfELi16ELi32ELi8ELb1ELb0ELc78ELc76EKS1_S1_EviT_T0_PT8_S3_lS6_S3_lS4_PT9_S3_li.num_named_barrier, 0
	.set _ZL37rocblas_syrkx_herkx_restricted_kernelIl19rocblas_complex_numIfELi16ELi32ELi8ELb1ELb0ELc78ELc76EKS1_S1_EviT_T0_PT8_S3_lS6_S3_lS4_PT9_S3_li.private_seg_size, 0
	.set _ZL37rocblas_syrkx_herkx_restricted_kernelIl19rocblas_complex_numIfELi16ELi32ELi8ELb1ELb0ELc78ELc76EKS1_S1_EviT_T0_PT8_S3_lS6_S3_lS4_PT9_S3_li.uses_vcc, 1
	.set _ZL37rocblas_syrkx_herkx_restricted_kernelIl19rocblas_complex_numIfELi16ELi32ELi8ELb1ELb0ELc78ELc76EKS1_S1_EviT_T0_PT8_S3_lS6_S3_lS4_PT9_S3_li.uses_flat_scratch, 0
	.set _ZL37rocblas_syrkx_herkx_restricted_kernelIl19rocblas_complex_numIfELi16ELi32ELi8ELb1ELb0ELc78ELc76EKS1_S1_EviT_T0_PT8_S3_lS6_S3_lS4_PT9_S3_li.has_dyn_sized_stack, 0
	.set _ZL37rocblas_syrkx_herkx_restricted_kernelIl19rocblas_complex_numIfELi16ELi32ELi8ELb1ELb0ELc78ELc76EKS1_S1_EviT_T0_PT8_S3_lS6_S3_lS4_PT9_S3_li.has_recursion, 0
	.set _ZL37rocblas_syrkx_herkx_restricted_kernelIl19rocblas_complex_numIfELi16ELi32ELi8ELb1ELb0ELc78ELc76EKS1_S1_EviT_T0_PT8_S3_lS6_S3_lS4_PT9_S3_li.has_indirect_call, 0
	.section	.AMDGPU.csdata,"",@progbits
; Kernel info:
; codeLenInByte = 2028
; TotalNumSgprs: 32
; NumVgprs: 43
; ScratchSize: 0
; MemoryBound: 0
; FloatMode: 240
; IeeeMode: 1
; LDSByteSize: 4096 bytes/workgroup (compile time only)
; SGPRBlocks: 3
; VGPRBlocks: 10
; NumSGPRsForWavesPerEU: 32
; NumVGPRsForWavesPerEU: 43
; Occupancy: 5
; WaveLimiterHint : 1
; COMPUTE_PGM_RSRC2:SCRATCH_EN: 0
; COMPUTE_PGM_RSRC2:USER_SGPR: 6
; COMPUTE_PGM_RSRC2:TRAP_HANDLER: 0
; COMPUTE_PGM_RSRC2:TGID_X_EN: 1
; COMPUTE_PGM_RSRC2:TGID_Y_EN: 1
; COMPUTE_PGM_RSRC2:TGID_Z_EN: 1
; COMPUTE_PGM_RSRC2:TIDIG_COMP_CNT: 1
	.section	.text._ZL37rocblas_syrkx_herkx_restricted_kernelIl19rocblas_complex_numIfELi16ELi32ELi8ELb1ELb0ELc84ELc85EKS1_S1_EviT_T0_PT8_S3_lS6_S3_lS4_PT9_S3_li,"axG",@progbits,_ZL37rocblas_syrkx_herkx_restricted_kernelIl19rocblas_complex_numIfELi16ELi32ELi8ELb1ELb0ELc84ELc85EKS1_S1_EviT_T0_PT8_S3_lS6_S3_lS4_PT9_S3_li,comdat
	.globl	_ZL37rocblas_syrkx_herkx_restricted_kernelIl19rocblas_complex_numIfELi16ELi32ELi8ELb1ELb0ELc84ELc85EKS1_S1_EviT_T0_PT8_S3_lS6_S3_lS4_PT9_S3_li ; -- Begin function _ZL37rocblas_syrkx_herkx_restricted_kernelIl19rocblas_complex_numIfELi16ELi32ELi8ELb1ELb0ELc84ELc85EKS1_S1_EviT_T0_PT8_S3_lS6_S3_lS4_PT9_S3_li
	.p2align	8
	.type	_ZL37rocblas_syrkx_herkx_restricted_kernelIl19rocblas_complex_numIfELi16ELi32ELi8ELb1ELb0ELc84ELc85EKS1_S1_EviT_T0_PT8_S3_lS6_S3_lS4_PT9_S3_li,@function
_ZL37rocblas_syrkx_herkx_restricted_kernelIl19rocblas_complex_numIfELi16ELi32ELi8ELb1ELb0ELc84ELc85EKS1_S1_EviT_T0_PT8_S3_lS6_S3_lS4_PT9_S3_li: ; @_ZL37rocblas_syrkx_herkx_restricted_kernelIl19rocblas_complex_numIfELi16ELi32ELi8ELb1ELb0ELc84ELc85EKS1_S1_EviT_T0_PT8_S3_lS6_S3_lS4_PT9_S3_li
; %bb.0:
	s_load_dwordx16 s[12:27], s[4:5], 0x8
	s_lshl_b32 s6, s6, 5
	s_lshl_b32 s7, s7, 5
	s_waitcnt lgkmcnt(0)
	v_cmp_lt_i64_e64 s[0:1], s[12:13], 1
	s_and_b64 vcc, exec, s[0:1]
	s_cbranch_vccnz .LBB1107_3
; %bb.1:
	v_lshl_add_u32 v5, v1, 4, v0
	v_lshrrev_b32_e32 v6, 3, v5
	v_add_u32_e32 v2, s7, v6
	v_and_b32_e32 v9, 7, v0
	v_ashrrev_i32_e32 v3, 31, v2
	v_mov_b32_e32 v10, 0
	v_mul_lo_u32 v7, s24, v3
	v_mul_lo_u32 v8, s25, v2
	v_mad_u64_u32 v[2:3], s[0:1], s24, v2, v[9:10]
	v_and_b32_e32 v15, 31, v5
	v_lshrrev_b32_e32 v4, 5, v5
	v_add3_u32 v3, v8, v3, v7
	v_lshlrev_b32_e32 v7, 3, v15
	v_lshl_or_b32 v11, v4, 8, v7
	v_lshlrev_b32_e32 v7, 3, v9
	v_lshl_or_b32 v6, v6, 6, v7
	v_add_u32_e32 v12, 0x800, v6
	v_mov_b32_e32 v6, 0x800
	v_lshl_add_u32 v14, v1, 6, v6
	v_add_u32_e32 v6, s6, v15
	v_mov_b32_e32 v5, v10
	v_ashrrev_i32_e32 v7, 31, v6
	v_mul_lo_u32 v7, s18, v7
	v_mad_u64_u32 v[4:5], s[0:1], s18, v6, v[4:5]
	v_mul_lo_u32 v6, s19, v6
	s_mul_i32 s2, s21, s8
	s_mul_hi_u32 s3, s20, s8
	s_add_i32 s1, s3, s2
	s_mul_i32 s0, s20, s8
	s_lshl_b64 s[0:1], s[0:1], 3
	v_add3_u32 v5, v6, v5, v7
	v_lshlrev_b64 v[4:5], 3, v[4:5]
	s_add_u32 s0, s16, s0
	s_addc_u32 s1, s17, s1
	v_mov_b32_e32 v6, s1
	v_add_co_u32_e32 v4, vcc, s0, v4
	s_mul_i32 s0, s27, s8
	s_mul_hi_u32 s1, s26, s8
	s_add_i32 s1, s1, s0
	s_mul_i32 s0, s26, s8
	v_addc_co_u32_e32 v5, vcc, v6, v5, vcc
	s_lshl_b64 s[0:1], s[0:1], 3
	v_add_co_u32_e32 v6, vcc, 4, v4
	v_lshlrev_b64 v[2:3], 3, v[2:3]
	s_add_u32 s0, s22, s0
	v_addc_co_u32_e32 v7, vcc, 0, v5, vcc
	s_addc_u32 s1, s23, s1
	v_mov_b32_e32 v4, s1
	v_add_co_u32_e32 v2, vcc, s0, v2
	v_addc_co_u32_e32 v3, vcc, v4, v3, vcc
	v_add_co_u32_e32 v8, vcc, 4, v2
	v_lshlrev_b32_e32 v13, 3, v0
	v_addc_co_u32_e32 v9, vcc, 0, v3, vcc
	s_mov_b64 s[0:1], 0
	v_mov_b32_e32 v15, v10
	v_mov_b32_e32 v17, v10
	;; [unrolled: 1-line block ×7, first 2 shown]
.LBB1107_2:                             ; =>This Inner Loop Header: Depth=1
	global_load_dwordx2 v[2:3], v[6:7], off offset:-4
	s_add_u32 s0, s0, 8
	v_add_co_u32_e32 v6, vcc, 64, v6
	s_addc_u32 s1, s1, 0
	v_addc_co_u32_e32 v7, vcc, 0, v7, vcc
	s_waitcnt vmcnt(0)
	ds_write_b64 v11, v[2:3]
	global_load_dwordx2 v[2:3], v[8:9], off offset:-4
	v_add_co_u32_e32 v8, vcc, 64, v8
	v_addc_co_u32_e32 v9, vcc, 0, v9, vcc
	s_waitcnt vmcnt(0)
	ds_write_b64 v12, v[2:3]
	s_waitcnt lgkmcnt(0)
	s_barrier
	ds_read_b128 v[22:25], v14
	ds_read_b128 v[26:29], v14 offset:16
	ds_read_b128 v[30:33], v14 offset:32
	;; [unrolled: 1-line block ×3, first 2 shown]
	ds_read2_b64 v[34:37], v13 offset1:16
	s_waitcnt lgkmcnt(0)
	v_mul_f32_e32 v38, v23, v35
	v_mul_f32_e32 v39, v22, v35
	v_fma_f32 v38, v22, v34, -v38
	v_fmac_f32_e32 v39, v23, v34
	v_add_f32_e32 v38, v20, v38
	v_add_f32_e32 v39, v21, v39
	v_mul_f32_e32 v20, v23, v37
	v_mul_f32_e32 v21, v22, v37
	v_fma_f32 v20, v22, v36, -v20
	v_fmac_f32_e32 v21, v23, v36
	v_add_f32_e32 v22, v18, v20
	v_add_f32_e32 v23, v19, v21
	ds_read_b128 v[18:21], v14 offset:1024
	s_waitcnt lgkmcnt(0)
	v_mul_f32_e32 v40, v19, v35
	v_mul_f32_e32 v35, v18, v35
	v_fma_f32 v40, v18, v34, -v40
	v_fmac_f32_e32 v35, v19, v34
	v_add_f32_e32 v34, v16, v40
	v_add_f32_e32 v35, v17, v35
	v_mul_f32_e32 v16, v19, v37
	v_mul_f32_e32 v17, v18, v37
	v_fma_f32 v16, v18, v36, -v16
	v_fmac_f32_e32 v17, v19, v36
	v_add_f32_e32 v19, v15, v16
	v_add_f32_e32 v10, v10, v17
	ds_read2_b64 v[15:18], v13 offset0:32 offset1:48
	s_waitcnt lgkmcnt(0)
	v_mul_f32_e32 v36, v25, v16
	v_fma_f32 v36, v24, v15, -v36
	v_add_f32_e32 v36, v38, v36
	v_mul_f32_e32 v38, v25, v18
	v_mul_f32_e32 v37, v24, v16
	v_fma_f32 v38, v24, v17, -v38
	v_mul_f32_e32 v24, v24, v18
	v_fmac_f32_e32 v24, v25, v17
	v_add_f32_e32 v23, v23, v24
	v_mul_f32_e32 v24, v21, v16
	v_mul_f32_e32 v16, v20, v16
	v_fmac_f32_e32 v16, v21, v15
	v_fmac_f32_e32 v37, v25, v15
	v_fma_f32 v24, v20, v15, -v24
	v_add_f32_e32 v25, v35, v16
	v_mul_f32_e32 v15, v21, v18
	v_mul_f32_e32 v16, v20, v18
	v_fma_f32 v15, v20, v17, -v15
	v_fmac_f32_e32 v16, v21, v17
	v_add_f32_e32 v24, v34, v24
	v_add_f32_e32 v34, v19, v15
	;; [unrolled: 1-line block ×3, first 2 shown]
	ds_read2_b64 v[15:18], v13 offset0:64 offset1:80
	v_add_f32_e32 v37, v39, v37
	v_add_f32_e32 v22, v22, v38
	s_waitcnt lgkmcnt(0)
	v_mul_f32_e32 v19, v27, v16
	v_mul_f32_e32 v20, v26, v16
	v_fma_f32 v19, v26, v15, -v19
	v_fmac_f32_e32 v20, v27, v15
	v_add_f32_e32 v35, v36, v19
	v_add_f32_e32 v36, v37, v20
	v_mul_f32_e32 v19, v27, v18
	v_mul_f32_e32 v20, v26, v18
	v_fma_f32 v19, v26, v17, -v19
	v_fmac_f32_e32 v20, v27, v17
	v_add_f32_e32 v26, v22, v19
	v_add_f32_e32 v23, v23, v20
	ds_read_b128 v[19:22], v14 offset:1040
	s_waitcnt lgkmcnt(0)
	v_mul_f32_e32 v27, v20, v16
	v_mul_f32_e32 v16, v19, v16
	v_fmac_f32_e32 v16, v20, v15
	v_fma_f32 v27, v19, v15, -v27
	v_add_f32_e32 v25, v25, v16
	v_mul_f32_e32 v15, v20, v18
	v_mul_f32_e32 v16, v19, v18
	v_fma_f32 v15, v19, v17, -v15
	v_fmac_f32_e32 v16, v20, v17
	v_add_f32_e32 v19, v34, v15
	v_add_f32_e32 v10, v10, v16
	ds_read2_b64 v[15:18], v13 offset0:96 offset1:112
	v_add_f32_e32 v24, v24, v27
	s_waitcnt lgkmcnt(0)
	v_mul_f32_e32 v20, v29, v16
	v_mul_f32_e32 v34, v29, v18
	v_fma_f32 v20, v28, v15, -v20
	v_mul_f32_e32 v27, v28, v16
	v_fma_f32 v34, v28, v17, -v34
	v_mul_f32_e32 v28, v28, v18
	v_fmac_f32_e32 v28, v29, v17
	v_add_f32_e32 v23, v23, v28
	v_mul_f32_e32 v28, v22, v16
	v_mul_f32_e32 v16, v21, v16
	v_fmac_f32_e32 v16, v22, v15
	v_fmac_f32_e32 v27, v29, v15
	v_fma_f32 v28, v21, v15, -v28
	v_add_f32_e32 v25, v25, v16
	v_mul_f32_e32 v15, v22, v18
	v_mul_f32_e32 v16, v21, v18
	v_fma_f32 v15, v21, v17, -v15
	v_fmac_f32_e32 v16, v22, v17
	v_add_f32_e32 v24, v24, v28
	v_add_f32_e32 v28, v19, v15
	;; [unrolled: 1-line block ×3, first 2 shown]
	ds_read2_b64 v[15:18], v13 offset0:128 offset1:144
	v_add_f32_e32 v20, v35, v20
	v_add_f32_e32 v27, v36, v27
	;; [unrolled: 1-line block ×3, first 2 shown]
	s_waitcnt lgkmcnt(0)
	v_mul_f32_e32 v19, v31, v16
	v_fma_f32 v19, v30, v15, -v19
	v_mul_f32_e32 v21, v30, v16
	v_add_f32_e32 v29, v20, v19
	v_mul_f32_e32 v19, v31, v18
	v_mul_f32_e32 v20, v30, v18
	v_fmac_f32_e32 v21, v31, v15
	v_fma_f32 v19, v30, v17, -v19
	v_fmac_f32_e32 v20, v31, v17
	v_add_f32_e32 v27, v27, v21
	v_add_f32_e32 v26, v26, v19
	;; [unrolled: 1-line block ×3, first 2 shown]
	ds_read_b128 v[19:22], v14 offset:1056
	s_waitcnt lgkmcnt(0)
	v_mul_f32_e32 v30, v20, v16
	v_mul_f32_e32 v16, v19, v16
	v_fmac_f32_e32 v16, v20, v15
	v_fma_f32 v30, v19, v15, -v30
	v_add_f32_e32 v25, v25, v16
	v_mul_f32_e32 v15, v20, v18
	v_mul_f32_e32 v16, v19, v18
	v_fma_f32 v15, v19, v17, -v15
	v_fmac_f32_e32 v16, v20, v17
	v_add_f32_e32 v19, v28, v15
	v_add_f32_e32 v10, v10, v16
	ds_read2_b64 v[15:18], v13 offset0:160 offset1:176
	v_add_f32_e32 v24, v24, v30
	s_waitcnt lgkmcnt(0)
	v_mul_f32_e32 v28, v32, v16
	v_fmac_f32_e32 v28, v33, v15
	v_add_f32_e32 v27, v27, v28
	v_mul_f32_e32 v28, v33, v18
	v_fma_f32 v28, v32, v17, -v28
	v_mul_f32_e32 v20, v33, v16
	v_add_f32_e32 v26, v26, v28
	v_mul_f32_e32 v28, v22, v16
	v_mul_f32_e32 v16, v21, v16
	v_fmac_f32_e32 v16, v22, v15
	v_fma_f32 v20, v32, v15, -v20
	v_fma_f32 v28, v21, v15, -v28
	v_add_f32_e32 v25, v25, v16
	v_mul_f32_e32 v15, v22, v18
	v_mul_f32_e32 v16, v21, v18
	v_add_f32_e32 v20, v29, v20
	v_mul_f32_e32 v29, v32, v18
	v_fma_f32 v15, v21, v17, -v15
	v_fmac_f32_e32 v16, v22, v17
	v_fmac_f32_e32 v29, v33, v17
	v_add_f32_e32 v19, v19, v15
	v_add_f32_e32 v10, v10, v16
	ds_read2_b64 v[15:18], v13 offset0:192 offset1:208
	v_add_f32_e32 v24, v24, v28
	v_add_f32_e32 v23, v23, v29
	s_waitcnt lgkmcnt(0)
	v_mul_f32_e32 v21, v3, v16
	v_fma_f32 v21, v2, v15, -v21
	v_add_f32_e32 v28, v20, v21
	v_mul_f32_e32 v20, v3, v18
	v_mul_f32_e32 v22, v2, v16
	v_fma_f32 v20, v2, v17, -v20
	v_mul_f32_e32 v2, v2, v18
	v_fmac_f32_e32 v22, v3, v15
	v_fmac_f32_e32 v2, v3, v17
	v_add_f32_e32 v29, v27, v22
	v_add_f32_e32 v3, v26, v20
	;; [unrolled: 1-line block ×3, first 2 shown]
	ds_read_b128 v[20:23], v14 offset:1072
	s_waitcnt lgkmcnt(0)
	v_mul_f32_e32 v26, v21, v16
	v_mul_f32_e32 v16, v20, v16
	v_fma_f32 v26, v20, v15, -v26
	v_fmac_f32_e32 v16, v21, v15
	v_add_f32_e32 v15, v24, v26
	v_add_f32_e32 v30, v25, v16
	ds_read2_b64 v[24:27], v13 offset0:224 offset1:240
	v_mul_f32_e32 v16, v21, v18
	v_fma_f32 v16, v20, v17, -v16
	v_add_f32_e32 v31, v19, v16
	v_mul_f32_e32 v18, v20, v18
	s_waitcnt lgkmcnt(0)
	v_mul_f32_e32 v16, v5, v25
	v_fma_f32 v16, v4, v24, -v16
	v_add_f32_e32 v20, v28, v16
	v_mul_f32_e32 v16, v5, v27
	v_fmac_f32_e32 v18, v21, v17
	v_mul_f32_e32 v17, v4, v25
	v_fma_f32 v16, v4, v26, -v16
	v_mul_f32_e32 v4, v4, v27
	v_fmac_f32_e32 v4, v5, v26
	v_add_f32_e32 v10, v10, v18
	v_add_f32_e32 v18, v3, v16
	;; [unrolled: 1-line block ×3, first 2 shown]
	v_mul_f32_e32 v2, v23, v25
	v_mul_f32_e32 v3, v22, v25
	v_fmac_f32_e32 v17, v5, v24
	v_fma_f32 v2, v22, v24, -v2
	v_fmac_f32_e32 v3, v23, v24
	v_add_f32_e32 v21, v29, v17
	v_add_f32_e32 v16, v15, v2
	;; [unrolled: 1-line block ×3, first 2 shown]
	v_mul_f32_e32 v2, v23, v27
	v_mul_f32_e32 v3, v22, v27
	v_fma_f32 v2, v22, v26, -v2
	v_fmac_f32_e32 v3, v23, v26
	v_add_f32_e32 v15, v31, v2
	v_add_f32_e32 v10, v10, v3
	v_mov_b32_e32 v3, s1
	v_mov_b32_e32 v2, s0
	v_cmp_le_u64_e32 vcc, s[12:13], v[2:3]
	s_barrier
	s_cbranch_vccz .LBB1107_2
	s_branch .LBB1107_4
.LBB1107_3:
	v_mov_b32_e32 v20, 0
	v_mov_b32_e32 v21, 0
	;; [unrolled: 1-line block ×8, first 2 shown]
.LBB1107_4:
	s_load_dwordx2 s[10:11], s[4:5], 0x60
	s_load_dword s9, s[4:5], 0x0
	s_load_dwordx4 s[0:3], s[4:5], 0x50
	v_add_u32_e32 v4, s7, v1
	v_ashrrev_i32_e32 v1, 31, v4
	s_waitcnt lgkmcnt(0)
	s_mul_i32 s5, s11, s8
	s_mul_hi_u32 s11, s10, s8
	s_mul_i32 s4, s10, s8
	s_add_i32 s5, s11, s5
	v_mul_lo_u32 v3, s2, v1
	v_mul_lo_u32 v5, s3, v4
	v_mad_u64_u32 v[1:2], s[10:11], s2, v4, 0
	s_lshl_b64 s[4:5], s[4:5], 3
	s_add_u32 s8, s0, s4
	v_add3_u32 v2, v2, v3, v5
	v_lshlrev_b64 v[1:2], 3, v[1:2]
	s_addc_u32 s7, s1, s5
	v_mov_b32_e32 v3, s7
	v_add_co_u32_e64 v5, s[0:1], s8, v1
	v_add_u32_e32 v0, s6, v0
	v_addc_co_u32_e64 v6, s[0:1], v3, v2, s[0:1]
	v_cmp_gt_i32_e32 vcc, s9, v4
	v_cmp_le_i32_e64 s[0:1], v0, v4
	s_and_b64 s[0:1], vcc, s[0:1]
	s_and_saveexec_b64 s[4:5], s[0:1]
	s_cbranch_execz .LBB1107_6
; %bb.5:
	v_mul_f32_e32 v1, s15, v21
	v_fma_f32 v2, v20, s14, -v1
	v_ashrrev_i32_e32 v1, 31, v0
	v_lshlrev_b64 v[7:8], 3, v[0:1]
	v_mul_f32_e32 v3, s14, v21
	v_add_co_u32_e64 v7, s[0:1], v5, v7
	v_fmac_f32_e32 v3, s15, v20
	v_addc_co_u32_e64 v8, s[0:1], v6, v8, s[0:1]
	global_store_dwordx2 v[7:8], v[2:3], off
.LBB1107_6:
	s_or_b64 exec, exec, s[4:5]
	v_add_u32_e32 v2, 16, v0
	v_cmp_le_i32_e64 s[0:1], v2, v4
	s_and_b64 s[4:5], vcc, s[0:1]
	s_and_saveexec_b64 s[0:1], s[4:5]
	s_cbranch_execz .LBB1107_8
; %bb.7:
	v_ashrrev_i32_e32 v3, 31, v2
	v_lshlrev_b64 v[11:12], 3, v[2:3]
	v_mul_f32_e32 v1, s15, v19
	v_mul_f32_e32 v8, s14, v19
	v_add_co_u32_e32 v5, vcc, v5, v11
	v_fma_f32 v7, v18, s14, -v1
	v_fmac_f32_e32 v8, s15, v18
	v_addc_co_u32_e32 v6, vcc, v6, v12, vcc
	global_store_dwordx2 v[5:6], v[7:8], off
.LBB1107_8:
	s_or_b64 exec, exec, s[0:1]
	v_add_u32_e32 v3, 16, v4
	v_ashrrev_i32_e32 v1, 31, v3
	v_mul_lo_u32 v1, s2, v1
	v_mul_lo_u32 v6, s3, v3
	v_mad_u64_u32 v[4:5], s[0:1], s2, v3, 0
	v_cmp_gt_i32_e32 vcc, s9, v3
	v_add3_u32 v5, v5, v1, v6
	v_lshlrev_b64 v[4:5], 3, v[4:5]
	v_mov_b32_e32 v1, s7
	v_add_co_u32_e64 v4, s[0:1], s8, v4
	v_addc_co_u32_e64 v5, s[0:1], v1, v5, s[0:1]
	v_cmp_le_i32_e64 s[0:1], v0, v3
	s_and_b64 s[0:1], vcc, s[0:1]
	s_and_saveexec_b64 s[2:3], s[0:1]
	s_cbranch_execz .LBB1107_10
; %bb.9:
	v_mul_f32_e32 v1, s15, v17
	v_fma_f32 v6, v16, s14, -v1
	v_ashrrev_i32_e32 v1, 31, v0
	v_lshlrev_b64 v[0:1], 3, v[0:1]
	v_mul_f32_e32 v7, s14, v17
	v_add_co_u32_e64 v0, s[0:1], v4, v0
	v_fmac_f32_e32 v7, s15, v16
	v_addc_co_u32_e64 v1, s[0:1], v5, v1, s[0:1]
	global_store_dwordx2 v[0:1], v[6:7], off
.LBB1107_10:
	s_or_b64 exec, exec, s[2:3]
	v_cmp_le_i32_e64 s[0:1], v2, v3
	s_and_b64 s[0:1], vcc, s[0:1]
	s_and_saveexec_b64 s[2:3], s[0:1]
	s_cbranch_execz .LBB1107_12
; %bb.11:
	v_ashrrev_i32_e32 v3, 31, v2
	v_lshlrev_b64 v[2:3], 3, v[2:3]
	v_mul_f32_e32 v0, s15, v10
	v_mul_f32_e32 v1, s14, v10
	v_add_co_u32_e32 v2, vcc, v4, v2
	v_fma_f32 v0, v15, s14, -v0
	v_fmac_f32_e32 v1, s15, v15
	v_addc_co_u32_e32 v3, vcc, v5, v3, vcc
	global_store_dwordx2 v[2:3], v[0:1], off
.LBB1107_12:
	s_endpgm
	.section	.rodata,"a",@progbits
	.p2align	6, 0x0
	.amdhsa_kernel _ZL37rocblas_syrkx_herkx_restricted_kernelIl19rocblas_complex_numIfELi16ELi32ELi8ELb1ELb0ELc84ELc85EKS1_S1_EviT_T0_PT8_S3_lS6_S3_lS4_PT9_S3_li
		.amdhsa_group_segment_fixed_size 4096
		.amdhsa_private_segment_fixed_size 0
		.amdhsa_kernarg_size 108
		.amdhsa_user_sgpr_count 6
		.amdhsa_user_sgpr_private_segment_buffer 1
		.amdhsa_user_sgpr_dispatch_ptr 0
		.amdhsa_user_sgpr_queue_ptr 0
		.amdhsa_user_sgpr_kernarg_segment_ptr 1
		.amdhsa_user_sgpr_dispatch_id 0
		.amdhsa_user_sgpr_flat_scratch_init 0
		.amdhsa_user_sgpr_private_segment_size 0
		.amdhsa_uses_dynamic_stack 0
		.amdhsa_system_sgpr_private_segment_wavefront_offset 0
		.amdhsa_system_sgpr_workgroup_id_x 1
		.amdhsa_system_sgpr_workgroup_id_y 1
		.amdhsa_system_sgpr_workgroup_id_z 1
		.amdhsa_system_sgpr_workgroup_info 0
		.amdhsa_system_vgpr_workitem_id 1
		.amdhsa_next_free_vgpr 41
		.amdhsa_next_free_sgpr 28
		.amdhsa_reserve_vcc 1
		.amdhsa_reserve_flat_scratch 0
		.amdhsa_float_round_mode_32 0
		.amdhsa_float_round_mode_16_64 0
		.amdhsa_float_denorm_mode_32 3
		.amdhsa_float_denorm_mode_16_64 3
		.amdhsa_dx10_clamp 1
		.amdhsa_ieee_mode 1
		.amdhsa_fp16_overflow 0
		.amdhsa_exception_fp_ieee_invalid_op 0
		.amdhsa_exception_fp_denorm_src 0
		.amdhsa_exception_fp_ieee_div_zero 0
		.amdhsa_exception_fp_ieee_overflow 0
		.amdhsa_exception_fp_ieee_underflow 0
		.amdhsa_exception_fp_ieee_inexact 0
		.amdhsa_exception_int_div_zero 0
	.end_amdhsa_kernel
	.section	.text._ZL37rocblas_syrkx_herkx_restricted_kernelIl19rocblas_complex_numIfELi16ELi32ELi8ELb1ELb0ELc84ELc85EKS1_S1_EviT_T0_PT8_S3_lS6_S3_lS4_PT9_S3_li,"axG",@progbits,_ZL37rocblas_syrkx_herkx_restricted_kernelIl19rocblas_complex_numIfELi16ELi32ELi8ELb1ELb0ELc84ELc85EKS1_S1_EviT_T0_PT8_S3_lS6_S3_lS4_PT9_S3_li,comdat
.Lfunc_end1107:
	.size	_ZL37rocblas_syrkx_herkx_restricted_kernelIl19rocblas_complex_numIfELi16ELi32ELi8ELb1ELb0ELc84ELc85EKS1_S1_EviT_T0_PT8_S3_lS6_S3_lS4_PT9_S3_li, .Lfunc_end1107-_ZL37rocblas_syrkx_herkx_restricted_kernelIl19rocblas_complex_numIfELi16ELi32ELi8ELb1ELb0ELc84ELc85EKS1_S1_EviT_T0_PT8_S3_lS6_S3_lS4_PT9_S3_li
                                        ; -- End function
	.set _ZL37rocblas_syrkx_herkx_restricted_kernelIl19rocblas_complex_numIfELi16ELi32ELi8ELb1ELb0ELc84ELc85EKS1_S1_EviT_T0_PT8_S3_lS6_S3_lS4_PT9_S3_li.num_vgpr, 41
	.set _ZL37rocblas_syrkx_herkx_restricted_kernelIl19rocblas_complex_numIfELi16ELi32ELi8ELb1ELb0ELc84ELc85EKS1_S1_EviT_T0_PT8_S3_lS6_S3_lS4_PT9_S3_li.num_agpr, 0
	.set _ZL37rocblas_syrkx_herkx_restricted_kernelIl19rocblas_complex_numIfELi16ELi32ELi8ELb1ELb0ELc84ELc85EKS1_S1_EviT_T0_PT8_S3_lS6_S3_lS4_PT9_S3_li.numbered_sgpr, 28
	.set _ZL37rocblas_syrkx_herkx_restricted_kernelIl19rocblas_complex_numIfELi16ELi32ELi8ELb1ELb0ELc84ELc85EKS1_S1_EviT_T0_PT8_S3_lS6_S3_lS4_PT9_S3_li.num_named_barrier, 0
	.set _ZL37rocblas_syrkx_herkx_restricted_kernelIl19rocblas_complex_numIfELi16ELi32ELi8ELb1ELb0ELc84ELc85EKS1_S1_EviT_T0_PT8_S3_lS6_S3_lS4_PT9_S3_li.private_seg_size, 0
	.set _ZL37rocblas_syrkx_herkx_restricted_kernelIl19rocblas_complex_numIfELi16ELi32ELi8ELb1ELb0ELc84ELc85EKS1_S1_EviT_T0_PT8_S3_lS6_S3_lS4_PT9_S3_li.uses_vcc, 1
	.set _ZL37rocblas_syrkx_herkx_restricted_kernelIl19rocblas_complex_numIfELi16ELi32ELi8ELb1ELb0ELc84ELc85EKS1_S1_EviT_T0_PT8_S3_lS6_S3_lS4_PT9_S3_li.uses_flat_scratch, 0
	.set _ZL37rocblas_syrkx_herkx_restricted_kernelIl19rocblas_complex_numIfELi16ELi32ELi8ELb1ELb0ELc84ELc85EKS1_S1_EviT_T0_PT8_S3_lS6_S3_lS4_PT9_S3_li.has_dyn_sized_stack, 0
	.set _ZL37rocblas_syrkx_herkx_restricted_kernelIl19rocblas_complex_numIfELi16ELi32ELi8ELb1ELb0ELc84ELc85EKS1_S1_EviT_T0_PT8_S3_lS6_S3_lS4_PT9_S3_li.has_recursion, 0
	.set _ZL37rocblas_syrkx_herkx_restricted_kernelIl19rocblas_complex_numIfELi16ELi32ELi8ELb1ELb0ELc84ELc85EKS1_S1_EviT_T0_PT8_S3_lS6_S3_lS4_PT9_S3_li.has_indirect_call, 0
	.section	.AMDGPU.csdata,"",@progbits
; Kernel info:
; codeLenInByte = 2056
; TotalNumSgprs: 32
; NumVgprs: 41
; ScratchSize: 0
; MemoryBound: 0
; FloatMode: 240
; IeeeMode: 1
; LDSByteSize: 4096 bytes/workgroup (compile time only)
; SGPRBlocks: 3
; VGPRBlocks: 10
; NumSGPRsForWavesPerEU: 32
; NumVGPRsForWavesPerEU: 41
; Occupancy: 5
; WaveLimiterHint : 1
; COMPUTE_PGM_RSRC2:SCRATCH_EN: 0
; COMPUTE_PGM_RSRC2:USER_SGPR: 6
; COMPUTE_PGM_RSRC2:TRAP_HANDLER: 0
; COMPUTE_PGM_RSRC2:TGID_X_EN: 1
; COMPUTE_PGM_RSRC2:TGID_Y_EN: 1
; COMPUTE_PGM_RSRC2:TGID_Z_EN: 1
; COMPUTE_PGM_RSRC2:TIDIG_COMP_CNT: 1
	.section	.text._ZL37rocblas_syrkx_herkx_restricted_kernelIl19rocblas_complex_numIfELi16ELi32ELi8ELb1ELb0ELc67ELc85EKS1_S1_EviT_T0_PT8_S3_lS6_S3_lS4_PT9_S3_li,"axG",@progbits,_ZL37rocblas_syrkx_herkx_restricted_kernelIl19rocblas_complex_numIfELi16ELi32ELi8ELb1ELb0ELc67ELc85EKS1_S1_EviT_T0_PT8_S3_lS6_S3_lS4_PT9_S3_li,comdat
	.globl	_ZL37rocblas_syrkx_herkx_restricted_kernelIl19rocblas_complex_numIfELi16ELi32ELi8ELb1ELb0ELc67ELc85EKS1_S1_EviT_T0_PT8_S3_lS6_S3_lS4_PT9_S3_li ; -- Begin function _ZL37rocblas_syrkx_herkx_restricted_kernelIl19rocblas_complex_numIfELi16ELi32ELi8ELb1ELb0ELc67ELc85EKS1_S1_EviT_T0_PT8_S3_lS6_S3_lS4_PT9_S3_li
	.p2align	8
	.type	_ZL37rocblas_syrkx_herkx_restricted_kernelIl19rocblas_complex_numIfELi16ELi32ELi8ELb1ELb0ELc67ELc85EKS1_S1_EviT_T0_PT8_S3_lS6_S3_lS4_PT9_S3_li,@function
_ZL37rocblas_syrkx_herkx_restricted_kernelIl19rocblas_complex_numIfELi16ELi32ELi8ELb1ELb0ELc67ELc85EKS1_S1_EviT_T0_PT8_S3_lS6_S3_lS4_PT9_S3_li: ; @_ZL37rocblas_syrkx_herkx_restricted_kernelIl19rocblas_complex_numIfELi16ELi32ELi8ELb1ELb0ELc67ELc85EKS1_S1_EviT_T0_PT8_S3_lS6_S3_lS4_PT9_S3_li
; %bb.0:
	s_load_dwordx16 s[12:27], s[4:5], 0x8
	s_lshl_b32 s6, s6, 5
	s_lshl_b32 s7, s7, 5
	s_waitcnt lgkmcnt(0)
	v_cmp_lt_i64_e64 s[0:1], s[12:13], 1
	s_and_b64 vcc, exec, s[0:1]
	s_cbranch_vccnz .LBB1108_3
; %bb.1:
	v_lshl_add_u32 v5, v1, 4, v0
	v_lshrrev_b32_e32 v6, 3, v5
	v_add_u32_e32 v2, s7, v6
	v_and_b32_e32 v9, 7, v0
	v_ashrrev_i32_e32 v3, 31, v2
	v_mov_b32_e32 v10, 0
	v_mul_lo_u32 v7, s24, v3
	v_mul_lo_u32 v8, s25, v2
	v_mad_u64_u32 v[2:3], s[0:1], s24, v2, v[9:10]
	v_and_b32_e32 v15, 31, v5
	v_lshrrev_b32_e32 v4, 5, v5
	v_add3_u32 v3, v8, v3, v7
	v_lshlrev_b32_e32 v7, 3, v15
	v_lshl_or_b32 v11, v4, 8, v7
	v_lshlrev_b32_e32 v7, 3, v9
	v_lshl_or_b32 v6, v6, 6, v7
	v_add_u32_e32 v12, 0x800, v6
	v_mov_b32_e32 v6, 0x800
	v_lshl_add_u32 v14, v1, 6, v6
	v_add_u32_e32 v6, s6, v15
	v_mov_b32_e32 v5, v10
	v_ashrrev_i32_e32 v7, 31, v6
	v_mul_lo_u32 v7, s18, v7
	v_mad_u64_u32 v[4:5], s[0:1], s18, v6, v[4:5]
	v_mul_lo_u32 v6, s19, v6
	s_mul_i32 s2, s21, s8
	s_mul_hi_u32 s3, s20, s8
	s_add_i32 s1, s3, s2
	s_mul_i32 s0, s20, s8
	s_lshl_b64 s[0:1], s[0:1], 3
	v_add3_u32 v5, v6, v5, v7
	v_lshlrev_b64 v[4:5], 3, v[4:5]
	s_add_u32 s0, s16, s0
	s_addc_u32 s1, s17, s1
	v_mov_b32_e32 v6, s1
	v_add_co_u32_e32 v4, vcc, s0, v4
	s_mul_i32 s0, s27, s8
	s_mul_hi_u32 s1, s26, s8
	s_add_i32 s1, s1, s0
	s_mul_i32 s0, s26, s8
	v_addc_co_u32_e32 v5, vcc, v6, v5, vcc
	s_lshl_b64 s[0:1], s[0:1], 3
	v_add_co_u32_e32 v6, vcc, 4, v4
	v_lshlrev_b64 v[2:3], 3, v[2:3]
	s_add_u32 s0, s22, s0
	v_addc_co_u32_e32 v7, vcc, 0, v5, vcc
	s_addc_u32 s1, s23, s1
	v_mov_b32_e32 v4, s1
	v_add_co_u32_e32 v2, vcc, s0, v2
	v_addc_co_u32_e32 v3, vcc, v4, v3, vcc
	v_add_co_u32_e32 v8, vcc, 4, v2
	v_lshlrev_b32_e32 v13, 3, v0
	v_addc_co_u32_e32 v9, vcc, 0, v3, vcc
	s_mov_b64 s[0:1], 0
	v_mov_b32_e32 v15, v10
	v_mov_b32_e32 v17, v10
	;; [unrolled: 1-line block ×7, first 2 shown]
.LBB1108_2:                             ; =>This Inner Loop Header: Depth=1
	global_load_dwordx2 v[2:3], v[6:7], off offset:-4
	s_add_u32 s0, s0, 8
	v_add_co_u32_e32 v6, vcc, 64, v6
	s_addc_u32 s1, s1, 0
	v_addc_co_u32_e32 v7, vcc, 0, v7, vcc
	s_waitcnt vmcnt(0)
	ds_write_b64 v11, v[2:3]
	global_load_dwordx2 v[2:3], v[8:9], off offset:-4
	v_add_co_u32_e32 v8, vcc, 64, v8
	v_addc_co_u32_e32 v9, vcc, 0, v9, vcc
	s_waitcnt vmcnt(0)
	ds_write_b64 v12, v[2:3]
	s_waitcnt lgkmcnt(0)
	s_barrier
	ds_read_b128 v[22:25], v14
	ds_read_b128 v[26:29], v14 offset:16
	ds_read_b128 v[30:33], v14 offset:32
	;; [unrolled: 1-line block ×3, first 2 shown]
	ds_read2_b64 v[34:37], v13 offset1:16
	s_waitcnt lgkmcnt(0)
	v_mul_f32_e32 v38, v23, v35
	v_mul_f32_e32 v39, v22, v35
	v_fma_f32 v38, v22, v34, -v38
	v_fmac_f32_e32 v39, v23, v34
	v_add_f32_e32 v38, v20, v38
	v_add_f32_e32 v39, v21, v39
	v_mul_f32_e32 v20, v23, v37
	v_mul_f32_e32 v21, v22, v37
	v_fma_f32 v20, v22, v36, -v20
	v_fmac_f32_e32 v21, v23, v36
	v_add_f32_e32 v22, v18, v20
	v_add_f32_e32 v23, v19, v21
	ds_read_b128 v[18:21], v14 offset:1024
	s_waitcnt lgkmcnt(0)
	v_mul_f32_e32 v40, v19, v35
	v_mul_f32_e32 v35, v18, v35
	v_fma_f32 v40, v18, v34, -v40
	v_fmac_f32_e32 v35, v19, v34
	v_add_f32_e32 v34, v16, v40
	v_add_f32_e32 v35, v17, v35
	v_mul_f32_e32 v16, v19, v37
	v_mul_f32_e32 v17, v18, v37
	v_fma_f32 v16, v18, v36, -v16
	v_fmac_f32_e32 v17, v19, v36
	v_add_f32_e32 v19, v15, v16
	v_add_f32_e32 v10, v10, v17
	ds_read2_b64 v[15:18], v13 offset0:32 offset1:48
	s_waitcnt lgkmcnt(0)
	v_mul_f32_e32 v36, v25, v16
	v_fma_f32 v36, v24, v15, -v36
	v_add_f32_e32 v36, v38, v36
	v_mul_f32_e32 v38, v25, v18
	v_mul_f32_e32 v37, v24, v16
	v_fma_f32 v38, v24, v17, -v38
	v_mul_f32_e32 v24, v24, v18
	v_fmac_f32_e32 v24, v25, v17
	v_add_f32_e32 v23, v23, v24
	v_mul_f32_e32 v24, v21, v16
	v_mul_f32_e32 v16, v20, v16
	v_fmac_f32_e32 v16, v21, v15
	v_fmac_f32_e32 v37, v25, v15
	v_fma_f32 v24, v20, v15, -v24
	v_add_f32_e32 v25, v35, v16
	v_mul_f32_e32 v15, v21, v18
	v_mul_f32_e32 v16, v20, v18
	v_fma_f32 v15, v20, v17, -v15
	v_fmac_f32_e32 v16, v21, v17
	v_add_f32_e32 v24, v34, v24
	v_add_f32_e32 v34, v19, v15
	;; [unrolled: 1-line block ×3, first 2 shown]
	ds_read2_b64 v[15:18], v13 offset0:64 offset1:80
	v_add_f32_e32 v37, v39, v37
	v_add_f32_e32 v22, v22, v38
	s_waitcnt lgkmcnt(0)
	v_mul_f32_e32 v19, v27, v16
	v_mul_f32_e32 v20, v26, v16
	v_fma_f32 v19, v26, v15, -v19
	v_fmac_f32_e32 v20, v27, v15
	v_add_f32_e32 v35, v36, v19
	v_add_f32_e32 v36, v37, v20
	v_mul_f32_e32 v19, v27, v18
	v_mul_f32_e32 v20, v26, v18
	v_fma_f32 v19, v26, v17, -v19
	v_fmac_f32_e32 v20, v27, v17
	v_add_f32_e32 v26, v22, v19
	v_add_f32_e32 v23, v23, v20
	ds_read_b128 v[19:22], v14 offset:1040
	s_waitcnt lgkmcnt(0)
	v_mul_f32_e32 v27, v20, v16
	v_mul_f32_e32 v16, v19, v16
	v_fmac_f32_e32 v16, v20, v15
	v_fma_f32 v27, v19, v15, -v27
	v_add_f32_e32 v25, v25, v16
	v_mul_f32_e32 v15, v20, v18
	v_mul_f32_e32 v16, v19, v18
	v_fma_f32 v15, v19, v17, -v15
	v_fmac_f32_e32 v16, v20, v17
	v_add_f32_e32 v19, v34, v15
	v_add_f32_e32 v10, v10, v16
	ds_read2_b64 v[15:18], v13 offset0:96 offset1:112
	v_add_f32_e32 v24, v24, v27
	s_waitcnt lgkmcnt(0)
	v_mul_f32_e32 v20, v29, v16
	v_mul_f32_e32 v34, v29, v18
	v_fma_f32 v20, v28, v15, -v20
	v_mul_f32_e32 v27, v28, v16
	v_fma_f32 v34, v28, v17, -v34
	v_mul_f32_e32 v28, v28, v18
	v_fmac_f32_e32 v28, v29, v17
	v_add_f32_e32 v23, v23, v28
	v_mul_f32_e32 v28, v22, v16
	v_mul_f32_e32 v16, v21, v16
	v_fmac_f32_e32 v16, v22, v15
	v_fmac_f32_e32 v27, v29, v15
	v_fma_f32 v28, v21, v15, -v28
	v_add_f32_e32 v25, v25, v16
	v_mul_f32_e32 v15, v22, v18
	v_mul_f32_e32 v16, v21, v18
	v_fma_f32 v15, v21, v17, -v15
	v_fmac_f32_e32 v16, v22, v17
	v_add_f32_e32 v24, v24, v28
	v_add_f32_e32 v28, v19, v15
	;; [unrolled: 1-line block ×3, first 2 shown]
	ds_read2_b64 v[15:18], v13 offset0:128 offset1:144
	v_add_f32_e32 v20, v35, v20
	v_add_f32_e32 v27, v36, v27
	;; [unrolled: 1-line block ×3, first 2 shown]
	s_waitcnt lgkmcnt(0)
	v_mul_f32_e32 v19, v31, v16
	v_fma_f32 v19, v30, v15, -v19
	v_mul_f32_e32 v21, v30, v16
	v_add_f32_e32 v29, v20, v19
	v_mul_f32_e32 v19, v31, v18
	v_mul_f32_e32 v20, v30, v18
	v_fmac_f32_e32 v21, v31, v15
	v_fma_f32 v19, v30, v17, -v19
	v_fmac_f32_e32 v20, v31, v17
	v_add_f32_e32 v27, v27, v21
	v_add_f32_e32 v26, v26, v19
	v_add_f32_e32 v23, v23, v20
	ds_read_b128 v[19:22], v14 offset:1056
	s_waitcnt lgkmcnt(0)
	v_mul_f32_e32 v30, v20, v16
	v_mul_f32_e32 v16, v19, v16
	v_fmac_f32_e32 v16, v20, v15
	v_fma_f32 v30, v19, v15, -v30
	v_add_f32_e32 v25, v25, v16
	v_mul_f32_e32 v15, v20, v18
	v_mul_f32_e32 v16, v19, v18
	v_fma_f32 v15, v19, v17, -v15
	v_fmac_f32_e32 v16, v20, v17
	v_add_f32_e32 v19, v28, v15
	v_add_f32_e32 v10, v10, v16
	ds_read2_b64 v[15:18], v13 offset0:160 offset1:176
	v_add_f32_e32 v24, v24, v30
	s_waitcnt lgkmcnt(0)
	v_mul_f32_e32 v28, v32, v16
	v_fmac_f32_e32 v28, v33, v15
	v_add_f32_e32 v27, v27, v28
	v_mul_f32_e32 v28, v33, v18
	v_fma_f32 v28, v32, v17, -v28
	v_mul_f32_e32 v20, v33, v16
	v_add_f32_e32 v26, v26, v28
	v_mul_f32_e32 v28, v22, v16
	v_mul_f32_e32 v16, v21, v16
	v_fmac_f32_e32 v16, v22, v15
	v_fma_f32 v20, v32, v15, -v20
	v_fma_f32 v28, v21, v15, -v28
	v_add_f32_e32 v25, v25, v16
	v_mul_f32_e32 v15, v22, v18
	v_mul_f32_e32 v16, v21, v18
	v_add_f32_e32 v20, v29, v20
	v_mul_f32_e32 v29, v32, v18
	v_fma_f32 v15, v21, v17, -v15
	v_fmac_f32_e32 v16, v22, v17
	v_fmac_f32_e32 v29, v33, v17
	v_add_f32_e32 v19, v19, v15
	v_add_f32_e32 v10, v10, v16
	ds_read2_b64 v[15:18], v13 offset0:192 offset1:208
	v_add_f32_e32 v24, v24, v28
	v_add_f32_e32 v23, v23, v29
	s_waitcnt lgkmcnt(0)
	v_mul_f32_e32 v21, v3, v16
	v_fma_f32 v21, v2, v15, -v21
	v_add_f32_e32 v28, v20, v21
	v_mul_f32_e32 v20, v3, v18
	v_mul_f32_e32 v22, v2, v16
	v_fma_f32 v20, v2, v17, -v20
	v_mul_f32_e32 v2, v2, v18
	v_fmac_f32_e32 v22, v3, v15
	v_fmac_f32_e32 v2, v3, v17
	v_add_f32_e32 v29, v27, v22
	v_add_f32_e32 v3, v26, v20
	v_add_f32_e32 v2, v23, v2
	ds_read_b128 v[20:23], v14 offset:1072
	s_waitcnt lgkmcnt(0)
	v_mul_f32_e32 v26, v21, v16
	v_mul_f32_e32 v16, v20, v16
	v_fma_f32 v26, v20, v15, -v26
	v_fmac_f32_e32 v16, v21, v15
	v_add_f32_e32 v15, v24, v26
	v_add_f32_e32 v30, v25, v16
	ds_read2_b64 v[24:27], v13 offset0:224 offset1:240
	v_mul_f32_e32 v16, v21, v18
	v_fma_f32 v16, v20, v17, -v16
	v_add_f32_e32 v31, v19, v16
	v_mul_f32_e32 v18, v20, v18
	s_waitcnt lgkmcnt(0)
	v_mul_f32_e32 v16, v5, v25
	v_fma_f32 v16, v4, v24, -v16
	v_add_f32_e32 v20, v28, v16
	v_mul_f32_e32 v16, v5, v27
	v_fmac_f32_e32 v18, v21, v17
	v_mul_f32_e32 v17, v4, v25
	v_fma_f32 v16, v4, v26, -v16
	v_mul_f32_e32 v4, v4, v27
	v_fmac_f32_e32 v4, v5, v26
	v_add_f32_e32 v10, v10, v18
	v_add_f32_e32 v18, v3, v16
	;; [unrolled: 1-line block ×3, first 2 shown]
	v_mul_f32_e32 v2, v23, v25
	v_mul_f32_e32 v3, v22, v25
	v_fmac_f32_e32 v17, v5, v24
	v_fma_f32 v2, v22, v24, -v2
	v_fmac_f32_e32 v3, v23, v24
	v_add_f32_e32 v21, v29, v17
	v_add_f32_e32 v16, v15, v2
	;; [unrolled: 1-line block ×3, first 2 shown]
	v_mul_f32_e32 v2, v23, v27
	v_mul_f32_e32 v3, v22, v27
	v_fma_f32 v2, v22, v26, -v2
	v_fmac_f32_e32 v3, v23, v26
	v_add_f32_e32 v15, v31, v2
	v_add_f32_e32 v10, v10, v3
	v_mov_b32_e32 v3, s1
	v_mov_b32_e32 v2, s0
	v_cmp_le_u64_e32 vcc, s[12:13], v[2:3]
	s_barrier
	s_cbranch_vccz .LBB1108_2
	s_branch .LBB1108_4
.LBB1108_3:
	v_mov_b32_e32 v20, 0
	v_mov_b32_e32 v21, 0
	;; [unrolled: 1-line block ×8, first 2 shown]
.LBB1108_4:
	s_load_dwordx2 s[10:11], s[4:5], 0x60
	s_load_dword s9, s[4:5], 0x0
	s_load_dwordx4 s[0:3], s[4:5], 0x50
	v_add_u32_e32 v4, s7, v1
	v_ashrrev_i32_e32 v1, 31, v4
	s_waitcnt lgkmcnt(0)
	s_mul_i32 s5, s11, s8
	s_mul_hi_u32 s11, s10, s8
	s_mul_i32 s4, s10, s8
	s_add_i32 s5, s11, s5
	v_mul_lo_u32 v3, s2, v1
	v_mul_lo_u32 v5, s3, v4
	v_mad_u64_u32 v[1:2], s[10:11], s2, v4, 0
	s_lshl_b64 s[4:5], s[4:5], 3
	s_add_u32 s8, s0, s4
	v_add3_u32 v2, v2, v3, v5
	v_lshlrev_b64 v[1:2], 3, v[1:2]
	s_addc_u32 s7, s1, s5
	v_mov_b32_e32 v3, s7
	v_add_co_u32_e64 v5, s[0:1], s8, v1
	v_add_u32_e32 v0, s6, v0
	v_addc_co_u32_e64 v6, s[0:1], v3, v2, s[0:1]
	v_cmp_gt_i32_e32 vcc, s9, v4
	v_cmp_le_i32_e64 s[0:1], v0, v4
	s_and_b64 s[0:1], vcc, s[0:1]
	s_and_saveexec_b64 s[4:5], s[0:1]
	s_cbranch_execz .LBB1108_6
; %bb.5:
	v_mul_f32_e32 v1, s15, v21
	v_fma_f32 v2, v20, s14, -v1
	v_ashrrev_i32_e32 v1, 31, v0
	v_lshlrev_b64 v[7:8], 3, v[0:1]
	v_mul_f32_e32 v3, s14, v21
	v_add_co_u32_e64 v7, s[0:1], v5, v7
	v_fmac_f32_e32 v3, s15, v20
	v_addc_co_u32_e64 v8, s[0:1], v6, v8, s[0:1]
	global_store_dwordx2 v[7:8], v[2:3], off
.LBB1108_6:
	s_or_b64 exec, exec, s[4:5]
	v_add_u32_e32 v2, 16, v0
	v_cmp_le_i32_e64 s[0:1], v2, v4
	s_and_b64 s[4:5], vcc, s[0:1]
	s_and_saveexec_b64 s[0:1], s[4:5]
	s_cbranch_execz .LBB1108_8
; %bb.7:
	v_ashrrev_i32_e32 v3, 31, v2
	v_lshlrev_b64 v[11:12], 3, v[2:3]
	v_mul_f32_e32 v1, s15, v19
	v_mul_f32_e32 v8, s14, v19
	v_add_co_u32_e32 v5, vcc, v5, v11
	v_fma_f32 v7, v18, s14, -v1
	v_fmac_f32_e32 v8, s15, v18
	v_addc_co_u32_e32 v6, vcc, v6, v12, vcc
	global_store_dwordx2 v[5:6], v[7:8], off
.LBB1108_8:
	s_or_b64 exec, exec, s[0:1]
	v_add_u32_e32 v3, 16, v4
	v_ashrrev_i32_e32 v1, 31, v3
	v_mul_lo_u32 v1, s2, v1
	v_mul_lo_u32 v6, s3, v3
	v_mad_u64_u32 v[4:5], s[0:1], s2, v3, 0
	v_cmp_gt_i32_e32 vcc, s9, v3
	v_add3_u32 v5, v5, v1, v6
	v_lshlrev_b64 v[4:5], 3, v[4:5]
	v_mov_b32_e32 v1, s7
	v_add_co_u32_e64 v4, s[0:1], s8, v4
	v_addc_co_u32_e64 v5, s[0:1], v1, v5, s[0:1]
	v_cmp_le_i32_e64 s[0:1], v0, v3
	s_and_b64 s[0:1], vcc, s[0:1]
	s_and_saveexec_b64 s[2:3], s[0:1]
	s_cbranch_execz .LBB1108_10
; %bb.9:
	v_mul_f32_e32 v1, s15, v17
	v_fma_f32 v6, v16, s14, -v1
	v_ashrrev_i32_e32 v1, 31, v0
	v_lshlrev_b64 v[0:1], 3, v[0:1]
	v_mul_f32_e32 v7, s14, v17
	v_add_co_u32_e64 v0, s[0:1], v4, v0
	v_fmac_f32_e32 v7, s15, v16
	v_addc_co_u32_e64 v1, s[0:1], v5, v1, s[0:1]
	global_store_dwordx2 v[0:1], v[6:7], off
.LBB1108_10:
	s_or_b64 exec, exec, s[2:3]
	v_cmp_le_i32_e64 s[0:1], v2, v3
	s_and_b64 s[0:1], vcc, s[0:1]
	s_and_saveexec_b64 s[2:3], s[0:1]
	s_cbranch_execz .LBB1108_12
; %bb.11:
	v_ashrrev_i32_e32 v3, 31, v2
	v_lshlrev_b64 v[2:3], 3, v[2:3]
	v_mul_f32_e32 v0, s15, v10
	v_mul_f32_e32 v1, s14, v10
	v_add_co_u32_e32 v2, vcc, v4, v2
	v_fma_f32 v0, v15, s14, -v0
	v_fmac_f32_e32 v1, s15, v15
	v_addc_co_u32_e32 v3, vcc, v5, v3, vcc
	global_store_dwordx2 v[2:3], v[0:1], off
.LBB1108_12:
	s_endpgm
	.section	.rodata,"a",@progbits
	.p2align	6, 0x0
	.amdhsa_kernel _ZL37rocblas_syrkx_herkx_restricted_kernelIl19rocblas_complex_numIfELi16ELi32ELi8ELb1ELb0ELc67ELc85EKS1_S1_EviT_T0_PT8_S3_lS6_S3_lS4_PT9_S3_li
		.amdhsa_group_segment_fixed_size 4096
		.amdhsa_private_segment_fixed_size 0
		.amdhsa_kernarg_size 108
		.amdhsa_user_sgpr_count 6
		.amdhsa_user_sgpr_private_segment_buffer 1
		.amdhsa_user_sgpr_dispatch_ptr 0
		.amdhsa_user_sgpr_queue_ptr 0
		.amdhsa_user_sgpr_kernarg_segment_ptr 1
		.amdhsa_user_sgpr_dispatch_id 0
		.amdhsa_user_sgpr_flat_scratch_init 0
		.amdhsa_user_sgpr_private_segment_size 0
		.amdhsa_uses_dynamic_stack 0
		.amdhsa_system_sgpr_private_segment_wavefront_offset 0
		.amdhsa_system_sgpr_workgroup_id_x 1
		.amdhsa_system_sgpr_workgroup_id_y 1
		.amdhsa_system_sgpr_workgroup_id_z 1
		.amdhsa_system_sgpr_workgroup_info 0
		.amdhsa_system_vgpr_workitem_id 1
		.amdhsa_next_free_vgpr 41
		.amdhsa_next_free_sgpr 28
		.amdhsa_reserve_vcc 1
		.amdhsa_reserve_flat_scratch 0
		.amdhsa_float_round_mode_32 0
		.amdhsa_float_round_mode_16_64 0
		.amdhsa_float_denorm_mode_32 3
		.amdhsa_float_denorm_mode_16_64 3
		.amdhsa_dx10_clamp 1
		.amdhsa_ieee_mode 1
		.amdhsa_fp16_overflow 0
		.amdhsa_exception_fp_ieee_invalid_op 0
		.amdhsa_exception_fp_denorm_src 0
		.amdhsa_exception_fp_ieee_div_zero 0
		.amdhsa_exception_fp_ieee_overflow 0
		.amdhsa_exception_fp_ieee_underflow 0
		.amdhsa_exception_fp_ieee_inexact 0
		.amdhsa_exception_int_div_zero 0
	.end_amdhsa_kernel
	.section	.text._ZL37rocblas_syrkx_herkx_restricted_kernelIl19rocblas_complex_numIfELi16ELi32ELi8ELb1ELb0ELc67ELc85EKS1_S1_EviT_T0_PT8_S3_lS6_S3_lS4_PT9_S3_li,"axG",@progbits,_ZL37rocblas_syrkx_herkx_restricted_kernelIl19rocblas_complex_numIfELi16ELi32ELi8ELb1ELb0ELc67ELc85EKS1_S1_EviT_T0_PT8_S3_lS6_S3_lS4_PT9_S3_li,comdat
.Lfunc_end1108:
	.size	_ZL37rocblas_syrkx_herkx_restricted_kernelIl19rocblas_complex_numIfELi16ELi32ELi8ELb1ELb0ELc67ELc85EKS1_S1_EviT_T0_PT8_S3_lS6_S3_lS4_PT9_S3_li, .Lfunc_end1108-_ZL37rocblas_syrkx_herkx_restricted_kernelIl19rocblas_complex_numIfELi16ELi32ELi8ELb1ELb0ELc67ELc85EKS1_S1_EviT_T0_PT8_S3_lS6_S3_lS4_PT9_S3_li
                                        ; -- End function
	.set _ZL37rocblas_syrkx_herkx_restricted_kernelIl19rocblas_complex_numIfELi16ELi32ELi8ELb1ELb0ELc67ELc85EKS1_S1_EviT_T0_PT8_S3_lS6_S3_lS4_PT9_S3_li.num_vgpr, 41
	.set _ZL37rocblas_syrkx_herkx_restricted_kernelIl19rocblas_complex_numIfELi16ELi32ELi8ELb1ELb0ELc67ELc85EKS1_S1_EviT_T0_PT8_S3_lS6_S3_lS4_PT9_S3_li.num_agpr, 0
	.set _ZL37rocblas_syrkx_herkx_restricted_kernelIl19rocblas_complex_numIfELi16ELi32ELi8ELb1ELb0ELc67ELc85EKS1_S1_EviT_T0_PT8_S3_lS6_S3_lS4_PT9_S3_li.numbered_sgpr, 28
	.set _ZL37rocblas_syrkx_herkx_restricted_kernelIl19rocblas_complex_numIfELi16ELi32ELi8ELb1ELb0ELc67ELc85EKS1_S1_EviT_T0_PT8_S3_lS6_S3_lS4_PT9_S3_li.num_named_barrier, 0
	.set _ZL37rocblas_syrkx_herkx_restricted_kernelIl19rocblas_complex_numIfELi16ELi32ELi8ELb1ELb0ELc67ELc85EKS1_S1_EviT_T0_PT8_S3_lS6_S3_lS4_PT9_S3_li.private_seg_size, 0
	.set _ZL37rocblas_syrkx_herkx_restricted_kernelIl19rocblas_complex_numIfELi16ELi32ELi8ELb1ELb0ELc67ELc85EKS1_S1_EviT_T0_PT8_S3_lS6_S3_lS4_PT9_S3_li.uses_vcc, 1
	.set _ZL37rocblas_syrkx_herkx_restricted_kernelIl19rocblas_complex_numIfELi16ELi32ELi8ELb1ELb0ELc67ELc85EKS1_S1_EviT_T0_PT8_S3_lS6_S3_lS4_PT9_S3_li.uses_flat_scratch, 0
	.set _ZL37rocblas_syrkx_herkx_restricted_kernelIl19rocblas_complex_numIfELi16ELi32ELi8ELb1ELb0ELc67ELc85EKS1_S1_EviT_T0_PT8_S3_lS6_S3_lS4_PT9_S3_li.has_dyn_sized_stack, 0
	.set _ZL37rocblas_syrkx_herkx_restricted_kernelIl19rocblas_complex_numIfELi16ELi32ELi8ELb1ELb0ELc67ELc85EKS1_S1_EviT_T0_PT8_S3_lS6_S3_lS4_PT9_S3_li.has_recursion, 0
	.set _ZL37rocblas_syrkx_herkx_restricted_kernelIl19rocblas_complex_numIfELi16ELi32ELi8ELb1ELb0ELc67ELc85EKS1_S1_EviT_T0_PT8_S3_lS6_S3_lS4_PT9_S3_li.has_indirect_call, 0
	.section	.AMDGPU.csdata,"",@progbits
; Kernel info:
; codeLenInByte = 2056
; TotalNumSgprs: 32
; NumVgprs: 41
; ScratchSize: 0
; MemoryBound: 0
; FloatMode: 240
; IeeeMode: 1
; LDSByteSize: 4096 bytes/workgroup (compile time only)
; SGPRBlocks: 3
; VGPRBlocks: 10
; NumSGPRsForWavesPerEU: 32
; NumVGPRsForWavesPerEU: 41
; Occupancy: 5
; WaveLimiterHint : 1
; COMPUTE_PGM_RSRC2:SCRATCH_EN: 0
; COMPUTE_PGM_RSRC2:USER_SGPR: 6
; COMPUTE_PGM_RSRC2:TRAP_HANDLER: 0
; COMPUTE_PGM_RSRC2:TGID_X_EN: 1
; COMPUTE_PGM_RSRC2:TGID_Y_EN: 1
; COMPUTE_PGM_RSRC2:TGID_Z_EN: 1
; COMPUTE_PGM_RSRC2:TIDIG_COMP_CNT: 1
	.section	.text._ZL37rocblas_syrkx_herkx_restricted_kernelIl19rocblas_complex_numIfELi16ELi32ELi8ELb1ELb0ELc78ELc85EKS1_S1_EviT_T0_PT8_S3_lS6_S3_lS4_PT9_S3_li,"axG",@progbits,_ZL37rocblas_syrkx_herkx_restricted_kernelIl19rocblas_complex_numIfELi16ELi32ELi8ELb1ELb0ELc78ELc85EKS1_S1_EviT_T0_PT8_S3_lS6_S3_lS4_PT9_S3_li,comdat
	.globl	_ZL37rocblas_syrkx_herkx_restricted_kernelIl19rocblas_complex_numIfELi16ELi32ELi8ELb1ELb0ELc78ELc85EKS1_S1_EviT_T0_PT8_S3_lS6_S3_lS4_PT9_S3_li ; -- Begin function _ZL37rocblas_syrkx_herkx_restricted_kernelIl19rocblas_complex_numIfELi16ELi32ELi8ELb1ELb0ELc78ELc85EKS1_S1_EviT_T0_PT8_S3_lS6_S3_lS4_PT9_S3_li
	.p2align	8
	.type	_ZL37rocblas_syrkx_herkx_restricted_kernelIl19rocblas_complex_numIfELi16ELi32ELi8ELb1ELb0ELc78ELc85EKS1_S1_EviT_T0_PT8_S3_lS6_S3_lS4_PT9_S3_li,@function
_ZL37rocblas_syrkx_herkx_restricted_kernelIl19rocblas_complex_numIfELi16ELi32ELi8ELb1ELb0ELc78ELc85EKS1_S1_EviT_T0_PT8_S3_lS6_S3_lS4_PT9_S3_li: ; @_ZL37rocblas_syrkx_herkx_restricted_kernelIl19rocblas_complex_numIfELi16ELi32ELi8ELb1ELb0ELc78ELc85EKS1_S1_EviT_T0_PT8_S3_lS6_S3_lS4_PT9_S3_li
; %bb.0:
	s_load_dwordx16 s[12:27], s[4:5], 0x8
	s_lshl_b32 s9, s6, 5
	s_lshl_b32 s10, s7, 5
	s_waitcnt lgkmcnt(0)
	v_cmp_lt_i64_e64 s[0:1], s[12:13], 1
	s_and_b64 vcc, exec, s[0:1]
	s_cbranch_vccnz .LBB1109_3
; %bb.1:
	v_lshl_add_u32 v5, v1, 4, v0
	v_lshrrev_b32_e32 v6, 3, v5
	v_add_u32_e32 v2, s10, v6
	v_and_b32_e32 v7, 7, v0
	v_ashrrev_i32_e32 v3, 31, v2
	v_mad_u64_u32 v[2:3], s[0:1], s24, v7, v[2:3]
	v_lshrrev_b32_e32 v8, 5, v5
	s_mul_i32 s2, s21, s8
	v_mad_u64_u32 v[3:4], s[0:1], s25, v7, v[3:4]
	v_and_b32_e32 v4, 31, v5
	v_lshlrev_b32_e32 v5, 3, v4
	v_lshl_or_b32 v10, v8, 8, v5
	v_lshlrev_b32_e32 v5, 3, v7
	v_lshl_or_b32 v5, v6, 6, v5
	v_add_u32_e32 v4, s9, v4
	v_add_u32_e32 v11, 0x800, v5
	v_ashrrev_i32_e32 v5, 31, v4
	v_mad_u64_u32 v[4:5], s[0:1], s18, v8, v[4:5]
	v_mov_b32_e32 v6, 0x800
	v_lshl_add_u32 v13, v1, 6, v6
	v_mad_u64_u32 v[5:6], s[0:1], s19, v8, v[5:6]
	s_mul_hi_u32 s3, s20, s8
	s_add_i32 s1, s3, s2
	s_mul_i32 s0, s20, s8
	s_lshl_b64 s[0:1], s[0:1], 3
	v_lshlrev_b64 v[4:5], 3, v[4:5]
	s_add_u32 s0, s16, s0
	s_addc_u32 s1, s17, s1
	s_mul_i32 s2, s27, s8
	s_mul_hi_u32 s3, s26, s8
	v_mov_b32_e32 v6, s1
	v_add_co_u32_e32 v4, vcc, s0, v4
	s_add_i32 s3, s3, s2
	s_mul_i32 s2, s26, s8
	v_addc_co_u32_e32 v5, vcc, v6, v5, vcc
	s_lshl_b64 s[0:1], s[18:19], 6
	s_lshl_b64 s[2:3], s[2:3], 3
	v_add_co_u32_e32 v6, vcc, 4, v4
	v_lshlrev_b64 v[2:3], 3, v[2:3]
	s_add_u32 s2, s22, s2
	v_addc_co_u32_e32 v7, vcc, 0, v5, vcc
	s_addc_u32 s3, s23, s3
	v_mov_b32_e32 v4, s3
	v_add_co_u32_e32 v2, vcc, s2, v2
	v_addc_co_u32_e32 v3, vcc, v4, v3, vcc
	v_add_co_u32_e32 v8, vcc, 4, v2
	s_lshl_b64 s[2:3], s[24:25], 6
	v_lshlrev_b32_e32 v12, 3, v0
	v_addc_co_u32_e32 v9, vcc, 0, v3, vcc
	v_mov_b32_e32 v16, 0
	s_mov_b64 s[6:7], 0
	v_mov_b32_e32 v14, s1
	v_mov_b32_e32 v15, s3
	;; [unrolled: 1-line block ×9, first 2 shown]
.LBB1109_2:                             ; =>This Inner Loop Header: Depth=1
	global_load_dwordx2 v[2:3], v[6:7], off offset:-4
	v_add_co_u32_e32 v6, vcc, s0, v6
	s_add_u32 s6, s6, 8
	v_addc_co_u32_e32 v7, vcc, v7, v14, vcc
	s_addc_u32 s7, s7, 0
	s_waitcnt vmcnt(0)
	ds_write_b64 v10, v[2:3]
	global_load_dwordx2 v[2:3], v[8:9], off offset:-4
	v_add_co_u32_e32 v8, vcc, s2, v8
	v_addc_co_u32_e32 v9, vcc, v9, v15, vcc
	s_waitcnt vmcnt(0)
	ds_write_b64 v11, v[2:3]
	s_waitcnt lgkmcnt(0)
	s_barrier
	ds_read_b128 v[24:27], v13
	ds_read_b128 v[28:31], v13 offset:16
	ds_read_b128 v[32:35], v13 offset:32
	;; [unrolled: 1-line block ×3, first 2 shown]
	ds_read2_b64 v[36:39], v12 offset1:16
	s_waitcnt lgkmcnt(0)
	v_mul_f32_e32 v40, v25, v37
	v_mul_f32_e32 v41, v24, v37
	v_fma_f32 v40, v24, v36, -v40
	v_fmac_f32_e32 v41, v25, v36
	v_add_f32_e32 v40, v22, v40
	v_add_f32_e32 v41, v23, v41
	v_mul_f32_e32 v22, v25, v39
	v_mul_f32_e32 v23, v24, v39
	v_fma_f32 v22, v24, v38, -v22
	v_fmac_f32_e32 v23, v25, v38
	v_add_f32_e32 v24, v20, v22
	v_add_f32_e32 v25, v21, v23
	ds_read_b128 v[20:23], v13 offset:1024
	s_waitcnt lgkmcnt(0)
	v_mul_f32_e32 v42, v21, v37
	v_mul_f32_e32 v37, v20, v37
	v_fma_f32 v42, v20, v36, -v42
	v_fmac_f32_e32 v37, v21, v36
	v_add_f32_e32 v36, v18, v42
	v_add_f32_e32 v37, v19, v37
	v_mul_f32_e32 v18, v21, v39
	v_mul_f32_e32 v19, v20, v39
	v_fma_f32 v18, v20, v38, -v18
	v_fmac_f32_e32 v19, v21, v38
	v_add_f32_e32 v20, v17, v18
	v_add_f32_e32 v21, v16, v19
	ds_read2_b64 v[16:19], v12 offset0:32 offset1:48
	s_waitcnt lgkmcnt(0)
	v_mul_f32_e32 v38, v27, v17
	v_fma_f32 v38, v26, v16, -v38
	v_add_f32_e32 v38, v40, v38
	v_mul_f32_e32 v40, v27, v19
	v_mul_f32_e32 v39, v26, v17
	v_fma_f32 v40, v26, v18, -v40
	v_mul_f32_e32 v26, v26, v19
	v_fmac_f32_e32 v26, v27, v18
	v_add_f32_e32 v25, v25, v26
	v_mul_f32_e32 v26, v23, v17
	v_mul_f32_e32 v17, v22, v17
	v_fmac_f32_e32 v17, v23, v16
	v_fmac_f32_e32 v39, v27, v16
	v_fma_f32 v26, v22, v16, -v26
	v_add_f32_e32 v27, v37, v17
	v_mul_f32_e32 v16, v23, v19
	v_mul_f32_e32 v17, v22, v19
	v_fma_f32 v16, v22, v18, -v16
	v_fmac_f32_e32 v17, v23, v18
	v_add_f32_e32 v26, v36, v26
	v_add_f32_e32 v36, v20, v16
	v_add_f32_e32 v37, v21, v17
	ds_read2_b64 v[16:19], v12 offset0:64 offset1:80
	v_add_f32_e32 v39, v41, v39
	v_add_f32_e32 v24, v24, v40
	s_waitcnt lgkmcnt(0)
	v_mul_f32_e32 v20, v29, v17
	v_mul_f32_e32 v21, v28, v17
	v_fma_f32 v20, v28, v16, -v20
	v_fmac_f32_e32 v21, v29, v16
	v_add_f32_e32 v38, v38, v20
	v_add_f32_e32 v39, v39, v21
	v_mul_f32_e32 v20, v29, v19
	v_mul_f32_e32 v21, v28, v19
	v_fma_f32 v20, v28, v18, -v20
	v_fmac_f32_e32 v21, v29, v18
	v_add_f32_e32 v24, v24, v20
	v_add_f32_e32 v25, v25, v21
	ds_read_b128 v[20:23], v13 offset:1040
	s_waitcnt lgkmcnt(0)
	v_mul_f32_e32 v28, v21, v17
	v_mul_f32_e32 v17, v20, v17
	v_fmac_f32_e32 v17, v21, v16
	v_fma_f32 v28, v20, v16, -v28
	v_add_f32_e32 v27, v27, v17
	v_mul_f32_e32 v16, v21, v19
	v_mul_f32_e32 v17, v20, v19
	v_fma_f32 v16, v20, v18, -v16
	v_fmac_f32_e32 v17, v21, v18
	v_add_f32_e32 v20, v36, v16
	v_add_f32_e32 v21, v37, v17
	ds_read2_b64 v[16:19], v12 offset0:96 offset1:112
	v_add_f32_e32 v26, v26, v28
	s_waitcnt lgkmcnt(0)
	v_mul_f32_e32 v28, v31, v17
	v_mul_f32_e32 v36, v31, v19
	v_fma_f32 v28, v30, v16, -v28
	v_mul_f32_e32 v29, v30, v17
	v_fma_f32 v36, v30, v18, -v36
	v_mul_f32_e32 v30, v30, v19
	v_fmac_f32_e32 v30, v31, v18
	v_add_f32_e32 v25, v25, v30
	v_mul_f32_e32 v30, v23, v17
	v_mul_f32_e32 v17, v22, v17
	v_fmac_f32_e32 v17, v23, v16
	v_fmac_f32_e32 v29, v31, v16
	v_fma_f32 v30, v22, v16, -v30
	v_add_f32_e32 v27, v27, v17
	v_mul_f32_e32 v16, v23, v19
	v_mul_f32_e32 v17, v22, v19
	v_fma_f32 v16, v22, v18, -v16
	v_fmac_f32_e32 v17, v23, v18
	v_add_f32_e32 v26, v26, v30
	v_add_f32_e32 v30, v20, v16
	;; [unrolled: 1-line block ×3, first 2 shown]
	ds_read2_b64 v[16:19], v12 offset0:128 offset1:144
	v_add_f32_e32 v28, v38, v28
	v_add_f32_e32 v29, v39, v29
	;; [unrolled: 1-line block ×3, first 2 shown]
	s_waitcnt lgkmcnt(0)
	v_mul_f32_e32 v20, v33, v17
	v_mul_f32_e32 v21, v32, v17
	v_fma_f32 v20, v32, v16, -v20
	v_fmac_f32_e32 v21, v33, v16
	v_add_f32_e32 v28, v28, v20
	v_add_f32_e32 v29, v29, v21
	v_mul_f32_e32 v20, v33, v19
	v_mul_f32_e32 v21, v32, v19
	v_fma_f32 v20, v32, v18, -v20
	v_fmac_f32_e32 v21, v33, v18
	v_add_f32_e32 v24, v24, v20
	v_add_f32_e32 v25, v25, v21
	ds_read_b128 v[20:23], v13 offset:1056
	s_waitcnt lgkmcnt(0)
	v_mul_f32_e32 v32, v21, v17
	v_mul_f32_e32 v17, v20, v17
	v_fmac_f32_e32 v17, v21, v16
	v_fma_f32 v32, v20, v16, -v32
	v_add_f32_e32 v27, v27, v17
	v_mul_f32_e32 v16, v21, v19
	v_mul_f32_e32 v17, v20, v19
	v_fma_f32 v16, v20, v18, -v16
	v_fmac_f32_e32 v17, v21, v18
	v_add_f32_e32 v20, v30, v16
	v_add_f32_e32 v21, v31, v17
	ds_read2_b64 v[16:19], v12 offset0:160 offset1:176
	v_add_f32_e32 v26, v26, v32
	s_waitcnt lgkmcnt(0)
	v_mul_f32_e32 v30, v35, v17
	v_fma_f32 v30, v34, v16, -v30
	v_add_f32_e32 v28, v28, v30
	v_mul_f32_e32 v30, v35, v19
	v_fma_f32 v30, v34, v18, -v30
	v_mul_f32_e32 v31, v34, v17
	v_add_f32_e32 v24, v24, v30
	v_mul_f32_e32 v30, v23, v17
	v_mul_f32_e32 v17, v22, v17
	v_fmac_f32_e32 v17, v23, v16
	v_fmac_f32_e32 v31, v35, v16
	v_fma_f32 v30, v22, v16, -v30
	v_add_f32_e32 v27, v27, v17
	v_mul_f32_e32 v16, v23, v19
	v_mul_f32_e32 v17, v22, v19
	v_add_f32_e32 v29, v29, v31
	v_mul_f32_e32 v31, v34, v19
	v_fma_f32 v16, v22, v18, -v16
	v_fmac_f32_e32 v17, v23, v18
	v_fmac_f32_e32 v31, v35, v18
	v_add_f32_e32 v20, v20, v16
	v_add_f32_e32 v21, v21, v17
	ds_read2_b64 v[16:19], v12 offset0:192 offset1:208
	v_add_f32_e32 v26, v26, v30
	v_add_f32_e32 v25, v25, v31
	s_waitcnt lgkmcnt(0)
	v_mul_f32_e32 v22, v3, v17
	v_fma_f32 v22, v2, v16, -v22
	v_add_f32_e32 v30, v28, v22
	v_mul_f32_e32 v22, v3, v19
	v_mul_f32_e32 v23, v2, v17
	v_fma_f32 v22, v2, v18, -v22
	v_mul_f32_e32 v2, v2, v19
	v_fmac_f32_e32 v23, v3, v16
	v_fmac_f32_e32 v2, v3, v18
	v_add_f32_e32 v31, v29, v23
	v_add_f32_e32 v3, v24, v22
	v_add_f32_e32 v2, v25, v2
	ds_read_b128 v[22:25], v13 offset:1072
	s_waitcnt lgkmcnt(0)
	v_mul_f32_e32 v28, v23, v17
	v_fma_f32 v28, v22, v16, -v28
	v_mul_f32_e32 v17, v22, v17
	v_fmac_f32_e32 v17, v23, v16
	v_add_f32_e32 v16, v26, v28
	v_mul_f32_e32 v26, v23, v19
	v_fma_f32 v26, v22, v18, -v26
	v_add_f32_e32 v17, v27, v17
	v_add_f32_e32 v32, v20, v26
	ds_read2_b64 v[26:29], v12 offset0:224 offset1:240
	v_mul_f32_e32 v19, v22, v19
	v_fmac_f32_e32 v19, v23, v18
	v_add_f32_e32 v33, v21, v19
	s_waitcnt lgkmcnt(0)
	v_mul_f32_e32 v18, v5, v27
	v_fma_f32 v18, v4, v26, -v18
	v_add_f32_e32 v22, v30, v18
	v_mul_f32_e32 v18, v5, v29
	v_mul_f32_e32 v19, v4, v27
	v_fma_f32 v18, v4, v28, -v18
	v_mul_f32_e32 v4, v4, v29
	v_fmac_f32_e32 v4, v5, v28
	v_add_f32_e32 v20, v3, v18
	v_add_f32_e32 v21, v2, v4
	v_mul_f32_e32 v2, v25, v27
	v_mul_f32_e32 v3, v24, v27
	v_fmac_f32_e32 v19, v5, v26
	v_fma_f32 v2, v24, v26, -v2
	v_fmac_f32_e32 v3, v25, v26
	v_add_f32_e32 v23, v31, v19
	v_add_f32_e32 v18, v16, v2
	;; [unrolled: 1-line block ×3, first 2 shown]
	v_mul_f32_e32 v2, v25, v29
	v_mul_f32_e32 v3, v24, v29
	v_fma_f32 v2, v24, v28, -v2
	v_fmac_f32_e32 v3, v25, v28
	v_add_f32_e32 v17, v32, v2
	v_add_f32_e32 v16, v33, v3
	v_mov_b32_e32 v2, s6
	v_mov_b32_e32 v3, s7
	v_cmp_le_u64_e32 vcc, s[12:13], v[2:3]
	s_barrier
	s_cbranch_vccz .LBB1109_2
	s_branch .LBB1109_4
.LBB1109_3:
	v_mov_b32_e32 v22, 0
	v_mov_b32_e32 v23, 0
	;; [unrolled: 1-line block ×8, first 2 shown]
.LBB1109_4:
	s_load_dwordx2 s[12:13], s[4:5], 0x60
	s_load_dword s6, s[4:5], 0x0
	s_load_dwordx4 s[0:3], s[4:5], 0x50
	v_add_u32_e32 v4, s10, v1
	v_ashrrev_i32_e32 v1, 31, v4
	s_waitcnt lgkmcnt(0)
	s_mul_i32 s5, s13, s8
	s_mul_hi_u32 s7, s12, s8
	v_mul_lo_u32 v3, s2, v1
	v_mul_lo_u32 v5, s3, v4
	v_mad_u64_u32 v[1:2], s[10:11], s2, v4, 0
	s_mul_i32 s4, s12, s8
	s_add_i32 s5, s7, s5
	s_lshl_b64 s[4:5], s[4:5], 3
	v_add3_u32 v2, v2, v3, v5
	s_add_u32 s7, s0, s4
	v_lshlrev_b64 v[1:2], 3, v[1:2]
	s_addc_u32 s8, s1, s5
	v_mov_b32_e32 v3, s8
	v_add_co_u32_e64 v5, s[0:1], s7, v1
	v_add_u32_e32 v0, s9, v0
	v_addc_co_u32_e64 v6, s[0:1], v3, v2, s[0:1]
	v_cmp_gt_i32_e32 vcc, s6, v4
	v_cmp_le_i32_e64 s[0:1], v0, v4
	s_and_b64 s[0:1], vcc, s[0:1]
	s_and_saveexec_b64 s[4:5], s[0:1]
	s_cbranch_execz .LBB1109_6
; %bb.5:
	v_mul_f32_e32 v1, s15, v23
	v_fma_f32 v2, v22, s14, -v1
	v_ashrrev_i32_e32 v1, 31, v0
	v_lshlrev_b64 v[7:8], 3, v[0:1]
	v_mul_f32_e32 v3, s14, v23
	v_add_co_u32_e64 v7, s[0:1], v5, v7
	v_fmac_f32_e32 v3, s15, v22
	v_addc_co_u32_e64 v8, s[0:1], v6, v8, s[0:1]
	global_store_dwordx2 v[7:8], v[2:3], off
.LBB1109_6:
	s_or_b64 exec, exec, s[4:5]
	v_add_u32_e32 v2, 16, v0
	v_cmp_le_i32_e64 s[0:1], v2, v4
	s_and_b64 s[4:5], vcc, s[0:1]
	s_and_saveexec_b64 s[0:1], s[4:5]
	s_cbranch_execz .LBB1109_8
; %bb.7:
	v_ashrrev_i32_e32 v3, 31, v2
	v_lshlrev_b64 v[9:10], 3, v[2:3]
	v_mul_f32_e32 v1, s15, v21
	v_mul_f32_e32 v8, s14, v21
	v_add_co_u32_e32 v5, vcc, v5, v9
	v_fma_f32 v7, v20, s14, -v1
	v_fmac_f32_e32 v8, s15, v20
	v_addc_co_u32_e32 v6, vcc, v6, v10, vcc
	global_store_dwordx2 v[5:6], v[7:8], off
.LBB1109_8:
	s_or_b64 exec, exec, s[0:1]
	v_add_u32_e32 v3, 16, v4
	v_ashrrev_i32_e32 v1, 31, v3
	v_mul_lo_u32 v1, s2, v1
	v_mul_lo_u32 v6, s3, v3
	v_mad_u64_u32 v[4:5], s[0:1], s2, v3, 0
	v_cmp_gt_i32_e32 vcc, s6, v3
	v_add3_u32 v5, v5, v1, v6
	v_lshlrev_b64 v[4:5], 3, v[4:5]
	v_mov_b32_e32 v1, s8
	v_add_co_u32_e64 v4, s[0:1], s7, v4
	v_addc_co_u32_e64 v5, s[0:1], v1, v5, s[0:1]
	v_cmp_le_i32_e64 s[0:1], v0, v3
	s_and_b64 s[0:1], vcc, s[0:1]
	s_and_saveexec_b64 s[2:3], s[0:1]
	s_cbranch_execz .LBB1109_10
; %bb.9:
	v_mul_f32_e32 v1, s15, v19
	v_fma_f32 v6, v18, s14, -v1
	v_ashrrev_i32_e32 v1, 31, v0
	v_lshlrev_b64 v[0:1], 3, v[0:1]
	v_mul_f32_e32 v7, s14, v19
	v_add_co_u32_e64 v0, s[0:1], v4, v0
	v_fmac_f32_e32 v7, s15, v18
	v_addc_co_u32_e64 v1, s[0:1], v5, v1, s[0:1]
	global_store_dwordx2 v[0:1], v[6:7], off
.LBB1109_10:
	s_or_b64 exec, exec, s[2:3]
	v_cmp_le_i32_e64 s[0:1], v2, v3
	s_and_b64 s[0:1], vcc, s[0:1]
	s_and_saveexec_b64 s[2:3], s[0:1]
	s_cbranch_execz .LBB1109_12
; %bb.11:
	v_ashrrev_i32_e32 v3, 31, v2
	v_lshlrev_b64 v[2:3], 3, v[2:3]
	v_mul_f32_e32 v0, s15, v16
	v_mul_f32_e32 v1, s14, v16
	v_add_co_u32_e32 v2, vcc, v4, v2
	v_fma_f32 v0, v17, s14, -v0
	v_fmac_f32_e32 v1, s15, v17
	v_addc_co_u32_e32 v3, vcc, v5, v3, vcc
	global_store_dwordx2 v[2:3], v[0:1], off
.LBB1109_12:
	s_endpgm
	.section	.rodata,"a",@progbits
	.p2align	6, 0x0
	.amdhsa_kernel _ZL37rocblas_syrkx_herkx_restricted_kernelIl19rocblas_complex_numIfELi16ELi32ELi8ELb1ELb0ELc78ELc85EKS1_S1_EviT_T0_PT8_S3_lS6_S3_lS4_PT9_S3_li
		.amdhsa_group_segment_fixed_size 4096
		.amdhsa_private_segment_fixed_size 0
		.amdhsa_kernarg_size 108
		.amdhsa_user_sgpr_count 6
		.amdhsa_user_sgpr_private_segment_buffer 1
		.amdhsa_user_sgpr_dispatch_ptr 0
		.amdhsa_user_sgpr_queue_ptr 0
		.amdhsa_user_sgpr_kernarg_segment_ptr 1
		.amdhsa_user_sgpr_dispatch_id 0
		.amdhsa_user_sgpr_flat_scratch_init 0
		.amdhsa_user_sgpr_private_segment_size 0
		.amdhsa_uses_dynamic_stack 0
		.amdhsa_system_sgpr_private_segment_wavefront_offset 0
		.amdhsa_system_sgpr_workgroup_id_x 1
		.amdhsa_system_sgpr_workgroup_id_y 1
		.amdhsa_system_sgpr_workgroup_id_z 1
		.amdhsa_system_sgpr_workgroup_info 0
		.amdhsa_system_vgpr_workitem_id 1
		.amdhsa_next_free_vgpr 43
		.amdhsa_next_free_sgpr 28
		.amdhsa_reserve_vcc 1
		.amdhsa_reserve_flat_scratch 0
		.amdhsa_float_round_mode_32 0
		.amdhsa_float_round_mode_16_64 0
		.amdhsa_float_denorm_mode_32 3
		.amdhsa_float_denorm_mode_16_64 3
		.amdhsa_dx10_clamp 1
		.amdhsa_ieee_mode 1
		.amdhsa_fp16_overflow 0
		.amdhsa_exception_fp_ieee_invalid_op 0
		.amdhsa_exception_fp_denorm_src 0
		.amdhsa_exception_fp_ieee_div_zero 0
		.amdhsa_exception_fp_ieee_overflow 0
		.amdhsa_exception_fp_ieee_underflow 0
		.amdhsa_exception_fp_ieee_inexact 0
		.amdhsa_exception_int_div_zero 0
	.end_amdhsa_kernel
	.section	.text._ZL37rocblas_syrkx_herkx_restricted_kernelIl19rocblas_complex_numIfELi16ELi32ELi8ELb1ELb0ELc78ELc85EKS1_S1_EviT_T0_PT8_S3_lS6_S3_lS4_PT9_S3_li,"axG",@progbits,_ZL37rocblas_syrkx_herkx_restricted_kernelIl19rocblas_complex_numIfELi16ELi32ELi8ELb1ELb0ELc78ELc85EKS1_S1_EviT_T0_PT8_S3_lS6_S3_lS4_PT9_S3_li,comdat
.Lfunc_end1109:
	.size	_ZL37rocblas_syrkx_herkx_restricted_kernelIl19rocblas_complex_numIfELi16ELi32ELi8ELb1ELb0ELc78ELc85EKS1_S1_EviT_T0_PT8_S3_lS6_S3_lS4_PT9_S3_li, .Lfunc_end1109-_ZL37rocblas_syrkx_herkx_restricted_kernelIl19rocblas_complex_numIfELi16ELi32ELi8ELb1ELb0ELc78ELc85EKS1_S1_EviT_T0_PT8_S3_lS6_S3_lS4_PT9_S3_li
                                        ; -- End function
	.set _ZL37rocblas_syrkx_herkx_restricted_kernelIl19rocblas_complex_numIfELi16ELi32ELi8ELb1ELb0ELc78ELc85EKS1_S1_EviT_T0_PT8_S3_lS6_S3_lS4_PT9_S3_li.num_vgpr, 43
	.set _ZL37rocblas_syrkx_herkx_restricted_kernelIl19rocblas_complex_numIfELi16ELi32ELi8ELb1ELb0ELc78ELc85EKS1_S1_EviT_T0_PT8_S3_lS6_S3_lS4_PT9_S3_li.num_agpr, 0
	.set _ZL37rocblas_syrkx_herkx_restricted_kernelIl19rocblas_complex_numIfELi16ELi32ELi8ELb1ELb0ELc78ELc85EKS1_S1_EviT_T0_PT8_S3_lS6_S3_lS4_PT9_S3_li.numbered_sgpr, 28
	.set _ZL37rocblas_syrkx_herkx_restricted_kernelIl19rocblas_complex_numIfELi16ELi32ELi8ELb1ELb0ELc78ELc85EKS1_S1_EviT_T0_PT8_S3_lS6_S3_lS4_PT9_S3_li.num_named_barrier, 0
	.set _ZL37rocblas_syrkx_herkx_restricted_kernelIl19rocblas_complex_numIfELi16ELi32ELi8ELb1ELb0ELc78ELc85EKS1_S1_EviT_T0_PT8_S3_lS6_S3_lS4_PT9_S3_li.private_seg_size, 0
	.set _ZL37rocblas_syrkx_herkx_restricted_kernelIl19rocblas_complex_numIfELi16ELi32ELi8ELb1ELb0ELc78ELc85EKS1_S1_EviT_T0_PT8_S3_lS6_S3_lS4_PT9_S3_li.uses_vcc, 1
	.set _ZL37rocblas_syrkx_herkx_restricted_kernelIl19rocblas_complex_numIfELi16ELi32ELi8ELb1ELb0ELc78ELc85EKS1_S1_EviT_T0_PT8_S3_lS6_S3_lS4_PT9_S3_li.uses_flat_scratch, 0
	.set _ZL37rocblas_syrkx_herkx_restricted_kernelIl19rocblas_complex_numIfELi16ELi32ELi8ELb1ELb0ELc78ELc85EKS1_S1_EviT_T0_PT8_S3_lS6_S3_lS4_PT9_S3_li.has_dyn_sized_stack, 0
	.set _ZL37rocblas_syrkx_herkx_restricted_kernelIl19rocblas_complex_numIfELi16ELi32ELi8ELb1ELb0ELc78ELc85EKS1_S1_EviT_T0_PT8_S3_lS6_S3_lS4_PT9_S3_li.has_recursion, 0
	.set _ZL37rocblas_syrkx_herkx_restricted_kernelIl19rocblas_complex_numIfELi16ELi32ELi8ELb1ELb0ELc78ELc85EKS1_S1_EviT_T0_PT8_S3_lS6_S3_lS4_PT9_S3_li.has_indirect_call, 0
	.section	.AMDGPU.csdata,"",@progbits
; Kernel info:
; codeLenInByte = 2036
; TotalNumSgprs: 32
; NumVgprs: 43
; ScratchSize: 0
; MemoryBound: 0
; FloatMode: 240
; IeeeMode: 1
; LDSByteSize: 4096 bytes/workgroup (compile time only)
; SGPRBlocks: 3
; VGPRBlocks: 10
; NumSGPRsForWavesPerEU: 32
; NumVGPRsForWavesPerEU: 43
; Occupancy: 5
; WaveLimiterHint : 1
; COMPUTE_PGM_RSRC2:SCRATCH_EN: 0
; COMPUTE_PGM_RSRC2:USER_SGPR: 6
; COMPUTE_PGM_RSRC2:TRAP_HANDLER: 0
; COMPUTE_PGM_RSRC2:TGID_X_EN: 1
; COMPUTE_PGM_RSRC2:TGID_Y_EN: 1
; COMPUTE_PGM_RSRC2:TGID_Z_EN: 1
; COMPUTE_PGM_RSRC2:TIDIG_COMP_CNT: 1
	.section	.text._ZL37rocblas_syrkx_herkx_restricted_kernelIl19rocblas_complex_numIfELi16ELi32ELi8ELb0ELb0ELc84ELc76EKS1_S1_EviT_T0_PT8_S3_lS6_S3_lS4_PT9_S3_li,"axG",@progbits,_ZL37rocblas_syrkx_herkx_restricted_kernelIl19rocblas_complex_numIfELi16ELi32ELi8ELb0ELb0ELc84ELc76EKS1_S1_EviT_T0_PT8_S3_lS6_S3_lS4_PT9_S3_li,comdat
	.globl	_ZL37rocblas_syrkx_herkx_restricted_kernelIl19rocblas_complex_numIfELi16ELi32ELi8ELb0ELb0ELc84ELc76EKS1_S1_EviT_T0_PT8_S3_lS6_S3_lS4_PT9_S3_li ; -- Begin function _ZL37rocblas_syrkx_herkx_restricted_kernelIl19rocblas_complex_numIfELi16ELi32ELi8ELb0ELb0ELc84ELc76EKS1_S1_EviT_T0_PT8_S3_lS6_S3_lS4_PT9_S3_li
	.p2align	8
	.type	_ZL37rocblas_syrkx_herkx_restricted_kernelIl19rocblas_complex_numIfELi16ELi32ELi8ELb0ELb0ELc84ELc76EKS1_S1_EviT_T0_PT8_S3_lS6_S3_lS4_PT9_S3_li,@function
_ZL37rocblas_syrkx_herkx_restricted_kernelIl19rocblas_complex_numIfELi16ELi32ELi8ELb0ELb0ELc84ELc76EKS1_S1_EviT_T0_PT8_S3_lS6_S3_lS4_PT9_S3_li: ; @_ZL37rocblas_syrkx_herkx_restricted_kernelIl19rocblas_complex_numIfELi16ELi32ELi8ELb0ELb0ELc84ELc76EKS1_S1_EviT_T0_PT8_S3_lS6_S3_lS4_PT9_S3_li
; %bb.0:
	s_load_dwordx16 s[12:27], s[4:5], 0x8
	s_lshl_b32 s2, s6, 5
	s_lshl_b32 s3, s7, 5
	s_waitcnt lgkmcnt(0)
	v_cmp_lt_i64_e64 s[0:1], s[12:13], 1
	s_and_b64 vcc, exec, s[0:1]
	s_cbranch_vccnz .LBB1110_3
; %bb.1:
	v_lshl_add_u32 v5, v1, 4, v0
	v_lshrrev_b32_e32 v6, 3, v5
	v_add_u32_e32 v2, s3, v6
	v_and_b32_e32 v9, 7, v0
	v_ashrrev_i32_e32 v3, 31, v2
	v_mov_b32_e32 v10, 0
	v_mul_lo_u32 v7, s24, v3
	v_mul_lo_u32 v8, s25, v2
	v_mad_u64_u32 v[2:3], s[0:1], s24, v2, v[9:10]
	v_and_b32_e32 v15, 31, v5
	v_lshrrev_b32_e32 v4, 5, v5
	v_add3_u32 v3, v8, v3, v7
	v_lshlrev_b32_e32 v7, 3, v15
	v_lshl_or_b32 v11, v4, 8, v7
	v_lshlrev_b32_e32 v7, 3, v9
	v_lshl_or_b32 v6, v6, 6, v7
	v_add_u32_e32 v12, 0x800, v6
	v_mov_b32_e32 v6, 0x800
	v_lshl_add_u32 v14, v1, 6, v6
	v_add_u32_e32 v6, s2, v15
	v_mov_b32_e32 v5, v10
	v_ashrrev_i32_e32 v7, 31, v6
	v_mul_lo_u32 v7, s18, v7
	v_mad_u64_u32 v[4:5], s[0:1], s18, v6, v[4:5]
	v_mul_lo_u32 v6, s19, v6
	s_mul_i32 s6, s21, s8
	s_mul_hi_u32 s7, s20, s8
	s_add_i32 s1, s7, s6
	s_mul_i32 s0, s20, s8
	s_lshl_b64 s[0:1], s[0:1], 3
	v_add3_u32 v5, v6, v5, v7
	v_lshlrev_b64 v[4:5], 3, v[4:5]
	s_add_u32 s0, s16, s0
	s_addc_u32 s1, s17, s1
	v_mov_b32_e32 v6, s1
	v_add_co_u32_e32 v4, vcc, s0, v4
	s_mul_i32 s0, s27, s8
	s_mul_hi_u32 s1, s26, s8
	s_add_i32 s1, s1, s0
	s_mul_i32 s0, s26, s8
	v_addc_co_u32_e32 v5, vcc, v6, v5, vcc
	s_lshl_b64 s[0:1], s[0:1], 3
	v_add_co_u32_e32 v6, vcc, 4, v4
	v_lshlrev_b64 v[2:3], 3, v[2:3]
	s_add_u32 s0, s22, s0
	v_addc_co_u32_e32 v7, vcc, 0, v5, vcc
	s_addc_u32 s1, s23, s1
	v_mov_b32_e32 v4, s1
	v_add_co_u32_e32 v2, vcc, s0, v2
	v_addc_co_u32_e32 v3, vcc, v4, v3, vcc
	v_add_co_u32_e32 v8, vcc, 4, v2
	v_lshlrev_b32_e32 v13, 3, v0
	v_addc_co_u32_e32 v9, vcc, 0, v3, vcc
	s_mov_b64 s[0:1], 0
	v_mov_b32_e32 v15, v10
	v_mov_b32_e32 v17, v10
	;; [unrolled: 1-line block ×7, first 2 shown]
.LBB1110_2:                             ; =>This Inner Loop Header: Depth=1
	global_load_dwordx2 v[2:3], v[6:7], off offset:-4
	s_add_u32 s0, s0, 8
	v_add_co_u32_e32 v6, vcc, 64, v6
	s_addc_u32 s1, s1, 0
	v_addc_co_u32_e32 v7, vcc, 0, v7, vcc
	s_waitcnt vmcnt(0)
	ds_write_b64 v11, v[2:3]
	global_load_dwordx2 v[2:3], v[8:9], off offset:-4
	v_add_co_u32_e32 v8, vcc, 64, v8
	v_addc_co_u32_e32 v9, vcc, 0, v9, vcc
	s_waitcnt vmcnt(0)
	ds_write_b64 v12, v[2:3]
	s_waitcnt lgkmcnt(0)
	s_barrier
	ds_read_b128 v[22:25], v14
	ds_read_b128 v[26:29], v14 offset:16
	ds_read_b128 v[30:33], v14 offset:32
	;; [unrolled: 1-line block ×3, first 2 shown]
	ds_read2_b64 v[34:37], v13 offset1:16
	s_waitcnt lgkmcnt(0)
	v_mul_f32_e32 v38, v23, v35
	v_mul_f32_e32 v39, v22, v35
	v_fma_f32 v38, v22, v34, -v38
	v_fmac_f32_e32 v39, v23, v34
	v_add_f32_e32 v38, v20, v38
	v_add_f32_e32 v39, v21, v39
	v_mul_f32_e32 v20, v23, v37
	v_mul_f32_e32 v21, v22, v37
	v_fma_f32 v20, v22, v36, -v20
	v_fmac_f32_e32 v21, v23, v36
	v_add_f32_e32 v22, v18, v20
	v_add_f32_e32 v23, v19, v21
	ds_read_b128 v[18:21], v14 offset:1024
	s_waitcnt lgkmcnt(0)
	v_mul_f32_e32 v40, v19, v35
	v_mul_f32_e32 v35, v18, v35
	v_fma_f32 v40, v18, v34, -v40
	v_fmac_f32_e32 v35, v19, v34
	v_add_f32_e32 v34, v16, v40
	v_add_f32_e32 v35, v17, v35
	v_mul_f32_e32 v16, v19, v37
	v_mul_f32_e32 v17, v18, v37
	v_fma_f32 v16, v18, v36, -v16
	v_fmac_f32_e32 v17, v19, v36
	v_add_f32_e32 v19, v15, v16
	v_add_f32_e32 v10, v10, v17
	ds_read2_b64 v[15:18], v13 offset0:32 offset1:48
	s_waitcnt lgkmcnt(0)
	v_mul_f32_e32 v36, v25, v16
	v_fma_f32 v36, v24, v15, -v36
	v_add_f32_e32 v36, v38, v36
	v_mul_f32_e32 v38, v25, v18
	v_mul_f32_e32 v37, v24, v16
	v_fma_f32 v38, v24, v17, -v38
	v_mul_f32_e32 v24, v24, v18
	v_fmac_f32_e32 v24, v25, v17
	v_add_f32_e32 v23, v23, v24
	v_mul_f32_e32 v24, v21, v16
	v_mul_f32_e32 v16, v20, v16
	v_fmac_f32_e32 v16, v21, v15
	v_fmac_f32_e32 v37, v25, v15
	v_fma_f32 v24, v20, v15, -v24
	v_add_f32_e32 v25, v35, v16
	v_mul_f32_e32 v15, v21, v18
	v_mul_f32_e32 v16, v20, v18
	v_fma_f32 v15, v20, v17, -v15
	v_fmac_f32_e32 v16, v21, v17
	v_add_f32_e32 v24, v34, v24
	v_add_f32_e32 v34, v19, v15
	;; [unrolled: 1-line block ×3, first 2 shown]
	ds_read2_b64 v[15:18], v13 offset0:64 offset1:80
	v_add_f32_e32 v37, v39, v37
	v_add_f32_e32 v22, v22, v38
	s_waitcnt lgkmcnt(0)
	v_mul_f32_e32 v19, v27, v16
	v_mul_f32_e32 v20, v26, v16
	v_fma_f32 v19, v26, v15, -v19
	v_fmac_f32_e32 v20, v27, v15
	v_add_f32_e32 v35, v36, v19
	v_add_f32_e32 v36, v37, v20
	v_mul_f32_e32 v19, v27, v18
	v_mul_f32_e32 v20, v26, v18
	v_fma_f32 v19, v26, v17, -v19
	v_fmac_f32_e32 v20, v27, v17
	v_add_f32_e32 v26, v22, v19
	v_add_f32_e32 v23, v23, v20
	ds_read_b128 v[19:22], v14 offset:1040
	s_waitcnt lgkmcnt(0)
	v_mul_f32_e32 v27, v20, v16
	v_mul_f32_e32 v16, v19, v16
	v_fmac_f32_e32 v16, v20, v15
	v_fma_f32 v27, v19, v15, -v27
	v_add_f32_e32 v25, v25, v16
	v_mul_f32_e32 v15, v20, v18
	v_mul_f32_e32 v16, v19, v18
	v_fma_f32 v15, v19, v17, -v15
	v_fmac_f32_e32 v16, v20, v17
	v_add_f32_e32 v19, v34, v15
	v_add_f32_e32 v10, v10, v16
	ds_read2_b64 v[15:18], v13 offset0:96 offset1:112
	v_add_f32_e32 v24, v24, v27
	s_waitcnt lgkmcnt(0)
	v_mul_f32_e32 v20, v29, v16
	v_mul_f32_e32 v34, v29, v18
	v_fma_f32 v20, v28, v15, -v20
	v_mul_f32_e32 v27, v28, v16
	v_fma_f32 v34, v28, v17, -v34
	v_mul_f32_e32 v28, v28, v18
	v_fmac_f32_e32 v28, v29, v17
	v_add_f32_e32 v23, v23, v28
	v_mul_f32_e32 v28, v22, v16
	v_mul_f32_e32 v16, v21, v16
	v_fmac_f32_e32 v16, v22, v15
	v_fmac_f32_e32 v27, v29, v15
	v_fma_f32 v28, v21, v15, -v28
	v_add_f32_e32 v25, v25, v16
	v_mul_f32_e32 v15, v22, v18
	v_mul_f32_e32 v16, v21, v18
	v_fma_f32 v15, v21, v17, -v15
	v_fmac_f32_e32 v16, v22, v17
	v_add_f32_e32 v24, v24, v28
	v_add_f32_e32 v28, v19, v15
	;; [unrolled: 1-line block ×3, first 2 shown]
	ds_read2_b64 v[15:18], v13 offset0:128 offset1:144
	v_add_f32_e32 v20, v35, v20
	v_add_f32_e32 v27, v36, v27
	;; [unrolled: 1-line block ×3, first 2 shown]
	s_waitcnt lgkmcnt(0)
	v_mul_f32_e32 v19, v31, v16
	v_fma_f32 v19, v30, v15, -v19
	v_mul_f32_e32 v21, v30, v16
	v_add_f32_e32 v29, v20, v19
	v_mul_f32_e32 v19, v31, v18
	v_mul_f32_e32 v20, v30, v18
	v_fmac_f32_e32 v21, v31, v15
	v_fma_f32 v19, v30, v17, -v19
	v_fmac_f32_e32 v20, v31, v17
	v_add_f32_e32 v27, v27, v21
	v_add_f32_e32 v26, v26, v19
	;; [unrolled: 1-line block ×3, first 2 shown]
	ds_read_b128 v[19:22], v14 offset:1056
	s_waitcnt lgkmcnt(0)
	v_mul_f32_e32 v30, v20, v16
	v_mul_f32_e32 v16, v19, v16
	v_fmac_f32_e32 v16, v20, v15
	v_fma_f32 v30, v19, v15, -v30
	v_add_f32_e32 v25, v25, v16
	v_mul_f32_e32 v15, v20, v18
	v_mul_f32_e32 v16, v19, v18
	v_fma_f32 v15, v19, v17, -v15
	v_fmac_f32_e32 v16, v20, v17
	v_add_f32_e32 v19, v28, v15
	v_add_f32_e32 v10, v10, v16
	ds_read2_b64 v[15:18], v13 offset0:160 offset1:176
	v_add_f32_e32 v24, v24, v30
	s_waitcnt lgkmcnt(0)
	v_mul_f32_e32 v28, v32, v16
	v_fmac_f32_e32 v28, v33, v15
	v_add_f32_e32 v27, v27, v28
	v_mul_f32_e32 v28, v33, v18
	v_fma_f32 v28, v32, v17, -v28
	v_mul_f32_e32 v20, v33, v16
	v_add_f32_e32 v26, v26, v28
	v_mul_f32_e32 v28, v22, v16
	v_mul_f32_e32 v16, v21, v16
	v_fmac_f32_e32 v16, v22, v15
	v_fma_f32 v20, v32, v15, -v20
	v_fma_f32 v28, v21, v15, -v28
	v_add_f32_e32 v25, v25, v16
	v_mul_f32_e32 v15, v22, v18
	v_mul_f32_e32 v16, v21, v18
	v_add_f32_e32 v20, v29, v20
	v_mul_f32_e32 v29, v32, v18
	v_fma_f32 v15, v21, v17, -v15
	v_fmac_f32_e32 v16, v22, v17
	v_fmac_f32_e32 v29, v33, v17
	v_add_f32_e32 v19, v19, v15
	v_add_f32_e32 v10, v10, v16
	ds_read2_b64 v[15:18], v13 offset0:192 offset1:208
	v_add_f32_e32 v24, v24, v28
	v_add_f32_e32 v23, v23, v29
	s_waitcnt lgkmcnt(0)
	v_mul_f32_e32 v21, v3, v16
	v_fma_f32 v21, v2, v15, -v21
	v_add_f32_e32 v28, v20, v21
	v_mul_f32_e32 v20, v3, v18
	v_mul_f32_e32 v22, v2, v16
	v_fma_f32 v20, v2, v17, -v20
	v_mul_f32_e32 v2, v2, v18
	v_fmac_f32_e32 v22, v3, v15
	v_fmac_f32_e32 v2, v3, v17
	v_add_f32_e32 v29, v27, v22
	v_add_f32_e32 v3, v26, v20
	;; [unrolled: 1-line block ×3, first 2 shown]
	ds_read_b128 v[20:23], v14 offset:1072
	s_waitcnt lgkmcnt(0)
	v_mul_f32_e32 v26, v21, v16
	v_mul_f32_e32 v16, v20, v16
	v_fma_f32 v26, v20, v15, -v26
	v_fmac_f32_e32 v16, v21, v15
	v_add_f32_e32 v15, v24, v26
	v_add_f32_e32 v30, v25, v16
	ds_read2_b64 v[24:27], v13 offset0:224 offset1:240
	v_mul_f32_e32 v16, v21, v18
	v_fma_f32 v16, v20, v17, -v16
	v_add_f32_e32 v31, v19, v16
	v_mul_f32_e32 v18, v20, v18
	s_waitcnt lgkmcnt(0)
	v_mul_f32_e32 v16, v5, v25
	v_fma_f32 v16, v4, v24, -v16
	v_add_f32_e32 v20, v28, v16
	v_mul_f32_e32 v16, v5, v27
	v_fmac_f32_e32 v18, v21, v17
	v_mul_f32_e32 v17, v4, v25
	v_fma_f32 v16, v4, v26, -v16
	v_mul_f32_e32 v4, v4, v27
	v_fmac_f32_e32 v4, v5, v26
	v_add_f32_e32 v10, v10, v18
	v_add_f32_e32 v18, v3, v16
	;; [unrolled: 1-line block ×3, first 2 shown]
	v_mul_f32_e32 v2, v23, v25
	v_mul_f32_e32 v3, v22, v25
	v_fmac_f32_e32 v17, v5, v24
	v_fma_f32 v2, v22, v24, -v2
	v_fmac_f32_e32 v3, v23, v24
	v_add_f32_e32 v21, v29, v17
	v_add_f32_e32 v16, v15, v2
	;; [unrolled: 1-line block ×3, first 2 shown]
	v_mul_f32_e32 v2, v23, v27
	v_mul_f32_e32 v3, v22, v27
	v_fma_f32 v2, v22, v26, -v2
	v_fmac_f32_e32 v3, v23, v26
	v_add_f32_e32 v15, v31, v2
	v_add_f32_e32 v10, v10, v3
	v_mov_b32_e32 v3, s1
	v_mov_b32_e32 v2, s0
	v_cmp_le_u64_e32 vcc, s[12:13], v[2:3]
	s_barrier
	s_cbranch_vccz .LBB1110_2
	s_branch .LBB1110_4
.LBB1110_3:
	v_mov_b32_e32 v20, 0
	v_mov_b32_e32 v21, 0
	;; [unrolled: 1-line block ×8, first 2 shown]
.LBB1110_4:
	s_load_dwordx8 s[16:23], s[4:5], 0x48
	s_nop 0
	s_load_dword s4, s[4:5], 0x0
	v_add_u32_e32 v4, s3, v1
	v_ashrrev_i32_e32 v1, 31, v4
	v_add_u32_e32 v0, s2, v0
	s_waitcnt lgkmcnt(0)
	v_mul_lo_u32 v3, s20, v1
	v_mul_lo_u32 v5, s21, v4
	v_mad_u64_u32 v[1:2], s[6:7], s20, v4, 0
	s_mul_i32 s0, s23, s8
	s_mul_hi_u32 s1, s22, s8
	s_add_i32 s1, s1, s0
	s_mul_i32 s0, s22, s8
	s_lshl_b64 s[0:1], s[0:1], 3
	v_add3_u32 v2, v2, v3, v5
	s_add_u32 s6, s18, s0
	v_lshlrev_b64 v[1:2], 3, v[1:2]
	s_addc_u32 s7, s19, s1
	v_mov_b32_e32 v3, s7
	v_add_co_u32_e32 v5, vcc, s6, v1
	v_addc_co_u32_e32 v6, vcc, v3, v2, vcc
	v_cmp_le_i32_e64 s[0:1], v4, v0
	v_cmp_gt_i32_e32 vcc, s4, v0
	s_and_b64 s[0:1], s[0:1], vcc
	s_and_saveexec_b64 s[2:3], s[0:1]
	s_cbranch_execz .LBB1110_6
; %bb.5:
	v_ashrrev_i32_e32 v1, 31, v0
	v_lshlrev_b64 v[1:2], 3, v[0:1]
	v_mul_f32_e32 v3, s15, v21
	v_add_co_u32_e64 v1, s[0:1], v5, v1
	v_addc_co_u32_e64 v2, s[0:1], v6, v2, s[0:1]
	global_load_dwordx2 v[7:8], v[1:2], off
	v_mul_f32_e32 v9, s14, v21
	v_fma_f32 v3, v20, s14, -v3
	v_fmac_f32_e32 v9, s15, v20
	s_waitcnt vmcnt(0)
	v_mul_f32_e32 v11, s17, v8
	v_mul_f32_e32 v8, s16, v8
	v_fma_f32 v11, v7, s16, -v11
	v_fmac_f32_e32 v8, s17, v7
	v_add_f32_e32 v7, v3, v11
	v_add_f32_e32 v8, v9, v8
	global_store_dwordx2 v[1:2], v[7:8], off
.LBB1110_6:
	s_or_b64 exec, exec, s[2:3]
	v_add_u32_e32 v2, 16, v0
	v_cmp_le_i32_e64 s[2:3], v4, v2
	v_cmp_gt_i32_e64 s[0:1], s4, v2
	s_and_b64 s[2:3], s[2:3], s[0:1]
	s_and_saveexec_b64 s[4:5], s[2:3]
	s_cbranch_execz .LBB1110_8
; %bb.7:
	v_ashrrev_i32_e32 v3, 31, v2
	v_lshlrev_b64 v[7:8], 3, v[2:3]
	v_mul_f32_e32 v1, s15, v19
	v_add_co_u32_e64 v5, s[2:3], v5, v7
	v_addc_co_u32_e64 v6, s[2:3], v6, v8, s[2:3]
	global_load_dwordx2 v[7:8], v[5:6], off
	v_mul_f32_e32 v3, s14, v19
	v_fma_f32 v1, v18, s14, -v1
	v_fmac_f32_e32 v3, s15, v18
	s_waitcnt vmcnt(0)
	v_mul_f32_e32 v9, s17, v8
	v_mul_f32_e32 v8, s16, v8
	v_fma_f32 v9, v7, s16, -v9
	v_fmac_f32_e32 v8, s17, v7
	v_add_f32_e32 v7, v1, v9
	v_add_f32_e32 v8, v3, v8
	global_store_dwordx2 v[5:6], v[7:8], off
.LBB1110_8:
	s_or_b64 exec, exec, s[4:5]
	v_add_u32_e32 v3, 16, v4
	v_ashrrev_i32_e32 v1, 31, v3
	v_mul_lo_u32 v6, s21, v3
	v_mad_u64_u32 v[4:5], s[2:3], s20, v3, 0
	v_mul_lo_u32 v1, s20, v1
	v_add3_u32 v5, v5, v1, v6
	v_lshlrev_b64 v[4:5], 3, v[4:5]
	v_mov_b32_e32 v1, s7
	v_add_co_u32_e64 v4, s[2:3], s6, v4
	v_addc_co_u32_e64 v5, s[2:3], v1, v5, s[2:3]
	v_cmp_le_i32_e64 s[2:3], v3, v0
	s_and_b64 s[4:5], s[2:3], vcc
	s_and_saveexec_b64 s[2:3], s[4:5]
	s_cbranch_execz .LBB1110_10
; %bb.9:
	v_ashrrev_i32_e32 v1, 31, v0
	v_lshlrev_b64 v[0:1], 3, v[0:1]
	v_mul_f32_e32 v8, s15, v17
	v_add_co_u32_e32 v0, vcc, v4, v0
	v_addc_co_u32_e32 v1, vcc, v5, v1, vcc
	global_load_dwordx2 v[6:7], v[0:1], off
	v_mul_f32_e32 v9, s14, v17
	v_fma_f32 v8, v16, s14, -v8
	v_fmac_f32_e32 v9, s15, v16
	s_waitcnt vmcnt(0)
	v_mul_f32_e32 v11, s17, v7
	v_mul_f32_e32 v7, s16, v7
	v_fma_f32 v11, v6, s16, -v11
	v_fmac_f32_e32 v7, s17, v6
	v_add_f32_e32 v6, v8, v11
	v_add_f32_e32 v7, v9, v7
	global_store_dwordx2 v[0:1], v[6:7], off
.LBB1110_10:
	s_or_b64 exec, exec, s[2:3]
	v_cmp_le_i32_e32 vcc, v3, v2
	s_and_b64 s[0:1], vcc, s[0:1]
	s_and_saveexec_b64 s[2:3], s[0:1]
	s_cbranch_execz .LBB1110_12
; %bb.11:
	v_ashrrev_i32_e32 v3, 31, v2
	v_lshlrev_b64 v[0:1], 3, v[2:3]
	v_add_co_u32_e32 v0, vcc, v4, v0
	v_addc_co_u32_e32 v1, vcc, v5, v1, vcc
	global_load_dwordx2 v[2:3], v[0:1], off
	v_mul_f32_e32 v4, s15, v10
	v_mul_f32_e32 v5, s14, v10
	v_fma_f32 v4, v15, s14, -v4
	v_fmac_f32_e32 v5, s15, v15
	s_waitcnt vmcnt(0)
	v_mul_f32_e32 v6, s17, v3
	v_mul_f32_e32 v3, s16, v3
	v_fma_f32 v6, v2, s16, -v6
	v_fmac_f32_e32 v3, s17, v2
	v_add_f32_e32 v2, v4, v6
	v_add_f32_e32 v3, v5, v3
	global_store_dwordx2 v[0:1], v[2:3], off
.LBB1110_12:
	s_endpgm
	.section	.rodata,"a",@progbits
	.p2align	6, 0x0
	.amdhsa_kernel _ZL37rocblas_syrkx_herkx_restricted_kernelIl19rocblas_complex_numIfELi16ELi32ELi8ELb0ELb0ELc84ELc76EKS1_S1_EviT_T0_PT8_S3_lS6_S3_lS4_PT9_S3_li
		.amdhsa_group_segment_fixed_size 4096
		.amdhsa_private_segment_fixed_size 0
		.amdhsa_kernarg_size 108
		.amdhsa_user_sgpr_count 6
		.amdhsa_user_sgpr_private_segment_buffer 1
		.amdhsa_user_sgpr_dispatch_ptr 0
		.amdhsa_user_sgpr_queue_ptr 0
		.amdhsa_user_sgpr_kernarg_segment_ptr 1
		.amdhsa_user_sgpr_dispatch_id 0
		.amdhsa_user_sgpr_flat_scratch_init 0
		.amdhsa_user_sgpr_private_segment_size 0
		.amdhsa_uses_dynamic_stack 0
		.amdhsa_system_sgpr_private_segment_wavefront_offset 0
		.amdhsa_system_sgpr_workgroup_id_x 1
		.amdhsa_system_sgpr_workgroup_id_y 1
		.amdhsa_system_sgpr_workgroup_id_z 1
		.amdhsa_system_sgpr_workgroup_info 0
		.amdhsa_system_vgpr_workitem_id 1
		.amdhsa_next_free_vgpr 41
		.amdhsa_next_free_sgpr 28
		.amdhsa_reserve_vcc 1
		.amdhsa_reserve_flat_scratch 0
		.amdhsa_float_round_mode_32 0
		.amdhsa_float_round_mode_16_64 0
		.amdhsa_float_denorm_mode_32 3
		.amdhsa_float_denorm_mode_16_64 3
		.amdhsa_dx10_clamp 1
		.amdhsa_ieee_mode 1
		.amdhsa_fp16_overflow 0
		.amdhsa_exception_fp_ieee_invalid_op 0
		.amdhsa_exception_fp_denorm_src 0
		.amdhsa_exception_fp_ieee_div_zero 0
		.amdhsa_exception_fp_ieee_overflow 0
		.amdhsa_exception_fp_ieee_underflow 0
		.amdhsa_exception_fp_ieee_inexact 0
		.amdhsa_exception_int_div_zero 0
	.end_amdhsa_kernel
	.section	.text._ZL37rocblas_syrkx_herkx_restricted_kernelIl19rocblas_complex_numIfELi16ELi32ELi8ELb0ELb0ELc84ELc76EKS1_S1_EviT_T0_PT8_S3_lS6_S3_lS4_PT9_S3_li,"axG",@progbits,_ZL37rocblas_syrkx_herkx_restricted_kernelIl19rocblas_complex_numIfELi16ELi32ELi8ELb0ELb0ELc84ELc76EKS1_S1_EviT_T0_PT8_S3_lS6_S3_lS4_PT9_S3_li,comdat
.Lfunc_end1110:
	.size	_ZL37rocblas_syrkx_herkx_restricted_kernelIl19rocblas_complex_numIfELi16ELi32ELi8ELb0ELb0ELc84ELc76EKS1_S1_EviT_T0_PT8_S3_lS6_S3_lS4_PT9_S3_li, .Lfunc_end1110-_ZL37rocblas_syrkx_herkx_restricted_kernelIl19rocblas_complex_numIfELi16ELi32ELi8ELb0ELb0ELc84ELc76EKS1_S1_EviT_T0_PT8_S3_lS6_S3_lS4_PT9_S3_li
                                        ; -- End function
	.set _ZL37rocblas_syrkx_herkx_restricted_kernelIl19rocblas_complex_numIfELi16ELi32ELi8ELb0ELb0ELc84ELc76EKS1_S1_EviT_T0_PT8_S3_lS6_S3_lS4_PT9_S3_li.num_vgpr, 41
	.set _ZL37rocblas_syrkx_herkx_restricted_kernelIl19rocblas_complex_numIfELi16ELi32ELi8ELb0ELb0ELc84ELc76EKS1_S1_EviT_T0_PT8_S3_lS6_S3_lS4_PT9_S3_li.num_agpr, 0
	.set _ZL37rocblas_syrkx_herkx_restricted_kernelIl19rocblas_complex_numIfELi16ELi32ELi8ELb0ELb0ELc84ELc76EKS1_S1_EviT_T0_PT8_S3_lS6_S3_lS4_PT9_S3_li.numbered_sgpr, 28
	.set _ZL37rocblas_syrkx_herkx_restricted_kernelIl19rocblas_complex_numIfELi16ELi32ELi8ELb0ELb0ELc84ELc76EKS1_S1_EviT_T0_PT8_S3_lS6_S3_lS4_PT9_S3_li.num_named_barrier, 0
	.set _ZL37rocblas_syrkx_herkx_restricted_kernelIl19rocblas_complex_numIfELi16ELi32ELi8ELb0ELb0ELc84ELc76EKS1_S1_EviT_T0_PT8_S3_lS6_S3_lS4_PT9_S3_li.private_seg_size, 0
	.set _ZL37rocblas_syrkx_herkx_restricted_kernelIl19rocblas_complex_numIfELi16ELi32ELi8ELb0ELb0ELc84ELc76EKS1_S1_EviT_T0_PT8_S3_lS6_S3_lS4_PT9_S3_li.uses_vcc, 1
	.set _ZL37rocblas_syrkx_herkx_restricted_kernelIl19rocblas_complex_numIfELi16ELi32ELi8ELb0ELb0ELc84ELc76EKS1_S1_EviT_T0_PT8_S3_lS6_S3_lS4_PT9_S3_li.uses_flat_scratch, 0
	.set _ZL37rocblas_syrkx_herkx_restricted_kernelIl19rocblas_complex_numIfELi16ELi32ELi8ELb0ELb0ELc84ELc76EKS1_S1_EviT_T0_PT8_S3_lS6_S3_lS4_PT9_S3_li.has_dyn_sized_stack, 0
	.set _ZL37rocblas_syrkx_herkx_restricted_kernelIl19rocblas_complex_numIfELi16ELi32ELi8ELb0ELb0ELc84ELc76EKS1_S1_EviT_T0_PT8_S3_lS6_S3_lS4_PT9_S3_li.has_recursion, 0
	.set _ZL37rocblas_syrkx_herkx_restricted_kernelIl19rocblas_complex_numIfELi16ELi32ELi8ELb0ELb0ELc84ELc76EKS1_S1_EviT_T0_PT8_S3_lS6_S3_lS4_PT9_S3_li.has_indirect_call, 0
	.section	.AMDGPU.csdata,"",@progbits
; Kernel info:
; codeLenInByte = 2204
; TotalNumSgprs: 32
; NumVgprs: 41
; ScratchSize: 0
; MemoryBound: 0
; FloatMode: 240
; IeeeMode: 1
; LDSByteSize: 4096 bytes/workgroup (compile time only)
; SGPRBlocks: 3
; VGPRBlocks: 10
; NumSGPRsForWavesPerEU: 32
; NumVGPRsForWavesPerEU: 41
; Occupancy: 5
; WaveLimiterHint : 0
; COMPUTE_PGM_RSRC2:SCRATCH_EN: 0
; COMPUTE_PGM_RSRC2:USER_SGPR: 6
; COMPUTE_PGM_RSRC2:TRAP_HANDLER: 0
; COMPUTE_PGM_RSRC2:TGID_X_EN: 1
; COMPUTE_PGM_RSRC2:TGID_Y_EN: 1
; COMPUTE_PGM_RSRC2:TGID_Z_EN: 1
; COMPUTE_PGM_RSRC2:TIDIG_COMP_CNT: 1
	.section	.text._ZL37rocblas_syrkx_herkx_restricted_kernelIl19rocblas_complex_numIfELi16ELi32ELi8ELb0ELb0ELc67ELc76EKS1_S1_EviT_T0_PT8_S3_lS6_S3_lS4_PT9_S3_li,"axG",@progbits,_ZL37rocblas_syrkx_herkx_restricted_kernelIl19rocblas_complex_numIfELi16ELi32ELi8ELb0ELb0ELc67ELc76EKS1_S1_EviT_T0_PT8_S3_lS6_S3_lS4_PT9_S3_li,comdat
	.globl	_ZL37rocblas_syrkx_herkx_restricted_kernelIl19rocblas_complex_numIfELi16ELi32ELi8ELb0ELb0ELc67ELc76EKS1_S1_EviT_T0_PT8_S3_lS6_S3_lS4_PT9_S3_li ; -- Begin function _ZL37rocblas_syrkx_herkx_restricted_kernelIl19rocblas_complex_numIfELi16ELi32ELi8ELb0ELb0ELc67ELc76EKS1_S1_EviT_T0_PT8_S3_lS6_S3_lS4_PT9_S3_li
	.p2align	8
	.type	_ZL37rocblas_syrkx_herkx_restricted_kernelIl19rocblas_complex_numIfELi16ELi32ELi8ELb0ELb0ELc67ELc76EKS1_S1_EviT_T0_PT8_S3_lS6_S3_lS4_PT9_S3_li,@function
_ZL37rocblas_syrkx_herkx_restricted_kernelIl19rocblas_complex_numIfELi16ELi32ELi8ELb0ELb0ELc67ELc76EKS1_S1_EviT_T0_PT8_S3_lS6_S3_lS4_PT9_S3_li: ; @_ZL37rocblas_syrkx_herkx_restricted_kernelIl19rocblas_complex_numIfELi16ELi32ELi8ELb0ELb0ELc67ELc76EKS1_S1_EviT_T0_PT8_S3_lS6_S3_lS4_PT9_S3_li
; %bb.0:
	s_load_dwordx16 s[12:27], s[4:5], 0x8
	s_lshl_b32 s2, s6, 5
	s_lshl_b32 s3, s7, 5
	s_waitcnt lgkmcnt(0)
	v_cmp_lt_i64_e64 s[0:1], s[12:13], 1
	s_and_b64 vcc, exec, s[0:1]
	s_cbranch_vccnz .LBB1111_3
; %bb.1:
	v_lshl_add_u32 v5, v1, 4, v0
	v_lshrrev_b32_e32 v6, 3, v5
	v_add_u32_e32 v2, s3, v6
	v_and_b32_e32 v9, 7, v0
	v_ashrrev_i32_e32 v3, 31, v2
	v_mov_b32_e32 v10, 0
	v_mul_lo_u32 v7, s24, v3
	v_mul_lo_u32 v8, s25, v2
	v_mad_u64_u32 v[2:3], s[0:1], s24, v2, v[9:10]
	v_and_b32_e32 v15, 31, v5
	v_lshrrev_b32_e32 v4, 5, v5
	v_add3_u32 v3, v8, v3, v7
	v_lshlrev_b32_e32 v7, 3, v15
	v_lshl_or_b32 v11, v4, 8, v7
	v_lshlrev_b32_e32 v7, 3, v9
	v_lshl_or_b32 v6, v6, 6, v7
	v_add_u32_e32 v12, 0x800, v6
	v_mov_b32_e32 v6, 0x800
	v_lshl_add_u32 v14, v1, 6, v6
	v_add_u32_e32 v6, s2, v15
	v_mov_b32_e32 v5, v10
	v_ashrrev_i32_e32 v7, 31, v6
	v_mul_lo_u32 v7, s18, v7
	v_mad_u64_u32 v[4:5], s[0:1], s18, v6, v[4:5]
	v_mul_lo_u32 v6, s19, v6
	s_mul_i32 s6, s21, s8
	s_mul_hi_u32 s7, s20, s8
	s_add_i32 s1, s7, s6
	s_mul_i32 s0, s20, s8
	s_lshl_b64 s[0:1], s[0:1], 3
	v_add3_u32 v5, v6, v5, v7
	v_lshlrev_b64 v[4:5], 3, v[4:5]
	s_add_u32 s0, s16, s0
	s_addc_u32 s1, s17, s1
	v_mov_b32_e32 v6, s1
	v_add_co_u32_e32 v4, vcc, s0, v4
	s_mul_i32 s0, s27, s8
	s_mul_hi_u32 s1, s26, s8
	s_add_i32 s1, s1, s0
	s_mul_i32 s0, s26, s8
	v_addc_co_u32_e32 v5, vcc, v6, v5, vcc
	s_lshl_b64 s[0:1], s[0:1], 3
	v_add_co_u32_e32 v6, vcc, 4, v4
	v_lshlrev_b64 v[2:3], 3, v[2:3]
	s_add_u32 s0, s22, s0
	v_addc_co_u32_e32 v7, vcc, 0, v5, vcc
	s_addc_u32 s1, s23, s1
	v_mov_b32_e32 v4, s1
	v_add_co_u32_e32 v2, vcc, s0, v2
	v_addc_co_u32_e32 v3, vcc, v4, v3, vcc
	v_add_co_u32_e32 v8, vcc, 4, v2
	v_lshlrev_b32_e32 v13, 3, v0
	v_addc_co_u32_e32 v9, vcc, 0, v3, vcc
	s_mov_b64 s[0:1], 0
	v_mov_b32_e32 v15, v10
	v_mov_b32_e32 v17, v10
	;; [unrolled: 1-line block ×7, first 2 shown]
.LBB1111_2:                             ; =>This Inner Loop Header: Depth=1
	global_load_dwordx2 v[2:3], v[6:7], off offset:-4
	s_add_u32 s0, s0, 8
	v_add_co_u32_e32 v6, vcc, 64, v6
	s_addc_u32 s1, s1, 0
	v_addc_co_u32_e32 v7, vcc, 0, v7, vcc
	s_waitcnt vmcnt(0)
	ds_write_b64 v11, v[2:3]
	global_load_dwordx2 v[2:3], v[8:9], off offset:-4
	v_add_co_u32_e32 v8, vcc, 64, v8
	v_addc_co_u32_e32 v9, vcc, 0, v9, vcc
	s_waitcnt vmcnt(0)
	ds_write_b64 v12, v[2:3]
	s_waitcnt lgkmcnt(0)
	s_barrier
	ds_read_b128 v[22:25], v14
	ds_read_b128 v[26:29], v14 offset:16
	ds_read_b128 v[30:33], v14 offset:32
	;; [unrolled: 1-line block ×3, first 2 shown]
	ds_read2_b64 v[34:37], v13 offset1:16
	s_waitcnt lgkmcnt(0)
	v_mul_f32_e32 v38, v23, v35
	v_mul_f32_e32 v39, v22, v35
	v_fma_f32 v38, v22, v34, -v38
	v_fmac_f32_e32 v39, v23, v34
	v_add_f32_e32 v38, v20, v38
	v_add_f32_e32 v39, v21, v39
	v_mul_f32_e32 v20, v23, v37
	v_mul_f32_e32 v21, v22, v37
	v_fma_f32 v20, v22, v36, -v20
	v_fmac_f32_e32 v21, v23, v36
	v_add_f32_e32 v22, v18, v20
	v_add_f32_e32 v23, v19, v21
	ds_read_b128 v[18:21], v14 offset:1024
	s_waitcnt lgkmcnt(0)
	v_mul_f32_e32 v40, v19, v35
	v_mul_f32_e32 v35, v18, v35
	v_fma_f32 v40, v18, v34, -v40
	v_fmac_f32_e32 v35, v19, v34
	v_add_f32_e32 v34, v16, v40
	v_add_f32_e32 v35, v17, v35
	v_mul_f32_e32 v16, v19, v37
	v_mul_f32_e32 v17, v18, v37
	v_fma_f32 v16, v18, v36, -v16
	v_fmac_f32_e32 v17, v19, v36
	v_add_f32_e32 v19, v15, v16
	v_add_f32_e32 v10, v10, v17
	ds_read2_b64 v[15:18], v13 offset0:32 offset1:48
	s_waitcnt lgkmcnt(0)
	v_mul_f32_e32 v36, v25, v16
	v_fma_f32 v36, v24, v15, -v36
	v_add_f32_e32 v36, v38, v36
	v_mul_f32_e32 v38, v25, v18
	v_mul_f32_e32 v37, v24, v16
	v_fma_f32 v38, v24, v17, -v38
	v_mul_f32_e32 v24, v24, v18
	v_fmac_f32_e32 v24, v25, v17
	v_add_f32_e32 v23, v23, v24
	v_mul_f32_e32 v24, v21, v16
	v_mul_f32_e32 v16, v20, v16
	v_fmac_f32_e32 v16, v21, v15
	v_fmac_f32_e32 v37, v25, v15
	v_fma_f32 v24, v20, v15, -v24
	v_add_f32_e32 v25, v35, v16
	v_mul_f32_e32 v15, v21, v18
	v_mul_f32_e32 v16, v20, v18
	v_fma_f32 v15, v20, v17, -v15
	v_fmac_f32_e32 v16, v21, v17
	v_add_f32_e32 v24, v34, v24
	v_add_f32_e32 v34, v19, v15
	;; [unrolled: 1-line block ×3, first 2 shown]
	ds_read2_b64 v[15:18], v13 offset0:64 offset1:80
	v_add_f32_e32 v37, v39, v37
	v_add_f32_e32 v22, v22, v38
	s_waitcnt lgkmcnt(0)
	v_mul_f32_e32 v19, v27, v16
	v_mul_f32_e32 v20, v26, v16
	v_fma_f32 v19, v26, v15, -v19
	v_fmac_f32_e32 v20, v27, v15
	v_add_f32_e32 v35, v36, v19
	v_add_f32_e32 v36, v37, v20
	v_mul_f32_e32 v19, v27, v18
	v_mul_f32_e32 v20, v26, v18
	v_fma_f32 v19, v26, v17, -v19
	v_fmac_f32_e32 v20, v27, v17
	v_add_f32_e32 v26, v22, v19
	v_add_f32_e32 v23, v23, v20
	ds_read_b128 v[19:22], v14 offset:1040
	s_waitcnt lgkmcnt(0)
	v_mul_f32_e32 v27, v20, v16
	v_mul_f32_e32 v16, v19, v16
	v_fmac_f32_e32 v16, v20, v15
	v_fma_f32 v27, v19, v15, -v27
	v_add_f32_e32 v25, v25, v16
	v_mul_f32_e32 v15, v20, v18
	v_mul_f32_e32 v16, v19, v18
	v_fma_f32 v15, v19, v17, -v15
	v_fmac_f32_e32 v16, v20, v17
	v_add_f32_e32 v19, v34, v15
	v_add_f32_e32 v10, v10, v16
	ds_read2_b64 v[15:18], v13 offset0:96 offset1:112
	v_add_f32_e32 v24, v24, v27
	s_waitcnt lgkmcnt(0)
	v_mul_f32_e32 v20, v29, v16
	v_mul_f32_e32 v34, v29, v18
	v_fma_f32 v20, v28, v15, -v20
	v_mul_f32_e32 v27, v28, v16
	v_fma_f32 v34, v28, v17, -v34
	v_mul_f32_e32 v28, v28, v18
	v_fmac_f32_e32 v28, v29, v17
	v_add_f32_e32 v23, v23, v28
	v_mul_f32_e32 v28, v22, v16
	v_mul_f32_e32 v16, v21, v16
	v_fmac_f32_e32 v16, v22, v15
	v_fmac_f32_e32 v27, v29, v15
	v_fma_f32 v28, v21, v15, -v28
	v_add_f32_e32 v25, v25, v16
	v_mul_f32_e32 v15, v22, v18
	v_mul_f32_e32 v16, v21, v18
	v_fma_f32 v15, v21, v17, -v15
	v_fmac_f32_e32 v16, v22, v17
	v_add_f32_e32 v24, v24, v28
	v_add_f32_e32 v28, v19, v15
	;; [unrolled: 1-line block ×3, first 2 shown]
	ds_read2_b64 v[15:18], v13 offset0:128 offset1:144
	v_add_f32_e32 v20, v35, v20
	v_add_f32_e32 v27, v36, v27
	;; [unrolled: 1-line block ×3, first 2 shown]
	s_waitcnt lgkmcnt(0)
	v_mul_f32_e32 v19, v31, v16
	v_fma_f32 v19, v30, v15, -v19
	v_mul_f32_e32 v21, v30, v16
	v_add_f32_e32 v29, v20, v19
	v_mul_f32_e32 v19, v31, v18
	v_mul_f32_e32 v20, v30, v18
	v_fmac_f32_e32 v21, v31, v15
	v_fma_f32 v19, v30, v17, -v19
	v_fmac_f32_e32 v20, v31, v17
	v_add_f32_e32 v27, v27, v21
	v_add_f32_e32 v26, v26, v19
	;; [unrolled: 1-line block ×3, first 2 shown]
	ds_read_b128 v[19:22], v14 offset:1056
	s_waitcnt lgkmcnt(0)
	v_mul_f32_e32 v30, v20, v16
	v_mul_f32_e32 v16, v19, v16
	v_fmac_f32_e32 v16, v20, v15
	v_fma_f32 v30, v19, v15, -v30
	v_add_f32_e32 v25, v25, v16
	v_mul_f32_e32 v15, v20, v18
	v_mul_f32_e32 v16, v19, v18
	v_fma_f32 v15, v19, v17, -v15
	v_fmac_f32_e32 v16, v20, v17
	v_add_f32_e32 v19, v28, v15
	v_add_f32_e32 v10, v10, v16
	ds_read2_b64 v[15:18], v13 offset0:160 offset1:176
	v_add_f32_e32 v24, v24, v30
	s_waitcnt lgkmcnt(0)
	v_mul_f32_e32 v28, v32, v16
	v_fmac_f32_e32 v28, v33, v15
	v_add_f32_e32 v27, v27, v28
	v_mul_f32_e32 v28, v33, v18
	v_fma_f32 v28, v32, v17, -v28
	v_mul_f32_e32 v20, v33, v16
	v_add_f32_e32 v26, v26, v28
	v_mul_f32_e32 v28, v22, v16
	v_mul_f32_e32 v16, v21, v16
	v_fmac_f32_e32 v16, v22, v15
	v_fma_f32 v20, v32, v15, -v20
	v_fma_f32 v28, v21, v15, -v28
	v_add_f32_e32 v25, v25, v16
	v_mul_f32_e32 v15, v22, v18
	v_mul_f32_e32 v16, v21, v18
	v_add_f32_e32 v20, v29, v20
	v_mul_f32_e32 v29, v32, v18
	v_fma_f32 v15, v21, v17, -v15
	v_fmac_f32_e32 v16, v22, v17
	v_fmac_f32_e32 v29, v33, v17
	v_add_f32_e32 v19, v19, v15
	v_add_f32_e32 v10, v10, v16
	ds_read2_b64 v[15:18], v13 offset0:192 offset1:208
	v_add_f32_e32 v24, v24, v28
	v_add_f32_e32 v23, v23, v29
	s_waitcnt lgkmcnt(0)
	v_mul_f32_e32 v21, v3, v16
	v_fma_f32 v21, v2, v15, -v21
	v_add_f32_e32 v28, v20, v21
	v_mul_f32_e32 v20, v3, v18
	v_mul_f32_e32 v22, v2, v16
	v_fma_f32 v20, v2, v17, -v20
	v_mul_f32_e32 v2, v2, v18
	v_fmac_f32_e32 v22, v3, v15
	v_fmac_f32_e32 v2, v3, v17
	v_add_f32_e32 v29, v27, v22
	v_add_f32_e32 v3, v26, v20
	;; [unrolled: 1-line block ×3, first 2 shown]
	ds_read_b128 v[20:23], v14 offset:1072
	s_waitcnt lgkmcnt(0)
	v_mul_f32_e32 v26, v21, v16
	v_mul_f32_e32 v16, v20, v16
	v_fma_f32 v26, v20, v15, -v26
	v_fmac_f32_e32 v16, v21, v15
	v_add_f32_e32 v15, v24, v26
	v_add_f32_e32 v30, v25, v16
	ds_read2_b64 v[24:27], v13 offset0:224 offset1:240
	v_mul_f32_e32 v16, v21, v18
	v_fma_f32 v16, v20, v17, -v16
	v_add_f32_e32 v31, v19, v16
	v_mul_f32_e32 v18, v20, v18
	s_waitcnt lgkmcnt(0)
	v_mul_f32_e32 v16, v5, v25
	v_fma_f32 v16, v4, v24, -v16
	v_add_f32_e32 v20, v28, v16
	v_mul_f32_e32 v16, v5, v27
	v_fmac_f32_e32 v18, v21, v17
	v_mul_f32_e32 v17, v4, v25
	v_fma_f32 v16, v4, v26, -v16
	v_mul_f32_e32 v4, v4, v27
	v_fmac_f32_e32 v4, v5, v26
	v_add_f32_e32 v10, v10, v18
	v_add_f32_e32 v18, v3, v16
	;; [unrolled: 1-line block ×3, first 2 shown]
	v_mul_f32_e32 v2, v23, v25
	v_mul_f32_e32 v3, v22, v25
	v_fmac_f32_e32 v17, v5, v24
	v_fma_f32 v2, v22, v24, -v2
	v_fmac_f32_e32 v3, v23, v24
	v_add_f32_e32 v21, v29, v17
	v_add_f32_e32 v16, v15, v2
	;; [unrolled: 1-line block ×3, first 2 shown]
	v_mul_f32_e32 v2, v23, v27
	v_mul_f32_e32 v3, v22, v27
	v_fma_f32 v2, v22, v26, -v2
	v_fmac_f32_e32 v3, v23, v26
	v_add_f32_e32 v15, v31, v2
	v_add_f32_e32 v10, v10, v3
	v_mov_b32_e32 v3, s1
	v_mov_b32_e32 v2, s0
	v_cmp_le_u64_e32 vcc, s[12:13], v[2:3]
	s_barrier
	s_cbranch_vccz .LBB1111_2
	s_branch .LBB1111_4
.LBB1111_3:
	v_mov_b32_e32 v20, 0
	v_mov_b32_e32 v21, 0
	v_mov_b32_e32 v18, 0
	v_mov_b32_e32 v19, 0
	v_mov_b32_e32 v16, 0
	v_mov_b32_e32 v17, 0
	v_mov_b32_e32 v15, 0
	v_mov_b32_e32 v10, 0
.LBB1111_4:
	s_load_dwordx8 s[16:23], s[4:5], 0x48
	s_nop 0
	s_load_dword s4, s[4:5], 0x0
	v_add_u32_e32 v4, s3, v1
	v_ashrrev_i32_e32 v1, 31, v4
	v_add_u32_e32 v0, s2, v0
	s_waitcnt lgkmcnt(0)
	v_mul_lo_u32 v3, s20, v1
	v_mul_lo_u32 v5, s21, v4
	v_mad_u64_u32 v[1:2], s[6:7], s20, v4, 0
	s_mul_i32 s0, s23, s8
	s_mul_hi_u32 s1, s22, s8
	s_add_i32 s1, s1, s0
	s_mul_i32 s0, s22, s8
	s_lshl_b64 s[0:1], s[0:1], 3
	v_add3_u32 v2, v2, v3, v5
	s_add_u32 s6, s18, s0
	v_lshlrev_b64 v[1:2], 3, v[1:2]
	s_addc_u32 s7, s19, s1
	v_mov_b32_e32 v3, s7
	v_add_co_u32_e32 v5, vcc, s6, v1
	v_addc_co_u32_e32 v6, vcc, v3, v2, vcc
	v_cmp_le_i32_e64 s[0:1], v4, v0
	v_cmp_gt_i32_e32 vcc, s4, v0
	s_and_b64 s[0:1], s[0:1], vcc
	s_and_saveexec_b64 s[2:3], s[0:1]
	s_cbranch_execz .LBB1111_6
; %bb.5:
	v_ashrrev_i32_e32 v1, 31, v0
	v_lshlrev_b64 v[1:2], 3, v[0:1]
	v_mul_f32_e32 v3, s15, v21
	v_add_co_u32_e64 v1, s[0:1], v5, v1
	v_addc_co_u32_e64 v2, s[0:1], v6, v2, s[0:1]
	global_load_dwordx2 v[7:8], v[1:2], off
	v_mul_f32_e32 v9, s14, v21
	v_fma_f32 v3, v20, s14, -v3
	v_fmac_f32_e32 v9, s15, v20
	s_waitcnt vmcnt(0)
	v_mul_f32_e32 v11, s17, v8
	v_mul_f32_e32 v8, s16, v8
	v_fma_f32 v11, v7, s16, -v11
	v_fmac_f32_e32 v8, s17, v7
	v_add_f32_e32 v7, v3, v11
	v_add_f32_e32 v8, v9, v8
	global_store_dwordx2 v[1:2], v[7:8], off
.LBB1111_6:
	s_or_b64 exec, exec, s[2:3]
	v_add_u32_e32 v2, 16, v0
	v_cmp_le_i32_e64 s[2:3], v4, v2
	v_cmp_gt_i32_e64 s[0:1], s4, v2
	s_and_b64 s[2:3], s[2:3], s[0:1]
	s_and_saveexec_b64 s[4:5], s[2:3]
	s_cbranch_execz .LBB1111_8
; %bb.7:
	v_ashrrev_i32_e32 v3, 31, v2
	v_lshlrev_b64 v[7:8], 3, v[2:3]
	v_mul_f32_e32 v1, s15, v19
	v_add_co_u32_e64 v5, s[2:3], v5, v7
	v_addc_co_u32_e64 v6, s[2:3], v6, v8, s[2:3]
	global_load_dwordx2 v[7:8], v[5:6], off
	v_mul_f32_e32 v3, s14, v19
	v_fma_f32 v1, v18, s14, -v1
	v_fmac_f32_e32 v3, s15, v18
	s_waitcnt vmcnt(0)
	v_mul_f32_e32 v9, s17, v8
	v_mul_f32_e32 v8, s16, v8
	v_fma_f32 v9, v7, s16, -v9
	v_fmac_f32_e32 v8, s17, v7
	v_add_f32_e32 v7, v1, v9
	v_add_f32_e32 v8, v3, v8
	global_store_dwordx2 v[5:6], v[7:8], off
.LBB1111_8:
	s_or_b64 exec, exec, s[4:5]
	v_add_u32_e32 v3, 16, v4
	v_ashrrev_i32_e32 v1, 31, v3
	v_mul_lo_u32 v6, s21, v3
	v_mad_u64_u32 v[4:5], s[2:3], s20, v3, 0
	v_mul_lo_u32 v1, s20, v1
	v_add3_u32 v5, v5, v1, v6
	v_lshlrev_b64 v[4:5], 3, v[4:5]
	v_mov_b32_e32 v1, s7
	v_add_co_u32_e64 v4, s[2:3], s6, v4
	v_addc_co_u32_e64 v5, s[2:3], v1, v5, s[2:3]
	v_cmp_le_i32_e64 s[2:3], v3, v0
	s_and_b64 s[4:5], s[2:3], vcc
	s_and_saveexec_b64 s[2:3], s[4:5]
	s_cbranch_execz .LBB1111_10
; %bb.9:
	v_ashrrev_i32_e32 v1, 31, v0
	v_lshlrev_b64 v[0:1], 3, v[0:1]
	v_mul_f32_e32 v8, s15, v17
	v_add_co_u32_e32 v0, vcc, v4, v0
	v_addc_co_u32_e32 v1, vcc, v5, v1, vcc
	global_load_dwordx2 v[6:7], v[0:1], off
	v_mul_f32_e32 v9, s14, v17
	v_fma_f32 v8, v16, s14, -v8
	v_fmac_f32_e32 v9, s15, v16
	s_waitcnt vmcnt(0)
	v_mul_f32_e32 v11, s17, v7
	v_mul_f32_e32 v7, s16, v7
	v_fma_f32 v11, v6, s16, -v11
	v_fmac_f32_e32 v7, s17, v6
	v_add_f32_e32 v6, v8, v11
	v_add_f32_e32 v7, v9, v7
	global_store_dwordx2 v[0:1], v[6:7], off
.LBB1111_10:
	s_or_b64 exec, exec, s[2:3]
	v_cmp_le_i32_e32 vcc, v3, v2
	s_and_b64 s[0:1], vcc, s[0:1]
	s_and_saveexec_b64 s[2:3], s[0:1]
	s_cbranch_execz .LBB1111_12
; %bb.11:
	v_ashrrev_i32_e32 v3, 31, v2
	v_lshlrev_b64 v[0:1], 3, v[2:3]
	v_add_co_u32_e32 v0, vcc, v4, v0
	v_addc_co_u32_e32 v1, vcc, v5, v1, vcc
	global_load_dwordx2 v[2:3], v[0:1], off
	v_mul_f32_e32 v4, s15, v10
	v_mul_f32_e32 v5, s14, v10
	v_fma_f32 v4, v15, s14, -v4
	v_fmac_f32_e32 v5, s15, v15
	s_waitcnt vmcnt(0)
	v_mul_f32_e32 v6, s17, v3
	v_mul_f32_e32 v3, s16, v3
	v_fma_f32 v6, v2, s16, -v6
	v_fmac_f32_e32 v3, s17, v2
	v_add_f32_e32 v2, v4, v6
	v_add_f32_e32 v3, v5, v3
	global_store_dwordx2 v[0:1], v[2:3], off
.LBB1111_12:
	s_endpgm
	.section	.rodata,"a",@progbits
	.p2align	6, 0x0
	.amdhsa_kernel _ZL37rocblas_syrkx_herkx_restricted_kernelIl19rocblas_complex_numIfELi16ELi32ELi8ELb0ELb0ELc67ELc76EKS1_S1_EviT_T0_PT8_S3_lS6_S3_lS4_PT9_S3_li
		.amdhsa_group_segment_fixed_size 4096
		.amdhsa_private_segment_fixed_size 0
		.amdhsa_kernarg_size 108
		.amdhsa_user_sgpr_count 6
		.amdhsa_user_sgpr_private_segment_buffer 1
		.amdhsa_user_sgpr_dispatch_ptr 0
		.amdhsa_user_sgpr_queue_ptr 0
		.amdhsa_user_sgpr_kernarg_segment_ptr 1
		.amdhsa_user_sgpr_dispatch_id 0
		.amdhsa_user_sgpr_flat_scratch_init 0
		.amdhsa_user_sgpr_private_segment_size 0
		.amdhsa_uses_dynamic_stack 0
		.amdhsa_system_sgpr_private_segment_wavefront_offset 0
		.amdhsa_system_sgpr_workgroup_id_x 1
		.amdhsa_system_sgpr_workgroup_id_y 1
		.amdhsa_system_sgpr_workgroup_id_z 1
		.amdhsa_system_sgpr_workgroup_info 0
		.amdhsa_system_vgpr_workitem_id 1
		.amdhsa_next_free_vgpr 41
		.amdhsa_next_free_sgpr 28
		.amdhsa_reserve_vcc 1
		.amdhsa_reserve_flat_scratch 0
		.amdhsa_float_round_mode_32 0
		.amdhsa_float_round_mode_16_64 0
		.amdhsa_float_denorm_mode_32 3
		.amdhsa_float_denorm_mode_16_64 3
		.amdhsa_dx10_clamp 1
		.amdhsa_ieee_mode 1
		.amdhsa_fp16_overflow 0
		.amdhsa_exception_fp_ieee_invalid_op 0
		.amdhsa_exception_fp_denorm_src 0
		.amdhsa_exception_fp_ieee_div_zero 0
		.amdhsa_exception_fp_ieee_overflow 0
		.amdhsa_exception_fp_ieee_underflow 0
		.amdhsa_exception_fp_ieee_inexact 0
		.amdhsa_exception_int_div_zero 0
	.end_amdhsa_kernel
	.section	.text._ZL37rocblas_syrkx_herkx_restricted_kernelIl19rocblas_complex_numIfELi16ELi32ELi8ELb0ELb0ELc67ELc76EKS1_S1_EviT_T0_PT8_S3_lS6_S3_lS4_PT9_S3_li,"axG",@progbits,_ZL37rocblas_syrkx_herkx_restricted_kernelIl19rocblas_complex_numIfELi16ELi32ELi8ELb0ELb0ELc67ELc76EKS1_S1_EviT_T0_PT8_S3_lS6_S3_lS4_PT9_S3_li,comdat
.Lfunc_end1111:
	.size	_ZL37rocblas_syrkx_herkx_restricted_kernelIl19rocblas_complex_numIfELi16ELi32ELi8ELb0ELb0ELc67ELc76EKS1_S1_EviT_T0_PT8_S3_lS6_S3_lS4_PT9_S3_li, .Lfunc_end1111-_ZL37rocblas_syrkx_herkx_restricted_kernelIl19rocblas_complex_numIfELi16ELi32ELi8ELb0ELb0ELc67ELc76EKS1_S1_EviT_T0_PT8_S3_lS6_S3_lS4_PT9_S3_li
                                        ; -- End function
	.set _ZL37rocblas_syrkx_herkx_restricted_kernelIl19rocblas_complex_numIfELi16ELi32ELi8ELb0ELb0ELc67ELc76EKS1_S1_EviT_T0_PT8_S3_lS6_S3_lS4_PT9_S3_li.num_vgpr, 41
	.set _ZL37rocblas_syrkx_herkx_restricted_kernelIl19rocblas_complex_numIfELi16ELi32ELi8ELb0ELb0ELc67ELc76EKS1_S1_EviT_T0_PT8_S3_lS6_S3_lS4_PT9_S3_li.num_agpr, 0
	.set _ZL37rocblas_syrkx_herkx_restricted_kernelIl19rocblas_complex_numIfELi16ELi32ELi8ELb0ELb0ELc67ELc76EKS1_S1_EviT_T0_PT8_S3_lS6_S3_lS4_PT9_S3_li.numbered_sgpr, 28
	.set _ZL37rocblas_syrkx_herkx_restricted_kernelIl19rocblas_complex_numIfELi16ELi32ELi8ELb0ELb0ELc67ELc76EKS1_S1_EviT_T0_PT8_S3_lS6_S3_lS4_PT9_S3_li.num_named_barrier, 0
	.set _ZL37rocblas_syrkx_herkx_restricted_kernelIl19rocblas_complex_numIfELi16ELi32ELi8ELb0ELb0ELc67ELc76EKS1_S1_EviT_T0_PT8_S3_lS6_S3_lS4_PT9_S3_li.private_seg_size, 0
	.set _ZL37rocblas_syrkx_herkx_restricted_kernelIl19rocblas_complex_numIfELi16ELi32ELi8ELb0ELb0ELc67ELc76EKS1_S1_EviT_T0_PT8_S3_lS6_S3_lS4_PT9_S3_li.uses_vcc, 1
	.set _ZL37rocblas_syrkx_herkx_restricted_kernelIl19rocblas_complex_numIfELi16ELi32ELi8ELb0ELb0ELc67ELc76EKS1_S1_EviT_T0_PT8_S3_lS6_S3_lS4_PT9_S3_li.uses_flat_scratch, 0
	.set _ZL37rocblas_syrkx_herkx_restricted_kernelIl19rocblas_complex_numIfELi16ELi32ELi8ELb0ELb0ELc67ELc76EKS1_S1_EviT_T0_PT8_S3_lS6_S3_lS4_PT9_S3_li.has_dyn_sized_stack, 0
	.set _ZL37rocblas_syrkx_herkx_restricted_kernelIl19rocblas_complex_numIfELi16ELi32ELi8ELb0ELb0ELc67ELc76EKS1_S1_EviT_T0_PT8_S3_lS6_S3_lS4_PT9_S3_li.has_recursion, 0
	.set _ZL37rocblas_syrkx_herkx_restricted_kernelIl19rocblas_complex_numIfELi16ELi32ELi8ELb0ELb0ELc67ELc76EKS1_S1_EviT_T0_PT8_S3_lS6_S3_lS4_PT9_S3_li.has_indirect_call, 0
	.section	.AMDGPU.csdata,"",@progbits
; Kernel info:
; codeLenInByte = 2204
; TotalNumSgprs: 32
; NumVgprs: 41
; ScratchSize: 0
; MemoryBound: 0
; FloatMode: 240
; IeeeMode: 1
; LDSByteSize: 4096 bytes/workgroup (compile time only)
; SGPRBlocks: 3
; VGPRBlocks: 10
; NumSGPRsForWavesPerEU: 32
; NumVGPRsForWavesPerEU: 41
; Occupancy: 5
; WaveLimiterHint : 0
; COMPUTE_PGM_RSRC2:SCRATCH_EN: 0
; COMPUTE_PGM_RSRC2:USER_SGPR: 6
; COMPUTE_PGM_RSRC2:TRAP_HANDLER: 0
; COMPUTE_PGM_RSRC2:TGID_X_EN: 1
; COMPUTE_PGM_RSRC2:TGID_Y_EN: 1
; COMPUTE_PGM_RSRC2:TGID_Z_EN: 1
; COMPUTE_PGM_RSRC2:TIDIG_COMP_CNT: 1
	.section	.text._ZL37rocblas_syrkx_herkx_restricted_kernelIl19rocblas_complex_numIfELi16ELi32ELi8ELb0ELb0ELc78ELc76EKS1_S1_EviT_T0_PT8_S3_lS6_S3_lS4_PT9_S3_li,"axG",@progbits,_ZL37rocblas_syrkx_herkx_restricted_kernelIl19rocblas_complex_numIfELi16ELi32ELi8ELb0ELb0ELc78ELc76EKS1_S1_EviT_T0_PT8_S3_lS6_S3_lS4_PT9_S3_li,comdat
	.globl	_ZL37rocblas_syrkx_herkx_restricted_kernelIl19rocblas_complex_numIfELi16ELi32ELi8ELb0ELb0ELc78ELc76EKS1_S1_EviT_T0_PT8_S3_lS6_S3_lS4_PT9_S3_li ; -- Begin function _ZL37rocblas_syrkx_herkx_restricted_kernelIl19rocblas_complex_numIfELi16ELi32ELi8ELb0ELb0ELc78ELc76EKS1_S1_EviT_T0_PT8_S3_lS6_S3_lS4_PT9_S3_li
	.p2align	8
	.type	_ZL37rocblas_syrkx_herkx_restricted_kernelIl19rocblas_complex_numIfELi16ELi32ELi8ELb0ELb0ELc78ELc76EKS1_S1_EviT_T0_PT8_S3_lS6_S3_lS4_PT9_S3_li,@function
_ZL37rocblas_syrkx_herkx_restricted_kernelIl19rocblas_complex_numIfELi16ELi32ELi8ELb0ELb0ELc78ELc76EKS1_S1_EviT_T0_PT8_S3_lS6_S3_lS4_PT9_S3_li: ; @_ZL37rocblas_syrkx_herkx_restricted_kernelIl19rocblas_complex_numIfELi16ELi32ELi8ELb0ELb0ELc78ELc76EKS1_S1_EviT_T0_PT8_S3_lS6_S3_lS4_PT9_S3_li
; %bb.0:
	s_load_dwordx16 s[12:27], s[4:5], 0x8
	s_lshl_b32 s9, s6, 5
	s_lshl_b32 s10, s7, 5
	s_waitcnt lgkmcnt(0)
	v_cmp_lt_i64_e64 s[0:1], s[12:13], 1
	s_and_b64 vcc, exec, s[0:1]
	s_cbranch_vccnz .LBB1112_3
; %bb.1:
	v_lshl_add_u32 v5, v1, 4, v0
	v_lshrrev_b32_e32 v6, 3, v5
	v_add_u32_e32 v2, s10, v6
	v_and_b32_e32 v7, 7, v0
	v_ashrrev_i32_e32 v3, 31, v2
	v_mad_u64_u32 v[2:3], s[0:1], s24, v7, v[2:3]
	v_lshrrev_b32_e32 v8, 5, v5
	s_mul_i32 s2, s21, s8
	v_mad_u64_u32 v[3:4], s[0:1], s25, v7, v[3:4]
	v_and_b32_e32 v4, 31, v5
	v_lshlrev_b32_e32 v5, 3, v4
	v_lshl_or_b32 v10, v8, 8, v5
	v_lshlrev_b32_e32 v5, 3, v7
	v_lshl_or_b32 v5, v6, 6, v5
	v_add_u32_e32 v4, s9, v4
	v_add_u32_e32 v11, 0x800, v5
	v_ashrrev_i32_e32 v5, 31, v4
	v_mad_u64_u32 v[4:5], s[0:1], s18, v8, v[4:5]
	v_mov_b32_e32 v6, 0x800
	v_lshl_add_u32 v13, v1, 6, v6
	v_mad_u64_u32 v[5:6], s[0:1], s19, v8, v[5:6]
	s_mul_hi_u32 s3, s20, s8
	s_add_i32 s1, s3, s2
	s_mul_i32 s0, s20, s8
	s_lshl_b64 s[0:1], s[0:1], 3
	v_lshlrev_b64 v[4:5], 3, v[4:5]
	s_add_u32 s0, s16, s0
	s_addc_u32 s1, s17, s1
	s_mul_i32 s2, s27, s8
	s_mul_hi_u32 s3, s26, s8
	v_mov_b32_e32 v6, s1
	v_add_co_u32_e32 v4, vcc, s0, v4
	s_add_i32 s3, s3, s2
	s_mul_i32 s2, s26, s8
	v_addc_co_u32_e32 v5, vcc, v6, v5, vcc
	s_lshl_b64 s[0:1], s[18:19], 6
	s_lshl_b64 s[2:3], s[2:3], 3
	v_add_co_u32_e32 v6, vcc, 4, v4
	v_lshlrev_b64 v[2:3], 3, v[2:3]
	s_add_u32 s2, s22, s2
	v_addc_co_u32_e32 v7, vcc, 0, v5, vcc
	s_addc_u32 s3, s23, s3
	v_mov_b32_e32 v4, s3
	v_add_co_u32_e32 v2, vcc, s2, v2
	v_addc_co_u32_e32 v3, vcc, v4, v3, vcc
	v_add_co_u32_e32 v8, vcc, 4, v2
	s_lshl_b64 s[2:3], s[24:25], 6
	v_lshlrev_b32_e32 v12, 3, v0
	v_addc_co_u32_e32 v9, vcc, 0, v3, vcc
	v_mov_b32_e32 v16, 0
	s_mov_b64 s[6:7], 0
	v_mov_b32_e32 v14, s1
	v_mov_b32_e32 v15, s3
	;; [unrolled: 1-line block ×9, first 2 shown]
.LBB1112_2:                             ; =>This Inner Loop Header: Depth=1
	global_load_dwordx2 v[2:3], v[6:7], off offset:-4
	v_add_co_u32_e32 v6, vcc, s0, v6
	s_add_u32 s6, s6, 8
	v_addc_co_u32_e32 v7, vcc, v7, v14, vcc
	s_addc_u32 s7, s7, 0
	s_waitcnt vmcnt(0)
	ds_write_b64 v10, v[2:3]
	global_load_dwordx2 v[2:3], v[8:9], off offset:-4
	v_add_co_u32_e32 v8, vcc, s2, v8
	v_addc_co_u32_e32 v9, vcc, v9, v15, vcc
	s_waitcnt vmcnt(0)
	ds_write_b64 v11, v[2:3]
	s_waitcnt lgkmcnt(0)
	s_barrier
	ds_read_b128 v[24:27], v13
	ds_read_b128 v[28:31], v13 offset:16
	ds_read_b128 v[32:35], v13 offset:32
	;; [unrolled: 1-line block ×3, first 2 shown]
	ds_read2_b64 v[36:39], v12 offset1:16
	s_waitcnt lgkmcnt(0)
	v_mul_f32_e32 v40, v25, v37
	v_mul_f32_e32 v41, v24, v37
	v_fma_f32 v40, v24, v36, -v40
	v_fmac_f32_e32 v41, v25, v36
	v_add_f32_e32 v40, v22, v40
	v_add_f32_e32 v41, v23, v41
	v_mul_f32_e32 v22, v25, v39
	v_mul_f32_e32 v23, v24, v39
	v_fma_f32 v22, v24, v38, -v22
	v_fmac_f32_e32 v23, v25, v38
	v_add_f32_e32 v24, v20, v22
	v_add_f32_e32 v25, v21, v23
	ds_read_b128 v[20:23], v13 offset:1024
	s_waitcnt lgkmcnt(0)
	v_mul_f32_e32 v42, v21, v37
	v_mul_f32_e32 v37, v20, v37
	v_fma_f32 v42, v20, v36, -v42
	v_fmac_f32_e32 v37, v21, v36
	v_add_f32_e32 v36, v18, v42
	v_add_f32_e32 v37, v19, v37
	v_mul_f32_e32 v18, v21, v39
	v_mul_f32_e32 v19, v20, v39
	v_fma_f32 v18, v20, v38, -v18
	v_fmac_f32_e32 v19, v21, v38
	v_add_f32_e32 v20, v17, v18
	v_add_f32_e32 v21, v16, v19
	ds_read2_b64 v[16:19], v12 offset0:32 offset1:48
	s_waitcnt lgkmcnt(0)
	v_mul_f32_e32 v38, v27, v17
	v_fma_f32 v38, v26, v16, -v38
	v_add_f32_e32 v38, v40, v38
	v_mul_f32_e32 v40, v27, v19
	v_mul_f32_e32 v39, v26, v17
	v_fma_f32 v40, v26, v18, -v40
	v_mul_f32_e32 v26, v26, v19
	v_fmac_f32_e32 v26, v27, v18
	v_add_f32_e32 v25, v25, v26
	v_mul_f32_e32 v26, v23, v17
	v_mul_f32_e32 v17, v22, v17
	v_fmac_f32_e32 v17, v23, v16
	v_fmac_f32_e32 v39, v27, v16
	v_fma_f32 v26, v22, v16, -v26
	v_add_f32_e32 v27, v37, v17
	v_mul_f32_e32 v16, v23, v19
	v_mul_f32_e32 v17, v22, v19
	v_fma_f32 v16, v22, v18, -v16
	v_fmac_f32_e32 v17, v23, v18
	v_add_f32_e32 v26, v36, v26
	v_add_f32_e32 v36, v20, v16
	;; [unrolled: 1-line block ×3, first 2 shown]
	ds_read2_b64 v[16:19], v12 offset0:64 offset1:80
	v_add_f32_e32 v39, v41, v39
	v_add_f32_e32 v24, v24, v40
	s_waitcnt lgkmcnt(0)
	v_mul_f32_e32 v20, v29, v17
	v_mul_f32_e32 v21, v28, v17
	v_fma_f32 v20, v28, v16, -v20
	v_fmac_f32_e32 v21, v29, v16
	v_add_f32_e32 v38, v38, v20
	v_add_f32_e32 v39, v39, v21
	v_mul_f32_e32 v20, v29, v19
	v_mul_f32_e32 v21, v28, v19
	v_fma_f32 v20, v28, v18, -v20
	v_fmac_f32_e32 v21, v29, v18
	v_add_f32_e32 v24, v24, v20
	v_add_f32_e32 v25, v25, v21
	ds_read_b128 v[20:23], v13 offset:1040
	s_waitcnt lgkmcnt(0)
	v_mul_f32_e32 v28, v21, v17
	v_mul_f32_e32 v17, v20, v17
	v_fmac_f32_e32 v17, v21, v16
	v_fma_f32 v28, v20, v16, -v28
	v_add_f32_e32 v27, v27, v17
	v_mul_f32_e32 v16, v21, v19
	v_mul_f32_e32 v17, v20, v19
	v_fma_f32 v16, v20, v18, -v16
	v_fmac_f32_e32 v17, v21, v18
	v_add_f32_e32 v20, v36, v16
	v_add_f32_e32 v21, v37, v17
	ds_read2_b64 v[16:19], v12 offset0:96 offset1:112
	v_add_f32_e32 v26, v26, v28
	s_waitcnt lgkmcnt(0)
	v_mul_f32_e32 v28, v31, v17
	v_mul_f32_e32 v36, v31, v19
	v_fma_f32 v28, v30, v16, -v28
	v_mul_f32_e32 v29, v30, v17
	v_fma_f32 v36, v30, v18, -v36
	v_mul_f32_e32 v30, v30, v19
	v_fmac_f32_e32 v30, v31, v18
	v_add_f32_e32 v25, v25, v30
	v_mul_f32_e32 v30, v23, v17
	v_mul_f32_e32 v17, v22, v17
	v_fmac_f32_e32 v17, v23, v16
	v_fmac_f32_e32 v29, v31, v16
	v_fma_f32 v30, v22, v16, -v30
	v_add_f32_e32 v27, v27, v17
	v_mul_f32_e32 v16, v23, v19
	v_mul_f32_e32 v17, v22, v19
	v_fma_f32 v16, v22, v18, -v16
	v_fmac_f32_e32 v17, v23, v18
	v_add_f32_e32 v26, v26, v30
	v_add_f32_e32 v30, v20, v16
	;; [unrolled: 1-line block ×3, first 2 shown]
	ds_read2_b64 v[16:19], v12 offset0:128 offset1:144
	v_add_f32_e32 v28, v38, v28
	v_add_f32_e32 v29, v39, v29
	;; [unrolled: 1-line block ×3, first 2 shown]
	s_waitcnt lgkmcnt(0)
	v_mul_f32_e32 v20, v33, v17
	v_mul_f32_e32 v21, v32, v17
	v_fma_f32 v20, v32, v16, -v20
	v_fmac_f32_e32 v21, v33, v16
	v_add_f32_e32 v28, v28, v20
	v_add_f32_e32 v29, v29, v21
	v_mul_f32_e32 v20, v33, v19
	v_mul_f32_e32 v21, v32, v19
	v_fma_f32 v20, v32, v18, -v20
	v_fmac_f32_e32 v21, v33, v18
	v_add_f32_e32 v24, v24, v20
	v_add_f32_e32 v25, v25, v21
	ds_read_b128 v[20:23], v13 offset:1056
	s_waitcnt lgkmcnt(0)
	v_mul_f32_e32 v32, v21, v17
	v_mul_f32_e32 v17, v20, v17
	v_fmac_f32_e32 v17, v21, v16
	v_fma_f32 v32, v20, v16, -v32
	v_add_f32_e32 v27, v27, v17
	v_mul_f32_e32 v16, v21, v19
	v_mul_f32_e32 v17, v20, v19
	v_fma_f32 v16, v20, v18, -v16
	v_fmac_f32_e32 v17, v21, v18
	v_add_f32_e32 v20, v30, v16
	v_add_f32_e32 v21, v31, v17
	ds_read2_b64 v[16:19], v12 offset0:160 offset1:176
	v_add_f32_e32 v26, v26, v32
	s_waitcnt lgkmcnt(0)
	v_mul_f32_e32 v30, v35, v17
	v_fma_f32 v30, v34, v16, -v30
	v_add_f32_e32 v28, v28, v30
	v_mul_f32_e32 v30, v35, v19
	v_fma_f32 v30, v34, v18, -v30
	v_mul_f32_e32 v31, v34, v17
	v_add_f32_e32 v24, v24, v30
	v_mul_f32_e32 v30, v23, v17
	v_mul_f32_e32 v17, v22, v17
	v_fmac_f32_e32 v17, v23, v16
	v_fmac_f32_e32 v31, v35, v16
	v_fma_f32 v30, v22, v16, -v30
	v_add_f32_e32 v27, v27, v17
	v_mul_f32_e32 v16, v23, v19
	v_mul_f32_e32 v17, v22, v19
	v_add_f32_e32 v29, v29, v31
	v_mul_f32_e32 v31, v34, v19
	v_fma_f32 v16, v22, v18, -v16
	v_fmac_f32_e32 v17, v23, v18
	v_fmac_f32_e32 v31, v35, v18
	v_add_f32_e32 v20, v20, v16
	v_add_f32_e32 v21, v21, v17
	ds_read2_b64 v[16:19], v12 offset0:192 offset1:208
	v_add_f32_e32 v26, v26, v30
	v_add_f32_e32 v25, v25, v31
	s_waitcnt lgkmcnt(0)
	v_mul_f32_e32 v22, v3, v17
	v_fma_f32 v22, v2, v16, -v22
	v_add_f32_e32 v30, v28, v22
	v_mul_f32_e32 v22, v3, v19
	v_mul_f32_e32 v23, v2, v17
	v_fma_f32 v22, v2, v18, -v22
	v_mul_f32_e32 v2, v2, v19
	v_fmac_f32_e32 v23, v3, v16
	v_fmac_f32_e32 v2, v3, v18
	v_add_f32_e32 v31, v29, v23
	v_add_f32_e32 v3, v24, v22
	;; [unrolled: 1-line block ×3, first 2 shown]
	ds_read_b128 v[22:25], v13 offset:1072
	s_waitcnt lgkmcnt(0)
	v_mul_f32_e32 v28, v23, v17
	v_fma_f32 v28, v22, v16, -v28
	v_mul_f32_e32 v17, v22, v17
	v_fmac_f32_e32 v17, v23, v16
	v_add_f32_e32 v16, v26, v28
	v_mul_f32_e32 v26, v23, v19
	v_fma_f32 v26, v22, v18, -v26
	v_add_f32_e32 v17, v27, v17
	v_add_f32_e32 v32, v20, v26
	ds_read2_b64 v[26:29], v12 offset0:224 offset1:240
	v_mul_f32_e32 v19, v22, v19
	v_fmac_f32_e32 v19, v23, v18
	v_add_f32_e32 v33, v21, v19
	s_waitcnt lgkmcnt(0)
	v_mul_f32_e32 v18, v5, v27
	v_fma_f32 v18, v4, v26, -v18
	v_add_f32_e32 v22, v30, v18
	v_mul_f32_e32 v18, v5, v29
	v_mul_f32_e32 v19, v4, v27
	v_fma_f32 v18, v4, v28, -v18
	v_mul_f32_e32 v4, v4, v29
	v_fmac_f32_e32 v4, v5, v28
	v_add_f32_e32 v20, v3, v18
	v_add_f32_e32 v21, v2, v4
	v_mul_f32_e32 v2, v25, v27
	v_mul_f32_e32 v3, v24, v27
	v_fmac_f32_e32 v19, v5, v26
	v_fma_f32 v2, v24, v26, -v2
	v_fmac_f32_e32 v3, v25, v26
	v_add_f32_e32 v23, v31, v19
	v_add_f32_e32 v18, v16, v2
	;; [unrolled: 1-line block ×3, first 2 shown]
	v_mul_f32_e32 v2, v25, v29
	v_mul_f32_e32 v3, v24, v29
	v_fma_f32 v2, v24, v28, -v2
	v_fmac_f32_e32 v3, v25, v28
	v_add_f32_e32 v17, v32, v2
	v_add_f32_e32 v16, v33, v3
	v_mov_b32_e32 v2, s6
	v_mov_b32_e32 v3, s7
	v_cmp_le_u64_e32 vcc, s[12:13], v[2:3]
	s_barrier
	s_cbranch_vccz .LBB1112_2
	s_branch .LBB1112_4
.LBB1112_3:
	v_mov_b32_e32 v22, 0
	v_mov_b32_e32 v23, 0
	;; [unrolled: 1-line block ×8, first 2 shown]
.LBB1112_4:
	s_load_dwordx8 s[16:23], s[4:5], 0x48
	s_nop 0
	s_load_dword s4, s[4:5], 0x0
	v_add_u32_e32 v4, s10, v1
	v_ashrrev_i32_e32 v1, 31, v4
	v_add_u32_e32 v0, s9, v0
	s_waitcnt lgkmcnt(0)
	v_mul_lo_u32 v3, s20, v1
	v_mul_lo_u32 v5, s21, v4
	v_mad_u64_u32 v[1:2], s[2:3], s20, v4, 0
	s_mul_i32 s0, s23, s8
	s_mul_hi_u32 s1, s22, s8
	s_add_i32 s1, s1, s0
	s_mul_i32 s0, s22, s8
	s_lshl_b64 s[0:1], s[0:1], 3
	v_add3_u32 v2, v2, v3, v5
	s_add_u32 s6, s18, s0
	v_lshlrev_b64 v[1:2], 3, v[1:2]
	s_addc_u32 s7, s19, s1
	v_mov_b32_e32 v3, s7
	v_add_co_u32_e32 v5, vcc, s6, v1
	v_addc_co_u32_e32 v6, vcc, v3, v2, vcc
	v_cmp_le_i32_e64 s[0:1], v4, v0
	v_cmp_gt_i32_e32 vcc, s4, v0
	s_and_b64 s[0:1], s[0:1], vcc
	s_and_saveexec_b64 s[2:3], s[0:1]
	s_cbranch_execz .LBB1112_6
; %bb.5:
	v_ashrrev_i32_e32 v1, 31, v0
	v_lshlrev_b64 v[1:2], 3, v[0:1]
	v_mul_f32_e32 v3, s15, v23
	v_add_co_u32_e64 v1, s[0:1], v5, v1
	v_addc_co_u32_e64 v2, s[0:1], v6, v2, s[0:1]
	global_load_dwordx2 v[7:8], v[1:2], off
	v_mul_f32_e32 v9, s14, v23
	v_fma_f32 v3, v22, s14, -v3
	v_fmac_f32_e32 v9, s15, v22
	s_waitcnt vmcnt(0)
	v_mul_f32_e32 v10, s17, v8
	v_mul_f32_e32 v8, s16, v8
	v_fma_f32 v10, v7, s16, -v10
	v_fmac_f32_e32 v8, s17, v7
	v_add_f32_e32 v7, v3, v10
	v_add_f32_e32 v8, v9, v8
	global_store_dwordx2 v[1:2], v[7:8], off
.LBB1112_6:
	s_or_b64 exec, exec, s[2:3]
	v_add_u32_e32 v2, 16, v0
	v_cmp_le_i32_e64 s[2:3], v4, v2
	v_cmp_gt_i32_e64 s[0:1], s4, v2
	s_and_b64 s[2:3], s[2:3], s[0:1]
	s_and_saveexec_b64 s[4:5], s[2:3]
	s_cbranch_execz .LBB1112_8
; %bb.7:
	v_ashrrev_i32_e32 v3, 31, v2
	v_lshlrev_b64 v[7:8], 3, v[2:3]
	v_mul_f32_e32 v1, s15, v21
	v_add_co_u32_e64 v5, s[2:3], v5, v7
	v_addc_co_u32_e64 v6, s[2:3], v6, v8, s[2:3]
	global_load_dwordx2 v[7:8], v[5:6], off
	v_mul_f32_e32 v3, s14, v21
	v_fma_f32 v1, v20, s14, -v1
	v_fmac_f32_e32 v3, s15, v20
	s_waitcnt vmcnt(0)
	v_mul_f32_e32 v9, s17, v8
	v_mul_f32_e32 v8, s16, v8
	v_fma_f32 v9, v7, s16, -v9
	v_fmac_f32_e32 v8, s17, v7
	v_add_f32_e32 v7, v1, v9
	v_add_f32_e32 v8, v3, v8
	global_store_dwordx2 v[5:6], v[7:8], off
.LBB1112_8:
	s_or_b64 exec, exec, s[4:5]
	v_add_u32_e32 v3, 16, v4
	v_ashrrev_i32_e32 v1, 31, v3
	v_mul_lo_u32 v6, s21, v3
	v_mad_u64_u32 v[4:5], s[2:3], s20, v3, 0
	v_mul_lo_u32 v1, s20, v1
	v_add3_u32 v5, v5, v1, v6
	v_lshlrev_b64 v[4:5], 3, v[4:5]
	v_mov_b32_e32 v1, s7
	v_add_co_u32_e64 v4, s[2:3], s6, v4
	v_addc_co_u32_e64 v5, s[2:3], v1, v5, s[2:3]
	v_cmp_le_i32_e64 s[2:3], v3, v0
	s_and_b64 s[4:5], s[2:3], vcc
	s_and_saveexec_b64 s[2:3], s[4:5]
	s_cbranch_execz .LBB1112_10
; %bb.9:
	v_ashrrev_i32_e32 v1, 31, v0
	v_lshlrev_b64 v[0:1], 3, v[0:1]
	v_mul_f32_e32 v8, s15, v19
	v_add_co_u32_e32 v0, vcc, v4, v0
	v_addc_co_u32_e32 v1, vcc, v5, v1, vcc
	global_load_dwordx2 v[6:7], v[0:1], off
	v_mul_f32_e32 v9, s14, v19
	v_fma_f32 v8, v18, s14, -v8
	v_fmac_f32_e32 v9, s15, v18
	s_waitcnt vmcnt(0)
	v_mul_f32_e32 v10, s17, v7
	v_mul_f32_e32 v7, s16, v7
	v_fma_f32 v10, v6, s16, -v10
	v_fmac_f32_e32 v7, s17, v6
	v_add_f32_e32 v6, v8, v10
	v_add_f32_e32 v7, v9, v7
	global_store_dwordx2 v[0:1], v[6:7], off
.LBB1112_10:
	s_or_b64 exec, exec, s[2:3]
	v_cmp_le_i32_e32 vcc, v3, v2
	s_and_b64 s[0:1], vcc, s[0:1]
	s_and_saveexec_b64 s[2:3], s[0:1]
	s_cbranch_execz .LBB1112_12
; %bb.11:
	v_ashrrev_i32_e32 v3, 31, v2
	v_lshlrev_b64 v[0:1], 3, v[2:3]
	v_add_co_u32_e32 v0, vcc, v4, v0
	v_addc_co_u32_e32 v1, vcc, v5, v1, vcc
	global_load_dwordx2 v[2:3], v[0:1], off
	v_mul_f32_e32 v4, s15, v16
	v_mul_f32_e32 v5, s14, v16
	v_fma_f32 v4, v17, s14, -v4
	v_fmac_f32_e32 v5, s15, v17
	s_waitcnt vmcnt(0)
	v_mul_f32_e32 v6, s17, v3
	v_mul_f32_e32 v3, s16, v3
	v_fma_f32 v6, v2, s16, -v6
	v_fmac_f32_e32 v3, s17, v2
	v_add_f32_e32 v2, v4, v6
	v_add_f32_e32 v3, v5, v3
	global_store_dwordx2 v[0:1], v[2:3], off
.LBB1112_12:
	s_endpgm
	.section	.rodata,"a",@progbits
	.p2align	6, 0x0
	.amdhsa_kernel _ZL37rocblas_syrkx_herkx_restricted_kernelIl19rocblas_complex_numIfELi16ELi32ELi8ELb0ELb0ELc78ELc76EKS1_S1_EviT_T0_PT8_S3_lS6_S3_lS4_PT9_S3_li
		.amdhsa_group_segment_fixed_size 4096
		.amdhsa_private_segment_fixed_size 0
		.amdhsa_kernarg_size 108
		.amdhsa_user_sgpr_count 6
		.amdhsa_user_sgpr_private_segment_buffer 1
		.amdhsa_user_sgpr_dispatch_ptr 0
		.amdhsa_user_sgpr_queue_ptr 0
		.amdhsa_user_sgpr_kernarg_segment_ptr 1
		.amdhsa_user_sgpr_dispatch_id 0
		.amdhsa_user_sgpr_flat_scratch_init 0
		.amdhsa_user_sgpr_private_segment_size 0
		.amdhsa_uses_dynamic_stack 0
		.amdhsa_system_sgpr_private_segment_wavefront_offset 0
		.amdhsa_system_sgpr_workgroup_id_x 1
		.amdhsa_system_sgpr_workgroup_id_y 1
		.amdhsa_system_sgpr_workgroup_id_z 1
		.amdhsa_system_sgpr_workgroup_info 0
		.amdhsa_system_vgpr_workitem_id 1
		.amdhsa_next_free_vgpr 43
		.amdhsa_next_free_sgpr 28
		.amdhsa_reserve_vcc 1
		.amdhsa_reserve_flat_scratch 0
		.amdhsa_float_round_mode_32 0
		.amdhsa_float_round_mode_16_64 0
		.amdhsa_float_denorm_mode_32 3
		.amdhsa_float_denorm_mode_16_64 3
		.amdhsa_dx10_clamp 1
		.amdhsa_ieee_mode 1
		.amdhsa_fp16_overflow 0
		.amdhsa_exception_fp_ieee_invalid_op 0
		.amdhsa_exception_fp_denorm_src 0
		.amdhsa_exception_fp_ieee_div_zero 0
		.amdhsa_exception_fp_ieee_overflow 0
		.amdhsa_exception_fp_ieee_underflow 0
		.amdhsa_exception_fp_ieee_inexact 0
		.amdhsa_exception_int_div_zero 0
	.end_amdhsa_kernel
	.section	.text._ZL37rocblas_syrkx_herkx_restricted_kernelIl19rocblas_complex_numIfELi16ELi32ELi8ELb0ELb0ELc78ELc76EKS1_S1_EviT_T0_PT8_S3_lS6_S3_lS4_PT9_S3_li,"axG",@progbits,_ZL37rocblas_syrkx_herkx_restricted_kernelIl19rocblas_complex_numIfELi16ELi32ELi8ELb0ELb0ELc78ELc76EKS1_S1_EviT_T0_PT8_S3_lS6_S3_lS4_PT9_S3_li,comdat
.Lfunc_end1112:
	.size	_ZL37rocblas_syrkx_herkx_restricted_kernelIl19rocblas_complex_numIfELi16ELi32ELi8ELb0ELb0ELc78ELc76EKS1_S1_EviT_T0_PT8_S3_lS6_S3_lS4_PT9_S3_li, .Lfunc_end1112-_ZL37rocblas_syrkx_herkx_restricted_kernelIl19rocblas_complex_numIfELi16ELi32ELi8ELb0ELb0ELc78ELc76EKS1_S1_EviT_T0_PT8_S3_lS6_S3_lS4_PT9_S3_li
                                        ; -- End function
	.set _ZL37rocblas_syrkx_herkx_restricted_kernelIl19rocblas_complex_numIfELi16ELi32ELi8ELb0ELb0ELc78ELc76EKS1_S1_EviT_T0_PT8_S3_lS6_S3_lS4_PT9_S3_li.num_vgpr, 43
	.set _ZL37rocblas_syrkx_herkx_restricted_kernelIl19rocblas_complex_numIfELi16ELi32ELi8ELb0ELb0ELc78ELc76EKS1_S1_EviT_T0_PT8_S3_lS6_S3_lS4_PT9_S3_li.num_agpr, 0
	.set _ZL37rocblas_syrkx_herkx_restricted_kernelIl19rocblas_complex_numIfELi16ELi32ELi8ELb0ELb0ELc78ELc76EKS1_S1_EviT_T0_PT8_S3_lS6_S3_lS4_PT9_S3_li.numbered_sgpr, 28
	.set _ZL37rocblas_syrkx_herkx_restricted_kernelIl19rocblas_complex_numIfELi16ELi32ELi8ELb0ELb0ELc78ELc76EKS1_S1_EviT_T0_PT8_S3_lS6_S3_lS4_PT9_S3_li.num_named_barrier, 0
	.set _ZL37rocblas_syrkx_herkx_restricted_kernelIl19rocblas_complex_numIfELi16ELi32ELi8ELb0ELb0ELc78ELc76EKS1_S1_EviT_T0_PT8_S3_lS6_S3_lS4_PT9_S3_li.private_seg_size, 0
	.set _ZL37rocblas_syrkx_herkx_restricted_kernelIl19rocblas_complex_numIfELi16ELi32ELi8ELb0ELb0ELc78ELc76EKS1_S1_EviT_T0_PT8_S3_lS6_S3_lS4_PT9_S3_li.uses_vcc, 1
	.set _ZL37rocblas_syrkx_herkx_restricted_kernelIl19rocblas_complex_numIfELi16ELi32ELi8ELb0ELb0ELc78ELc76EKS1_S1_EviT_T0_PT8_S3_lS6_S3_lS4_PT9_S3_li.uses_flat_scratch, 0
	.set _ZL37rocblas_syrkx_herkx_restricted_kernelIl19rocblas_complex_numIfELi16ELi32ELi8ELb0ELb0ELc78ELc76EKS1_S1_EviT_T0_PT8_S3_lS6_S3_lS4_PT9_S3_li.has_dyn_sized_stack, 0
	.set _ZL37rocblas_syrkx_herkx_restricted_kernelIl19rocblas_complex_numIfELi16ELi32ELi8ELb0ELb0ELc78ELc76EKS1_S1_EviT_T0_PT8_S3_lS6_S3_lS4_PT9_S3_li.has_recursion, 0
	.set _ZL37rocblas_syrkx_herkx_restricted_kernelIl19rocblas_complex_numIfELi16ELi32ELi8ELb0ELb0ELc78ELc76EKS1_S1_EviT_T0_PT8_S3_lS6_S3_lS4_PT9_S3_li.has_indirect_call, 0
	.section	.AMDGPU.csdata,"",@progbits
; Kernel info:
; codeLenInByte = 2184
; TotalNumSgprs: 32
; NumVgprs: 43
; ScratchSize: 0
; MemoryBound: 0
; FloatMode: 240
; IeeeMode: 1
; LDSByteSize: 4096 bytes/workgroup (compile time only)
; SGPRBlocks: 3
; VGPRBlocks: 10
; NumSGPRsForWavesPerEU: 32
; NumVGPRsForWavesPerEU: 43
; Occupancy: 5
; WaveLimiterHint : 0
; COMPUTE_PGM_RSRC2:SCRATCH_EN: 0
; COMPUTE_PGM_RSRC2:USER_SGPR: 6
; COMPUTE_PGM_RSRC2:TRAP_HANDLER: 0
; COMPUTE_PGM_RSRC2:TGID_X_EN: 1
; COMPUTE_PGM_RSRC2:TGID_Y_EN: 1
; COMPUTE_PGM_RSRC2:TGID_Z_EN: 1
; COMPUTE_PGM_RSRC2:TIDIG_COMP_CNT: 1
	.section	.text._ZL37rocblas_syrkx_herkx_restricted_kernelIl19rocblas_complex_numIfELi16ELi32ELi8ELb0ELb0ELc84ELc85EKS1_S1_EviT_T0_PT8_S3_lS6_S3_lS4_PT9_S3_li,"axG",@progbits,_ZL37rocblas_syrkx_herkx_restricted_kernelIl19rocblas_complex_numIfELi16ELi32ELi8ELb0ELb0ELc84ELc85EKS1_S1_EviT_T0_PT8_S3_lS6_S3_lS4_PT9_S3_li,comdat
	.globl	_ZL37rocblas_syrkx_herkx_restricted_kernelIl19rocblas_complex_numIfELi16ELi32ELi8ELb0ELb0ELc84ELc85EKS1_S1_EviT_T0_PT8_S3_lS6_S3_lS4_PT9_S3_li ; -- Begin function _ZL37rocblas_syrkx_herkx_restricted_kernelIl19rocblas_complex_numIfELi16ELi32ELi8ELb0ELb0ELc84ELc85EKS1_S1_EviT_T0_PT8_S3_lS6_S3_lS4_PT9_S3_li
	.p2align	8
	.type	_ZL37rocblas_syrkx_herkx_restricted_kernelIl19rocblas_complex_numIfELi16ELi32ELi8ELb0ELb0ELc84ELc85EKS1_S1_EviT_T0_PT8_S3_lS6_S3_lS4_PT9_S3_li,@function
_ZL37rocblas_syrkx_herkx_restricted_kernelIl19rocblas_complex_numIfELi16ELi32ELi8ELb0ELb0ELc84ELc85EKS1_S1_EviT_T0_PT8_S3_lS6_S3_lS4_PT9_S3_li: ; @_ZL37rocblas_syrkx_herkx_restricted_kernelIl19rocblas_complex_numIfELi16ELi32ELi8ELb0ELb0ELc84ELc85EKS1_S1_EviT_T0_PT8_S3_lS6_S3_lS4_PT9_S3_li
; %bb.0:
	s_load_dwordx16 s[12:27], s[4:5], 0x8
	s_lshl_b32 s2, s6, 5
	s_lshl_b32 s3, s7, 5
	s_waitcnt lgkmcnt(0)
	v_cmp_lt_i64_e64 s[0:1], s[12:13], 1
	s_and_b64 vcc, exec, s[0:1]
	s_cbranch_vccnz .LBB1113_3
; %bb.1:
	v_lshl_add_u32 v5, v1, 4, v0
	v_lshrrev_b32_e32 v6, 3, v5
	v_add_u32_e32 v2, s3, v6
	v_and_b32_e32 v9, 7, v0
	v_ashrrev_i32_e32 v3, 31, v2
	v_mov_b32_e32 v10, 0
	v_mul_lo_u32 v7, s24, v3
	v_mul_lo_u32 v8, s25, v2
	v_mad_u64_u32 v[2:3], s[0:1], s24, v2, v[9:10]
	v_and_b32_e32 v15, 31, v5
	v_lshrrev_b32_e32 v4, 5, v5
	v_add3_u32 v3, v8, v3, v7
	v_lshlrev_b32_e32 v7, 3, v15
	v_lshl_or_b32 v11, v4, 8, v7
	v_lshlrev_b32_e32 v7, 3, v9
	v_lshl_or_b32 v6, v6, 6, v7
	v_add_u32_e32 v12, 0x800, v6
	v_mov_b32_e32 v6, 0x800
	v_lshl_add_u32 v14, v1, 6, v6
	v_add_u32_e32 v6, s2, v15
	v_mov_b32_e32 v5, v10
	v_ashrrev_i32_e32 v7, 31, v6
	v_mul_lo_u32 v7, s18, v7
	v_mad_u64_u32 v[4:5], s[0:1], s18, v6, v[4:5]
	v_mul_lo_u32 v6, s19, v6
	s_mul_i32 s6, s21, s8
	s_mul_hi_u32 s7, s20, s8
	s_add_i32 s1, s7, s6
	s_mul_i32 s0, s20, s8
	s_lshl_b64 s[0:1], s[0:1], 3
	v_add3_u32 v5, v6, v5, v7
	v_lshlrev_b64 v[4:5], 3, v[4:5]
	s_add_u32 s0, s16, s0
	s_addc_u32 s1, s17, s1
	v_mov_b32_e32 v6, s1
	v_add_co_u32_e32 v4, vcc, s0, v4
	s_mul_i32 s0, s27, s8
	s_mul_hi_u32 s1, s26, s8
	s_add_i32 s1, s1, s0
	s_mul_i32 s0, s26, s8
	v_addc_co_u32_e32 v5, vcc, v6, v5, vcc
	s_lshl_b64 s[0:1], s[0:1], 3
	v_add_co_u32_e32 v6, vcc, 4, v4
	v_lshlrev_b64 v[2:3], 3, v[2:3]
	s_add_u32 s0, s22, s0
	v_addc_co_u32_e32 v7, vcc, 0, v5, vcc
	s_addc_u32 s1, s23, s1
	v_mov_b32_e32 v4, s1
	v_add_co_u32_e32 v2, vcc, s0, v2
	v_addc_co_u32_e32 v3, vcc, v4, v3, vcc
	v_add_co_u32_e32 v8, vcc, 4, v2
	v_lshlrev_b32_e32 v13, 3, v0
	v_addc_co_u32_e32 v9, vcc, 0, v3, vcc
	s_mov_b64 s[0:1], 0
	v_mov_b32_e32 v15, v10
	v_mov_b32_e32 v17, v10
	;; [unrolled: 1-line block ×7, first 2 shown]
.LBB1113_2:                             ; =>This Inner Loop Header: Depth=1
	global_load_dwordx2 v[2:3], v[6:7], off offset:-4
	s_add_u32 s0, s0, 8
	v_add_co_u32_e32 v6, vcc, 64, v6
	s_addc_u32 s1, s1, 0
	v_addc_co_u32_e32 v7, vcc, 0, v7, vcc
	s_waitcnt vmcnt(0)
	ds_write_b64 v11, v[2:3]
	global_load_dwordx2 v[2:3], v[8:9], off offset:-4
	v_add_co_u32_e32 v8, vcc, 64, v8
	v_addc_co_u32_e32 v9, vcc, 0, v9, vcc
	s_waitcnt vmcnt(0)
	ds_write_b64 v12, v[2:3]
	s_waitcnt lgkmcnt(0)
	s_barrier
	ds_read_b128 v[22:25], v14
	ds_read_b128 v[26:29], v14 offset:16
	ds_read_b128 v[30:33], v14 offset:32
	;; [unrolled: 1-line block ×3, first 2 shown]
	ds_read2_b64 v[34:37], v13 offset1:16
	s_waitcnt lgkmcnt(0)
	v_mul_f32_e32 v38, v23, v35
	v_mul_f32_e32 v39, v22, v35
	v_fma_f32 v38, v22, v34, -v38
	v_fmac_f32_e32 v39, v23, v34
	v_add_f32_e32 v38, v20, v38
	v_add_f32_e32 v39, v21, v39
	v_mul_f32_e32 v20, v23, v37
	v_mul_f32_e32 v21, v22, v37
	v_fma_f32 v20, v22, v36, -v20
	v_fmac_f32_e32 v21, v23, v36
	v_add_f32_e32 v22, v18, v20
	v_add_f32_e32 v23, v19, v21
	ds_read_b128 v[18:21], v14 offset:1024
	s_waitcnt lgkmcnt(0)
	v_mul_f32_e32 v40, v19, v35
	v_mul_f32_e32 v35, v18, v35
	v_fma_f32 v40, v18, v34, -v40
	v_fmac_f32_e32 v35, v19, v34
	v_add_f32_e32 v34, v16, v40
	v_add_f32_e32 v35, v17, v35
	v_mul_f32_e32 v16, v19, v37
	v_mul_f32_e32 v17, v18, v37
	v_fma_f32 v16, v18, v36, -v16
	v_fmac_f32_e32 v17, v19, v36
	v_add_f32_e32 v19, v15, v16
	v_add_f32_e32 v10, v10, v17
	ds_read2_b64 v[15:18], v13 offset0:32 offset1:48
	s_waitcnt lgkmcnt(0)
	v_mul_f32_e32 v36, v25, v16
	v_fma_f32 v36, v24, v15, -v36
	v_add_f32_e32 v36, v38, v36
	v_mul_f32_e32 v38, v25, v18
	v_mul_f32_e32 v37, v24, v16
	v_fma_f32 v38, v24, v17, -v38
	v_mul_f32_e32 v24, v24, v18
	v_fmac_f32_e32 v24, v25, v17
	v_add_f32_e32 v23, v23, v24
	v_mul_f32_e32 v24, v21, v16
	v_mul_f32_e32 v16, v20, v16
	v_fmac_f32_e32 v16, v21, v15
	v_fmac_f32_e32 v37, v25, v15
	v_fma_f32 v24, v20, v15, -v24
	v_add_f32_e32 v25, v35, v16
	v_mul_f32_e32 v15, v21, v18
	v_mul_f32_e32 v16, v20, v18
	v_fma_f32 v15, v20, v17, -v15
	v_fmac_f32_e32 v16, v21, v17
	v_add_f32_e32 v24, v34, v24
	v_add_f32_e32 v34, v19, v15
	;; [unrolled: 1-line block ×3, first 2 shown]
	ds_read2_b64 v[15:18], v13 offset0:64 offset1:80
	v_add_f32_e32 v37, v39, v37
	v_add_f32_e32 v22, v22, v38
	s_waitcnt lgkmcnt(0)
	v_mul_f32_e32 v19, v27, v16
	v_mul_f32_e32 v20, v26, v16
	v_fma_f32 v19, v26, v15, -v19
	v_fmac_f32_e32 v20, v27, v15
	v_add_f32_e32 v35, v36, v19
	v_add_f32_e32 v36, v37, v20
	v_mul_f32_e32 v19, v27, v18
	v_mul_f32_e32 v20, v26, v18
	v_fma_f32 v19, v26, v17, -v19
	v_fmac_f32_e32 v20, v27, v17
	v_add_f32_e32 v26, v22, v19
	v_add_f32_e32 v23, v23, v20
	ds_read_b128 v[19:22], v14 offset:1040
	s_waitcnt lgkmcnt(0)
	v_mul_f32_e32 v27, v20, v16
	v_mul_f32_e32 v16, v19, v16
	v_fmac_f32_e32 v16, v20, v15
	v_fma_f32 v27, v19, v15, -v27
	v_add_f32_e32 v25, v25, v16
	v_mul_f32_e32 v15, v20, v18
	v_mul_f32_e32 v16, v19, v18
	v_fma_f32 v15, v19, v17, -v15
	v_fmac_f32_e32 v16, v20, v17
	v_add_f32_e32 v19, v34, v15
	v_add_f32_e32 v10, v10, v16
	ds_read2_b64 v[15:18], v13 offset0:96 offset1:112
	v_add_f32_e32 v24, v24, v27
	s_waitcnt lgkmcnt(0)
	v_mul_f32_e32 v20, v29, v16
	v_mul_f32_e32 v34, v29, v18
	v_fma_f32 v20, v28, v15, -v20
	v_mul_f32_e32 v27, v28, v16
	v_fma_f32 v34, v28, v17, -v34
	v_mul_f32_e32 v28, v28, v18
	v_fmac_f32_e32 v28, v29, v17
	v_add_f32_e32 v23, v23, v28
	v_mul_f32_e32 v28, v22, v16
	v_mul_f32_e32 v16, v21, v16
	v_fmac_f32_e32 v16, v22, v15
	v_fmac_f32_e32 v27, v29, v15
	v_fma_f32 v28, v21, v15, -v28
	v_add_f32_e32 v25, v25, v16
	v_mul_f32_e32 v15, v22, v18
	v_mul_f32_e32 v16, v21, v18
	v_fma_f32 v15, v21, v17, -v15
	v_fmac_f32_e32 v16, v22, v17
	v_add_f32_e32 v24, v24, v28
	v_add_f32_e32 v28, v19, v15
	;; [unrolled: 1-line block ×3, first 2 shown]
	ds_read2_b64 v[15:18], v13 offset0:128 offset1:144
	v_add_f32_e32 v20, v35, v20
	v_add_f32_e32 v27, v36, v27
	;; [unrolled: 1-line block ×3, first 2 shown]
	s_waitcnt lgkmcnt(0)
	v_mul_f32_e32 v19, v31, v16
	v_fma_f32 v19, v30, v15, -v19
	v_mul_f32_e32 v21, v30, v16
	v_add_f32_e32 v29, v20, v19
	v_mul_f32_e32 v19, v31, v18
	v_mul_f32_e32 v20, v30, v18
	v_fmac_f32_e32 v21, v31, v15
	v_fma_f32 v19, v30, v17, -v19
	v_fmac_f32_e32 v20, v31, v17
	v_add_f32_e32 v27, v27, v21
	v_add_f32_e32 v26, v26, v19
	v_add_f32_e32 v23, v23, v20
	ds_read_b128 v[19:22], v14 offset:1056
	s_waitcnt lgkmcnt(0)
	v_mul_f32_e32 v30, v20, v16
	v_mul_f32_e32 v16, v19, v16
	v_fmac_f32_e32 v16, v20, v15
	v_fma_f32 v30, v19, v15, -v30
	v_add_f32_e32 v25, v25, v16
	v_mul_f32_e32 v15, v20, v18
	v_mul_f32_e32 v16, v19, v18
	v_fma_f32 v15, v19, v17, -v15
	v_fmac_f32_e32 v16, v20, v17
	v_add_f32_e32 v19, v28, v15
	v_add_f32_e32 v10, v10, v16
	ds_read2_b64 v[15:18], v13 offset0:160 offset1:176
	v_add_f32_e32 v24, v24, v30
	s_waitcnt lgkmcnt(0)
	v_mul_f32_e32 v28, v32, v16
	v_fmac_f32_e32 v28, v33, v15
	v_add_f32_e32 v27, v27, v28
	v_mul_f32_e32 v28, v33, v18
	v_fma_f32 v28, v32, v17, -v28
	v_mul_f32_e32 v20, v33, v16
	v_add_f32_e32 v26, v26, v28
	v_mul_f32_e32 v28, v22, v16
	v_mul_f32_e32 v16, v21, v16
	v_fmac_f32_e32 v16, v22, v15
	v_fma_f32 v20, v32, v15, -v20
	v_fma_f32 v28, v21, v15, -v28
	v_add_f32_e32 v25, v25, v16
	v_mul_f32_e32 v15, v22, v18
	v_mul_f32_e32 v16, v21, v18
	v_add_f32_e32 v20, v29, v20
	v_mul_f32_e32 v29, v32, v18
	v_fma_f32 v15, v21, v17, -v15
	v_fmac_f32_e32 v16, v22, v17
	v_fmac_f32_e32 v29, v33, v17
	v_add_f32_e32 v19, v19, v15
	v_add_f32_e32 v10, v10, v16
	ds_read2_b64 v[15:18], v13 offset0:192 offset1:208
	v_add_f32_e32 v24, v24, v28
	v_add_f32_e32 v23, v23, v29
	s_waitcnt lgkmcnt(0)
	v_mul_f32_e32 v21, v3, v16
	v_fma_f32 v21, v2, v15, -v21
	v_add_f32_e32 v28, v20, v21
	v_mul_f32_e32 v20, v3, v18
	v_mul_f32_e32 v22, v2, v16
	v_fma_f32 v20, v2, v17, -v20
	v_mul_f32_e32 v2, v2, v18
	v_fmac_f32_e32 v22, v3, v15
	v_fmac_f32_e32 v2, v3, v17
	v_add_f32_e32 v29, v27, v22
	v_add_f32_e32 v3, v26, v20
	;; [unrolled: 1-line block ×3, first 2 shown]
	ds_read_b128 v[20:23], v14 offset:1072
	s_waitcnt lgkmcnt(0)
	v_mul_f32_e32 v26, v21, v16
	v_mul_f32_e32 v16, v20, v16
	v_fma_f32 v26, v20, v15, -v26
	v_fmac_f32_e32 v16, v21, v15
	v_add_f32_e32 v15, v24, v26
	v_add_f32_e32 v30, v25, v16
	ds_read2_b64 v[24:27], v13 offset0:224 offset1:240
	v_mul_f32_e32 v16, v21, v18
	v_fma_f32 v16, v20, v17, -v16
	v_add_f32_e32 v31, v19, v16
	v_mul_f32_e32 v18, v20, v18
	s_waitcnt lgkmcnt(0)
	v_mul_f32_e32 v16, v5, v25
	v_fma_f32 v16, v4, v24, -v16
	v_add_f32_e32 v20, v28, v16
	v_mul_f32_e32 v16, v5, v27
	v_fmac_f32_e32 v18, v21, v17
	v_mul_f32_e32 v17, v4, v25
	v_fma_f32 v16, v4, v26, -v16
	v_mul_f32_e32 v4, v4, v27
	v_fmac_f32_e32 v4, v5, v26
	v_add_f32_e32 v10, v10, v18
	v_add_f32_e32 v18, v3, v16
	;; [unrolled: 1-line block ×3, first 2 shown]
	v_mul_f32_e32 v2, v23, v25
	v_mul_f32_e32 v3, v22, v25
	v_fmac_f32_e32 v17, v5, v24
	v_fma_f32 v2, v22, v24, -v2
	v_fmac_f32_e32 v3, v23, v24
	v_add_f32_e32 v21, v29, v17
	v_add_f32_e32 v16, v15, v2
	;; [unrolled: 1-line block ×3, first 2 shown]
	v_mul_f32_e32 v2, v23, v27
	v_mul_f32_e32 v3, v22, v27
	v_fma_f32 v2, v22, v26, -v2
	v_fmac_f32_e32 v3, v23, v26
	v_add_f32_e32 v15, v31, v2
	v_add_f32_e32 v10, v10, v3
	v_mov_b32_e32 v3, s1
	v_mov_b32_e32 v2, s0
	v_cmp_le_u64_e32 vcc, s[12:13], v[2:3]
	s_barrier
	s_cbranch_vccz .LBB1113_2
	s_branch .LBB1113_4
.LBB1113_3:
	v_mov_b32_e32 v20, 0
	v_mov_b32_e32 v21, 0
	;; [unrolled: 1-line block ×8, first 2 shown]
.LBB1113_4:
	s_load_dwordx8 s[16:23], s[4:5], 0x48
	s_nop 0
	s_load_dword s4, s[4:5], 0x0
	v_add_u32_e32 v4, s3, v1
	v_ashrrev_i32_e32 v1, 31, v4
	v_add_u32_e32 v0, s2, v0
	s_waitcnt lgkmcnt(0)
	v_mul_lo_u32 v3, s20, v1
	v_mul_lo_u32 v5, s21, v4
	v_mad_u64_u32 v[1:2], s[6:7], s20, v4, 0
	s_mul_i32 s0, s23, s8
	s_mul_hi_u32 s1, s22, s8
	s_add_i32 s1, s1, s0
	s_mul_i32 s0, s22, s8
	s_lshl_b64 s[0:1], s[0:1], 3
	v_add3_u32 v2, v2, v3, v5
	s_add_u32 s5, s18, s0
	v_lshlrev_b64 v[1:2], 3, v[1:2]
	s_addc_u32 s6, s19, s1
	v_mov_b32_e32 v3, s6
	v_add_co_u32_e64 v5, s[0:1], s5, v1
	v_addc_co_u32_e64 v6, s[0:1], v3, v2, s[0:1]
	v_cmp_gt_i32_e32 vcc, s4, v4
	v_cmp_le_i32_e64 s[0:1], v0, v4
	s_and_b64 s[0:1], vcc, s[0:1]
	s_and_saveexec_b64 s[2:3], s[0:1]
	s_cbranch_execz .LBB1113_6
; %bb.5:
	v_ashrrev_i32_e32 v1, 31, v0
	v_lshlrev_b64 v[1:2], 3, v[0:1]
	v_mul_f32_e32 v3, s15, v21
	v_add_co_u32_e64 v1, s[0:1], v5, v1
	v_addc_co_u32_e64 v2, s[0:1], v6, v2, s[0:1]
	global_load_dwordx2 v[7:8], v[1:2], off
	v_mul_f32_e32 v9, s14, v21
	v_fma_f32 v3, v20, s14, -v3
	v_fmac_f32_e32 v9, s15, v20
	s_waitcnt vmcnt(0)
	v_mul_f32_e32 v11, s17, v8
	v_mul_f32_e32 v8, s16, v8
	v_fma_f32 v11, v7, s16, -v11
	v_fmac_f32_e32 v8, s17, v7
	v_add_f32_e32 v7, v3, v11
	v_add_f32_e32 v8, v9, v8
	global_store_dwordx2 v[1:2], v[7:8], off
.LBB1113_6:
	s_or_b64 exec, exec, s[2:3]
	v_add_u32_e32 v2, 16, v0
	v_cmp_le_i32_e64 s[0:1], v2, v4
	s_and_b64 s[2:3], vcc, s[0:1]
	s_and_saveexec_b64 s[0:1], s[2:3]
	s_cbranch_execz .LBB1113_8
; %bb.7:
	v_ashrrev_i32_e32 v3, 31, v2
	v_lshlrev_b64 v[7:8], 3, v[2:3]
	v_mul_f32_e32 v1, s15, v19
	v_add_co_u32_e32 v5, vcc, v5, v7
	v_addc_co_u32_e32 v6, vcc, v6, v8, vcc
	global_load_dwordx2 v[7:8], v[5:6], off
	v_mul_f32_e32 v3, s14, v19
	v_fma_f32 v1, v18, s14, -v1
	v_fmac_f32_e32 v3, s15, v18
	s_waitcnt vmcnt(0)
	v_mul_f32_e32 v9, s17, v8
	v_mul_f32_e32 v8, s16, v8
	v_fma_f32 v9, v7, s16, -v9
	v_fmac_f32_e32 v8, s17, v7
	v_add_f32_e32 v7, v1, v9
	v_add_f32_e32 v8, v3, v8
	global_store_dwordx2 v[5:6], v[7:8], off
.LBB1113_8:
	s_or_b64 exec, exec, s[0:1]
	v_add_u32_e32 v3, 16, v4
	v_ashrrev_i32_e32 v1, 31, v3
	v_mul_lo_u32 v1, s20, v1
	v_mul_lo_u32 v6, s21, v3
	v_mad_u64_u32 v[4:5], s[0:1], s20, v3, 0
	v_cmp_gt_i32_e32 vcc, s4, v3
	v_add3_u32 v5, v5, v1, v6
	v_lshlrev_b64 v[4:5], 3, v[4:5]
	v_mov_b32_e32 v1, s6
	v_add_co_u32_e64 v4, s[0:1], s5, v4
	v_addc_co_u32_e64 v5, s[0:1], v1, v5, s[0:1]
	v_cmp_le_i32_e64 s[0:1], v0, v3
	s_and_b64 s[0:1], vcc, s[0:1]
	s_and_saveexec_b64 s[2:3], s[0:1]
	s_cbranch_execz .LBB1113_10
; %bb.9:
	v_ashrrev_i32_e32 v1, 31, v0
	v_lshlrev_b64 v[0:1], 3, v[0:1]
	v_mul_f32_e32 v8, s15, v17
	v_add_co_u32_e64 v0, s[0:1], v4, v0
	v_addc_co_u32_e64 v1, s[0:1], v5, v1, s[0:1]
	global_load_dwordx2 v[6:7], v[0:1], off
	v_mul_f32_e32 v9, s14, v17
	v_fma_f32 v8, v16, s14, -v8
	v_fmac_f32_e32 v9, s15, v16
	s_waitcnt vmcnt(0)
	v_mul_f32_e32 v11, s17, v7
	v_mul_f32_e32 v7, s16, v7
	v_fma_f32 v11, v6, s16, -v11
	v_fmac_f32_e32 v7, s17, v6
	v_add_f32_e32 v6, v8, v11
	v_add_f32_e32 v7, v9, v7
	global_store_dwordx2 v[0:1], v[6:7], off
.LBB1113_10:
	s_or_b64 exec, exec, s[2:3]
	v_cmp_le_i32_e64 s[0:1], v2, v3
	s_and_b64 s[0:1], vcc, s[0:1]
	s_and_saveexec_b64 s[2:3], s[0:1]
	s_cbranch_execz .LBB1113_12
; %bb.11:
	v_ashrrev_i32_e32 v3, 31, v2
	v_lshlrev_b64 v[0:1], 3, v[2:3]
	v_add_co_u32_e32 v0, vcc, v4, v0
	v_addc_co_u32_e32 v1, vcc, v5, v1, vcc
	global_load_dwordx2 v[2:3], v[0:1], off
	v_mul_f32_e32 v4, s15, v10
	v_mul_f32_e32 v5, s14, v10
	v_fma_f32 v4, v15, s14, -v4
	v_fmac_f32_e32 v5, s15, v15
	s_waitcnt vmcnt(0)
	v_mul_f32_e32 v6, s17, v3
	v_mul_f32_e32 v3, s16, v3
	v_fma_f32 v6, v2, s16, -v6
	v_fmac_f32_e32 v3, s17, v2
	v_add_f32_e32 v2, v4, v6
	v_add_f32_e32 v3, v5, v3
	global_store_dwordx2 v[0:1], v[2:3], off
.LBB1113_12:
	s_endpgm
	.section	.rodata,"a",@progbits
	.p2align	6, 0x0
	.amdhsa_kernel _ZL37rocblas_syrkx_herkx_restricted_kernelIl19rocblas_complex_numIfELi16ELi32ELi8ELb0ELb0ELc84ELc85EKS1_S1_EviT_T0_PT8_S3_lS6_S3_lS4_PT9_S3_li
		.amdhsa_group_segment_fixed_size 4096
		.amdhsa_private_segment_fixed_size 0
		.amdhsa_kernarg_size 108
		.amdhsa_user_sgpr_count 6
		.amdhsa_user_sgpr_private_segment_buffer 1
		.amdhsa_user_sgpr_dispatch_ptr 0
		.amdhsa_user_sgpr_queue_ptr 0
		.amdhsa_user_sgpr_kernarg_segment_ptr 1
		.amdhsa_user_sgpr_dispatch_id 0
		.amdhsa_user_sgpr_flat_scratch_init 0
		.amdhsa_user_sgpr_private_segment_size 0
		.amdhsa_uses_dynamic_stack 0
		.amdhsa_system_sgpr_private_segment_wavefront_offset 0
		.amdhsa_system_sgpr_workgroup_id_x 1
		.amdhsa_system_sgpr_workgroup_id_y 1
		.amdhsa_system_sgpr_workgroup_id_z 1
		.amdhsa_system_sgpr_workgroup_info 0
		.amdhsa_system_vgpr_workitem_id 1
		.amdhsa_next_free_vgpr 41
		.amdhsa_next_free_sgpr 28
		.amdhsa_reserve_vcc 1
		.amdhsa_reserve_flat_scratch 0
		.amdhsa_float_round_mode_32 0
		.amdhsa_float_round_mode_16_64 0
		.amdhsa_float_denorm_mode_32 3
		.amdhsa_float_denorm_mode_16_64 3
		.amdhsa_dx10_clamp 1
		.amdhsa_ieee_mode 1
		.amdhsa_fp16_overflow 0
		.amdhsa_exception_fp_ieee_invalid_op 0
		.amdhsa_exception_fp_denorm_src 0
		.amdhsa_exception_fp_ieee_div_zero 0
		.amdhsa_exception_fp_ieee_overflow 0
		.amdhsa_exception_fp_ieee_underflow 0
		.amdhsa_exception_fp_ieee_inexact 0
		.amdhsa_exception_int_div_zero 0
	.end_amdhsa_kernel
	.section	.text._ZL37rocblas_syrkx_herkx_restricted_kernelIl19rocblas_complex_numIfELi16ELi32ELi8ELb0ELb0ELc84ELc85EKS1_S1_EviT_T0_PT8_S3_lS6_S3_lS4_PT9_S3_li,"axG",@progbits,_ZL37rocblas_syrkx_herkx_restricted_kernelIl19rocblas_complex_numIfELi16ELi32ELi8ELb0ELb0ELc84ELc85EKS1_S1_EviT_T0_PT8_S3_lS6_S3_lS4_PT9_S3_li,comdat
.Lfunc_end1113:
	.size	_ZL37rocblas_syrkx_herkx_restricted_kernelIl19rocblas_complex_numIfELi16ELi32ELi8ELb0ELb0ELc84ELc85EKS1_S1_EviT_T0_PT8_S3_lS6_S3_lS4_PT9_S3_li, .Lfunc_end1113-_ZL37rocblas_syrkx_herkx_restricted_kernelIl19rocblas_complex_numIfELi16ELi32ELi8ELb0ELb0ELc84ELc85EKS1_S1_EviT_T0_PT8_S3_lS6_S3_lS4_PT9_S3_li
                                        ; -- End function
	.set _ZL37rocblas_syrkx_herkx_restricted_kernelIl19rocblas_complex_numIfELi16ELi32ELi8ELb0ELb0ELc84ELc85EKS1_S1_EviT_T0_PT8_S3_lS6_S3_lS4_PT9_S3_li.num_vgpr, 41
	.set _ZL37rocblas_syrkx_herkx_restricted_kernelIl19rocblas_complex_numIfELi16ELi32ELi8ELb0ELb0ELc84ELc85EKS1_S1_EviT_T0_PT8_S3_lS6_S3_lS4_PT9_S3_li.num_agpr, 0
	.set _ZL37rocblas_syrkx_herkx_restricted_kernelIl19rocblas_complex_numIfELi16ELi32ELi8ELb0ELb0ELc84ELc85EKS1_S1_EviT_T0_PT8_S3_lS6_S3_lS4_PT9_S3_li.numbered_sgpr, 28
	.set _ZL37rocblas_syrkx_herkx_restricted_kernelIl19rocblas_complex_numIfELi16ELi32ELi8ELb0ELb0ELc84ELc85EKS1_S1_EviT_T0_PT8_S3_lS6_S3_lS4_PT9_S3_li.num_named_barrier, 0
	.set _ZL37rocblas_syrkx_herkx_restricted_kernelIl19rocblas_complex_numIfELi16ELi32ELi8ELb0ELb0ELc84ELc85EKS1_S1_EviT_T0_PT8_S3_lS6_S3_lS4_PT9_S3_li.private_seg_size, 0
	.set _ZL37rocblas_syrkx_herkx_restricted_kernelIl19rocblas_complex_numIfELi16ELi32ELi8ELb0ELb0ELc84ELc85EKS1_S1_EviT_T0_PT8_S3_lS6_S3_lS4_PT9_S3_li.uses_vcc, 1
	.set _ZL37rocblas_syrkx_herkx_restricted_kernelIl19rocblas_complex_numIfELi16ELi32ELi8ELb0ELb0ELc84ELc85EKS1_S1_EviT_T0_PT8_S3_lS6_S3_lS4_PT9_S3_li.uses_flat_scratch, 0
	.set _ZL37rocblas_syrkx_herkx_restricted_kernelIl19rocblas_complex_numIfELi16ELi32ELi8ELb0ELb0ELc84ELc85EKS1_S1_EviT_T0_PT8_S3_lS6_S3_lS4_PT9_S3_li.has_dyn_sized_stack, 0
	.set _ZL37rocblas_syrkx_herkx_restricted_kernelIl19rocblas_complex_numIfELi16ELi32ELi8ELb0ELb0ELc84ELc85EKS1_S1_EviT_T0_PT8_S3_lS6_S3_lS4_PT9_S3_li.has_recursion, 0
	.set _ZL37rocblas_syrkx_herkx_restricted_kernelIl19rocblas_complex_numIfELi16ELi32ELi8ELb0ELb0ELc84ELc85EKS1_S1_EviT_T0_PT8_S3_lS6_S3_lS4_PT9_S3_li.has_indirect_call, 0
	.section	.AMDGPU.csdata,"",@progbits
; Kernel info:
; codeLenInByte = 2212
; TotalNumSgprs: 32
; NumVgprs: 41
; ScratchSize: 0
; MemoryBound: 0
; FloatMode: 240
; IeeeMode: 1
; LDSByteSize: 4096 bytes/workgroup (compile time only)
; SGPRBlocks: 3
; VGPRBlocks: 10
; NumSGPRsForWavesPerEU: 32
; NumVGPRsForWavesPerEU: 41
; Occupancy: 5
; WaveLimiterHint : 0
; COMPUTE_PGM_RSRC2:SCRATCH_EN: 0
; COMPUTE_PGM_RSRC2:USER_SGPR: 6
; COMPUTE_PGM_RSRC2:TRAP_HANDLER: 0
; COMPUTE_PGM_RSRC2:TGID_X_EN: 1
; COMPUTE_PGM_RSRC2:TGID_Y_EN: 1
; COMPUTE_PGM_RSRC2:TGID_Z_EN: 1
; COMPUTE_PGM_RSRC2:TIDIG_COMP_CNT: 1
	.section	.text._ZL37rocblas_syrkx_herkx_restricted_kernelIl19rocblas_complex_numIfELi16ELi32ELi8ELb0ELb0ELc67ELc85EKS1_S1_EviT_T0_PT8_S3_lS6_S3_lS4_PT9_S3_li,"axG",@progbits,_ZL37rocblas_syrkx_herkx_restricted_kernelIl19rocblas_complex_numIfELi16ELi32ELi8ELb0ELb0ELc67ELc85EKS1_S1_EviT_T0_PT8_S3_lS6_S3_lS4_PT9_S3_li,comdat
	.globl	_ZL37rocblas_syrkx_herkx_restricted_kernelIl19rocblas_complex_numIfELi16ELi32ELi8ELb0ELb0ELc67ELc85EKS1_S1_EviT_T0_PT8_S3_lS6_S3_lS4_PT9_S3_li ; -- Begin function _ZL37rocblas_syrkx_herkx_restricted_kernelIl19rocblas_complex_numIfELi16ELi32ELi8ELb0ELb0ELc67ELc85EKS1_S1_EviT_T0_PT8_S3_lS6_S3_lS4_PT9_S3_li
	.p2align	8
	.type	_ZL37rocblas_syrkx_herkx_restricted_kernelIl19rocblas_complex_numIfELi16ELi32ELi8ELb0ELb0ELc67ELc85EKS1_S1_EviT_T0_PT8_S3_lS6_S3_lS4_PT9_S3_li,@function
_ZL37rocblas_syrkx_herkx_restricted_kernelIl19rocblas_complex_numIfELi16ELi32ELi8ELb0ELb0ELc67ELc85EKS1_S1_EviT_T0_PT8_S3_lS6_S3_lS4_PT9_S3_li: ; @_ZL37rocblas_syrkx_herkx_restricted_kernelIl19rocblas_complex_numIfELi16ELi32ELi8ELb0ELb0ELc67ELc85EKS1_S1_EviT_T0_PT8_S3_lS6_S3_lS4_PT9_S3_li
; %bb.0:
	s_load_dwordx16 s[12:27], s[4:5], 0x8
	s_lshl_b32 s2, s6, 5
	s_lshl_b32 s3, s7, 5
	s_waitcnt lgkmcnt(0)
	v_cmp_lt_i64_e64 s[0:1], s[12:13], 1
	s_and_b64 vcc, exec, s[0:1]
	s_cbranch_vccnz .LBB1114_3
; %bb.1:
	v_lshl_add_u32 v5, v1, 4, v0
	v_lshrrev_b32_e32 v6, 3, v5
	v_add_u32_e32 v2, s3, v6
	v_and_b32_e32 v9, 7, v0
	v_ashrrev_i32_e32 v3, 31, v2
	v_mov_b32_e32 v10, 0
	v_mul_lo_u32 v7, s24, v3
	v_mul_lo_u32 v8, s25, v2
	v_mad_u64_u32 v[2:3], s[0:1], s24, v2, v[9:10]
	v_and_b32_e32 v15, 31, v5
	v_lshrrev_b32_e32 v4, 5, v5
	v_add3_u32 v3, v8, v3, v7
	v_lshlrev_b32_e32 v7, 3, v15
	v_lshl_or_b32 v11, v4, 8, v7
	v_lshlrev_b32_e32 v7, 3, v9
	v_lshl_or_b32 v6, v6, 6, v7
	v_add_u32_e32 v12, 0x800, v6
	v_mov_b32_e32 v6, 0x800
	v_lshl_add_u32 v14, v1, 6, v6
	v_add_u32_e32 v6, s2, v15
	v_mov_b32_e32 v5, v10
	v_ashrrev_i32_e32 v7, 31, v6
	v_mul_lo_u32 v7, s18, v7
	v_mad_u64_u32 v[4:5], s[0:1], s18, v6, v[4:5]
	v_mul_lo_u32 v6, s19, v6
	s_mul_i32 s6, s21, s8
	s_mul_hi_u32 s7, s20, s8
	s_add_i32 s1, s7, s6
	s_mul_i32 s0, s20, s8
	s_lshl_b64 s[0:1], s[0:1], 3
	v_add3_u32 v5, v6, v5, v7
	v_lshlrev_b64 v[4:5], 3, v[4:5]
	s_add_u32 s0, s16, s0
	s_addc_u32 s1, s17, s1
	v_mov_b32_e32 v6, s1
	v_add_co_u32_e32 v4, vcc, s0, v4
	s_mul_i32 s0, s27, s8
	s_mul_hi_u32 s1, s26, s8
	s_add_i32 s1, s1, s0
	s_mul_i32 s0, s26, s8
	v_addc_co_u32_e32 v5, vcc, v6, v5, vcc
	s_lshl_b64 s[0:1], s[0:1], 3
	v_add_co_u32_e32 v6, vcc, 4, v4
	v_lshlrev_b64 v[2:3], 3, v[2:3]
	s_add_u32 s0, s22, s0
	v_addc_co_u32_e32 v7, vcc, 0, v5, vcc
	s_addc_u32 s1, s23, s1
	v_mov_b32_e32 v4, s1
	v_add_co_u32_e32 v2, vcc, s0, v2
	v_addc_co_u32_e32 v3, vcc, v4, v3, vcc
	v_add_co_u32_e32 v8, vcc, 4, v2
	v_lshlrev_b32_e32 v13, 3, v0
	v_addc_co_u32_e32 v9, vcc, 0, v3, vcc
	s_mov_b64 s[0:1], 0
	v_mov_b32_e32 v15, v10
	v_mov_b32_e32 v17, v10
	v_mov_b32_e32 v16, v10
	v_mov_b32_e32 v19, v10
	v_mov_b32_e32 v18, v10
	v_mov_b32_e32 v21, v10
	v_mov_b32_e32 v20, v10
.LBB1114_2:                             ; =>This Inner Loop Header: Depth=1
	global_load_dwordx2 v[2:3], v[6:7], off offset:-4
	s_add_u32 s0, s0, 8
	v_add_co_u32_e32 v6, vcc, 64, v6
	s_addc_u32 s1, s1, 0
	v_addc_co_u32_e32 v7, vcc, 0, v7, vcc
	s_waitcnt vmcnt(0)
	ds_write_b64 v11, v[2:3]
	global_load_dwordx2 v[2:3], v[8:9], off offset:-4
	v_add_co_u32_e32 v8, vcc, 64, v8
	v_addc_co_u32_e32 v9, vcc, 0, v9, vcc
	s_waitcnt vmcnt(0)
	ds_write_b64 v12, v[2:3]
	s_waitcnt lgkmcnt(0)
	s_barrier
	ds_read_b128 v[22:25], v14
	ds_read_b128 v[26:29], v14 offset:16
	ds_read_b128 v[30:33], v14 offset:32
	;; [unrolled: 1-line block ×3, first 2 shown]
	ds_read2_b64 v[34:37], v13 offset1:16
	s_waitcnt lgkmcnt(0)
	v_mul_f32_e32 v38, v23, v35
	v_mul_f32_e32 v39, v22, v35
	v_fma_f32 v38, v22, v34, -v38
	v_fmac_f32_e32 v39, v23, v34
	v_add_f32_e32 v38, v20, v38
	v_add_f32_e32 v39, v21, v39
	v_mul_f32_e32 v20, v23, v37
	v_mul_f32_e32 v21, v22, v37
	v_fma_f32 v20, v22, v36, -v20
	v_fmac_f32_e32 v21, v23, v36
	v_add_f32_e32 v22, v18, v20
	v_add_f32_e32 v23, v19, v21
	ds_read_b128 v[18:21], v14 offset:1024
	s_waitcnt lgkmcnt(0)
	v_mul_f32_e32 v40, v19, v35
	v_mul_f32_e32 v35, v18, v35
	v_fma_f32 v40, v18, v34, -v40
	v_fmac_f32_e32 v35, v19, v34
	v_add_f32_e32 v34, v16, v40
	v_add_f32_e32 v35, v17, v35
	v_mul_f32_e32 v16, v19, v37
	v_mul_f32_e32 v17, v18, v37
	v_fma_f32 v16, v18, v36, -v16
	v_fmac_f32_e32 v17, v19, v36
	v_add_f32_e32 v19, v15, v16
	v_add_f32_e32 v10, v10, v17
	ds_read2_b64 v[15:18], v13 offset0:32 offset1:48
	s_waitcnt lgkmcnt(0)
	v_mul_f32_e32 v36, v25, v16
	v_fma_f32 v36, v24, v15, -v36
	v_add_f32_e32 v36, v38, v36
	v_mul_f32_e32 v38, v25, v18
	v_mul_f32_e32 v37, v24, v16
	v_fma_f32 v38, v24, v17, -v38
	v_mul_f32_e32 v24, v24, v18
	v_fmac_f32_e32 v24, v25, v17
	v_add_f32_e32 v23, v23, v24
	v_mul_f32_e32 v24, v21, v16
	v_mul_f32_e32 v16, v20, v16
	v_fmac_f32_e32 v16, v21, v15
	v_fmac_f32_e32 v37, v25, v15
	v_fma_f32 v24, v20, v15, -v24
	v_add_f32_e32 v25, v35, v16
	v_mul_f32_e32 v15, v21, v18
	v_mul_f32_e32 v16, v20, v18
	v_fma_f32 v15, v20, v17, -v15
	v_fmac_f32_e32 v16, v21, v17
	v_add_f32_e32 v24, v34, v24
	v_add_f32_e32 v34, v19, v15
	;; [unrolled: 1-line block ×3, first 2 shown]
	ds_read2_b64 v[15:18], v13 offset0:64 offset1:80
	v_add_f32_e32 v37, v39, v37
	v_add_f32_e32 v22, v22, v38
	s_waitcnt lgkmcnt(0)
	v_mul_f32_e32 v19, v27, v16
	v_mul_f32_e32 v20, v26, v16
	v_fma_f32 v19, v26, v15, -v19
	v_fmac_f32_e32 v20, v27, v15
	v_add_f32_e32 v35, v36, v19
	v_add_f32_e32 v36, v37, v20
	v_mul_f32_e32 v19, v27, v18
	v_mul_f32_e32 v20, v26, v18
	v_fma_f32 v19, v26, v17, -v19
	v_fmac_f32_e32 v20, v27, v17
	v_add_f32_e32 v26, v22, v19
	v_add_f32_e32 v23, v23, v20
	ds_read_b128 v[19:22], v14 offset:1040
	s_waitcnt lgkmcnt(0)
	v_mul_f32_e32 v27, v20, v16
	v_mul_f32_e32 v16, v19, v16
	v_fmac_f32_e32 v16, v20, v15
	v_fma_f32 v27, v19, v15, -v27
	v_add_f32_e32 v25, v25, v16
	v_mul_f32_e32 v15, v20, v18
	v_mul_f32_e32 v16, v19, v18
	v_fma_f32 v15, v19, v17, -v15
	v_fmac_f32_e32 v16, v20, v17
	v_add_f32_e32 v19, v34, v15
	v_add_f32_e32 v10, v10, v16
	ds_read2_b64 v[15:18], v13 offset0:96 offset1:112
	v_add_f32_e32 v24, v24, v27
	s_waitcnt lgkmcnt(0)
	v_mul_f32_e32 v20, v29, v16
	v_mul_f32_e32 v34, v29, v18
	v_fma_f32 v20, v28, v15, -v20
	v_mul_f32_e32 v27, v28, v16
	v_fma_f32 v34, v28, v17, -v34
	v_mul_f32_e32 v28, v28, v18
	v_fmac_f32_e32 v28, v29, v17
	v_add_f32_e32 v23, v23, v28
	v_mul_f32_e32 v28, v22, v16
	v_mul_f32_e32 v16, v21, v16
	v_fmac_f32_e32 v16, v22, v15
	v_fmac_f32_e32 v27, v29, v15
	v_fma_f32 v28, v21, v15, -v28
	v_add_f32_e32 v25, v25, v16
	v_mul_f32_e32 v15, v22, v18
	v_mul_f32_e32 v16, v21, v18
	v_fma_f32 v15, v21, v17, -v15
	v_fmac_f32_e32 v16, v22, v17
	v_add_f32_e32 v24, v24, v28
	v_add_f32_e32 v28, v19, v15
	;; [unrolled: 1-line block ×3, first 2 shown]
	ds_read2_b64 v[15:18], v13 offset0:128 offset1:144
	v_add_f32_e32 v20, v35, v20
	v_add_f32_e32 v27, v36, v27
	;; [unrolled: 1-line block ×3, first 2 shown]
	s_waitcnt lgkmcnt(0)
	v_mul_f32_e32 v19, v31, v16
	v_fma_f32 v19, v30, v15, -v19
	v_mul_f32_e32 v21, v30, v16
	v_add_f32_e32 v29, v20, v19
	v_mul_f32_e32 v19, v31, v18
	v_mul_f32_e32 v20, v30, v18
	v_fmac_f32_e32 v21, v31, v15
	v_fma_f32 v19, v30, v17, -v19
	v_fmac_f32_e32 v20, v31, v17
	v_add_f32_e32 v27, v27, v21
	v_add_f32_e32 v26, v26, v19
	;; [unrolled: 1-line block ×3, first 2 shown]
	ds_read_b128 v[19:22], v14 offset:1056
	s_waitcnt lgkmcnt(0)
	v_mul_f32_e32 v30, v20, v16
	v_mul_f32_e32 v16, v19, v16
	v_fmac_f32_e32 v16, v20, v15
	v_fma_f32 v30, v19, v15, -v30
	v_add_f32_e32 v25, v25, v16
	v_mul_f32_e32 v15, v20, v18
	v_mul_f32_e32 v16, v19, v18
	v_fma_f32 v15, v19, v17, -v15
	v_fmac_f32_e32 v16, v20, v17
	v_add_f32_e32 v19, v28, v15
	v_add_f32_e32 v10, v10, v16
	ds_read2_b64 v[15:18], v13 offset0:160 offset1:176
	v_add_f32_e32 v24, v24, v30
	s_waitcnt lgkmcnt(0)
	v_mul_f32_e32 v28, v32, v16
	v_fmac_f32_e32 v28, v33, v15
	v_add_f32_e32 v27, v27, v28
	v_mul_f32_e32 v28, v33, v18
	v_fma_f32 v28, v32, v17, -v28
	v_mul_f32_e32 v20, v33, v16
	v_add_f32_e32 v26, v26, v28
	v_mul_f32_e32 v28, v22, v16
	v_mul_f32_e32 v16, v21, v16
	v_fmac_f32_e32 v16, v22, v15
	v_fma_f32 v20, v32, v15, -v20
	v_fma_f32 v28, v21, v15, -v28
	v_add_f32_e32 v25, v25, v16
	v_mul_f32_e32 v15, v22, v18
	v_mul_f32_e32 v16, v21, v18
	v_add_f32_e32 v20, v29, v20
	v_mul_f32_e32 v29, v32, v18
	v_fma_f32 v15, v21, v17, -v15
	v_fmac_f32_e32 v16, v22, v17
	v_fmac_f32_e32 v29, v33, v17
	v_add_f32_e32 v19, v19, v15
	v_add_f32_e32 v10, v10, v16
	ds_read2_b64 v[15:18], v13 offset0:192 offset1:208
	v_add_f32_e32 v24, v24, v28
	v_add_f32_e32 v23, v23, v29
	s_waitcnt lgkmcnt(0)
	v_mul_f32_e32 v21, v3, v16
	v_fma_f32 v21, v2, v15, -v21
	v_add_f32_e32 v28, v20, v21
	v_mul_f32_e32 v20, v3, v18
	v_mul_f32_e32 v22, v2, v16
	v_fma_f32 v20, v2, v17, -v20
	v_mul_f32_e32 v2, v2, v18
	v_fmac_f32_e32 v22, v3, v15
	v_fmac_f32_e32 v2, v3, v17
	v_add_f32_e32 v29, v27, v22
	v_add_f32_e32 v3, v26, v20
	;; [unrolled: 1-line block ×3, first 2 shown]
	ds_read_b128 v[20:23], v14 offset:1072
	s_waitcnt lgkmcnt(0)
	v_mul_f32_e32 v26, v21, v16
	v_mul_f32_e32 v16, v20, v16
	v_fma_f32 v26, v20, v15, -v26
	v_fmac_f32_e32 v16, v21, v15
	v_add_f32_e32 v15, v24, v26
	v_add_f32_e32 v30, v25, v16
	ds_read2_b64 v[24:27], v13 offset0:224 offset1:240
	v_mul_f32_e32 v16, v21, v18
	v_fma_f32 v16, v20, v17, -v16
	v_add_f32_e32 v31, v19, v16
	v_mul_f32_e32 v18, v20, v18
	s_waitcnt lgkmcnt(0)
	v_mul_f32_e32 v16, v5, v25
	v_fma_f32 v16, v4, v24, -v16
	v_add_f32_e32 v20, v28, v16
	v_mul_f32_e32 v16, v5, v27
	v_fmac_f32_e32 v18, v21, v17
	v_mul_f32_e32 v17, v4, v25
	v_fma_f32 v16, v4, v26, -v16
	v_mul_f32_e32 v4, v4, v27
	v_fmac_f32_e32 v4, v5, v26
	v_add_f32_e32 v10, v10, v18
	v_add_f32_e32 v18, v3, v16
	v_add_f32_e32 v19, v2, v4
	v_mul_f32_e32 v2, v23, v25
	v_mul_f32_e32 v3, v22, v25
	v_fmac_f32_e32 v17, v5, v24
	v_fma_f32 v2, v22, v24, -v2
	v_fmac_f32_e32 v3, v23, v24
	v_add_f32_e32 v21, v29, v17
	v_add_f32_e32 v16, v15, v2
	;; [unrolled: 1-line block ×3, first 2 shown]
	v_mul_f32_e32 v2, v23, v27
	v_mul_f32_e32 v3, v22, v27
	v_fma_f32 v2, v22, v26, -v2
	v_fmac_f32_e32 v3, v23, v26
	v_add_f32_e32 v15, v31, v2
	v_add_f32_e32 v10, v10, v3
	v_mov_b32_e32 v3, s1
	v_mov_b32_e32 v2, s0
	v_cmp_le_u64_e32 vcc, s[12:13], v[2:3]
	s_barrier
	s_cbranch_vccz .LBB1114_2
	s_branch .LBB1114_4
.LBB1114_3:
	v_mov_b32_e32 v20, 0
	v_mov_b32_e32 v21, 0
	v_mov_b32_e32 v18, 0
	v_mov_b32_e32 v19, 0
	v_mov_b32_e32 v16, 0
	v_mov_b32_e32 v17, 0
	v_mov_b32_e32 v15, 0
	v_mov_b32_e32 v10, 0
.LBB1114_4:
	s_load_dwordx8 s[16:23], s[4:5], 0x48
	s_nop 0
	s_load_dword s4, s[4:5], 0x0
	v_add_u32_e32 v4, s3, v1
	v_ashrrev_i32_e32 v1, 31, v4
	v_add_u32_e32 v0, s2, v0
	s_waitcnt lgkmcnt(0)
	v_mul_lo_u32 v3, s20, v1
	v_mul_lo_u32 v5, s21, v4
	v_mad_u64_u32 v[1:2], s[6:7], s20, v4, 0
	s_mul_i32 s0, s23, s8
	s_mul_hi_u32 s1, s22, s8
	s_add_i32 s1, s1, s0
	s_mul_i32 s0, s22, s8
	s_lshl_b64 s[0:1], s[0:1], 3
	v_add3_u32 v2, v2, v3, v5
	s_add_u32 s5, s18, s0
	v_lshlrev_b64 v[1:2], 3, v[1:2]
	s_addc_u32 s6, s19, s1
	v_mov_b32_e32 v3, s6
	v_add_co_u32_e64 v5, s[0:1], s5, v1
	v_addc_co_u32_e64 v6, s[0:1], v3, v2, s[0:1]
	v_cmp_gt_i32_e32 vcc, s4, v4
	v_cmp_le_i32_e64 s[0:1], v0, v4
	s_and_b64 s[0:1], vcc, s[0:1]
	s_and_saveexec_b64 s[2:3], s[0:1]
	s_cbranch_execz .LBB1114_6
; %bb.5:
	v_ashrrev_i32_e32 v1, 31, v0
	v_lshlrev_b64 v[1:2], 3, v[0:1]
	v_mul_f32_e32 v3, s15, v21
	v_add_co_u32_e64 v1, s[0:1], v5, v1
	v_addc_co_u32_e64 v2, s[0:1], v6, v2, s[0:1]
	global_load_dwordx2 v[7:8], v[1:2], off
	v_mul_f32_e32 v9, s14, v21
	v_fma_f32 v3, v20, s14, -v3
	v_fmac_f32_e32 v9, s15, v20
	s_waitcnt vmcnt(0)
	v_mul_f32_e32 v11, s17, v8
	v_mul_f32_e32 v8, s16, v8
	v_fma_f32 v11, v7, s16, -v11
	v_fmac_f32_e32 v8, s17, v7
	v_add_f32_e32 v7, v3, v11
	v_add_f32_e32 v8, v9, v8
	global_store_dwordx2 v[1:2], v[7:8], off
.LBB1114_6:
	s_or_b64 exec, exec, s[2:3]
	v_add_u32_e32 v2, 16, v0
	v_cmp_le_i32_e64 s[0:1], v2, v4
	s_and_b64 s[2:3], vcc, s[0:1]
	s_and_saveexec_b64 s[0:1], s[2:3]
	s_cbranch_execz .LBB1114_8
; %bb.7:
	v_ashrrev_i32_e32 v3, 31, v2
	v_lshlrev_b64 v[7:8], 3, v[2:3]
	v_mul_f32_e32 v1, s15, v19
	v_add_co_u32_e32 v5, vcc, v5, v7
	v_addc_co_u32_e32 v6, vcc, v6, v8, vcc
	global_load_dwordx2 v[7:8], v[5:6], off
	v_mul_f32_e32 v3, s14, v19
	v_fma_f32 v1, v18, s14, -v1
	v_fmac_f32_e32 v3, s15, v18
	s_waitcnt vmcnt(0)
	v_mul_f32_e32 v9, s17, v8
	v_mul_f32_e32 v8, s16, v8
	v_fma_f32 v9, v7, s16, -v9
	v_fmac_f32_e32 v8, s17, v7
	v_add_f32_e32 v7, v1, v9
	v_add_f32_e32 v8, v3, v8
	global_store_dwordx2 v[5:6], v[7:8], off
.LBB1114_8:
	s_or_b64 exec, exec, s[0:1]
	v_add_u32_e32 v3, 16, v4
	v_ashrrev_i32_e32 v1, 31, v3
	v_mul_lo_u32 v1, s20, v1
	v_mul_lo_u32 v6, s21, v3
	v_mad_u64_u32 v[4:5], s[0:1], s20, v3, 0
	v_cmp_gt_i32_e32 vcc, s4, v3
	v_add3_u32 v5, v5, v1, v6
	v_lshlrev_b64 v[4:5], 3, v[4:5]
	v_mov_b32_e32 v1, s6
	v_add_co_u32_e64 v4, s[0:1], s5, v4
	v_addc_co_u32_e64 v5, s[0:1], v1, v5, s[0:1]
	v_cmp_le_i32_e64 s[0:1], v0, v3
	s_and_b64 s[0:1], vcc, s[0:1]
	s_and_saveexec_b64 s[2:3], s[0:1]
	s_cbranch_execz .LBB1114_10
; %bb.9:
	v_ashrrev_i32_e32 v1, 31, v0
	v_lshlrev_b64 v[0:1], 3, v[0:1]
	v_mul_f32_e32 v8, s15, v17
	v_add_co_u32_e64 v0, s[0:1], v4, v0
	v_addc_co_u32_e64 v1, s[0:1], v5, v1, s[0:1]
	global_load_dwordx2 v[6:7], v[0:1], off
	v_mul_f32_e32 v9, s14, v17
	v_fma_f32 v8, v16, s14, -v8
	v_fmac_f32_e32 v9, s15, v16
	s_waitcnt vmcnt(0)
	v_mul_f32_e32 v11, s17, v7
	v_mul_f32_e32 v7, s16, v7
	v_fma_f32 v11, v6, s16, -v11
	v_fmac_f32_e32 v7, s17, v6
	v_add_f32_e32 v6, v8, v11
	v_add_f32_e32 v7, v9, v7
	global_store_dwordx2 v[0:1], v[6:7], off
.LBB1114_10:
	s_or_b64 exec, exec, s[2:3]
	v_cmp_le_i32_e64 s[0:1], v2, v3
	s_and_b64 s[0:1], vcc, s[0:1]
	s_and_saveexec_b64 s[2:3], s[0:1]
	s_cbranch_execz .LBB1114_12
; %bb.11:
	v_ashrrev_i32_e32 v3, 31, v2
	v_lshlrev_b64 v[0:1], 3, v[2:3]
	v_add_co_u32_e32 v0, vcc, v4, v0
	v_addc_co_u32_e32 v1, vcc, v5, v1, vcc
	global_load_dwordx2 v[2:3], v[0:1], off
	v_mul_f32_e32 v4, s15, v10
	v_mul_f32_e32 v5, s14, v10
	v_fma_f32 v4, v15, s14, -v4
	v_fmac_f32_e32 v5, s15, v15
	s_waitcnt vmcnt(0)
	v_mul_f32_e32 v6, s17, v3
	v_mul_f32_e32 v3, s16, v3
	v_fma_f32 v6, v2, s16, -v6
	v_fmac_f32_e32 v3, s17, v2
	v_add_f32_e32 v2, v4, v6
	v_add_f32_e32 v3, v5, v3
	global_store_dwordx2 v[0:1], v[2:3], off
.LBB1114_12:
	s_endpgm
	.section	.rodata,"a",@progbits
	.p2align	6, 0x0
	.amdhsa_kernel _ZL37rocblas_syrkx_herkx_restricted_kernelIl19rocblas_complex_numIfELi16ELi32ELi8ELb0ELb0ELc67ELc85EKS1_S1_EviT_T0_PT8_S3_lS6_S3_lS4_PT9_S3_li
		.amdhsa_group_segment_fixed_size 4096
		.amdhsa_private_segment_fixed_size 0
		.amdhsa_kernarg_size 108
		.amdhsa_user_sgpr_count 6
		.amdhsa_user_sgpr_private_segment_buffer 1
		.amdhsa_user_sgpr_dispatch_ptr 0
		.amdhsa_user_sgpr_queue_ptr 0
		.amdhsa_user_sgpr_kernarg_segment_ptr 1
		.amdhsa_user_sgpr_dispatch_id 0
		.amdhsa_user_sgpr_flat_scratch_init 0
		.amdhsa_user_sgpr_private_segment_size 0
		.amdhsa_uses_dynamic_stack 0
		.amdhsa_system_sgpr_private_segment_wavefront_offset 0
		.amdhsa_system_sgpr_workgroup_id_x 1
		.amdhsa_system_sgpr_workgroup_id_y 1
		.amdhsa_system_sgpr_workgroup_id_z 1
		.amdhsa_system_sgpr_workgroup_info 0
		.amdhsa_system_vgpr_workitem_id 1
		.amdhsa_next_free_vgpr 41
		.amdhsa_next_free_sgpr 28
		.amdhsa_reserve_vcc 1
		.amdhsa_reserve_flat_scratch 0
		.amdhsa_float_round_mode_32 0
		.amdhsa_float_round_mode_16_64 0
		.amdhsa_float_denorm_mode_32 3
		.amdhsa_float_denorm_mode_16_64 3
		.amdhsa_dx10_clamp 1
		.amdhsa_ieee_mode 1
		.amdhsa_fp16_overflow 0
		.amdhsa_exception_fp_ieee_invalid_op 0
		.amdhsa_exception_fp_denorm_src 0
		.amdhsa_exception_fp_ieee_div_zero 0
		.amdhsa_exception_fp_ieee_overflow 0
		.amdhsa_exception_fp_ieee_underflow 0
		.amdhsa_exception_fp_ieee_inexact 0
		.amdhsa_exception_int_div_zero 0
	.end_amdhsa_kernel
	.section	.text._ZL37rocblas_syrkx_herkx_restricted_kernelIl19rocblas_complex_numIfELi16ELi32ELi8ELb0ELb0ELc67ELc85EKS1_S1_EviT_T0_PT8_S3_lS6_S3_lS4_PT9_S3_li,"axG",@progbits,_ZL37rocblas_syrkx_herkx_restricted_kernelIl19rocblas_complex_numIfELi16ELi32ELi8ELb0ELb0ELc67ELc85EKS1_S1_EviT_T0_PT8_S3_lS6_S3_lS4_PT9_S3_li,comdat
.Lfunc_end1114:
	.size	_ZL37rocblas_syrkx_herkx_restricted_kernelIl19rocblas_complex_numIfELi16ELi32ELi8ELb0ELb0ELc67ELc85EKS1_S1_EviT_T0_PT8_S3_lS6_S3_lS4_PT9_S3_li, .Lfunc_end1114-_ZL37rocblas_syrkx_herkx_restricted_kernelIl19rocblas_complex_numIfELi16ELi32ELi8ELb0ELb0ELc67ELc85EKS1_S1_EviT_T0_PT8_S3_lS6_S3_lS4_PT9_S3_li
                                        ; -- End function
	.set _ZL37rocblas_syrkx_herkx_restricted_kernelIl19rocblas_complex_numIfELi16ELi32ELi8ELb0ELb0ELc67ELc85EKS1_S1_EviT_T0_PT8_S3_lS6_S3_lS4_PT9_S3_li.num_vgpr, 41
	.set _ZL37rocblas_syrkx_herkx_restricted_kernelIl19rocblas_complex_numIfELi16ELi32ELi8ELb0ELb0ELc67ELc85EKS1_S1_EviT_T0_PT8_S3_lS6_S3_lS4_PT9_S3_li.num_agpr, 0
	.set _ZL37rocblas_syrkx_herkx_restricted_kernelIl19rocblas_complex_numIfELi16ELi32ELi8ELb0ELb0ELc67ELc85EKS1_S1_EviT_T0_PT8_S3_lS6_S3_lS4_PT9_S3_li.numbered_sgpr, 28
	.set _ZL37rocblas_syrkx_herkx_restricted_kernelIl19rocblas_complex_numIfELi16ELi32ELi8ELb0ELb0ELc67ELc85EKS1_S1_EviT_T0_PT8_S3_lS6_S3_lS4_PT9_S3_li.num_named_barrier, 0
	.set _ZL37rocblas_syrkx_herkx_restricted_kernelIl19rocblas_complex_numIfELi16ELi32ELi8ELb0ELb0ELc67ELc85EKS1_S1_EviT_T0_PT8_S3_lS6_S3_lS4_PT9_S3_li.private_seg_size, 0
	.set _ZL37rocblas_syrkx_herkx_restricted_kernelIl19rocblas_complex_numIfELi16ELi32ELi8ELb0ELb0ELc67ELc85EKS1_S1_EviT_T0_PT8_S3_lS6_S3_lS4_PT9_S3_li.uses_vcc, 1
	.set _ZL37rocblas_syrkx_herkx_restricted_kernelIl19rocblas_complex_numIfELi16ELi32ELi8ELb0ELb0ELc67ELc85EKS1_S1_EviT_T0_PT8_S3_lS6_S3_lS4_PT9_S3_li.uses_flat_scratch, 0
	.set _ZL37rocblas_syrkx_herkx_restricted_kernelIl19rocblas_complex_numIfELi16ELi32ELi8ELb0ELb0ELc67ELc85EKS1_S1_EviT_T0_PT8_S3_lS6_S3_lS4_PT9_S3_li.has_dyn_sized_stack, 0
	.set _ZL37rocblas_syrkx_herkx_restricted_kernelIl19rocblas_complex_numIfELi16ELi32ELi8ELb0ELb0ELc67ELc85EKS1_S1_EviT_T0_PT8_S3_lS6_S3_lS4_PT9_S3_li.has_recursion, 0
	.set _ZL37rocblas_syrkx_herkx_restricted_kernelIl19rocblas_complex_numIfELi16ELi32ELi8ELb0ELb0ELc67ELc85EKS1_S1_EviT_T0_PT8_S3_lS6_S3_lS4_PT9_S3_li.has_indirect_call, 0
	.section	.AMDGPU.csdata,"",@progbits
; Kernel info:
; codeLenInByte = 2212
; TotalNumSgprs: 32
; NumVgprs: 41
; ScratchSize: 0
; MemoryBound: 0
; FloatMode: 240
; IeeeMode: 1
; LDSByteSize: 4096 bytes/workgroup (compile time only)
; SGPRBlocks: 3
; VGPRBlocks: 10
; NumSGPRsForWavesPerEU: 32
; NumVGPRsForWavesPerEU: 41
; Occupancy: 5
; WaveLimiterHint : 0
; COMPUTE_PGM_RSRC2:SCRATCH_EN: 0
; COMPUTE_PGM_RSRC2:USER_SGPR: 6
; COMPUTE_PGM_RSRC2:TRAP_HANDLER: 0
; COMPUTE_PGM_RSRC2:TGID_X_EN: 1
; COMPUTE_PGM_RSRC2:TGID_Y_EN: 1
; COMPUTE_PGM_RSRC2:TGID_Z_EN: 1
; COMPUTE_PGM_RSRC2:TIDIG_COMP_CNT: 1
	.section	.text._ZL37rocblas_syrkx_herkx_restricted_kernelIl19rocblas_complex_numIfELi16ELi32ELi8ELb0ELb0ELc78ELc85EKS1_S1_EviT_T0_PT8_S3_lS6_S3_lS4_PT9_S3_li,"axG",@progbits,_ZL37rocblas_syrkx_herkx_restricted_kernelIl19rocblas_complex_numIfELi16ELi32ELi8ELb0ELb0ELc78ELc85EKS1_S1_EviT_T0_PT8_S3_lS6_S3_lS4_PT9_S3_li,comdat
	.globl	_ZL37rocblas_syrkx_herkx_restricted_kernelIl19rocblas_complex_numIfELi16ELi32ELi8ELb0ELb0ELc78ELc85EKS1_S1_EviT_T0_PT8_S3_lS6_S3_lS4_PT9_S3_li ; -- Begin function _ZL37rocblas_syrkx_herkx_restricted_kernelIl19rocblas_complex_numIfELi16ELi32ELi8ELb0ELb0ELc78ELc85EKS1_S1_EviT_T0_PT8_S3_lS6_S3_lS4_PT9_S3_li
	.p2align	8
	.type	_ZL37rocblas_syrkx_herkx_restricted_kernelIl19rocblas_complex_numIfELi16ELi32ELi8ELb0ELb0ELc78ELc85EKS1_S1_EviT_T0_PT8_S3_lS6_S3_lS4_PT9_S3_li,@function
_ZL37rocblas_syrkx_herkx_restricted_kernelIl19rocblas_complex_numIfELi16ELi32ELi8ELb0ELb0ELc78ELc85EKS1_S1_EviT_T0_PT8_S3_lS6_S3_lS4_PT9_S3_li: ; @_ZL37rocblas_syrkx_herkx_restricted_kernelIl19rocblas_complex_numIfELi16ELi32ELi8ELb0ELb0ELc78ELc85EKS1_S1_EviT_T0_PT8_S3_lS6_S3_lS4_PT9_S3_li
; %bb.0:
	s_load_dwordx16 s[12:27], s[4:5], 0x8
	s_lshl_b32 s9, s6, 5
	s_lshl_b32 s10, s7, 5
	s_waitcnt lgkmcnt(0)
	v_cmp_lt_i64_e64 s[0:1], s[12:13], 1
	s_and_b64 vcc, exec, s[0:1]
	s_cbranch_vccnz .LBB1115_3
; %bb.1:
	v_lshl_add_u32 v5, v1, 4, v0
	v_lshrrev_b32_e32 v6, 3, v5
	v_add_u32_e32 v2, s10, v6
	v_and_b32_e32 v7, 7, v0
	v_ashrrev_i32_e32 v3, 31, v2
	v_mad_u64_u32 v[2:3], s[0:1], s24, v7, v[2:3]
	v_lshrrev_b32_e32 v8, 5, v5
	s_mul_i32 s2, s21, s8
	v_mad_u64_u32 v[3:4], s[0:1], s25, v7, v[3:4]
	v_and_b32_e32 v4, 31, v5
	v_lshlrev_b32_e32 v5, 3, v4
	v_lshl_or_b32 v10, v8, 8, v5
	v_lshlrev_b32_e32 v5, 3, v7
	v_lshl_or_b32 v5, v6, 6, v5
	v_add_u32_e32 v4, s9, v4
	v_add_u32_e32 v11, 0x800, v5
	v_ashrrev_i32_e32 v5, 31, v4
	v_mad_u64_u32 v[4:5], s[0:1], s18, v8, v[4:5]
	v_mov_b32_e32 v6, 0x800
	v_lshl_add_u32 v13, v1, 6, v6
	v_mad_u64_u32 v[5:6], s[0:1], s19, v8, v[5:6]
	s_mul_hi_u32 s3, s20, s8
	s_add_i32 s1, s3, s2
	s_mul_i32 s0, s20, s8
	s_lshl_b64 s[0:1], s[0:1], 3
	v_lshlrev_b64 v[4:5], 3, v[4:5]
	s_add_u32 s0, s16, s0
	s_addc_u32 s1, s17, s1
	s_mul_i32 s2, s27, s8
	s_mul_hi_u32 s3, s26, s8
	v_mov_b32_e32 v6, s1
	v_add_co_u32_e32 v4, vcc, s0, v4
	s_add_i32 s3, s3, s2
	s_mul_i32 s2, s26, s8
	v_addc_co_u32_e32 v5, vcc, v6, v5, vcc
	s_lshl_b64 s[0:1], s[18:19], 6
	s_lshl_b64 s[2:3], s[2:3], 3
	v_add_co_u32_e32 v6, vcc, 4, v4
	v_lshlrev_b64 v[2:3], 3, v[2:3]
	s_add_u32 s2, s22, s2
	v_addc_co_u32_e32 v7, vcc, 0, v5, vcc
	s_addc_u32 s3, s23, s3
	v_mov_b32_e32 v4, s3
	v_add_co_u32_e32 v2, vcc, s2, v2
	v_addc_co_u32_e32 v3, vcc, v4, v3, vcc
	v_add_co_u32_e32 v8, vcc, 4, v2
	s_lshl_b64 s[2:3], s[24:25], 6
	v_lshlrev_b32_e32 v12, 3, v0
	v_addc_co_u32_e32 v9, vcc, 0, v3, vcc
	v_mov_b32_e32 v16, 0
	s_mov_b64 s[6:7], 0
	v_mov_b32_e32 v14, s1
	v_mov_b32_e32 v15, s3
	;; [unrolled: 1-line block ×9, first 2 shown]
.LBB1115_2:                             ; =>This Inner Loop Header: Depth=1
	global_load_dwordx2 v[2:3], v[6:7], off offset:-4
	v_add_co_u32_e32 v6, vcc, s0, v6
	s_add_u32 s6, s6, 8
	v_addc_co_u32_e32 v7, vcc, v7, v14, vcc
	s_addc_u32 s7, s7, 0
	s_waitcnt vmcnt(0)
	ds_write_b64 v10, v[2:3]
	global_load_dwordx2 v[2:3], v[8:9], off offset:-4
	v_add_co_u32_e32 v8, vcc, s2, v8
	v_addc_co_u32_e32 v9, vcc, v9, v15, vcc
	s_waitcnt vmcnt(0)
	ds_write_b64 v11, v[2:3]
	s_waitcnt lgkmcnt(0)
	s_barrier
	ds_read_b128 v[24:27], v13
	ds_read_b128 v[28:31], v13 offset:16
	ds_read_b128 v[32:35], v13 offset:32
	;; [unrolled: 1-line block ×3, first 2 shown]
	ds_read2_b64 v[36:39], v12 offset1:16
	s_waitcnt lgkmcnt(0)
	v_mul_f32_e32 v40, v25, v37
	v_mul_f32_e32 v41, v24, v37
	v_fma_f32 v40, v24, v36, -v40
	v_fmac_f32_e32 v41, v25, v36
	v_add_f32_e32 v40, v22, v40
	v_add_f32_e32 v41, v23, v41
	v_mul_f32_e32 v22, v25, v39
	v_mul_f32_e32 v23, v24, v39
	v_fma_f32 v22, v24, v38, -v22
	v_fmac_f32_e32 v23, v25, v38
	v_add_f32_e32 v24, v20, v22
	v_add_f32_e32 v25, v21, v23
	ds_read_b128 v[20:23], v13 offset:1024
	s_waitcnt lgkmcnt(0)
	v_mul_f32_e32 v42, v21, v37
	v_mul_f32_e32 v37, v20, v37
	v_fma_f32 v42, v20, v36, -v42
	v_fmac_f32_e32 v37, v21, v36
	v_add_f32_e32 v36, v18, v42
	v_add_f32_e32 v37, v19, v37
	v_mul_f32_e32 v18, v21, v39
	v_mul_f32_e32 v19, v20, v39
	v_fma_f32 v18, v20, v38, -v18
	v_fmac_f32_e32 v19, v21, v38
	v_add_f32_e32 v20, v17, v18
	v_add_f32_e32 v21, v16, v19
	ds_read2_b64 v[16:19], v12 offset0:32 offset1:48
	s_waitcnt lgkmcnt(0)
	v_mul_f32_e32 v38, v27, v17
	v_fma_f32 v38, v26, v16, -v38
	v_add_f32_e32 v38, v40, v38
	v_mul_f32_e32 v40, v27, v19
	v_mul_f32_e32 v39, v26, v17
	v_fma_f32 v40, v26, v18, -v40
	v_mul_f32_e32 v26, v26, v19
	v_fmac_f32_e32 v26, v27, v18
	v_add_f32_e32 v25, v25, v26
	v_mul_f32_e32 v26, v23, v17
	v_mul_f32_e32 v17, v22, v17
	v_fmac_f32_e32 v17, v23, v16
	v_fmac_f32_e32 v39, v27, v16
	v_fma_f32 v26, v22, v16, -v26
	v_add_f32_e32 v27, v37, v17
	v_mul_f32_e32 v16, v23, v19
	v_mul_f32_e32 v17, v22, v19
	v_fma_f32 v16, v22, v18, -v16
	v_fmac_f32_e32 v17, v23, v18
	v_add_f32_e32 v26, v36, v26
	v_add_f32_e32 v36, v20, v16
	;; [unrolled: 1-line block ×3, first 2 shown]
	ds_read2_b64 v[16:19], v12 offset0:64 offset1:80
	v_add_f32_e32 v39, v41, v39
	v_add_f32_e32 v24, v24, v40
	s_waitcnt lgkmcnt(0)
	v_mul_f32_e32 v20, v29, v17
	v_mul_f32_e32 v21, v28, v17
	v_fma_f32 v20, v28, v16, -v20
	v_fmac_f32_e32 v21, v29, v16
	v_add_f32_e32 v38, v38, v20
	v_add_f32_e32 v39, v39, v21
	v_mul_f32_e32 v20, v29, v19
	v_mul_f32_e32 v21, v28, v19
	v_fma_f32 v20, v28, v18, -v20
	v_fmac_f32_e32 v21, v29, v18
	v_add_f32_e32 v24, v24, v20
	v_add_f32_e32 v25, v25, v21
	ds_read_b128 v[20:23], v13 offset:1040
	s_waitcnt lgkmcnt(0)
	v_mul_f32_e32 v28, v21, v17
	v_mul_f32_e32 v17, v20, v17
	v_fmac_f32_e32 v17, v21, v16
	v_fma_f32 v28, v20, v16, -v28
	v_add_f32_e32 v27, v27, v17
	v_mul_f32_e32 v16, v21, v19
	v_mul_f32_e32 v17, v20, v19
	v_fma_f32 v16, v20, v18, -v16
	v_fmac_f32_e32 v17, v21, v18
	v_add_f32_e32 v20, v36, v16
	v_add_f32_e32 v21, v37, v17
	ds_read2_b64 v[16:19], v12 offset0:96 offset1:112
	v_add_f32_e32 v26, v26, v28
	s_waitcnt lgkmcnt(0)
	v_mul_f32_e32 v28, v31, v17
	v_mul_f32_e32 v36, v31, v19
	v_fma_f32 v28, v30, v16, -v28
	v_mul_f32_e32 v29, v30, v17
	v_fma_f32 v36, v30, v18, -v36
	v_mul_f32_e32 v30, v30, v19
	v_fmac_f32_e32 v30, v31, v18
	v_add_f32_e32 v25, v25, v30
	v_mul_f32_e32 v30, v23, v17
	v_mul_f32_e32 v17, v22, v17
	v_fmac_f32_e32 v17, v23, v16
	v_fmac_f32_e32 v29, v31, v16
	v_fma_f32 v30, v22, v16, -v30
	v_add_f32_e32 v27, v27, v17
	v_mul_f32_e32 v16, v23, v19
	v_mul_f32_e32 v17, v22, v19
	v_fma_f32 v16, v22, v18, -v16
	v_fmac_f32_e32 v17, v23, v18
	v_add_f32_e32 v26, v26, v30
	v_add_f32_e32 v30, v20, v16
	;; [unrolled: 1-line block ×3, first 2 shown]
	ds_read2_b64 v[16:19], v12 offset0:128 offset1:144
	v_add_f32_e32 v28, v38, v28
	v_add_f32_e32 v29, v39, v29
	;; [unrolled: 1-line block ×3, first 2 shown]
	s_waitcnt lgkmcnt(0)
	v_mul_f32_e32 v20, v33, v17
	v_mul_f32_e32 v21, v32, v17
	v_fma_f32 v20, v32, v16, -v20
	v_fmac_f32_e32 v21, v33, v16
	v_add_f32_e32 v28, v28, v20
	v_add_f32_e32 v29, v29, v21
	v_mul_f32_e32 v20, v33, v19
	v_mul_f32_e32 v21, v32, v19
	v_fma_f32 v20, v32, v18, -v20
	v_fmac_f32_e32 v21, v33, v18
	v_add_f32_e32 v24, v24, v20
	v_add_f32_e32 v25, v25, v21
	ds_read_b128 v[20:23], v13 offset:1056
	s_waitcnt lgkmcnt(0)
	v_mul_f32_e32 v32, v21, v17
	v_mul_f32_e32 v17, v20, v17
	v_fmac_f32_e32 v17, v21, v16
	v_fma_f32 v32, v20, v16, -v32
	v_add_f32_e32 v27, v27, v17
	v_mul_f32_e32 v16, v21, v19
	v_mul_f32_e32 v17, v20, v19
	v_fma_f32 v16, v20, v18, -v16
	v_fmac_f32_e32 v17, v21, v18
	v_add_f32_e32 v20, v30, v16
	v_add_f32_e32 v21, v31, v17
	ds_read2_b64 v[16:19], v12 offset0:160 offset1:176
	v_add_f32_e32 v26, v26, v32
	s_waitcnt lgkmcnt(0)
	v_mul_f32_e32 v30, v35, v17
	v_fma_f32 v30, v34, v16, -v30
	v_add_f32_e32 v28, v28, v30
	v_mul_f32_e32 v30, v35, v19
	v_fma_f32 v30, v34, v18, -v30
	v_mul_f32_e32 v31, v34, v17
	v_add_f32_e32 v24, v24, v30
	v_mul_f32_e32 v30, v23, v17
	v_mul_f32_e32 v17, v22, v17
	v_fmac_f32_e32 v17, v23, v16
	v_fmac_f32_e32 v31, v35, v16
	v_fma_f32 v30, v22, v16, -v30
	v_add_f32_e32 v27, v27, v17
	v_mul_f32_e32 v16, v23, v19
	v_mul_f32_e32 v17, v22, v19
	v_add_f32_e32 v29, v29, v31
	v_mul_f32_e32 v31, v34, v19
	v_fma_f32 v16, v22, v18, -v16
	v_fmac_f32_e32 v17, v23, v18
	v_fmac_f32_e32 v31, v35, v18
	v_add_f32_e32 v20, v20, v16
	v_add_f32_e32 v21, v21, v17
	ds_read2_b64 v[16:19], v12 offset0:192 offset1:208
	v_add_f32_e32 v26, v26, v30
	v_add_f32_e32 v25, v25, v31
	s_waitcnt lgkmcnt(0)
	v_mul_f32_e32 v22, v3, v17
	v_fma_f32 v22, v2, v16, -v22
	v_add_f32_e32 v30, v28, v22
	v_mul_f32_e32 v22, v3, v19
	v_mul_f32_e32 v23, v2, v17
	v_fma_f32 v22, v2, v18, -v22
	v_mul_f32_e32 v2, v2, v19
	v_fmac_f32_e32 v23, v3, v16
	v_fmac_f32_e32 v2, v3, v18
	v_add_f32_e32 v31, v29, v23
	v_add_f32_e32 v3, v24, v22
	;; [unrolled: 1-line block ×3, first 2 shown]
	ds_read_b128 v[22:25], v13 offset:1072
	s_waitcnt lgkmcnt(0)
	v_mul_f32_e32 v28, v23, v17
	v_fma_f32 v28, v22, v16, -v28
	v_mul_f32_e32 v17, v22, v17
	v_fmac_f32_e32 v17, v23, v16
	v_add_f32_e32 v16, v26, v28
	v_mul_f32_e32 v26, v23, v19
	v_fma_f32 v26, v22, v18, -v26
	v_add_f32_e32 v17, v27, v17
	v_add_f32_e32 v32, v20, v26
	ds_read2_b64 v[26:29], v12 offset0:224 offset1:240
	v_mul_f32_e32 v19, v22, v19
	v_fmac_f32_e32 v19, v23, v18
	v_add_f32_e32 v33, v21, v19
	s_waitcnt lgkmcnt(0)
	v_mul_f32_e32 v18, v5, v27
	v_fma_f32 v18, v4, v26, -v18
	v_add_f32_e32 v22, v30, v18
	v_mul_f32_e32 v18, v5, v29
	v_mul_f32_e32 v19, v4, v27
	v_fma_f32 v18, v4, v28, -v18
	v_mul_f32_e32 v4, v4, v29
	v_fmac_f32_e32 v4, v5, v28
	v_add_f32_e32 v20, v3, v18
	v_add_f32_e32 v21, v2, v4
	v_mul_f32_e32 v2, v25, v27
	v_mul_f32_e32 v3, v24, v27
	v_fmac_f32_e32 v19, v5, v26
	v_fma_f32 v2, v24, v26, -v2
	v_fmac_f32_e32 v3, v25, v26
	v_add_f32_e32 v23, v31, v19
	v_add_f32_e32 v18, v16, v2
	;; [unrolled: 1-line block ×3, first 2 shown]
	v_mul_f32_e32 v2, v25, v29
	v_mul_f32_e32 v3, v24, v29
	v_fma_f32 v2, v24, v28, -v2
	v_fmac_f32_e32 v3, v25, v28
	v_add_f32_e32 v17, v32, v2
	v_add_f32_e32 v16, v33, v3
	v_mov_b32_e32 v2, s6
	v_mov_b32_e32 v3, s7
	v_cmp_le_u64_e32 vcc, s[12:13], v[2:3]
	s_barrier
	s_cbranch_vccz .LBB1115_2
	s_branch .LBB1115_4
.LBB1115_3:
	v_mov_b32_e32 v22, 0
	v_mov_b32_e32 v23, 0
	;; [unrolled: 1-line block ×8, first 2 shown]
.LBB1115_4:
	s_load_dwordx8 s[16:23], s[4:5], 0x48
	s_nop 0
	s_load_dword s4, s[4:5], 0x0
	v_add_u32_e32 v4, s10, v1
	v_ashrrev_i32_e32 v1, 31, v4
	v_add_u32_e32 v0, s9, v0
	s_waitcnt lgkmcnt(0)
	v_mul_lo_u32 v3, s20, v1
	v_mul_lo_u32 v5, s21, v4
	v_mad_u64_u32 v[1:2], s[2:3], s20, v4, 0
	s_mul_i32 s0, s23, s8
	s_mul_hi_u32 s1, s22, s8
	s_add_i32 s1, s1, s0
	s_mul_i32 s0, s22, s8
	s_lshl_b64 s[0:1], s[0:1], 3
	v_add3_u32 v2, v2, v3, v5
	s_add_u32 s5, s18, s0
	v_lshlrev_b64 v[1:2], 3, v[1:2]
	s_addc_u32 s6, s19, s1
	v_mov_b32_e32 v3, s6
	v_add_co_u32_e64 v5, s[0:1], s5, v1
	v_addc_co_u32_e64 v6, s[0:1], v3, v2, s[0:1]
	v_cmp_gt_i32_e32 vcc, s4, v4
	v_cmp_le_i32_e64 s[0:1], v0, v4
	s_and_b64 s[0:1], vcc, s[0:1]
	s_and_saveexec_b64 s[2:3], s[0:1]
	s_cbranch_execz .LBB1115_6
; %bb.5:
	v_ashrrev_i32_e32 v1, 31, v0
	v_lshlrev_b64 v[1:2], 3, v[0:1]
	v_mul_f32_e32 v3, s15, v23
	v_add_co_u32_e64 v1, s[0:1], v5, v1
	v_addc_co_u32_e64 v2, s[0:1], v6, v2, s[0:1]
	global_load_dwordx2 v[7:8], v[1:2], off
	v_mul_f32_e32 v9, s14, v23
	v_fma_f32 v3, v22, s14, -v3
	v_fmac_f32_e32 v9, s15, v22
	s_waitcnt vmcnt(0)
	v_mul_f32_e32 v10, s17, v8
	v_mul_f32_e32 v8, s16, v8
	v_fma_f32 v10, v7, s16, -v10
	v_fmac_f32_e32 v8, s17, v7
	v_add_f32_e32 v7, v3, v10
	v_add_f32_e32 v8, v9, v8
	global_store_dwordx2 v[1:2], v[7:8], off
.LBB1115_6:
	s_or_b64 exec, exec, s[2:3]
	v_add_u32_e32 v2, 16, v0
	v_cmp_le_i32_e64 s[0:1], v2, v4
	s_and_b64 s[2:3], vcc, s[0:1]
	s_and_saveexec_b64 s[0:1], s[2:3]
	s_cbranch_execz .LBB1115_8
; %bb.7:
	v_ashrrev_i32_e32 v3, 31, v2
	v_lshlrev_b64 v[7:8], 3, v[2:3]
	v_mul_f32_e32 v1, s15, v21
	v_add_co_u32_e32 v5, vcc, v5, v7
	v_addc_co_u32_e32 v6, vcc, v6, v8, vcc
	global_load_dwordx2 v[7:8], v[5:6], off
	v_mul_f32_e32 v3, s14, v21
	v_fma_f32 v1, v20, s14, -v1
	v_fmac_f32_e32 v3, s15, v20
	s_waitcnt vmcnt(0)
	v_mul_f32_e32 v9, s17, v8
	v_mul_f32_e32 v8, s16, v8
	v_fma_f32 v9, v7, s16, -v9
	v_fmac_f32_e32 v8, s17, v7
	v_add_f32_e32 v7, v1, v9
	v_add_f32_e32 v8, v3, v8
	global_store_dwordx2 v[5:6], v[7:8], off
.LBB1115_8:
	s_or_b64 exec, exec, s[0:1]
	v_add_u32_e32 v3, 16, v4
	v_ashrrev_i32_e32 v1, 31, v3
	v_mul_lo_u32 v1, s20, v1
	v_mul_lo_u32 v6, s21, v3
	v_mad_u64_u32 v[4:5], s[0:1], s20, v3, 0
	v_cmp_gt_i32_e32 vcc, s4, v3
	v_add3_u32 v5, v5, v1, v6
	v_lshlrev_b64 v[4:5], 3, v[4:5]
	v_mov_b32_e32 v1, s6
	v_add_co_u32_e64 v4, s[0:1], s5, v4
	v_addc_co_u32_e64 v5, s[0:1], v1, v5, s[0:1]
	v_cmp_le_i32_e64 s[0:1], v0, v3
	s_and_b64 s[0:1], vcc, s[0:1]
	s_and_saveexec_b64 s[2:3], s[0:1]
	s_cbranch_execz .LBB1115_10
; %bb.9:
	v_ashrrev_i32_e32 v1, 31, v0
	v_lshlrev_b64 v[0:1], 3, v[0:1]
	v_mul_f32_e32 v8, s15, v19
	v_add_co_u32_e64 v0, s[0:1], v4, v0
	v_addc_co_u32_e64 v1, s[0:1], v5, v1, s[0:1]
	global_load_dwordx2 v[6:7], v[0:1], off
	v_mul_f32_e32 v9, s14, v19
	v_fma_f32 v8, v18, s14, -v8
	v_fmac_f32_e32 v9, s15, v18
	s_waitcnt vmcnt(0)
	v_mul_f32_e32 v10, s17, v7
	v_mul_f32_e32 v7, s16, v7
	v_fma_f32 v10, v6, s16, -v10
	v_fmac_f32_e32 v7, s17, v6
	v_add_f32_e32 v6, v8, v10
	v_add_f32_e32 v7, v9, v7
	global_store_dwordx2 v[0:1], v[6:7], off
.LBB1115_10:
	s_or_b64 exec, exec, s[2:3]
	v_cmp_le_i32_e64 s[0:1], v2, v3
	s_and_b64 s[0:1], vcc, s[0:1]
	s_and_saveexec_b64 s[2:3], s[0:1]
	s_cbranch_execz .LBB1115_12
; %bb.11:
	v_ashrrev_i32_e32 v3, 31, v2
	v_lshlrev_b64 v[0:1], 3, v[2:3]
	v_add_co_u32_e32 v0, vcc, v4, v0
	v_addc_co_u32_e32 v1, vcc, v5, v1, vcc
	global_load_dwordx2 v[2:3], v[0:1], off
	v_mul_f32_e32 v4, s15, v16
	v_mul_f32_e32 v5, s14, v16
	v_fma_f32 v4, v17, s14, -v4
	v_fmac_f32_e32 v5, s15, v17
	s_waitcnt vmcnt(0)
	v_mul_f32_e32 v6, s17, v3
	v_mul_f32_e32 v3, s16, v3
	v_fma_f32 v6, v2, s16, -v6
	v_fmac_f32_e32 v3, s17, v2
	v_add_f32_e32 v2, v4, v6
	v_add_f32_e32 v3, v5, v3
	global_store_dwordx2 v[0:1], v[2:3], off
.LBB1115_12:
	s_endpgm
	.section	.rodata,"a",@progbits
	.p2align	6, 0x0
	.amdhsa_kernel _ZL37rocblas_syrkx_herkx_restricted_kernelIl19rocblas_complex_numIfELi16ELi32ELi8ELb0ELb0ELc78ELc85EKS1_S1_EviT_T0_PT8_S3_lS6_S3_lS4_PT9_S3_li
		.amdhsa_group_segment_fixed_size 4096
		.amdhsa_private_segment_fixed_size 0
		.amdhsa_kernarg_size 108
		.amdhsa_user_sgpr_count 6
		.amdhsa_user_sgpr_private_segment_buffer 1
		.amdhsa_user_sgpr_dispatch_ptr 0
		.amdhsa_user_sgpr_queue_ptr 0
		.amdhsa_user_sgpr_kernarg_segment_ptr 1
		.amdhsa_user_sgpr_dispatch_id 0
		.amdhsa_user_sgpr_flat_scratch_init 0
		.amdhsa_user_sgpr_private_segment_size 0
		.amdhsa_uses_dynamic_stack 0
		.amdhsa_system_sgpr_private_segment_wavefront_offset 0
		.amdhsa_system_sgpr_workgroup_id_x 1
		.amdhsa_system_sgpr_workgroup_id_y 1
		.amdhsa_system_sgpr_workgroup_id_z 1
		.amdhsa_system_sgpr_workgroup_info 0
		.amdhsa_system_vgpr_workitem_id 1
		.amdhsa_next_free_vgpr 43
		.amdhsa_next_free_sgpr 28
		.amdhsa_reserve_vcc 1
		.amdhsa_reserve_flat_scratch 0
		.amdhsa_float_round_mode_32 0
		.amdhsa_float_round_mode_16_64 0
		.amdhsa_float_denorm_mode_32 3
		.amdhsa_float_denorm_mode_16_64 3
		.amdhsa_dx10_clamp 1
		.amdhsa_ieee_mode 1
		.amdhsa_fp16_overflow 0
		.amdhsa_exception_fp_ieee_invalid_op 0
		.amdhsa_exception_fp_denorm_src 0
		.amdhsa_exception_fp_ieee_div_zero 0
		.amdhsa_exception_fp_ieee_overflow 0
		.amdhsa_exception_fp_ieee_underflow 0
		.amdhsa_exception_fp_ieee_inexact 0
		.amdhsa_exception_int_div_zero 0
	.end_amdhsa_kernel
	.section	.text._ZL37rocblas_syrkx_herkx_restricted_kernelIl19rocblas_complex_numIfELi16ELi32ELi8ELb0ELb0ELc78ELc85EKS1_S1_EviT_T0_PT8_S3_lS6_S3_lS4_PT9_S3_li,"axG",@progbits,_ZL37rocblas_syrkx_herkx_restricted_kernelIl19rocblas_complex_numIfELi16ELi32ELi8ELb0ELb0ELc78ELc85EKS1_S1_EviT_T0_PT8_S3_lS6_S3_lS4_PT9_S3_li,comdat
.Lfunc_end1115:
	.size	_ZL37rocblas_syrkx_herkx_restricted_kernelIl19rocblas_complex_numIfELi16ELi32ELi8ELb0ELb0ELc78ELc85EKS1_S1_EviT_T0_PT8_S3_lS6_S3_lS4_PT9_S3_li, .Lfunc_end1115-_ZL37rocblas_syrkx_herkx_restricted_kernelIl19rocblas_complex_numIfELi16ELi32ELi8ELb0ELb0ELc78ELc85EKS1_S1_EviT_T0_PT8_S3_lS6_S3_lS4_PT9_S3_li
                                        ; -- End function
	.set _ZL37rocblas_syrkx_herkx_restricted_kernelIl19rocblas_complex_numIfELi16ELi32ELi8ELb0ELb0ELc78ELc85EKS1_S1_EviT_T0_PT8_S3_lS6_S3_lS4_PT9_S3_li.num_vgpr, 43
	.set _ZL37rocblas_syrkx_herkx_restricted_kernelIl19rocblas_complex_numIfELi16ELi32ELi8ELb0ELb0ELc78ELc85EKS1_S1_EviT_T0_PT8_S3_lS6_S3_lS4_PT9_S3_li.num_agpr, 0
	.set _ZL37rocblas_syrkx_herkx_restricted_kernelIl19rocblas_complex_numIfELi16ELi32ELi8ELb0ELb0ELc78ELc85EKS1_S1_EviT_T0_PT8_S3_lS6_S3_lS4_PT9_S3_li.numbered_sgpr, 28
	.set _ZL37rocblas_syrkx_herkx_restricted_kernelIl19rocblas_complex_numIfELi16ELi32ELi8ELb0ELb0ELc78ELc85EKS1_S1_EviT_T0_PT8_S3_lS6_S3_lS4_PT9_S3_li.num_named_barrier, 0
	.set _ZL37rocblas_syrkx_herkx_restricted_kernelIl19rocblas_complex_numIfELi16ELi32ELi8ELb0ELb0ELc78ELc85EKS1_S1_EviT_T0_PT8_S3_lS6_S3_lS4_PT9_S3_li.private_seg_size, 0
	.set _ZL37rocblas_syrkx_herkx_restricted_kernelIl19rocblas_complex_numIfELi16ELi32ELi8ELb0ELb0ELc78ELc85EKS1_S1_EviT_T0_PT8_S3_lS6_S3_lS4_PT9_S3_li.uses_vcc, 1
	.set _ZL37rocblas_syrkx_herkx_restricted_kernelIl19rocblas_complex_numIfELi16ELi32ELi8ELb0ELb0ELc78ELc85EKS1_S1_EviT_T0_PT8_S3_lS6_S3_lS4_PT9_S3_li.uses_flat_scratch, 0
	.set _ZL37rocblas_syrkx_herkx_restricted_kernelIl19rocblas_complex_numIfELi16ELi32ELi8ELb0ELb0ELc78ELc85EKS1_S1_EviT_T0_PT8_S3_lS6_S3_lS4_PT9_S3_li.has_dyn_sized_stack, 0
	.set _ZL37rocblas_syrkx_herkx_restricted_kernelIl19rocblas_complex_numIfELi16ELi32ELi8ELb0ELb0ELc78ELc85EKS1_S1_EviT_T0_PT8_S3_lS6_S3_lS4_PT9_S3_li.has_recursion, 0
	.set _ZL37rocblas_syrkx_herkx_restricted_kernelIl19rocblas_complex_numIfELi16ELi32ELi8ELb0ELb0ELc78ELc85EKS1_S1_EviT_T0_PT8_S3_lS6_S3_lS4_PT9_S3_li.has_indirect_call, 0
	.section	.AMDGPU.csdata,"",@progbits
; Kernel info:
; codeLenInByte = 2192
; TotalNumSgprs: 32
; NumVgprs: 43
; ScratchSize: 0
; MemoryBound: 0
; FloatMode: 240
; IeeeMode: 1
; LDSByteSize: 4096 bytes/workgroup (compile time only)
; SGPRBlocks: 3
; VGPRBlocks: 10
; NumSGPRsForWavesPerEU: 32
; NumVGPRsForWavesPerEU: 43
; Occupancy: 5
; WaveLimiterHint : 0
; COMPUTE_PGM_RSRC2:SCRATCH_EN: 0
; COMPUTE_PGM_RSRC2:USER_SGPR: 6
; COMPUTE_PGM_RSRC2:TRAP_HANDLER: 0
; COMPUTE_PGM_RSRC2:TGID_X_EN: 1
; COMPUTE_PGM_RSRC2:TGID_Y_EN: 1
; COMPUTE_PGM_RSRC2:TGID_Z_EN: 1
; COMPUTE_PGM_RSRC2:TIDIG_COMP_CNT: 1
	.section	.text._ZL41rocblas_syrkx_herkx_small_restrict_kernelIl19rocblas_complex_numIfELi16ELb1ELb0ELc84ELc76EKS1_S1_EviT_T0_PT6_S3_lS6_S3_lS4_PT7_S3_li,"axG",@progbits,_ZL41rocblas_syrkx_herkx_small_restrict_kernelIl19rocblas_complex_numIfELi16ELb1ELb0ELc84ELc76EKS1_S1_EviT_T0_PT6_S3_lS6_S3_lS4_PT7_S3_li,comdat
	.globl	_ZL41rocblas_syrkx_herkx_small_restrict_kernelIl19rocblas_complex_numIfELi16ELb1ELb0ELc84ELc76EKS1_S1_EviT_T0_PT6_S3_lS6_S3_lS4_PT7_S3_li ; -- Begin function _ZL41rocblas_syrkx_herkx_small_restrict_kernelIl19rocblas_complex_numIfELi16ELb1ELb0ELc84ELc76EKS1_S1_EviT_T0_PT6_S3_lS6_S3_lS4_PT7_S3_li
	.p2align	8
	.type	_ZL41rocblas_syrkx_herkx_small_restrict_kernelIl19rocblas_complex_numIfELi16ELb1ELb0ELc84ELc76EKS1_S1_EviT_T0_PT6_S3_lS6_S3_lS4_PT7_S3_li,@function
_ZL41rocblas_syrkx_herkx_small_restrict_kernelIl19rocblas_complex_numIfELi16ELb1ELb0ELc84ELc76EKS1_S1_EviT_T0_PT6_S3_lS6_S3_lS4_PT7_S3_li: ; @_ZL41rocblas_syrkx_herkx_small_restrict_kernelIl19rocblas_complex_numIfELi16ELb1ELb0ELc84ELc76EKS1_S1_EviT_T0_PT6_S3_lS6_S3_lS4_PT7_S3_li
; %bb.0:
	s_load_dwordx16 s[12:27], s[4:5], 0x8
	v_lshl_add_u32 v2, s6, 4, v0
	v_lshl_add_u32 v8, s7, 4, v1
	v_ashrrev_i32_e32 v3, 31, v2
	v_ashrrev_i32_e32 v9, 31, v8
	s_waitcnt lgkmcnt(0)
	v_cmp_lt_i64_e64 s[0:1], s[12:13], 1
	s_and_b64 vcc, exec, s[0:1]
	s_cbranch_vccnz .LBB1116_6
; %bb.1:
	v_lshlrev_b32_e32 v10, 3, v0
	v_mul_lo_u32 v0, s25, v8
	v_mul_lo_u32 v7, s24, v9
	v_mad_u64_u32 v[4:5], s[0:1], s24, v8, 0
	s_mul_i32 s0, s27, s8
	s_mul_hi_u32 s1, s26, s8
	v_add3_u32 v5, v5, v7, v0
	v_lshlrev_b64 v[4:5], 3, v[4:5]
	s_add_i32 s1, s1, s0
	s_mul_i32 s0, s26, s8
	v_lshlrev_b32_e32 v6, 7, v1
	s_lshl_b64 s[0:1], s[0:1], 3
	v_add_u32_e32 v11, v10, v6
	v_add_u32_e32 v12, 0x800, v6
	v_mov_b32_e32 v0, s1
	v_add_co_u32_e32 v4, vcc, s0, v4
	v_mul_lo_u32 v15, s19, v2
	v_mul_lo_u32 v16, s18, v3
	v_mad_u64_u32 v[6:7], s[0:1], s18, v2, 0
	v_addc_co_u32_e32 v0, vcc, v5, v0, vcc
	v_add_co_u32_e32 v4, vcc, v4, v10
	v_addc_co_u32_e32 v0, vcc, 0, v0, vcc
	v_add3_u32 v7, v7, v16, v15
	s_mul_i32 s0, s21, s8
	s_mul_hi_u32 s1, s20, s8
	v_mov_b32_e32 v5, s23
	v_add_co_u32_e32 v4, vcc, s22, v4
	v_lshlrev_b64 v[6:7], 3, v[6:7]
	s_add_i32 s1, s1, s0
	s_mul_i32 s0, s20, s8
	v_addc_co_u32_e32 v5, vcc, v5, v0, vcc
	s_lshl_b64 s[0:1], s[0:1], 3
	v_mov_b32_e32 v0, s1
	v_add_co_u32_e32 v6, vcc, s0, v6
	v_addc_co_u32_e32 v0, vcc, v7, v0, vcc
	v_lshlrev_b32_e32 v1, 3, v1
	v_add_co_u32_e32 v1, vcc, v6, v1
	v_addc_co_u32_e32 v6, vcc, 0, v0, vcc
	v_mov_b32_e32 v7, s17
	v_add_co_u32_e32 v0, vcc, s16, v1
	v_addc_co_u32_e32 v1, vcc, v7, v6, vcc
	v_mov_b32_e32 v6, s12
	v_add_u32_e32 v13, v12, v10
	v_mov_b32_e32 v14, 0
	s_mov_b64 s[0:1], 0
	v_mov_b32_e32 v7, s13
	v_mov_b32_e32 v15, 0
.LBB1116_2:                             ; =>This Inner Loop Header: Depth=1
	global_load_dwordx2 v[16:17], v[0:1], off
	s_add_u32 s0, s0, 16
	s_addc_u32 s1, s1, 0
	s_waitcnt vmcnt(0)
	ds_write_b64 v11, v[16:17]
	global_load_dwordx2 v[16:17], v[4:5], off
	v_add_co_u32_e32 v4, vcc, 0x80, v4
	v_addc_co_u32_e32 v5, vcc, 0, v5, vcc
	v_add_co_u32_e32 v0, vcc, 0x80, v0
	v_addc_co_u32_e32 v1, vcc, 0, v1, vcc
	v_cmp_lt_i64_e32 vcc, s[0:1], v[6:7]
	s_and_b64 vcc, exec, vcc
	s_waitcnt vmcnt(0)
	ds_write_b64 v13, v[16:17]
	s_waitcnt lgkmcnt(0)
	s_barrier
	ds_read2_b64 v[16:19], v10 offset1:16
	ds_read_b128 v[20:23], v12
	ds_read_b128 v[24:27], v12 offset:16
	ds_read_b128 v[28:31], v12 offset:32
	;; [unrolled: 1-line block ×3, first 2 shown]
	s_waitcnt lgkmcnt(3)
	v_mul_f32_e32 v36, v21, v17
	v_mul_f32_e32 v17, v20, v17
	v_fmac_f32_e32 v17, v21, v16
	v_fma_f32 v36, v20, v16, -v36
	v_add_f32_e32 v14, v14, v17
	v_mul_f32_e32 v16, v23, v19
	v_mul_f32_e32 v17, v22, v19
	v_add_f32_e32 v15, v15, v36
	v_fma_f32 v16, v22, v18, -v16
	v_fmac_f32_e32 v17, v23, v18
	v_add_f32_e32 v18, v15, v16
	v_add_f32_e32 v19, v14, v17
	ds_read2_b64 v[14:17], v10 offset0:32 offset1:48
	s_waitcnt lgkmcnt(0)
	v_mul_f32_e32 v20, v25, v15
	v_fma_f32 v20, v24, v14, -v20
	v_mul_f32_e32 v15, v24, v15
	v_fmac_f32_e32 v15, v25, v14
	v_add_f32_e32 v14, v18, v20
	v_mul_f32_e32 v18, v27, v17
	v_mul_f32_e32 v17, v26, v17
	v_add_f32_e32 v15, v19, v15
	v_fma_f32 v18, v26, v16, -v18
	v_fmac_f32_e32 v17, v27, v16
	v_add_f32_e32 v18, v14, v18
	v_add_f32_e32 v19, v15, v17
	ds_read2_b64 v[14:17], v10 offset0:64 offset1:80
	s_waitcnt lgkmcnt(0)
	v_mul_f32_e32 v20, v29, v15
	v_fma_f32 v20, v28, v14, -v20
	v_mul_f32_e32 v15, v28, v15
	v_fmac_f32_e32 v15, v29, v14
	;; [unrolled: 14-line block ×3, first 2 shown]
	v_add_f32_e32 v14, v18, v20
	v_mul_f32_e32 v18, v35, v17
	v_mul_f32_e32 v17, v34, v17
	v_add_f32_e32 v15, v19, v15
	v_fma_f32 v18, v34, v16, -v18
	v_fmac_f32_e32 v17, v35, v16
	v_add_f32_e32 v22, v14, v18
	v_add_f32_e32 v23, v15, v17
	ds_read2_b64 v[14:17], v10 offset0:128 offset1:144
	ds_read_b128 v[18:21], v12 offset:64
	s_waitcnt lgkmcnt(0)
	v_mul_f32_e32 v24, v19, v15
	v_mul_f32_e32 v15, v18, v15
	v_fma_f32 v24, v18, v14, -v24
	v_fmac_f32_e32 v15, v19, v14
	v_mul_f32_e32 v18, v21, v17
	v_mul_f32_e32 v17, v20, v17
	v_add_f32_e32 v14, v22, v24
	v_add_f32_e32 v15, v23, v15
	v_fma_f32 v18, v20, v16, -v18
	v_fmac_f32_e32 v17, v21, v16
	v_add_f32_e32 v22, v14, v18
	v_add_f32_e32 v23, v15, v17
	ds_read2_b64 v[14:17], v10 offset0:160 offset1:176
	ds_read_b128 v[18:21], v12 offset:80
	s_waitcnt lgkmcnt(0)
	v_mul_f32_e32 v24, v19, v15
	v_mul_f32_e32 v15, v18, v15
	v_fma_f32 v24, v18, v14, -v24
	v_fmac_f32_e32 v15, v19, v14
	v_mul_f32_e32 v18, v21, v17
	v_mul_f32_e32 v17, v20, v17
	v_add_f32_e32 v14, v22, v24
	;; [unrolled: 15-line block ×3, first 2 shown]
	v_add_f32_e32 v15, v23, v15
	v_fma_f32 v18, v20, v16, -v18
	v_fmac_f32_e32 v17, v21, v16
	v_add_f32_e32 v22, v14, v18
	v_add_f32_e32 v23, v15, v17
	ds_read2_b64 v[14:17], v10 offset0:224 offset1:240
	ds_read_b128 v[18:21], v12 offset:112
	s_waitcnt lgkmcnt(0)
	s_barrier
	v_mul_f32_e32 v24, v19, v15
	v_mul_f32_e32 v15, v18, v15
	v_fmac_f32_e32 v15, v19, v14
	v_fma_f32 v24, v18, v14, -v24
	v_add_f32_e32 v18, v23, v15
	v_mul_f32_e32 v15, v21, v17
	v_mul_f32_e32 v17, v20, v17
	v_add_f32_e32 v14, v22, v24
	v_fma_f32 v15, v20, v16, -v15
	v_fmac_f32_e32 v17, v21, v16
	v_add_f32_e32 v15, v14, v15
	v_add_f32_e32 v14, v18, v17
	s_cbranch_vccnz .LBB1116_2
; %bb.3:
	v_cmp_le_i32_e32 vcc, v8, v2
	s_and_saveexec_b64 s[0:1], vcc
	s_cbranch_execz .LBB1116_5
.LBB1116_4:
	s_load_dwordx2 s[6:7], s[4:5], 0x60
	s_load_dwordx4 s[0:3], s[4:5], 0x50
	v_mul_f32_e32 v4, s15, v14
	v_mul_f32_e32 v5, s14, v14
	v_fma_f32 v4, v15, s14, -v4
	s_waitcnt lgkmcnt(0)
	s_mul_i32 s5, s7, s8
	s_mul_hi_u32 s7, s6, s8
	s_mul_i32 s4, s6, s8
	s_add_i32 s5, s7, s5
	s_lshl_b64 s[4:5], s[4:5], 3
	s_add_u32 s4, s0, s4
	s_addc_u32 s5, s1, s5
	v_mul_lo_u32 v6, s3, v8
	v_mul_lo_u32 v7, s2, v9
	v_mad_u64_u32 v[0:1], s[0:1], s2, v8, 0
	v_fmac_f32_e32 v5, s15, v15
	v_add3_u32 v1, v1, v7, v6
	v_lshlrev_b64 v[0:1], 3, v[0:1]
	v_mov_b32_e32 v6, s5
	v_add_co_u32_e32 v7, vcc, s4, v0
	v_addc_co_u32_e32 v6, vcc, v6, v1, vcc
	v_lshlrev_b64 v[0:1], 3, v[2:3]
	v_add_co_u32_e32 v0, vcc, v7, v0
	v_addc_co_u32_e32 v1, vcc, v6, v1, vcc
	global_store_dwordx2 v[0:1], v[4:5], off
.LBB1116_5:
	s_endpgm
.LBB1116_6:
	v_mov_b32_e32 v14, 0
	v_mov_b32_e32 v15, 0
	v_cmp_le_i32_e32 vcc, v8, v2
	s_and_saveexec_b64 s[0:1], vcc
	s_cbranch_execnz .LBB1116_4
	s_branch .LBB1116_5
	.section	.rodata,"a",@progbits
	.p2align	6, 0x0
	.amdhsa_kernel _ZL41rocblas_syrkx_herkx_small_restrict_kernelIl19rocblas_complex_numIfELi16ELb1ELb0ELc84ELc76EKS1_S1_EviT_T0_PT6_S3_lS6_S3_lS4_PT7_S3_li
		.amdhsa_group_segment_fixed_size 4096
		.amdhsa_private_segment_fixed_size 0
		.amdhsa_kernarg_size 108
		.amdhsa_user_sgpr_count 6
		.amdhsa_user_sgpr_private_segment_buffer 1
		.amdhsa_user_sgpr_dispatch_ptr 0
		.amdhsa_user_sgpr_queue_ptr 0
		.amdhsa_user_sgpr_kernarg_segment_ptr 1
		.amdhsa_user_sgpr_dispatch_id 0
		.amdhsa_user_sgpr_flat_scratch_init 0
		.amdhsa_user_sgpr_private_segment_size 0
		.amdhsa_uses_dynamic_stack 0
		.amdhsa_system_sgpr_private_segment_wavefront_offset 0
		.amdhsa_system_sgpr_workgroup_id_x 1
		.amdhsa_system_sgpr_workgroup_id_y 1
		.amdhsa_system_sgpr_workgroup_id_z 1
		.amdhsa_system_sgpr_workgroup_info 0
		.amdhsa_system_vgpr_workitem_id 1
		.amdhsa_next_free_vgpr 37
		.amdhsa_next_free_sgpr 28
		.amdhsa_reserve_vcc 1
		.amdhsa_reserve_flat_scratch 0
		.amdhsa_float_round_mode_32 0
		.amdhsa_float_round_mode_16_64 0
		.amdhsa_float_denorm_mode_32 3
		.amdhsa_float_denorm_mode_16_64 3
		.amdhsa_dx10_clamp 1
		.amdhsa_ieee_mode 1
		.amdhsa_fp16_overflow 0
		.amdhsa_exception_fp_ieee_invalid_op 0
		.amdhsa_exception_fp_denorm_src 0
		.amdhsa_exception_fp_ieee_div_zero 0
		.amdhsa_exception_fp_ieee_overflow 0
		.amdhsa_exception_fp_ieee_underflow 0
		.amdhsa_exception_fp_ieee_inexact 0
		.amdhsa_exception_int_div_zero 0
	.end_amdhsa_kernel
	.section	.text._ZL41rocblas_syrkx_herkx_small_restrict_kernelIl19rocblas_complex_numIfELi16ELb1ELb0ELc84ELc76EKS1_S1_EviT_T0_PT6_S3_lS6_S3_lS4_PT7_S3_li,"axG",@progbits,_ZL41rocblas_syrkx_herkx_small_restrict_kernelIl19rocblas_complex_numIfELi16ELb1ELb0ELc84ELc76EKS1_S1_EviT_T0_PT6_S3_lS6_S3_lS4_PT7_S3_li,comdat
.Lfunc_end1116:
	.size	_ZL41rocblas_syrkx_herkx_small_restrict_kernelIl19rocblas_complex_numIfELi16ELb1ELb0ELc84ELc76EKS1_S1_EviT_T0_PT6_S3_lS6_S3_lS4_PT7_S3_li, .Lfunc_end1116-_ZL41rocblas_syrkx_herkx_small_restrict_kernelIl19rocblas_complex_numIfELi16ELb1ELb0ELc84ELc76EKS1_S1_EviT_T0_PT6_S3_lS6_S3_lS4_PT7_S3_li
                                        ; -- End function
	.set _ZL41rocblas_syrkx_herkx_small_restrict_kernelIl19rocblas_complex_numIfELi16ELb1ELb0ELc84ELc76EKS1_S1_EviT_T0_PT6_S3_lS6_S3_lS4_PT7_S3_li.num_vgpr, 37
	.set _ZL41rocblas_syrkx_herkx_small_restrict_kernelIl19rocblas_complex_numIfELi16ELb1ELb0ELc84ELc76EKS1_S1_EviT_T0_PT6_S3_lS6_S3_lS4_PT7_S3_li.num_agpr, 0
	.set _ZL41rocblas_syrkx_herkx_small_restrict_kernelIl19rocblas_complex_numIfELi16ELb1ELb0ELc84ELc76EKS1_S1_EviT_T0_PT6_S3_lS6_S3_lS4_PT7_S3_li.numbered_sgpr, 28
	.set _ZL41rocblas_syrkx_herkx_small_restrict_kernelIl19rocblas_complex_numIfELi16ELb1ELb0ELc84ELc76EKS1_S1_EviT_T0_PT6_S3_lS6_S3_lS4_PT7_S3_li.num_named_barrier, 0
	.set _ZL41rocblas_syrkx_herkx_small_restrict_kernelIl19rocblas_complex_numIfELi16ELb1ELb0ELc84ELc76EKS1_S1_EviT_T0_PT6_S3_lS6_S3_lS4_PT7_S3_li.private_seg_size, 0
	.set _ZL41rocblas_syrkx_herkx_small_restrict_kernelIl19rocblas_complex_numIfELi16ELb1ELb0ELc84ELc76EKS1_S1_EviT_T0_PT6_S3_lS6_S3_lS4_PT7_S3_li.uses_vcc, 1
	.set _ZL41rocblas_syrkx_herkx_small_restrict_kernelIl19rocblas_complex_numIfELi16ELb1ELb0ELc84ELc76EKS1_S1_EviT_T0_PT6_S3_lS6_S3_lS4_PT7_S3_li.uses_flat_scratch, 0
	.set _ZL41rocblas_syrkx_herkx_small_restrict_kernelIl19rocblas_complex_numIfELi16ELb1ELb0ELc84ELc76EKS1_S1_EviT_T0_PT6_S3_lS6_S3_lS4_PT7_S3_li.has_dyn_sized_stack, 0
	.set _ZL41rocblas_syrkx_herkx_small_restrict_kernelIl19rocblas_complex_numIfELi16ELb1ELb0ELc84ELc76EKS1_S1_EviT_T0_PT6_S3_lS6_S3_lS4_PT7_S3_li.has_recursion, 0
	.set _ZL41rocblas_syrkx_herkx_small_restrict_kernelIl19rocblas_complex_numIfELi16ELb1ELb0ELc84ELc76EKS1_S1_EviT_T0_PT6_S3_lS6_S3_lS4_PT7_S3_li.has_indirect_call, 0
	.section	.AMDGPU.csdata,"",@progbits
; Kernel info:
; codeLenInByte = 1172
; TotalNumSgprs: 32
; NumVgprs: 37
; ScratchSize: 0
; MemoryBound: 0
; FloatMode: 240
; IeeeMode: 1
; LDSByteSize: 4096 bytes/workgroup (compile time only)
; SGPRBlocks: 3
; VGPRBlocks: 9
; NumSGPRsForWavesPerEU: 32
; NumVGPRsForWavesPerEU: 37
; Occupancy: 6
; WaveLimiterHint : 0
; COMPUTE_PGM_RSRC2:SCRATCH_EN: 0
; COMPUTE_PGM_RSRC2:USER_SGPR: 6
; COMPUTE_PGM_RSRC2:TRAP_HANDLER: 0
; COMPUTE_PGM_RSRC2:TGID_X_EN: 1
; COMPUTE_PGM_RSRC2:TGID_Y_EN: 1
; COMPUTE_PGM_RSRC2:TGID_Z_EN: 1
; COMPUTE_PGM_RSRC2:TIDIG_COMP_CNT: 1
	.section	.text._ZL41rocblas_syrkx_herkx_small_restrict_kernelIl19rocblas_complex_numIfELi16ELb1ELb0ELc67ELc76EKS1_S1_EviT_T0_PT6_S3_lS6_S3_lS4_PT7_S3_li,"axG",@progbits,_ZL41rocblas_syrkx_herkx_small_restrict_kernelIl19rocblas_complex_numIfELi16ELb1ELb0ELc67ELc76EKS1_S1_EviT_T0_PT6_S3_lS6_S3_lS4_PT7_S3_li,comdat
	.globl	_ZL41rocblas_syrkx_herkx_small_restrict_kernelIl19rocblas_complex_numIfELi16ELb1ELb0ELc67ELc76EKS1_S1_EviT_T0_PT6_S3_lS6_S3_lS4_PT7_S3_li ; -- Begin function _ZL41rocblas_syrkx_herkx_small_restrict_kernelIl19rocblas_complex_numIfELi16ELb1ELb0ELc67ELc76EKS1_S1_EviT_T0_PT6_S3_lS6_S3_lS4_PT7_S3_li
	.p2align	8
	.type	_ZL41rocblas_syrkx_herkx_small_restrict_kernelIl19rocblas_complex_numIfELi16ELb1ELb0ELc67ELc76EKS1_S1_EviT_T0_PT6_S3_lS6_S3_lS4_PT7_S3_li,@function
_ZL41rocblas_syrkx_herkx_small_restrict_kernelIl19rocblas_complex_numIfELi16ELb1ELb0ELc67ELc76EKS1_S1_EviT_T0_PT6_S3_lS6_S3_lS4_PT7_S3_li: ; @_ZL41rocblas_syrkx_herkx_small_restrict_kernelIl19rocblas_complex_numIfELi16ELb1ELb0ELc67ELc76EKS1_S1_EviT_T0_PT6_S3_lS6_S3_lS4_PT7_S3_li
; %bb.0:
	s_load_dwordx16 s[12:27], s[4:5], 0x8
	v_lshl_add_u32 v2, s6, 4, v0
	v_lshl_add_u32 v8, s7, 4, v1
	v_ashrrev_i32_e32 v3, 31, v2
	v_ashrrev_i32_e32 v9, 31, v8
	s_waitcnt lgkmcnt(0)
	v_cmp_lt_i64_e64 s[0:1], s[12:13], 1
	s_and_b64 vcc, exec, s[0:1]
	s_cbranch_vccnz .LBB1117_6
; %bb.1:
	v_lshlrev_b32_e32 v10, 3, v0
	v_mul_lo_u32 v0, s25, v8
	v_mul_lo_u32 v7, s24, v9
	v_mad_u64_u32 v[4:5], s[0:1], s24, v8, 0
	s_mul_i32 s0, s27, s8
	s_mul_hi_u32 s1, s26, s8
	v_add3_u32 v5, v5, v7, v0
	v_lshlrev_b64 v[4:5], 3, v[4:5]
	s_add_i32 s1, s1, s0
	s_mul_i32 s0, s26, s8
	v_lshlrev_b32_e32 v6, 7, v1
	s_lshl_b64 s[0:1], s[0:1], 3
	v_add_u32_e32 v11, v10, v6
	v_add_u32_e32 v12, 0x800, v6
	v_mov_b32_e32 v0, s1
	v_add_co_u32_e32 v4, vcc, s0, v4
	v_mul_lo_u32 v15, s19, v2
	v_mul_lo_u32 v16, s18, v3
	v_mad_u64_u32 v[6:7], s[0:1], s18, v2, 0
	v_addc_co_u32_e32 v0, vcc, v5, v0, vcc
	v_add_co_u32_e32 v4, vcc, v4, v10
	v_addc_co_u32_e32 v0, vcc, 0, v0, vcc
	v_add3_u32 v7, v7, v16, v15
	s_mul_i32 s0, s21, s8
	s_mul_hi_u32 s1, s20, s8
	v_mov_b32_e32 v5, s23
	v_add_co_u32_e32 v4, vcc, s22, v4
	v_lshlrev_b64 v[6:7], 3, v[6:7]
	s_add_i32 s1, s1, s0
	s_mul_i32 s0, s20, s8
	v_addc_co_u32_e32 v5, vcc, v5, v0, vcc
	s_lshl_b64 s[0:1], s[0:1], 3
	v_mov_b32_e32 v0, s1
	v_add_co_u32_e32 v6, vcc, s0, v6
	v_addc_co_u32_e32 v0, vcc, v7, v0, vcc
	v_lshlrev_b32_e32 v1, 3, v1
	v_add_co_u32_e32 v1, vcc, v6, v1
	v_addc_co_u32_e32 v0, vcc, 0, v0, vcc
	v_mov_b32_e32 v6, s17
	v_add_co_u32_e32 v1, vcc, s16, v1
	v_addc_co_u32_e32 v6, vcc, v6, v0, vcc
	v_add_co_u32_e32 v0, vcc, 4, v1
	v_addc_co_u32_e32 v1, vcc, 0, v6, vcc
	v_mov_b32_e32 v6, s12
	v_add_u32_e32 v13, v12, v10
	v_mov_b32_e32 v14, 0
	s_mov_b64 s[0:1], 0
	v_mov_b32_e32 v7, s13
	v_mov_b32_e32 v15, 0
.LBB1117_2:                             ; =>This Inner Loop Header: Depth=1
	global_load_dwordx2 v[16:17], v[0:1], off offset:-4
	s_add_u32 s0, s0, 16
	s_addc_u32 s1, s1, 0
	s_waitcnt vmcnt(0)
	ds_write_b64 v11, v[16:17]
	global_load_dwordx2 v[16:17], v[4:5], off
	v_add_co_u32_e32 v4, vcc, 0x80, v4
	v_addc_co_u32_e32 v5, vcc, 0, v5, vcc
	v_add_co_u32_e32 v0, vcc, 0x80, v0
	v_addc_co_u32_e32 v1, vcc, 0, v1, vcc
	v_cmp_lt_i64_e32 vcc, s[0:1], v[6:7]
	s_and_b64 vcc, exec, vcc
	s_waitcnt vmcnt(0)
	ds_write_b64 v13, v[16:17]
	s_waitcnt lgkmcnt(0)
	s_barrier
	ds_read2_b64 v[16:19], v10 offset1:16
	ds_read_b128 v[20:23], v12
	ds_read_b128 v[24:27], v12 offset:16
	ds_read_b128 v[28:31], v12 offset:32
	;; [unrolled: 1-line block ×3, first 2 shown]
	s_waitcnt lgkmcnt(3)
	v_mul_f32_e32 v36, v21, v17
	v_mul_f32_e32 v17, v20, v17
	v_fmac_f32_e32 v17, v21, v16
	v_fma_f32 v36, v20, v16, -v36
	v_add_f32_e32 v14, v14, v17
	v_mul_f32_e32 v16, v23, v19
	v_mul_f32_e32 v17, v22, v19
	v_add_f32_e32 v15, v15, v36
	v_fma_f32 v16, v22, v18, -v16
	v_fmac_f32_e32 v17, v23, v18
	v_add_f32_e32 v18, v15, v16
	v_add_f32_e32 v19, v14, v17
	ds_read2_b64 v[14:17], v10 offset0:32 offset1:48
	s_waitcnt lgkmcnt(0)
	v_mul_f32_e32 v20, v25, v15
	v_fma_f32 v20, v24, v14, -v20
	v_mul_f32_e32 v15, v24, v15
	v_fmac_f32_e32 v15, v25, v14
	v_add_f32_e32 v14, v18, v20
	v_mul_f32_e32 v18, v27, v17
	v_mul_f32_e32 v17, v26, v17
	v_add_f32_e32 v15, v19, v15
	v_fma_f32 v18, v26, v16, -v18
	v_fmac_f32_e32 v17, v27, v16
	v_add_f32_e32 v18, v14, v18
	v_add_f32_e32 v19, v15, v17
	ds_read2_b64 v[14:17], v10 offset0:64 offset1:80
	s_waitcnt lgkmcnt(0)
	v_mul_f32_e32 v20, v29, v15
	v_fma_f32 v20, v28, v14, -v20
	v_mul_f32_e32 v15, v28, v15
	v_fmac_f32_e32 v15, v29, v14
	;; [unrolled: 14-line block ×3, first 2 shown]
	v_add_f32_e32 v14, v18, v20
	v_mul_f32_e32 v18, v35, v17
	v_mul_f32_e32 v17, v34, v17
	v_add_f32_e32 v15, v19, v15
	v_fma_f32 v18, v34, v16, -v18
	v_fmac_f32_e32 v17, v35, v16
	v_add_f32_e32 v22, v14, v18
	v_add_f32_e32 v23, v15, v17
	ds_read2_b64 v[14:17], v10 offset0:128 offset1:144
	ds_read_b128 v[18:21], v12 offset:64
	s_waitcnt lgkmcnt(0)
	v_mul_f32_e32 v24, v19, v15
	v_mul_f32_e32 v15, v18, v15
	v_fma_f32 v24, v18, v14, -v24
	v_fmac_f32_e32 v15, v19, v14
	v_mul_f32_e32 v18, v21, v17
	v_mul_f32_e32 v17, v20, v17
	v_add_f32_e32 v14, v22, v24
	v_add_f32_e32 v15, v23, v15
	v_fma_f32 v18, v20, v16, -v18
	v_fmac_f32_e32 v17, v21, v16
	v_add_f32_e32 v22, v14, v18
	v_add_f32_e32 v23, v15, v17
	ds_read2_b64 v[14:17], v10 offset0:160 offset1:176
	ds_read_b128 v[18:21], v12 offset:80
	s_waitcnt lgkmcnt(0)
	v_mul_f32_e32 v24, v19, v15
	v_mul_f32_e32 v15, v18, v15
	v_fma_f32 v24, v18, v14, -v24
	v_fmac_f32_e32 v15, v19, v14
	v_mul_f32_e32 v18, v21, v17
	v_mul_f32_e32 v17, v20, v17
	v_add_f32_e32 v14, v22, v24
	;; [unrolled: 15-line block ×3, first 2 shown]
	v_add_f32_e32 v15, v23, v15
	v_fma_f32 v18, v20, v16, -v18
	v_fmac_f32_e32 v17, v21, v16
	v_add_f32_e32 v22, v14, v18
	v_add_f32_e32 v23, v15, v17
	ds_read2_b64 v[14:17], v10 offset0:224 offset1:240
	ds_read_b128 v[18:21], v12 offset:112
	s_waitcnt lgkmcnt(0)
	s_barrier
	v_mul_f32_e32 v24, v19, v15
	v_mul_f32_e32 v15, v18, v15
	v_fmac_f32_e32 v15, v19, v14
	v_fma_f32 v24, v18, v14, -v24
	v_add_f32_e32 v18, v23, v15
	v_mul_f32_e32 v15, v21, v17
	v_mul_f32_e32 v17, v20, v17
	v_add_f32_e32 v14, v22, v24
	v_fma_f32 v15, v20, v16, -v15
	v_fmac_f32_e32 v17, v21, v16
	v_add_f32_e32 v15, v14, v15
	v_add_f32_e32 v14, v18, v17
	s_cbranch_vccnz .LBB1117_2
; %bb.3:
	v_cmp_le_i32_e32 vcc, v8, v2
	s_and_saveexec_b64 s[0:1], vcc
	s_cbranch_execz .LBB1117_5
.LBB1117_4:
	s_load_dwordx2 s[6:7], s[4:5], 0x60
	s_load_dwordx4 s[0:3], s[4:5], 0x50
	v_mul_f32_e32 v4, s15, v14
	v_mul_f32_e32 v5, s14, v14
	v_fma_f32 v4, v15, s14, -v4
	s_waitcnt lgkmcnt(0)
	s_mul_i32 s5, s7, s8
	s_mul_hi_u32 s7, s6, s8
	s_mul_i32 s4, s6, s8
	s_add_i32 s5, s7, s5
	s_lshl_b64 s[4:5], s[4:5], 3
	s_add_u32 s4, s0, s4
	s_addc_u32 s5, s1, s5
	v_mul_lo_u32 v6, s3, v8
	v_mul_lo_u32 v7, s2, v9
	v_mad_u64_u32 v[0:1], s[0:1], s2, v8, 0
	v_fmac_f32_e32 v5, s15, v15
	v_add3_u32 v1, v1, v7, v6
	v_lshlrev_b64 v[0:1], 3, v[0:1]
	v_mov_b32_e32 v6, s5
	v_add_co_u32_e32 v7, vcc, s4, v0
	v_addc_co_u32_e32 v6, vcc, v6, v1, vcc
	v_lshlrev_b64 v[0:1], 3, v[2:3]
	v_add_co_u32_e32 v0, vcc, v7, v0
	v_addc_co_u32_e32 v1, vcc, v6, v1, vcc
	global_store_dwordx2 v[0:1], v[4:5], off
.LBB1117_5:
	s_endpgm
.LBB1117_6:
	v_mov_b32_e32 v14, 0
	v_mov_b32_e32 v15, 0
	v_cmp_le_i32_e32 vcc, v8, v2
	s_and_saveexec_b64 s[0:1], vcc
	s_cbranch_execnz .LBB1117_4
	s_branch .LBB1117_5
	.section	.rodata,"a",@progbits
	.p2align	6, 0x0
	.amdhsa_kernel _ZL41rocblas_syrkx_herkx_small_restrict_kernelIl19rocblas_complex_numIfELi16ELb1ELb0ELc67ELc76EKS1_S1_EviT_T0_PT6_S3_lS6_S3_lS4_PT7_S3_li
		.amdhsa_group_segment_fixed_size 4096
		.amdhsa_private_segment_fixed_size 0
		.amdhsa_kernarg_size 108
		.amdhsa_user_sgpr_count 6
		.amdhsa_user_sgpr_private_segment_buffer 1
		.amdhsa_user_sgpr_dispatch_ptr 0
		.amdhsa_user_sgpr_queue_ptr 0
		.amdhsa_user_sgpr_kernarg_segment_ptr 1
		.amdhsa_user_sgpr_dispatch_id 0
		.amdhsa_user_sgpr_flat_scratch_init 0
		.amdhsa_user_sgpr_private_segment_size 0
		.amdhsa_uses_dynamic_stack 0
		.amdhsa_system_sgpr_private_segment_wavefront_offset 0
		.amdhsa_system_sgpr_workgroup_id_x 1
		.amdhsa_system_sgpr_workgroup_id_y 1
		.amdhsa_system_sgpr_workgroup_id_z 1
		.amdhsa_system_sgpr_workgroup_info 0
		.amdhsa_system_vgpr_workitem_id 1
		.amdhsa_next_free_vgpr 37
		.amdhsa_next_free_sgpr 28
		.amdhsa_reserve_vcc 1
		.amdhsa_reserve_flat_scratch 0
		.amdhsa_float_round_mode_32 0
		.amdhsa_float_round_mode_16_64 0
		.amdhsa_float_denorm_mode_32 3
		.amdhsa_float_denorm_mode_16_64 3
		.amdhsa_dx10_clamp 1
		.amdhsa_ieee_mode 1
		.amdhsa_fp16_overflow 0
		.amdhsa_exception_fp_ieee_invalid_op 0
		.amdhsa_exception_fp_denorm_src 0
		.amdhsa_exception_fp_ieee_div_zero 0
		.amdhsa_exception_fp_ieee_overflow 0
		.amdhsa_exception_fp_ieee_underflow 0
		.amdhsa_exception_fp_ieee_inexact 0
		.amdhsa_exception_int_div_zero 0
	.end_amdhsa_kernel
	.section	.text._ZL41rocblas_syrkx_herkx_small_restrict_kernelIl19rocblas_complex_numIfELi16ELb1ELb0ELc67ELc76EKS1_S1_EviT_T0_PT6_S3_lS6_S3_lS4_PT7_S3_li,"axG",@progbits,_ZL41rocblas_syrkx_herkx_small_restrict_kernelIl19rocblas_complex_numIfELi16ELb1ELb0ELc67ELc76EKS1_S1_EviT_T0_PT6_S3_lS6_S3_lS4_PT7_S3_li,comdat
.Lfunc_end1117:
	.size	_ZL41rocblas_syrkx_herkx_small_restrict_kernelIl19rocblas_complex_numIfELi16ELb1ELb0ELc67ELc76EKS1_S1_EviT_T0_PT6_S3_lS6_S3_lS4_PT7_S3_li, .Lfunc_end1117-_ZL41rocblas_syrkx_herkx_small_restrict_kernelIl19rocblas_complex_numIfELi16ELb1ELb0ELc67ELc76EKS1_S1_EviT_T0_PT6_S3_lS6_S3_lS4_PT7_S3_li
                                        ; -- End function
	.set _ZL41rocblas_syrkx_herkx_small_restrict_kernelIl19rocblas_complex_numIfELi16ELb1ELb0ELc67ELc76EKS1_S1_EviT_T0_PT6_S3_lS6_S3_lS4_PT7_S3_li.num_vgpr, 37
	.set _ZL41rocblas_syrkx_herkx_small_restrict_kernelIl19rocblas_complex_numIfELi16ELb1ELb0ELc67ELc76EKS1_S1_EviT_T0_PT6_S3_lS6_S3_lS4_PT7_S3_li.num_agpr, 0
	.set _ZL41rocblas_syrkx_herkx_small_restrict_kernelIl19rocblas_complex_numIfELi16ELb1ELb0ELc67ELc76EKS1_S1_EviT_T0_PT6_S3_lS6_S3_lS4_PT7_S3_li.numbered_sgpr, 28
	.set _ZL41rocblas_syrkx_herkx_small_restrict_kernelIl19rocblas_complex_numIfELi16ELb1ELb0ELc67ELc76EKS1_S1_EviT_T0_PT6_S3_lS6_S3_lS4_PT7_S3_li.num_named_barrier, 0
	.set _ZL41rocblas_syrkx_herkx_small_restrict_kernelIl19rocblas_complex_numIfELi16ELb1ELb0ELc67ELc76EKS1_S1_EviT_T0_PT6_S3_lS6_S3_lS4_PT7_S3_li.private_seg_size, 0
	.set _ZL41rocblas_syrkx_herkx_small_restrict_kernelIl19rocblas_complex_numIfELi16ELb1ELb0ELc67ELc76EKS1_S1_EviT_T0_PT6_S3_lS6_S3_lS4_PT7_S3_li.uses_vcc, 1
	.set _ZL41rocblas_syrkx_herkx_small_restrict_kernelIl19rocblas_complex_numIfELi16ELb1ELb0ELc67ELc76EKS1_S1_EviT_T0_PT6_S3_lS6_S3_lS4_PT7_S3_li.uses_flat_scratch, 0
	.set _ZL41rocblas_syrkx_herkx_small_restrict_kernelIl19rocblas_complex_numIfELi16ELb1ELb0ELc67ELc76EKS1_S1_EviT_T0_PT6_S3_lS6_S3_lS4_PT7_S3_li.has_dyn_sized_stack, 0
	.set _ZL41rocblas_syrkx_herkx_small_restrict_kernelIl19rocblas_complex_numIfELi16ELb1ELb0ELc67ELc76EKS1_S1_EviT_T0_PT6_S3_lS6_S3_lS4_PT7_S3_li.has_recursion, 0
	.set _ZL41rocblas_syrkx_herkx_small_restrict_kernelIl19rocblas_complex_numIfELi16ELb1ELb0ELc67ELc76EKS1_S1_EviT_T0_PT6_S3_lS6_S3_lS4_PT7_S3_li.has_indirect_call, 0
	.section	.AMDGPU.csdata,"",@progbits
; Kernel info:
; codeLenInByte = 1180
; TotalNumSgprs: 32
; NumVgprs: 37
; ScratchSize: 0
; MemoryBound: 0
; FloatMode: 240
; IeeeMode: 1
; LDSByteSize: 4096 bytes/workgroup (compile time only)
; SGPRBlocks: 3
; VGPRBlocks: 9
; NumSGPRsForWavesPerEU: 32
; NumVGPRsForWavesPerEU: 37
; Occupancy: 6
; WaveLimiterHint : 0
; COMPUTE_PGM_RSRC2:SCRATCH_EN: 0
; COMPUTE_PGM_RSRC2:USER_SGPR: 6
; COMPUTE_PGM_RSRC2:TRAP_HANDLER: 0
; COMPUTE_PGM_RSRC2:TGID_X_EN: 1
; COMPUTE_PGM_RSRC2:TGID_Y_EN: 1
; COMPUTE_PGM_RSRC2:TGID_Z_EN: 1
; COMPUTE_PGM_RSRC2:TIDIG_COMP_CNT: 1
	.section	.text._ZL41rocblas_syrkx_herkx_small_restrict_kernelIl19rocblas_complex_numIfELi16ELb1ELb0ELc78ELc76EKS1_S1_EviT_T0_PT6_S3_lS6_S3_lS4_PT7_S3_li,"axG",@progbits,_ZL41rocblas_syrkx_herkx_small_restrict_kernelIl19rocblas_complex_numIfELi16ELb1ELb0ELc78ELc76EKS1_S1_EviT_T0_PT6_S3_lS6_S3_lS4_PT7_S3_li,comdat
	.globl	_ZL41rocblas_syrkx_herkx_small_restrict_kernelIl19rocblas_complex_numIfELi16ELb1ELb0ELc78ELc76EKS1_S1_EviT_T0_PT6_S3_lS6_S3_lS4_PT7_S3_li ; -- Begin function _ZL41rocblas_syrkx_herkx_small_restrict_kernelIl19rocblas_complex_numIfELi16ELb1ELb0ELc78ELc76EKS1_S1_EviT_T0_PT6_S3_lS6_S3_lS4_PT7_S3_li
	.p2align	8
	.type	_ZL41rocblas_syrkx_herkx_small_restrict_kernelIl19rocblas_complex_numIfELi16ELb1ELb0ELc78ELc76EKS1_S1_EviT_T0_PT6_S3_lS6_S3_lS4_PT7_S3_li,@function
_ZL41rocblas_syrkx_herkx_small_restrict_kernelIl19rocblas_complex_numIfELi16ELb1ELb0ELc78ELc76EKS1_S1_EviT_T0_PT6_S3_lS6_S3_lS4_PT7_S3_li: ; @_ZL41rocblas_syrkx_herkx_small_restrict_kernelIl19rocblas_complex_numIfELi16ELb1ELb0ELc78ELc76EKS1_S1_EviT_T0_PT6_S3_lS6_S3_lS4_PT7_S3_li
; %bb.0:
	s_load_dwordx16 s[12:27], s[4:5], 0x8
	v_lshl_add_u32 v2, s6, 4, v0
	v_lshl_add_u32 v4, s7, 4, v1
	v_ashrrev_i32_e32 v3, 31, v2
	v_ashrrev_i32_e32 v5, 31, v4
	s_waitcnt lgkmcnt(0)
	v_cmp_lt_i64_e64 s[0:1], s[12:13], 1
	s_and_b64 vcc, exec, s[0:1]
	s_cbranch_vccnz .LBB1118_6
; %bb.1:
	v_lshlrev_b32_e32 v6, 7, v1
	v_lshlrev_b32_e32 v10, 3, v0
	v_add_u32_e32 v11, v10, v6
	v_add_u32_e32 v12, 0x800, v6
	v_mad_u64_u32 v[6:7], s[0:1], s24, v0, 0
	s_mul_i32 s2, s27, s8
	s_mul_hi_u32 s3, s26, s8
	v_mad_u64_u32 v[7:8], s[0:1], s25, v0, v[7:8]
	s_add_i32 s1, s3, s2
	s_mul_i32 s0, s26, s8
	v_lshlrev_b64 v[6:7], 3, v[6:7]
	s_lshl_b64 s[0:1], s[0:1], 3
	v_mov_b32_e32 v0, s1
	v_add_co_u32_e32 v8, vcc, s0, v6
	v_addc_co_u32_e32 v0, vcc, v0, v7, vcc
	v_lshlrev_b64 v[6:7], 3, v[4:5]
	s_mul_i32 s6, s21, s8
	v_add_co_u32_e32 v6, vcc, v8, v6
	v_addc_co_u32_e32 v0, vcc, v0, v7, vcc
	v_mad_u64_u32 v[8:9], s[0:1], s18, v1, 0
	v_mov_b32_e32 v7, s23
	v_add_co_u32_e32 v6, vcc, s22, v6
	v_addc_co_u32_e32 v0, vcc, v7, v0, vcc
	v_add_co_u32_e32 v6, vcc, 4, v6
	v_addc_co_u32_e32 v7, vcc, 0, v0, vcc
	v_mov_b32_e32 v0, v9
	v_mad_u64_u32 v[0:1], s[2:3], s19, v1, v[0:1]
	s_mul_hi_u32 s7, s20, s8
	s_add_i32 s3, s7, s6
	v_mov_b32_e32 v9, v0
	s_mul_i32 s2, s20, s8
	v_lshlrev_b64 v[0:1], 3, v[8:9]
	s_lshl_b64 s[2:3], s[2:3], 3
	v_mov_b32_e32 v8, s3
	v_add_co_u32_e32 v9, vcc, s2, v0
	v_addc_co_u32_e32 v8, vcc, v8, v1, vcc
	v_lshlrev_b64 v[0:1], 3, v[2:3]
	s_lshl_b64 s[0:1], s[24:25], 7
	v_add_co_u32_e32 v0, vcc, v9, v0
	v_addc_co_u32_e32 v1, vcc, v8, v1, vcc
	v_mov_b32_e32 v8, s17
	v_add_co_u32_e32 v0, vcc, s16, v0
	v_addc_co_u32_e32 v1, vcc, v8, v1, vcc
	s_lshl_b64 s[2:3], s[18:19], 7
	v_mov_b32_e32 v8, s12
	v_add_u32_e32 v13, v12, v10
	v_mov_b32_e32 v16, 0
	s_mov_b64 s[6:7], 0
	v_mov_b32_e32 v14, s1
	v_mov_b32_e32 v15, s3
	;; [unrolled: 1-line block ×4, first 2 shown]
.LBB1118_2:                             ; =>This Inner Loop Header: Depth=1
	global_load_dwordx2 v[18:19], v[0:1], off
	s_add_u32 s6, s6, 16
	s_addc_u32 s7, s7, 0
	s_waitcnt vmcnt(0)
	ds_write_b64 v11, v[18:19]
	global_load_dwordx2 v[18:19], v[6:7], off offset:-4
	v_add_co_u32_e32 v6, vcc, s0, v6
	v_addc_co_u32_e32 v7, vcc, v7, v14, vcc
	v_add_co_u32_e32 v0, vcc, s2, v0
	v_addc_co_u32_e32 v1, vcc, v1, v15, vcc
	v_cmp_lt_i64_e32 vcc, s[6:7], v[8:9]
	s_and_b64 vcc, exec, vcc
	s_waitcnt vmcnt(0)
	ds_write_b64 v13, v[18:19]
	s_waitcnt lgkmcnt(0)
	s_barrier
	ds_read2_b64 v[18:21], v10 offset1:16
	ds_read_b128 v[22:25], v12
	ds_read_b128 v[26:29], v12 offset:16
	ds_read_b128 v[30:33], v12 offset:32
	;; [unrolled: 1-line block ×3, first 2 shown]
	s_waitcnt lgkmcnt(3)
	v_mul_f32_e32 v38, v23, v19
	v_mul_f32_e32 v19, v22, v19
	v_fmac_f32_e32 v19, v23, v18
	v_fma_f32 v38, v22, v18, -v38
	v_add_f32_e32 v16, v16, v19
	v_mul_f32_e32 v18, v25, v21
	v_mul_f32_e32 v19, v24, v21
	v_add_f32_e32 v17, v17, v38
	v_fma_f32 v18, v24, v20, -v18
	v_fmac_f32_e32 v19, v25, v20
	v_add_f32_e32 v20, v17, v18
	v_add_f32_e32 v21, v16, v19
	ds_read2_b64 v[16:19], v10 offset0:32 offset1:48
	s_waitcnt lgkmcnt(0)
	v_mul_f32_e32 v22, v27, v17
	v_fma_f32 v22, v26, v16, -v22
	v_mul_f32_e32 v17, v26, v17
	v_fmac_f32_e32 v17, v27, v16
	v_add_f32_e32 v16, v20, v22
	v_mul_f32_e32 v20, v29, v19
	v_mul_f32_e32 v19, v28, v19
	v_add_f32_e32 v17, v21, v17
	v_fma_f32 v20, v28, v18, -v20
	v_fmac_f32_e32 v19, v29, v18
	v_add_f32_e32 v20, v16, v20
	v_add_f32_e32 v21, v17, v19
	ds_read2_b64 v[16:19], v10 offset0:64 offset1:80
	s_waitcnt lgkmcnt(0)
	v_mul_f32_e32 v22, v31, v17
	v_fma_f32 v22, v30, v16, -v22
	v_mul_f32_e32 v17, v30, v17
	v_fmac_f32_e32 v17, v31, v16
	v_add_f32_e32 v16, v20, v22
	v_mul_f32_e32 v20, v33, v19
	v_mul_f32_e32 v19, v32, v19
	v_add_f32_e32 v17, v21, v17
	v_fma_f32 v20, v32, v18, -v20
	v_fmac_f32_e32 v19, v33, v18
	v_add_f32_e32 v20, v16, v20
	v_add_f32_e32 v21, v17, v19
	ds_read2_b64 v[16:19], v10 offset0:96 offset1:112
	s_waitcnt lgkmcnt(0)
	v_mul_f32_e32 v22, v35, v17
	v_fma_f32 v22, v34, v16, -v22
	v_mul_f32_e32 v17, v34, v17
	v_fmac_f32_e32 v17, v35, v16
	v_add_f32_e32 v16, v20, v22
	v_mul_f32_e32 v20, v37, v19
	v_mul_f32_e32 v19, v36, v19
	v_add_f32_e32 v17, v21, v17
	v_fma_f32 v20, v36, v18, -v20
	v_fmac_f32_e32 v19, v37, v18
	v_add_f32_e32 v24, v16, v20
	v_add_f32_e32 v25, v17, v19
	ds_read2_b64 v[16:19], v10 offset0:128 offset1:144
	ds_read_b128 v[20:23], v12 offset:64
	s_waitcnt lgkmcnt(0)
	v_mul_f32_e32 v26, v21, v17
	v_mul_f32_e32 v17, v20, v17
	v_fma_f32 v26, v20, v16, -v26
	v_fmac_f32_e32 v17, v21, v16
	v_mul_f32_e32 v20, v23, v19
	v_mul_f32_e32 v19, v22, v19
	v_add_f32_e32 v16, v24, v26
	v_add_f32_e32 v17, v25, v17
	v_fma_f32 v20, v22, v18, -v20
	v_fmac_f32_e32 v19, v23, v18
	v_add_f32_e32 v24, v16, v20
	v_add_f32_e32 v25, v17, v19
	ds_read2_b64 v[16:19], v10 offset0:160 offset1:176
	ds_read_b128 v[20:23], v12 offset:80
	s_waitcnt lgkmcnt(0)
	v_mul_f32_e32 v26, v21, v17
	v_mul_f32_e32 v17, v20, v17
	v_fma_f32 v26, v20, v16, -v26
	v_fmac_f32_e32 v17, v21, v16
	v_mul_f32_e32 v20, v23, v19
	v_mul_f32_e32 v19, v22, v19
	v_add_f32_e32 v16, v24, v26
	;; [unrolled: 15-line block ×3, first 2 shown]
	v_add_f32_e32 v17, v25, v17
	v_fma_f32 v20, v22, v18, -v20
	v_fmac_f32_e32 v19, v23, v18
	v_add_f32_e32 v24, v16, v20
	v_add_f32_e32 v25, v17, v19
	ds_read2_b64 v[16:19], v10 offset0:224 offset1:240
	ds_read_b128 v[20:23], v12 offset:112
	s_waitcnt lgkmcnt(0)
	s_barrier
	v_mul_f32_e32 v26, v21, v17
	v_mul_f32_e32 v17, v20, v17
	v_fmac_f32_e32 v17, v21, v16
	v_fma_f32 v26, v20, v16, -v26
	v_add_f32_e32 v20, v25, v17
	v_mul_f32_e32 v17, v23, v19
	v_mul_f32_e32 v19, v22, v19
	v_add_f32_e32 v16, v24, v26
	v_fma_f32 v17, v22, v18, -v17
	v_fmac_f32_e32 v19, v23, v18
	v_add_f32_e32 v17, v16, v17
	v_add_f32_e32 v16, v20, v19
	s_cbranch_vccnz .LBB1118_2
; %bb.3:
	v_cmp_le_i32_e32 vcc, v4, v2
	s_and_saveexec_b64 s[0:1], vcc
	s_cbranch_execz .LBB1118_5
.LBB1118_4:
	s_load_dwordx2 s[6:7], s[4:5], 0x60
	s_load_dwordx4 s[0:3], s[4:5], 0x50
	v_mul_f32_e32 v6, s15, v16
	s_waitcnt lgkmcnt(0)
	s_mul_i32 s5, s7, s8
	s_mul_hi_u32 s7, s6, s8
	s_mul_i32 s4, s6, s8
	s_add_i32 s5, s7, s5
	s_lshl_b64 s[4:5], s[4:5], 3
	s_add_u32 s4, s0, s4
	s_addc_u32 s5, s1, s5
	v_mul_lo_u32 v7, s3, v4
	v_mul_lo_u32 v8, s2, v5
	v_mad_u64_u32 v[0:1], s[0:1], s2, v4, 0
	v_fma_f32 v4, v17, s14, -v6
	v_mov_b32_e32 v6, s5
	v_add3_u32 v1, v1, v8, v7
	v_lshlrev_b64 v[0:1], 3, v[0:1]
	v_mul_f32_e32 v5, s14, v16
	v_add_co_u32_e32 v7, vcc, s4, v0
	v_addc_co_u32_e32 v6, vcc, v6, v1, vcc
	v_lshlrev_b64 v[0:1], 3, v[2:3]
	v_fmac_f32_e32 v5, s15, v17
	v_add_co_u32_e32 v0, vcc, v7, v0
	v_addc_co_u32_e32 v1, vcc, v6, v1, vcc
	global_store_dwordx2 v[0:1], v[4:5], off
.LBB1118_5:
	s_endpgm
.LBB1118_6:
	v_mov_b32_e32 v16, 0
	v_mov_b32_e32 v17, 0
	v_cmp_le_i32_e32 vcc, v4, v2
	s_and_saveexec_b64 s[0:1], vcc
	s_cbranch_execnz .LBB1118_4
	s_branch .LBB1118_5
	.section	.rodata,"a",@progbits
	.p2align	6, 0x0
	.amdhsa_kernel _ZL41rocblas_syrkx_herkx_small_restrict_kernelIl19rocblas_complex_numIfELi16ELb1ELb0ELc78ELc76EKS1_S1_EviT_T0_PT6_S3_lS6_S3_lS4_PT7_S3_li
		.amdhsa_group_segment_fixed_size 4096
		.amdhsa_private_segment_fixed_size 0
		.amdhsa_kernarg_size 108
		.amdhsa_user_sgpr_count 6
		.amdhsa_user_sgpr_private_segment_buffer 1
		.amdhsa_user_sgpr_dispatch_ptr 0
		.amdhsa_user_sgpr_queue_ptr 0
		.amdhsa_user_sgpr_kernarg_segment_ptr 1
		.amdhsa_user_sgpr_dispatch_id 0
		.amdhsa_user_sgpr_flat_scratch_init 0
		.amdhsa_user_sgpr_private_segment_size 0
		.amdhsa_uses_dynamic_stack 0
		.amdhsa_system_sgpr_private_segment_wavefront_offset 0
		.amdhsa_system_sgpr_workgroup_id_x 1
		.amdhsa_system_sgpr_workgroup_id_y 1
		.amdhsa_system_sgpr_workgroup_id_z 1
		.amdhsa_system_sgpr_workgroup_info 0
		.amdhsa_system_vgpr_workitem_id 1
		.amdhsa_next_free_vgpr 39
		.amdhsa_next_free_sgpr 28
		.amdhsa_reserve_vcc 1
		.amdhsa_reserve_flat_scratch 0
		.amdhsa_float_round_mode_32 0
		.amdhsa_float_round_mode_16_64 0
		.amdhsa_float_denorm_mode_32 3
		.amdhsa_float_denorm_mode_16_64 3
		.amdhsa_dx10_clamp 1
		.amdhsa_ieee_mode 1
		.amdhsa_fp16_overflow 0
		.amdhsa_exception_fp_ieee_invalid_op 0
		.amdhsa_exception_fp_denorm_src 0
		.amdhsa_exception_fp_ieee_div_zero 0
		.amdhsa_exception_fp_ieee_overflow 0
		.amdhsa_exception_fp_ieee_underflow 0
		.amdhsa_exception_fp_ieee_inexact 0
		.amdhsa_exception_int_div_zero 0
	.end_amdhsa_kernel
	.section	.text._ZL41rocblas_syrkx_herkx_small_restrict_kernelIl19rocblas_complex_numIfELi16ELb1ELb0ELc78ELc76EKS1_S1_EviT_T0_PT6_S3_lS6_S3_lS4_PT7_S3_li,"axG",@progbits,_ZL41rocblas_syrkx_herkx_small_restrict_kernelIl19rocblas_complex_numIfELi16ELb1ELb0ELc78ELc76EKS1_S1_EviT_T0_PT6_S3_lS6_S3_lS4_PT7_S3_li,comdat
.Lfunc_end1118:
	.size	_ZL41rocblas_syrkx_herkx_small_restrict_kernelIl19rocblas_complex_numIfELi16ELb1ELb0ELc78ELc76EKS1_S1_EviT_T0_PT6_S3_lS6_S3_lS4_PT7_S3_li, .Lfunc_end1118-_ZL41rocblas_syrkx_herkx_small_restrict_kernelIl19rocblas_complex_numIfELi16ELb1ELb0ELc78ELc76EKS1_S1_EviT_T0_PT6_S3_lS6_S3_lS4_PT7_S3_li
                                        ; -- End function
	.set _ZL41rocblas_syrkx_herkx_small_restrict_kernelIl19rocblas_complex_numIfELi16ELb1ELb0ELc78ELc76EKS1_S1_EviT_T0_PT6_S3_lS6_S3_lS4_PT7_S3_li.num_vgpr, 39
	.set _ZL41rocblas_syrkx_herkx_small_restrict_kernelIl19rocblas_complex_numIfELi16ELb1ELb0ELc78ELc76EKS1_S1_EviT_T0_PT6_S3_lS6_S3_lS4_PT7_S3_li.num_agpr, 0
	.set _ZL41rocblas_syrkx_herkx_small_restrict_kernelIl19rocblas_complex_numIfELi16ELb1ELb0ELc78ELc76EKS1_S1_EviT_T0_PT6_S3_lS6_S3_lS4_PT7_S3_li.numbered_sgpr, 28
	.set _ZL41rocblas_syrkx_herkx_small_restrict_kernelIl19rocblas_complex_numIfELi16ELb1ELb0ELc78ELc76EKS1_S1_EviT_T0_PT6_S3_lS6_S3_lS4_PT7_S3_li.num_named_barrier, 0
	.set _ZL41rocblas_syrkx_herkx_small_restrict_kernelIl19rocblas_complex_numIfELi16ELb1ELb0ELc78ELc76EKS1_S1_EviT_T0_PT6_S3_lS6_S3_lS4_PT7_S3_li.private_seg_size, 0
	.set _ZL41rocblas_syrkx_herkx_small_restrict_kernelIl19rocblas_complex_numIfELi16ELb1ELb0ELc78ELc76EKS1_S1_EviT_T0_PT6_S3_lS6_S3_lS4_PT7_S3_li.uses_vcc, 1
	.set _ZL41rocblas_syrkx_herkx_small_restrict_kernelIl19rocblas_complex_numIfELi16ELb1ELb0ELc78ELc76EKS1_S1_EviT_T0_PT6_S3_lS6_S3_lS4_PT7_S3_li.uses_flat_scratch, 0
	.set _ZL41rocblas_syrkx_herkx_small_restrict_kernelIl19rocblas_complex_numIfELi16ELb1ELb0ELc78ELc76EKS1_S1_EviT_T0_PT6_S3_lS6_S3_lS4_PT7_S3_li.has_dyn_sized_stack, 0
	.set _ZL41rocblas_syrkx_herkx_small_restrict_kernelIl19rocblas_complex_numIfELi16ELb1ELb0ELc78ELc76EKS1_S1_EviT_T0_PT6_S3_lS6_S3_lS4_PT7_S3_li.has_recursion, 0
	.set _ZL41rocblas_syrkx_herkx_small_restrict_kernelIl19rocblas_complex_numIfELi16ELb1ELb0ELc78ELc76EKS1_S1_EviT_T0_PT6_S3_lS6_S3_lS4_PT7_S3_li.has_indirect_call, 0
	.section	.AMDGPU.csdata,"",@progbits
; Kernel info:
; codeLenInByte = 1176
; TotalNumSgprs: 32
; NumVgprs: 39
; ScratchSize: 0
; MemoryBound: 0
; FloatMode: 240
; IeeeMode: 1
; LDSByteSize: 4096 bytes/workgroup (compile time only)
; SGPRBlocks: 3
; VGPRBlocks: 9
; NumSGPRsForWavesPerEU: 32
; NumVGPRsForWavesPerEU: 39
; Occupancy: 6
; WaveLimiterHint : 0
; COMPUTE_PGM_RSRC2:SCRATCH_EN: 0
; COMPUTE_PGM_RSRC2:USER_SGPR: 6
; COMPUTE_PGM_RSRC2:TRAP_HANDLER: 0
; COMPUTE_PGM_RSRC2:TGID_X_EN: 1
; COMPUTE_PGM_RSRC2:TGID_Y_EN: 1
; COMPUTE_PGM_RSRC2:TGID_Z_EN: 1
; COMPUTE_PGM_RSRC2:TIDIG_COMP_CNT: 1
	.section	.text._ZL41rocblas_syrkx_herkx_small_restrict_kernelIl19rocblas_complex_numIfELi16ELb1ELb0ELc84ELc85EKS1_S1_EviT_T0_PT6_S3_lS6_S3_lS4_PT7_S3_li,"axG",@progbits,_ZL41rocblas_syrkx_herkx_small_restrict_kernelIl19rocblas_complex_numIfELi16ELb1ELb0ELc84ELc85EKS1_S1_EviT_T0_PT6_S3_lS6_S3_lS4_PT7_S3_li,comdat
	.globl	_ZL41rocblas_syrkx_herkx_small_restrict_kernelIl19rocblas_complex_numIfELi16ELb1ELb0ELc84ELc85EKS1_S1_EviT_T0_PT6_S3_lS6_S3_lS4_PT7_S3_li ; -- Begin function _ZL41rocblas_syrkx_herkx_small_restrict_kernelIl19rocblas_complex_numIfELi16ELb1ELb0ELc84ELc85EKS1_S1_EviT_T0_PT6_S3_lS6_S3_lS4_PT7_S3_li
	.p2align	8
	.type	_ZL41rocblas_syrkx_herkx_small_restrict_kernelIl19rocblas_complex_numIfELi16ELb1ELb0ELc84ELc85EKS1_S1_EviT_T0_PT6_S3_lS6_S3_lS4_PT7_S3_li,@function
_ZL41rocblas_syrkx_herkx_small_restrict_kernelIl19rocblas_complex_numIfELi16ELb1ELb0ELc84ELc85EKS1_S1_EviT_T0_PT6_S3_lS6_S3_lS4_PT7_S3_li: ; @_ZL41rocblas_syrkx_herkx_small_restrict_kernelIl19rocblas_complex_numIfELi16ELb1ELb0ELc84ELc85EKS1_S1_EviT_T0_PT6_S3_lS6_S3_lS4_PT7_S3_li
; %bb.0:
	s_load_dwordx16 s[12:27], s[4:5], 0x8
	v_lshl_add_u32 v2, s6, 4, v0
	v_lshl_add_u32 v8, s7, 4, v1
	v_ashrrev_i32_e32 v3, 31, v2
	v_ashrrev_i32_e32 v9, 31, v8
	s_waitcnt lgkmcnt(0)
	v_cmp_lt_i64_e64 s[0:1], s[12:13], 1
	s_and_b64 vcc, exec, s[0:1]
	s_cbranch_vccnz .LBB1119_6
; %bb.1:
	v_lshlrev_b32_e32 v10, 3, v0
	v_mul_lo_u32 v0, s25, v8
	v_mul_lo_u32 v7, s24, v9
	v_mad_u64_u32 v[4:5], s[0:1], s24, v8, 0
	s_mul_i32 s0, s27, s8
	s_mul_hi_u32 s1, s26, s8
	v_add3_u32 v5, v5, v7, v0
	v_lshlrev_b64 v[4:5], 3, v[4:5]
	s_add_i32 s1, s1, s0
	s_mul_i32 s0, s26, s8
	v_lshlrev_b32_e32 v6, 7, v1
	s_lshl_b64 s[0:1], s[0:1], 3
	v_add_u32_e32 v11, v10, v6
	v_add_u32_e32 v12, 0x800, v6
	v_mov_b32_e32 v0, s1
	v_add_co_u32_e32 v4, vcc, s0, v4
	v_mul_lo_u32 v15, s19, v2
	v_mul_lo_u32 v16, s18, v3
	v_mad_u64_u32 v[6:7], s[0:1], s18, v2, 0
	v_addc_co_u32_e32 v0, vcc, v5, v0, vcc
	v_add_co_u32_e32 v4, vcc, v4, v10
	v_addc_co_u32_e32 v0, vcc, 0, v0, vcc
	v_add3_u32 v7, v7, v16, v15
	s_mul_i32 s0, s21, s8
	s_mul_hi_u32 s1, s20, s8
	v_mov_b32_e32 v5, s23
	v_add_co_u32_e32 v4, vcc, s22, v4
	v_lshlrev_b64 v[6:7], 3, v[6:7]
	s_add_i32 s1, s1, s0
	s_mul_i32 s0, s20, s8
	v_addc_co_u32_e32 v5, vcc, v5, v0, vcc
	s_lshl_b64 s[0:1], s[0:1], 3
	v_mov_b32_e32 v0, s1
	v_add_co_u32_e32 v6, vcc, s0, v6
	v_addc_co_u32_e32 v0, vcc, v7, v0, vcc
	v_lshlrev_b32_e32 v1, 3, v1
	v_add_co_u32_e32 v1, vcc, v6, v1
	v_addc_co_u32_e32 v6, vcc, 0, v0, vcc
	v_mov_b32_e32 v7, s17
	v_add_co_u32_e32 v0, vcc, s16, v1
	v_addc_co_u32_e32 v1, vcc, v7, v6, vcc
	v_mov_b32_e32 v6, s12
	v_add_u32_e32 v13, v12, v10
	v_mov_b32_e32 v14, 0
	s_mov_b64 s[0:1], 0
	v_mov_b32_e32 v7, s13
	v_mov_b32_e32 v15, 0
.LBB1119_2:                             ; =>This Inner Loop Header: Depth=1
	global_load_dwordx2 v[16:17], v[0:1], off
	s_add_u32 s0, s0, 16
	s_addc_u32 s1, s1, 0
	s_waitcnt vmcnt(0)
	ds_write_b64 v11, v[16:17]
	global_load_dwordx2 v[16:17], v[4:5], off
	v_add_co_u32_e32 v4, vcc, 0x80, v4
	v_addc_co_u32_e32 v5, vcc, 0, v5, vcc
	v_add_co_u32_e32 v0, vcc, 0x80, v0
	v_addc_co_u32_e32 v1, vcc, 0, v1, vcc
	v_cmp_lt_i64_e32 vcc, s[0:1], v[6:7]
	s_and_b64 vcc, exec, vcc
	s_waitcnt vmcnt(0)
	ds_write_b64 v13, v[16:17]
	s_waitcnt lgkmcnt(0)
	s_barrier
	ds_read2_b64 v[16:19], v10 offset1:16
	ds_read_b128 v[20:23], v12
	ds_read_b128 v[24:27], v12 offset:16
	ds_read_b128 v[28:31], v12 offset:32
	;; [unrolled: 1-line block ×3, first 2 shown]
	s_waitcnt lgkmcnt(3)
	v_mul_f32_e32 v36, v21, v17
	v_mul_f32_e32 v17, v20, v17
	v_fmac_f32_e32 v17, v21, v16
	v_fma_f32 v36, v20, v16, -v36
	v_add_f32_e32 v14, v14, v17
	v_mul_f32_e32 v16, v23, v19
	v_mul_f32_e32 v17, v22, v19
	v_add_f32_e32 v15, v15, v36
	v_fma_f32 v16, v22, v18, -v16
	v_fmac_f32_e32 v17, v23, v18
	v_add_f32_e32 v18, v15, v16
	v_add_f32_e32 v19, v14, v17
	ds_read2_b64 v[14:17], v10 offset0:32 offset1:48
	s_waitcnt lgkmcnt(0)
	v_mul_f32_e32 v20, v25, v15
	v_fma_f32 v20, v24, v14, -v20
	v_mul_f32_e32 v15, v24, v15
	v_fmac_f32_e32 v15, v25, v14
	v_add_f32_e32 v14, v18, v20
	v_mul_f32_e32 v18, v27, v17
	v_mul_f32_e32 v17, v26, v17
	v_add_f32_e32 v15, v19, v15
	v_fma_f32 v18, v26, v16, -v18
	v_fmac_f32_e32 v17, v27, v16
	v_add_f32_e32 v18, v14, v18
	v_add_f32_e32 v19, v15, v17
	ds_read2_b64 v[14:17], v10 offset0:64 offset1:80
	s_waitcnt lgkmcnt(0)
	v_mul_f32_e32 v20, v29, v15
	v_fma_f32 v20, v28, v14, -v20
	v_mul_f32_e32 v15, v28, v15
	v_fmac_f32_e32 v15, v29, v14
	v_add_f32_e32 v14, v18, v20
	v_mul_f32_e32 v18, v31, v17
	v_mul_f32_e32 v17, v30, v17
	v_add_f32_e32 v15, v19, v15
	v_fma_f32 v18, v30, v16, -v18
	v_fmac_f32_e32 v17, v31, v16
	v_add_f32_e32 v18, v14, v18
	v_add_f32_e32 v19, v15, v17
	ds_read2_b64 v[14:17], v10 offset0:96 offset1:112
	s_waitcnt lgkmcnt(0)
	v_mul_f32_e32 v20, v33, v15
	v_fma_f32 v20, v32, v14, -v20
	v_mul_f32_e32 v15, v32, v15
	v_fmac_f32_e32 v15, v33, v14
	v_add_f32_e32 v14, v18, v20
	v_mul_f32_e32 v18, v35, v17
	v_mul_f32_e32 v17, v34, v17
	v_add_f32_e32 v15, v19, v15
	v_fma_f32 v18, v34, v16, -v18
	v_fmac_f32_e32 v17, v35, v16
	v_add_f32_e32 v22, v14, v18
	v_add_f32_e32 v23, v15, v17
	ds_read2_b64 v[14:17], v10 offset0:128 offset1:144
	ds_read_b128 v[18:21], v12 offset:64
	s_waitcnt lgkmcnt(0)
	v_mul_f32_e32 v24, v19, v15
	v_mul_f32_e32 v15, v18, v15
	v_fma_f32 v24, v18, v14, -v24
	v_fmac_f32_e32 v15, v19, v14
	v_mul_f32_e32 v18, v21, v17
	v_mul_f32_e32 v17, v20, v17
	v_add_f32_e32 v14, v22, v24
	v_add_f32_e32 v15, v23, v15
	v_fma_f32 v18, v20, v16, -v18
	v_fmac_f32_e32 v17, v21, v16
	v_add_f32_e32 v22, v14, v18
	v_add_f32_e32 v23, v15, v17
	ds_read2_b64 v[14:17], v10 offset0:160 offset1:176
	ds_read_b128 v[18:21], v12 offset:80
	s_waitcnt lgkmcnt(0)
	v_mul_f32_e32 v24, v19, v15
	v_mul_f32_e32 v15, v18, v15
	v_fma_f32 v24, v18, v14, -v24
	v_fmac_f32_e32 v15, v19, v14
	v_mul_f32_e32 v18, v21, v17
	v_mul_f32_e32 v17, v20, v17
	v_add_f32_e32 v14, v22, v24
	;; [unrolled: 15-line block ×3, first 2 shown]
	v_add_f32_e32 v15, v23, v15
	v_fma_f32 v18, v20, v16, -v18
	v_fmac_f32_e32 v17, v21, v16
	v_add_f32_e32 v22, v14, v18
	v_add_f32_e32 v23, v15, v17
	ds_read2_b64 v[14:17], v10 offset0:224 offset1:240
	ds_read_b128 v[18:21], v12 offset:112
	s_waitcnt lgkmcnt(0)
	s_barrier
	v_mul_f32_e32 v24, v19, v15
	v_mul_f32_e32 v15, v18, v15
	v_fmac_f32_e32 v15, v19, v14
	v_fma_f32 v24, v18, v14, -v24
	v_add_f32_e32 v18, v23, v15
	v_mul_f32_e32 v15, v21, v17
	v_mul_f32_e32 v17, v20, v17
	v_add_f32_e32 v14, v22, v24
	v_fma_f32 v15, v20, v16, -v15
	v_fmac_f32_e32 v17, v21, v16
	v_add_f32_e32 v15, v14, v15
	v_add_f32_e32 v14, v18, v17
	s_cbranch_vccnz .LBB1119_2
; %bb.3:
	v_cmp_le_i32_e32 vcc, v2, v8
	s_and_saveexec_b64 s[0:1], vcc
	s_cbranch_execz .LBB1119_5
.LBB1119_4:
	s_load_dwordx2 s[6:7], s[4:5], 0x60
	s_load_dwordx4 s[0:3], s[4:5], 0x50
	v_mul_f32_e32 v4, s15, v14
	v_mul_f32_e32 v5, s14, v14
	v_fma_f32 v4, v15, s14, -v4
	s_waitcnt lgkmcnt(0)
	s_mul_i32 s5, s7, s8
	s_mul_hi_u32 s7, s6, s8
	s_mul_i32 s4, s6, s8
	s_add_i32 s5, s7, s5
	s_lshl_b64 s[4:5], s[4:5], 3
	s_add_u32 s4, s0, s4
	s_addc_u32 s5, s1, s5
	v_mul_lo_u32 v6, s3, v8
	v_mul_lo_u32 v7, s2, v9
	v_mad_u64_u32 v[0:1], s[0:1], s2, v8, 0
	v_fmac_f32_e32 v5, s15, v15
	v_add3_u32 v1, v1, v7, v6
	v_lshlrev_b64 v[0:1], 3, v[0:1]
	v_mov_b32_e32 v6, s5
	v_add_co_u32_e32 v7, vcc, s4, v0
	v_addc_co_u32_e32 v6, vcc, v6, v1, vcc
	v_lshlrev_b64 v[0:1], 3, v[2:3]
	v_add_co_u32_e32 v0, vcc, v7, v0
	v_addc_co_u32_e32 v1, vcc, v6, v1, vcc
	global_store_dwordx2 v[0:1], v[4:5], off
.LBB1119_5:
	s_endpgm
.LBB1119_6:
	v_mov_b32_e32 v14, 0
	v_mov_b32_e32 v15, 0
	v_cmp_le_i32_e32 vcc, v2, v8
	s_and_saveexec_b64 s[0:1], vcc
	s_cbranch_execnz .LBB1119_4
	s_branch .LBB1119_5
	.section	.rodata,"a",@progbits
	.p2align	6, 0x0
	.amdhsa_kernel _ZL41rocblas_syrkx_herkx_small_restrict_kernelIl19rocblas_complex_numIfELi16ELb1ELb0ELc84ELc85EKS1_S1_EviT_T0_PT6_S3_lS6_S3_lS4_PT7_S3_li
		.amdhsa_group_segment_fixed_size 4096
		.amdhsa_private_segment_fixed_size 0
		.amdhsa_kernarg_size 108
		.amdhsa_user_sgpr_count 6
		.amdhsa_user_sgpr_private_segment_buffer 1
		.amdhsa_user_sgpr_dispatch_ptr 0
		.amdhsa_user_sgpr_queue_ptr 0
		.amdhsa_user_sgpr_kernarg_segment_ptr 1
		.amdhsa_user_sgpr_dispatch_id 0
		.amdhsa_user_sgpr_flat_scratch_init 0
		.amdhsa_user_sgpr_private_segment_size 0
		.amdhsa_uses_dynamic_stack 0
		.amdhsa_system_sgpr_private_segment_wavefront_offset 0
		.amdhsa_system_sgpr_workgroup_id_x 1
		.amdhsa_system_sgpr_workgroup_id_y 1
		.amdhsa_system_sgpr_workgroup_id_z 1
		.amdhsa_system_sgpr_workgroup_info 0
		.amdhsa_system_vgpr_workitem_id 1
		.amdhsa_next_free_vgpr 37
		.amdhsa_next_free_sgpr 28
		.amdhsa_reserve_vcc 1
		.amdhsa_reserve_flat_scratch 0
		.amdhsa_float_round_mode_32 0
		.amdhsa_float_round_mode_16_64 0
		.amdhsa_float_denorm_mode_32 3
		.amdhsa_float_denorm_mode_16_64 3
		.amdhsa_dx10_clamp 1
		.amdhsa_ieee_mode 1
		.amdhsa_fp16_overflow 0
		.amdhsa_exception_fp_ieee_invalid_op 0
		.amdhsa_exception_fp_denorm_src 0
		.amdhsa_exception_fp_ieee_div_zero 0
		.amdhsa_exception_fp_ieee_overflow 0
		.amdhsa_exception_fp_ieee_underflow 0
		.amdhsa_exception_fp_ieee_inexact 0
		.amdhsa_exception_int_div_zero 0
	.end_amdhsa_kernel
	.section	.text._ZL41rocblas_syrkx_herkx_small_restrict_kernelIl19rocblas_complex_numIfELi16ELb1ELb0ELc84ELc85EKS1_S1_EviT_T0_PT6_S3_lS6_S3_lS4_PT7_S3_li,"axG",@progbits,_ZL41rocblas_syrkx_herkx_small_restrict_kernelIl19rocblas_complex_numIfELi16ELb1ELb0ELc84ELc85EKS1_S1_EviT_T0_PT6_S3_lS6_S3_lS4_PT7_S3_li,comdat
.Lfunc_end1119:
	.size	_ZL41rocblas_syrkx_herkx_small_restrict_kernelIl19rocblas_complex_numIfELi16ELb1ELb0ELc84ELc85EKS1_S1_EviT_T0_PT6_S3_lS6_S3_lS4_PT7_S3_li, .Lfunc_end1119-_ZL41rocblas_syrkx_herkx_small_restrict_kernelIl19rocblas_complex_numIfELi16ELb1ELb0ELc84ELc85EKS1_S1_EviT_T0_PT6_S3_lS6_S3_lS4_PT7_S3_li
                                        ; -- End function
	.set _ZL41rocblas_syrkx_herkx_small_restrict_kernelIl19rocblas_complex_numIfELi16ELb1ELb0ELc84ELc85EKS1_S1_EviT_T0_PT6_S3_lS6_S3_lS4_PT7_S3_li.num_vgpr, 37
	.set _ZL41rocblas_syrkx_herkx_small_restrict_kernelIl19rocblas_complex_numIfELi16ELb1ELb0ELc84ELc85EKS1_S1_EviT_T0_PT6_S3_lS6_S3_lS4_PT7_S3_li.num_agpr, 0
	.set _ZL41rocblas_syrkx_herkx_small_restrict_kernelIl19rocblas_complex_numIfELi16ELb1ELb0ELc84ELc85EKS1_S1_EviT_T0_PT6_S3_lS6_S3_lS4_PT7_S3_li.numbered_sgpr, 28
	.set _ZL41rocblas_syrkx_herkx_small_restrict_kernelIl19rocblas_complex_numIfELi16ELb1ELb0ELc84ELc85EKS1_S1_EviT_T0_PT6_S3_lS6_S3_lS4_PT7_S3_li.num_named_barrier, 0
	.set _ZL41rocblas_syrkx_herkx_small_restrict_kernelIl19rocblas_complex_numIfELi16ELb1ELb0ELc84ELc85EKS1_S1_EviT_T0_PT6_S3_lS6_S3_lS4_PT7_S3_li.private_seg_size, 0
	.set _ZL41rocblas_syrkx_herkx_small_restrict_kernelIl19rocblas_complex_numIfELi16ELb1ELb0ELc84ELc85EKS1_S1_EviT_T0_PT6_S3_lS6_S3_lS4_PT7_S3_li.uses_vcc, 1
	.set _ZL41rocblas_syrkx_herkx_small_restrict_kernelIl19rocblas_complex_numIfELi16ELb1ELb0ELc84ELc85EKS1_S1_EviT_T0_PT6_S3_lS6_S3_lS4_PT7_S3_li.uses_flat_scratch, 0
	.set _ZL41rocblas_syrkx_herkx_small_restrict_kernelIl19rocblas_complex_numIfELi16ELb1ELb0ELc84ELc85EKS1_S1_EviT_T0_PT6_S3_lS6_S3_lS4_PT7_S3_li.has_dyn_sized_stack, 0
	.set _ZL41rocblas_syrkx_herkx_small_restrict_kernelIl19rocblas_complex_numIfELi16ELb1ELb0ELc84ELc85EKS1_S1_EviT_T0_PT6_S3_lS6_S3_lS4_PT7_S3_li.has_recursion, 0
	.set _ZL41rocblas_syrkx_herkx_small_restrict_kernelIl19rocblas_complex_numIfELi16ELb1ELb0ELc84ELc85EKS1_S1_EviT_T0_PT6_S3_lS6_S3_lS4_PT7_S3_li.has_indirect_call, 0
	.section	.AMDGPU.csdata,"",@progbits
; Kernel info:
; codeLenInByte = 1172
; TotalNumSgprs: 32
; NumVgprs: 37
; ScratchSize: 0
; MemoryBound: 0
; FloatMode: 240
; IeeeMode: 1
; LDSByteSize: 4096 bytes/workgroup (compile time only)
; SGPRBlocks: 3
; VGPRBlocks: 9
; NumSGPRsForWavesPerEU: 32
; NumVGPRsForWavesPerEU: 37
; Occupancy: 6
; WaveLimiterHint : 0
; COMPUTE_PGM_RSRC2:SCRATCH_EN: 0
; COMPUTE_PGM_RSRC2:USER_SGPR: 6
; COMPUTE_PGM_RSRC2:TRAP_HANDLER: 0
; COMPUTE_PGM_RSRC2:TGID_X_EN: 1
; COMPUTE_PGM_RSRC2:TGID_Y_EN: 1
; COMPUTE_PGM_RSRC2:TGID_Z_EN: 1
; COMPUTE_PGM_RSRC2:TIDIG_COMP_CNT: 1
	.section	.text._ZL41rocblas_syrkx_herkx_small_restrict_kernelIl19rocblas_complex_numIfELi16ELb1ELb0ELc67ELc85EKS1_S1_EviT_T0_PT6_S3_lS6_S3_lS4_PT7_S3_li,"axG",@progbits,_ZL41rocblas_syrkx_herkx_small_restrict_kernelIl19rocblas_complex_numIfELi16ELb1ELb0ELc67ELc85EKS1_S1_EviT_T0_PT6_S3_lS6_S3_lS4_PT7_S3_li,comdat
	.globl	_ZL41rocblas_syrkx_herkx_small_restrict_kernelIl19rocblas_complex_numIfELi16ELb1ELb0ELc67ELc85EKS1_S1_EviT_T0_PT6_S3_lS6_S3_lS4_PT7_S3_li ; -- Begin function _ZL41rocblas_syrkx_herkx_small_restrict_kernelIl19rocblas_complex_numIfELi16ELb1ELb0ELc67ELc85EKS1_S1_EviT_T0_PT6_S3_lS6_S3_lS4_PT7_S3_li
	.p2align	8
	.type	_ZL41rocblas_syrkx_herkx_small_restrict_kernelIl19rocblas_complex_numIfELi16ELb1ELb0ELc67ELc85EKS1_S1_EviT_T0_PT6_S3_lS6_S3_lS4_PT7_S3_li,@function
_ZL41rocblas_syrkx_herkx_small_restrict_kernelIl19rocblas_complex_numIfELi16ELb1ELb0ELc67ELc85EKS1_S1_EviT_T0_PT6_S3_lS6_S3_lS4_PT7_S3_li: ; @_ZL41rocblas_syrkx_herkx_small_restrict_kernelIl19rocblas_complex_numIfELi16ELb1ELb0ELc67ELc85EKS1_S1_EviT_T0_PT6_S3_lS6_S3_lS4_PT7_S3_li
; %bb.0:
	s_load_dwordx16 s[12:27], s[4:5], 0x8
	v_lshl_add_u32 v2, s6, 4, v0
	v_lshl_add_u32 v8, s7, 4, v1
	v_ashrrev_i32_e32 v3, 31, v2
	v_ashrrev_i32_e32 v9, 31, v8
	s_waitcnt lgkmcnt(0)
	v_cmp_lt_i64_e64 s[0:1], s[12:13], 1
	s_and_b64 vcc, exec, s[0:1]
	s_cbranch_vccnz .LBB1120_6
; %bb.1:
	v_lshlrev_b32_e32 v10, 3, v0
	v_mul_lo_u32 v0, s25, v8
	v_mul_lo_u32 v7, s24, v9
	v_mad_u64_u32 v[4:5], s[0:1], s24, v8, 0
	s_mul_i32 s0, s27, s8
	s_mul_hi_u32 s1, s26, s8
	v_add3_u32 v5, v5, v7, v0
	v_lshlrev_b64 v[4:5], 3, v[4:5]
	s_add_i32 s1, s1, s0
	s_mul_i32 s0, s26, s8
	v_lshlrev_b32_e32 v6, 7, v1
	s_lshl_b64 s[0:1], s[0:1], 3
	v_add_u32_e32 v11, v10, v6
	v_add_u32_e32 v12, 0x800, v6
	v_mov_b32_e32 v0, s1
	v_add_co_u32_e32 v4, vcc, s0, v4
	v_mul_lo_u32 v15, s19, v2
	v_mul_lo_u32 v16, s18, v3
	v_mad_u64_u32 v[6:7], s[0:1], s18, v2, 0
	v_addc_co_u32_e32 v0, vcc, v5, v0, vcc
	v_add_co_u32_e32 v4, vcc, v4, v10
	v_addc_co_u32_e32 v0, vcc, 0, v0, vcc
	v_add3_u32 v7, v7, v16, v15
	s_mul_i32 s0, s21, s8
	s_mul_hi_u32 s1, s20, s8
	v_mov_b32_e32 v5, s23
	v_add_co_u32_e32 v4, vcc, s22, v4
	v_lshlrev_b64 v[6:7], 3, v[6:7]
	s_add_i32 s1, s1, s0
	s_mul_i32 s0, s20, s8
	v_addc_co_u32_e32 v5, vcc, v5, v0, vcc
	s_lshl_b64 s[0:1], s[0:1], 3
	v_mov_b32_e32 v0, s1
	v_add_co_u32_e32 v6, vcc, s0, v6
	v_addc_co_u32_e32 v0, vcc, v7, v0, vcc
	v_lshlrev_b32_e32 v1, 3, v1
	v_add_co_u32_e32 v1, vcc, v6, v1
	v_addc_co_u32_e32 v0, vcc, 0, v0, vcc
	v_mov_b32_e32 v6, s17
	v_add_co_u32_e32 v1, vcc, s16, v1
	v_addc_co_u32_e32 v6, vcc, v6, v0, vcc
	v_add_co_u32_e32 v0, vcc, 4, v1
	v_addc_co_u32_e32 v1, vcc, 0, v6, vcc
	v_mov_b32_e32 v6, s12
	v_add_u32_e32 v13, v12, v10
	v_mov_b32_e32 v14, 0
	s_mov_b64 s[0:1], 0
	v_mov_b32_e32 v7, s13
	v_mov_b32_e32 v15, 0
.LBB1120_2:                             ; =>This Inner Loop Header: Depth=1
	global_load_dwordx2 v[16:17], v[0:1], off offset:-4
	s_add_u32 s0, s0, 16
	s_addc_u32 s1, s1, 0
	s_waitcnt vmcnt(0)
	ds_write_b64 v11, v[16:17]
	global_load_dwordx2 v[16:17], v[4:5], off
	v_add_co_u32_e32 v4, vcc, 0x80, v4
	v_addc_co_u32_e32 v5, vcc, 0, v5, vcc
	v_add_co_u32_e32 v0, vcc, 0x80, v0
	v_addc_co_u32_e32 v1, vcc, 0, v1, vcc
	v_cmp_lt_i64_e32 vcc, s[0:1], v[6:7]
	s_and_b64 vcc, exec, vcc
	s_waitcnt vmcnt(0)
	ds_write_b64 v13, v[16:17]
	s_waitcnt lgkmcnt(0)
	s_barrier
	ds_read2_b64 v[16:19], v10 offset1:16
	ds_read_b128 v[20:23], v12
	ds_read_b128 v[24:27], v12 offset:16
	ds_read_b128 v[28:31], v12 offset:32
	;; [unrolled: 1-line block ×3, first 2 shown]
	s_waitcnt lgkmcnt(3)
	v_mul_f32_e32 v36, v21, v17
	v_mul_f32_e32 v17, v20, v17
	v_fmac_f32_e32 v17, v21, v16
	v_fma_f32 v36, v20, v16, -v36
	v_add_f32_e32 v14, v14, v17
	v_mul_f32_e32 v16, v23, v19
	v_mul_f32_e32 v17, v22, v19
	v_add_f32_e32 v15, v15, v36
	v_fma_f32 v16, v22, v18, -v16
	v_fmac_f32_e32 v17, v23, v18
	v_add_f32_e32 v18, v15, v16
	v_add_f32_e32 v19, v14, v17
	ds_read2_b64 v[14:17], v10 offset0:32 offset1:48
	s_waitcnt lgkmcnt(0)
	v_mul_f32_e32 v20, v25, v15
	v_fma_f32 v20, v24, v14, -v20
	v_mul_f32_e32 v15, v24, v15
	v_fmac_f32_e32 v15, v25, v14
	v_add_f32_e32 v14, v18, v20
	v_mul_f32_e32 v18, v27, v17
	v_mul_f32_e32 v17, v26, v17
	v_add_f32_e32 v15, v19, v15
	v_fma_f32 v18, v26, v16, -v18
	v_fmac_f32_e32 v17, v27, v16
	v_add_f32_e32 v18, v14, v18
	v_add_f32_e32 v19, v15, v17
	ds_read2_b64 v[14:17], v10 offset0:64 offset1:80
	s_waitcnt lgkmcnt(0)
	v_mul_f32_e32 v20, v29, v15
	v_fma_f32 v20, v28, v14, -v20
	v_mul_f32_e32 v15, v28, v15
	v_fmac_f32_e32 v15, v29, v14
	;; [unrolled: 14-line block ×3, first 2 shown]
	v_add_f32_e32 v14, v18, v20
	v_mul_f32_e32 v18, v35, v17
	v_mul_f32_e32 v17, v34, v17
	v_add_f32_e32 v15, v19, v15
	v_fma_f32 v18, v34, v16, -v18
	v_fmac_f32_e32 v17, v35, v16
	v_add_f32_e32 v22, v14, v18
	v_add_f32_e32 v23, v15, v17
	ds_read2_b64 v[14:17], v10 offset0:128 offset1:144
	ds_read_b128 v[18:21], v12 offset:64
	s_waitcnt lgkmcnt(0)
	v_mul_f32_e32 v24, v19, v15
	v_mul_f32_e32 v15, v18, v15
	v_fma_f32 v24, v18, v14, -v24
	v_fmac_f32_e32 v15, v19, v14
	v_mul_f32_e32 v18, v21, v17
	v_mul_f32_e32 v17, v20, v17
	v_add_f32_e32 v14, v22, v24
	v_add_f32_e32 v15, v23, v15
	v_fma_f32 v18, v20, v16, -v18
	v_fmac_f32_e32 v17, v21, v16
	v_add_f32_e32 v22, v14, v18
	v_add_f32_e32 v23, v15, v17
	ds_read2_b64 v[14:17], v10 offset0:160 offset1:176
	ds_read_b128 v[18:21], v12 offset:80
	s_waitcnt lgkmcnt(0)
	v_mul_f32_e32 v24, v19, v15
	v_mul_f32_e32 v15, v18, v15
	v_fma_f32 v24, v18, v14, -v24
	v_fmac_f32_e32 v15, v19, v14
	v_mul_f32_e32 v18, v21, v17
	v_mul_f32_e32 v17, v20, v17
	v_add_f32_e32 v14, v22, v24
	;; [unrolled: 15-line block ×3, first 2 shown]
	v_add_f32_e32 v15, v23, v15
	v_fma_f32 v18, v20, v16, -v18
	v_fmac_f32_e32 v17, v21, v16
	v_add_f32_e32 v22, v14, v18
	v_add_f32_e32 v23, v15, v17
	ds_read2_b64 v[14:17], v10 offset0:224 offset1:240
	ds_read_b128 v[18:21], v12 offset:112
	s_waitcnt lgkmcnt(0)
	s_barrier
	v_mul_f32_e32 v24, v19, v15
	v_mul_f32_e32 v15, v18, v15
	v_fmac_f32_e32 v15, v19, v14
	v_fma_f32 v24, v18, v14, -v24
	v_add_f32_e32 v18, v23, v15
	v_mul_f32_e32 v15, v21, v17
	v_mul_f32_e32 v17, v20, v17
	v_add_f32_e32 v14, v22, v24
	v_fma_f32 v15, v20, v16, -v15
	v_fmac_f32_e32 v17, v21, v16
	v_add_f32_e32 v15, v14, v15
	v_add_f32_e32 v14, v18, v17
	s_cbranch_vccnz .LBB1120_2
; %bb.3:
	v_cmp_le_i32_e32 vcc, v2, v8
	s_and_saveexec_b64 s[0:1], vcc
	s_cbranch_execz .LBB1120_5
.LBB1120_4:
	s_load_dwordx2 s[6:7], s[4:5], 0x60
	s_load_dwordx4 s[0:3], s[4:5], 0x50
	v_mul_f32_e32 v4, s15, v14
	v_mul_f32_e32 v5, s14, v14
	v_fma_f32 v4, v15, s14, -v4
	s_waitcnt lgkmcnt(0)
	s_mul_i32 s5, s7, s8
	s_mul_hi_u32 s7, s6, s8
	s_mul_i32 s4, s6, s8
	s_add_i32 s5, s7, s5
	s_lshl_b64 s[4:5], s[4:5], 3
	s_add_u32 s4, s0, s4
	s_addc_u32 s5, s1, s5
	v_mul_lo_u32 v6, s3, v8
	v_mul_lo_u32 v7, s2, v9
	v_mad_u64_u32 v[0:1], s[0:1], s2, v8, 0
	v_fmac_f32_e32 v5, s15, v15
	v_add3_u32 v1, v1, v7, v6
	v_lshlrev_b64 v[0:1], 3, v[0:1]
	v_mov_b32_e32 v6, s5
	v_add_co_u32_e32 v7, vcc, s4, v0
	v_addc_co_u32_e32 v6, vcc, v6, v1, vcc
	v_lshlrev_b64 v[0:1], 3, v[2:3]
	v_add_co_u32_e32 v0, vcc, v7, v0
	v_addc_co_u32_e32 v1, vcc, v6, v1, vcc
	global_store_dwordx2 v[0:1], v[4:5], off
.LBB1120_5:
	s_endpgm
.LBB1120_6:
	v_mov_b32_e32 v14, 0
	v_mov_b32_e32 v15, 0
	v_cmp_le_i32_e32 vcc, v2, v8
	s_and_saveexec_b64 s[0:1], vcc
	s_cbranch_execnz .LBB1120_4
	s_branch .LBB1120_5
	.section	.rodata,"a",@progbits
	.p2align	6, 0x0
	.amdhsa_kernel _ZL41rocblas_syrkx_herkx_small_restrict_kernelIl19rocblas_complex_numIfELi16ELb1ELb0ELc67ELc85EKS1_S1_EviT_T0_PT6_S3_lS6_S3_lS4_PT7_S3_li
		.amdhsa_group_segment_fixed_size 4096
		.amdhsa_private_segment_fixed_size 0
		.amdhsa_kernarg_size 108
		.amdhsa_user_sgpr_count 6
		.amdhsa_user_sgpr_private_segment_buffer 1
		.amdhsa_user_sgpr_dispatch_ptr 0
		.amdhsa_user_sgpr_queue_ptr 0
		.amdhsa_user_sgpr_kernarg_segment_ptr 1
		.amdhsa_user_sgpr_dispatch_id 0
		.amdhsa_user_sgpr_flat_scratch_init 0
		.amdhsa_user_sgpr_private_segment_size 0
		.amdhsa_uses_dynamic_stack 0
		.amdhsa_system_sgpr_private_segment_wavefront_offset 0
		.amdhsa_system_sgpr_workgroup_id_x 1
		.amdhsa_system_sgpr_workgroup_id_y 1
		.amdhsa_system_sgpr_workgroup_id_z 1
		.amdhsa_system_sgpr_workgroup_info 0
		.amdhsa_system_vgpr_workitem_id 1
		.amdhsa_next_free_vgpr 37
		.amdhsa_next_free_sgpr 28
		.amdhsa_reserve_vcc 1
		.amdhsa_reserve_flat_scratch 0
		.amdhsa_float_round_mode_32 0
		.amdhsa_float_round_mode_16_64 0
		.amdhsa_float_denorm_mode_32 3
		.amdhsa_float_denorm_mode_16_64 3
		.amdhsa_dx10_clamp 1
		.amdhsa_ieee_mode 1
		.amdhsa_fp16_overflow 0
		.amdhsa_exception_fp_ieee_invalid_op 0
		.amdhsa_exception_fp_denorm_src 0
		.amdhsa_exception_fp_ieee_div_zero 0
		.amdhsa_exception_fp_ieee_overflow 0
		.amdhsa_exception_fp_ieee_underflow 0
		.amdhsa_exception_fp_ieee_inexact 0
		.amdhsa_exception_int_div_zero 0
	.end_amdhsa_kernel
	.section	.text._ZL41rocblas_syrkx_herkx_small_restrict_kernelIl19rocblas_complex_numIfELi16ELb1ELb0ELc67ELc85EKS1_S1_EviT_T0_PT6_S3_lS6_S3_lS4_PT7_S3_li,"axG",@progbits,_ZL41rocblas_syrkx_herkx_small_restrict_kernelIl19rocblas_complex_numIfELi16ELb1ELb0ELc67ELc85EKS1_S1_EviT_T0_PT6_S3_lS6_S3_lS4_PT7_S3_li,comdat
.Lfunc_end1120:
	.size	_ZL41rocblas_syrkx_herkx_small_restrict_kernelIl19rocblas_complex_numIfELi16ELb1ELb0ELc67ELc85EKS1_S1_EviT_T0_PT6_S3_lS6_S3_lS4_PT7_S3_li, .Lfunc_end1120-_ZL41rocblas_syrkx_herkx_small_restrict_kernelIl19rocblas_complex_numIfELi16ELb1ELb0ELc67ELc85EKS1_S1_EviT_T0_PT6_S3_lS6_S3_lS4_PT7_S3_li
                                        ; -- End function
	.set _ZL41rocblas_syrkx_herkx_small_restrict_kernelIl19rocblas_complex_numIfELi16ELb1ELb0ELc67ELc85EKS1_S1_EviT_T0_PT6_S3_lS6_S3_lS4_PT7_S3_li.num_vgpr, 37
	.set _ZL41rocblas_syrkx_herkx_small_restrict_kernelIl19rocblas_complex_numIfELi16ELb1ELb0ELc67ELc85EKS1_S1_EviT_T0_PT6_S3_lS6_S3_lS4_PT7_S3_li.num_agpr, 0
	.set _ZL41rocblas_syrkx_herkx_small_restrict_kernelIl19rocblas_complex_numIfELi16ELb1ELb0ELc67ELc85EKS1_S1_EviT_T0_PT6_S3_lS6_S3_lS4_PT7_S3_li.numbered_sgpr, 28
	.set _ZL41rocblas_syrkx_herkx_small_restrict_kernelIl19rocblas_complex_numIfELi16ELb1ELb0ELc67ELc85EKS1_S1_EviT_T0_PT6_S3_lS6_S3_lS4_PT7_S3_li.num_named_barrier, 0
	.set _ZL41rocblas_syrkx_herkx_small_restrict_kernelIl19rocblas_complex_numIfELi16ELb1ELb0ELc67ELc85EKS1_S1_EviT_T0_PT6_S3_lS6_S3_lS4_PT7_S3_li.private_seg_size, 0
	.set _ZL41rocblas_syrkx_herkx_small_restrict_kernelIl19rocblas_complex_numIfELi16ELb1ELb0ELc67ELc85EKS1_S1_EviT_T0_PT6_S3_lS6_S3_lS4_PT7_S3_li.uses_vcc, 1
	.set _ZL41rocblas_syrkx_herkx_small_restrict_kernelIl19rocblas_complex_numIfELi16ELb1ELb0ELc67ELc85EKS1_S1_EviT_T0_PT6_S3_lS6_S3_lS4_PT7_S3_li.uses_flat_scratch, 0
	.set _ZL41rocblas_syrkx_herkx_small_restrict_kernelIl19rocblas_complex_numIfELi16ELb1ELb0ELc67ELc85EKS1_S1_EviT_T0_PT6_S3_lS6_S3_lS4_PT7_S3_li.has_dyn_sized_stack, 0
	.set _ZL41rocblas_syrkx_herkx_small_restrict_kernelIl19rocblas_complex_numIfELi16ELb1ELb0ELc67ELc85EKS1_S1_EviT_T0_PT6_S3_lS6_S3_lS4_PT7_S3_li.has_recursion, 0
	.set _ZL41rocblas_syrkx_herkx_small_restrict_kernelIl19rocblas_complex_numIfELi16ELb1ELb0ELc67ELc85EKS1_S1_EviT_T0_PT6_S3_lS6_S3_lS4_PT7_S3_li.has_indirect_call, 0
	.section	.AMDGPU.csdata,"",@progbits
; Kernel info:
; codeLenInByte = 1180
; TotalNumSgprs: 32
; NumVgprs: 37
; ScratchSize: 0
; MemoryBound: 0
; FloatMode: 240
; IeeeMode: 1
; LDSByteSize: 4096 bytes/workgroup (compile time only)
; SGPRBlocks: 3
; VGPRBlocks: 9
; NumSGPRsForWavesPerEU: 32
; NumVGPRsForWavesPerEU: 37
; Occupancy: 6
; WaveLimiterHint : 0
; COMPUTE_PGM_RSRC2:SCRATCH_EN: 0
; COMPUTE_PGM_RSRC2:USER_SGPR: 6
; COMPUTE_PGM_RSRC2:TRAP_HANDLER: 0
; COMPUTE_PGM_RSRC2:TGID_X_EN: 1
; COMPUTE_PGM_RSRC2:TGID_Y_EN: 1
; COMPUTE_PGM_RSRC2:TGID_Z_EN: 1
; COMPUTE_PGM_RSRC2:TIDIG_COMP_CNT: 1
	.section	.text._ZL41rocblas_syrkx_herkx_small_restrict_kernelIl19rocblas_complex_numIfELi16ELb1ELb0ELc78ELc85EKS1_S1_EviT_T0_PT6_S3_lS6_S3_lS4_PT7_S3_li,"axG",@progbits,_ZL41rocblas_syrkx_herkx_small_restrict_kernelIl19rocblas_complex_numIfELi16ELb1ELb0ELc78ELc85EKS1_S1_EviT_T0_PT6_S3_lS6_S3_lS4_PT7_S3_li,comdat
	.globl	_ZL41rocblas_syrkx_herkx_small_restrict_kernelIl19rocblas_complex_numIfELi16ELb1ELb0ELc78ELc85EKS1_S1_EviT_T0_PT6_S3_lS6_S3_lS4_PT7_S3_li ; -- Begin function _ZL41rocblas_syrkx_herkx_small_restrict_kernelIl19rocblas_complex_numIfELi16ELb1ELb0ELc78ELc85EKS1_S1_EviT_T0_PT6_S3_lS6_S3_lS4_PT7_S3_li
	.p2align	8
	.type	_ZL41rocblas_syrkx_herkx_small_restrict_kernelIl19rocblas_complex_numIfELi16ELb1ELb0ELc78ELc85EKS1_S1_EviT_T0_PT6_S3_lS6_S3_lS4_PT7_S3_li,@function
_ZL41rocblas_syrkx_herkx_small_restrict_kernelIl19rocblas_complex_numIfELi16ELb1ELb0ELc78ELc85EKS1_S1_EviT_T0_PT6_S3_lS6_S3_lS4_PT7_S3_li: ; @_ZL41rocblas_syrkx_herkx_small_restrict_kernelIl19rocblas_complex_numIfELi16ELb1ELb0ELc78ELc85EKS1_S1_EviT_T0_PT6_S3_lS6_S3_lS4_PT7_S3_li
; %bb.0:
	s_load_dwordx16 s[12:27], s[4:5], 0x8
	v_lshl_add_u32 v2, s6, 4, v0
	v_lshl_add_u32 v4, s7, 4, v1
	v_ashrrev_i32_e32 v3, 31, v2
	v_ashrrev_i32_e32 v5, 31, v4
	s_waitcnt lgkmcnt(0)
	v_cmp_lt_i64_e64 s[0:1], s[12:13], 1
	s_and_b64 vcc, exec, s[0:1]
	s_cbranch_vccnz .LBB1121_6
; %bb.1:
	v_lshlrev_b32_e32 v6, 7, v1
	v_lshlrev_b32_e32 v10, 3, v0
	v_add_u32_e32 v11, v10, v6
	v_add_u32_e32 v12, 0x800, v6
	v_mad_u64_u32 v[6:7], s[0:1], s24, v0, 0
	s_mul_i32 s2, s27, s8
	s_mul_hi_u32 s3, s26, s8
	v_mad_u64_u32 v[7:8], s[0:1], s25, v0, v[7:8]
	s_add_i32 s1, s3, s2
	s_mul_i32 s0, s26, s8
	v_lshlrev_b64 v[6:7], 3, v[6:7]
	s_lshl_b64 s[0:1], s[0:1], 3
	v_mov_b32_e32 v0, s1
	v_add_co_u32_e32 v8, vcc, s0, v6
	v_addc_co_u32_e32 v0, vcc, v0, v7, vcc
	v_lshlrev_b64 v[6:7], 3, v[4:5]
	s_mul_i32 s6, s21, s8
	v_add_co_u32_e32 v6, vcc, v8, v6
	v_addc_co_u32_e32 v0, vcc, v0, v7, vcc
	v_mad_u64_u32 v[8:9], s[0:1], s18, v1, 0
	v_mov_b32_e32 v7, s23
	v_add_co_u32_e32 v6, vcc, s22, v6
	v_addc_co_u32_e32 v0, vcc, v7, v0, vcc
	v_add_co_u32_e32 v6, vcc, 4, v6
	v_addc_co_u32_e32 v7, vcc, 0, v0, vcc
	v_mov_b32_e32 v0, v9
	v_mad_u64_u32 v[0:1], s[2:3], s19, v1, v[0:1]
	s_mul_hi_u32 s7, s20, s8
	s_add_i32 s3, s7, s6
	v_mov_b32_e32 v9, v0
	s_mul_i32 s2, s20, s8
	v_lshlrev_b64 v[0:1], 3, v[8:9]
	s_lshl_b64 s[2:3], s[2:3], 3
	v_mov_b32_e32 v8, s3
	v_add_co_u32_e32 v9, vcc, s2, v0
	v_addc_co_u32_e32 v8, vcc, v8, v1, vcc
	v_lshlrev_b64 v[0:1], 3, v[2:3]
	s_lshl_b64 s[0:1], s[24:25], 7
	v_add_co_u32_e32 v0, vcc, v9, v0
	v_addc_co_u32_e32 v1, vcc, v8, v1, vcc
	v_mov_b32_e32 v8, s17
	v_add_co_u32_e32 v0, vcc, s16, v0
	v_addc_co_u32_e32 v1, vcc, v8, v1, vcc
	s_lshl_b64 s[2:3], s[18:19], 7
	v_mov_b32_e32 v8, s12
	v_add_u32_e32 v13, v12, v10
	v_mov_b32_e32 v16, 0
	s_mov_b64 s[6:7], 0
	v_mov_b32_e32 v14, s1
	v_mov_b32_e32 v15, s3
	;; [unrolled: 1-line block ×4, first 2 shown]
.LBB1121_2:                             ; =>This Inner Loop Header: Depth=1
	global_load_dwordx2 v[18:19], v[0:1], off
	s_add_u32 s6, s6, 16
	s_addc_u32 s7, s7, 0
	s_waitcnt vmcnt(0)
	ds_write_b64 v11, v[18:19]
	global_load_dwordx2 v[18:19], v[6:7], off offset:-4
	v_add_co_u32_e32 v6, vcc, s0, v6
	v_addc_co_u32_e32 v7, vcc, v7, v14, vcc
	v_add_co_u32_e32 v0, vcc, s2, v0
	v_addc_co_u32_e32 v1, vcc, v1, v15, vcc
	v_cmp_lt_i64_e32 vcc, s[6:7], v[8:9]
	s_and_b64 vcc, exec, vcc
	s_waitcnt vmcnt(0)
	ds_write_b64 v13, v[18:19]
	s_waitcnt lgkmcnt(0)
	s_barrier
	ds_read2_b64 v[18:21], v10 offset1:16
	ds_read_b128 v[22:25], v12
	ds_read_b128 v[26:29], v12 offset:16
	ds_read_b128 v[30:33], v12 offset:32
	;; [unrolled: 1-line block ×3, first 2 shown]
	s_waitcnt lgkmcnt(3)
	v_mul_f32_e32 v38, v23, v19
	v_mul_f32_e32 v19, v22, v19
	v_fmac_f32_e32 v19, v23, v18
	v_fma_f32 v38, v22, v18, -v38
	v_add_f32_e32 v16, v16, v19
	v_mul_f32_e32 v18, v25, v21
	v_mul_f32_e32 v19, v24, v21
	v_add_f32_e32 v17, v17, v38
	v_fma_f32 v18, v24, v20, -v18
	v_fmac_f32_e32 v19, v25, v20
	v_add_f32_e32 v20, v17, v18
	v_add_f32_e32 v21, v16, v19
	ds_read2_b64 v[16:19], v10 offset0:32 offset1:48
	s_waitcnt lgkmcnt(0)
	v_mul_f32_e32 v22, v27, v17
	v_fma_f32 v22, v26, v16, -v22
	v_mul_f32_e32 v17, v26, v17
	v_fmac_f32_e32 v17, v27, v16
	v_add_f32_e32 v16, v20, v22
	v_mul_f32_e32 v20, v29, v19
	v_mul_f32_e32 v19, v28, v19
	v_add_f32_e32 v17, v21, v17
	v_fma_f32 v20, v28, v18, -v20
	v_fmac_f32_e32 v19, v29, v18
	v_add_f32_e32 v20, v16, v20
	v_add_f32_e32 v21, v17, v19
	ds_read2_b64 v[16:19], v10 offset0:64 offset1:80
	s_waitcnt lgkmcnt(0)
	v_mul_f32_e32 v22, v31, v17
	v_fma_f32 v22, v30, v16, -v22
	v_mul_f32_e32 v17, v30, v17
	v_fmac_f32_e32 v17, v31, v16
	;; [unrolled: 14-line block ×3, first 2 shown]
	v_add_f32_e32 v16, v20, v22
	v_mul_f32_e32 v20, v37, v19
	v_mul_f32_e32 v19, v36, v19
	v_add_f32_e32 v17, v21, v17
	v_fma_f32 v20, v36, v18, -v20
	v_fmac_f32_e32 v19, v37, v18
	v_add_f32_e32 v24, v16, v20
	v_add_f32_e32 v25, v17, v19
	ds_read2_b64 v[16:19], v10 offset0:128 offset1:144
	ds_read_b128 v[20:23], v12 offset:64
	s_waitcnt lgkmcnt(0)
	v_mul_f32_e32 v26, v21, v17
	v_mul_f32_e32 v17, v20, v17
	v_fma_f32 v26, v20, v16, -v26
	v_fmac_f32_e32 v17, v21, v16
	v_mul_f32_e32 v20, v23, v19
	v_mul_f32_e32 v19, v22, v19
	v_add_f32_e32 v16, v24, v26
	v_add_f32_e32 v17, v25, v17
	v_fma_f32 v20, v22, v18, -v20
	v_fmac_f32_e32 v19, v23, v18
	v_add_f32_e32 v24, v16, v20
	v_add_f32_e32 v25, v17, v19
	ds_read2_b64 v[16:19], v10 offset0:160 offset1:176
	ds_read_b128 v[20:23], v12 offset:80
	s_waitcnt lgkmcnt(0)
	v_mul_f32_e32 v26, v21, v17
	v_mul_f32_e32 v17, v20, v17
	v_fma_f32 v26, v20, v16, -v26
	v_fmac_f32_e32 v17, v21, v16
	v_mul_f32_e32 v20, v23, v19
	v_mul_f32_e32 v19, v22, v19
	v_add_f32_e32 v16, v24, v26
	;; [unrolled: 15-line block ×3, first 2 shown]
	v_add_f32_e32 v17, v25, v17
	v_fma_f32 v20, v22, v18, -v20
	v_fmac_f32_e32 v19, v23, v18
	v_add_f32_e32 v24, v16, v20
	v_add_f32_e32 v25, v17, v19
	ds_read2_b64 v[16:19], v10 offset0:224 offset1:240
	ds_read_b128 v[20:23], v12 offset:112
	s_waitcnt lgkmcnt(0)
	s_barrier
	v_mul_f32_e32 v26, v21, v17
	v_mul_f32_e32 v17, v20, v17
	v_fmac_f32_e32 v17, v21, v16
	v_fma_f32 v26, v20, v16, -v26
	v_add_f32_e32 v20, v25, v17
	v_mul_f32_e32 v17, v23, v19
	v_mul_f32_e32 v19, v22, v19
	v_add_f32_e32 v16, v24, v26
	v_fma_f32 v17, v22, v18, -v17
	v_fmac_f32_e32 v19, v23, v18
	v_add_f32_e32 v17, v16, v17
	v_add_f32_e32 v16, v20, v19
	s_cbranch_vccnz .LBB1121_2
; %bb.3:
	v_cmp_le_i32_e32 vcc, v2, v4
	s_and_saveexec_b64 s[0:1], vcc
	s_cbranch_execz .LBB1121_5
.LBB1121_4:
	s_load_dwordx2 s[6:7], s[4:5], 0x60
	s_load_dwordx4 s[0:3], s[4:5], 0x50
	v_mul_f32_e32 v6, s15, v16
	s_waitcnt lgkmcnt(0)
	s_mul_i32 s5, s7, s8
	s_mul_hi_u32 s7, s6, s8
	s_mul_i32 s4, s6, s8
	s_add_i32 s5, s7, s5
	s_lshl_b64 s[4:5], s[4:5], 3
	s_add_u32 s4, s0, s4
	s_addc_u32 s5, s1, s5
	v_mul_lo_u32 v7, s3, v4
	v_mul_lo_u32 v8, s2, v5
	v_mad_u64_u32 v[0:1], s[0:1], s2, v4, 0
	v_fma_f32 v4, v17, s14, -v6
	v_mov_b32_e32 v6, s5
	v_add3_u32 v1, v1, v8, v7
	v_lshlrev_b64 v[0:1], 3, v[0:1]
	v_mul_f32_e32 v5, s14, v16
	v_add_co_u32_e32 v7, vcc, s4, v0
	v_addc_co_u32_e32 v6, vcc, v6, v1, vcc
	v_lshlrev_b64 v[0:1], 3, v[2:3]
	v_fmac_f32_e32 v5, s15, v17
	v_add_co_u32_e32 v0, vcc, v7, v0
	v_addc_co_u32_e32 v1, vcc, v6, v1, vcc
	global_store_dwordx2 v[0:1], v[4:5], off
.LBB1121_5:
	s_endpgm
.LBB1121_6:
	v_mov_b32_e32 v16, 0
	v_mov_b32_e32 v17, 0
	v_cmp_le_i32_e32 vcc, v2, v4
	s_and_saveexec_b64 s[0:1], vcc
	s_cbranch_execnz .LBB1121_4
	s_branch .LBB1121_5
	.section	.rodata,"a",@progbits
	.p2align	6, 0x0
	.amdhsa_kernel _ZL41rocblas_syrkx_herkx_small_restrict_kernelIl19rocblas_complex_numIfELi16ELb1ELb0ELc78ELc85EKS1_S1_EviT_T0_PT6_S3_lS6_S3_lS4_PT7_S3_li
		.amdhsa_group_segment_fixed_size 4096
		.amdhsa_private_segment_fixed_size 0
		.amdhsa_kernarg_size 108
		.amdhsa_user_sgpr_count 6
		.amdhsa_user_sgpr_private_segment_buffer 1
		.amdhsa_user_sgpr_dispatch_ptr 0
		.amdhsa_user_sgpr_queue_ptr 0
		.amdhsa_user_sgpr_kernarg_segment_ptr 1
		.amdhsa_user_sgpr_dispatch_id 0
		.amdhsa_user_sgpr_flat_scratch_init 0
		.amdhsa_user_sgpr_private_segment_size 0
		.amdhsa_uses_dynamic_stack 0
		.amdhsa_system_sgpr_private_segment_wavefront_offset 0
		.amdhsa_system_sgpr_workgroup_id_x 1
		.amdhsa_system_sgpr_workgroup_id_y 1
		.amdhsa_system_sgpr_workgroup_id_z 1
		.amdhsa_system_sgpr_workgroup_info 0
		.amdhsa_system_vgpr_workitem_id 1
		.amdhsa_next_free_vgpr 39
		.amdhsa_next_free_sgpr 28
		.amdhsa_reserve_vcc 1
		.amdhsa_reserve_flat_scratch 0
		.amdhsa_float_round_mode_32 0
		.amdhsa_float_round_mode_16_64 0
		.amdhsa_float_denorm_mode_32 3
		.amdhsa_float_denorm_mode_16_64 3
		.amdhsa_dx10_clamp 1
		.amdhsa_ieee_mode 1
		.amdhsa_fp16_overflow 0
		.amdhsa_exception_fp_ieee_invalid_op 0
		.amdhsa_exception_fp_denorm_src 0
		.amdhsa_exception_fp_ieee_div_zero 0
		.amdhsa_exception_fp_ieee_overflow 0
		.amdhsa_exception_fp_ieee_underflow 0
		.amdhsa_exception_fp_ieee_inexact 0
		.amdhsa_exception_int_div_zero 0
	.end_amdhsa_kernel
	.section	.text._ZL41rocblas_syrkx_herkx_small_restrict_kernelIl19rocblas_complex_numIfELi16ELb1ELb0ELc78ELc85EKS1_S1_EviT_T0_PT6_S3_lS6_S3_lS4_PT7_S3_li,"axG",@progbits,_ZL41rocblas_syrkx_herkx_small_restrict_kernelIl19rocblas_complex_numIfELi16ELb1ELb0ELc78ELc85EKS1_S1_EviT_T0_PT6_S3_lS6_S3_lS4_PT7_S3_li,comdat
.Lfunc_end1121:
	.size	_ZL41rocblas_syrkx_herkx_small_restrict_kernelIl19rocblas_complex_numIfELi16ELb1ELb0ELc78ELc85EKS1_S1_EviT_T0_PT6_S3_lS6_S3_lS4_PT7_S3_li, .Lfunc_end1121-_ZL41rocblas_syrkx_herkx_small_restrict_kernelIl19rocblas_complex_numIfELi16ELb1ELb0ELc78ELc85EKS1_S1_EviT_T0_PT6_S3_lS6_S3_lS4_PT7_S3_li
                                        ; -- End function
	.set _ZL41rocblas_syrkx_herkx_small_restrict_kernelIl19rocblas_complex_numIfELi16ELb1ELb0ELc78ELc85EKS1_S1_EviT_T0_PT6_S3_lS6_S3_lS4_PT7_S3_li.num_vgpr, 39
	.set _ZL41rocblas_syrkx_herkx_small_restrict_kernelIl19rocblas_complex_numIfELi16ELb1ELb0ELc78ELc85EKS1_S1_EviT_T0_PT6_S3_lS6_S3_lS4_PT7_S3_li.num_agpr, 0
	.set _ZL41rocblas_syrkx_herkx_small_restrict_kernelIl19rocblas_complex_numIfELi16ELb1ELb0ELc78ELc85EKS1_S1_EviT_T0_PT6_S3_lS6_S3_lS4_PT7_S3_li.numbered_sgpr, 28
	.set _ZL41rocblas_syrkx_herkx_small_restrict_kernelIl19rocblas_complex_numIfELi16ELb1ELb0ELc78ELc85EKS1_S1_EviT_T0_PT6_S3_lS6_S3_lS4_PT7_S3_li.num_named_barrier, 0
	.set _ZL41rocblas_syrkx_herkx_small_restrict_kernelIl19rocblas_complex_numIfELi16ELb1ELb0ELc78ELc85EKS1_S1_EviT_T0_PT6_S3_lS6_S3_lS4_PT7_S3_li.private_seg_size, 0
	.set _ZL41rocblas_syrkx_herkx_small_restrict_kernelIl19rocblas_complex_numIfELi16ELb1ELb0ELc78ELc85EKS1_S1_EviT_T0_PT6_S3_lS6_S3_lS4_PT7_S3_li.uses_vcc, 1
	.set _ZL41rocblas_syrkx_herkx_small_restrict_kernelIl19rocblas_complex_numIfELi16ELb1ELb0ELc78ELc85EKS1_S1_EviT_T0_PT6_S3_lS6_S3_lS4_PT7_S3_li.uses_flat_scratch, 0
	.set _ZL41rocblas_syrkx_herkx_small_restrict_kernelIl19rocblas_complex_numIfELi16ELb1ELb0ELc78ELc85EKS1_S1_EviT_T0_PT6_S3_lS6_S3_lS4_PT7_S3_li.has_dyn_sized_stack, 0
	.set _ZL41rocblas_syrkx_herkx_small_restrict_kernelIl19rocblas_complex_numIfELi16ELb1ELb0ELc78ELc85EKS1_S1_EviT_T0_PT6_S3_lS6_S3_lS4_PT7_S3_li.has_recursion, 0
	.set _ZL41rocblas_syrkx_herkx_small_restrict_kernelIl19rocblas_complex_numIfELi16ELb1ELb0ELc78ELc85EKS1_S1_EviT_T0_PT6_S3_lS6_S3_lS4_PT7_S3_li.has_indirect_call, 0
	.section	.AMDGPU.csdata,"",@progbits
; Kernel info:
; codeLenInByte = 1176
; TotalNumSgprs: 32
; NumVgprs: 39
; ScratchSize: 0
; MemoryBound: 0
; FloatMode: 240
; IeeeMode: 1
; LDSByteSize: 4096 bytes/workgroup (compile time only)
; SGPRBlocks: 3
; VGPRBlocks: 9
; NumSGPRsForWavesPerEU: 32
; NumVGPRsForWavesPerEU: 39
; Occupancy: 6
; WaveLimiterHint : 0
; COMPUTE_PGM_RSRC2:SCRATCH_EN: 0
; COMPUTE_PGM_RSRC2:USER_SGPR: 6
; COMPUTE_PGM_RSRC2:TRAP_HANDLER: 0
; COMPUTE_PGM_RSRC2:TGID_X_EN: 1
; COMPUTE_PGM_RSRC2:TGID_Y_EN: 1
; COMPUTE_PGM_RSRC2:TGID_Z_EN: 1
; COMPUTE_PGM_RSRC2:TIDIG_COMP_CNT: 1
	.section	.text._ZL41rocblas_syrkx_herkx_small_restrict_kernelIl19rocblas_complex_numIfELi16ELb0ELb0ELc84ELc76EKS1_S1_EviT_T0_PT6_S3_lS6_S3_lS4_PT7_S3_li,"axG",@progbits,_ZL41rocblas_syrkx_herkx_small_restrict_kernelIl19rocblas_complex_numIfELi16ELb0ELb0ELc84ELc76EKS1_S1_EviT_T0_PT6_S3_lS6_S3_lS4_PT7_S3_li,comdat
	.globl	_ZL41rocblas_syrkx_herkx_small_restrict_kernelIl19rocblas_complex_numIfELi16ELb0ELb0ELc84ELc76EKS1_S1_EviT_T0_PT6_S3_lS6_S3_lS4_PT7_S3_li ; -- Begin function _ZL41rocblas_syrkx_herkx_small_restrict_kernelIl19rocblas_complex_numIfELi16ELb0ELb0ELc84ELc76EKS1_S1_EviT_T0_PT6_S3_lS6_S3_lS4_PT7_S3_li
	.p2align	8
	.type	_ZL41rocblas_syrkx_herkx_small_restrict_kernelIl19rocblas_complex_numIfELi16ELb0ELb0ELc84ELc76EKS1_S1_EviT_T0_PT6_S3_lS6_S3_lS4_PT7_S3_li,@function
_ZL41rocblas_syrkx_herkx_small_restrict_kernelIl19rocblas_complex_numIfELi16ELb0ELb0ELc84ELc76EKS1_S1_EviT_T0_PT6_S3_lS6_S3_lS4_PT7_S3_li: ; @_ZL41rocblas_syrkx_herkx_small_restrict_kernelIl19rocblas_complex_numIfELi16ELb0ELb0ELc84ELc76EKS1_S1_EviT_T0_PT6_S3_lS6_S3_lS4_PT7_S3_li
; %bb.0:
	s_load_dwordx16 s[12:27], s[4:5], 0x8
	v_lshl_add_u32 v2, s6, 4, v0
	v_lshl_add_u32 v8, s7, 4, v1
	v_ashrrev_i32_e32 v3, 31, v2
	v_ashrrev_i32_e32 v9, 31, v8
	s_waitcnt lgkmcnt(0)
	v_cmp_lt_i64_e64 s[0:1], s[12:13], 1
	s_and_b64 vcc, exec, s[0:1]
	s_cbranch_vccnz .LBB1122_6
; %bb.1:
	v_lshlrev_b32_e32 v10, 3, v0
	v_mul_lo_u32 v0, s25, v8
	v_mul_lo_u32 v7, s24, v9
	v_mad_u64_u32 v[4:5], s[0:1], s24, v8, 0
	s_mul_i32 s0, s27, s8
	s_mul_hi_u32 s1, s26, s8
	v_add3_u32 v5, v5, v7, v0
	v_lshlrev_b64 v[4:5], 3, v[4:5]
	s_add_i32 s1, s1, s0
	s_mul_i32 s0, s26, s8
	v_lshlrev_b32_e32 v6, 7, v1
	s_lshl_b64 s[0:1], s[0:1], 3
	v_add_u32_e32 v11, v10, v6
	v_add_u32_e32 v12, 0x800, v6
	v_mov_b32_e32 v0, s1
	v_add_co_u32_e32 v4, vcc, s0, v4
	v_mul_lo_u32 v15, s19, v2
	v_mul_lo_u32 v16, s18, v3
	v_mad_u64_u32 v[6:7], s[0:1], s18, v2, 0
	v_addc_co_u32_e32 v0, vcc, v5, v0, vcc
	v_add_co_u32_e32 v4, vcc, v4, v10
	v_addc_co_u32_e32 v0, vcc, 0, v0, vcc
	v_add3_u32 v7, v7, v16, v15
	s_mul_i32 s0, s21, s8
	s_mul_hi_u32 s1, s20, s8
	v_mov_b32_e32 v5, s23
	v_add_co_u32_e32 v4, vcc, s22, v4
	v_lshlrev_b64 v[6:7], 3, v[6:7]
	s_add_i32 s1, s1, s0
	s_mul_i32 s0, s20, s8
	v_addc_co_u32_e32 v5, vcc, v5, v0, vcc
	s_lshl_b64 s[0:1], s[0:1], 3
	v_mov_b32_e32 v0, s1
	v_add_co_u32_e32 v6, vcc, s0, v6
	v_addc_co_u32_e32 v0, vcc, v7, v0, vcc
	v_lshlrev_b32_e32 v1, 3, v1
	v_add_co_u32_e32 v1, vcc, v6, v1
	v_addc_co_u32_e32 v6, vcc, 0, v0, vcc
	v_mov_b32_e32 v7, s17
	v_add_co_u32_e32 v0, vcc, s16, v1
	v_addc_co_u32_e32 v1, vcc, v7, v6, vcc
	v_mov_b32_e32 v6, s12
	v_add_u32_e32 v13, v12, v10
	v_mov_b32_e32 v14, 0
	s_mov_b64 s[0:1], 0
	v_mov_b32_e32 v7, s13
	v_mov_b32_e32 v15, 0
.LBB1122_2:                             ; =>This Inner Loop Header: Depth=1
	global_load_dwordx2 v[16:17], v[0:1], off
	s_add_u32 s0, s0, 16
	s_addc_u32 s1, s1, 0
	s_waitcnt vmcnt(0)
	ds_write_b64 v11, v[16:17]
	global_load_dwordx2 v[16:17], v[4:5], off
	v_add_co_u32_e32 v4, vcc, 0x80, v4
	v_addc_co_u32_e32 v5, vcc, 0, v5, vcc
	v_add_co_u32_e32 v0, vcc, 0x80, v0
	v_addc_co_u32_e32 v1, vcc, 0, v1, vcc
	v_cmp_lt_i64_e32 vcc, s[0:1], v[6:7]
	s_and_b64 vcc, exec, vcc
	s_waitcnt vmcnt(0)
	ds_write_b64 v13, v[16:17]
	s_waitcnt lgkmcnt(0)
	s_barrier
	ds_read2_b64 v[16:19], v10 offset1:16
	ds_read_b128 v[20:23], v12
	ds_read_b128 v[24:27], v12 offset:16
	ds_read_b128 v[28:31], v12 offset:32
	;; [unrolled: 1-line block ×3, first 2 shown]
	s_waitcnt lgkmcnt(3)
	v_mul_f32_e32 v36, v21, v17
	v_mul_f32_e32 v17, v20, v17
	v_fmac_f32_e32 v17, v21, v16
	v_fma_f32 v36, v20, v16, -v36
	v_add_f32_e32 v14, v14, v17
	v_mul_f32_e32 v16, v23, v19
	v_mul_f32_e32 v17, v22, v19
	v_add_f32_e32 v15, v15, v36
	v_fma_f32 v16, v22, v18, -v16
	v_fmac_f32_e32 v17, v23, v18
	v_add_f32_e32 v18, v15, v16
	v_add_f32_e32 v19, v14, v17
	ds_read2_b64 v[14:17], v10 offset0:32 offset1:48
	s_waitcnt lgkmcnt(0)
	v_mul_f32_e32 v20, v25, v15
	v_fma_f32 v20, v24, v14, -v20
	v_mul_f32_e32 v15, v24, v15
	v_fmac_f32_e32 v15, v25, v14
	v_add_f32_e32 v14, v18, v20
	v_mul_f32_e32 v18, v27, v17
	v_mul_f32_e32 v17, v26, v17
	v_add_f32_e32 v15, v19, v15
	v_fma_f32 v18, v26, v16, -v18
	v_fmac_f32_e32 v17, v27, v16
	v_add_f32_e32 v18, v14, v18
	v_add_f32_e32 v19, v15, v17
	ds_read2_b64 v[14:17], v10 offset0:64 offset1:80
	s_waitcnt lgkmcnt(0)
	v_mul_f32_e32 v20, v29, v15
	v_fma_f32 v20, v28, v14, -v20
	v_mul_f32_e32 v15, v28, v15
	v_fmac_f32_e32 v15, v29, v14
	;; [unrolled: 14-line block ×3, first 2 shown]
	v_add_f32_e32 v14, v18, v20
	v_mul_f32_e32 v18, v35, v17
	v_mul_f32_e32 v17, v34, v17
	v_add_f32_e32 v15, v19, v15
	v_fma_f32 v18, v34, v16, -v18
	v_fmac_f32_e32 v17, v35, v16
	v_add_f32_e32 v22, v14, v18
	v_add_f32_e32 v23, v15, v17
	ds_read2_b64 v[14:17], v10 offset0:128 offset1:144
	ds_read_b128 v[18:21], v12 offset:64
	s_waitcnt lgkmcnt(0)
	v_mul_f32_e32 v24, v19, v15
	v_mul_f32_e32 v15, v18, v15
	v_fma_f32 v24, v18, v14, -v24
	v_fmac_f32_e32 v15, v19, v14
	v_mul_f32_e32 v18, v21, v17
	v_mul_f32_e32 v17, v20, v17
	v_add_f32_e32 v14, v22, v24
	v_add_f32_e32 v15, v23, v15
	v_fma_f32 v18, v20, v16, -v18
	v_fmac_f32_e32 v17, v21, v16
	v_add_f32_e32 v22, v14, v18
	v_add_f32_e32 v23, v15, v17
	ds_read2_b64 v[14:17], v10 offset0:160 offset1:176
	ds_read_b128 v[18:21], v12 offset:80
	s_waitcnt lgkmcnt(0)
	v_mul_f32_e32 v24, v19, v15
	v_mul_f32_e32 v15, v18, v15
	v_fma_f32 v24, v18, v14, -v24
	v_fmac_f32_e32 v15, v19, v14
	v_mul_f32_e32 v18, v21, v17
	v_mul_f32_e32 v17, v20, v17
	v_add_f32_e32 v14, v22, v24
	;; [unrolled: 15-line block ×3, first 2 shown]
	v_add_f32_e32 v15, v23, v15
	v_fma_f32 v18, v20, v16, -v18
	v_fmac_f32_e32 v17, v21, v16
	v_add_f32_e32 v22, v14, v18
	v_add_f32_e32 v23, v15, v17
	ds_read2_b64 v[14:17], v10 offset0:224 offset1:240
	ds_read_b128 v[18:21], v12 offset:112
	s_waitcnt lgkmcnt(0)
	s_barrier
	v_mul_f32_e32 v24, v19, v15
	v_mul_f32_e32 v15, v18, v15
	v_fmac_f32_e32 v15, v19, v14
	v_fma_f32 v24, v18, v14, -v24
	v_add_f32_e32 v18, v23, v15
	v_mul_f32_e32 v15, v21, v17
	v_mul_f32_e32 v17, v20, v17
	v_add_f32_e32 v14, v22, v24
	v_fma_f32 v15, v20, v16, -v15
	v_fmac_f32_e32 v17, v21, v16
	v_add_f32_e32 v15, v14, v15
	v_add_f32_e32 v14, v18, v17
	s_cbranch_vccnz .LBB1122_2
; %bb.3:
	s_load_dwordx8 s[16:23], s[4:5], 0x48
	v_cmp_le_i32_e32 vcc, v8, v2
	s_and_saveexec_b64 s[0:1], vcc
	s_cbranch_execz .LBB1122_5
.LBB1122_4:
	s_waitcnt lgkmcnt(0)
	v_mul_lo_u32 v4, s21, v8
	v_mul_lo_u32 v5, s20, v9
	v_mad_u64_u32 v[0:1], s[2:3], s20, v8, 0
	s_mul_i32 s0, s23, s8
	s_mul_hi_u32 s1, s22, s8
	s_add_i32 s1, s1, s0
	s_mul_i32 s0, s22, s8
	s_lshl_b64 s[0:1], s[0:1], 3
	v_add3_u32 v1, v1, v5, v4
	s_add_u32 s0, s18, s0
	v_lshlrev_b64 v[0:1], 3, v[0:1]
	s_addc_u32 s1, s19, s1
	v_mov_b32_e32 v4, s1
	v_add_co_u32_e32 v5, vcc, s0, v0
	v_addc_co_u32_e32 v4, vcc, v4, v1, vcc
	v_lshlrev_b64 v[0:1], 3, v[2:3]
	v_add_co_u32_e32 v0, vcc, v5, v0
	v_addc_co_u32_e32 v1, vcc, v4, v1, vcc
	global_load_dwordx2 v[2:3], v[0:1], off
	v_mul_f32_e32 v4, s15, v14
	v_mul_f32_e32 v5, s14, v14
	v_fma_f32 v4, v15, s14, -v4
	v_fmac_f32_e32 v5, s15, v15
	s_waitcnt vmcnt(0)
	v_mul_f32_e32 v6, s17, v3
	v_mul_f32_e32 v3, s16, v3
	v_fma_f32 v6, v2, s16, -v6
	v_fmac_f32_e32 v3, s17, v2
	v_add_f32_e32 v2, v4, v6
	v_add_f32_e32 v3, v5, v3
	global_store_dwordx2 v[0:1], v[2:3], off
.LBB1122_5:
	s_endpgm
.LBB1122_6:
	v_mov_b32_e32 v14, 0
	v_mov_b32_e32 v15, 0
	s_load_dwordx8 s[16:23], s[4:5], 0x48
	v_cmp_le_i32_e32 vcc, v8, v2
	s_and_saveexec_b64 s[0:1], vcc
	s_cbranch_execnz .LBB1122_4
	s_branch .LBB1122_5
	.section	.rodata,"a",@progbits
	.p2align	6, 0x0
	.amdhsa_kernel _ZL41rocblas_syrkx_herkx_small_restrict_kernelIl19rocblas_complex_numIfELi16ELb0ELb0ELc84ELc76EKS1_S1_EviT_T0_PT6_S3_lS6_S3_lS4_PT7_S3_li
		.amdhsa_group_segment_fixed_size 4096
		.amdhsa_private_segment_fixed_size 0
		.amdhsa_kernarg_size 108
		.amdhsa_user_sgpr_count 6
		.amdhsa_user_sgpr_private_segment_buffer 1
		.amdhsa_user_sgpr_dispatch_ptr 0
		.amdhsa_user_sgpr_queue_ptr 0
		.amdhsa_user_sgpr_kernarg_segment_ptr 1
		.amdhsa_user_sgpr_dispatch_id 0
		.amdhsa_user_sgpr_flat_scratch_init 0
		.amdhsa_user_sgpr_private_segment_size 0
		.amdhsa_uses_dynamic_stack 0
		.amdhsa_system_sgpr_private_segment_wavefront_offset 0
		.amdhsa_system_sgpr_workgroup_id_x 1
		.amdhsa_system_sgpr_workgroup_id_y 1
		.amdhsa_system_sgpr_workgroup_id_z 1
		.amdhsa_system_sgpr_workgroup_info 0
		.amdhsa_system_vgpr_workitem_id 1
		.amdhsa_next_free_vgpr 37
		.amdhsa_next_free_sgpr 28
		.amdhsa_reserve_vcc 1
		.amdhsa_reserve_flat_scratch 0
		.amdhsa_float_round_mode_32 0
		.amdhsa_float_round_mode_16_64 0
		.amdhsa_float_denorm_mode_32 3
		.amdhsa_float_denorm_mode_16_64 3
		.amdhsa_dx10_clamp 1
		.amdhsa_ieee_mode 1
		.amdhsa_fp16_overflow 0
		.amdhsa_exception_fp_ieee_invalid_op 0
		.amdhsa_exception_fp_denorm_src 0
		.amdhsa_exception_fp_ieee_div_zero 0
		.amdhsa_exception_fp_ieee_overflow 0
		.amdhsa_exception_fp_ieee_underflow 0
		.amdhsa_exception_fp_ieee_inexact 0
		.amdhsa_exception_int_div_zero 0
	.end_amdhsa_kernel
	.section	.text._ZL41rocblas_syrkx_herkx_small_restrict_kernelIl19rocblas_complex_numIfELi16ELb0ELb0ELc84ELc76EKS1_S1_EviT_T0_PT6_S3_lS6_S3_lS4_PT7_S3_li,"axG",@progbits,_ZL41rocblas_syrkx_herkx_small_restrict_kernelIl19rocblas_complex_numIfELi16ELb0ELb0ELc84ELc76EKS1_S1_EviT_T0_PT6_S3_lS6_S3_lS4_PT7_S3_li,comdat
.Lfunc_end1122:
	.size	_ZL41rocblas_syrkx_herkx_small_restrict_kernelIl19rocblas_complex_numIfELi16ELb0ELb0ELc84ELc76EKS1_S1_EviT_T0_PT6_S3_lS6_S3_lS4_PT7_S3_li, .Lfunc_end1122-_ZL41rocblas_syrkx_herkx_small_restrict_kernelIl19rocblas_complex_numIfELi16ELb0ELb0ELc84ELc76EKS1_S1_EviT_T0_PT6_S3_lS6_S3_lS4_PT7_S3_li
                                        ; -- End function
	.set _ZL41rocblas_syrkx_herkx_small_restrict_kernelIl19rocblas_complex_numIfELi16ELb0ELb0ELc84ELc76EKS1_S1_EviT_T0_PT6_S3_lS6_S3_lS4_PT7_S3_li.num_vgpr, 37
	.set _ZL41rocblas_syrkx_herkx_small_restrict_kernelIl19rocblas_complex_numIfELi16ELb0ELb0ELc84ELc76EKS1_S1_EviT_T0_PT6_S3_lS6_S3_lS4_PT7_S3_li.num_agpr, 0
	.set _ZL41rocblas_syrkx_herkx_small_restrict_kernelIl19rocblas_complex_numIfELi16ELb0ELb0ELc84ELc76EKS1_S1_EviT_T0_PT6_S3_lS6_S3_lS4_PT7_S3_li.numbered_sgpr, 28
	.set _ZL41rocblas_syrkx_herkx_small_restrict_kernelIl19rocblas_complex_numIfELi16ELb0ELb0ELc84ELc76EKS1_S1_EviT_T0_PT6_S3_lS6_S3_lS4_PT7_S3_li.num_named_barrier, 0
	.set _ZL41rocblas_syrkx_herkx_small_restrict_kernelIl19rocblas_complex_numIfELi16ELb0ELb0ELc84ELc76EKS1_S1_EviT_T0_PT6_S3_lS6_S3_lS4_PT7_S3_li.private_seg_size, 0
	.set _ZL41rocblas_syrkx_herkx_small_restrict_kernelIl19rocblas_complex_numIfELi16ELb0ELb0ELc84ELc76EKS1_S1_EviT_T0_PT6_S3_lS6_S3_lS4_PT7_S3_li.uses_vcc, 1
	.set _ZL41rocblas_syrkx_herkx_small_restrict_kernelIl19rocblas_complex_numIfELi16ELb0ELb0ELc84ELc76EKS1_S1_EviT_T0_PT6_S3_lS6_S3_lS4_PT7_S3_li.uses_flat_scratch, 0
	.set _ZL41rocblas_syrkx_herkx_small_restrict_kernelIl19rocblas_complex_numIfELi16ELb0ELb0ELc84ELc76EKS1_S1_EviT_T0_PT6_S3_lS6_S3_lS4_PT7_S3_li.has_dyn_sized_stack, 0
	.set _ZL41rocblas_syrkx_herkx_small_restrict_kernelIl19rocblas_complex_numIfELi16ELb0ELb0ELc84ELc76EKS1_S1_EviT_T0_PT6_S3_lS6_S3_lS4_PT7_S3_li.has_recursion, 0
	.set _ZL41rocblas_syrkx_herkx_small_restrict_kernelIl19rocblas_complex_numIfELi16ELb0ELb0ELc84ELc76EKS1_S1_EviT_T0_PT6_S3_lS6_S3_lS4_PT7_S3_li.has_indirect_call, 0
	.section	.AMDGPU.csdata,"",@progbits
; Kernel info:
; codeLenInByte = 1212
; TotalNumSgprs: 32
; NumVgprs: 37
; ScratchSize: 0
; MemoryBound: 0
; FloatMode: 240
; IeeeMode: 1
; LDSByteSize: 4096 bytes/workgroup (compile time only)
; SGPRBlocks: 3
; VGPRBlocks: 9
; NumSGPRsForWavesPerEU: 32
; NumVGPRsForWavesPerEU: 37
; Occupancy: 6
; WaveLimiterHint : 0
; COMPUTE_PGM_RSRC2:SCRATCH_EN: 0
; COMPUTE_PGM_RSRC2:USER_SGPR: 6
; COMPUTE_PGM_RSRC2:TRAP_HANDLER: 0
; COMPUTE_PGM_RSRC2:TGID_X_EN: 1
; COMPUTE_PGM_RSRC2:TGID_Y_EN: 1
; COMPUTE_PGM_RSRC2:TGID_Z_EN: 1
; COMPUTE_PGM_RSRC2:TIDIG_COMP_CNT: 1
	.section	.text._ZL41rocblas_syrkx_herkx_small_restrict_kernelIl19rocblas_complex_numIfELi16ELb0ELb0ELc67ELc76EKS1_S1_EviT_T0_PT6_S3_lS6_S3_lS4_PT7_S3_li,"axG",@progbits,_ZL41rocblas_syrkx_herkx_small_restrict_kernelIl19rocblas_complex_numIfELi16ELb0ELb0ELc67ELc76EKS1_S1_EviT_T0_PT6_S3_lS6_S3_lS4_PT7_S3_li,comdat
	.globl	_ZL41rocblas_syrkx_herkx_small_restrict_kernelIl19rocblas_complex_numIfELi16ELb0ELb0ELc67ELc76EKS1_S1_EviT_T0_PT6_S3_lS6_S3_lS4_PT7_S3_li ; -- Begin function _ZL41rocblas_syrkx_herkx_small_restrict_kernelIl19rocblas_complex_numIfELi16ELb0ELb0ELc67ELc76EKS1_S1_EviT_T0_PT6_S3_lS6_S3_lS4_PT7_S3_li
	.p2align	8
	.type	_ZL41rocblas_syrkx_herkx_small_restrict_kernelIl19rocblas_complex_numIfELi16ELb0ELb0ELc67ELc76EKS1_S1_EviT_T0_PT6_S3_lS6_S3_lS4_PT7_S3_li,@function
_ZL41rocblas_syrkx_herkx_small_restrict_kernelIl19rocblas_complex_numIfELi16ELb0ELb0ELc67ELc76EKS1_S1_EviT_T0_PT6_S3_lS6_S3_lS4_PT7_S3_li: ; @_ZL41rocblas_syrkx_herkx_small_restrict_kernelIl19rocblas_complex_numIfELi16ELb0ELb0ELc67ELc76EKS1_S1_EviT_T0_PT6_S3_lS6_S3_lS4_PT7_S3_li
; %bb.0:
	s_load_dwordx16 s[12:27], s[4:5], 0x8
	v_lshl_add_u32 v2, s6, 4, v0
	v_lshl_add_u32 v8, s7, 4, v1
	v_ashrrev_i32_e32 v3, 31, v2
	v_ashrrev_i32_e32 v9, 31, v8
	s_waitcnt lgkmcnt(0)
	v_cmp_lt_i64_e64 s[0:1], s[12:13], 1
	s_and_b64 vcc, exec, s[0:1]
	s_cbranch_vccnz .LBB1123_6
; %bb.1:
	v_lshlrev_b32_e32 v10, 3, v0
	v_mul_lo_u32 v0, s25, v8
	v_mul_lo_u32 v7, s24, v9
	v_mad_u64_u32 v[4:5], s[0:1], s24, v8, 0
	s_mul_i32 s0, s27, s8
	s_mul_hi_u32 s1, s26, s8
	v_add3_u32 v5, v5, v7, v0
	v_lshlrev_b64 v[4:5], 3, v[4:5]
	s_add_i32 s1, s1, s0
	s_mul_i32 s0, s26, s8
	v_lshlrev_b32_e32 v6, 7, v1
	s_lshl_b64 s[0:1], s[0:1], 3
	v_add_u32_e32 v11, v10, v6
	v_add_u32_e32 v12, 0x800, v6
	v_mov_b32_e32 v0, s1
	v_add_co_u32_e32 v4, vcc, s0, v4
	v_mul_lo_u32 v15, s19, v2
	v_mul_lo_u32 v16, s18, v3
	v_mad_u64_u32 v[6:7], s[0:1], s18, v2, 0
	v_addc_co_u32_e32 v0, vcc, v5, v0, vcc
	v_add_co_u32_e32 v4, vcc, v4, v10
	v_addc_co_u32_e32 v0, vcc, 0, v0, vcc
	v_add3_u32 v7, v7, v16, v15
	s_mul_i32 s0, s21, s8
	s_mul_hi_u32 s1, s20, s8
	v_mov_b32_e32 v5, s23
	v_add_co_u32_e32 v4, vcc, s22, v4
	v_lshlrev_b64 v[6:7], 3, v[6:7]
	s_add_i32 s1, s1, s0
	s_mul_i32 s0, s20, s8
	v_addc_co_u32_e32 v5, vcc, v5, v0, vcc
	s_lshl_b64 s[0:1], s[0:1], 3
	v_mov_b32_e32 v0, s1
	v_add_co_u32_e32 v6, vcc, s0, v6
	v_addc_co_u32_e32 v0, vcc, v7, v0, vcc
	v_lshlrev_b32_e32 v1, 3, v1
	v_add_co_u32_e32 v1, vcc, v6, v1
	v_addc_co_u32_e32 v0, vcc, 0, v0, vcc
	v_mov_b32_e32 v6, s17
	v_add_co_u32_e32 v1, vcc, s16, v1
	v_addc_co_u32_e32 v6, vcc, v6, v0, vcc
	v_add_co_u32_e32 v0, vcc, 4, v1
	v_addc_co_u32_e32 v1, vcc, 0, v6, vcc
	v_mov_b32_e32 v6, s12
	v_add_u32_e32 v13, v12, v10
	v_mov_b32_e32 v14, 0
	s_mov_b64 s[0:1], 0
	v_mov_b32_e32 v7, s13
	v_mov_b32_e32 v15, 0
.LBB1123_2:                             ; =>This Inner Loop Header: Depth=1
	global_load_dwordx2 v[16:17], v[0:1], off offset:-4
	s_add_u32 s0, s0, 16
	s_addc_u32 s1, s1, 0
	s_waitcnt vmcnt(0)
	ds_write_b64 v11, v[16:17]
	global_load_dwordx2 v[16:17], v[4:5], off
	v_add_co_u32_e32 v4, vcc, 0x80, v4
	v_addc_co_u32_e32 v5, vcc, 0, v5, vcc
	v_add_co_u32_e32 v0, vcc, 0x80, v0
	v_addc_co_u32_e32 v1, vcc, 0, v1, vcc
	v_cmp_lt_i64_e32 vcc, s[0:1], v[6:7]
	s_and_b64 vcc, exec, vcc
	s_waitcnt vmcnt(0)
	ds_write_b64 v13, v[16:17]
	s_waitcnt lgkmcnt(0)
	s_barrier
	ds_read2_b64 v[16:19], v10 offset1:16
	ds_read_b128 v[20:23], v12
	ds_read_b128 v[24:27], v12 offset:16
	ds_read_b128 v[28:31], v12 offset:32
	;; [unrolled: 1-line block ×3, first 2 shown]
	s_waitcnt lgkmcnt(3)
	v_mul_f32_e32 v36, v21, v17
	v_mul_f32_e32 v17, v20, v17
	v_fmac_f32_e32 v17, v21, v16
	v_fma_f32 v36, v20, v16, -v36
	v_add_f32_e32 v14, v14, v17
	v_mul_f32_e32 v16, v23, v19
	v_mul_f32_e32 v17, v22, v19
	v_add_f32_e32 v15, v15, v36
	v_fma_f32 v16, v22, v18, -v16
	v_fmac_f32_e32 v17, v23, v18
	v_add_f32_e32 v18, v15, v16
	v_add_f32_e32 v19, v14, v17
	ds_read2_b64 v[14:17], v10 offset0:32 offset1:48
	s_waitcnt lgkmcnt(0)
	v_mul_f32_e32 v20, v25, v15
	v_fma_f32 v20, v24, v14, -v20
	v_mul_f32_e32 v15, v24, v15
	v_fmac_f32_e32 v15, v25, v14
	v_add_f32_e32 v14, v18, v20
	v_mul_f32_e32 v18, v27, v17
	v_mul_f32_e32 v17, v26, v17
	v_add_f32_e32 v15, v19, v15
	v_fma_f32 v18, v26, v16, -v18
	v_fmac_f32_e32 v17, v27, v16
	v_add_f32_e32 v18, v14, v18
	v_add_f32_e32 v19, v15, v17
	ds_read2_b64 v[14:17], v10 offset0:64 offset1:80
	s_waitcnt lgkmcnt(0)
	v_mul_f32_e32 v20, v29, v15
	v_fma_f32 v20, v28, v14, -v20
	v_mul_f32_e32 v15, v28, v15
	v_fmac_f32_e32 v15, v29, v14
	;; [unrolled: 14-line block ×3, first 2 shown]
	v_add_f32_e32 v14, v18, v20
	v_mul_f32_e32 v18, v35, v17
	v_mul_f32_e32 v17, v34, v17
	v_add_f32_e32 v15, v19, v15
	v_fma_f32 v18, v34, v16, -v18
	v_fmac_f32_e32 v17, v35, v16
	v_add_f32_e32 v22, v14, v18
	v_add_f32_e32 v23, v15, v17
	ds_read2_b64 v[14:17], v10 offset0:128 offset1:144
	ds_read_b128 v[18:21], v12 offset:64
	s_waitcnt lgkmcnt(0)
	v_mul_f32_e32 v24, v19, v15
	v_mul_f32_e32 v15, v18, v15
	v_fma_f32 v24, v18, v14, -v24
	v_fmac_f32_e32 v15, v19, v14
	v_mul_f32_e32 v18, v21, v17
	v_mul_f32_e32 v17, v20, v17
	v_add_f32_e32 v14, v22, v24
	v_add_f32_e32 v15, v23, v15
	v_fma_f32 v18, v20, v16, -v18
	v_fmac_f32_e32 v17, v21, v16
	v_add_f32_e32 v22, v14, v18
	v_add_f32_e32 v23, v15, v17
	ds_read2_b64 v[14:17], v10 offset0:160 offset1:176
	ds_read_b128 v[18:21], v12 offset:80
	s_waitcnt lgkmcnt(0)
	v_mul_f32_e32 v24, v19, v15
	v_mul_f32_e32 v15, v18, v15
	v_fma_f32 v24, v18, v14, -v24
	v_fmac_f32_e32 v15, v19, v14
	v_mul_f32_e32 v18, v21, v17
	v_mul_f32_e32 v17, v20, v17
	v_add_f32_e32 v14, v22, v24
	;; [unrolled: 15-line block ×3, first 2 shown]
	v_add_f32_e32 v15, v23, v15
	v_fma_f32 v18, v20, v16, -v18
	v_fmac_f32_e32 v17, v21, v16
	v_add_f32_e32 v22, v14, v18
	v_add_f32_e32 v23, v15, v17
	ds_read2_b64 v[14:17], v10 offset0:224 offset1:240
	ds_read_b128 v[18:21], v12 offset:112
	s_waitcnt lgkmcnt(0)
	s_barrier
	v_mul_f32_e32 v24, v19, v15
	v_mul_f32_e32 v15, v18, v15
	v_fmac_f32_e32 v15, v19, v14
	v_fma_f32 v24, v18, v14, -v24
	v_add_f32_e32 v18, v23, v15
	v_mul_f32_e32 v15, v21, v17
	v_mul_f32_e32 v17, v20, v17
	v_add_f32_e32 v14, v22, v24
	v_fma_f32 v15, v20, v16, -v15
	v_fmac_f32_e32 v17, v21, v16
	v_add_f32_e32 v15, v14, v15
	v_add_f32_e32 v14, v18, v17
	s_cbranch_vccnz .LBB1123_2
; %bb.3:
	s_load_dwordx8 s[16:23], s[4:5], 0x48
	v_cmp_le_i32_e32 vcc, v8, v2
	s_and_saveexec_b64 s[0:1], vcc
	s_cbranch_execz .LBB1123_5
.LBB1123_4:
	s_waitcnt lgkmcnt(0)
	v_mul_lo_u32 v4, s21, v8
	v_mul_lo_u32 v5, s20, v9
	v_mad_u64_u32 v[0:1], s[2:3], s20, v8, 0
	s_mul_i32 s0, s23, s8
	s_mul_hi_u32 s1, s22, s8
	s_add_i32 s1, s1, s0
	s_mul_i32 s0, s22, s8
	s_lshl_b64 s[0:1], s[0:1], 3
	v_add3_u32 v1, v1, v5, v4
	s_add_u32 s0, s18, s0
	v_lshlrev_b64 v[0:1], 3, v[0:1]
	s_addc_u32 s1, s19, s1
	v_mov_b32_e32 v4, s1
	v_add_co_u32_e32 v5, vcc, s0, v0
	v_addc_co_u32_e32 v4, vcc, v4, v1, vcc
	v_lshlrev_b64 v[0:1], 3, v[2:3]
	v_add_co_u32_e32 v0, vcc, v5, v0
	v_addc_co_u32_e32 v1, vcc, v4, v1, vcc
	global_load_dwordx2 v[2:3], v[0:1], off
	v_mul_f32_e32 v4, s15, v14
	v_mul_f32_e32 v5, s14, v14
	v_fma_f32 v4, v15, s14, -v4
	v_fmac_f32_e32 v5, s15, v15
	s_waitcnt vmcnt(0)
	v_mul_f32_e32 v6, s17, v3
	v_mul_f32_e32 v3, s16, v3
	v_fma_f32 v6, v2, s16, -v6
	v_fmac_f32_e32 v3, s17, v2
	v_add_f32_e32 v2, v4, v6
	v_add_f32_e32 v3, v5, v3
	global_store_dwordx2 v[0:1], v[2:3], off
.LBB1123_5:
	s_endpgm
.LBB1123_6:
	v_mov_b32_e32 v14, 0
	v_mov_b32_e32 v15, 0
	s_load_dwordx8 s[16:23], s[4:5], 0x48
	v_cmp_le_i32_e32 vcc, v8, v2
	s_and_saveexec_b64 s[0:1], vcc
	s_cbranch_execnz .LBB1123_4
	s_branch .LBB1123_5
	.section	.rodata,"a",@progbits
	.p2align	6, 0x0
	.amdhsa_kernel _ZL41rocblas_syrkx_herkx_small_restrict_kernelIl19rocblas_complex_numIfELi16ELb0ELb0ELc67ELc76EKS1_S1_EviT_T0_PT6_S3_lS6_S3_lS4_PT7_S3_li
		.amdhsa_group_segment_fixed_size 4096
		.amdhsa_private_segment_fixed_size 0
		.amdhsa_kernarg_size 108
		.amdhsa_user_sgpr_count 6
		.amdhsa_user_sgpr_private_segment_buffer 1
		.amdhsa_user_sgpr_dispatch_ptr 0
		.amdhsa_user_sgpr_queue_ptr 0
		.amdhsa_user_sgpr_kernarg_segment_ptr 1
		.amdhsa_user_sgpr_dispatch_id 0
		.amdhsa_user_sgpr_flat_scratch_init 0
		.amdhsa_user_sgpr_private_segment_size 0
		.amdhsa_uses_dynamic_stack 0
		.amdhsa_system_sgpr_private_segment_wavefront_offset 0
		.amdhsa_system_sgpr_workgroup_id_x 1
		.amdhsa_system_sgpr_workgroup_id_y 1
		.amdhsa_system_sgpr_workgroup_id_z 1
		.amdhsa_system_sgpr_workgroup_info 0
		.amdhsa_system_vgpr_workitem_id 1
		.amdhsa_next_free_vgpr 37
		.amdhsa_next_free_sgpr 28
		.amdhsa_reserve_vcc 1
		.amdhsa_reserve_flat_scratch 0
		.amdhsa_float_round_mode_32 0
		.amdhsa_float_round_mode_16_64 0
		.amdhsa_float_denorm_mode_32 3
		.amdhsa_float_denorm_mode_16_64 3
		.amdhsa_dx10_clamp 1
		.amdhsa_ieee_mode 1
		.amdhsa_fp16_overflow 0
		.amdhsa_exception_fp_ieee_invalid_op 0
		.amdhsa_exception_fp_denorm_src 0
		.amdhsa_exception_fp_ieee_div_zero 0
		.amdhsa_exception_fp_ieee_overflow 0
		.amdhsa_exception_fp_ieee_underflow 0
		.amdhsa_exception_fp_ieee_inexact 0
		.amdhsa_exception_int_div_zero 0
	.end_amdhsa_kernel
	.section	.text._ZL41rocblas_syrkx_herkx_small_restrict_kernelIl19rocblas_complex_numIfELi16ELb0ELb0ELc67ELc76EKS1_S1_EviT_T0_PT6_S3_lS6_S3_lS4_PT7_S3_li,"axG",@progbits,_ZL41rocblas_syrkx_herkx_small_restrict_kernelIl19rocblas_complex_numIfELi16ELb0ELb0ELc67ELc76EKS1_S1_EviT_T0_PT6_S3_lS6_S3_lS4_PT7_S3_li,comdat
.Lfunc_end1123:
	.size	_ZL41rocblas_syrkx_herkx_small_restrict_kernelIl19rocblas_complex_numIfELi16ELb0ELb0ELc67ELc76EKS1_S1_EviT_T0_PT6_S3_lS6_S3_lS4_PT7_S3_li, .Lfunc_end1123-_ZL41rocblas_syrkx_herkx_small_restrict_kernelIl19rocblas_complex_numIfELi16ELb0ELb0ELc67ELc76EKS1_S1_EviT_T0_PT6_S3_lS6_S3_lS4_PT7_S3_li
                                        ; -- End function
	.set _ZL41rocblas_syrkx_herkx_small_restrict_kernelIl19rocblas_complex_numIfELi16ELb0ELb0ELc67ELc76EKS1_S1_EviT_T0_PT6_S3_lS6_S3_lS4_PT7_S3_li.num_vgpr, 37
	.set _ZL41rocblas_syrkx_herkx_small_restrict_kernelIl19rocblas_complex_numIfELi16ELb0ELb0ELc67ELc76EKS1_S1_EviT_T0_PT6_S3_lS6_S3_lS4_PT7_S3_li.num_agpr, 0
	.set _ZL41rocblas_syrkx_herkx_small_restrict_kernelIl19rocblas_complex_numIfELi16ELb0ELb0ELc67ELc76EKS1_S1_EviT_T0_PT6_S3_lS6_S3_lS4_PT7_S3_li.numbered_sgpr, 28
	.set _ZL41rocblas_syrkx_herkx_small_restrict_kernelIl19rocblas_complex_numIfELi16ELb0ELb0ELc67ELc76EKS1_S1_EviT_T0_PT6_S3_lS6_S3_lS4_PT7_S3_li.num_named_barrier, 0
	.set _ZL41rocblas_syrkx_herkx_small_restrict_kernelIl19rocblas_complex_numIfELi16ELb0ELb0ELc67ELc76EKS1_S1_EviT_T0_PT6_S3_lS6_S3_lS4_PT7_S3_li.private_seg_size, 0
	.set _ZL41rocblas_syrkx_herkx_small_restrict_kernelIl19rocblas_complex_numIfELi16ELb0ELb0ELc67ELc76EKS1_S1_EviT_T0_PT6_S3_lS6_S3_lS4_PT7_S3_li.uses_vcc, 1
	.set _ZL41rocblas_syrkx_herkx_small_restrict_kernelIl19rocblas_complex_numIfELi16ELb0ELb0ELc67ELc76EKS1_S1_EviT_T0_PT6_S3_lS6_S3_lS4_PT7_S3_li.uses_flat_scratch, 0
	.set _ZL41rocblas_syrkx_herkx_small_restrict_kernelIl19rocblas_complex_numIfELi16ELb0ELb0ELc67ELc76EKS1_S1_EviT_T0_PT6_S3_lS6_S3_lS4_PT7_S3_li.has_dyn_sized_stack, 0
	.set _ZL41rocblas_syrkx_herkx_small_restrict_kernelIl19rocblas_complex_numIfELi16ELb0ELb0ELc67ELc76EKS1_S1_EviT_T0_PT6_S3_lS6_S3_lS4_PT7_S3_li.has_recursion, 0
	.set _ZL41rocblas_syrkx_herkx_small_restrict_kernelIl19rocblas_complex_numIfELi16ELb0ELb0ELc67ELc76EKS1_S1_EviT_T0_PT6_S3_lS6_S3_lS4_PT7_S3_li.has_indirect_call, 0
	.section	.AMDGPU.csdata,"",@progbits
; Kernel info:
; codeLenInByte = 1220
; TotalNumSgprs: 32
; NumVgprs: 37
; ScratchSize: 0
; MemoryBound: 0
; FloatMode: 240
; IeeeMode: 1
; LDSByteSize: 4096 bytes/workgroup (compile time only)
; SGPRBlocks: 3
; VGPRBlocks: 9
; NumSGPRsForWavesPerEU: 32
; NumVGPRsForWavesPerEU: 37
; Occupancy: 6
; WaveLimiterHint : 0
; COMPUTE_PGM_RSRC2:SCRATCH_EN: 0
; COMPUTE_PGM_RSRC2:USER_SGPR: 6
; COMPUTE_PGM_RSRC2:TRAP_HANDLER: 0
; COMPUTE_PGM_RSRC2:TGID_X_EN: 1
; COMPUTE_PGM_RSRC2:TGID_Y_EN: 1
; COMPUTE_PGM_RSRC2:TGID_Z_EN: 1
; COMPUTE_PGM_RSRC2:TIDIG_COMP_CNT: 1
	.section	.text._ZL41rocblas_syrkx_herkx_small_restrict_kernelIl19rocblas_complex_numIfELi16ELb0ELb0ELc78ELc76EKS1_S1_EviT_T0_PT6_S3_lS6_S3_lS4_PT7_S3_li,"axG",@progbits,_ZL41rocblas_syrkx_herkx_small_restrict_kernelIl19rocblas_complex_numIfELi16ELb0ELb0ELc78ELc76EKS1_S1_EviT_T0_PT6_S3_lS6_S3_lS4_PT7_S3_li,comdat
	.globl	_ZL41rocblas_syrkx_herkx_small_restrict_kernelIl19rocblas_complex_numIfELi16ELb0ELb0ELc78ELc76EKS1_S1_EviT_T0_PT6_S3_lS6_S3_lS4_PT7_S3_li ; -- Begin function _ZL41rocblas_syrkx_herkx_small_restrict_kernelIl19rocblas_complex_numIfELi16ELb0ELb0ELc78ELc76EKS1_S1_EviT_T0_PT6_S3_lS6_S3_lS4_PT7_S3_li
	.p2align	8
	.type	_ZL41rocblas_syrkx_herkx_small_restrict_kernelIl19rocblas_complex_numIfELi16ELb0ELb0ELc78ELc76EKS1_S1_EviT_T0_PT6_S3_lS6_S3_lS4_PT7_S3_li,@function
_ZL41rocblas_syrkx_herkx_small_restrict_kernelIl19rocblas_complex_numIfELi16ELb0ELb0ELc78ELc76EKS1_S1_EviT_T0_PT6_S3_lS6_S3_lS4_PT7_S3_li: ; @_ZL41rocblas_syrkx_herkx_small_restrict_kernelIl19rocblas_complex_numIfELi16ELb0ELb0ELc78ELc76EKS1_S1_EviT_T0_PT6_S3_lS6_S3_lS4_PT7_S3_li
; %bb.0:
	s_load_dwordx16 s[12:27], s[4:5], 0x8
	v_lshl_add_u32 v2, s6, 4, v0
	v_lshl_add_u32 v4, s7, 4, v1
	v_ashrrev_i32_e32 v3, 31, v2
	v_ashrrev_i32_e32 v5, 31, v4
	s_waitcnt lgkmcnt(0)
	v_cmp_lt_i64_e64 s[0:1], s[12:13], 1
	s_and_b64 vcc, exec, s[0:1]
	s_cbranch_vccnz .LBB1124_6
; %bb.1:
	v_lshlrev_b32_e32 v6, 7, v1
	v_lshlrev_b32_e32 v10, 3, v0
	v_add_u32_e32 v11, v10, v6
	v_add_u32_e32 v12, 0x800, v6
	v_mad_u64_u32 v[6:7], s[0:1], s24, v0, 0
	s_mul_i32 s2, s27, s8
	s_mul_hi_u32 s3, s26, s8
	v_mad_u64_u32 v[7:8], s[0:1], s25, v0, v[7:8]
	s_add_i32 s1, s3, s2
	s_mul_i32 s0, s26, s8
	v_lshlrev_b64 v[6:7], 3, v[6:7]
	s_lshl_b64 s[0:1], s[0:1], 3
	v_mov_b32_e32 v0, s1
	v_add_co_u32_e32 v8, vcc, s0, v6
	v_addc_co_u32_e32 v0, vcc, v0, v7, vcc
	v_lshlrev_b64 v[6:7], 3, v[4:5]
	s_mul_i32 s6, s21, s8
	v_add_co_u32_e32 v6, vcc, v8, v6
	v_addc_co_u32_e32 v0, vcc, v0, v7, vcc
	v_mad_u64_u32 v[8:9], s[0:1], s18, v1, 0
	v_mov_b32_e32 v7, s23
	v_add_co_u32_e32 v6, vcc, s22, v6
	v_addc_co_u32_e32 v0, vcc, v7, v0, vcc
	v_add_co_u32_e32 v6, vcc, 4, v6
	v_addc_co_u32_e32 v7, vcc, 0, v0, vcc
	v_mov_b32_e32 v0, v9
	v_mad_u64_u32 v[0:1], s[2:3], s19, v1, v[0:1]
	s_mul_hi_u32 s7, s20, s8
	s_add_i32 s3, s7, s6
	v_mov_b32_e32 v9, v0
	s_mul_i32 s2, s20, s8
	v_lshlrev_b64 v[0:1], 3, v[8:9]
	s_lshl_b64 s[2:3], s[2:3], 3
	v_mov_b32_e32 v8, s3
	v_add_co_u32_e32 v9, vcc, s2, v0
	v_addc_co_u32_e32 v8, vcc, v8, v1, vcc
	v_lshlrev_b64 v[0:1], 3, v[2:3]
	s_lshl_b64 s[0:1], s[24:25], 7
	v_add_co_u32_e32 v0, vcc, v9, v0
	v_addc_co_u32_e32 v1, vcc, v8, v1, vcc
	v_mov_b32_e32 v8, s17
	v_add_co_u32_e32 v0, vcc, s16, v0
	v_addc_co_u32_e32 v1, vcc, v8, v1, vcc
	s_lshl_b64 s[2:3], s[18:19], 7
	v_mov_b32_e32 v8, s12
	v_add_u32_e32 v13, v12, v10
	v_mov_b32_e32 v16, 0
	s_mov_b64 s[6:7], 0
	v_mov_b32_e32 v14, s1
	v_mov_b32_e32 v15, s3
	;; [unrolled: 1-line block ×4, first 2 shown]
.LBB1124_2:                             ; =>This Inner Loop Header: Depth=1
	global_load_dwordx2 v[18:19], v[0:1], off
	s_add_u32 s6, s6, 16
	s_addc_u32 s7, s7, 0
	s_waitcnt vmcnt(0)
	ds_write_b64 v11, v[18:19]
	global_load_dwordx2 v[18:19], v[6:7], off offset:-4
	v_add_co_u32_e32 v6, vcc, s0, v6
	v_addc_co_u32_e32 v7, vcc, v7, v14, vcc
	v_add_co_u32_e32 v0, vcc, s2, v0
	v_addc_co_u32_e32 v1, vcc, v1, v15, vcc
	v_cmp_lt_i64_e32 vcc, s[6:7], v[8:9]
	s_and_b64 vcc, exec, vcc
	s_waitcnt vmcnt(0)
	ds_write_b64 v13, v[18:19]
	s_waitcnt lgkmcnt(0)
	s_barrier
	ds_read2_b64 v[18:21], v10 offset1:16
	ds_read_b128 v[22:25], v12
	ds_read_b128 v[26:29], v12 offset:16
	ds_read_b128 v[30:33], v12 offset:32
	;; [unrolled: 1-line block ×3, first 2 shown]
	s_waitcnt lgkmcnt(3)
	v_mul_f32_e32 v38, v23, v19
	v_mul_f32_e32 v19, v22, v19
	v_fmac_f32_e32 v19, v23, v18
	v_fma_f32 v38, v22, v18, -v38
	v_add_f32_e32 v16, v16, v19
	v_mul_f32_e32 v18, v25, v21
	v_mul_f32_e32 v19, v24, v21
	v_add_f32_e32 v17, v17, v38
	v_fma_f32 v18, v24, v20, -v18
	v_fmac_f32_e32 v19, v25, v20
	v_add_f32_e32 v20, v17, v18
	v_add_f32_e32 v21, v16, v19
	ds_read2_b64 v[16:19], v10 offset0:32 offset1:48
	s_waitcnt lgkmcnt(0)
	v_mul_f32_e32 v22, v27, v17
	v_fma_f32 v22, v26, v16, -v22
	v_mul_f32_e32 v17, v26, v17
	v_fmac_f32_e32 v17, v27, v16
	v_add_f32_e32 v16, v20, v22
	v_mul_f32_e32 v20, v29, v19
	v_mul_f32_e32 v19, v28, v19
	v_add_f32_e32 v17, v21, v17
	v_fma_f32 v20, v28, v18, -v20
	v_fmac_f32_e32 v19, v29, v18
	v_add_f32_e32 v20, v16, v20
	v_add_f32_e32 v21, v17, v19
	ds_read2_b64 v[16:19], v10 offset0:64 offset1:80
	s_waitcnt lgkmcnt(0)
	v_mul_f32_e32 v22, v31, v17
	v_fma_f32 v22, v30, v16, -v22
	v_mul_f32_e32 v17, v30, v17
	v_fmac_f32_e32 v17, v31, v16
	v_add_f32_e32 v16, v20, v22
	v_mul_f32_e32 v20, v33, v19
	v_mul_f32_e32 v19, v32, v19
	v_add_f32_e32 v17, v21, v17
	v_fma_f32 v20, v32, v18, -v20
	v_fmac_f32_e32 v19, v33, v18
	v_add_f32_e32 v20, v16, v20
	v_add_f32_e32 v21, v17, v19
	ds_read2_b64 v[16:19], v10 offset0:96 offset1:112
	s_waitcnt lgkmcnt(0)
	v_mul_f32_e32 v22, v35, v17
	v_fma_f32 v22, v34, v16, -v22
	v_mul_f32_e32 v17, v34, v17
	v_fmac_f32_e32 v17, v35, v16
	v_add_f32_e32 v16, v20, v22
	v_mul_f32_e32 v20, v37, v19
	v_mul_f32_e32 v19, v36, v19
	v_add_f32_e32 v17, v21, v17
	v_fma_f32 v20, v36, v18, -v20
	v_fmac_f32_e32 v19, v37, v18
	v_add_f32_e32 v24, v16, v20
	v_add_f32_e32 v25, v17, v19
	ds_read2_b64 v[16:19], v10 offset0:128 offset1:144
	ds_read_b128 v[20:23], v12 offset:64
	s_waitcnt lgkmcnt(0)
	v_mul_f32_e32 v26, v21, v17
	v_mul_f32_e32 v17, v20, v17
	v_fma_f32 v26, v20, v16, -v26
	v_fmac_f32_e32 v17, v21, v16
	v_mul_f32_e32 v20, v23, v19
	v_mul_f32_e32 v19, v22, v19
	v_add_f32_e32 v16, v24, v26
	v_add_f32_e32 v17, v25, v17
	v_fma_f32 v20, v22, v18, -v20
	v_fmac_f32_e32 v19, v23, v18
	v_add_f32_e32 v24, v16, v20
	v_add_f32_e32 v25, v17, v19
	ds_read2_b64 v[16:19], v10 offset0:160 offset1:176
	ds_read_b128 v[20:23], v12 offset:80
	s_waitcnt lgkmcnt(0)
	v_mul_f32_e32 v26, v21, v17
	v_mul_f32_e32 v17, v20, v17
	v_fma_f32 v26, v20, v16, -v26
	v_fmac_f32_e32 v17, v21, v16
	v_mul_f32_e32 v20, v23, v19
	v_mul_f32_e32 v19, v22, v19
	v_add_f32_e32 v16, v24, v26
	;; [unrolled: 15-line block ×3, first 2 shown]
	v_add_f32_e32 v17, v25, v17
	v_fma_f32 v20, v22, v18, -v20
	v_fmac_f32_e32 v19, v23, v18
	v_add_f32_e32 v24, v16, v20
	v_add_f32_e32 v25, v17, v19
	ds_read2_b64 v[16:19], v10 offset0:224 offset1:240
	ds_read_b128 v[20:23], v12 offset:112
	s_waitcnt lgkmcnt(0)
	s_barrier
	v_mul_f32_e32 v26, v21, v17
	v_mul_f32_e32 v17, v20, v17
	v_fmac_f32_e32 v17, v21, v16
	v_fma_f32 v26, v20, v16, -v26
	v_add_f32_e32 v20, v25, v17
	v_mul_f32_e32 v17, v23, v19
	v_mul_f32_e32 v19, v22, v19
	v_add_f32_e32 v16, v24, v26
	v_fma_f32 v17, v22, v18, -v17
	v_fmac_f32_e32 v19, v23, v18
	v_add_f32_e32 v17, v16, v17
	v_add_f32_e32 v16, v20, v19
	s_cbranch_vccnz .LBB1124_2
; %bb.3:
	s_load_dwordx8 s[16:23], s[4:5], 0x48
	v_cmp_le_i32_e32 vcc, v4, v2
	s_and_saveexec_b64 s[0:1], vcc
	s_cbranch_execz .LBB1124_5
.LBB1124_4:
	s_waitcnt lgkmcnt(0)
	v_mul_lo_u32 v6, s21, v4
	v_mul_lo_u32 v5, s20, v5
	v_mad_u64_u32 v[0:1], s[2:3], s20, v4, 0
	s_mul_i32 s0, s23, s8
	s_mul_hi_u32 s1, s22, s8
	s_add_i32 s1, s1, s0
	s_mul_i32 s0, s22, s8
	s_lshl_b64 s[0:1], s[0:1], 3
	v_add3_u32 v1, v1, v5, v6
	s_add_u32 s0, s18, s0
	v_lshlrev_b64 v[0:1], 3, v[0:1]
	s_addc_u32 s1, s19, s1
	v_mov_b32_e32 v4, s1
	v_add_co_u32_e32 v5, vcc, s0, v0
	v_addc_co_u32_e32 v4, vcc, v4, v1, vcc
	v_lshlrev_b64 v[0:1], 3, v[2:3]
	v_add_co_u32_e32 v0, vcc, v5, v0
	v_addc_co_u32_e32 v1, vcc, v4, v1, vcc
	global_load_dwordx2 v[2:3], v[0:1], off
	v_mul_f32_e32 v4, s15, v16
	v_mul_f32_e32 v5, s14, v16
	v_fma_f32 v4, v17, s14, -v4
	v_fmac_f32_e32 v5, s15, v17
	s_waitcnt vmcnt(0)
	v_mul_f32_e32 v6, s17, v3
	v_mul_f32_e32 v3, s16, v3
	v_fma_f32 v6, v2, s16, -v6
	v_fmac_f32_e32 v3, s17, v2
	v_add_f32_e32 v2, v4, v6
	v_add_f32_e32 v3, v5, v3
	global_store_dwordx2 v[0:1], v[2:3], off
.LBB1124_5:
	s_endpgm
.LBB1124_6:
	v_mov_b32_e32 v16, 0
	v_mov_b32_e32 v17, 0
	s_load_dwordx8 s[16:23], s[4:5], 0x48
	v_cmp_le_i32_e32 vcc, v4, v2
	s_and_saveexec_b64 s[0:1], vcc
	s_cbranch_execnz .LBB1124_4
	s_branch .LBB1124_5
	.section	.rodata,"a",@progbits
	.p2align	6, 0x0
	.amdhsa_kernel _ZL41rocblas_syrkx_herkx_small_restrict_kernelIl19rocblas_complex_numIfELi16ELb0ELb0ELc78ELc76EKS1_S1_EviT_T0_PT6_S3_lS6_S3_lS4_PT7_S3_li
		.amdhsa_group_segment_fixed_size 4096
		.amdhsa_private_segment_fixed_size 0
		.amdhsa_kernarg_size 108
		.amdhsa_user_sgpr_count 6
		.amdhsa_user_sgpr_private_segment_buffer 1
		.amdhsa_user_sgpr_dispatch_ptr 0
		.amdhsa_user_sgpr_queue_ptr 0
		.amdhsa_user_sgpr_kernarg_segment_ptr 1
		.amdhsa_user_sgpr_dispatch_id 0
		.amdhsa_user_sgpr_flat_scratch_init 0
		.amdhsa_user_sgpr_private_segment_size 0
		.amdhsa_uses_dynamic_stack 0
		.amdhsa_system_sgpr_private_segment_wavefront_offset 0
		.amdhsa_system_sgpr_workgroup_id_x 1
		.amdhsa_system_sgpr_workgroup_id_y 1
		.amdhsa_system_sgpr_workgroup_id_z 1
		.amdhsa_system_sgpr_workgroup_info 0
		.amdhsa_system_vgpr_workitem_id 1
		.amdhsa_next_free_vgpr 39
		.amdhsa_next_free_sgpr 28
		.amdhsa_reserve_vcc 1
		.amdhsa_reserve_flat_scratch 0
		.amdhsa_float_round_mode_32 0
		.amdhsa_float_round_mode_16_64 0
		.amdhsa_float_denorm_mode_32 3
		.amdhsa_float_denorm_mode_16_64 3
		.amdhsa_dx10_clamp 1
		.amdhsa_ieee_mode 1
		.amdhsa_fp16_overflow 0
		.amdhsa_exception_fp_ieee_invalid_op 0
		.amdhsa_exception_fp_denorm_src 0
		.amdhsa_exception_fp_ieee_div_zero 0
		.amdhsa_exception_fp_ieee_overflow 0
		.amdhsa_exception_fp_ieee_underflow 0
		.amdhsa_exception_fp_ieee_inexact 0
		.amdhsa_exception_int_div_zero 0
	.end_amdhsa_kernel
	.section	.text._ZL41rocblas_syrkx_herkx_small_restrict_kernelIl19rocblas_complex_numIfELi16ELb0ELb0ELc78ELc76EKS1_S1_EviT_T0_PT6_S3_lS6_S3_lS4_PT7_S3_li,"axG",@progbits,_ZL41rocblas_syrkx_herkx_small_restrict_kernelIl19rocblas_complex_numIfELi16ELb0ELb0ELc78ELc76EKS1_S1_EviT_T0_PT6_S3_lS6_S3_lS4_PT7_S3_li,comdat
.Lfunc_end1124:
	.size	_ZL41rocblas_syrkx_herkx_small_restrict_kernelIl19rocblas_complex_numIfELi16ELb0ELb0ELc78ELc76EKS1_S1_EviT_T0_PT6_S3_lS6_S3_lS4_PT7_S3_li, .Lfunc_end1124-_ZL41rocblas_syrkx_herkx_small_restrict_kernelIl19rocblas_complex_numIfELi16ELb0ELb0ELc78ELc76EKS1_S1_EviT_T0_PT6_S3_lS6_S3_lS4_PT7_S3_li
                                        ; -- End function
	.set _ZL41rocblas_syrkx_herkx_small_restrict_kernelIl19rocblas_complex_numIfELi16ELb0ELb0ELc78ELc76EKS1_S1_EviT_T0_PT6_S3_lS6_S3_lS4_PT7_S3_li.num_vgpr, 39
	.set _ZL41rocblas_syrkx_herkx_small_restrict_kernelIl19rocblas_complex_numIfELi16ELb0ELb0ELc78ELc76EKS1_S1_EviT_T0_PT6_S3_lS6_S3_lS4_PT7_S3_li.num_agpr, 0
	.set _ZL41rocblas_syrkx_herkx_small_restrict_kernelIl19rocblas_complex_numIfELi16ELb0ELb0ELc78ELc76EKS1_S1_EviT_T0_PT6_S3_lS6_S3_lS4_PT7_S3_li.numbered_sgpr, 28
	.set _ZL41rocblas_syrkx_herkx_small_restrict_kernelIl19rocblas_complex_numIfELi16ELb0ELb0ELc78ELc76EKS1_S1_EviT_T0_PT6_S3_lS6_S3_lS4_PT7_S3_li.num_named_barrier, 0
	.set _ZL41rocblas_syrkx_herkx_small_restrict_kernelIl19rocblas_complex_numIfELi16ELb0ELb0ELc78ELc76EKS1_S1_EviT_T0_PT6_S3_lS6_S3_lS4_PT7_S3_li.private_seg_size, 0
	.set _ZL41rocblas_syrkx_herkx_small_restrict_kernelIl19rocblas_complex_numIfELi16ELb0ELb0ELc78ELc76EKS1_S1_EviT_T0_PT6_S3_lS6_S3_lS4_PT7_S3_li.uses_vcc, 1
	.set _ZL41rocblas_syrkx_herkx_small_restrict_kernelIl19rocblas_complex_numIfELi16ELb0ELb0ELc78ELc76EKS1_S1_EviT_T0_PT6_S3_lS6_S3_lS4_PT7_S3_li.uses_flat_scratch, 0
	.set _ZL41rocblas_syrkx_herkx_small_restrict_kernelIl19rocblas_complex_numIfELi16ELb0ELb0ELc78ELc76EKS1_S1_EviT_T0_PT6_S3_lS6_S3_lS4_PT7_S3_li.has_dyn_sized_stack, 0
	.set _ZL41rocblas_syrkx_herkx_small_restrict_kernelIl19rocblas_complex_numIfELi16ELb0ELb0ELc78ELc76EKS1_S1_EviT_T0_PT6_S3_lS6_S3_lS4_PT7_S3_li.has_recursion, 0
	.set _ZL41rocblas_syrkx_herkx_small_restrict_kernelIl19rocblas_complex_numIfELi16ELb0ELb0ELc78ELc76EKS1_S1_EviT_T0_PT6_S3_lS6_S3_lS4_PT7_S3_li.has_indirect_call, 0
	.section	.AMDGPU.csdata,"",@progbits
; Kernel info:
; codeLenInByte = 1216
; TotalNumSgprs: 32
; NumVgprs: 39
; ScratchSize: 0
; MemoryBound: 0
; FloatMode: 240
; IeeeMode: 1
; LDSByteSize: 4096 bytes/workgroup (compile time only)
; SGPRBlocks: 3
; VGPRBlocks: 9
; NumSGPRsForWavesPerEU: 32
; NumVGPRsForWavesPerEU: 39
; Occupancy: 6
; WaveLimiterHint : 0
; COMPUTE_PGM_RSRC2:SCRATCH_EN: 0
; COMPUTE_PGM_RSRC2:USER_SGPR: 6
; COMPUTE_PGM_RSRC2:TRAP_HANDLER: 0
; COMPUTE_PGM_RSRC2:TGID_X_EN: 1
; COMPUTE_PGM_RSRC2:TGID_Y_EN: 1
; COMPUTE_PGM_RSRC2:TGID_Z_EN: 1
; COMPUTE_PGM_RSRC2:TIDIG_COMP_CNT: 1
	.section	.text._ZL41rocblas_syrkx_herkx_small_restrict_kernelIl19rocblas_complex_numIfELi16ELb0ELb0ELc84ELc85EKS1_S1_EviT_T0_PT6_S3_lS6_S3_lS4_PT7_S3_li,"axG",@progbits,_ZL41rocblas_syrkx_herkx_small_restrict_kernelIl19rocblas_complex_numIfELi16ELb0ELb0ELc84ELc85EKS1_S1_EviT_T0_PT6_S3_lS6_S3_lS4_PT7_S3_li,comdat
	.globl	_ZL41rocblas_syrkx_herkx_small_restrict_kernelIl19rocblas_complex_numIfELi16ELb0ELb0ELc84ELc85EKS1_S1_EviT_T0_PT6_S3_lS6_S3_lS4_PT7_S3_li ; -- Begin function _ZL41rocblas_syrkx_herkx_small_restrict_kernelIl19rocblas_complex_numIfELi16ELb0ELb0ELc84ELc85EKS1_S1_EviT_T0_PT6_S3_lS6_S3_lS4_PT7_S3_li
	.p2align	8
	.type	_ZL41rocblas_syrkx_herkx_small_restrict_kernelIl19rocblas_complex_numIfELi16ELb0ELb0ELc84ELc85EKS1_S1_EviT_T0_PT6_S3_lS6_S3_lS4_PT7_S3_li,@function
_ZL41rocblas_syrkx_herkx_small_restrict_kernelIl19rocblas_complex_numIfELi16ELb0ELb0ELc84ELc85EKS1_S1_EviT_T0_PT6_S3_lS6_S3_lS4_PT7_S3_li: ; @_ZL41rocblas_syrkx_herkx_small_restrict_kernelIl19rocblas_complex_numIfELi16ELb0ELb0ELc84ELc85EKS1_S1_EviT_T0_PT6_S3_lS6_S3_lS4_PT7_S3_li
; %bb.0:
	s_load_dwordx16 s[12:27], s[4:5], 0x8
	v_lshl_add_u32 v2, s6, 4, v0
	v_lshl_add_u32 v8, s7, 4, v1
	v_ashrrev_i32_e32 v3, 31, v2
	v_ashrrev_i32_e32 v9, 31, v8
	s_waitcnt lgkmcnt(0)
	v_cmp_lt_i64_e64 s[0:1], s[12:13], 1
	s_and_b64 vcc, exec, s[0:1]
	s_cbranch_vccnz .LBB1125_6
; %bb.1:
	v_lshlrev_b32_e32 v10, 3, v0
	v_mul_lo_u32 v0, s25, v8
	v_mul_lo_u32 v7, s24, v9
	v_mad_u64_u32 v[4:5], s[0:1], s24, v8, 0
	s_mul_i32 s0, s27, s8
	s_mul_hi_u32 s1, s26, s8
	v_add3_u32 v5, v5, v7, v0
	v_lshlrev_b64 v[4:5], 3, v[4:5]
	s_add_i32 s1, s1, s0
	s_mul_i32 s0, s26, s8
	v_lshlrev_b32_e32 v6, 7, v1
	s_lshl_b64 s[0:1], s[0:1], 3
	v_add_u32_e32 v11, v10, v6
	v_add_u32_e32 v12, 0x800, v6
	v_mov_b32_e32 v0, s1
	v_add_co_u32_e32 v4, vcc, s0, v4
	v_mul_lo_u32 v15, s19, v2
	v_mul_lo_u32 v16, s18, v3
	v_mad_u64_u32 v[6:7], s[0:1], s18, v2, 0
	v_addc_co_u32_e32 v0, vcc, v5, v0, vcc
	v_add_co_u32_e32 v4, vcc, v4, v10
	v_addc_co_u32_e32 v0, vcc, 0, v0, vcc
	v_add3_u32 v7, v7, v16, v15
	s_mul_i32 s0, s21, s8
	s_mul_hi_u32 s1, s20, s8
	v_mov_b32_e32 v5, s23
	v_add_co_u32_e32 v4, vcc, s22, v4
	v_lshlrev_b64 v[6:7], 3, v[6:7]
	s_add_i32 s1, s1, s0
	s_mul_i32 s0, s20, s8
	v_addc_co_u32_e32 v5, vcc, v5, v0, vcc
	s_lshl_b64 s[0:1], s[0:1], 3
	v_mov_b32_e32 v0, s1
	v_add_co_u32_e32 v6, vcc, s0, v6
	v_addc_co_u32_e32 v0, vcc, v7, v0, vcc
	v_lshlrev_b32_e32 v1, 3, v1
	v_add_co_u32_e32 v1, vcc, v6, v1
	v_addc_co_u32_e32 v6, vcc, 0, v0, vcc
	v_mov_b32_e32 v7, s17
	v_add_co_u32_e32 v0, vcc, s16, v1
	v_addc_co_u32_e32 v1, vcc, v7, v6, vcc
	v_mov_b32_e32 v6, s12
	v_add_u32_e32 v13, v12, v10
	v_mov_b32_e32 v14, 0
	s_mov_b64 s[0:1], 0
	v_mov_b32_e32 v7, s13
	v_mov_b32_e32 v15, 0
.LBB1125_2:                             ; =>This Inner Loop Header: Depth=1
	global_load_dwordx2 v[16:17], v[0:1], off
	s_add_u32 s0, s0, 16
	s_addc_u32 s1, s1, 0
	s_waitcnt vmcnt(0)
	ds_write_b64 v11, v[16:17]
	global_load_dwordx2 v[16:17], v[4:5], off
	v_add_co_u32_e32 v4, vcc, 0x80, v4
	v_addc_co_u32_e32 v5, vcc, 0, v5, vcc
	v_add_co_u32_e32 v0, vcc, 0x80, v0
	v_addc_co_u32_e32 v1, vcc, 0, v1, vcc
	v_cmp_lt_i64_e32 vcc, s[0:1], v[6:7]
	s_and_b64 vcc, exec, vcc
	s_waitcnt vmcnt(0)
	ds_write_b64 v13, v[16:17]
	s_waitcnt lgkmcnt(0)
	s_barrier
	ds_read2_b64 v[16:19], v10 offset1:16
	ds_read_b128 v[20:23], v12
	ds_read_b128 v[24:27], v12 offset:16
	ds_read_b128 v[28:31], v12 offset:32
	;; [unrolled: 1-line block ×3, first 2 shown]
	s_waitcnt lgkmcnt(3)
	v_mul_f32_e32 v36, v21, v17
	v_mul_f32_e32 v17, v20, v17
	v_fmac_f32_e32 v17, v21, v16
	v_fma_f32 v36, v20, v16, -v36
	v_add_f32_e32 v14, v14, v17
	v_mul_f32_e32 v16, v23, v19
	v_mul_f32_e32 v17, v22, v19
	v_add_f32_e32 v15, v15, v36
	v_fma_f32 v16, v22, v18, -v16
	v_fmac_f32_e32 v17, v23, v18
	v_add_f32_e32 v18, v15, v16
	v_add_f32_e32 v19, v14, v17
	ds_read2_b64 v[14:17], v10 offset0:32 offset1:48
	s_waitcnt lgkmcnt(0)
	v_mul_f32_e32 v20, v25, v15
	v_fma_f32 v20, v24, v14, -v20
	v_mul_f32_e32 v15, v24, v15
	v_fmac_f32_e32 v15, v25, v14
	v_add_f32_e32 v14, v18, v20
	v_mul_f32_e32 v18, v27, v17
	v_mul_f32_e32 v17, v26, v17
	v_add_f32_e32 v15, v19, v15
	v_fma_f32 v18, v26, v16, -v18
	v_fmac_f32_e32 v17, v27, v16
	v_add_f32_e32 v18, v14, v18
	v_add_f32_e32 v19, v15, v17
	ds_read2_b64 v[14:17], v10 offset0:64 offset1:80
	s_waitcnt lgkmcnt(0)
	v_mul_f32_e32 v20, v29, v15
	v_fma_f32 v20, v28, v14, -v20
	v_mul_f32_e32 v15, v28, v15
	v_fmac_f32_e32 v15, v29, v14
	;; [unrolled: 14-line block ×3, first 2 shown]
	v_add_f32_e32 v14, v18, v20
	v_mul_f32_e32 v18, v35, v17
	v_mul_f32_e32 v17, v34, v17
	v_add_f32_e32 v15, v19, v15
	v_fma_f32 v18, v34, v16, -v18
	v_fmac_f32_e32 v17, v35, v16
	v_add_f32_e32 v22, v14, v18
	v_add_f32_e32 v23, v15, v17
	ds_read2_b64 v[14:17], v10 offset0:128 offset1:144
	ds_read_b128 v[18:21], v12 offset:64
	s_waitcnt lgkmcnt(0)
	v_mul_f32_e32 v24, v19, v15
	v_mul_f32_e32 v15, v18, v15
	v_fma_f32 v24, v18, v14, -v24
	v_fmac_f32_e32 v15, v19, v14
	v_mul_f32_e32 v18, v21, v17
	v_mul_f32_e32 v17, v20, v17
	v_add_f32_e32 v14, v22, v24
	v_add_f32_e32 v15, v23, v15
	v_fma_f32 v18, v20, v16, -v18
	v_fmac_f32_e32 v17, v21, v16
	v_add_f32_e32 v22, v14, v18
	v_add_f32_e32 v23, v15, v17
	ds_read2_b64 v[14:17], v10 offset0:160 offset1:176
	ds_read_b128 v[18:21], v12 offset:80
	s_waitcnt lgkmcnt(0)
	v_mul_f32_e32 v24, v19, v15
	v_mul_f32_e32 v15, v18, v15
	v_fma_f32 v24, v18, v14, -v24
	v_fmac_f32_e32 v15, v19, v14
	v_mul_f32_e32 v18, v21, v17
	v_mul_f32_e32 v17, v20, v17
	v_add_f32_e32 v14, v22, v24
	;; [unrolled: 15-line block ×3, first 2 shown]
	v_add_f32_e32 v15, v23, v15
	v_fma_f32 v18, v20, v16, -v18
	v_fmac_f32_e32 v17, v21, v16
	v_add_f32_e32 v22, v14, v18
	v_add_f32_e32 v23, v15, v17
	ds_read2_b64 v[14:17], v10 offset0:224 offset1:240
	ds_read_b128 v[18:21], v12 offset:112
	s_waitcnt lgkmcnt(0)
	s_barrier
	v_mul_f32_e32 v24, v19, v15
	v_mul_f32_e32 v15, v18, v15
	v_fmac_f32_e32 v15, v19, v14
	v_fma_f32 v24, v18, v14, -v24
	v_add_f32_e32 v18, v23, v15
	v_mul_f32_e32 v15, v21, v17
	v_mul_f32_e32 v17, v20, v17
	v_add_f32_e32 v14, v22, v24
	v_fma_f32 v15, v20, v16, -v15
	v_fmac_f32_e32 v17, v21, v16
	v_add_f32_e32 v15, v14, v15
	v_add_f32_e32 v14, v18, v17
	s_cbranch_vccnz .LBB1125_2
; %bb.3:
	s_load_dwordx8 s[16:23], s[4:5], 0x48
	v_cmp_le_i32_e32 vcc, v2, v8
	s_and_saveexec_b64 s[0:1], vcc
	s_cbranch_execz .LBB1125_5
.LBB1125_4:
	s_waitcnt lgkmcnt(0)
	v_mul_lo_u32 v4, s21, v8
	v_mul_lo_u32 v5, s20, v9
	v_mad_u64_u32 v[0:1], s[2:3], s20, v8, 0
	s_mul_i32 s0, s23, s8
	s_mul_hi_u32 s1, s22, s8
	s_add_i32 s1, s1, s0
	s_mul_i32 s0, s22, s8
	s_lshl_b64 s[0:1], s[0:1], 3
	v_add3_u32 v1, v1, v5, v4
	s_add_u32 s0, s18, s0
	v_lshlrev_b64 v[0:1], 3, v[0:1]
	s_addc_u32 s1, s19, s1
	v_mov_b32_e32 v4, s1
	v_add_co_u32_e32 v5, vcc, s0, v0
	v_addc_co_u32_e32 v4, vcc, v4, v1, vcc
	v_lshlrev_b64 v[0:1], 3, v[2:3]
	v_add_co_u32_e32 v0, vcc, v5, v0
	v_addc_co_u32_e32 v1, vcc, v4, v1, vcc
	global_load_dwordx2 v[2:3], v[0:1], off
	v_mul_f32_e32 v4, s15, v14
	v_mul_f32_e32 v5, s14, v14
	v_fma_f32 v4, v15, s14, -v4
	v_fmac_f32_e32 v5, s15, v15
	s_waitcnt vmcnt(0)
	v_mul_f32_e32 v6, s17, v3
	v_mul_f32_e32 v3, s16, v3
	v_fma_f32 v6, v2, s16, -v6
	v_fmac_f32_e32 v3, s17, v2
	v_add_f32_e32 v2, v4, v6
	v_add_f32_e32 v3, v5, v3
	global_store_dwordx2 v[0:1], v[2:3], off
.LBB1125_5:
	s_endpgm
.LBB1125_6:
	v_mov_b32_e32 v14, 0
	v_mov_b32_e32 v15, 0
	s_load_dwordx8 s[16:23], s[4:5], 0x48
	v_cmp_le_i32_e32 vcc, v2, v8
	s_and_saveexec_b64 s[0:1], vcc
	s_cbranch_execnz .LBB1125_4
	s_branch .LBB1125_5
	.section	.rodata,"a",@progbits
	.p2align	6, 0x0
	.amdhsa_kernel _ZL41rocblas_syrkx_herkx_small_restrict_kernelIl19rocblas_complex_numIfELi16ELb0ELb0ELc84ELc85EKS1_S1_EviT_T0_PT6_S3_lS6_S3_lS4_PT7_S3_li
		.amdhsa_group_segment_fixed_size 4096
		.amdhsa_private_segment_fixed_size 0
		.amdhsa_kernarg_size 108
		.amdhsa_user_sgpr_count 6
		.amdhsa_user_sgpr_private_segment_buffer 1
		.amdhsa_user_sgpr_dispatch_ptr 0
		.amdhsa_user_sgpr_queue_ptr 0
		.amdhsa_user_sgpr_kernarg_segment_ptr 1
		.amdhsa_user_sgpr_dispatch_id 0
		.amdhsa_user_sgpr_flat_scratch_init 0
		.amdhsa_user_sgpr_private_segment_size 0
		.amdhsa_uses_dynamic_stack 0
		.amdhsa_system_sgpr_private_segment_wavefront_offset 0
		.amdhsa_system_sgpr_workgroup_id_x 1
		.amdhsa_system_sgpr_workgroup_id_y 1
		.amdhsa_system_sgpr_workgroup_id_z 1
		.amdhsa_system_sgpr_workgroup_info 0
		.amdhsa_system_vgpr_workitem_id 1
		.amdhsa_next_free_vgpr 37
		.amdhsa_next_free_sgpr 28
		.amdhsa_reserve_vcc 1
		.amdhsa_reserve_flat_scratch 0
		.amdhsa_float_round_mode_32 0
		.amdhsa_float_round_mode_16_64 0
		.amdhsa_float_denorm_mode_32 3
		.amdhsa_float_denorm_mode_16_64 3
		.amdhsa_dx10_clamp 1
		.amdhsa_ieee_mode 1
		.amdhsa_fp16_overflow 0
		.amdhsa_exception_fp_ieee_invalid_op 0
		.amdhsa_exception_fp_denorm_src 0
		.amdhsa_exception_fp_ieee_div_zero 0
		.amdhsa_exception_fp_ieee_overflow 0
		.amdhsa_exception_fp_ieee_underflow 0
		.amdhsa_exception_fp_ieee_inexact 0
		.amdhsa_exception_int_div_zero 0
	.end_amdhsa_kernel
	.section	.text._ZL41rocblas_syrkx_herkx_small_restrict_kernelIl19rocblas_complex_numIfELi16ELb0ELb0ELc84ELc85EKS1_S1_EviT_T0_PT6_S3_lS6_S3_lS4_PT7_S3_li,"axG",@progbits,_ZL41rocblas_syrkx_herkx_small_restrict_kernelIl19rocblas_complex_numIfELi16ELb0ELb0ELc84ELc85EKS1_S1_EviT_T0_PT6_S3_lS6_S3_lS4_PT7_S3_li,comdat
.Lfunc_end1125:
	.size	_ZL41rocblas_syrkx_herkx_small_restrict_kernelIl19rocblas_complex_numIfELi16ELb0ELb0ELc84ELc85EKS1_S1_EviT_T0_PT6_S3_lS6_S3_lS4_PT7_S3_li, .Lfunc_end1125-_ZL41rocblas_syrkx_herkx_small_restrict_kernelIl19rocblas_complex_numIfELi16ELb0ELb0ELc84ELc85EKS1_S1_EviT_T0_PT6_S3_lS6_S3_lS4_PT7_S3_li
                                        ; -- End function
	.set _ZL41rocblas_syrkx_herkx_small_restrict_kernelIl19rocblas_complex_numIfELi16ELb0ELb0ELc84ELc85EKS1_S1_EviT_T0_PT6_S3_lS6_S3_lS4_PT7_S3_li.num_vgpr, 37
	.set _ZL41rocblas_syrkx_herkx_small_restrict_kernelIl19rocblas_complex_numIfELi16ELb0ELb0ELc84ELc85EKS1_S1_EviT_T0_PT6_S3_lS6_S3_lS4_PT7_S3_li.num_agpr, 0
	.set _ZL41rocblas_syrkx_herkx_small_restrict_kernelIl19rocblas_complex_numIfELi16ELb0ELb0ELc84ELc85EKS1_S1_EviT_T0_PT6_S3_lS6_S3_lS4_PT7_S3_li.numbered_sgpr, 28
	.set _ZL41rocblas_syrkx_herkx_small_restrict_kernelIl19rocblas_complex_numIfELi16ELb0ELb0ELc84ELc85EKS1_S1_EviT_T0_PT6_S3_lS6_S3_lS4_PT7_S3_li.num_named_barrier, 0
	.set _ZL41rocblas_syrkx_herkx_small_restrict_kernelIl19rocblas_complex_numIfELi16ELb0ELb0ELc84ELc85EKS1_S1_EviT_T0_PT6_S3_lS6_S3_lS4_PT7_S3_li.private_seg_size, 0
	.set _ZL41rocblas_syrkx_herkx_small_restrict_kernelIl19rocblas_complex_numIfELi16ELb0ELb0ELc84ELc85EKS1_S1_EviT_T0_PT6_S3_lS6_S3_lS4_PT7_S3_li.uses_vcc, 1
	.set _ZL41rocblas_syrkx_herkx_small_restrict_kernelIl19rocblas_complex_numIfELi16ELb0ELb0ELc84ELc85EKS1_S1_EviT_T0_PT6_S3_lS6_S3_lS4_PT7_S3_li.uses_flat_scratch, 0
	.set _ZL41rocblas_syrkx_herkx_small_restrict_kernelIl19rocblas_complex_numIfELi16ELb0ELb0ELc84ELc85EKS1_S1_EviT_T0_PT6_S3_lS6_S3_lS4_PT7_S3_li.has_dyn_sized_stack, 0
	.set _ZL41rocblas_syrkx_herkx_small_restrict_kernelIl19rocblas_complex_numIfELi16ELb0ELb0ELc84ELc85EKS1_S1_EviT_T0_PT6_S3_lS6_S3_lS4_PT7_S3_li.has_recursion, 0
	.set _ZL41rocblas_syrkx_herkx_small_restrict_kernelIl19rocblas_complex_numIfELi16ELb0ELb0ELc84ELc85EKS1_S1_EviT_T0_PT6_S3_lS6_S3_lS4_PT7_S3_li.has_indirect_call, 0
	.section	.AMDGPU.csdata,"",@progbits
; Kernel info:
; codeLenInByte = 1212
; TotalNumSgprs: 32
; NumVgprs: 37
; ScratchSize: 0
; MemoryBound: 0
; FloatMode: 240
; IeeeMode: 1
; LDSByteSize: 4096 bytes/workgroup (compile time only)
; SGPRBlocks: 3
; VGPRBlocks: 9
; NumSGPRsForWavesPerEU: 32
; NumVGPRsForWavesPerEU: 37
; Occupancy: 6
; WaveLimiterHint : 0
; COMPUTE_PGM_RSRC2:SCRATCH_EN: 0
; COMPUTE_PGM_RSRC2:USER_SGPR: 6
; COMPUTE_PGM_RSRC2:TRAP_HANDLER: 0
; COMPUTE_PGM_RSRC2:TGID_X_EN: 1
; COMPUTE_PGM_RSRC2:TGID_Y_EN: 1
; COMPUTE_PGM_RSRC2:TGID_Z_EN: 1
; COMPUTE_PGM_RSRC2:TIDIG_COMP_CNT: 1
	.section	.text._ZL41rocblas_syrkx_herkx_small_restrict_kernelIl19rocblas_complex_numIfELi16ELb0ELb0ELc67ELc85EKS1_S1_EviT_T0_PT6_S3_lS6_S3_lS4_PT7_S3_li,"axG",@progbits,_ZL41rocblas_syrkx_herkx_small_restrict_kernelIl19rocblas_complex_numIfELi16ELb0ELb0ELc67ELc85EKS1_S1_EviT_T0_PT6_S3_lS6_S3_lS4_PT7_S3_li,comdat
	.globl	_ZL41rocblas_syrkx_herkx_small_restrict_kernelIl19rocblas_complex_numIfELi16ELb0ELb0ELc67ELc85EKS1_S1_EviT_T0_PT6_S3_lS6_S3_lS4_PT7_S3_li ; -- Begin function _ZL41rocblas_syrkx_herkx_small_restrict_kernelIl19rocblas_complex_numIfELi16ELb0ELb0ELc67ELc85EKS1_S1_EviT_T0_PT6_S3_lS6_S3_lS4_PT7_S3_li
	.p2align	8
	.type	_ZL41rocblas_syrkx_herkx_small_restrict_kernelIl19rocblas_complex_numIfELi16ELb0ELb0ELc67ELc85EKS1_S1_EviT_T0_PT6_S3_lS6_S3_lS4_PT7_S3_li,@function
_ZL41rocblas_syrkx_herkx_small_restrict_kernelIl19rocblas_complex_numIfELi16ELb0ELb0ELc67ELc85EKS1_S1_EviT_T0_PT6_S3_lS6_S3_lS4_PT7_S3_li: ; @_ZL41rocblas_syrkx_herkx_small_restrict_kernelIl19rocblas_complex_numIfELi16ELb0ELb0ELc67ELc85EKS1_S1_EviT_T0_PT6_S3_lS6_S3_lS4_PT7_S3_li
; %bb.0:
	s_load_dwordx16 s[12:27], s[4:5], 0x8
	v_lshl_add_u32 v2, s6, 4, v0
	v_lshl_add_u32 v8, s7, 4, v1
	v_ashrrev_i32_e32 v3, 31, v2
	v_ashrrev_i32_e32 v9, 31, v8
	s_waitcnt lgkmcnt(0)
	v_cmp_lt_i64_e64 s[0:1], s[12:13], 1
	s_and_b64 vcc, exec, s[0:1]
	s_cbranch_vccnz .LBB1126_6
; %bb.1:
	v_lshlrev_b32_e32 v10, 3, v0
	v_mul_lo_u32 v0, s25, v8
	v_mul_lo_u32 v7, s24, v9
	v_mad_u64_u32 v[4:5], s[0:1], s24, v8, 0
	s_mul_i32 s0, s27, s8
	s_mul_hi_u32 s1, s26, s8
	v_add3_u32 v5, v5, v7, v0
	v_lshlrev_b64 v[4:5], 3, v[4:5]
	s_add_i32 s1, s1, s0
	s_mul_i32 s0, s26, s8
	v_lshlrev_b32_e32 v6, 7, v1
	s_lshl_b64 s[0:1], s[0:1], 3
	v_add_u32_e32 v11, v10, v6
	v_add_u32_e32 v12, 0x800, v6
	v_mov_b32_e32 v0, s1
	v_add_co_u32_e32 v4, vcc, s0, v4
	v_mul_lo_u32 v15, s19, v2
	v_mul_lo_u32 v16, s18, v3
	v_mad_u64_u32 v[6:7], s[0:1], s18, v2, 0
	v_addc_co_u32_e32 v0, vcc, v5, v0, vcc
	v_add_co_u32_e32 v4, vcc, v4, v10
	v_addc_co_u32_e32 v0, vcc, 0, v0, vcc
	v_add3_u32 v7, v7, v16, v15
	s_mul_i32 s0, s21, s8
	s_mul_hi_u32 s1, s20, s8
	v_mov_b32_e32 v5, s23
	v_add_co_u32_e32 v4, vcc, s22, v4
	v_lshlrev_b64 v[6:7], 3, v[6:7]
	s_add_i32 s1, s1, s0
	s_mul_i32 s0, s20, s8
	v_addc_co_u32_e32 v5, vcc, v5, v0, vcc
	s_lshl_b64 s[0:1], s[0:1], 3
	v_mov_b32_e32 v0, s1
	v_add_co_u32_e32 v6, vcc, s0, v6
	v_addc_co_u32_e32 v0, vcc, v7, v0, vcc
	v_lshlrev_b32_e32 v1, 3, v1
	v_add_co_u32_e32 v1, vcc, v6, v1
	v_addc_co_u32_e32 v0, vcc, 0, v0, vcc
	v_mov_b32_e32 v6, s17
	v_add_co_u32_e32 v1, vcc, s16, v1
	v_addc_co_u32_e32 v6, vcc, v6, v0, vcc
	v_add_co_u32_e32 v0, vcc, 4, v1
	v_addc_co_u32_e32 v1, vcc, 0, v6, vcc
	v_mov_b32_e32 v6, s12
	v_add_u32_e32 v13, v12, v10
	v_mov_b32_e32 v14, 0
	s_mov_b64 s[0:1], 0
	v_mov_b32_e32 v7, s13
	v_mov_b32_e32 v15, 0
.LBB1126_2:                             ; =>This Inner Loop Header: Depth=1
	global_load_dwordx2 v[16:17], v[0:1], off offset:-4
	s_add_u32 s0, s0, 16
	s_addc_u32 s1, s1, 0
	s_waitcnt vmcnt(0)
	ds_write_b64 v11, v[16:17]
	global_load_dwordx2 v[16:17], v[4:5], off
	v_add_co_u32_e32 v4, vcc, 0x80, v4
	v_addc_co_u32_e32 v5, vcc, 0, v5, vcc
	v_add_co_u32_e32 v0, vcc, 0x80, v0
	v_addc_co_u32_e32 v1, vcc, 0, v1, vcc
	v_cmp_lt_i64_e32 vcc, s[0:1], v[6:7]
	s_and_b64 vcc, exec, vcc
	s_waitcnt vmcnt(0)
	ds_write_b64 v13, v[16:17]
	s_waitcnt lgkmcnt(0)
	s_barrier
	ds_read2_b64 v[16:19], v10 offset1:16
	ds_read_b128 v[20:23], v12
	ds_read_b128 v[24:27], v12 offset:16
	ds_read_b128 v[28:31], v12 offset:32
	;; [unrolled: 1-line block ×3, first 2 shown]
	s_waitcnt lgkmcnt(3)
	v_mul_f32_e32 v36, v21, v17
	v_mul_f32_e32 v17, v20, v17
	v_fmac_f32_e32 v17, v21, v16
	v_fma_f32 v36, v20, v16, -v36
	v_add_f32_e32 v14, v14, v17
	v_mul_f32_e32 v16, v23, v19
	v_mul_f32_e32 v17, v22, v19
	v_add_f32_e32 v15, v15, v36
	v_fma_f32 v16, v22, v18, -v16
	v_fmac_f32_e32 v17, v23, v18
	v_add_f32_e32 v18, v15, v16
	v_add_f32_e32 v19, v14, v17
	ds_read2_b64 v[14:17], v10 offset0:32 offset1:48
	s_waitcnt lgkmcnt(0)
	v_mul_f32_e32 v20, v25, v15
	v_fma_f32 v20, v24, v14, -v20
	v_mul_f32_e32 v15, v24, v15
	v_fmac_f32_e32 v15, v25, v14
	v_add_f32_e32 v14, v18, v20
	v_mul_f32_e32 v18, v27, v17
	v_mul_f32_e32 v17, v26, v17
	v_add_f32_e32 v15, v19, v15
	v_fma_f32 v18, v26, v16, -v18
	v_fmac_f32_e32 v17, v27, v16
	v_add_f32_e32 v18, v14, v18
	v_add_f32_e32 v19, v15, v17
	ds_read2_b64 v[14:17], v10 offset0:64 offset1:80
	s_waitcnt lgkmcnt(0)
	v_mul_f32_e32 v20, v29, v15
	v_fma_f32 v20, v28, v14, -v20
	v_mul_f32_e32 v15, v28, v15
	v_fmac_f32_e32 v15, v29, v14
	;; [unrolled: 14-line block ×3, first 2 shown]
	v_add_f32_e32 v14, v18, v20
	v_mul_f32_e32 v18, v35, v17
	v_mul_f32_e32 v17, v34, v17
	v_add_f32_e32 v15, v19, v15
	v_fma_f32 v18, v34, v16, -v18
	v_fmac_f32_e32 v17, v35, v16
	v_add_f32_e32 v22, v14, v18
	v_add_f32_e32 v23, v15, v17
	ds_read2_b64 v[14:17], v10 offset0:128 offset1:144
	ds_read_b128 v[18:21], v12 offset:64
	s_waitcnt lgkmcnt(0)
	v_mul_f32_e32 v24, v19, v15
	v_mul_f32_e32 v15, v18, v15
	v_fma_f32 v24, v18, v14, -v24
	v_fmac_f32_e32 v15, v19, v14
	v_mul_f32_e32 v18, v21, v17
	v_mul_f32_e32 v17, v20, v17
	v_add_f32_e32 v14, v22, v24
	v_add_f32_e32 v15, v23, v15
	v_fma_f32 v18, v20, v16, -v18
	v_fmac_f32_e32 v17, v21, v16
	v_add_f32_e32 v22, v14, v18
	v_add_f32_e32 v23, v15, v17
	ds_read2_b64 v[14:17], v10 offset0:160 offset1:176
	ds_read_b128 v[18:21], v12 offset:80
	s_waitcnt lgkmcnt(0)
	v_mul_f32_e32 v24, v19, v15
	v_mul_f32_e32 v15, v18, v15
	v_fma_f32 v24, v18, v14, -v24
	v_fmac_f32_e32 v15, v19, v14
	v_mul_f32_e32 v18, v21, v17
	v_mul_f32_e32 v17, v20, v17
	v_add_f32_e32 v14, v22, v24
	;; [unrolled: 15-line block ×3, first 2 shown]
	v_add_f32_e32 v15, v23, v15
	v_fma_f32 v18, v20, v16, -v18
	v_fmac_f32_e32 v17, v21, v16
	v_add_f32_e32 v22, v14, v18
	v_add_f32_e32 v23, v15, v17
	ds_read2_b64 v[14:17], v10 offset0:224 offset1:240
	ds_read_b128 v[18:21], v12 offset:112
	s_waitcnt lgkmcnt(0)
	s_barrier
	v_mul_f32_e32 v24, v19, v15
	v_mul_f32_e32 v15, v18, v15
	v_fmac_f32_e32 v15, v19, v14
	v_fma_f32 v24, v18, v14, -v24
	v_add_f32_e32 v18, v23, v15
	v_mul_f32_e32 v15, v21, v17
	v_mul_f32_e32 v17, v20, v17
	v_add_f32_e32 v14, v22, v24
	v_fma_f32 v15, v20, v16, -v15
	v_fmac_f32_e32 v17, v21, v16
	v_add_f32_e32 v15, v14, v15
	v_add_f32_e32 v14, v18, v17
	s_cbranch_vccnz .LBB1126_2
; %bb.3:
	s_load_dwordx8 s[16:23], s[4:5], 0x48
	v_cmp_le_i32_e32 vcc, v2, v8
	s_and_saveexec_b64 s[0:1], vcc
	s_cbranch_execz .LBB1126_5
.LBB1126_4:
	s_waitcnt lgkmcnt(0)
	v_mul_lo_u32 v4, s21, v8
	v_mul_lo_u32 v5, s20, v9
	v_mad_u64_u32 v[0:1], s[2:3], s20, v8, 0
	s_mul_i32 s0, s23, s8
	s_mul_hi_u32 s1, s22, s8
	s_add_i32 s1, s1, s0
	s_mul_i32 s0, s22, s8
	s_lshl_b64 s[0:1], s[0:1], 3
	v_add3_u32 v1, v1, v5, v4
	s_add_u32 s0, s18, s0
	v_lshlrev_b64 v[0:1], 3, v[0:1]
	s_addc_u32 s1, s19, s1
	v_mov_b32_e32 v4, s1
	v_add_co_u32_e32 v5, vcc, s0, v0
	v_addc_co_u32_e32 v4, vcc, v4, v1, vcc
	v_lshlrev_b64 v[0:1], 3, v[2:3]
	v_add_co_u32_e32 v0, vcc, v5, v0
	v_addc_co_u32_e32 v1, vcc, v4, v1, vcc
	global_load_dwordx2 v[2:3], v[0:1], off
	v_mul_f32_e32 v4, s15, v14
	v_mul_f32_e32 v5, s14, v14
	v_fma_f32 v4, v15, s14, -v4
	v_fmac_f32_e32 v5, s15, v15
	s_waitcnt vmcnt(0)
	v_mul_f32_e32 v6, s17, v3
	v_mul_f32_e32 v3, s16, v3
	v_fma_f32 v6, v2, s16, -v6
	v_fmac_f32_e32 v3, s17, v2
	v_add_f32_e32 v2, v4, v6
	v_add_f32_e32 v3, v5, v3
	global_store_dwordx2 v[0:1], v[2:3], off
.LBB1126_5:
	s_endpgm
.LBB1126_6:
	v_mov_b32_e32 v14, 0
	v_mov_b32_e32 v15, 0
	s_load_dwordx8 s[16:23], s[4:5], 0x48
	v_cmp_le_i32_e32 vcc, v2, v8
	s_and_saveexec_b64 s[0:1], vcc
	s_cbranch_execnz .LBB1126_4
	s_branch .LBB1126_5
	.section	.rodata,"a",@progbits
	.p2align	6, 0x0
	.amdhsa_kernel _ZL41rocblas_syrkx_herkx_small_restrict_kernelIl19rocblas_complex_numIfELi16ELb0ELb0ELc67ELc85EKS1_S1_EviT_T0_PT6_S3_lS6_S3_lS4_PT7_S3_li
		.amdhsa_group_segment_fixed_size 4096
		.amdhsa_private_segment_fixed_size 0
		.amdhsa_kernarg_size 108
		.amdhsa_user_sgpr_count 6
		.amdhsa_user_sgpr_private_segment_buffer 1
		.amdhsa_user_sgpr_dispatch_ptr 0
		.amdhsa_user_sgpr_queue_ptr 0
		.amdhsa_user_sgpr_kernarg_segment_ptr 1
		.amdhsa_user_sgpr_dispatch_id 0
		.amdhsa_user_sgpr_flat_scratch_init 0
		.amdhsa_user_sgpr_private_segment_size 0
		.amdhsa_uses_dynamic_stack 0
		.amdhsa_system_sgpr_private_segment_wavefront_offset 0
		.amdhsa_system_sgpr_workgroup_id_x 1
		.amdhsa_system_sgpr_workgroup_id_y 1
		.amdhsa_system_sgpr_workgroup_id_z 1
		.amdhsa_system_sgpr_workgroup_info 0
		.amdhsa_system_vgpr_workitem_id 1
		.amdhsa_next_free_vgpr 37
		.amdhsa_next_free_sgpr 28
		.amdhsa_reserve_vcc 1
		.amdhsa_reserve_flat_scratch 0
		.amdhsa_float_round_mode_32 0
		.amdhsa_float_round_mode_16_64 0
		.amdhsa_float_denorm_mode_32 3
		.amdhsa_float_denorm_mode_16_64 3
		.amdhsa_dx10_clamp 1
		.amdhsa_ieee_mode 1
		.amdhsa_fp16_overflow 0
		.amdhsa_exception_fp_ieee_invalid_op 0
		.amdhsa_exception_fp_denorm_src 0
		.amdhsa_exception_fp_ieee_div_zero 0
		.amdhsa_exception_fp_ieee_overflow 0
		.amdhsa_exception_fp_ieee_underflow 0
		.amdhsa_exception_fp_ieee_inexact 0
		.amdhsa_exception_int_div_zero 0
	.end_amdhsa_kernel
	.section	.text._ZL41rocblas_syrkx_herkx_small_restrict_kernelIl19rocblas_complex_numIfELi16ELb0ELb0ELc67ELc85EKS1_S1_EviT_T0_PT6_S3_lS6_S3_lS4_PT7_S3_li,"axG",@progbits,_ZL41rocblas_syrkx_herkx_small_restrict_kernelIl19rocblas_complex_numIfELi16ELb0ELb0ELc67ELc85EKS1_S1_EviT_T0_PT6_S3_lS6_S3_lS4_PT7_S3_li,comdat
.Lfunc_end1126:
	.size	_ZL41rocblas_syrkx_herkx_small_restrict_kernelIl19rocblas_complex_numIfELi16ELb0ELb0ELc67ELc85EKS1_S1_EviT_T0_PT6_S3_lS6_S3_lS4_PT7_S3_li, .Lfunc_end1126-_ZL41rocblas_syrkx_herkx_small_restrict_kernelIl19rocblas_complex_numIfELi16ELb0ELb0ELc67ELc85EKS1_S1_EviT_T0_PT6_S3_lS6_S3_lS4_PT7_S3_li
                                        ; -- End function
	.set _ZL41rocblas_syrkx_herkx_small_restrict_kernelIl19rocblas_complex_numIfELi16ELb0ELb0ELc67ELc85EKS1_S1_EviT_T0_PT6_S3_lS6_S3_lS4_PT7_S3_li.num_vgpr, 37
	.set _ZL41rocblas_syrkx_herkx_small_restrict_kernelIl19rocblas_complex_numIfELi16ELb0ELb0ELc67ELc85EKS1_S1_EviT_T0_PT6_S3_lS6_S3_lS4_PT7_S3_li.num_agpr, 0
	.set _ZL41rocblas_syrkx_herkx_small_restrict_kernelIl19rocblas_complex_numIfELi16ELb0ELb0ELc67ELc85EKS1_S1_EviT_T0_PT6_S3_lS6_S3_lS4_PT7_S3_li.numbered_sgpr, 28
	.set _ZL41rocblas_syrkx_herkx_small_restrict_kernelIl19rocblas_complex_numIfELi16ELb0ELb0ELc67ELc85EKS1_S1_EviT_T0_PT6_S3_lS6_S3_lS4_PT7_S3_li.num_named_barrier, 0
	.set _ZL41rocblas_syrkx_herkx_small_restrict_kernelIl19rocblas_complex_numIfELi16ELb0ELb0ELc67ELc85EKS1_S1_EviT_T0_PT6_S3_lS6_S3_lS4_PT7_S3_li.private_seg_size, 0
	.set _ZL41rocblas_syrkx_herkx_small_restrict_kernelIl19rocblas_complex_numIfELi16ELb0ELb0ELc67ELc85EKS1_S1_EviT_T0_PT6_S3_lS6_S3_lS4_PT7_S3_li.uses_vcc, 1
	.set _ZL41rocblas_syrkx_herkx_small_restrict_kernelIl19rocblas_complex_numIfELi16ELb0ELb0ELc67ELc85EKS1_S1_EviT_T0_PT6_S3_lS6_S3_lS4_PT7_S3_li.uses_flat_scratch, 0
	.set _ZL41rocblas_syrkx_herkx_small_restrict_kernelIl19rocblas_complex_numIfELi16ELb0ELb0ELc67ELc85EKS1_S1_EviT_T0_PT6_S3_lS6_S3_lS4_PT7_S3_li.has_dyn_sized_stack, 0
	.set _ZL41rocblas_syrkx_herkx_small_restrict_kernelIl19rocblas_complex_numIfELi16ELb0ELb0ELc67ELc85EKS1_S1_EviT_T0_PT6_S3_lS6_S3_lS4_PT7_S3_li.has_recursion, 0
	.set _ZL41rocblas_syrkx_herkx_small_restrict_kernelIl19rocblas_complex_numIfELi16ELb0ELb0ELc67ELc85EKS1_S1_EviT_T0_PT6_S3_lS6_S3_lS4_PT7_S3_li.has_indirect_call, 0
	.section	.AMDGPU.csdata,"",@progbits
; Kernel info:
; codeLenInByte = 1220
; TotalNumSgprs: 32
; NumVgprs: 37
; ScratchSize: 0
; MemoryBound: 0
; FloatMode: 240
; IeeeMode: 1
; LDSByteSize: 4096 bytes/workgroup (compile time only)
; SGPRBlocks: 3
; VGPRBlocks: 9
; NumSGPRsForWavesPerEU: 32
; NumVGPRsForWavesPerEU: 37
; Occupancy: 6
; WaveLimiterHint : 0
; COMPUTE_PGM_RSRC2:SCRATCH_EN: 0
; COMPUTE_PGM_RSRC2:USER_SGPR: 6
; COMPUTE_PGM_RSRC2:TRAP_HANDLER: 0
; COMPUTE_PGM_RSRC2:TGID_X_EN: 1
; COMPUTE_PGM_RSRC2:TGID_Y_EN: 1
; COMPUTE_PGM_RSRC2:TGID_Z_EN: 1
; COMPUTE_PGM_RSRC2:TIDIG_COMP_CNT: 1
	.section	.text._ZL41rocblas_syrkx_herkx_small_restrict_kernelIl19rocblas_complex_numIfELi16ELb0ELb0ELc78ELc85EKS1_S1_EviT_T0_PT6_S3_lS6_S3_lS4_PT7_S3_li,"axG",@progbits,_ZL41rocblas_syrkx_herkx_small_restrict_kernelIl19rocblas_complex_numIfELi16ELb0ELb0ELc78ELc85EKS1_S1_EviT_T0_PT6_S3_lS6_S3_lS4_PT7_S3_li,comdat
	.globl	_ZL41rocblas_syrkx_herkx_small_restrict_kernelIl19rocblas_complex_numIfELi16ELb0ELb0ELc78ELc85EKS1_S1_EviT_T0_PT6_S3_lS6_S3_lS4_PT7_S3_li ; -- Begin function _ZL41rocblas_syrkx_herkx_small_restrict_kernelIl19rocblas_complex_numIfELi16ELb0ELb0ELc78ELc85EKS1_S1_EviT_T0_PT6_S3_lS6_S3_lS4_PT7_S3_li
	.p2align	8
	.type	_ZL41rocblas_syrkx_herkx_small_restrict_kernelIl19rocblas_complex_numIfELi16ELb0ELb0ELc78ELc85EKS1_S1_EviT_T0_PT6_S3_lS6_S3_lS4_PT7_S3_li,@function
_ZL41rocblas_syrkx_herkx_small_restrict_kernelIl19rocblas_complex_numIfELi16ELb0ELb0ELc78ELc85EKS1_S1_EviT_T0_PT6_S3_lS6_S3_lS4_PT7_S3_li: ; @_ZL41rocblas_syrkx_herkx_small_restrict_kernelIl19rocblas_complex_numIfELi16ELb0ELb0ELc78ELc85EKS1_S1_EviT_T0_PT6_S3_lS6_S3_lS4_PT7_S3_li
; %bb.0:
	s_load_dwordx16 s[12:27], s[4:5], 0x8
	v_lshl_add_u32 v2, s6, 4, v0
	v_lshl_add_u32 v4, s7, 4, v1
	v_ashrrev_i32_e32 v3, 31, v2
	v_ashrrev_i32_e32 v5, 31, v4
	s_waitcnt lgkmcnt(0)
	v_cmp_lt_i64_e64 s[0:1], s[12:13], 1
	s_and_b64 vcc, exec, s[0:1]
	s_cbranch_vccnz .LBB1127_6
; %bb.1:
	v_lshlrev_b32_e32 v6, 7, v1
	v_lshlrev_b32_e32 v10, 3, v0
	v_add_u32_e32 v11, v10, v6
	v_add_u32_e32 v12, 0x800, v6
	v_mad_u64_u32 v[6:7], s[0:1], s24, v0, 0
	s_mul_i32 s2, s27, s8
	s_mul_hi_u32 s3, s26, s8
	v_mad_u64_u32 v[7:8], s[0:1], s25, v0, v[7:8]
	s_add_i32 s1, s3, s2
	s_mul_i32 s0, s26, s8
	v_lshlrev_b64 v[6:7], 3, v[6:7]
	s_lshl_b64 s[0:1], s[0:1], 3
	v_mov_b32_e32 v0, s1
	v_add_co_u32_e32 v8, vcc, s0, v6
	v_addc_co_u32_e32 v0, vcc, v0, v7, vcc
	v_lshlrev_b64 v[6:7], 3, v[4:5]
	s_mul_i32 s6, s21, s8
	v_add_co_u32_e32 v6, vcc, v8, v6
	v_addc_co_u32_e32 v0, vcc, v0, v7, vcc
	v_mad_u64_u32 v[8:9], s[0:1], s18, v1, 0
	v_mov_b32_e32 v7, s23
	v_add_co_u32_e32 v6, vcc, s22, v6
	v_addc_co_u32_e32 v0, vcc, v7, v0, vcc
	v_add_co_u32_e32 v6, vcc, 4, v6
	v_addc_co_u32_e32 v7, vcc, 0, v0, vcc
	v_mov_b32_e32 v0, v9
	v_mad_u64_u32 v[0:1], s[2:3], s19, v1, v[0:1]
	s_mul_hi_u32 s7, s20, s8
	s_add_i32 s3, s7, s6
	v_mov_b32_e32 v9, v0
	s_mul_i32 s2, s20, s8
	v_lshlrev_b64 v[0:1], 3, v[8:9]
	s_lshl_b64 s[2:3], s[2:3], 3
	v_mov_b32_e32 v8, s3
	v_add_co_u32_e32 v9, vcc, s2, v0
	v_addc_co_u32_e32 v8, vcc, v8, v1, vcc
	v_lshlrev_b64 v[0:1], 3, v[2:3]
	s_lshl_b64 s[0:1], s[24:25], 7
	v_add_co_u32_e32 v0, vcc, v9, v0
	v_addc_co_u32_e32 v1, vcc, v8, v1, vcc
	v_mov_b32_e32 v8, s17
	v_add_co_u32_e32 v0, vcc, s16, v0
	v_addc_co_u32_e32 v1, vcc, v8, v1, vcc
	s_lshl_b64 s[2:3], s[18:19], 7
	v_mov_b32_e32 v8, s12
	v_add_u32_e32 v13, v12, v10
	v_mov_b32_e32 v16, 0
	s_mov_b64 s[6:7], 0
	v_mov_b32_e32 v14, s1
	v_mov_b32_e32 v15, s3
	;; [unrolled: 1-line block ×4, first 2 shown]
.LBB1127_2:                             ; =>This Inner Loop Header: Depth=1
	global_load_dwordx2 v[18:19], v[0:1], off
	s_add_u32 s6, s6, 16
	s_addc_u32 s7, s7, 0
	s_waitcnt vmcnt(0)
	ds_write_b64 v11, v[18:19]
	global_load_dwordx2 v[18:19], v[6:7], off offset:-4
	v_add_co_u32_e32 v6, vcc, s0, v6
	v_addc_co_u32_e32 v7, vcc, v7, v14, vcc
	v_add_co_u32_e32 v0, vcc, s2, v0
	v_addc_co_u32_e32 v1, vcc, v1, v15, vcc
	v_cmp_lt_i64_e32 vcc, s[6:7], v[8:9]
	s_and_b64 vcc, exec, vcc
	s_waitcnt vmcnt(0)
	ds_write_b64 v13, v[18:19]
	s_waitcnt lgkmcnt(0)
	s_barrier
	ds_read2_b64 v[18:21], v10 offset1:16
	ds_read_b128 v[22:25], v12
	ds_read_b128 v[26:29], v12 offset:16
	ds_read_b128 v[30:33], v12 offset:32
	;; [unrolled: 1-line block ×3, first 2 shown]
	s_waitcnt lgkmcnt(3)
	v_mul_f32_e32 v38, v23, v19
	v_mul_f32_e32 v19, v22, v19
	v_fmac_f32_e32 v19, v23, v18
	v_fma_f32 v38, v22, v18, -v38
	v_add_f32_e32 v16, v16, v19
	v_mul_f32_e32 v18, v25, v21
	v_mul_f32_e32 v19, v24, v21
	v_add_f32_e32 v17, v17, v38
	v_fma_f32 v18, v24, v20, -v18
	v_fmac_f32_e32 v19, v25, v20
	v_add_f32_e32 v20, v17, v18
	v_add_f32_e32 v21, v16, v19
	ds_read2_b64 v[16:19], v10 offset0:32 offset1:48
	s_waitcnt lgkmcnt(0)
	v_mul_f32_e32 v22, v27, v17
	v_fma_f32 v22, v26, v16, -v22
	v_mul_f32_e32 v17, v26, v17
	v_fmac_f32_e32 v17, v27, v16
	v_add_f32_e32 v16, v20, v22
	v_mul_f32_e32 v20, v29, v19
	v_mul_f32_e32 v19, v28, v19
	v_add_f32_e32 v17, v21, v17
	v_fma_f32 v20, v28, v18, -v20
	v_fmac_f32_e32 v19, v29, v18
	v_add_f32_e32 v20, v16, v20
	v_add_f32_e32 v21, v17, v19
	ds_read2_b64 v[16:19], v10 offset0:64 offset1:80
	s_waitcnt lgkmcnt(0)
	v_mul_f32_e32 v22, v31, v17
	v_fma_f32 v22, v30, v16, -v22
	v_mul_f32_e32 v17, v30, v17
	v_fmac_f32_e32 v17, v31, v16
	;; [unrolled: 14-line block ×3, first 2 shown]
	v_add_f32_e32 v16, v20, v22
	v_mul_f32_e32 v20, v37, v19
	v_mul_f32_e32 v19, v36, v19
	v_add_f32_e32 v17, v21, v17
	v_fma_f32 v20, v36, v18, -v20
	v_fmac_f32_e32 v19, v37, v18
	v_add_f32_e32 v24, v16, v20
	v_add_f32_e32 v25, v17, v19
	ds_read2_b64 v[16:19], v10 offset0:128 offset1:144
	ds_read_b128 v[20:23], v12 offset:64
	s_waitcnt lgkmcnt(0)
	v_mul_f32_e32 v26, v21, v17
	v_mul_f32_e32 v17, v20, v17
	v_fma_f32 v26, v20, v16, -v26
	v_fmac_f32_e32 v17, v21, v16
	v_mul_f32_e32 v20, v23, v19
	v_mul_f32_e32 v19, v22, v19
	v_add_f32_e32 v16, v24, v26
	v_add_f32_e32 v17, v25, v17
	v_fma_f32 v20, v22, v18, -v20
	v_fmac_f32_e32 v19, v23, v18
	v_add_f32_e32 v24, v16, v20
	v_add_f32_e32 v25, v17, v19
	ds_read2_b64 v[16:19], v10 offset0:160 offset1:176
	ds_read_b128 v[20:23], v12 offset:80
	s_waitcnt lgkmcnt(0)
	v_mul_f32_e32 v26, v21, v17
	v_mul_f32_e32 v17, v20, v17
	v_fma_f32 v26, v20, v16, -v26
	v_fmac_f32_e32 v17, v21, v16
	v_mul_f32_e32 v20, v23, v19
	v_mul_f32_e32 v19, v22, v19
	v_add_f32_e32 v16, v24, v26
	;; [unrolled: 15-line block ×3, first 2 shown]
	v_add_f32_e32 v17, v25, v17
	v_fma_f32 v20, v22, v18, -v20
	v_fmac_f32_e32 v19, v23, v18
	v_add_f32_e32 v24, v16, v20
	v_add_f32_e32 v25, v17, v19
	ds_read2_b64 v[16:19], v10 offset0:224 offset1:240
	ds_read_b128 v[20:23], v12 offset:112
	s_waitcnt lgkmcnt(0)
	s_barrier
	v_mul_f32_e32 v26, v21, v17
	v_mul_f32_e32 v17, v20, v17
	v_fmac_f32_e32 v17, v21, v16
	v_fma_f32 v26, v20, v16, -v26
	v_add_f32_e32 v20, v25, v17
	v_mul_f32_e32 v17, v23, v19
	v_mul_f32_e32 v19, v22, v19
	v_add_f32_e32 v16, v24, v26
	v_fma_f32 v17, v22, v18, -v17
	v_fmac_f32_e32 v19, v23, v18
	v_add_f32_e32 v17, v16, v17
	v_add_f32_e32 v16, v20, v19
	s_cbranch_vccnz .LBB1127_2
; %bb.3:
	s_load_dwordx8 s[16:23], s[4:5], 0x48
	v_cmp_le_i32_e32 vcc, v2, v4
	s_and_saveexec_b64 s[0:1], vcc
	s_cbranch_execz .LBB1127_5
.LBB1127_4:
	s_waitcnt lgkmcnt(0)
	v_mul_lo_u32 v6, s21, v4
	v_mul_lo_u32 v5, s20, v5
	v_mad_u64_u32 v[0:1], s[2:3], s20, v4, 0
	s_mul_i32 s0, s23, s8
	s_mul_hi_u32 s1, s22, s8
	s_add_i32 s1, s1, s0
	s_mul_i32 s0, s22, s8
	s_lshl_b64 s[0:1], s[0:1], 3
	v_add3_u32 v1, v1, v5, v6
	s_add_u32 s0, s18, s0
	v_lshlrev_b64 v[0:1], 3, v[0:1]
	s_addc_u32 s1, s19, s1
	v_mov_b32_e32 v4, s1
	v_add_co_u32_e32 v5, vcc, s0, v0
	v_addc_co_u32_e32 v4, vcc, v4, v1, vcc
	v_lshlrev_b64 v[0:1], 3, v[2:3]
	v_add_co_u32_e32 v0, vcc, v5, v0
	v_addc_co_u32_e32 v1, vcc, v4, v1, vcc
	global_load_dwordx2 v[2:3], v[0:1], off
	v_mul_f32_e32 v4, s15, v16
	v_mul_f32_e32 v5, s14, v16
	v_fma_f32 v4, v17, s14, -v4
	v_fmac_f32_e32 v5, s15, v17
	s_waitcnt vmcnt(0)
	v_mul_f32_e32 v6, s17, v3
	v_mul_f32_e32 v3, s16, v3
	v_fma_f32 v6, v2, s16, -v6
	v_fmac_f32_e32 v3, s17, v2
	v_add_f32_e32 v2, v4, v6
	v_add_f32_e32 v3, v5, v3
	global_store_dwordx2 v[0:1], v[2:3], off
.LBB1127_5:
	s_endpgm
.LBB1127_6:
	v_mov_b32_e32 v16, 0
	v_mov_b32_e32 v17, 0
	s_load_dwordx8 s[16:23], s[4:5], 0x48
	v_cmp_le_i32_e32 vcc, v2, v4
	s_and_saveexec_b64 s[0:1], vcc
	s_cbranch_execnz .LBB1127_4
	s_branch .LBB1127_5
	.section	.rodata,"a",@progbits
	.p2align	6, 0x0
	.amdhsa_kernel _ZL41rocblas_syrkx_herkx_small_restrict_kernelIl19rocblas_complex_numIfELi16ELb0ELb0ELc78ELc85EKS1_S1_EviT_T0_PT6_S3_lS6_S3_lS4_PT7_S3_li
		.amdhsa_group_segment_fixed_size 4096
		.amdhsa_private_segment_fixed_size 0
		.amdhsa_kernarg_size 108
		.amdhsa_user_sgpr_count 6
		.amdhsa_user_sgpr_private_segment_buffer 1
		.amdhsa_user_sgpr_dispatch_ptr 0
		.amdhsa_user_sgpr_queue_ptr 0
		.amdhsa_user_sgpr_kernarg_segment_ptr 1
		.amdhsa_user_sgpr_dispatch_id 0
		.amdhsa_user_sgpr_flat_scratch_init 0
		.amdhsa_user_sgpr_private_segment_size 0
		.amdhsa_uses_dynamic_stack 0
		.amdhsa_system_sgpr_private_segment_wavefront_offset 0
		.amdhsa_system_sgpr_workgroup_id_x 1
		.amdhsa_system_sgpr_workgroup_id_y 1
		.amdhsa_system_sgpr_workgroup_id_z 1
		.amdhsa_system_sgpr_workgroup_info 0
		.amdhsa_system_vgpr_workitem_id 1
		.amdhsa_next_free_vgpr 39
		.amdhsa_next_free_sgpr 28
		.amdhsa_reserve_vcc 1
		.amdhsa_reserve_flat_scratch 0
		.amdhsa_float_round_mode_32 0
		.amdhsa_float_round_mode_16_64 0
		.amdhsa_float_denorm_mode_32 3
		.amdhsa_float_denorm_mode_16_64 3
		.amdhsa_dx10_clamp 1
		.amdhsa_ieee_mode 1
		.amdhsa_fp16_overflow 0
		.amdhsa_exception_fp_ieee_invalid_op 0
		.amdhsa_exception_fp_denorm_src 0
		.amdhsa_exception_fp_ieee_div_zero 0
		.amdhsa_exception_fp_ieee_overflow 0
		.amdhsa_exception_fp_ieee_underflow 0
		.amdhsa_exception_fp_ieee_inexact 0
		.amdhsa_exception_int_div_zero 0
	.end_amdhsa_kernel
	.section	.text._ZL41rocblas_syrkx_herkx_small_restrict_kernelIl19rocblas_complex_numIfELi16ELb0ELb0ELc78ELc85EKS1_S1_EviT_T0_PT6_S3_lS6_S3_lS4_PT7_S3_li,"axG",@progbits,_ZL41rocblas_syrkx_herkx_small_restrict_kernelIl19rocblas_complex_numIfELi16ELb0ELb0ELc78ELc85EKS1_S1_EviT_T0_PT6_S3_lS6_S3_lS4_PT7_S3_li,comdat
.Lfunc_end1127:
	.size	_ZL41rocblas_syrkx_herkx_small_restrict_kernelIl19rocblas_complex_numIfELi16ELb0ELb0ELc78ELc85EKS1_S1_EviT_T0_PT6_S3_lS6_S3_lS4_PT7_S3_li, .Lfunc_end1127-_ZL41rocblas_syrkx_herkx_small_restrict_kernelIl19rocblas_complex_numIfELi16ELb0ELb0ELc78ELc85EKS1_S1_EviT_T0_PT6_S3_lS6_S3_lS4_PT7_S3_li
                                        ; -- End function
	.set _ZL41rocblas_syrkx_herkx_small_restrict_kernelIl19rocblas_complex_numIfELi16ELb0ELb0ELc78ELc85EKS1_S1_EviT_T0_PT6_S3_lS6_S3_lS4_PT7_S3_li.num_vgpr, 39
	.set _ZL41rocblas_syrkx_herkx_small_restrict_kernelIl19rocblas_complex_numIfELi16ELb0ELb0ELc78ELc85EKS1_S1_EviT_T0_PT6_S3_lS6_S3_lS4_PT7_S3_li.num_agpr, 0
	.set _ZL41rocblas_syrkx_herkx_small_restrict_kernelIl19rocblas_complex_numIfELi16ELb0ELb0ELc78ELc85EKS1_S1_EviT_T0_PT6_S3_lS6_S3_lS4_PT7_S3_li.numbered_sgpr, 28
	.set _ZL41rocblas_syrkx_herkx_small_restrict_kernelIl19rocblas_complex_numIfELi16ELb0ELb0ELc78ELc85EKS1_S1_EviT_T0_PT6_S3_lS6_S3_lS4_PT7_S3_li.num_named_barrier, 0
	.set _ZL41rocblas_syrkx_herkx_small_restrict_kernelIl19rocblas_complex_numIfELi16ELb0ELb0ELc78ELc85EKS1_S1_EviT_T0_PT6_S3_lS6_S3_lS4_PT7_S3_li.private_seg_size, 0
	.set _ZL41rocblas_syrkx_herkx_small_restrict_kernelIl19rocblas_complex_numIfELi16ELb0ELb0ELc78ELc85EKS1_S1_EviT_T0_PT6_S3_lS6_S3_lS4_PT7_S3_li.uses_vcc, 1
	.set _ZL41rocblas_syrkx_herkx_small_restrict_kernelIl19rocblas_complex_numIfELi16ELb0ELb0ELc78ELc85EKS1_S1_EviT_T0_PT6_S3_lS6_S3_lS4_PT7_S3_li.uses_flat_scratch, 0
	.set _ZL41rocblas_syrkx_herkx_small_restrict_kernelIl19rocblas_complex_numIfELi16ELb0ELb0ELc78ELc85EKS1_S1_EviT_T0_PT6_S3_lS6_S3_lS4_PT7_S3_li.has_dyn_sized_stack, 0
	.set _ZL41rocblas_syrkx_herkx_small_restrict_kernelIl19rocblas_complex_numIfELi16ELb0ELb0ELc78ELc85EKS1_S1_EviT_T0_PT6_S3_lS6_S3_lS4_PT7_S3_li.has_recursion, 0
	.set _ZL41rocblas_syrkx_herkx_small_restrict_kernelIl19rocblas_complex_numIfELi16ELb0ELb0ELc78ELc85EKS1_S1_EviT_T0_PT6_S3_lS6_S3_lS4_PT7_S3_li.has_indirect_call, 0
	.section	.AMDGPU.csdata,"",@progbits
; Kernel info:
; codeLenInByte = 1216
; TotalNumSgprs: 32
; NumVgprs: 39
; ScratchSize: 0
; MemoryBound: 0
; FloatMode: 240
; IeeeMode: 1
; LDSByteSize: 4096 bytes/workgroup (compile time only)
; SGPRBlocks: 3
; VGPRBlocks: 9
; NumSGPRsForWavesPerEU: 32
; NumVGPRsForWavesPerEU: 39
; Occupancy: 6
; WaveLimiterHint : 0
; COMPUTE_PGM_RSRC2:SCRATCH_EN: 0
; COMPUTE_PGM_RSRC2:USER_SGPR: 6
; COMPUTE_PGM_RSRC2:TRAP_HANDLER: 0
; COMPUTE_PGM_RSRC2:TGID_X_EN: 1
; COMPUTE_PGM_RSRC2:TGID_Y_EN: 1
; COMPUTE_PGM_RSRC2:TGID_Z_EN: 1
; COMPUTE_PGM_RSRC2:TIDIG_COMP_CNT: 1
	.section	.text._ZL32rocblas_syrkx_herkx_small_kernelIl19rocblas_complex_numIfELi16ELb1ELb0ELc84ELc76EKS1_S1_EviT_T0_PT6_S3_lS6_S3_lS4_PT7_S3_li,"axG",@progbits,_ZL32rocblas_syrkx_herkx_small_kernelIl19rocblas_complex_numIfELi16ELb1ELb0ELc84ELc76EKS1_S1_EviT_T0_PT6_S3_lS6_S3_lS4_PT7_S3_li,comdat
	.globl	_ZL32rocblas_syrkx_herkx_small_kernelIl19rocblas_complex_numIfELi16ELb1ELb0ELc84ELc76EKS1_S1_EviT_T0_PT6_S3_lS6_S3_lS4_PT7_S3_li ; -- Begin function _ZL32rocblas_syrkx_herkx_small_kernelIl19rocblas_complex_numIfELi16ELb1ELb0ELc84ELc76EKS1_S1_EviT_T0_PT6_S3_lS6_S3_lS4_PT7_S3_li
	.p2align	8
	.type	_ZL32rocblas_syrkx_herkx_small_kernelIl19rocblas_complex_numIfELi16ELb1ELb0ELc84ELc76EKS1_S1_EviT_T0_PT6_S3_lS6_S3_lS4_PT7_S3_li,@function
_ZL32rocblas_syrkx_herkx_small_kernelIl19rocblas_complex_numIfELi16ELb1ELb0ELc84ELc76EKS1_S1_EviT_T0_PT6_S3_lS6_S3_lS4_PT7_S3_li: ; @_ZL32rocblas_syrkx_herkx_small_kernelIl19rocblas_complex_numIfELi16ELb1ELb0ELc84ELc76EKS1_S1_EviT_T0_PT6_S3_lS6_S3_lS4_PT7_S3_li
; %bb.0:
	s_load_dwordx16 s[12:27], s[4:5], 0x8
	s_load_dword s9, s[4:5], 0x0
	v_lshl_add_u32 v2, s6, 4, v0
	v_lshl_add_u32 v12, s7, 4, v1
	v_ashrrev_i32_e32 v3, 31, v2
	s_waitcnt lgkmcnt(0)
	v_cmp_lt_i64_e64 s[0:1], s[12:13], 1
	v_ashrrev_i32_e32 v13, 31, v12
	s_and_b64 vcc, exec, s[0:1]
	v_cmp_gt_i32_e64 s[0:1], s9, v2
	s_cbranch_vccnz .LBB1128_11
; %bb.1:
	v_mul_lo_u32 v8, s25, v12
	v_mul_lo_u32 v9, s24, v13
	v_mad_u64_u32 v[5:6], s[2:3], s24, v12, 0
	s_mul_i32 s2, s27, s8
	s_mul_hi_u32 s3, s26, s8
	v_add3_u32 v6, v6, v9, v8
	v_lshlrev_b64 v[5:6], 3, v[5:6]
	s_add_i32 s3, s3, s2
	s_mul_i32 s2, s26, s8
	v_lshlrev_b32_e32 v7, 7, v1
	v_lshlrev_b32_e32 v14, 3, v0
	s_lshl_b64 s[2:3], s[2:3], 3
	v_add_u32_e32 v15, v14, v7
	v_add_u32_e32 v16, 0x800, v7
	v_mov_b32_e32 v7, s3
	v_add_co_u32_e64 v5, s[2:3], s2, v5
	v_addc_co_u32_e64 v6, s[2:3], v6, v7, s[2:3]
	v_add_co_u32_e64 v5, s[2:3], v5, v14
	v_addc_co_u32_e64 v7, s[2:3], 0, v6, s[2:3]
	v_mul_lo_u32 v11, s19, v2
	v_mul_lo_u32 v18, s18, v3
	v_mad_u64_u32 v[8:9], s[2:3], s18, v2, 0
	v_mov_b32_e32 v10, s23
	v_add_co_u32_e64 v6, s[2:3], s22, v5
	v_addc_co_u32_e64 v7, s[2:3], v10, v7, s[2:3]
	v_add3_u32 v9, v9, v18, v11
	s_mul_i32 s2, s21, s8
	s_mul_hi_u32 s3, s20, s8
	v_lshlrev_b64 v[8:9], 3, v[8:9]
	s_add_i32 s3, s3, s2
	s_mul_i32 s2, s20, s8
	s_lshl_b64 s[2:3], s[2:3], 3
	v_mov_b32_e32 v5, s3
	v_add_co_u32_e64 v8, s[2:3], s2, v8
	v_addc_co_u32_e64 v5, s[2:3], v9, v5, s[2:3]
	v_lshlrev_b32_e32 v9, 3, v1
	v_add_co_u32_e64 v8, s[2:3], v8, v9
	v_addc_co_u32_e64 v5, s[2:3], 0, v5, s[2:3]
	v_mov_b32_e32 v9, s17
	v_add_co_u32_e64 v8, s[2:3], s16, v8
	v_cmp_gt_i32_e32 vcc, s9, v12
	v_addc_co_u32_e64 v9, s[2:3], v9, v5, s[2:3]
	v_mov_b32_e32 v10, s12
	v_mov_b32_e32 v4, 0
	v_add_u32_e32 v17, v16, v14
	s_mov_b64 s[2:3], 0
	s_xor_b64 s[6:7], s[0:1], -1
	s_xor_b64 s[10:11], vcc, -1
	v_mov_b32_e32 v11, s13
	v_mov_b32_e32 v18, 0
	;; [unrolled: 1-line block ×3, first 2 shown]
	s_branch .LBB1128_3
.LBB1128_2:                             ;   in Loop: Header=BB1128_3 Depth=1
	s_or_b64 exec, exec, s[0:1]
	s_waitcnt lgkmcnt(0)
	s_barrier
	ds_read2_b64 v[20:23], v14 offset1:16
	ds_read_b128 v[24:27], v16
	ds_read_b128 v[28:31], v16 offset:16
	ds_read2_b64 v[32:35], v14 offset0:32 offset1:48
	s_add_u32 s2, s2, 16
	v_add_co_u32_e32 v6, vcc, 0x80, v6
	s_waitcnt lgkmcnt(2)
	v_mul_f32_e32 v5, v25, v21
	v_mul_f32_e32 v36, v24, v21
	v_fma_f32 v5, v24, v20, -v5
	v_fmac_f32_e32 v36, v25, v20
	v_mul_f32_e32 v20, v27, v23
	v_fma_f32 v37, v26, v22, -v20
	v_mul_f32_e32 v38, v26, v23
	s_waitcnt lgkmcnt(0)
	v_mul_f32_e32 v20, v29, v33
	v_fmac_f32_e32 v38, v27, v22
	v_fma_f32 v39, v28, v32, -v20
	ds_read2_b64 v[20:23], v14 offset0:64 offset1:80
	ds_read_b128 v[24:27], v16 offset:32
	v_mul_f32_e32 v40, v28, v33
	v_fmac_f32_e32 v40, v29, v32
	v_mul_f32_e32 v28, v31, v35
	v_mul_f32_e32 v42, v30, v35
	s_waitcnt lgkmcnt(0)
	v_mul_f32_e32 v32, v25, v21
	v_fma_f32 v41, v30, v34, -v28
	v_fmac_f32_e32 v42, v31, v34
	ds_read_b128 v[28:31], v16 offset:48
	v_fma_f32 v43, v24, v20, -v32
	ds_read2_b64 v[32:35], v14 offset0:96 offset1:112
	v_mul_f32_e32 v44, v24, v21
	v_fmac_f32_e32 v44, v25, v20
	v_mul_f32_e32 v20, v27, v23
	v_fma_f32 v45, v26, v22, -v20
	v_mul_f32_e32 v46, v26, v23
	s_waitcnt lgkmcnt(0)
	v_mul_f32_e32 v20, v29, v33
	v_fmac_f32_e32 v46, v27, v22
	v_fma_f32 v47, v28, v32, -v20
	ds_read2_b64 v[20:23], v14 offset0:128 offset1:144
	ds_read_b128 v[24:27], v16 offset:64
	v_mul_f32_e32 v48, v28, v33
	v_fmac_f32_e32 v48, v29, v32
	v_mul_f32_e32 v28, v31, v35
	v_mul_f32_e32 v50, v30, v35
	s_waitcnt lgkmcnt(0)
	v_mul_f32_e32 v32, v25, v21
	v_fma_f32 v49, v30, v34, -v28
	v_fmac_f32_e32 v50, v31, v34
	ds_read_b128 v[28:31], v16 offset:80
	v_fma_f32 v51, v24, v20, -v32
	ds_read2_b64 v[32:35], v14 offset0:160 offset1:176
	v_mul_f32_e32 v52, v24, v21
	v_add_f32_e32 v18, v18, v36
	v_fmac_f32_e32 v52, v25, v20
	v_mul_f32_e32 v20, v27, v23
	v_add_f32_e32 v18, v18, v38
	v_fma_f32 v53, v26, v22, -v20
	v_mul_f32_e32 v54, v26, v23
	s_waitcnt lgkmcnt(0)
	v_mul_f32_e32 v20, v29, v33
	v_add_f32_e32 v18, v18, v40
	v_fmac_f32_e32 v54, v27, v22
	v_fma_f32 v55, v28, v32, -v20
	ds_read2_b64 v[20:23], v14 offset0:192 offset1:208
	ds_read_b128 v[24:27], v16 offset:96
	v_add_f32_e32 v18, v18, v42
	v_add_f32_e32 v18, v18, v44
	;; [unrolled: 1-line block ×6, first 2 shown]
	v_mul_f32_e32 v33, v28, v33
	v_mul_f32_e32 v28, v31, v35
	;; [unrolled: 1-line block ×3, first 2 shown]
	v_add_f32_e32 v5, v5, v39
	v_add_f32_e32 v18, v18, v50
	v_fmac_f32_e32 v33, v29, v32
	v_fma_f32 v32, v30, v34, -v28
	v_fmac_f32_e32 v35, v31, v34
	s_waitcnt lgkmcnt(0)
	v_mul_f32_e32 v34, v25, v21
	v_add_f32_e32 v5, v5, v41
	v_add_f32_e32 v18, v18, v52
	v_fma_f32 v34, v24, v20, -v34
	v_mul_f32_e32 v24, v24, v21
	v_add_f32_e32 v5, v5, v43
	v_add_f32_e32 v18, v18, v54
	v_fmac_f32_e32 v24, v25, v20
	v_mul_f32_e32 v20, v27, v23
	v_mul_f32_e32 v23, v26, v23
	v_add_f32_e32 v5, v5, v45
	v_add_f32_e32 v18, v18, v33
	ds_read_b128 v[28:31], v16 offset:112
	v_fma_f32 v25, v26, v22, -v20
	v_fmac_f32_e32 v23, v27, v22
	v_add_f32_e32 v5, v5, v47
	v_add_f32_e32 v22, v18, v35
	ds_read2_b64 v[18:21], v14 offset0:224 offset1:240
	v_add_f32_e32 v5, v5, v49
	v_add_f32_e32 v5, v5, v51
	v_add_f32_e32 v5, v5, v53
	v_add_f32_e32 v5, v5, v55
	v_add_f32_e32 v22, v22, v24
	v_add_f32_e32 v5, v5, v32
	v_add_f32_e32 v22, v22, v23
	s_waitcnt lgkmcnt(0)
	v_mul_f32_e32 v23, v29, v19
	v_mul_f32_e32 v19, v28, v19
	v_add_f32_e32 v5, v5, v34
	v_fmac_f32_e32 v19, v29, v18
	s_addc_u32 s3, s3, 0
	v_addc_co_u32_e32 v7, vcc, 0, v7, vcc
	v_add_f32_e32 v5, v5, v25
	v_fma_f32 v23, v28, v18, -v23
	v_add_f32_e32 v18, v22, v19
	v_mul_f32_e32 v19, v31, v21
	v_mul_f32_e32 v21, v30, v21
	v_add_co_u32_e32 v8, vcc, 0x80, v8
	v_cmp_ge_i64_e64 s[0:1], s[2:3], v[10:11]
	v_add_f32_e32 v5, v5, v23
	v_fma_f32 v19, v30, v20, -v19
	v_fmac_f32_e32 v21, v31, v20
	v_addc_co_u32_e32 v9, vcc, 0, v9, vcc
	v_add_f32_e32 v19, v5, v19
	v_add_f32_e32 v18, v18, v21
	s_and_b64 vcc, exec, s[0:1]
	s_barrier
	s_cbranch_vccnz .LBB1128_12
.LBB1128_3:                             ; =>This Inner Loop Header: Depth=1
	v_mov_b32_e32 v5, s3
	v_add_co_u32_e32 v20, vcc, s2, v1
	v_addc_co_u32_e32 v21, vcc, 0, v5, vcc
	v_cmp_le_i64_e32 vcc, s[12:13], v[20:21]
	s_or_b64 s[0:1], s[6:7], vcc
	s_and_saveexec_b64 s[16:17], s[0:1]
	s_xor_b64 s[0:1], exec, s[16:17]
; %bb.4:                                ;   in Loop: Header=BB1128_3 Depth=1
	v_mov_b32_e32 v5, v4
	ds_write_b64 v15, v[4:5]
; %bb.5:                                ;   in Loop: Header=BB1128_3 Depth=1
	s_andn2_saveexec_b64 s[0:1], s[0:1]
	s_cbranch_execz .LBB1128_7
; %bb.6:                                ;   in Loop: Header=BB1128_3 Depth=1
	global_load_dwordx2 v[20:21], v[8:9], off
	s_waitcnt vmcnt(0)
	ds_write_b64 v15, v[20:21]
.LBB1128_7:                             ;   in Loop: Header=BB1128_3 Depth=1
	s_or_b64 exec, exec, s[0:1]
	v_mov_b32_e32 v5, s3
	v_add_co_u32_e32 v20, vcc, s2, v0
	v_addc_co_u32_e32 v21, vcc, 0, v5, vcc
	v_cmp_le_i64_e32 vcc, s[12:13], v[20:21]
	s_or_b64 s[0:1], s[10:11], vcc
	s_and_saveexec_b64 s[16:17], s[0:1]
	s_xor_b64 s[0:1], exec, s[16:17]
; %bb.8:                                ;   in Loop: Header=BB1128_3 Depth=1
	v_mov_b32_e32 v5, v4
	ds_write_b64 v17, v[4:5]
; %bb.9:                                ;   in Loop: Header=BB1128_3 Depth=1
	s_andn2_saveexec_b64 s[0:1], s[0:1]
	s_cbranch_execz .LBB1128_2
; %bb.10:                               ;   in Loop: Header=BB1128_3 Depth=1
	global_load_dwordx2 v[20:21], v[6:7], off
	s_waitcnt vmcnt(0)
	ds_write_b64 v17, v[20:21]
	s_branch .LBB1128_2
.LBB1128_11:
	v_mov_b32_e32 v18, 0
	v_mov_b32_e32 v19, 0
.LBB1128_12:
	v_cmp_le_i32_e32 vcc, v12, v2
	v_cmp_gt_i32_e64 s[0:1], s9, v2
	s_and_b64 s[0:1], vcc, s[0:1]
	s_and_saveexec_b64 s[2:3], s[0:1]
	s_cbranch_execz .LBB1128_14
; %bb.13:
	s_load_dwordx2 s[6:7], s[4:5], 0x60
	s_load_dwordx4 s[0:3], s[4:5], 0x50
	v_mul_f32_e32 v4, s15, v18
	v_mul_f32_e32 v5, s14, v18
	v_fma_f32 v4, v19, s14, -v4
	s_waitcnt lgkmcnt(0)
	s_mul_i32 s5, s7, s8
	s_mul_hi_u32 s7, s6, s8
	s_mul_i32 s4, s6, s8
	s_add_i32 s5, s7, s5
	s_lshl_b64 s[4:5], s[4:5], 3
	s_add_u32 s4, s0, s4
	s_addc_u32 s5, s1, s5
	v_mul_lo_u32 v6, s3, v12
	v_mul_lo_u32 v7, s2, v13
	v_mad_u64_u32 v[0:1], s[0:1], s2, v12, 0
	v_fmac_f32_e32 v5, s15, v19
	v_add3_u32 v1, v1, v7, v6
	v_lshlrev_b64 v[0:1], 3, v[0:1]
	v_mov_b32_e32 v6, s5
	v_add_co_u32_e32 v7, vcc, s4, v0
	v_addc_co_u32_e32 v6, vcc, v6, v1, vcc
	v_lshlrev_b64 v[0:1], 3, v[2:3]
	v_add_co_u32_e32 v0, vcc, v7, v0
	v_addc_co_u32_e32 v1, vcc, v6, v1, vcc
	global_store_dwordx2 v[0:1], v[4:5], off
.LBB1128_14:
	s_endpgm
	.section	.rodata,"a",@progbits
	.p2align	6, 0x0
	.amdhsa_kernel _ZL32rocblas_syrkx_herkx_small_kernelIl19rocblas_complex_numIfELi16ELb1ELb0ELc84ELc76EKS1_S1_EviT_T0_PT6_S3_lS6_S3_lS4_PT7_S3_li
		.amdhsa_group_segment_fixed_size 4096
		.amdhsa_private_segment_fixed_size 0
		.amdhsa_kernarg_size 108
		.amdhsa_user_sgpr_count 6
		.amdhsa_user_sgpr_private_segment_buffer 1
		.amdhsa_user_sgpr_dispatch_ptr 0
		.amdhsa_user_sgpr_queue_ptr 0
		.amdhsa_user_sgpr_kernarg_segment_ptr 1
		.amdhsa_user_sgpr_dispatch_id 0
		.amdhsa_user_sgpr_flat_scratch_init 0
		.amdhsa_user_sgpr_private_segment_size 0
		.amdhsa_uses_dynamic_stack 0
		.amdhsa_system_sgpr_private_segment_wavefront_offset 0
		.amdhsa_system_sgpr_workgroup_id_x 1
		.amdhsa_system_sgpr_workgroup_id_y 1
		.amdhsa_system_sgpr_workgroup_id_z 1
		.amdhsa_system_sgpr_workgroup_info 0
		.amdhsa_system_vgpr_workitem_id 1
		.amdhsa_next_free_vgpr 56
		.amdhsa_next_free_sgpr 28
		.amdhsa_reserve_vcc 1
		.amdhsa_reserve_flat_scratch 0
		.amdhsa_float_round_mode_32 0
		.amdhsa_float_round_mode_16_64 0
		.amdhsa_float_denorm_mode_32 3
		.amdhsa_float_denorm_mode_16_64 3
		.amdhsa_dx10_clamp 1
		.amdhsa_ieee_mode 1
		.amdhsa_fp16_overflow 0
		.amdhsa_exception_fp_ieee_invalid_op 0
		.amdhsa_exception_fp_denorm_src 0
		.amdhsa_exception_fp_ieee_div_zero 0
		.amdhsa_exception_fp_ieee_overflow 0
		.amdhsa_exception_fp_ieee_underflow 0
		.amdhsa_exception_fp_ieee_inexact 0
		.amdhsa_exception_int_div_zero 0
	.end_amdhsa_kernel
	.section	.text._ZL32rocblas_syrkx_herkx_small_kernelIl19rocblas_complex_numIfELi16ELb1ELb0ELc84ELc76EKS1_S1_EviT_T0_PT6_S3_lS6_S3_lS4_PT7_S3_li,"axG",@progbits,_ZL32rocblas_syrkx_herkx_small_kernelIl19rocblas_complex_numIfELi16ELb1ELb0ELc84ELc76EKS1_S1_EviT_T0_PT6_S3_lS6_S3_lS4_PT7_S3_li,comdat
.Lfunc_end1128:
	.size	_ZL32rocblas_syrkx_herkx_small_kernelIl19rocblas_complex_numIfELi16ELb1ELb0ELc84ELc76EKS1_S1_EviT_T0_PT6_S3_lS6_S3_lS4_PT7_S3_li, .Lfunc_end1128-_ZL32rocblas_syrkx_herkx_small_kernelIl19rocblas_complex_numIfELi16ELb1ELb0ELc84ELc76EKS1_S1_EviT_T0_PT6_S3_lS6_S3_lS4_PT7_S3_li
                                        ; -- End function
	.set _ZL32rocblas_syrkx_herkx_small_kernelIl19rocblas_complex_numIfELi16ELb1ELb0ELc84ELc76EKS1_S1_EviT_T0_PT6_S3_lS6_S3_lS4_PT7_S3_li.num_vgpr, 56
	.set _ZL32rocblas_syrkx_herkx_small_kernelIl19rocblas_complex_numIfELi16ELb1ELb0ELc84ELc76EKS1_S1_EviT_T0_PT6_S3_lS6_S3_lS4_PT7_S3_li.num_agpr, 0
	.set _ZL32rocblas_syrkx_herkx_small_kernelIl19rocblas_complex_numIfELi16ELb1ELb0ELc84ELc76EKS1_S1_EviT_T0_PT6_S3_lS6_S3_lS4_PT7_S3_li.numbered_sgpr, 28
	.set _ZL32rocblas_syrkx_herkx_small_kernelIl19rocblas_complex_numIfELi16ELb1ELb0ELc84ELc76EKS1_S1_EviT_T0_PT6_S3_lS6_S3_lS4_PT7_S3_li.num_named_barrier, 0
	.set _ZL32rocblas_syrkx_herkx_small_kernelIl19rocblas_complex_numIfELi16ELb1ELb0ELc84ELc76EKS1_S1_EviT_T0_PT6_S3_lS6_S3_lS4_PT7_S3_li.private_seg_size, 0
	.set _ZL32rocblas_syrkx_herkx_small_kernelIl19rocblas_complex_numIfELi16ELb1ELb0ELc84ELc76EKS1_S1_EviT_T0_PT6_S3_lS6_S3_lS4_PT7_S3_li.uses_vcc, 1
	.set _ZL32rocblas_syrkx_herkx_small_kernelIl19rocblas_complex_numIfELi16ELb1ELb0ELc84ELc76EKS1_S1_EviT_T0_PT6_S3_lS6_S3_lS4_PT7_S3_li.uses_flat_scratch, 0
	.set _ZL32rocblas_syrkx_herkx_small_kernelIl19rocblas_complex_numIfELi16ELb1ELb0ELc84ELc76EKS1_S1_EviT_T0_PT6_S3_lS6_S3_lS4_PT7_S3_li.has_dyn_sized_stack, 0
	.set _ZL32rocblas_syrkx_herkx_small_kernelIl19rocblas_complex_numIfELi16ELb1ELb0ELc84ELc76EKS1_S1_EviT_T0_PT6_S3_lS6_S3_lS4_PT7_S3_li.has_recursion, 0
	.set _ZL32rocblas_syrkx_herkx_small_kernelIl19rocblas_complex_numIfELi16ELb1ELb0ELc84ELc76EKS1_S1_EviT_T0_PT6_S3_lS6_S3_lS4_PT7_S3_li.has_indirect_call, 0
	.section	.AMDGPU.csdata,"",@progbits
; Kernel info:
; codeLenInByte = 1364
; TotalNumSgprs: 32
; NumVgprs: 56
; ScratchSize: 0
; MemoryBound: 1
; FloatMode: 240
; IeeeMode: 1
; LDSByteSize: 4096 bytes/workgroup (compile time only)
; SGPRBlocks: 3
; VGPRBlocks: 13
; NumSGPRsForWavesPerEU: 32
; NumVGPRsForWavesPerEU: 56
; Occupancy: 4
; WaveLimiterHint : 0
; COMPUTE_PGM_RSRC2:SCRATCH_EN: 0
; COMPUTE_PGM_RSRC2:USER_SGPR: 6
; COMPUTE_PGM_RSRC2:TRAP_HANDLER: 0
; COMPUTE_PGM_RSRC2:TGID_X_EN: 1
; COMPUTE_PGM_RSRC2:TGID_Y_EN: 1
; COMPUTE_PGM_RSRC2:TGID_Z_EN: 1
; COMPUTE_PGM_RSRC2:TIDIG_COMP_CNT: 1
	.section	.text._ZL32rocblas_syrkx_herkx_small_kernelIl19rocblas_complex_numIfELi16ELb1ELb0ELc67ELc76EKS1_S1_EviT_T0_PT6_S3_lS6_S3_lS4_PT7_S3_li,"axG",@progbits,_ZL32rocblas_syrkx_herkx_small_kernelIl19rocblas_complex_numIfELi16ELb1ELb0ELc67ELc76EKS1_S1_EviT_T0_PT6_S3_lS6_S3_lS4_PT7_S3_li,comdat
	.globl	_ZL32rocblas_syrkx_herkx_small_kernelIl19rocblas_complex_numIfELi16ELb1ELb0ELc67ELc76EKS1_S1_EviT_T0_PT6_S3_lS6_S3_lS4_PT7_S3_li ; -- Begin function _ZL32rocblas_syrkx_herkx_small_kernelIl19rocblas_complex_numIfELi16ELb1ELb0ELc67ELc76EKS1_S1_EviT_T0_PT6_S3_lS6_S3_lS4_PT7_S3_li
	.p2align	8
	.type	_ZL32rocblas_syrkx_herkx_small_kernelIl19rocblas_complex_numIfELi16ELb1ELb0ELc67ELc76EKS1_S1_EviT_T0_PT6_S3_lS6_S3_lS4_PT7_S3_li,@function
_ZL32rocblas_syrkx_herkx_small_kernelIl19rocblas_complex_numIfELi16ELb1ELb0ELc67ELc76EKS1_S1_EviT_T0_PT6_S3_lS6_S3_lS4_PT7_S3_li: ; @_ZL32rocblas_syrkx_herkx_small_kernelIl19rocblas_complex_numIfELi16ELb1ELb0ELc67ELc76EKS1_S1_EviT_T0_PT6_S3_lS6_S3_lS4_PT7_S3_li
; %bb.0:
	s_load_dwordx16 s[12:27], s[4:5], 0x8
	s_load_dword s9, s[4:5], 0x0
	v_lshl_add_u32 v2, s6, 4, v0
	v_lshl_add_u32 v14, s7, 4, v1
	v_ashrrev_i32_e32 v3, 31, v2
	s_waitcnt lgkmcnt(0)
	v_cmp_lt_i64_e64 s[0:1], s[12:13], 1
	v_ashrrev_i32_e32 v15, 31, v14
	s_and_b64 vcc, exec, s[0:1]
	v_cmp_gt_i32_e64 s[0:1], s9, v2
	s_cbranch_vccnz .LBB1129_9
; %bb.1:
	v_mul_lo_u32 v8, s25, v14
	v_mul_lo_u32 v9, s24, v15
	v_mad_u64_u32 v[5:6], s[2:3], s24, v14, 0
	s_mul_i32 s2, s27, s8
	s_mul_hi_u32 s3, s26, s8
	v_add3_u32 v6, v6, v9, v8
	v_lshlrev_b64 v[5:6], 3, v[5:6]
	s_add_i32 s3, s3, s2
	s_mul_i32 s2, s26, s8
	v_lshlrev_b32_e32 v7, 7, v1
	v_lshlrev_b32_e32 v16, 3, v0
	s_lshl_b64 s[2:3], s[2:3], 3
	v_add_u32_e32 v17, v16, v7
	v_add_u32_e32 v18, 0x800, v7
	v_mov_b32_e32 v7, s3
	v_add_co_u32_e64 v5, s[2:3], s2, v5
	v_addc_co_u32_e64 v6, s[2:3], v6, v7, s[2:3]
	v_add_co_u32_e64 v5, s[2:3], v5, v16
	v_addc_co_u32_e64 v7, s[2:3], 0, v6, s[2:3]
	v_mul_lo_u32 v11, s19, v2
	v_mul_lo_u32 v12, s18, v3
	v_mad_u64_u32 v[8:9], s[2:3], s18, v2, 0
	v_mov_b32_e32 v10, s23
	v_add_co_u32_e64 v6, s[2:3], s22, v5
	v_addc_co_u32_e64 v7, s[2:3], v10, v7, s[2:3]
	v_add3_u32 v9, v9, v12, v11
	s_mul_i32 s2, s21, s8
	s_mul_hi_u32 s3, s20, s8
	v_lshlrev_b64 v[8:9], 3, v[8:9]
	s_add_i32 s3, s3, s2
	s_mul_i32 s2, s20, s8
	s_lshl_b64 s[2:3], s[2:3], 3
	v_mov_b32_e32 v5, s3
	v_add_co_u32_e64 v8, s[2:3], s2, v8
	v_addc_co_u32_e64 v5, s[2:3], v9, v5, s[2:3]
	v_lshlrev_b32_e32 v9, 3, v1
	v_add_co_u32_e64 v8, s[2:3], v8, v9
	v_addc_co_u32_e64 v5, s[2:3], 0, v5, s[2:3]
	v_mov_b32_e32 v9, s17
	v_add_co_u32_e64 v8, s[2:3], s16, v8
	v_addc_co_u32_e64 v5, s[2:3], v9, v5, s[2:3]
	v_cmp_gt_i32_e32 vcc, s9, v14
	v_add_co_u32_e64 v8, s[2:3], 4, v8
	v_mov_b32_e32 v10, s12
	v_mov_b32_e32 v4, 0
	v_add_u32_e32 v19, v18, v16
	v_addc_co_u32_e64 v9, s[2:3], 0, v5, s[2:3]
	s_mov_b64 s[6:7], 0
	s_xor_b64 s[10:11], vcc, -1
	v_mov_b32_e32 v11, s13
	v_mov_b32_e32 v20, 0
	;; [unrolled: 1-line block ×3, first 2 shown]
	s_branch .LBB1129_3
.LBB1129_2:                             ;   in Loop: Header=BB1129_3 Depth=1
	s_or_b64 exec, exec, s[2:3]
	s_waitcnt lgkmcnt(0)
	s_barrier
	ds_read2_b64 v[22:25], v16 offset1:16
	ds_read_b128 v[26:29], v18
	ds_read_b128 v[30:33], v18 offset:16
	ds_read2_b64 v[34:37], v16 offset0:32 offset1:48
	s_add_u32 s6, s6, 16
	v_add_co_u32_e32 v6, vcc, 0x80, v6
	s_waitcnt lgkmcnt(2)
	v_mul_f32_e32 v5, v27, v23
	v_mul_f32_e32 v12, v26, v23
	v_fma_f32 v5, v26, v22, -v5
	v_fmac_f32_e32 v12, v27, v22
	v_mul_f32_e32 v13, v29, v25
	v_mul_f32_e32 v38, v28, v25
	s_waitcnt lgkmcnt(0)
	v_mul_f32_e32 v22, v31, v35
	v_fma_f32 v13, v28, v24, -v13
	v_fmac_f32_e32 v38, v29, v24
	v_fma_f32 v39, v30, v34, -v22
	ds_read2_b64 v[22:25], v16 offset0:64 offset1:80
	ds_read_b128 v[26:29], v18 offset:32
	v_mul_f32_e32 v40, v30, v35
	v_fmac_f32_e32 v40, v31, v34
	v_mul_f32_e32 v30, v33, v37
	v_mul_f32_e32 v42, v32, v37
	s_waitcnt lgkmcnt(0)
	v_mul_f32_e32 v34, v27, v23
	v_fma_f32 v41, v32, v36, -v30
	v_fmac_f32_e32 v42, v33, v36
	ds_read_b128 v[30:33], v18 offset:48
	v_fma_f32 v43, v26, v22, -v34
	ds_read2_b64 v[34:37], v16 offset0:96 offset1:112
	v_mul_f32_e32 v44, v26, v23
	v_fmac_f32_e32 v44, v27, v22
	v_mul_f32_e32 v22, v29, v25
	v_fma_f32 v45, v28, v24, -v22
	v_mul_f32_e32 v46, v28, v25
	s_waitcnt lgkmcnt(0)
	v_mul_f32_e32 v22, v31, v35
	v_fmac_f32_e32 v46, v29, v24
	v_fma_f32 v47, v30, v34, -v22
	ds_read2_b64 v[22:25], v16 offset0:128 offset1:144
	ds_read_b128 v[26:29], v18 offset:64
	v_mul_f32_e32 v48, v30, v35
	v_fmac_f32_e32 v48, v31, v34
	v_mul_f32_e32 v30, v33, v37
	v_mul_f32_e32 v50, v32, v37
	s_waitcnt lgkmcnt(0)
	v_mul_f32_e32 v34, v27, v23
	v_fma_f32 v49, v32, v36, -v30
	v_fmac_f32_e32 v50, v33, v36
	ds_read_b128 v[30:33], v18 offset:80
	v_fma_f32 v51, v26, v22, -v34
	ds_read2_b64 v[34:37], v16 offset0:160 offset1:176
	v_mul_f32_e32 v52, v26, v23
	v_fmac_f32_e32 v52, v27, v22
	v_mul_f32_e32 v22, v29, v25
	v_fma_f32 v53, v28, v24, -v22
	v_mul_f32_e32 v54, v28, v25
	s_waitcnt lgkmcnt(0)
	v_mul_f32_e32 v22, v31, v35
	v_fmac_f32_e32 v54, v29, v24
	v_fma_f32 v55, v30, v34, -v22
	ds_read2_b64 v[22:25], v16 offset0:192 offset1:208
	ds_read_b128 v[26:29], v18 offset:96
	v_add_f32_e32 v5, v21, v5
	v_add_f32_e32 v12, v20, v12
	;; [unrolled: 1-line block ×5, first 2 shown]
	v_mul_f32_e32 v35, v30, v35
	v_mul_f32_e32 v30, v33, v37
	;; [unrolled: 1-line block ×3, first 2 shown]
	v_add_f32_e32 v12, v12, v40
	v_add_f32_e32 v5, v5, v41
	v_fmac_f32_e32 v35, v31, v34
	v_fma_f32 v34, v32, v36, -v30
	v_fmac_f32_e32 v37, v33, v36
	s_waitcnt lgkmcnt(0)
	v_mul_f32_e32 v36, v27, v23
	v_add_f32_e32 v12, v12, v42
	v_add_f32_e32 v5, v5, v43
	v_fma_f32 v36, v26, v22, -v36
	v_mul_f32_e32 v26, v26, v23
	v_add_f32_e32 v12, v12, v44
	v_add_f32_e32 v5, v5, v45
	v_fmac_f32_e32 v26, v27, v22
	v_mul_f32_e32 v22, v29, v25
	v_add_f32_e32 v12, v12, v46
	v_add_f32_e32 v5, v5, v47
	ds_read_b128 v[30:33], v18 offset:112
	v_fma_f32 v27, v28, v24, -v22
	v_add_f32_e32 v12, v12, v48
	v_add_f32_e32 v5, v5, v49
	ds_read2_b64 v[20:23], v16 offset0:224 offset1:240
	v_add_f32_e32 v12, v12, v50
	v_add_f32_e32 v5, v5, v51
	v_add_f32_e32 v12, v12, v52
	v_add_f32_e32 v5, v5, v53
	v_add_f32_e32 v12, v12, v54
	v_add_f32_e32 v5, v5, v55
	v_add_f32_e32 v12, v12, v35
	v_add_f32_e32 v5, v5, v34
	v_mul_f32_e32 v25, v28, v25
	v_add_f32_e32 v12, v12, v37
	v_add_f32_e32 v5, v5, v36
	s_waitcnt lgkmcnt(0)
	v_mul_f32_e32 v13, v31, v21
	v_fmac_f32_e32 v25, v29, v24
	v_add_f32_e32 v12, v12, v26
	v_add_f32_e32 v5, v5, v27
	v_fma_f32 v13, v30, v20, -v13
	v_mul_f32_e32 v21, v30, v21
	s_addc_u32 s7, s7, 0
	v_addc_co_u32_e32 v7, vcc, 0, v7, vcc
	v_add_f32_e32 v12, v12, v25
	v_fmac_f32_e32 v21, v31, v20
	v_add_f32_e32 v5, v5, v13
	v_mul_f32_e32 v13, v33, v23
	v_mul_f32_e32 v20, v32, v23
	v_add_co_u32_e32 v8, vcc, 0x80, v8
	v_cmp_ge_i64_e64 s[2:3], s[6:7], v[10:11]
	v_add_f32_e32 v12, v12, v21
	v_fma_f32 v13, v32, v22, -v13
	v_fmac_f32_e32 v20, v33, v22
	v_addc_co_u32_e32 v9, vcc, 0, v9, vcc
	v_add_f32_e32 v21, v5, v13
	v_add_f32_e32 v20, v12, v20
	s_and_b64 vcc, exec, s[2:3]
	s_barrier
	s_cbranch_vccnz .LBB1129_10
.LBB1129_3:                             ; =>This Inner Loop Header: Depth=1
	v_mov_b32_e32 v5, s7
	v_add_co_u32_e32 v12, vcc, s6, v1
	v_addc_co_u32_e32 v13, vcc, 0, v5, vcc
	v_cmp_gt_i64_e32 vcc, s[12:13], v[12:13]
	v_mov_b32_e32 v12, 0
	s_and_b64 s[16:17], s[0:1], vcc
	v_mov_b32_e32 v13, 0
	s_and_saveexec_b64 s[2:3], s[16:17]
	s_cbranch_execz .LBB1129_5
; %bb.4:                                ;   in Loop: Header=BB1129_3 Depth=1
	global_load_dwordx2 v[12:13], v[8:9], off offset:-4
.LBB1129_5:                             ;   in Loop: Header=BB1129_3 Depth=1
	s_or_b64 exec, exec, s[2:3]
	v_mov_b32_e32 v5, s7
	v_add_co_u32_e32 v22, vcc, s6, v0
	v_addc_co_u32_e32 v23, vcc, 0, v5, vcc
	v_cmp_le_i64_e32 vcc, s[12:13], v[22:23]
	s_waitcnt vmcnt(0)
	ds_write_b64 v17, v[12:13]
	s_or_b64 s[2:3], s[10:11], vcc
	s_and_saveexec_b64 s[16:17], s[2:3]
	s_xor_b64 s[2:3], exec, s[16:17]
; %bb.6:                                ;   in Loop: Header=BB1129_3 Depth=1
	v_mov_b32_e32 v5, v4
	ds_write_b64 v19, v[4:5]
; %bb.7:                                ;   in Loop: Header=BB1129_3 Depth=1
	s_andn2_saveexec_b64 s[2:3], s[2:3]
	s_cbranch_execz .LBB1129_2
; %bb.8:                                ;   in Loop: Header=BB1129_3 Depth=1
	global_load_dwordx2 v[12:13], v[6:7], off
	s_waitcnt vmcnt(0)
	ds_write_b64 v19, v[12:13]
	s_branch .LBB1129_2
.LBB1129_9:
	v_mov_b32_e32 v20, 0
	v_mov_b32_e32 v21, 0
.LBB1129_10:
	v_cmp_le_i32_e32 vcc, v14, v2
	v_cmp_gt_i32_e64 s[0:1], s9, v2
	s_and_b64 s[0:1], vcc, s[0:1]
	s_and_saveexec_b64 s[2:3], s[0:1]
	s_cbranch_execz .LBB1129_12
; %bb.11:
	s_load_dwordx2 s[6:7], s[4:5], 0x60
	s_load_dwordx4 s[0:3], s[4:5], 0x50
	v_mul_f32_e32 v4, s15, v20
	v_mul_f32_e32 v5, s14, v20
	v_fma_f32 v4, v21, s14, -v4
	s_waitcnt lgkmcnt(0)
	s_mul_i32 s5, s7, s8
	s_mul_hi_u32 s7, s6, s8
	s_mul_i32 s4, s6, s8
	s_add_i32 s5, s7, s5
	s_lshl_b64 s[4:5], s[4:5], 3
	s_add_u32 s4, s0, s4
	s_addc_u32 s5, s1, s5
	v_mul_lo_u32 v6, s3, v14
	v_mul_lo_u32 v7, s2, v15
	v_mad_u64_u32 v[0:1], s[0:1], s2, v14, 0
	v_fmac_f32_e32 v5, s15, v21
	v_add3_u32 v1, v1, v7, v6
	v_lshlrev_b64 v[0:1], 3, v[0:1]
	v_mov_b32_e32 v6, s5
	v_add_co_u32_e32 v7, vcc, s4, v0
	v_addc_co_u32_e32 v6, vcc, v6, v1, vcc
	v_lshlrev_b64 v[0:1], 3, v[2:3]
	v_add_co_u32_e32 v0, vcc, v7, v0
	v_addc_co_u32_e32 v1, vcc, v6, v1, vcc
	global_store_dwordx2 v[0:1], v[4:5], off
.LBB1129_12:
	s_endpgm
	.section	.rodata,"a",@progbits
	.p2align	6, 0x0
	.amdhsa_kernel _ZL32rocblas_syrkx_herkx_small_kernelIl19rocblas_complex_numIfELi16ELb1ELb0ELc67ELc76EKS1_S1_EviT_T0_PT6_S3_lS6_S3_lS4_PT7_S3_li
		.amdhsa_group_segment_fixed_size 4096
		.amdhsa_private_segment_fixed_size 0
		.amdhsa_kernarg_size 108
		.amdhsa_user_sgpr_count 6
		.amdhsa_user_sgpr_private_segment_buffer 1
		.amdhsa_user_sgpr_dispatch_ptr 0
		.amdhsa_user_sgpr_queue_ptr 0
		.amdhsa_user_sgpr_kernarg_segment_ptr 1
		.amdhsa_user_sgpr_dispatch_id 0
		.amdhsa_user_sgpr_flat_scratch_init 0
		.amdhsa_user_sgpr_private_segment_size 0
		.amdhsa_uses_dynamic_stack 0
		.amdhsa_system_sgpr_private_segment_wavefront_offset 0
		.amdhsa_system_sgpr_workgroup_id_x 1
		.amdhsa_system_sgpr_workgroup_id_y 1
		.amdhsa_system_sgpr_workgroup_id_z 1
		.amdhsa_system_sgpr_workgroup_info 0
		.amdhsa_system_vgpr_workitem_id 1
		.amdhsa_next_free_vgpr 56
		.amdhsa_next_free_sgpr 28
		.amdhsa_reserve_vcc 1
		.amdhsa_reserve_flat_scratch 0
		.amdhsa_float_round_mode_32 0
		.amdhsa_float_round_mode_16_64 0
		.amdhsa_float_denorm_mode_32 3
		.amdhsa_float_denorm_mode_16_64 3
		.amdhsa_dx10_clamp 1
		.amdhsa_ieee_mode 1
		.amdhsa_fp16_overflow 0
		.amdhsa_exception_fp_ieee_invalid_op 0
		.amdhsa_exception_fp_denorm_src 0
		.amdhsa_exception_fp_ieee_div_zero 0
		.amdhsa_exception_fp_ieee_overflow 0
		.amdhsa_exception_fp_ieee_underflow 0
		.amdhsa_exception_fp_ieee_inexact 0
		.amdhsa_exception_int_div_zero 0
	.end_amdhsa_kernel
	.section	.text._ZL32rocblas_syrkx_herkx_small_kernelIl19rocblas_complex_numIfELi16ELb1ELb0ELc67ELc76EKS1_S1_EviT_T0_PT6_S3_lS6_S3_lS4_PT7_S3_li,"axG",@progbits,_ZL32rocblas_syrkx_herkx_small_kernelIl19rocblas_complex_numIfELi16ELb1ELb0ELc67ELc76EKS1_S1_EviT_T0_PT6_S3_lS6_S3_lS4_PT7_S3_li,comdat
.Lfunc_end1129:
	.size	_ZL32rocblas_syrkx_herkx_small_kernelIl19rocblas_complex_numIfELi16ELb1ELb0ELc67ELc76EKS1_S1_EviT_T0_PT6_S3_lS6_S3_lS4_PT7_S3_li, .Lfunc_end1129-_ZL32rocblas_syrkx_herkx_small_kernelIl19rocblas_complex_numIfELi16ELb1ELb0ELc67ELc76EKS1_S1_EviT_T0_PT6_S3_lS6_S3_lS4_PT7_S3_li
                                        ; -- End function
	.set _ZL32rocblas_syrkx_herkx_small_kernelIl19rocblas_complex_numIfELi16ELb1ELb0ELc67ELc76EKS1_S1_EviT_T0_PT6_S3_lS6_S3_lS4_PT7_S3_li.num_vgpr, 56
	.set _ZL32rocblas_syrkx_herkx_small_kernelIl19rocblas_complex_numIfELi16ELb1ELb0ELc67ELc76EKS1_S1_EviT_T0_PT6_S3_lS6_S3_lS4_PT7_S3_li.num_agpr, 0
	.set _ZL32rocblas_syrkx_herkx_small_kernelIl19rocblas_complex_numIfELi16ELb1ELb0ELc67ELc76EKS1_S1_EviT_T0_PT6_S3_lS6_S3_lS4_PT7_S3_li.numbered_sgpr, 28
	.set _ZL32rocblas_syrkx_herkx_small_kernelIl19rocblas_complex_numIfELi16ELb1ELb0ELc67ELc76EKS1_S1_EviT_T0_PT6_S3_lS6_S3_lS4_PT7_S3_li.num_named_barrier, 0
	.set _ZL32rocblas_syrkx_herkx_small_kernelIl19rocblas_complex_numIfELi16ELb1ELb0ELc67ELc76EKS1_S1_EviT_T0_PT6_S3_lS6_S3_lS4_PT7_S3_li.private_seg_size, 0
	.set _ZL32rocblas_syrkx_herkx_small_kernelIl19rocblas_complex_numIfELi16ELb1ELb0ELc67ELc76EKS1_S1_EviT_T0_PT6_S3_lS6_S3_lS4_PT7_S3_li.uses_vcc, 1
	.set _ZL32rocblas_syrkx_herkx_small_kernelIl19rocblas_complex_numIfELi16ELb1ELb0ELc67ELc76EKS1_S1_EviT_T0_PT6_S3_lS6_S3_lS4_PT7_S3_li.uses_flat_scratch, 0
	.set _ZL32rocblas_syrkx_herkx_small_kernelIl19rocblas_complex_numIfELi16ELb1ELb0ELc67ELc76EKS1_S1_EviT_T0_PT6_S3_lS6_S3_lS4_PT7_S3_li.has_dyn_sized_stack, 0
	.set _ZL32rocblas_syrkx_herkx_small_kernelIl19rocblas_complex_numIfELi16ELb1ELb0ELc67ELc76EKS1_S1_EviT_T0_PT6_S3_lS6_S3_lS4_PT7_S3_li.has_recursion, 0
	.set _ZL32rocblas_syrkx_herkx_small_kernelIl19rocblas_complex_numIfELi16ELb1ELb0ELc67ELc76EKS1_S1_EviT_T0_PT6_S3_lS6_S3_lS4_PT7_S3_li.has_indirect_call, 0
	.section	.AMDGPU.csdata,"",@progbits
; Kernel info:
; codeLenInByte = 1364
; TotalNumSgprs: 32
; NumVgprs: 56
; ScratchSize: 0
; MemoryBound: 1
; FloatMode: 240
; IeeeMode: 1
; LDSByteSize: 4096 bytes/workgroup (compile time only)
; SGPRBlocks: 3
; VGPRBlocks: 13
; NumSGPRsForWavesPerEU: 32
; NumVGPRsForWavesPerEU: 56
; Occupancy: 4
; WaveLimiterHint : 0
; COMPUTE_PGM_RSRC2:SCRATCH_EN: 0
; COMPUTE_PGM_RSRC2:USER_SGPR: 6
; COMPUTE_PGM_RSRC2:TRAP_HANDLER: 0
; COMPUTE_PGM_RSRC2:TGID_X_EN: 1
; COMPUTE_PGM_RSRC2:TGID_Y_EN: 1
; COMPUTE_PGM_RSRC2:TGID_Z_EN: 1
; COMPUTE_PGM_RSRC2:TIDIG_COMP_CNT: 1
	.section	.text._ZL32rocblas_syrkx_herkx_small_kernelIl19rocblas_complex_numIfELi16ELb1ELb0ELc78ELc76EKS1_S1_EviT_T0_PT6_S3_lS6_S3_lS4_PT7_S3_li,"axG",@progbits,_ZL32rocblas_syrkx_herkx_small_kernelIl19rocblas_complex_numIfELi16ELb1ELb0ELc78ELc76EKS1_S1_EviT_T0_PT6_S3_lS6_S3_lS4_PT7_S3_li,comdat
	.globl	_ZL32rocblas_syrkx_herkx_small_kernelIl19rocblas_complex_numIfELi16ELb1ELb0ELc78ELc76EKS1_S1_EviT_T0_PT6_S3_lS6_S3_lS4_PT7_S3_li ; -- Begin function _ZL32rocblas_syrkx_herkx_small_kernelIl19rocblas_complex_numIfELi16ELb1ELb0ELc78ELc76EKS1_S1_EviT_T0_PT6_S3_lS6_S3_lS4_PT7_S3_li
	.p2align	8
	.type	_ZL32rocblas_syrkx_herkx_small_kernelIl19rocblas_complex_numIfELi16ELb1ELb0ELc78ELc76EKS1_S1_EviT_T0_PT6_S3_lS6_S3_lS4_PT7_S3_li,@function
_ZL32rocblas_syrkx_herkx_small_kernelIl19rocblas_complex_numIfELi16ELb1ELb0ELc78ELc76EKS1_S1_EviT_T0_PT6_S3_lS6_S3_lS4_PT7_S3_li: ; @_ZL32rocblas_syrkx_herkx_small_kernelIl19rocblas_complex_numIfELi16ELb1ELb0ELc78ELc76EKS1_S1_EviT_T0_PT6_S3_lS6_S3_lS4_PT7_S3_li
; %bb.0:
	s_load_dwordx16 s[12:27], s[4:5], 0x8
	s_load_dword s9, s[4:5], 0x0
	v_lshl_add_u32 v2, s6, 4, v0
	v_lshl_add_u32 v4, s7, 4, v1
	v_ashrrev_i32_e32 v3, 31, v2
	s_waitcnt lgkmcnt(0)
	v_cmp_lt_i64_e64 s[0:1], s[12:13], 1
	v_cmp_gt_i32_e64 s[2:3], s9, v2
	s_and_b64 vcc, exec, s[0:1]
	v_ashrrev_i32_e32 v5, 31, v4
	s_cbranch_vccnz .LBB1130_9
; %bb.1:
	v_lshlrev_b32_e32 v7, 7, v1
	v_lshlrev_b32_e32 v16, 3, v0
	v_add_u32_e32 v17, v16, v7
	v_add_u32_e32 v18, 0x800, v7
	v_mad_u64_u32 v[7:8], s[6:7], s24, v0, 0
	s_mul_i32 s10, s27, s8
	s_mul_hi_u32 s11, s26, s8
	v_mad_u64_u32 v[8:9], s[6:7], s25, v0, v[8:9]
	s_add_i32 s7, s11, s10
	s_mul_i32 s6, s26, s8
	v_lshlrev_b64 v[7:8], 3, v[7:8]
	s_lshl_b64 s[6:7], s[6:7], 3
	v_mov_b32_e32 v9, s7
	v_add_co_u32_e32 v10, vcc, s6, v7
	v_addc_co_u32_e32 v9, vcc, v9, v8, vcc
	v_lshlrev_b64 v[7:8], 3, v[4:5]
	s_mul_i32 s21, s21, s8
	v_add_co_u32_e32 v7, vcc, v10, v7
	v_mad_u64_u32 v[10:11], s[6:7], s18, v1, 0
	v_addc_co_u32_e32 v8, vcc, v9, v8, vcc
	v_mov_b32_e32 v9, s23
	v_add_co_u32_e32 v7, vcc, s22, v7
	v_addc_co_u32_e32 v9, vcc, v9, v8, vcc
	v_add_co_u32_e32 v8, vcc, 4, v7
	v_mov_b32_e32 v7, v11
	v_mad_u64_u32 v[11:12], s[10:11], s19, v1, v[7:8]
	s_mul_hi_u32 s22, s20, s8
	s_add_i32 s11, s22, s21
	s_mul_i32 s10, s20, s8
	v_lshlrev_b64 v[10:11], 3, v[10:11]
	v_addc_co_u32_e32 v9, vcc, 0, v9, vcc
	s_lshl_b64 s[10:11], s[10:11], 3
	v_mov_b32_e32 v7, s11
	v_add_co_u32_e32 v12, vcc, s10, v10
	v_addc_co_u32_e32 v7, vcc, v7, v11, vcc
	v_lshlrev_b64 v[10:11], 3, v[2:3]
	s_lshl_b64 s[6:7], s[24:25], 7
	v_add_co_u32_e32 v10, vcc, v12, v10
	v_addc_co_u32_e32 v7, vcc, v7, v11, vcc
	v_mov_b32_e32 v11, s17
	v_add_co_u32_e32 v10, vcc, s16, v10
	s_lshl_b64 s[10:11], s[18:19], 7
	v_mov_b32_e32 v12, s12
	v_mov_b32_e32 v6, 0
	v_cmp_gt_i32_e64 s[0:1], s9, v4
	v_add_u32_e32 v19, v18, v16
	v_addc_co_u32_e32 v11, vcc, v11, v7, vcc
	s_mov_b64 s[16:17], 0
	s_xor_b64 s[18:19], s[2:3], -1
	v_mov_b32_e32 v22, s7
	v_mov_b32_e32 v23, s11
	;; [unrolled: 1-line block ×5, first 2 shown]
	s_branch .LBB1130_3
.LBB1130_2:                             ;   in Loop: Header=BB1130_3 Depth=1
	s_or_b64 exec, exec, s[2:3]
	s_waitcnt vmcnt(0)
	ds_write_b64 v19, v[14:15]
	s_waitcnt lgkmcnt(0)
	s_barrier
	ds_read2_b64 v[24:27], v16 offset1:16
	ds_read_b128 v[28:31], v18
	ds_read_b128 v[32:35], v18 offset:16
	ds_read2_b64 v[36:39], v16 offset0:32 offset1:48
	s_add_u32 s16, s16, 16
	v_add_co_u32_e32 v8, vcc, s6, v8
	s_waitcnt lgkmcnt(2)
	v_mul_f32_e32 v7, v29, v25
	v_mul_f32_e32 v14, v28, v25
	v_fma_f32 v7, v28, v24, -v7
	v_fmac_f32_e32 v14, v29, v24
	v_mul_f32_e32 v15, v31, v27
	v_mul_f32_e32 v40, v30, v27
	s_waitcnt lgkmcnt(0)
	v_mul_f32_e32 v24, v33, v37
	v_fma_f32 v15, v30, v26, -v15
	v_fmac_f32_e32 v40, v31, v26
	v_fma_f32 v41, v32, v36, -v24
	ds_read2_b64 v[24:27], v16 offset0:64 offset1:80
	ds_read_b128 v[28:31], v18 offset:32
	v_mul_f32_e32 v42, v32, v37
	v_fmac_f32_e32 v42, v33, v36
	v_mul_f32_e32 v32, v35, v39
	v_mul_f32_e32 v44, v34, v39
	s_waitcnt lgkmcnt(0)
	v_mul_f32_e32 v36, v29, v25
	v_fma_f32 v43, v34, v38, -v32
	v_fmac_f32_e32 v44, v35, v38
	ds_read_b128 v[32:35], v18 offset:48
	v_fma_f32 v45, v28, v24, -v36
	ds_read2_b64 v[36:39], v16 offset0:96 offset1:112
	v_mul_f32_e32 v46, v28, v25
	v_fmac_f32_e32 v46, v29, v24
	v_mul_f32_e32 v24, v31, v27
	v_fma_f32 v47, v30, v26, -v24
	v_mul_f32_e32 v48, v30, v27
	s_waitcnt lgkmcnt(0)
	v_mul_f32_e32 v24, v33, v37
	v_fmac_f32_e32 v48, v31, v26
	v_fma_f32 v49, v32, v36, -v24
	ds_read2_b64 v[24:27], v16 offset0:128 offset1:144
	ds_read_b128 v[28:31], v18 offset:64
	v_mul_f32_e32 v50, v32, v37
	v_fmac_f32_e32 v50, v33, v36
	v_mul_f32_e32 v32, v35, v39
	v_mul_f32_e32 v52, v34, v39
	s_waitcnt lgkmcnt(0)
	v_mul_f32_e32 v36, v29, v25
	v_fma_f32 v51, v34, v38, -v32
	v_fmac_f32_e32 v52, v35, v38
	ds_read_b128 v[32:35], v18 offset:80
	v_fma_f32 v53, v28, v24, -v36
	ds_read2_b64 v[36:39], v16 offset0:160 offset1:176
	v_mul_f32_e32 v54, v28, v25
	v_fmac_f32_e32 v54, v29, v24
	v_mul_f32_e32 v24, v31, v27
	v_fma_f32 v55, v30, v26, -v24
	v_mul_f32_e32 v56, v30, v27
	s_waitcnt lgkmcnt(0)
	v_mul_f32_e32 v24, v33, v37
	v_add_f32_e32 v7, v21, v7
	v_add_f32_e32 v14, v20, v14
	v_fmac_f32_e32 v56, v31, v26
	v_fma_f32 v57, v32, v36, -v24
	ds_read2_b64 v[24:27], v16 offset0:192 offset1:208
	ds_read_b128 v[28:31], v18 offset:96
	v_add_f32_e32 v7, v7, v15
	v_add_f32_e32 v14, v14, v40
	;; [unrolled: 1-line block ×8, first 2 shown]
	v_mul_f32_e32 v58, v32, v37
	v_add_f32_e32 v7, v7, v47
	v_add_f32_e32 v14, v14, v48
	v_fmac_f32_e32 v58, v33, v36
	v_mul_f32_e32 v32, v35, v39
	v_mul_f32_e32 v60, v34, v39
	s_waitcnt lgkmcnt(0)
	v_mul_f32_e32 v36, v29, v25
	v_add_f32_e32 v7, v7, v49
	v_add_f32_e32 v14, v14, v50
	v_fma_f32 v59, v34, v38, -v32
	v_fmac_f32_e32 v60, v35, v38
	ds_read_b128 v[32:35], v18 offset:112
	v_fma_f32 v61, v28, v24, -v36
	ds_read2_b64 v[36:39], v16 offset0:224 offset1:240
	v_add_f32_e32 v7, v7, v51
	v_add_f32_e32 v14, v14, v52
	;; [unrolled: 1-line block ×6, first 2 shown]
	v_mul_f32_e32 v25, v28, v25
	v_add_f32_e32 v7, v7, v57
	v_add_f32_e32 v14, v14, v58
	v_fmac_f32_e32 v25, v29, v24
	v_mul_f32_e32 v24, v31, v27
	v_mul_f32_e32 v27, v30, v27
	v_add_f32_e32 v7, v7, v59
	v_add_f32_e32 v14, v14, v60
	v_fma_f32 v24, v30, v26, -v24
	v_fmac_f32_e32 v27, v31, v26
	s_waitcnt lgkmcnt(0)
	v_mul_f32_e32 v26, v33, v37
	v_mul_f32_e32 v28, v32, v37
	v_add_f32_e32 v7, v7, v61
	v_add_f32_e32 v14, v14, v25
	s_addc_u32 s17, s17, 0
	v_addc_co_u32_e32 v9, vcc, v9, v22, vcc
	v_fma_f32 v26, v32, v36, -v26
	v_fmac_f32_e32 v28, v33, v36
	v_mul_f32_e32 v29, v35, v39
	v_mul_f32_e32 v30, v34, v39
	v_add_f32_e32 v7, v7, v24
	v_add_f32_e32 v14, v14, v27
	v_cmp_ge_i64_e32 vcc, s[16:17], v[12:13]
	v_fma_f32 v29, v34, v38, -v29
	v_fmac_f32_e32 v30, v35, v38
	v_add_f32_e32 v7, v7, v26
	v_add_f32_e32 v14, v14, v28
	v_add_co_u32_e64 v10, s[2:3], s10, v10
	v_add_f32_e32 v21, v7, v29
	v_add_f32_e32 v20, v14, v30
	v_addc_co_u32_e64 v11, s[2:3], v11, v23, s[2:3]
	s_barrier
	s_cbranch_vccnz .LBB1130_10
.LBB1130_3:                             ; =>This Inner Loop Header: Depth=1
	v_mov_b32_e32 v7, s17
	v_add_co_u32_e32 v14, vcc, s16, v1
	v_addc_co_u32_e32 v15, vcc, 0, v7, vcc
	v_cmp_le_i64_e32 vcc, s[12:13], v[14:15]
	s_or_b64 s[2:3], s[18:19], vcc
	s_and_saveexec_b64 s[20:21], s[2:3]
	s_xor_b64 s[2:3], exec, s[20:21]
; %bb.4:                                ;   in Loop: Header=BB1130_3 Depth=1
	v_mov_b32_e32 v7, v6
	ds_write_b64 v17, v[6:7]
; %bb.5:                                ;   in Loop: Header=BB1130_3 Depth=1
	s_andn2_saveexec_b64 s[2:3], s[2:3]
	s_cbranch_execz .LBB1130_7
; %bb.6:                                ;   in Loop: Header=BB1130_3 Depth=1
	global_load_dwordx2 v[14:15], v[10:11], off
	s_waitcnt vmcnt(0)
	ds_write_b64 v17, v[14:15]
.LBB1130_7:                             ;   in Loop: Header=BB1130_3 Depth=1
	s_or_b64 exec, exec, s[2:3]
	v_mov_b32_e32 v7, s17
	v_add_co_u32_e32 v14, vcc, s16, v0
	v_addc_co_u32_e32 v15, vcc, 0, v7, vcc
	v_cmp_gt_i64_e32 vcc, s[12:13], v[14:15]
	v_mov_b32_e32 v14, 0
	s_and_b64 s[20:21], s[0:1], vcc
	v_mov_b32_e32 v15, 0
	s_and_saveexec_b64 s[2:3], s[20:21]
	s_cbranch_execz .LBB1130_2
; %bb.8:                                ;   in Loop: Header=BB1130_3 Depth=1
	global_load_dwordx2 v[14:15], v[8:9], off offset:-4
	s_branch .LBB1130_2
.LBB1130_9:
	v_mov_b32_e32 v20, 0
	v_mov_b32_e32 v21, 0
.LBB1130_10:
	v_cmp_le_i32_e32 vcc, v4, v2
	v_cmp_gt_i32_e64 s[0:1], s9, v2
	s_and_b64 s[0:1], vcc, s[0:1]
	s_and_saveexec_b64 s[2:3], s[0:1]
	s_cbranch_execz .LBB1130_12
; %bb.11:
	s_load_dwordx2 s[6:7], s[4:5], 0x60
	s_load_dwordx4 s[0:3], s[4:5], 0x50
	v_mul_f32_e32 v6, s15, v20
	s_waitcnt lgkmcnt(0)
	s_mul_i32 s5, s7, s8
	s_mul_hi_u32 s7, s6, s8
	s_mul_i32 s4, s6, s8
	s_add_i32 s5, s7, s5
	s_lshl_b64 s[4:5], s[4:5], 3
	s_add_u32 s4, s0, s4
	s_addc_u32 s5, s1, s5
	v_mul_lo_u32 v7, s3, v4
	v_mul_lo_u32 v8, s2, v5
	v_mad_u64_u32 v[0:1], s[0:1], s2, v4, 0
	v_fma_f32 v4, v21, s14, -v6
	v_mov_b32_e32 v6, s5
	v_add3_u32 v1, v1, v8, v7
	v_lshlrev_b64 v[0:1], 3, v[0:1]
	v_mul_f32_e32 v5, s14, v20
	v_add_co_u32_e32 v7, vcc, s4, v0
	v_addc_co_u32_e32 v6, vcc, v6, v1, vcc
	v_lshlrev_b64 v[0:1], 3, v[2:3]
	v_fmac_f32_e32 v5, s15, v21
	v_add_co_u32_e32 v0, vcc, v7, v0
	v_addc_co_u32_e32 v1, vcc, v6, v1, vcc
	global_store_dwordx2 v[0:1], v[4:5], off
.LBB1130_12:
	s_endpgm
	.section	.rodata,"a",@progbits
	.p2align	6, 0x0
	.amdhsa_kernel _ZL32rocblas_syrkx_herkx_small_kernelIl19rocblas_complex_numIfELi16ELb1ELb0ELc78ELc76EKS1_S1_EviT_T0_PT6_S3_lS6_S3_lS4_PT7_S3_li
		.amdhsa_group_segment_fixed_size 4096
		.amdhsa_private_segment_fixed_size 0
		.amdhsa_kernarg_size 108
		.amdhsa_user_sgpr_count 6
		.amdhsa_user_sgpr_private_segment_buffer 1
		.amdhsa_user_sgpr_dispatch_ptr 0
		.amdhsa_user_sgpr_queue_ptr 0
		.amdhsa_user_sgpr_kernarg_segment_ptr 1
		.amdhsa_user_sgpr_dispatch_id 0
		.amdhsa_user_sgpr_flat_scratch_init 0
		.amdhsa_user_sgpr_private_segment_size 0
		.amdhsa_uses_dynamic_stack 0
		.amdhsa_system_sgpr_private_segment_wavefront_offset 0
		.amdhsa_system_sgpr_workgroup_id_x 1
		.amdhsa_system_sgpr_workgroup_id_y 1
		.amdhsa_system_sgpr_workgroup_id_z 1
		.amdhsa_system_sgpr_workgroup_info 0
		.amdhsa_system_vgpr_workitem_id 1
		.amdhsa_next_free_vgpr 62
		.amdhsa_next_free_sgpr 28
		.amdhsa_reserve_vcc 1
		.amdhsa_reserve_flat_scratch 0
		.amdhsa_float_round_mode_32 0
		.amdhsa_float_round_mode_16_64 0
		.amdhsa_float_denorm_mode_32 3
		.amdhsa_float_denorm_mode_16_64 3
		.amdhsa_dx10_clamp 1
		.amdhsa_ieee_mode 1
		.amdhsa_fp16_overflow 0
		.amdhsa_exception_fp_ieee_invalid_op 0
		.amdhsa_exception_fp_denorm_src 0
		.amdhsa_exception_fp_ieee_div_zero 0
		.amdhsa_exception_fp_ieee_overflow 0
		.amdhsa_exception_fp_ieee_underflow 0
		.amdhsa_exception_fp_ieee_inexact 0
		.amdhsa_exception_int_div_zero 0
	.end_amdhsa_kernel
	.section	.text._ZL32rocblas_syrkx_herkx_small_kernelIl19rocblas_complex_numIfELi16ELb1ELb0ELc78ELc76EKS1_S1_EviT_T0_PT6_S3_lS6_S3_lS4_PT7_S3_li,"axG",@progbits,_ZL32rocblas_syrkx_herkx_small_kernelIl19rocblas_complex_numIfELi16ELb1ELb0ELc78ELc76EKS1_S1_EviT_T0_PT6_S3_lS6_S3_lS4_PT7_S3_li,comdat
.Lfunc_end1130:
	.size	_ZL32rocblas_syrkx_herkx_small_kernelIl19rocblas_complex_numIfELi16ELb1ELb0ELc78ELc76EKS1_S1_EviT_T0_PT6_S3_lS6_S3_lS4_PT7_S3_li, .Lfunc_end1130-_ZL32rocblas_syrkx_herkx_small_kernelIl19rocblas_complex_numIfELi16ELb1ELb0ELc78ELc76EKS1_S1_EviT_T0_PT6_S3_lS6_S3_lS4_PT7_S3_li
                                        ; -- End function
	.set _ZL32rocblas_syrkx_herkx_small_kernelIl19rocblas_complex_numIfELi16ELb1ELb0ELc78ELc76EKS1_S1_EviT_T0_PT6_S3_lS6_S3_lS4_PT7_S3_li.num_vgpr, 62
	.set _ZL32rocblas_syrkx_herkx_small_kernelIl19rocblas_complex_numIfELi16ELb1ELb0ELc78ELc76EKS1_S1_EviT_T0_PT6_S3_lS6_S3_lS4_PT7_S3_li.num_agpr, 0
	.set _ZL32rocblas_syrkx_herkx_small_kernelIl19rocblas_complex_numIfELi16ELb1ELb0ELc78ELc76EKS1_S1_EviT_T0_PT6_S3_lS6_S3_lS4_PT7_S3_li.numbered_sgpr, 28
	.set _ZL32rocblas_syrkx_herkx_small_kernelIl19rocblas_complex_numIfELi16ELb1ELb0ELc78ELc76EKS1_S1_EviT_T0_PT6_S3_lS6_S3_lS4_PT7_S3_li.num_named_barrier, 0
	.set _ZL32rocblas_syrkx_herkx_small_kernelIl19rocblas_complex_numIfELi16ELb1ELb0ELc78ELc76EKS1_S1_EviT_T0_PT6_S3_lS6_S3_lS4_PT7_S3_li.private_seg_size, 0
	.set _ZL32rocblas_syrkx_herkx_small_kernelIl19rocblas_complex_numIfELi16ELb1ELb0ELc78ELc76EKS1_S1_EviT_T0_PT6_S3_lS6_S3_lS4_PT7_S3_li.uses_vcc, 1
	.set _ZL32rocblas_syrkx_herkx_small_kernelIl19rocblas_complex_numIfELi16ELb1ELb0ELc78ELc76EKS1_S1_EviT_T0_PT6_S3_lS6_S3_lS4_PT7_S3_li.uses_flat_scratch, 0
	.set _ZL32rocblas_syrkx_herkx_small_kernelIl19rocblas_complex_numIfELi16ELb1ELb0ELc78ELc76EKS1_S1_EviT_T0_PT6_S3_lS6_S3_lS4_PT7_S3_li.has_dyn_sized_stack, 0
	.set _ZL32rocblas_syrkx_herkx_small_kernelIl19rocblas_complex_numIfELi16ELb1ELb0ELc78ELc76EKS1_S1_EviT_T0_PT6_S3_lS6_S3_lS4_PT7_S3_li.has_recursion, 0
	.set _ZL32rocblas_syrkx_herkx_small_kernelIl19rocblas_complex_numIfELi16ELb1ELb0ELc78ELc76EKS1_S1_EviT_T0_PT6_S3_lS6_S3_lS4_PT7_S3_li.has_indirect_call, 0
	.section	.AMDGPU.csdata,"",@progbits
; Kernel info:
; codeLenInByte = 1304
; TotalNumSgprs: 32
; NumVgprs: 62
; ScratchSize: 0
; MemoryBound: 1
; FloatMode: 240
; IeeeMode: 1
; LDSByteSize: 4096 bytes/workgroup (compile time only)
; SGPRBlocks: 3
; VGPRBlocks: 15
; NumSGPRsForWavesPerEU: 32
; NumVGPRsForWavesPerEU: 62
; Occupancy: 4
; WaveLimiterHint : 0
; COMPUTE_PGM_RSRC2:SCRATCH_EN: 0
; COMPUTE_PGM_RSRC2:USER_SGPR: 6
; COMPUTE_PGM_RSRC2:TRAP_HANDLER: 0
; COMPUTE_PGM_RSRC2:TGID_X_EN: 1
; COMPUTE_PGM_RSRC2:TGID_Y_EN: 1
; COMPUTE_PGM_RSRC2:TGID_Z_EN: 1
; COMPUTE_PGM_RSRC2:TIDIG_COMP_CNT: 1
	.section	.text._ZL32rocblas_syrkx_herkx_small_kernelIl19rocblas_complex_numIfELi16ELb1ELb0ELc84ELc85EKS1_S1_EviT_T0_PT6_S3_lS6_S3_lS4_PT7_S3_li,"axG",@progbits,_ZL32rocblas_syrkx_herkx_small_kernelIl19rocblas_complex_numIfELi16ELb1ELb0ELc84ELc85EKS1_S1_EviT_T0_PT6_S3_lS6_S3_lS4_PT7_S3_li,comdat
	.globl	_ZL32rocblas_syrkx_herkx_small_kernelIl19rocblas_complex_numIfELi16ELb1ELb0ELc84ELc85EKS1_S1_EviT_T0_PT6_S3_lS6_S3_lS4_PT7_S3_li ; -- Begin function _ZL32rocblas_syrkx_herkx_small_kernelIl19rocblas_complex_numIfELi16ELb1ELb0ELc84ELc85EKS1_S1_EviT_T0_PT6_S3_lS6_S3_lS4_PT7_S3_li
	.p2align	8
	.type	_ZL32rocblas_syrkx_herkx_small_kernelIl19rocblas_complex_numIfELi16ELb1ELb0ELc84ELc85EKS1_S1_EviT_T0_PT6_S3_lS6_S3_lS4_PT7_S3_li,@function
_ZL32rocblas_syrkx_herkx_small_kernelIl19rocblas_complex_numIfELi16ELb1ELb0ELc84ELc85EKS1_S1_EviT_T0_PT6_S3_lS6_S3_lS4_PT7_S3_li: ; @_ZL32rocblas_syrkx_herkx_small_kernelIl19rocblas_complex_numIfELi16ELb1ELb0ELc84ELc85EKS1_S1_EviT_T0_PT6_S3_lS6_S3_lS4_PT7_S3_li
; %bb.0:
	s_load_dwordx16 s[12:27], s[4:5], 0x8
	s_load_dword s9, s[4:5], 0x0
	v_lshl_add_u32 v2, s6, 4, v0
	v_lshl_add_u32 v12, s7, 4, v1
	v_ashrrev_i32_e32 v3, 31, v2
	s_waitcnt lgkmcnt(0)
	v_cmp_lt_i64_e64 s[0:1], s[12:13], 1
	v_ashrrev_i32_e32 v13, 31, v12
	s_and_b64 vcc, exec, s[0:1]
	v_cmp_gt_i32_e64 s[0:1], s9, v12
	s_cbranch_vccnz .LBB1131_11
; %bb.1:
	v_mul_lo_u32 v8, s25, v12
	v_mul_lo_u32 v9, s24, v13
	v_mad_u64_u32 v[5:6], s[2:3], s24, v12, 0
	s_mul_i32 s2, s27, s8
	s_mul_hi_u32 s3, s26, s8
	v_add3_u32 v6, v6, v9, v8
	v_lshlrev_b64 v[5:6], 3, v[5:6]
	s_add_i32 s3, s3, s2
	s_mul_i32 s2, s26, s8
	v_lshlrev_b32_e32 v7, 7, v1
	v_lshlrev_b32_e32 v14, 3, v0
	s_lshl_b64 s[2:3], s[2:3], 3
	v_add_u32_e32 v15, v14, v7
	v_add_u32_e32 v16, 0x800, v7
	v_mov_b32_e32 v7, s3
	v_add_co_u32_e64 v5, s[2:3], s2, v5
	v_addc_co_u32_e64 v6, s[2:3], v6, v7, s[2:3]
	v_add_co_u32_e64 v5, s[2:3], v5, v14
	v_addc_co_u32_e64 v7, s[2:3], 0, v6, s[2:3]
	v_mul_lo_u32 v11, s19, v2
	v_mul_lo_u32 v18, s18, v3
	v_mad_u64_u32 v[8:9], s[2:3], s18, v2, 0
	v_mov_b32_e32 v10, s23
	v_add_co_u32_e64 v6, s[2:3], s22, v5
	v_addc_co_u32_e64 v7, s[2:3], v10, v7, s[2:3]
	v_add3_u32 v9, v9, v18, v11
	s_mul_i32 s2, s21, s8
	s_mul_hi_u32 s3, s20, s8
	v_lshlrev_b64 v[8:9], 3, v[8:9]
	s_add_i32 s3, s3, s2
	s_mul_i32 s2, s20, s8
	s_lshl_b64 s[2:3], s[2:3], 3
	v_mov_b32_e32 v5, s3
	v_add_co_u32_e64 v8, s[2:3], s2, v8
	v_addc_co_u32_e64 v5, s[2:3], v9, v5, s[2:3]
	v_lshlrev_b32_e32 v9, 3, v1
	v_add_co_u32_e64 v8, s[2:3], v8, v9
	v_addc_co_u32_e64 v5, s[2:3], 0, v5, s[2:3]
	v_mov_b32_e32 v9, s17
	v_add_co_u32_e64 v8, s[2:3], s16, v8
	v_cmp_gt_i32_e32 vcc, s9, v2
	v_addc_co_u32_e64 v9, s[2:3], v9, v5, s[2:3]
	v_mov_b32_e32 v10, s12
	v_mov_b32_e32 v4, 0
	v_add_u32_e32 v17, v16, v14
	s_mov_b64 s[2:3], 0
	s_xor_b64 s[6:7], vcc, -1
	s_xor_b64 s[10:11], s[0:1], -1
	v_mov_b32_e32 v11, s13
	v_mov_b32_e32 v18, 0
	;; [unrolled: 1-line block ×3, first 2 shown]
	s_branch .LBB1131_3
.LBB1131_2:                             ;   in Loop: Header=BB1131_3 Depth=1
	s_or_b64 exec, exec, s[0:1]
	s_waitcnt lgkmcnt(0)
	s_barrier
	ds_read2_b64 v[20:23], v14 offset1:16
	ds_read_b128 v[24:27], v16
	ds_read_b128 v[28:31], v16 offset:16
	ds_read2_b64 v[32:35], v14 offset0:32 offset1:48
	s_add_u32 s2, s2, 16
	v_add_co_u32_e32 v6, vcc, 0x80, v6
	s_waitcnt lgkmcnt(2)
	v_mul_f32_e32 v5, v25, v21
	v_mul_f32_e32 v36, v24, v21
	v_fma_f32 v5, v24, v20, -v5
	v_fmac_f32_e32 v36, v25, v20
	v_mul_f32_e32 v20, v27, v23
	v_fma_f32 v37, v26, v22, -v20
	v_mul_f32_e32 v38, v26, v23
	s_waitcnt lgkmcnt(0)
	v_mul_f32_e32 v20, v29, v33
	v_fmac_f32_e32 v38, v27, v22
	v_fma_f32 v39, v28, v32, -v20
	ds_read2_b64 v[20:23], v14 offset0:64 offset1:80
	ds_read_b128 v[24:27], v16 offset:32
	v_mul_f32_e32 v40, v28, v33
	v_fmac_f32_e32 v40, v29, v32
	v_mul_f32_e32 v28, v31, v35
	v_mul_f32_e32 v42, v30, v35
	s_waitcnt lgkmcnt(0)
	v_mul_f32_e32 v32, v25, v21
	v_fma_f32 v41, v30, v34, -v28
	v_fmac_f32_e32 v42, v31, v34
	ds_read_b128 v[28:31], v16 offset:48
	v_fma_f32 v43, v24, v20, -v32
	ds_read2_b64 v[32:35], v14 offset0:96 offset1:112
	v_mul_f32_e32 v44, v24, v21
	v_fmac_f32_e32 v44, v25, v20
	v_mul_f32_e32 v20, v27, v23
	v_fma_f32 v45, v26, v22, -v20
	v_mul_f32_e32 v46, v26, v23
	s_waitcnt lgkmcnt(0)
	v_mul_f32_e32 v20, v29, v33
	v_fmac_f32_e32 v46, v27, v22
	v_fma_f32 v47, v28, v32, -v20
	ds_read2_b64 v[20:23], v14 offset0:128 offset1:144
	ds_read_b128 v[24:27], v16 offset:64
	v_mul_f32_e32 v48, v28, v33
	v_fmac_f32_e32 v48, v29, v32
	v_mul_f32_e32 v28, v31, v35
	v_mul_f32_e32 v50, v30, v35
	s_waitcnt lgkmcnt(0)
	v_mul_f32_e32 v32, v25, v21
	v_fma_f32 v49, v30, v34, -v28
	v_fmac_f32_e32 v50, v31, v34
	ds_read_b128 v[28:31], v16 offset:80
	v_fma_f32 v51, v24, v20, -v32
	ds_read2_b64 v[32:35], v14 offset0:160 offset1:176
	v_mul_f32_e32 v52, v24, v21
	v_add_f32_e32 v18, v18, v36
	v_fmac_f32_e32 v52, v25, v20
	v_mul_f32_e32 v20, v27, v23
	v_add_f32_e32 v18, v18, v38
	v_fma_f32 v53, v26, v22, -v20
	v_mul_f32_e32 v54, v26, v23
	s_waitcnt lgkmcnt(0)
	v_mul_f32_e32 v20, v29, v33
	v_add_f32_e32 v18, v18, v40
	v_fmac_f32_e32 v54, v27, v22
	v_fma_f32 v55, v28, v32, -v20
	ds_read2_b64 v[20:23], v14 offset0:192 offset1:208
	ds_read_b128 v[24:27], v16 offset:96
	v_add_f32_e32 v18, v18, v42
	v_add_f32_e32 v18, v18, v44
	v_add_f32_e32 v5, v19, v5
	v_add_f32_e32 v18, v18, v46
	v_add_f32_e32 v5, v5, v37
	v_add_f32_e32 v18, v18, v48
	v_mul_f32_e32 v33, v28, v33
	v_mul_f32_e32 v28, v31, v35
	;; [unrolled: 1-line block ×3, first 2 shown]
	v_add_f32_e32 v5, v5, v39
	v_add_f32_e32 v18, v18, v50
	v_fmac_f32_e32 v33, v29, v32
	v_fma_f32 v32, v30, v34, -v28
	v_fmac_f32_e32 v35, v31, v34
	s_waitcnt lgkmcnt(0)
	v_mul_f32_e32 v34, v25, v21
	v_add_f32_e32 v5, v5, v41
	v_add_f32_e32 v18, v18, v52
	v_fma_f32 v34, v24, v20, -v34
	v_mul_f32_e32 v24, v24, v21
	v_add_f32_e32 v5, v5, v43
	v_add_f32_e32 v18, v18, v54
	v_fmac_f32_e32 v24, v25, v20
	v_mul_f32_e32 v20, v27, v23
	v_mul_f32_e32 v23, v26, v23
	v_add_f32_e32 v5, v5, v45
	v_add_f32_e32 v18, v18, v33
	ds_read_b128 v[28:31], v16 offset:112
	v_fma_f32 v25, v26, v22, -v20
	v_fmac_f32_e32 v23, v27, v22
	v_add_f32_e32 v5, v5, v47
	v_add_f32_e32 v22, v18, v35
	ds_read2_b64 v[18:21], v14 offset0:224 offset1:240
	v_add_f32_e32 v5, v5, v49
	v_add_f32_e32 v5, v5, v51
	;; [unrolled: 1-line block ×7, first 2 shown]
	s_waitcnt lgkmcnt(0)
	v_mul_f32_e32 v23, v29, v19
	v_mul_f32_e32 v19, v28, v19
	v_add_f32_e32 v5, v5, v34
	v_fmac_f32_e32 v19, v29, v18
	s_addc_u32 s3, s3, 0
	v_addc_co_u32_e32 v7, vcc, 0, v7, vcc
	v_add_f32_e32 v5, v5, v25
	v_fma_f32 v23, v28, v18, -v23
	v_add_f32_e32 v18, v22, v19
	v_mul_f32_e32 v19, v31, v21
	v_mul_f32_e32 v21, v30, v21
	v_add_co_u32_e32 v8, vcc, 0x80, v8
	v_cmp_ge_i64_e64 s[0:1], s[2:3], v[10:11]
	v_add_f32_e32 v5, v5, v23
	v_fma_f32 v19, v30, v20, -v19
	v_fmac_f32_e32 v21, v31, v20
	v_addc_co_u32_e32 v9, vcc, 0, v9, vcc
	v_add_f32_e32 v19, v5, v19
	v_add_f32_e32 v18, v18, v21
	s_and_b64 vcc, exec, s[0:1]
	s_barrier
	s_cbranch_vccnz .LBB1131_12
.LBB1131_3:                             ; =>This Inner Loop Header: Depth=1
	v_mov_b32_e32 v5, s3
	v_add_co_u32_e32 v20, vcc, s2, v1
	v_addc_co_u32_e32 v21, vcc, 0, v5, vcc
	v_cmp_le_i64_e32 vcc, s[12:13], v[20:21]
	s_or_b64 s[0:1], s[6:7], vcc
	s_and_saveexec_b64 s[16:17], s[0:1]
	s_xor_b64 s[0:1], exec, s[16:17]
; %bb.4:                                ;   in Loop: Header=BB1131_3 Depth=1
	v_mov_b32_e32 v5, v4
	ds_write_b64 v15, v[4:5]
; %bb.5:                                ;   in Loop: Header=BB1131_3 Depth=1
	s_andn2_saveexec_b64 s[0:1], s[0:1]
	s_cbranch_execz .LBB1131_7
; %bb.6:                                ;   in Loop: Header=BB1131_3 Depth=1
	global_load_dwordx2 v[20:21], v[8:9], off
	s_waitcnt vmcnt(0)
	ds_write_b64 v15, v[20:21]
.LBB1131_7:                             ;   in Loop: Header=BB1131_3 Depth=1
	s_or_b64 exec, exec, s[0:1]
	v_mov_b32_e32 v5, s3
	v_add_co_u32_e32 v20, vcc, s2, v0
	v_addc_co_u32_e32 v21, vcc, 0, v5, vcc
	v_cmp_le_i64_e32 vcc, s[12:13], v[20:21]
	s_or_b64 s[0:1], s[10:11], vcc
	s_and_saveexec_b64 s[16:17], s[0:1]
	s_xor_b64 s[0:1], exec, s[16:17]
; %bb.8:                                ;   in Loop: Header=BB1131_3 Depth=1
	v_mov_b32_e32 v5, v4
	ds_write_b64 v17, v[4:5]
; %bb.9:                                ;   in Loop: Header=BB1131_3 Depth=1
	s_andn2_saveexec_b64 s[0:1], s[0:1]
	s_cbranch_execz .LBB1131_2
; %bb.10:                               ;   in Loop: Header=BB1131_3 Depth=1
	global_load_dwordx2 v[20:21], v[6:7], off
	s_waitcnt vmcnt(0)
	ds_write_b64 v17, v[20:21]
	s_branch .LBB1131_2
.LBB1131_11:
	v_mov_b32_e32 v18, 0
	v_mov_b32_e32 v19, 0
.LBB1131_12:
	v_cmp_le_i32_e32 vcc, v2, v12
	v_cmp_gt_i32_e64 s[0:1], s9, v12
	s_and_b64 s[0:1], vcc, s[0:1]
	s_and_saveexec_b64 s[2:3], s[0:1]
	s_cbranch_execz .LBB1131_14
; %bb.13:
	s_load_dwordx2 s[6:7], s[4:5], 0x60
	s_load_dwordx4 s[0:3], s[4:5], 0x50
	v_mul_f32_e32 v4, s15, v18
	v_mul_f32_e32 v5, s14, v18
	v_fma_f32 v4, v19, s14, -v4
	s_waitcnt lgkmcnt(0)
	s_mul_i32 s5, s7, s8
	s_mul_hi_u32 s7, s6, s8
	s_mul_i32 s4, s6, s8
	s_add_i32 s5, s7, s5
	s_lshl_b64 s[4:5], s[4:5], 3
	s_add_u32 s4, s0, s4
	s_addc_u32 s5, s1, s5
	v_mul_lo_u32 v6, s3, v12
	v_mul_lo_u32 v7, s2, v13
	v_mad_u64_u32 v[0:1], s[0:1], s2, v12, 0
	v_fmac_f32_e32 v5, s15, v19
	v_add3_u32 v1, v1, v7, v6
	v_lshlrev_b64 v[0:1], 3, v[0:1]
	v_mov_b32_e32 v6, s5
	v_add_co_u32_e32 v7, vcc, s4, v0
	v_addc_co_u32_e32 v6, vcc, v6, v1, vcc
	v_lshlrev_b64 v[0:1], 3, v[2:3]
	v_add_co_u32_e32 v0, vcc, v7, v0
	v_addc_co_u32_e32 v1, vcc, v6, v1, vcc
	global_store_dwordx2 v[0:1], v[4:5], off
.LBB1131_14:
	s_endpgm
	.section	.rodata,"a",@progbits
	.p2align	6, 0x0
	.amdhsa_kernel _ZL32rocblas_syrkx_herkx_small_kernelIl19rocblas_complex_numIfELi16ELb1ELb0ELc84ELc85EKS1_S1_EviT_T0_PT6_S3_lS6_S3_lS4_PT7_S3_li
		.amdhsa_group_segment_fixed_size 4096
		.amdhsa_private_segment_fixed_size 0
		.amdhsa_kernarg_size 108
		.amdhsa_user_sgpr_count 6
		.amdhsa_user_sgpr_private_segment_buffer 1
		.amdhsa_user_sgpr_dispatch_ptr 0
		.amdhsa_user_sgpr_queue_ptr 0
		.amdhsa_user_sgpr_kernarg_segment_ptr 1
		.amdhsa_user_sgpr_dispatch_id 0
		.amdhsa_user_sgpr_flat_scratch_init 0
		.amdhsa_user_sgpr_private_segment_size 0
		.amdhsa_uses_dynamic_stack 0
		.amdhsa_system_sgpr_private_segment_wavefront_offset 0
		.amdhsa_system_sgpr_workgroup_id_x 1
		.amdhsa_system_sgpr_workgroup_id_y 1
		.amdhsa_system_sgpr_workgroup_id_z 1
		.amdhsa_system_sgpr_workgroup_info 0
		.amdhsa_system_vgpr_workitem_id 1
		.amdhsa_next_free_vgpr 56
		.amdhsa_next_free_sgpr 28
		.amdhsa_reserve_vcc 1
		.amdhsa_reserve_flat_scratch 0
		.amdhsa_float_round_mode_32 0
		.amdhsa_float_round_mode_16_64 0
		.amdhsa_float_denorm_mode_32 3
		.amdhsa_float_denorm_mode_16_64 3
		.amdhsa_dx10_clamp 1
		.amdhsa_ieee_mode 1
		.amdhsa_fp16_overflow 0
		.amdhsa_exception_fp_ieee_invalid_op 0
		.amdhsa_exception_fp_denorm_src 0
		.amdhsa_exception_fp_ieee_div_zero 0
		.amdhsa_exception_fp_ieee_overflow 0
		.amdhsa_exception_fp_ieee_underflow 0
		.amdhsa_exception_fp_ieee_inexact 0
		.amdhsa_exception_int_div_zero 0
	.end_amdhsa_kernel
	.section	.text._ZL32rocblas_syrkx_herkx_small_kernelIl19rocblas_complex_numIfELi16ELb1ELb0ELc84ELc85EKS1_S1_EviT_T0_PT6_S3_lS6_S3_lS4_PT7_S3_li,"axG",@progbits,_ZL32rocblas_syrkx_herkx_small_kernelIl19rocblas_complex_numIfELi16ELb1ELb0ELc84ELc85EKS1_S1_EviT_T0_PT6_S3_lS6_S3_lS4_PT7_S3_li,comdat
.Lfunc_end1131:
	.size	_ZL32rocblas_syrkx_herkx_small_kernelIl19rocblas_complex_numIfELi16ELb1ELb0ELc84ELc85EKS1_S1_EviT_T0_PT6_S3_lS6_S3_lS4_PT7_S3_li, .Lfunc_end1131-_ZL32rocblas_syrkx_herkx_small_kernelIl19rocblas_complex_numIfELi16ELb1ELb0ELc84ELc85EKS1_S1_EviT_T0_PT6_S3_lS6_S3_lS4_PT7_S3_li
                                        ; -- End function
	.set _ZL32rocblas_syrkx_herkx_small_kernelIl19rocblas_complex_numIfELi16ELb1ELb0ELc84ELc85EKS1_S1_EviT_T0_PT6_S3_lS6_S3_lS4_PT7_S3_li.num_vgpr, 56
	.set _ZL32rocblas_syrkx_herkx_small_kernelIl19rocblas_complex_numIfELi16ELb1ELb0ELc84ELc85EKS1_S1_EviT_T0_PT6_S3_lS6_S3_lS4_PT7_S3_li.num_agpr, 0
	.set _ZL32rocblas_syrkx_herkx_small_kernelIl19rocblas_complex_numIfELi16ELb1ELb0ELc84ELc85EKS1_S1_EviT_T0_PT6_S3_lS6_S3_lS4_PT7_S3_li.numbered_sgpr, 28
	.set _ZL32rocblas_syrkx_herkx_small_kernelIl19rocblas_complex_numIfELi16ELb1ELb0ELc84ELc85EKS1_S1_EviT_T0_PT6_S3_lS6_S3_lS4_PT7_S3_li.num_named_barrier, 0
	.set _ZL32rocblas_syrkx_herkx_small_kernelIl19rocblas_complex_numIfELi16ELb1ELb0ELc84ELc85EKS1_S1_EviT_T0_PT6_S3_lS6_S3_lS4_PT7_S3_li.private_seg_size, 0
	.set _ZL32rocblas_syrkx_herkx_small_kernelIl19rocblas_complex_numIfELi16ELb1ELb0ELc84ELc85EKS1_S1_EviT_T0_PT6_S3_lS6_S3_lS4_PT7_S3_li.uses_vcc, 1
	.set _ZL32rocblas_syrkx_herkx_small_kernelIl19rocblas_complex_numIfELi16ELb1ELb0ELc84ELc85EKS1_S1_EviT_T0_PT6_S3_lS6_S3_lS4_PT7_S3_li.uses_flat_scratch, 0
	.set _ZL32rocblas_syrkx_herkx_small_kernelIl19rocblas_complex_numIfELi16ELb1ELb0ELc84ELc85EKS1_S1_EviT_T0_PT6_S3_lS6_S3_lS4_PT7_S3_li.has_dyn_sized_stack, 0
	.set _ZL32rocblas_syrkx_herkx_small_kernelIl19rocblas_complex_numIfELi16ELb1ELb0ELc84ELc85EKS1_S1_EviT_T0_PT6_S3_lS6_S3_lS4_PT7_S3_li.has_recursion, 0
	.set _ZL32rocblas_syrkx_herkx_small_kernelIl19rocblas_complex_numIfELi16ELb1ELb0ELc84ELc85EKS1_S1_EviT_T0_PT6_S3_lS6_S3_lS4_PT7_S3_li.has_indirect_call, 0
	.section	.AMDGPU.csdata,"",@progbits
; Kernel info:
; codeLenInByte = 1364
; TotalNumSgprs: 32
; NumVgprs: 56
; ScratchSize: 0
; MemoryBound: 1
; FloatMode: 240
; IeeeMode: 1
; LDSByteSize: 4096 bytes/workgroup (compile time only)
; SGPRBlocks: 3
; VGPRBlocks: 13
; NumSGPRsForWavesPerEU: 32
; NumVGPRsForWavesPerEU: 56
; Occupancy: 4
; WaveLimiterHint : 0
; COMPUTE_PGM_RSRC2:SCRATCH_EN: 0
; COMPUTE_PGM_RSRC2:USER_SGPR: 6
; COMPUTE_PGM_RSRC2:TRAP_HANDLER: 0
; COMPUTE_PGM_RSRC2:TGID_X_EN: 1
; COMPUTE_PGM_RSRC2:TGID_Y_EN: 1
; COMPUTE_PGM_RSRC2:TGID_Z_EN: 1
; COMPUTE_PGM_RSRC2:TIDIG_COMP_CNT: 1
	.section	.text._ZL32rocblas_syrkx_herkx_small_kernelIl19rocblas_complex_numIfELi16ELb1ELb0ELc67ELc85EKS1_S1_EviT_T0_PT6_S3_lS6_S3_lS4_PT7_S3_li,"axG",@progbits,_ZL32rocblas_syrkx_herkx_small_kernelIl19rocblas_complex_numIfELi16ELb1ELb0ELc67ELc85EKS1_S1_EviT_T0_PT6_S3_lS6_S3_lS4_PT7_S3_li,comdat
	.globl	_ZL32rocblas_syrkx_herkx_small_kernelIl19rocblas_complex_numIfELi16ELb1ELb0ELc67ELc85EKS1_S1_EviT_T0_PT6_S3_lS6_S3_lS4_PT7_S3_li ; -- Begin function _ZL32rocblas_syrkx_herkx_small_kernelIl19rocblas_complex_numIfELi16ELb1ELb0ELc67ELc85EKS1_S1_EviT_T0_PT6_S3_lS6_S3_lS4_PT7_S3_li
	.p2align	8
	.type	_ZL32rocblas_syrkx_herkx_small_kernelIl19rocblas_complex_numIfELi16ELb1ELb0ELc67ELc85EKS1_S1_EviT_T0_PT6_S3_lS6_S3_lS4_PT7_S3_li,@function
_ZL32rocblas_syrkx_herkx_small_kernelIl19rocblas_complex_numIfELi16ELb1ELb0ELc67ELc85EKS1_S1_EviT_T0_PT6_S3_lS6_S3_lS4_PT7_S3_li: ; @_ZL32rocblas_syrkx_herkx_small_kernelIl19rocblas_complex_numIfELi16ELb1ELb0ELc67ELc85EKS1_S1_EviT_T0_PT6_S3_lS6_S3_lS4_PT7_S3_li
; %bb.0:
	s_load_dwordx16 s[12:27], s[4:5], 0x8
	s_load_dword s9, s[4:5], 0x0
	v_lshl_add_u32 v2, s6, 4, v0
	v_lshl_add_u32 v14, s7, 4, v1
	v_ashrrev_i32_e32 v3, 31, v2
	s_waitcnt lgkmcnt(0)
	v_cmp_lt_i64_e64 s[0:1], s[12:13], 1
	v_cmp_gt_i32_e64 s[2:3], s9, v14
	s_and_b64 vcc, exec, s[0:1]
	v_ashrrev_i32_e32 v15, 31, v14
	s_cbranch_vccnz .LBB1132_9
; %bb.1:
	v_mul_lo_u32 v8, s25, v14
	v_mul_lo_u32 v9, s24, v15
	v_mad_u64_u32 v[5:6], s[6:7], s24, v14, 0
	s_mul_i32 s6, s27, s8
	s_mul_hi_u32 s7, s26, s8
	v_add3_u32 v6, v6, v9, v8
	v_lshlrev_b64 v[5:6], 3, v[5:6]
	s_add_i32 s7, s7, s6
	s_mul_i32 s6, s26, s8
	v_lshlrev_b32_e32 v7, 7, v1
	v_lshlrev_b32_e32 v16, 3, v0
	s_lshl_b64 s[6:7], s[6:7], 3
	v_add_u32_e32 v17, v16, v7
	v_add_u32_e32 v18, 0x800, v7
	v_mov_b32_e32 v7, s7
	v_add_co_u32_e32 v5, vcc, s6, v5
	v_mul_lo_u32 v11, s19, v2
	v_mul_lo_u32 v12, s18, v3
	v_mad_u64_u32 v[8:9], s[6:7], s18, v2, 0
	v_addc_co_u32_e32 v6, vcc, v6, v7, vcc
	v_add_co_u32_e32 v5, vcc, v5, v16
	v_addc_co_u32_e32 v7, vcc, 0, v6, vcc
	v_add3_u32 v9, v9, v12, v11
	s_mul_i32 s6, s21, s8
	s_mul_hi_u32 s7, s20, s8
	v_mov_b32_e32 v10, s23
	v_add_co_u32_e32 v6, vcc, s22, v5
	v_lshlrev_b64 v[8:9], 3, v[8:9]
	s_add_i32 s7, s7, s6
	s_mul_i32 s6, s20, s8
	v_addc_co_u32_e32 v7, vcc, v10, v7, vcc
	s_lshl_b64 s[6:7], s[6:7], 3
	v_mov_b32_e32 v5, s7
	v_add_co_u32_e32 v8, vcc, s6, v8
	v_addc_co_u32_e32 v5, vcc, v9, v5, vcc
	v_lshlrev_b32_e32 v9, 3, v1
	v_add_co_u32_e32 v8, vcc, v8, v9
	v_addc_co_u32_e32 v5, vcc, 0, v5, vcc
	v_mov_b32_e32 v9, s17
	v_add_co_u32_e32 v8, vcc, s16, v8
	v_addc_co_u32_e32 v5, vcc, v9, v5, vcc
	v_add_co_u32_e32 v8, vcc, 4, v8
	v_mov_b32_e32 v10, s12
	v_mov_b32_e32 v4, 0
	v_cmp_gt_i32_e64 s[0:1], s9, v2
	v_add_u32_e32 v19, v18, v16
	v_addc_co_u32_e32 v9, vcc, 0, v5, vcc
	s_mov_b64 s[6:7], 0
	s_xor_b64 s[10:11], s[2:3], -1
	v_mov_b32_e32 v11, s13
	v_mov_b32_e32 v20, 0
	;; [unrolled: 1-line block ×3, first 2 shown]
	s_branch .LBB1132_3
.LBB1132_2:                             ;   in Loop: Header=BB1132_3 Depth=1
	s_or_b64 exec, exec, s[2:3]
	s_waitcnt lgkmcnt(0)
	s_barrier
	ds_read2_b64 v[22:25], v16 offset1:16
	ds_read_b128 v[26:29], v18
	ds_read_b128 v[30:33], v18 offset:16
	ds_read2_b64 v[34:37], v16 offset0:32 offset1:48
	s_add_u32 s6, s6, 16
	v_add_co_u32_e32 v6, vcc, 0x80, v6
	s_waitcnt lgkmcnt(2)
	v_mul_f32_e32 v5, v27, v23
	v_mul_f32_e32 v12, v26, v23
	v_fma_f32 v5, v26, v22, -v5
	v_fmac_f32_e32 v12, v27, v22
	v_mul_f32_e32 v13, v29, v25
	v_mul_f32_e32 v38, v28, v25
	s_waitcnt lgkmcnt(0)
	v_mul_f32_e32 v22, v31, v35
	v_fma_f32 v13, v28, v24, -v13
	v_fmac_f32_e32 v38, v29, v24
	v_fma_f32 v39, v30, v34, -v22
	ds_read2_b64 v[22:25], v16 offset0:64 offset1:80
	ds_read_b128 v[26:29], v18 offset:32
	v_mul_f32_e32 v40, v30, v35
	v_fmac_f32_e32 v40, v31, v34
	v_mul_f32_e32 v30, v33, v37
	v_mul_f32_e32 v42, v32, v37
	s_waitcnt lgkmcnt(0)
	v_mul_f32_e32 v34, v27, v23
	v_fma_f32 v41, v32, v36, -v30
	v_fmac_f32_e32 v42, v33, v36
	ds_read_b128 v[30:33], v18 offset:48
	v_fma_f32 v43, v26, v22, -v34
	ds_read2_b64 v[34:37], v16 offset0:96 offset1:112
	v_mul_f32_e32 v44, v26, v23
	v_fmac_f32_e32 v44, v27, v22
	v_mul_f32_e32 v22, v29, v25
	v_fma_f32 v45, v28, v24, -v22
	v_mul_f32_e32 v46, v28, v25
	s_waitcnt lgkmcnt(0)
	v_mul_f32_e32 v22, v31, v35
	v_fmac_f32_e32 v46, v29, v24
	v_fma_f32 v47, v30, v34, -v22
	ds_read2_b64 v[22:25], v16 offset0:128 offset1:144
	ds_read_b128 v[26:29], v18 offset:64
	v_mul_f32_e32 v48, v30, v35
	v_fmac_f32_e32 v48, v31, v34
	v_mul_f32_e32 v30, v33, v37
	v_mul_f32_e32 v50, v32, v37
	s_waitcnt lgkmcnt(0)
	v_mul_f32_e32 v34, v27, v23
	v_fma_f32 v49, v32, v36, -v30
	v_fmac_f32_e32 v50, v33, v36
	ds_read_b128 v[30:33], v18 offset:80
	v_fma_f32 v51, v26, v22, -v34
	ds_read2_b64 v[34:37], v16 offset0:160 offset1:176
	v_mul_f32_e32 v52, v26, v23
	v_fmac_f32_e32 v52, v27, v22
	v_mul_f32_e32 v22, v29, v25
	v_fma_f32 v53, v28, v24, -v22
	v_mul_f32_e32 v54, v28, v25
	s_waitcnt lgkmcnt(0)
	v_mul_f32_e32 v22, v31, v35
	v_fmac_f32_e32 v54, v29, v24
	v_fma_f32 v55, v30, v34, -v22
	ds_read2_b64 v[22:25], v16 offset0:192 offset1:208
	ds_read_b128 v[26:29], v18 offset:96
	v_add_f32_e32 v5, v21, v5
	v_add_f32_e32 v12, v20, v12
	;; [unrolled: 1-line block ×5, first 2 shown]
	v_mul_f32_e32 v35, v30, v35
	v_mul_f32_e32 v30, v33, v37
	;; [unrolled: 1-line block ×3, first 2 shown]
	v_add_f32_e32 v12, v12, v40
	v_add_f32_e32 v5, v5, v41
	v_fmac_f32_e32 v35, v31, v34
	v_fma_f32 v34, v32, v36, -v30
	v_fmac_f32_e32 v37, v33, v36
	s_waitcnt lgkmcnt(0)
	v_mul_f32_e32 v36, v27, v23
	v_add_f32_e32 v12, v12, v42
	v_add_f32_e32 v5, v5, v43
	v_fma_f32 v36, v26, v22, -v36
	v_mul_f32_e32 v26, v26, v23
	v_add_f32_e32 v12, v12, v44
	v_add_f32_e32 v5, v5, v45
	v_fmac_f32_e32 v26, v27, v22
	v_mul_f32_e32 v22, v29, v25
	v_add_f32_e32 v12, v12, v46
	v_add_f32_e32 v5, v5, v47
	ds_read_b128 v[30:33], v18 offset:112
	v_fma_f32 v27, v28, v24, -v22
	v_add_f32_e32 v12, v12, v48
	v_add_f32_e32 v5, v5, v49
	ds_read2_b64 v[20:23], v16 offset0:224 offset1:240
	v_add_f32_e32 v12, v12, v50
	v_add_f32_e32 v5, v5, v51
	;; [unrolled: 1-line block ×8, first 2 shown]
	v_mul_f32_e32 v25, v28, v25
	v_add_f32_e32 v12, v12, v37
	v_add_f32_e32 v5, v5, v36
	s_waitcnt lgkmcnt(0)
	v_mul_f32_e32 v13, v31, v21
	v_fmac_f32_e32 v25, v29, v24
	v_add_f32_e32 v12, v12, v26
	v_add_f32_e32 v5, v5, v27
	v_fma_f32 v13, v30, v20, -v13
	v_mul_f32_e32 v21, v30, v21
	s_addc_u32 s7, s7, 0
	v_addc_co_u32_e32 v7, vcc, 0, v7, vcc
	v_add_f32_e32 v12, v12, v25
	v_fmac_f32_e32 v21, v31, v20
	v_add_f32_e32 v5, v5, v13
	v_mul_f32_e32 v13, v33, v23
	v_mul_f32_e32 v20, v32, v23
	v_add_co_u32_e32 v8, vcc, 0x80, v8
	v_cmp_ge_i64_e64 s[2:3], s[6:7], v[10:11]
	v_add_f32_e32 v12, v12, v21
	v_fma_f32 v13, v32, v22, -v13
	v_fmac_f32_e32 v20, v33, v22
	v_addc_co_u32_e32 v9, vcc, 0, v9, vcc
	v_add_f32_e32 v21, v5, v13
	v_add_f32_e32 v20, v12, v20
	s_and_b64 vcc, exec, s[2:3]
	s_barrier
	s_cbranch_vccnz .LBB1132_10
.LBB1132_3:                             ; =>This Inner Loop Header: Depth=1
	v_mov_b32_e32 v5, s7
	v_add_co_u32_e32 v12, vcc, s6, v1
	v_addc_co_u32_e32 v13, vcc, 0, v5, vcc
	v_cmp_gt_i64_e32 vcc, s[12:13], v[12:13]
	v_mov_b32_e32 v12, 0
	s_and_b64 s[16:17], s[0:1], vcc
	v_mov_b32_e32 v13, 0
	s_and_saveexec_b64 s[2:3], s[16:17]
	s_cbranch_execz .LBB1132_5
; %bb.4:                                ;   in Loop: Header=BB1132_3 Depth=1
	global_load_dwordx2 v[12:13], v[8:9], off offset:-4
.LBB1132_5:                             ;   in Loop: Header=BB1132_3 Depth=1
	s_or_b64 exec, exec, s[2:3]
	v_mov_b32_e32 v5, s7
	v_add_co_u32_e32 v22, vcc, s6, v0
	v_addc_co_u32_e32 v23, vcc, 0, v5, vcc
	v_cmp_le_i64_e32 vcc, s[12:13], v[22:23]
	s_waitcnt vmcnt(0)
	ds_write_b64 v17, v[12:13]
	s_or_b64 s[2:3], s[10:11], vcc
	s_and_saveexec_b64 s[16:17], s[2:3]
	s_xor_b64 s[2:3], exec, s[16:17]
; %bb.6:                                ;   in Loop: Header=BB1132_3 Depth=1
	v_mov_b32_e32 v5, v4
	ds_write_b64 v19, v[4:5]
; %bb.7:                                ;   in Loop: Header=BB1132_3 Depth=1
	s_andn2_saveexec_b64 s[2:3], s[2:3]
	s_cbranch_execz .LBB1132_2
; %bb.8:                                ;   in Loop: Header=BB1132_3 Depth=1
	global_load_dwordx2 v[12:13], v[6:7], off
	s_waitcnt vmcnt(0)
	ds_write_b64 v19, v[12:13]
	s_branch .LBB1132_2
.LBB1132_9:
	v_mov_b32_e32 v20, 0
	v_mov_b32_e32 v21, 0
.LBB1132_10:
	v_cmp_le_i32_e32 vcc, v2, v14
	v_cmp_gt_i32_e64 s[0:1], s9, v14
	s_and_b64 s[0:1], vcc, s[0:1]
	s_and_saveexec_b64 s[2:3], s[0:1]
	s_cbranch_execz .LBB1132_12
; %bb.11:
	s_load_dwordx2 s[6:7], s[4:5], 0x60
	s_load_dwordx4 s[0:3], s[4:5], 0x50
	v_mul_f32_e32 v4, s15, v20
	v_mul_f32_e32 v5, s14, v20
	v_fma_f32 v4, v21, s14, -v4
	s_waitcnt lgkmcnt(0)
	s_mul_i32 s5, s7, s8
	s_mul_hi_u32 s7, s6, s8
	s_mul_i32 s4, s6, s8
	s_add_i32 s5, s7, s5
	s_lshl_b64 s[4:5], s[4:5], 3
	s_add_u32 s4, s0, s4
	s_addc_u32 s5, s1, s5
	v_mul_lo_u32 v6, s3, v14
	v_mul_lo_u32 v7, s2, v15
	v_mad_u64_u32 v[0:1], s[0:1], s2, v14, 0
	v_fmac_f32_e32 v5, s15, v21
	v_add3_u32 v1, v1, v7, v6
	v_lshlrev_b64 v[0:1], 3, v[0:1]
	v_mov_b32_e32 v6, s5
	v_add_co_u32_e32 v7, vcc, s4, v0
	v_addc_co_u32_e32 v6, vcc, v6, v1, vcc
	v_lshlrev_b64 v[0:1], 3, v[2:3]
	v_add_co_u32_e32 v0, vcc, v7, v0
	v_addc_co_u32_e32 v1, vcc, v6, v1, vcc
	global_store_dwordx2 v[0:1], v[4:5], off
.LBB1132_12:
	s_endpgm
	.section	.rodata,"a",@progbits
	.p2align	6, 0x0
	.amdhsa_kernel _ZL32rocblas_syrkx_herkx_small_kernelIl19rocblas_complex_numIfELi16ELb1ELb0ELc67ELc85EKS1_S1_EviT_T0_PT6_S3_lS6_S3_lS4_PT7_S3_li
		.amdhsa_group_segment_fixed_size 4096
		.amdhsa_private_segment_fixed_size 0
		.amdhsa_kernarg_size 108
		.amdhsa_user_sgpr_count 6
		.amdhsa_user_sgpr_private_segment_buffer 1
		.amdhsa_user_sgpr_dispatch_ptr 0
		.amdhsa_user_sgpr_queue_ptr 0
		.amdhsa_user_sgpr_kernarg_segment_ptr 1
		.amdhsa_user_sgpr_dispatch_id 0
		.amdhsa_user_sgpr_flat_scratch_init 0
		.amdhsa_user_sgpr_private_segment_size 0
		.amdhsa_uses_dynamic_stack 0
		.amdhsa_system_sgpr_private_segment_wavefront_offset 0
		.amdhsa_system_sgpr_workgroup_id_x 1
		.amdhsa_system_sgpr_workgroup_id_y 1
		.amdhsa_system_sgpr_workgroup_id_z 1
		.amdhsa_system_sgpr_workgroup_info 0
		.amdhsa_system_vgpr_workitem_id 1
		.amdhsa_next_free_vgpr 56
		.amdhsa_next_free_sgpr 28
		.amdhsa_reserve_vcc 1
		.amdhsa_reserve_flat_scratch 0
		.amdhsa_float_round_mode_32 0
		.amdhsa_float_round_mode_16_64 0
		.amdhsa_float_denorm_mode_32 3
		.amdhsa_float_denorm_mode_16_64 3
		.amdhsa_dx10_clamp 1
		.amdhsa_ieee_mode 1
		.amdhsa_fp16_overflow 0
		.amdhsa_exception_fp_ieee_invalid_op 0
		.amdhsa_exception_fp_denorm_src 0
		.amdhsa_exception_fp_ieee_div_zero 0
		.amdhsa_exception_fp_ieee_overflow 0
		.amdhsa_exception_fp_ieee_underflow 0
		.amdhsa_exception_fp_ieee_inexact 0
		.amdhsa_exception_int_div_zero 0
	.end_amdhsa_kernel
	.section	.text._ZL32rocblas_syrkx_herkx_small_kernelIl19rocblas_complex_numIfELi16ELb1ELb0ELc67ELc85EKS1_S1_EviT_T0_PT6_S3_lS6_S3_lS4_PT7_S3_li,"axG",@progbits,_ZL32rocblas_syrkx_herkx_small_kernelIl19rocblas_complex_numIfELi16ELb1ELb0ELc67ELc85EKS1_S1_EviT_T0_PT6_S3_lS6_S3_lS4_PT7_S3_li,comdat
.Lfunc_end1132:
	.size	_ZL32rocblas_syrkx_herkx_small_kernelIl19rocblas_complex_numIfELi16ELb1ELb0ELc67ELc85EKS1_S1_EviT_T0_PT6_S3_lS6_S3_lS4_PT7_S3_li, .Lfunc_end1132-_ZL32rocblas_syrkx_herkx_small_kernelIl19rocblas_complex_numIfELi16ELb1ELb0ELc67ELc85EKS1_S1_EviT_T0_PT6_S3_lS6_S3_lS4_PT7_S3_li
                                        ; -- End function
	.set _ZL32rocblas_syrkx_herkx_small_kernelIl19rocblas_complex_numIfELi16ELb1ELb0ELc67ELc85EKS1_S1_EviT_T0_PT6_S3_lS6_S3_lS4_PT7_S3_li.num_vgpr, 56
	.set _ZL32rocblas_syrkx_herkx_small_kernelIl19rocblas_complex_numIfELi16ELb1ELb0ELc67ELc85EKS1_S1_EviT_T0_PT6_S3_lS6_S3_lS4_PT7_S3_li.num_agpr, 0
	.set _ZL32rocblas_syrkx_herkx_small_kernelIl19rocblas_complex_numIfELi16ELb1ELb0ELc67ELc85EKS1_S1_EviT_T0_PT6_S3_lS6_S3_lS4_PT7_S3_li.numbered_sgpr, 28
	.set _ZL32rocblas_syrkx_herkx_small_kernelIl19rocblas_complex_numIfELi16ELb1ELb0ELc67ELc85EKS1_S1_EviT_T0_PT6_S3_lS6_S3_lS4_PT7_S3_li.num_named_barrier, 0
	.set _ZL32rocblas_syrkx_herkx_small_kernelIl19rocblas_complex_numIfELi16ELb1ELb0ELc67ELc85EKS1_S1_EviT_T0_PT6_S3_lS6_S3_lS4_PT7_S3_li.private_seg_size, 0
	.set _ZL32rocblas_syrkx_herkx_small_kernelIl19rocblas_complex_numIfELi16ELb1ELb0ELc67ELc85EKS1_S1_EviT_T0_PT6_S3_lS6_S3_lS4_PT7_S3_li.uses_vcc, 1
	.set _ZL32rocblas_syrkx_herkx_small_kernelIl19rocblas_complex_numIfELi16ELb1ELb0ELc67ELc85EKS1_S1_EviT_T0_PT6_S3_lS6_S3_lS4_PT7_S3_li.uses_flat_scratch, 0
	.set _ZL32rocblas_syrkx_herkx_small_kernelIl19rocblas_complex_numIfELi16ELb1ELb0ELc67ELc85EKS1_S1_EviT_T0_PT6_S3_lS6_S3_lS4_PT7_S3_li.has_dyn_sized_stack, 0
	.set _ZL32rocblas_syrkx_herkx_small_kernelIl19rocblas_complex_numIfELi16ELb1ELb0ELc67ELc85EKS1_S1_EviT_T0_PT6_S3_lS6_S3_lS4_PT7_S3_li.has_recursion, 0
	.set _ZL32rocblas_syrkx_herkx_small_kernelIl19rocblas_complex_numIfELi16ELb1ELb0ELc67ELc85EKS1_S1_EviT_T0_PT6_S3_lS6_S3_lS4_PT7_S3_li.has_indirect_call, 0
	.section	.AMDGPU.csdata,"",@progbits
; Kernel info:
; codeLenInByte = 1312
; TotalNumSgprs: 32
; NumVgprs: 56
; ScratchSize: 0
; MemoryBound: 1
; FloatMode: 240
; IeeeMode: 1
; LDSByteSize: 4096 bytes/workgroup (compile time only)
; SGPRBlocks: 3
; VGPRBlocks: 13
; NumSGPRsForWavesPerEU: 32
; NumVGPRsForWavesPerEU: 56
; Occupancy: 4
; WaveLimiterHint : 0
; COMPUTE_PGM_RSRC2:SCRATCH_EN: 0
; COMPUTE_PGM_RSRC2:USER_SGPR: 6
; COMPUTE_PGM_RSRC2:TRAP_HANDLER: 0
; COMPUTE_PGM_RSRC2:TGID_X_EN: 1
; COMPUTE_PGM_RSRC2:TGID_Y_EN: 1
; COMPUTE_PGM_RSRC2:TGID_Z_EN: 1
; COMPUTE_PGM_RSRC2:TIDIG_COMP_CNT: 1
	.section	.text._ZL32rocblas_syrkx_herkx_small_kernelIl19rocblas_complex_numIfELi16ELb1ELb0ELc78ELc85EKS1_S1_EviT_T0_PT6_S3_lS6_S3_lS4_PT7_S3_li,"axG",@progbits,_ZL32rocblas_syrkx_herkx_small_kernelIl19rocblas_complex_numIfELi16ELb1ELb0ELc78ELc85EKS1_S1_EviT_T0_PT6_S3_lS6_S3_lS4_PT7_S3_li,comdat
	.globl	_ZL32rocblas_syrkx_herkx_small_kernelIl19rocblas_complex_numIfELi16ELb1ELb0ELc78ELc85EKS1_S1_EviT_T0_PT6_S3_lS6_S3_lS4_PT7_S3_li ; -- Begin function _ZL32rocblas_syrkx_herkx_small_kernelIl19rocblas_complex_numIfELi16ELb1ELb0ELc78ELc85EKS1_S1_EviT_T0_PT6_S3_lS6_S3_lS4_PT7_S3_li
	.p2align	8
	.type	_ZL32rocblas_syrkx_herkx_small_kernelIl19rocblas_complex_numIfELi16ELb1ELb0ELc78ELc85EKS1_S1_EviT_T0_PT6_S3_lS6_S3_lS4_PT7_S3_li,@function
_ZL32rocblas_syrkx_herkx_small_kernelIl19rocblas_complex_numIfELi16ELb1ELb0ELc78ELc85EKS1_S1_EviT_T0_PT6_S3_lS6_S3_lS4_PT7_S3_li: ; @_ZL32rocblas_syrkx_herkx_small_kernelIl19rocblas_complex_numIfELi16ELb1ELb0ELc78ELc85EKS1_S1_EviT_T0_PT6_S3_lS6_S3_lS4_PT7_S3_li
; %bb.0:
	s_load_dwordx16 s[12:27], s[4:5], 0x8
	s_load_dword s9, s[4:5], 0x0
	v_lshl_add_u32 v2, s6, 4, v0
	v_lshl_add_u32 v4, s7, 4, v1
	v_ashrrev_i32_e32 v3, 31, v2
	s_waitcnt lgkmcnt(0)
	v_cmp_lt_i64_e64 s[0:1], s[12:13], 1
	v_ashrrev_i32_e32 v5, 31, v4
	s_and_b64 vcc, exec, s[0:1]
	v_cmp_gt_i32_e64 s[0:1], s9, v4
	s_cbranch_vccnz .LBB1133_9
; %bb.1:
	v_lshlrev_b32_e32 v7, 7, v1
	v_lshlrev_b32_e32 v16, 3, v0
	v_add_u32_e32 v17, v16, v7
	v_add_u32_e32 v18, 0x800, v7
	v_mad_u64_u32 v[7:8], s[2:3], s24, v0, 0
	s_mul_i32 s6, s27, s8
	s_mul_hi_u32 s7, s26, s8
	v_mad_u64_u32 v[8:9], s[2:3], s25, v0, v[8:9]
	s_add_i32 s3, s7, s6
	s_mul_i32 s2, s26, s8
	v_lshlrev_b64 v[7:8], 3, v[7:8]
	s_lshl_b64 s[2:3], s[2:3], 3
	v_mov_b32_e32 v9, s3
	v_add_co_u32_e64 v10, s[2:3], s2, v7
	v_addc_co_u32_e64 v9, s[2:3], v9, v8, s[2:3]
	v_lshlrev_b64 v[7:8], 3, v[4:5]
	s_mul_i32 s10, s21, s8
	v_add_co_u32_e64 v7, s[2:3], v10, v7
	v_addc_co_u32_e64 v8, s[2:3], v9, v8, s[2:3]
	v_mov_b32_e32 v9, s23
	v_add_co_u32_e64 v7, s[2:3], s22, v7
	v_addc_co_u32_e64 v9, s[2:3], v9, v8, s[2:3]
	v_add_co_u32_e64 v8, s[2:3], 4, v7
	v_addc_co_u32_e64 v9, s[2:3], 0, v9, s[2:3]
	v_mad_u64_u32 v[10:11], s[2:3], s18, v1, 0
	s_mul_hi_u32 s11, s20, s8
	v_cmp_gt_i32_e32 vcc, s9, v2
	v_mov_b32_e32 v7, v11
	v_mad_u64_u32 v[11:12], s[2:3], s19, v1, v[7:8]
	s_add_i32 s3, s11, s10
	s_mul_i32 s2, s20, s8
	v_lshlrev_b64 v[10:11], 3, v[10:11]
	s_lshl_b64 s[2:3], s[2:3], 3
	v_mov_b32_e32 v7, s3
	v_add_co_u32_e64 v12, s[2:3], s2, v10
	v_addc_co_u32_e64 v7, s[2:3], v7, v11, s[2:3]
	v_lshlrev_b64 v[10:11], 3, v[2:3]
	s_lshl_b64 s[6:7], s[24:25], 7
	v_add_co_u32_e64 v10, s[2:3], v12, v10
	v_addc_co_u32_e64 v7, s[2:3], v7, v11, s[2:3]
	v_mov_b32_e32 v11, s17
	v_add_co_u32_e64 v10, s[2:3], s16, v10
	s_lshl_b64 s[10:11], s[18:19], 7
	v_mov_b32_e32 v12, s12
	v_mov_b32_e32 v6, 0
	v_add_u32_e32 v19, v18, v16
	v_addc_co_u32_e64 v11, s[2:3], v11, v7, s[2:3]
	s_mov_b64 s[16:17], 0
	s_xor_b64 s[18:19], vcc, -1
	v_mov_b32_e32 v22, s7
	v_mov_b32_e32 v23, s11
	;; [unrolled: 1-line block ×5, first 2 shown]
	s_branch .LBB1133_3
.LBB1133_2:                             ;   in Loop: Header=BB1133_3 Depth=1
	s_or_b64 exec, exec, s[2:3]
	s_waitcnt vmcnt(0)
	ds_write_b64 v19, v[14:15]
	s_waitcnt lgkmcnt(0)
	s_barrier
	ds_read2_b64 v[24:27], v16 offset1:16
	ds_read_b128 v[28:31], v18
	ds_read_b128 v[32:35], v18 offset:16
	ds_read2_b64 v[36:39], v16 offset0:32 offset1:48
	s_add_u32 s16, s16, 16
	v_add_co_u32_e32 v8, vcc, s6, v8
	s_waitcnt lgkmcnt(2)
	v_mul_f32_e32 v7, v29, v25
	v_mul_f32_e32 v14, v28, v25
	v_fma_f32 v7, v28, v24, -v7
	v_fmac_f32_e32 v14, v29, v24
	v_mul_f32_e32 v15, v31, v27
	v_mul_f32_e32 v40, v30, v27
	s_waitcnt lgkmcnt(0)
	v_mul_f32_e32 v24, v33, v37
	v_fma_f32 v15, v30, v26, -v15
	v_fmac_f32_e32 v40, v31, v26
	v_fma_f32 v41, v32, v36, -v24
	ds_read2_b64 v[24:27], v16 offset0:64 offset1:80
	ds_read_b128 v[28:31], v18 offset:32
	v_mul_f32_e32 v42, v32, v37
	v_fmac_f32_e32 v42, v33, v36
	v_mul_f32_e32 v32, v35, v39
	v_mul_f32_e32 v44, v34, v39
	s_waitcnt lgkmcnt(0)
	v_mul_f32_e32 v36, v29, v25
	v_fma_f32 v43, v34, v38, -v32
	v_fmac_f32_e32 v44, v35, v38
	ds_read_b128 v[32:35], v18 offset:48
	v_fma_f32 v45, v28, v24, -v36
	ds_read2_b64 v[36:39], v16 offset0:96 offset1:112
	v_mul_f32_e32 v46, v28, v25
	v_fmac_f32_e32 v46, v29, v24
	v_mul_f32_e32 v24, v31, v27
	v_fma_f32 v47, v30, v26, -v24
	v_mul_f32_e32 v48, v30, v27
	s_waitcnt lgkmcnt(0)
	v_mul_f32_e32 v24, v33, v37
	v_fmac_f32_e32 v48, v31, v26
	v_fma_f32 v49, v32, v36, -v24
	ds_read2_b64 v[24:27], v16 offset0:128 offset1:144
	ds_read_b128 v[28:31], v18 offset:64
	v_mul_f32_e32 v50, v32, v37
	v_fmac_f32_e32 v50, v33, v36
	v_mul_f32_e32 v32, v35, v39
	v_mul_f32_e32 v52, v34, v39
	s_waitcnt lgkmcnt(0)
	v_mul_f32_e32 v36, v29, v25
	v_fma_f32 v51, v34, v38, -v32
	v_fmac_f32_e32 v52, v35, v38
	ds_read_b128 v[32:35], v18 offset:80
	v_fma_f32 v53, v28, v24, -v36
	ds_read2_b64 v[36:39], v16 offset0:160 offset1:176
	v_mul_f32_e32 v54, v28, v25
	v_fmac_f32_e32 v54, v29, v24
	v_mul_f32_e32 v24, v31, v27
	v_fma_f32 v55, v30, v26, -v24
	v_mul_f32_e32 v56, v30, v27
	s_waitcnt lgkmcnt(0)
	v_mul_f32_e32 v24, v33, v37
	v_add_f32_e32 v7, v21, v7
	v_add_f32_e32 v14, v20, v14
	v_fmac_f32_e32 v56, v31, v26
	v_fma_f32 v57, v32, v36, -v24
	ds_read2_b64 v[24:27], v16 offset0:192 offset1:208
	ds_read_b128 v[28:31], v18 offset:96
	v_add_f32_e32 v7, v7, v15
	v_add_f32_e32 v14, v14, v40
	;; [unrolled: 1-line block ×8, first 2 shown]
	v_mul_f32_e32 v58, v32, v37
	v_add_f32_e32 v7, v7, v47
	v_add_f32_e32 v14, v14, v48
	v_fmac_f32_e32 v58, v33, v36
	v_mul_f32_e32 v32, v35, v39
	v_mul_f32_e32 v60, v34, v39
	s_waitcnt lgkmcnt(0)
	v_mul_f32_e32 v36, v29, v25
	v_add_f32_e32 v7, v7, v49
	v_add_f32_e32 v14, v14, v50
	v_fma_f32 v59, v34, v38, -v32
	v_fmac_f32_e32 v60, v35, v38
	ds_read_b128 v[32:35], v18 offset:112
	v_fma_f32 v61, v28, v24, -v36
	ds_read2_b64 v[36:39], v16 offset0:224 offset1:240
	v_add_f32_e32 v7, v7, v51
	v_add_f32_e32 v14, v14, v52
	;; [unrolled: 1-line block ×6, first 2 shown]
	v_mul_f32_e32 v25, v28, v25
	v_add_f32_e32 v7, v7, v57
	v_add_f32_e32 v14, v14, v58
	v_fmac_f32_e32 v25, v29, v24
	v_mul_f32_e32 v24, v31, v27
	v_mul_f32_e32 v27, v30, v27
	v_add_f32_e32 v7, v7, v59
	v_add_f32_e32 v14, v14, v60
	v_fma_f32 v24, v30, v26, -v24
	v_fmac_f32_e32 v27, v31, v26
	s_waitcnt lgkmcnt(0)
	v_mul_f32_e32 v26, v33, v37
	v_mul_f32_e32 v28, v32, v37
	v_add_f32_e32 v7, v7, v61
	v_add_f32_e32 v14, v14, v25
	s_addc_u32 s17, s17, 0
	v_addc_co_u32_e32 v9, vcc, v9, v22, vcc
	v_fma_f32 v26, v32, v36, -v26
	v_fmac_f32_e32 v28, v33, v36
	v_mul_f32_e32 v29, v35, v39
	v_mul_f32_e32 v30, v34, v39
	v_add_f32_e32 v7, v7, v24
	v_add_f32_e32 v14, v14, v27
	v_cmp_ge_i64_e32 vcc, s[16:17], v[12:13]
	v_fma_f32 v29, v34, v38, -v29
	v_fmac_f32_e32 v30, v35, v38
	v_add_f32_e32 v7, v7, v26
	v_add_f32_e32 v14, v14, v28
	v_add_co_u32_e64 v10, s[2:3], s10, v10
	v_add_f32_e32 v21, v7, v29
	v_add_f32_e32 v20, v14, v30
	v_addc_co_u32_e64 v11, s[2:3], v11, v23, s[2:3]
	s_barrier
	s_cbranch_vccnz .LBB1133_10
.LBB1133_3:                             ; =>This Inner Loop Header: Depth=1
	v_mov_b32_e32 v7, s17
	v_add_co_u32_e32 v14, vcc, s16, v1
	v_addc_co_u32_e32 v15, vcc, 0, v7, vcc
	v_cmp_le_i64_e32 vcc, s[12:13], v[14:15]
	s_or_b64 s[2:3], s[18:19], vcc
	s_and_saveexec_b64 s[20:21], s[2:3]
	s_xor_b64 s[2:3], exec, s[20:21]
; %bb.4:                                ;   in Loop: Header=BB1133_3 Depth=1
	v_mov_b32_e32 v7, v6
	ds_write_b64 v17, v[6:7]
; %bb.5:                                ;   in Loop: Header=BB1133_3 Depth=1
	s_andn2_saveexec_b64 s[2:3], s[2:3]
	s_cbranch_execz .LBB1133_7
; %bb.6:                                ;   in Loop: Header=BB1133_3 Depth=1
	global_load_dwordx2 v[14:15], v[10:11], off
	s_waitcnt vmcnt(0)
	ds_write_b64 v17, v[14:15]
.LBB1133_7:                             ;   in Loop: Header=BB1133_3 Depth=1
	s_or_b64 exec, exec, s[2:3]
	v_mov_b32_e32 v7, s17
	v_add_co_u32_e32 v14, vcc, s16, v0
	v_addc_co_u32_e32 v15, vcc, 0, v7, vcc
	v_cmp_gt_i64_e32 vcc, s[12:13], v[14:15]
	v_mov_b32_e32 v14, 0
	s_and_b64 s[20:21], s[0:1], vcc
	v_mov_b32_e32 v15, 0
	s_and_saveexec_b64 s[2:3], s[20:21]
	s_cbranch_execz .LBB1133_2
; %bb.8:                                ;   in Loop: Header=BB1133_3 Depth=1
	global_load_dwordx2 v[14:15], v[8:9], off offset:-4
	s_branch .LBB1133_2
.LBB1133_9:
	v_mov_b32_e32 v20, 0
	v_mov_b32_e32 v21, 0
.LBB1133_10:
	v_cmp_le_i32_e32 vcc, v2, v4
	v_cmp_gt_i32_e64 s[0:1], s9, v4
	s_and_b64 s[0:1], vcc, s[0:1]
	s_and_saveexec_b64 s[2:3], s[0:1]
	s_cbranch_execz .LBB1133_12
; %bb.11:
	s_load_dwordx2 s[6:7], s[4:5], 0x60
	s_load_dwordx4 s[0:3], s[4:5], 0x50
	v_mul_f32_e32 v6, s15, v20
	s_waitcnt lgkmcnt(0)
	s_mul_i32 s5, s7, s8
	s_mul_hi_u32 s7, s6, s8
	s_mul_i32 s4, s6, s8
	s_add_i32 s5, s7, s5
	s_lshl_b64 s[4:5], s[4:5], 3
	s_add_u32 s4, s0, s4
	s_addc_u32 s5, s1, s5
	v_mul_lo_u32 v7, s3, v4
	v_mul_lo_u32 v8, s2, v5
	v_mad_u64_u32 v[0:1], s[0:1], s2, v4, 0
	v_fma_f32 v4, v21, s14, -v6
	v_mov_b32_e32 v6, s5
	v_add3_u32 v1, v1, v8, v7
	v_lshlrev_b64 v[0:1], 3, v[0:1]
	v_mul_f32_e32 v5, s14, v20
	v_add_co_u32_e32 v7, vcc, s4, v0
	v_addc_co_u32_e32 v6, vcc, v6, v1, vcc
	v_lshlrev_b64 v[0:1], 3, v[2:3]
	v_fmac_f32_e32 v5, s15, v21
	v_add_co_u32_e32 v0, vcc, v7, v0
	v_addc_co_u32_e32 v1, vcc, v6, v1, vcc
	global_store_dwordx2 v[0:1], v[4:5], off
.LBB1133_12:
	s_endpgm
	.section	.rodata,"a",@progbits
	.p2align	6, 0x0
	.amdhsa_kernel _ZL32rocblas_syrkx_herkx_small_kernelIl19rocblas_complex_numIfELi16ELb1ELb0ELc78ELc85EKS1_S1_EviT_T0_PT6_S3_lS6_S3_lS4_PT7_S3_li
		.amdhsa_group_segment_fixed_size 4096
		.amdhsa_private_segment_fixed_size 0
		.amdhsa_kernarg_size 108
		.amdhsa_user_sgpr_count 6
		.amdhsa_user_sgpr_private_segment_buffer 1
		.amdhsa_user_sgpr_dispatch_ptr 0
		.amdhsa_user_sgpr_queue_ptr 0
		.amdhsa_user_sgpr_kernarg_segment_ptr 1
		.amdhsa_user_sgpr_dispatch_id 0
		.amdhsa_user_sgpr_flat_scratch_init 0
		.amdhsa_user_sgpr_private_segment_size 0
		.amdhsa_uses_dynamic_stack 0
		.amdhsa_system_sgpr_private_segment_wavefront_offset 0
		.amdhsa_system_sgpr_workgroup_id_x 1
		.amdhsa_system_sgpr_workgroup_id_y 1
		.amdhsa_system_sgpr_workgroup_id_z 1
		.amdhsa_system_sgpr_workgroup_info 0
		.amdhsa_system_vgpr_workitem_id 1
		.amdhsa_next_free_vgpr 62
		.amdhsa_next_free_sgpr 28
		.amdhsa_reserve_vcc 1
		.amdhsa_reserve_flat_scratch 0
		.amdhsa_float_round_mode_32 0
		.amdhsa_float_round_mode_16_64 0
		.amdhsa_float_denorm_mode_32 3
		.amdhsa_float_denorm_mode_16_64 3
		.amdhsa_dx10_clamp 1
		.amdhsa_ieee_mode 1
		.amdhsa_fp16_overflow 0
		.amdhsa_exception_fp_ieee_invalid_op 0
		.amdhsa_exception_fp_denorm_src 0
		.amdhsa_exception_fp_ieee_div_zero 0
		.amdhsa_exception_fp_ieee_overflow 0
		.amdhsa_exception_fp_ieee_underflow 0
		.amdhsa_exception_fp_ieee_inexact 0
		.amdhsa_exception_int_div_zero 0
	.end_amdhsa_kernel
	.section	.text._ZL32rocblas_syrkx_herkx_small_kernelIl19rocblas_complex_numIfELi16ELb1ELb0ELc78ELc85EKS1_S1_EviT_T0_PT6_S3_lS6_S3_lS4_PT7_S3_li,"axG",@progbits,_ZL32rocblas_syrkx_herkx_small_kernelIl19rocblas_complex_numIfELi16ELb1ELb0ELc78ELc85EKS1_S1_EviT_T0_PT6_S3_lS6_S3_lS4_PT7_S3_li,comdat
.Lfunc_end1133:
	.size	_ZL32rocblas_syrkx_herkx_small_kernelIl19rocblas_complex_numIfELi16ELb1ELb0ELc78ELc85EKS1_S1_EviT_T0_PT6_S3_lS6_S3_lS4_PT7_S3_li, .Lfunc_end1133-_ZL32rocblas_syrkx_herkx_small_kernelIl19rocblas_complex_numIfELi16ELb1ELb0ELc78ELc85EKS1_S1_EviT_T0_PT6_S3_lS6_S3_lS4_PT7_S3_li
                                        ; -- End function
	.set _ZL32rocblas_syrkx_herkx_small_kernelIl19rocblas_complex_numIfELi16ELb1ELb0ELc78ELc85EKS1_S1_EviT_T0_PT6_S3_lS6_S3_lS4_PT7_S3_li.num_vgpr, 62
	.set _ZL32rocblas_syrkx_herkx_small_kernelIl19rocblas_complex_numIfELi16ELb1ELb0ELc78ELc85EKS1_S1_EviT_T0_PT6_S3_lS6_S3_lS4_PT7_S3_li.num_agpr, 0
	.set _ZL32rocblas_syrkx_herkx_small_kernelIl19rocblas_complex_numIfELi16ELb1ELb0ELc78ELc85EKS1_S1_EviT_T0_PT6_S3_lS6_S3_lS4_PT7_S3_li.numbered_sgpr, 28
	.set _ZL32rocblas_syrkx_herkx_small_kernelIl19rocblas_complex_numIfELi16ELb1ELb0ELc78ELc85EKS1_S1_EviT_T0_PT6_S3_lS6_S3_lS4_PT7_S3_li.num_named_barrier, 0
	.set _ZL32rocblas_syrkx_herkx_small_kernelIl19rocblas_complex_numIfELi16ELb1ELb0ELc78ELc85EKS1_S1_EviT_T0_PT6_S3_lS6_S3_lS4_PT7_S3_li.private_seg_size, 0
	.set _ZL32rocblas_syrkx_herkx_small_kernelIl19rocblas_complex_numIfELi16ELb1ELb0ELc78ELc85EKS1_S1_EviT_T0_PT6_S3_lS6_S3_lS4_PT7_S3_li.uses_vcc, 1
	.set _ZL32rocblas_syrkx_herkx_small_kernelIl19rocblas_complex_numIfELi16ELb1ELb0ELc78ELc85EKS1_S1_EviT_T0_PT6_S3_lS6_S3_lS4_PT7_S3_li.uses_flat_scratch, 0
	.set _ZL32rocblas_syrkx_herkx_small_kernelIl19rocblas_complex_numIfELi16ELb1ELb0ELc78ELc85EKS1_S1_EviT_T0_PT6_S3_lS6_S3_lS4_PT7_S3_li.has_dyn_sized_stack, 0
	.set _ZL32rocblas_syrkx_herkx_small_kernelIl19rocblas_complex_numIfELi16ELb1ELb0ELc78ELc85EKS1_S1_EviT_T0_PT6_S3_lS6_S3_lS4_PT7_S3_li.has_recursion, 0
	.set _ZL32rocblas_syrkx_herkx_small_kernelIl19rocblas_complex_numIfELi16ELb1ELb0ELc78ELc85EKS1_S1_EviT_T0_PT6_S3_lS6_S3_lS4_PT7_S3_li.has_indirect_call, 0
	.section	.AMDGPU.csdata,"",@progbits
; Kernel info:
; codeLenInByte = 1356
; TotalNumSgprs: 32
; NumVgprs: 62
; ScratchSize: 0
; MemoryBound: 1
; FloatMode: 240
; IeeeMode: 1
; LDSByteSize: 4096 bytes/workgroup (compile time only)
; SGPRBlocks: 3
; VGPRBlocks: 15
; NumSGPRsForWavesPerEU: 32
; NumVGPRsForWavesPerEU: 62
; Occupancy: 4
; WaveLimiterHint : 0
; COMPUTE_PGM_RSRC2:SCRATCH_EN: 0
; COMPUTE_PGM_RSRC2:USER_SGPR: 6
; COMPUTE_PGM_RSRC2:TRAP_HANDLER: 0
; COMPUTE_PGM_RSRC2:TGID_X_EN: 1
; COMPUTE_PGM_RSRC2:TGID_Y_EN: 1
; COMPUTE_PGM_RSRC2:TGID_Z_EN: 1
; COMPUTE_PGM_RSRC2:TIDIG_COMP_CNT: 1
	.section	.text._ZL32rocblas_syrkx_herkx_small_kernelIl19rocblas_complex_numIfELi16ELb0ELb0ELc84ELc76EKS1_S1_EviT_T0_PT6_S3_lS6_S3_lS4_PT7_S3_li,"axG",@progbits,_ZL32rocblas_syrkx_herkx_small_kernelIl19rocblas_complex_numIfELi16ELb0ELb0ELc84ELc76EKS1_S1_EviT_T0_PT6_S3_lS6_S3_lS4_PT7_S3_li,comdat
	.globl	_ZL32rocblas_syrkx_herkx_small_kernelIl19rocblas_complex_numIfELi16ELb0ELb0ELc84ELc76EKS1_S1_EviT_T0_PT6_S3_lS6_S3_lS4_PT7_S3_li ; -- Begin function _ZL32rocblas_syrkx_herkx_small_kernelIl19rocblas_complex_numIfELi16ELb0ELb0ELc84ELc76EKS1_S1_EviT_T0_PT6_S3_lS6_S3_lS4_PT7_S3_li
	.p2align	8
	.type	_ZL32rocblas_syrkx_herkx_small_kernelIl19rocblas_complex_numIfELi16ELb0ELb0ELc84ELc76EKS1_S1_EviT_T0_PT6_S3_lS6_S3_lS4_PT7_S3_li,@function
_ZL32rocblas_syrkx_herkx_small_kernelIl19rocblas_complex_numIfELi16ELb0ELb0ELc84ELc76EKS1_S1_EviT_T0_PT6_S3_lS6_S3_lS4_PT7_S3_li: ; @_ZL32rocblas_syrkx_herkx_small_kernelIl19rocblas_complex_numIfELi16ELb0ELb0ELc84ELc76EKS1_S1_EviT_T0_PT6_S3_lS6_S3_lS4_PT7_S3_li
; %bb.0:
	s_load_dwordx16 s[12:27], s[4:5], 0x8
	s_load_dword s9, s[4:5], 0x0
	v_lshl_add_u32 v2, s6, 4, v0
	v_lshl_add_u32 v12, s7, 4, v1
	v_ashrrev_i32_e32 v3, 31, v2
	s_waitcnt lgkmcnt(0)
	v_cmp_lt_i64_e64 s[0:1], s[12:13], 1
	v_ashrrev_i32_e32 v13, 31, v12
	s_and_b64 vcc, exec, s[0:1]
	v_cmp_gt_i32_e64 s[0:1], s9, v2
	s_cbranch_vccnz .LBB1134_11
; %bb.1:
	v_mul_lo_u32 v8, s25, v12
	v_mul_lo_u32 v9, s24, v13
	v_mad_u64_u32 v[5:6], s[2:3], s24, v12, 0
	s_mul_i32 s2, s27, s8
	s_mul_hi_u32 s3, s26, s8
	v_add3_u32 v6, v6, v9, v8
	v_lshlrev_b64 v[5:6], 3, v[5:6]
	s_add_i32 s3, s3, s2
	s_mul_i32 s2, s26, s8
	v_lshlrev_b32_e32 v7, 7, v1
	v_lshlrev_b32_e32 v14, 3, v0
	s_lshl_b64 s[2:3], s[2:3], 3
	v_add_u32_e32 v15, v14, v7
	v_add_u32_e32 v16, 0x800, v7
	v_mov_b32_e32 v7, s3
	v_add_co_u32_e64 v5, s[2:3], s2, v5
	v_addc_co_u32_e64 v6, s[2:3], v6, v7, s[2:3]
	v_add_co_u32_e64 v5, s[2:3], v5, v14
	v_addc_co_u32_e64 v7, s[2:3], 0, v6, s[2:3]
	v_mul_lo_u32 v11, s19, v2
	v_mul_lo_u32 v18, s18, v3
	v_mad_u64_u32 v[8:9], s[2:3], s18, v2, 0
	v_mov_b32_e32 v10, s23
	v_add_co_u32_e64 v6, s[2:3], s22, v5
	v_addc_co_u32_e64 v7, s[2:3], v10, v7, s[2:3]
	v_add3_u32 v9, v9, v18, v11
	s_mul_i32 s2, s21, s8
	s_mul_hi_u32 s3, s20, s8
	v_lshlrev_b64 v[8:9], 3, v[8:9]
	s_add_i32 s3, s3, s2
	s_mul_i32 s2, s20, s8
	s_lshl_b64 s[2:3], s[2:3], 3
	v_mov_b32_e32 v5, s3
	v_add_co_u32_e64 v8, s[2:3], s2, v8
	v_addc_co_u32_e64 v5, s[2:3], v9, v5, s[2:3]
	v_lshlrev_b32_e32 v9, 3, v1
	v_add_co_u32_e64 v8, s[2:3], v8, v9
	v_addc_co_u32_e64 v5, s[2:3], 0, v5, s[2:3]
	v_mov_b32_e32 v9, s17
	v_add_co_u32_e64 v8, s[2:3], s16, v8
	v_cmp_gt_i32_e32 vcc, s9, v12
	v_addc_co_u32_e64 v9, s[2:3], v9, v5, s[2:3]
	v_mov_b32_e32 v10, s12
	v_mov_b32_e32 v4, 0
	v_add_u32_e32 v17, v16, v14
	s_mov_b64 s[2:3], 0
	s_xor_b64 s[6:7], s[0:1], -1
	s_xor_b64 s[10:11], vcc, -1
	v_mov_b32_e32 v11, s13
	v_mov_b32_e32 v18, 0
	;; [unrolled: 1-line block ×3, first 2 shown]
	s_branch .LBB1134_3
.LBB1134_2:                             ;   in Loop: Header=BB1134_3 Depth=1
	s_or_b64 exec, exec, s[0:1]
	s_waitcnt lgkmcnt(0)
	s_barrier
	ds_read2_b64 v[20:23], v14 offset1:16
	ds_read_b128 v[24:27], v16
	ds_read_b128 v[28:31], v16 offset:16
	ds_read2_b64 v[32:35], v14 offset0:32 offset1:48
	s_add_u32 s2, s2, 16
	v_add_co_u32_e32 v6, vcc, 0x80, v6
	s_waitcnt lgkmcnt(2)
	v_mul_f32_e32 v5, v25, v21
	v_mul_f32_e32 v36, v24, v21
	v_fma_f32 v5, v24, v20, -v5
	v_fmac_f32_e32 v36, v25, v20
	v_mul_f32_e32 v20, v27, v23
	v_fma_f32 v37, v26, v22, -v20
	v_mul_f32_e32 v38, v26, v23
	s_waitcnt lgkmcnt(0)
	v_mul_f32_e32 v20, v29, v33
	v_fmac_f32_e32 v38, v27, v22
	v_fma_f32 v39, v28, v32, -v20
	ds_read2_b64 v[20:23], v14 offset0:64 offset1:80
	ds_read_b128 v[24:27], v16 offset:32
	v_mul_f32_e32 v40, v28, v33
	v_fmac_f32_e32 v40, v29, v32
	v_mul_f32_e32 v28, v31, v35
	v_mul_f32_e32 v42, v30, v35
	s_waitcnt lgkmcnt(0)
	v_mul_f32_e32 v32, v25, v21
	v_fma_f32 v41, v30, v34, -v28
	v_fmac_f32_e32 v42, v31, v34
	ds_read_b128 v[28:31], v16 offset:48
	v_fma_f32 v43, v24, v20, -v32
	ds_read2_b64 v[32:35], v14 offset0:96 offset1:112
	v_mul_f32_e32 v44, v24, v21
	v_fmac_f32_e32 v44, v25, v20
	v_mul_f32_e32 v20, v27, v23
	v_fma_f32 v45, v26, v22, -v20
	v_mul_f32_e32 v46, v26, v23
	s_waitcnt lgkmcnt(0)
	v_mul_f32_e32 v20, v29, v33
	v_fmac_f32_e32 v46, v27, v22
	v_fma_f32 v47, v28, v32, -v20
	ds_read2_b64 v[20:23], v14 offset0:128 offset1:144
	ds_read_b128 v[24:27], v16 offset:64
	v_mul_f32_e32 v48, v28, v33
	v_fmac_f32_e32 v48, v29, v32
	v_mul_f32_e32 v28, v31, v35
	v_mul_f32_e32 v50, v30, v35
	s_waitcnt lgkmcnt(0)
	v_mul_f32_e32 v32, v25, v21
	v_fma_f32 v49, v30, v34, -v28
	v_fmac_f32_e32 v50, v31, v34
	ds_read_b128 v[28:31], v16 offset:80
	v_fma_f32 v51, v24, v20, -v32
	ds_read2_b64 v[32:35], v14 offset0:160 offset1:176
	v_mul_f32_e32 v52, v24, v21
	v_add_f32_e32 v18, v18, v36
	v_fmac_f32_e32 v52, v25, v20
	v_mul_f32_e32 v20, v27, v23
	v_add_f32_e32 v18, v18, v38
	v_fma_f32 v53, v26, v22, -v20
	v_mul_f32_e32 v54, v26, v23
	s_waitcnt lgkmcnt(0)
	v_mul_f32_e32 v20, v29, v33
	v_add_f32_e32 v18, v18, v40
	v_fmac_f32_e32 v54, v27, v22
	v_fma_f32 v55, v28, v32, -v20
	ds_read2_b64 v[20:23], v14 offset0:192 offset1:208
	ds_read_b128 v[24:27], v16 offset:96
	v_add_f32_e32 v18, v18, v42
	v_add_f32_e32 v18, v18, v44
	;; [unrolled: 1-line block ×6, first 2 shown]
	v_mul_f32_e32 v33, v28, v33
	v_mul_f32_e32 v28, v31, v35
	;; [unrolled: 1-line block ×3, first 2 shown]
	v_add_f32_e32 v5, v5, v39
	v_add_f32_e32 v18, v18, v50
	v_fmac_f32_e32 v33, v29, v32
	v_fma_f32 v32, v30, v34, -v28
	v_fmac_f32_e32 v35, v31, v34
	s_waitcnt lgkmcnt(0)
	v_mul_f32_e32 v34, v25, v21
	v_add_f32_e32 v5, v5, v41
	v_add_f32_e32 v18, v18, v52
	v_fma_f32 v34, v24, v20, -v34
	v_mul_f32_e32 v24, v24, v21
	v_add_f32_e32 v5, v5, v43
	v_add_f32_e32 v18, v18, v54
	v_fmac_f32_e32 v24, v25, v20
	v_mul_f32_e32 v20, v27, v23
	v_mul_f32_e32 v23, v26, v23
	v_add_f32_e32 v5, v5, v45
	v_add_f32_e32 v18, v18, v33
	ds_read_b128 v[28:31], v16 offset:112
	v_fma_f32 v25, v26, v22, -v20
	v_fmac_f32_e32 v23, v27, v22
	v_add_f32_e32 v5, v5, v47
	v_add_f32_e32 v22, v18, v35
	ds_read2_b64 v[18:21], v14 offset0:224 offset1:240
	v_add_f32_e32 v5, v5, v49
	v_add_f32_e32 v5, v5, v51
	;; [unrolled: 1-line block ×7, first 2 shown]
	s_waitcnt lgkmcnt(0)
	v_mul_f32_e32 v23, v29, v19
	v_mul_f32_e32 v19, v28, v19
	v_add_f32_e32 v5, v5, v34
	v_fmac_f32_e32 v19, v29, v18
	s_addc_u32 s3, s3, 0
	v_addc_co_u32_e32 v7, vcc, 0, v7, vcc
	v_add_f32_e32 v5, v5, v25
	v_fma_f32 v23, v28, v18, -v23
	v_add_f32_e32 v18, v22, v19
	v_mul_f32_e32 v19, v31, v21
	v_mul_f32_e32 v21, v30, v21
	v_add_co_u32_e32 v8, vcc, 0x80, v8
	v_cmp_ge_i64_e64 s[0:1], s[2:3], v[10:11]
	v_add_f32_e32 v5, v5, v23
	v_fma_f32 v19, v30, v20, -v19
	v_fmac_f32_e32 v21, v31, v20
	v_addc_co_u32_e32 v9, vcc, 0, v9, vcc
	v_add_f32_e32 v19, v5, v19
	v_add_f32_e32 v18, v18, v21
	s_and_b64 vcc, exec, s[0:1]
	s_barrier
	s_cbranch_vccnz .LBB1134_12
.LBB1134_3:                             ; =>This Inner Loop Header: Depth=1
	v_mov_b32_e32 v5, s3
	v_add_co_u32_e32 v20, vcc, s2, v1
	v_addc_co_u32_e32 v21, vcc, 0, v5, vcc
	v_cmp_le_i64_e32 vcc, s[12:13], v[20:21]
	s_or_b64 s[0:1], s[6:7], vcc
	s_and_saveexec_b64 s[16:17], s[0:1]
	s_xor_b64 s[0:1], exec, s[16:17]
; %bb.4:                                ;   in Loop: Header=BB1134_3 Depth=1
	v_mov_b32_e32 v5, v4
	ds_write_b64 v15, v[4:5]
; %bb.5:                                ;   in Loop: Header=BB1134_3 Depth=1
	s_andn2_saveexec_b64 s[0:1], s[0:1]
	s_cbranch_execz .LBB1134_7
; %bb.6:                                ;   in Loop: Header=BB1134_3 Depth=1
	global_load_dwordx2 v[20:21], v[8:9], off
	s_waitcnt vmcnt(0)
	ds_write_b64 v15, v[20:21]
.LBB1134_7:                             ;   in Loop: Header=BB1134_3 Depth=1
	s_or_b64 exec, exec, s[0:1]
	v_mov_b32_e32 v5, s3
	v_add_co_u32_e32 v20, vcc, s2, v0
	v_addc_co_u32_e32 v21, vcc, 0, v5, vcc
	v_cmp_le_i64_e32 vcc, s[12:13], v[20:21]
	s_or_b64 s[0:1], s[10:11], vcc
	s_and_saveexec_b64 s[16:17], s[0:1]
	s_xor_b64 s[0:1], exec, s[16:17]
; %bb.8:                                ;   in Loop: Header=BB1134_3 Depth=1
	v_mov_b32_e32 v5, v4
	ds_write_b64 v17, v[4:5]
; %bb.9:                                ;   in Loop: Header=BB1134_3 Depth=1
	s_andn2_saveexec_b64 s[0:1], s[0:1]
	s_cbranch_execz .LBB1134_2
; %bb.10:                               ;   in Loop: Header=BB1134_3 Depth=1
	global_load_dwordx2 v[20:21], v[6:7], off
	s_waitcnt vmcnt(0)
	ds_write_b64 v17, v[20:21]
	s_branch .LBB1134_2
.LBB1134_11:
	v_mov_b32_e32 v18, 0
	v_mov_b32_e32 v19, 0
.LBB1134_12:
	s_load_dwordx8 s[16:23], s[4:5], 0x48
	v_cmp_le_i32_e32 vcc, v12, v2
	v_cmp_gt_i32_e64 s[0:1], s9, v2
	s_and_b64 s[0:1], vcc, s[0:1]
	s_and_saveexec_b64 s[2:3], s[0:1]
	s_cbranch_execz .LBB1134_14
; %bb.13:
	s_waitcnt lgkmcnt(0)
	v_mul_lo_u32 v4, s21, v12
	v_mul_lo_u32 v5, s20, v13
	v_mad_u64_u32 v[0:1], s[2:3], s20, v12, 0
	s_mul_i32 s0, s23, s8
	s_mul_hi_u32 s1, s22, s8
	s_add_i32 s1, s1, s0
	s_mul_i32 s0, s22, s8
	s_lshl_b64 s[0:1], s[0:1], 3
	v_add3_u32 v1, v1, v5, v4
	s_add_u32 s0, s18, s0
	v_lshlrev_b64 v[0:1], 3, v[0:1]
	s_addc_u32 s1, s19, s1
	v_mov_b32_e32 v4, s1
	v_add_co_u32_e32 v5, vcc, s0, v0
	v_addc_co_u32_e32 v4, vcc, v4, v1, vcc
	v_lshlrev_b64 v[0:1], 3, v[2:3]
	v_add_co_u32_e32 v0, vcc, v5, v0
	v_addc_co_u32_e32 v1, vcc, v4, v1, vcc
	global_load_dwordx2 v[2:3], v[0:1], off
	v_mul_f32_e32 v4, s15, v18
	v_mul_f32_e32 v5, s14, v18
	v_fma_f32 v4, v19, s14, -v4
	v_fmac_f32_e32 v5, s15, v19
	s_waitcnt vmcnt(0)
	v_mul_f32_e32 v6, s17, v3
	v_mul_f32_e32 v3, s16, v3
	v_fma_f32 v6, v2, s16, -v6
	v_fmac_f32_e32 v3, s17, v2
	v_add_f32_e32 v2, v4, v6
	v_add_f32_e32 v3, v5, v3
	global_store_dwordx2 v[0:1], v[2:3], off
.LBB1134_14:
	s_endpgm
	.section	.rodata,"a",@progbits
	.p2align	6, 0x0
	.amdhsa_kernel _ZL32rocblas_syrkx_herkx_small_kernelIl19rocblas_complex_numIfELi16ELb0ELb0ELc84ELc76EKS1_S1_EviT_T0_PT6_S3_lS6_S3_lS4_PT7_S3_li
		.amdhsa_group_segment_fixed_size 4096
		.amdhsa_private_segment_fixed_size 0
		.amdhsa_kernarg_size 108
		.amdhsa_user_sgpr_count 6
		.amdhsa_user_sgpr_private_segment_buffer 1
		.amdhsa_user_sgpr_dispatch_ptr 0
		.amdhsa_user_sgpr_queue_ptr 0
		.amdhsa_user_sgpr_kernarg_segment_ptr 1
		.amdhsa_user_sgpr_dispatch_id 0
		.amdhsa_user_sgpr_flat_scratch_init 0
		.amdhsa_user_sgpr_private_segment_size 0
		.amdhsa_uses_dynamic_stack 0
		.amdhsa_system_sgpr_private_segment_wavefront_offset 0
		.amdhsa_system_sgpr_workgroup_id_x 1
		.amdhsa_system_sgpr_workgroup_id_y 1
		.amdhsa_system_sgpr_workgroup_id_z 1
		.amdhsa_system_sgpr_workgroup_info 0
		.amdhsa_system_vgpr_workitem_id 1
		.amdhsa_next_free_vgpr 56
		.amdhsa_next_free_sgpr 28
		.amdhsa_reserve_vcc 1
		.amdhsa_reserve_flat_scratch 0
		.amdhsa_float_round_mode_32 0
		.amdhsa_float_round_mode_16_64 0
		.amdhsa_float_denorm_mode_32 3
		.amdhsa_float_denorm_mode_16_64 3
		.amdhsa_dx10_clamp 1
		.amdhsa_ieee_mode 1
		.amdhsa_fp16_overflow 0
		.amdhsa_exception_fp_ieee_invalid_op 0
		.amdhsa_exception_fp_denorm_src 0
		.amdhsa_exception_fp_ieee_div_zero 0
		.amdhsa_exception_fp_ieee_overflow 0
		.amdhsa_exception_fp_ieee_underflow 0
		.amdhsa_exception_fp_ieee_inexact 0
		.amdhsa_exception_int_div_zero 0
	.end_amdhsa_kernel
	.section	.text._ZL32rocblas_syrkx_herkx_small_kernelIl19rocblas_complex_numIfELi16ELb0ELb0ELc84ELc76EKS1_S1_EviT_T0_PT6_S3_lS6_S3_lS4_PT7_S3_li,"axG",@progbits,_ZL32rocblas_syrkx_herkx_small_kernelIl19rocblas_complex_numIfELi16ELb0ELb0ELc84ELc76EKS1_S1_EviT_T0_PT6_S3_lS6_S3_lS4_PT7_S3_li,comdat
.Lfunc_end1134:
	.size	_ZL32rocblas_syrkx_herkx_small_kernelIl19rocblas_complex_numIfELi16ELb0ELb0ELc84ELc76EKS1_S1_EviT_T0_PT6_S3_lS6_S3_lS4_PT7_S3_li, .Lfunc_end1134-_ZL32rocblas_syrkx_herkx_small_kernelIl19rocblas_complex_numIfELi16ELb0ELb0ELc84ELc76EKS1_S1_EviT_T0_PT6_S3_lS6_S3_lS4_PT7_S3_li
                                        ; -- End function
	.set _ZL32rocblas_syrkx_herkx_small_kernelIl19rocblas_complex_numIfELi16ELb0ELb0ELc84ELc76EKS1_S1_EviT_T0_PT6_S3_lS6_S3_lS4_PT7_S3_li.num_vgpr, 56
	.set _ZL32rocblas_syrkx_herkx_small_kernelIl19rocblas_complex_numIfELi16ELb0ELb0ELc84ELc76EKS1_S1_EviT_T0_PT6_S3_lS6_S3_lS4_PT7_S3_li.num_agpr, 0
	.set _ZL32rocblas_syrkx_herkx_small_kernelIl19rocblas_complex_numIfELi16ELb0ELb0ELc84ELc76EKS1_S1_EviT_T0_PT6_S3_lS6_S3_lS4_PT7_S3_li.numbered_sgpr, 28
	.set _ZL32rocblas_syrkx_herkx_small_kernelIl19rocblas_complex_numIfELi16ELb0ELb0ELc84ELc76EKS1_S1_EviT_T0_PT6_S3_lS6_S3_lS4_PT7_S3_li.num_named_barrier, 0
	.set _ZL32rocblas_syrkx_herkx_small_kernelIl19rocblas_complex_numIfELi16ELb0ELb0ELc84ELc76EKS1_S1_EviT_T0_PT6_S3_lS6_S3_lS4_PT7_S3_li.private_seg_size, 0
	.set _ZL32rocblas_syrkx_herkx_small_kernelIl19rocblas_complex_numIfELi16ELb0ELb0ELc84ELc76EKS1_S1_EviT_T0_PT6_S3_lS6_S3_lS4_PT7_S3_li.uses_vcc, 1
	.set _ZL32rocblas_syrkx_herkx_small_kernelIl19rocblas_complex_numIfELi16ELb0ELb0ELc84ELc76EKS1_S1_EviT_T0_PT6_S3_lS6_S3_lS4_PT7_S3_li.uses_flat_scratch, 0
	.set _ZL32rocblas_syrkx_herkx_small_kernelIl19rocblas_complex_numIfELi16ELb0ELb0ELc84ELc76EKS1_S1_EviT_T0_PT6_S3_lS6_S3_lS4_PT7_S3_li.has_dyn_sized_stack, 0
	.set _ZL32rocblas_syrkx_herkx_small_kernelIl19rocblas_complex_numIfELi16ELb0ELb0ELc84ELc76EKS1_S1_EviT_T0_PT6_S3_lS6_S3_lS4_PT7_S3_li.has_recursion, 0
	.set _ZL32rocblas_syrkx_herkx_small_kernelIl19rocblas_complex_numIfELi16ELb0ELb0ELc84ELc76EKS1_S1_EviT_T0_PT6_S3_lS6_S3_lS4_PT7_S3_li.has_indirect_call, 0
	.section	.AMDGPU.csdata,"",@progbits
; Kernel info:
; codeLenInByte = 1396
; TotalNumSgprs: 32
; NumVgprs: 56
; ScratchSize: 0
; MemoryBound: 1
; FloatMode: 240
; IeeeMode: 1
; LDSByteSize: 4096 bytes/workgroup (compile time only)
; SGPRBlocks: 3
; VGPRBlocks: 13
; NumSGPRsForWavesPerEU: 32
; NumVGPRsForWavesPerEU: 56
; Occupancy: 4
; WaveLimiterHint : 0
; COMPUTE_PGM_RSRC2:SCRATCH_EN: 0
; COMPUTE_PGM_RSRC2:USER_SGPR: 6
; COMPUTE_PGM_RSRC2:TRAP_HANDLER: 0
; COMPUTE_PGM_RSRC2:TGID_X_EN: 1
; COMPUTE_PGM_RSRC2:TGID_Y_EN: 1
; COMPUTE_PGM_RSRC2:TGID_Z_EN: 1
; COMPUTE_PGM_RSRC2:TIDIG_COMP_CNT: 1
	.section	.text._ZL32rocblas_syrkx_herkx_small_kernelIl19rocblas_complex_numIfELi16ELb0ELb0ELc67ELc76EKS1_S1_EviT_T0_PT6_S3_lS6_S3_lS4_PT7_S3_li,"axG",@progbits,_ZL32rocblas_syrkx_herkx_small_kernelIl19rocblas_complex_numIfELi16ELb0ELb0ELc67ELc76EKS1_S1_EviT_T0_PT6_S3_lS6_S3_lS4_PT7_S3_li,comdat
	.globl	_ZL32rocblas_syrkx_herkx_small_kernelIl19rocblas_complex_numIfELi16ELb0ELb0ELc67ELc76EKS1_S1_EviT_T0_PT6_S3_lS6_S3_lS4_PT7_S3_li ; -- Begin function _ZL32rocblas_syrkx_herkx_small_kernelIl19rocblas_complex_numIfELi16ELb0ELb0ELc67ELc76EKS1_S1_EviT_T0_PT6_S3_lS6_S3_lS4_PT7_S3_li
	.p2align	8
	.type	_ZL32rocblas_syrkx_herkx_small_kernelIl19rocblas_complex_numIfELi16ELb0ELb0ELc67ELc76EKS1_S1_EviT_T0_PT6_S3_lS6_S3_lS4_PT7_S3_li,@function
_ZL32rocblas_syrkx_herkx_small_kernelIl19rocblas_complex_numIfELi16ELb0ELb0ELc67ELc76EKS1_S1_EviT_T0_PT6_S3_lS6_S3_lS4_PT7_S3_li: ; @_ZL32rocblas_syrkx_herkx_small_kernelIl19rocblas_complex_numIfELi16ELb0ELb0ELc67ELc76EKS1_S1_EviT_T0_PT6_S3_lS6_S3_lS4_PT7_S3_li
; %bb.0:
	s_load_dwordx16 s[12:27], s[4:5], 0x8
	s_load_dword s9, s[4:5], 0x0
	v_lshl_add_u32 v2, s6, 4, v0
	v_lshl_add_u32 v14, s7, 4, v1
	v_ashrrev_i32_e32 v3, 31, v2
	s_waitcnt lgkmcnt(0)
	v_cmp_lt_i64_e64 s[0:1], s[12:13], 1
	v_ashrrev_i32_e32 v15, 31, v14
	s_and_b64 vcc, exec, s[0:1]
	v_cmp_gt_i32_e64 s[0:1], s9, v2
	s_cbranch_vccnz .LBB1135_9
; %bb.1:
	v_mul_lo_u32 v8, s25, v14
	v_mul_lo_u32 v9, s24, v15
	v_mad_u64_u32 v[5:6], s[2:3], s24, v14, 0
	s_mul_i32 s2, s27, s8
	s_mul_hi_u32 s3, s26, s8
	v_add3_u32 v6, v6, v9, v8
	v_lshlrev_b64 v[5:6], 3, v[5:6]
	s_add_i32 s3, s3, s2
	s_mul_i32 s2, s26, s8
	v_lshlrev_b32_e32 v7, 7, v1
	v_lshlrev_b32_e32 v16, 3, v0
	s_lshl_b64 s[2:3], s[2:3], 3
	v_add_u32_e32 v17, v16, v7
	v_add_u32_e32 v18, 0x800, v7
	v_mov_b32_e32 v7, s3
	v_add_co_u32_e64 v5, s[2:3], s2, v5
	v_addc_co_u32_e64 v6, s[2:3], v6, v7, s[2:3]
	v_add_co_u32_e64 v5, s[2:3], v5, v16
	v_addc_co_u32_e64 v7, s[2:3], 0, v6, s[2:3]
	v_mul_lo_u32 v11, s19, v2
	v_mul_lo_u32 v12, s18, v3
	v_mad_u64_u32 v[8:9], s[2:3], s18, v2, 0
	v_mov_b32_e32 v10, s23
	v_add_co_u32_e64 v6, s[2:3], s22, v5
	v_addc_co_u32_e64 v7, s[2:3], v10, v7, s[2:3]
	v_add3_u32 v9, v9, v12, v11
	s_mul_i32 s2, s21, s8
	s_mul_hi_u32 s3, s20, s8
	v_lshlrev_b64 v[8:9], 3, v[8:9]
	s_add_i32 s3, s3, s2
	s_mul_i32 s2, s20, s8
	s_lshl_b64 s[2:3], s[2:3], 3
	v_mov_b32_e32 v5, s3
	v_add_co_u32_e64 v8, s[2:3], s2, v8
	v_addc_co_u32_e64 v5, s[2:3], v9, v5, s[2:3]
	v_lshlrev_b32_e32 v9, 3, v1
	v_add_co_u32_e64 v8, s[2:3], v8, v9
	v_addc_co_u32_e64 v5, s[2:3], 0, v5, s[2:3]
	v_mov_b32_e32 v9, s17
	v_add_co_u32_e64 v8, s[2:3], s16, v8
	v_addc_co_u32_e64 v5, s[2:3], v9, v5, s[2:3]
	v_cmp_gt_i32_e32 vcc, s9, v14
	v_add_co_u32_e64 v8, s[2:3], 4, v8
	v_mov_b32_e32 v10, s12
	v_mov_b32_e32 v4, 0
	v_add_u32_e32 v19, v18, v16
	v_addc_co_u32_e64 v9, s[2:3], 0, v5, s[2:3]
	s_mov_b64 s[6:7], 0
	s_xor_b64 s[10:11], vcc, -1
	v_mov_b32_e32 v11, s13
	v_mov_b32_e32 v20, 0
	v_mov_b32_e32 v21, 0
	s_branch .LBB1135_3
.LBB1135_2:                             ;   in Loop: Header=BB1135_3 Depth=1
	s_or_b64 exec, exec, s[2:3]
	s_waitcnt lgkmcnt(0)
	s_barrier
	ds_read2_b64 v[22:25], v16 offset1:16
	ds_read_b128 v[26:29], v18
	ds_read_b128 v[30:33], v18 offset:16
	ds_read2_b64 v[34:37], v16 offset0:32 offset1:48
	s_add_u32 s6, s6, 16
	v_add_co_u32_e32 v6, vcc, 0x80, v6
	s_waitcnt lgkmcnt(2)
	v_mul_f32_e32 v5, v27, v23
	v_mul_f32_e32 v12, v26, v23
	v_fma_f32 v5, v26, v22, -v5
	v_fmac_f32_e32 v12, v27, v22
	v_mul_f32_e32 v13, v29, v25
	v_mul_f32_e32 v38, v28, v25
	s_waitcnt lgkmcnt(0)
	v_mul_f32_e32 v22, v31, v35
	v_fma_f32 v13, v28, v24, -v13
	v_fmac_f32_e32 v38, v29, v24
	v_fma_f32 v39, v30, v34, -v22
	ds_read2_b64 v[22:25], v16 offset0:64 offset1:80
	ds_read_b128 v[26:29], v18 offset:32
	v_mul_f32_e32 v40, v30, v35
	v_fmac_f32_e32 v40, v31, v34
	v_mul_f32_e32 v30, v33, v37
	v_mul_f32_e32 v42, v32, v37
	s_waitcnt lgkmcnt(0)
	v_mul_f32_e32 v34, v27, v23
	v_fma_f32 v41, v32, v36, -v30
	v_fmac_f32_e32 v42, v33, v36
	ds_read_b128 v[30:33], v18 offset:48
	v_fma_f32 v43, v26, v22, -v34
	ds_read2_b64 v[34:37], v16 offset0:96 offset1:112
	v_mul_f32_e32 v44, v26, v23
	v_fmac_f32_e32 v44, v27, v22
	v_mul_f32_e32 v22, v29, v25
	v_fma_f32 v45, v28, v24, -v22
	v_mul_f32_e32 v46, v28, v25
	s_waitcnt lgkmcnt(0)
	v_mul_f32_e32 v22, v31, v35
	v_fmac_f32_e32 v46, v29, v24
	v_fma_f32 v47, v30, v34, -v22
	ds_read2_b64 v[22:25], v16 offset0:128 offset1:144
	ds_read_b128 v[26:29], v18 offset:64
	v_mul_f32_e32 v48, v30, v35
	v_fmac_f32_e32 v48, v31, v34
	v_mul_f32_e32 v30, v33, v37
	v_mul_f32_e32 v50, v32, v37
	s_waitcnt lgkmcnt(0)
	v_mul_f32_e32 v34, v27, v23
	v_fma_f32 v49, v32, v36, -v30
	v_fmac_f32_e32 v50, v33, v36
	ds_read_b128 v[30:33], v18 offset:80
	v_fma_f32 v51, v26, v22, -v34
	ds_read2_b64 v[34:37], v16 offset0:160 offset1:176
	v_mul_f32_e32 v52, v26, v23
	v_fmac_f32_e32 v52, v27, v22
	v_mul_f32_e32 v22, v29, v25
	v_fma_f32 v53, v28, v24, -v22
	v_mul_f32_e32 v54, v28, v25
	s_waitcnt lgkmcnt(0)
	v_mul_f32_e32 v22, v31, v35
	v_fmac_f32_e32 v54, v29, v24
	v_fma_f32 v55, v30, v34, -v22
	ds_read2_b64 v[22:25], v16 offset0:192 offset1:208
	ds_read_b128 v[26:29], v18 offset:96
	v_add_f32_e32 v5, v21, v5
	v_add_f32_e32 v12, v20, v12
	;; [unrolled: 1-line block ×5, first 2 shown]
	v_mul_f32_e32 v35, v30, v35
	v_mul_f32_e32 v30, v33, v37
	;; [unrolled: 1-line block ×3, first 2 shown]
	v_add_f32_e32 v12, v12, v40
	v_add_f32_e32 v5, v5, v41
	v_fmac_f32_e32 v35, v31, v34
	v_fma_f32 v34, v32, v36, -v30
	v_fmac_f32_e32 v37, v33, v36
	s_waitcnt lgkmcnt(0)
	v_mul_f32_e32 v36, v27, v23
	v_add_f32_e32 v12, v12, v42
	v_add_f32_e32 v5, v5, v43
	v_fma_f32 v36, v26, v22, -v36
	v_mul_f32_e32 v26, v26, v23
	v_add_f32_e32 v12, v12, v44
	v_add_f32_e32 v5, v5, v45
	v_fmac_f32_e32 v26, v27, v22
	v_mul_f32_e32 v22, v29, v25
	v_add_f32_e32 v12, v12, v46
	v_add_f32_e32 v5, v5, v47
	ds_read_b128 v[30:33], v18 offset:112
	v_fma_f32 v27, v28, v24, -v22
	v_add_f32_e32 v12, v12, v48
	v_add_f32_e32 v5, v5, v49
	ds_read2_b64 v[20:23], v16 offset0:224 offset1:240
	v_add_f32_e32 v12, v12, v50
	v_add_f32_e32 v5, v5, v51
	;; [unrolled: 1-line block ×8, first 2 shown]
	v_mul_f32_e32 v25, v28, v25
	v_add_f32_e32 v12, v12, v37
	v_add_f32_e32 v5, v5, v36
	s_waitcnt lgkmcnt(0)
	v_mul_f32_e32 v13, v31, v21
	v_fmac_f32_e32 v25, v29, v24
	v_add_f32_e32 v12, v12, v26
	v_add_f32_e32 v5, v5, v27
	v_fma_f32 v13, v30, v20, -v13
	v_mul_f32_e32 v21, v30, v21
	s_addc_u32 s7, s7, 0
	v_addc_co_u32_e32 v7, vcc, 0, v7, vcc
	v_add_f32_e32 v12, v12, v25
	v_fmac_f32_e32 v21, v31, v20
	v_add_f32_e32 v5, v5, v13
	v_mul_f32_e32 v13, v33, v23
	v_mul_f32_e32 v20, v32, v23
	v_add_co_u32_e32 v8, vcc, 0x80, v8
	v_cmp_ge_i64_e64 s[2:3], s[6:7], v[10:11]
	v_add_f32_e32 v12, v12, v21
	v_fma_f32 v13, v32, v22, -v13
	v_fmac_f32_e32 v20, v33, v22
	v_addc_co_u32_e32 v9, vcc, 0, v9, vcc
	v_add_f32_e32 v21, v5, v13
	v_add_f32_e32 v20, v12, v20
	s_and_b64 vcc, exec, s[2:3]
	s_barrier
	s_cbranch_vccnz .LBB1135_10
.LBB1135_3:                             ; =>This Inner Loop Header: Depth=1
	v_mov_b32_e32 v5, s7
	v_add_co_u32_e32 v12, vcc, s6, v1
	v_addc_co_u32_e32 v13, vcc, 0, v5, vcc
	v_cmp_gt_i64_e32 vcc, s[12:13], v[12:13]
	v_mov_b32_e32 v12, 0
	s_and_b64 s[16:17], s[0:1], vcc
	v_mov_b32_e32 v13, 0
	s_and_saveexec_b64 s[2:3], s[16:17]
	s_cbranch_execz .LBB1135_5
; %bb.4:                                ;   in Loop: Header=BB1135_3 Depth=1
	global_load_dwordx2 v[12:13], v[8:9], off offset:-4
.LBB1135_5:                             ;   in Loop: Header=BB1135_3 Depth=1
	s_or_b64 exec, exec, s[2:3]
	v_mov_b32_e32 v5, s7
	v_add_co_u32_e32 v22, vcc, s6, v0
	v_addc_co_u32_e32 v23, vcc, 0, v5, vcc
	v_cmp_le_i64_e32 vcc, s[12:13], v[22:23]
	s_waitcnt vmcnt(0)
	ds_write_b64 v17, v[12:13]
	s_or_b64 s[2:3], s[10:11], vcc
	s_and_saveexec_b64 s[16:17], s[2:3]
	s_xor_b64 s[2:3], exec, s[16:17]
; %bb.6:                                ;   in Loop: Header=BB1135_3 Depth=1
	v_mov_b32_e32 v5, v4
	ds_write_b64 v19, v[4:5]
; %bb.7:                                ;   in Loop: Header=BB1135_3 Depth=1
	s_andn2_saveexec_b64 s[2:3], s[2:3]
	s_cbranch_execz .LBB1135_2
; %bb.8:                                ;   in Loop: Header=BB1135_3 Depth=1
	global_load_dwordx2 v[12:13], v[6:7], off
	s_waitcnt vmcnt(0)
	ds_write_b64 v19, v[12:13]
	s_branch .LBB1135_2
.LBB1135_9:
	v_mov_b32_e32 v20, 0
	v_mov_b32_e32 v21, 0
.LBB1135_10:
	s_load_dwordx8 s[16:23], s[4:5], 0x48
	v_cmp_le_i32_e32 vcc, v14, v2
	v_cmp_gt_i32_e64 s[0:1], s9, v2
	s_and_b64 s[0:1], vcc, s[0:1]
	s_and_saveexec_b64 s[2:3], s[0:1]
	s_cbranch_execz .LBB1135_12
; %bb.11:
	s_waitcnt lgkmcnt(0)
	v_mul_lo_u32 v4, s21, v14
	v_mul_lo_u32 v5, s20, v15
	v_mad_u64_u32 v[0:1], s[2:3], s20, v14, 0
	s_mul_i32 s0, s23, s8
	s_mul_hi_u32 s1, s22, s8
	s_add_i32 s1, s1, s0
	s_mul_i32 s0, s22, s8
	s_lshl_b64 s[0:1], s[0:1], 3
	v_add3_u32 v1, v1, v5, v4
	s_add_u32 s0, s18, s0
	v_lshlrev_b64 v[0:1], 3, v[0:1]
	s_addc_u32 s1, s19, s1
	v_mov_b32_e32 v4, s1
	v_add_co_u32_e32 v5, vcc, s0, v0
	v_addc_co_u32_e32 v4, vcc, v4, v1, vcc
	v_lshlrev_b64 v[0:1], 3, v[2:3]
	v_add_co_u32_e32 v0, vcc, v5, v0
	v_addc_co_u32_e32 v1, vcc, v4, v1, vcc
	global_load_dwordx2 v[2:3], v[0:1], off
	v_mul_f32_e32 v4, s15, v20
	v_mul_f32_e32 v5, s14, v20
	v_fma_f32 v4, v21, s14, -v4
	v_fmac_f32_e32 v5, s15, v21
	s_waitcnt vmcnt(0)
	v_mul_f32_e32 v6, s17, v3
	v_mul_f32_e32 v3, s16, v3
	v_fma_f32 v6, v2, s16, -v6
	v_fmac_f32_e32 v3, s17, v2
	v_add_f32_e32 v2, v4, v6
	v_add_f32_e32 v3, v5, v3
	global_store_dwordx2 v[0:1], v[2:3], off
.LBB1135_12:
	s_endpgm
	.section	.rodata,"a",@progbits
	.p2align	6, 0x0
	.amdhsa_kernel _ZL32rocblas_syrkx_herkx_small_kernelIl19rocblas_complex_numIfELi16ELb0ELb0ELc67ELc76EKS1_S1_EviT_T0_PT6_S3_lS6_S3_lS4_PT7_S3_li
		.amdhsa_group_segment_fixed_size 4096
		.amdhsa_private_segment_fixed_size 0
		.amdhsa_kernarg_size 108
		.amdhsa_user_sgpr_count 6
		.amdhsa_user_sgpr_private_segment_buffer 1
		.amdhsa_user_sgpr_dispatch_ptr 0
		.amdhsa_user_sgpr_queue_ptr 0
		.amdhsa_user_sgpr_kernarg_segment_ptr 1
		.amdhsa_user_sgpr_dispatch_id 0
		.amdhsa_user_sgpr_flat_scratch_init 0
		.amdhsa_user_sgpr_private_segment_size 0
		.amdhsa_uses_dynamic_stack 0
		.amdhsa_system_sgpr_private_segment_wavefront_offset 0
		.amdhsa_system_sgpr_workgroup_id_x 1
		.amdhsa_system_sgpr_workgroup_id_y 1
		.amdhsa_system_sgpr_workgroup_id_z 1
		.amdhsa_system_sgpr_workgroup_info 0
		.amdhsa_system_vgpr_workitem_id 1
		.amdhsa_next_free_vgpr 56
		.amdhsa_next_free_sgpr 28
		.amdhsa_reserve_vcc 1
		.amdhsa_reserve_flat_scratch 0
		.amdhsa_float_round_mode_32 0
		.amdhsa_float_round_mode_16_64 0
		.amdhsa_float_denorm_mode_32 3
		.amdhsa_float_denorm_mode_16_64 3
		.amdhsa_dx10_clamp 1
		.amdhsa_ieee_mode 1
		.amdhsa_fp16_overflow 0
		.amdhsa_exception_fp_ieee_invalid_op 0
		.amdhsa_exception_fp_denorm_src 0
		.amdhsa_exception_fp_ieee_div_zero 0
		.amdhsa_exception_fp_ieee_overflow 0
		.amdhsa_exception_fp_ieee_underflow 0
		.amdhsa_exception_fp_ieee_inexact 0
		.amdhsa_exception_int_div_zero 0
	.end_amdhsa_kernel
	.section	.text._ZL32rocblas_syrkx_herkx_small_kernelIl19rocblas_complex_numIfELi16ELb0ELb0ELc67ELc76EKS1_S1_EviT_T0_PT6_S3_lS6_S3_lS4_PT7_S3_li,"axG",@progbits,_ZL32rocblas_syrkx_herkx_small_kernelIl19rocblas_complex_numIfELi16ELb0ELb0ELc67ELc76EKS1_S1_EviT_T0_PT6_S3_lS6_S3_lS4_PT7_S3_li,comdat
.Lfunc_end1135:
	.size	_ZL32rocblas_syrkx_herkx_small_kernelIl19rocblas_complex_numIfELi16ELb0ELb0ELc67ELc76EKS1_S1_EviT_T0_PT6_S3_lS6_S3_lS4_PT7_S3_li, .Lfunc_end1135-_ZL32rocblas_syrkx_herkx_small_kernelIl19rocblas_complex_numIfELi16ELb0ELb0ELc67ELc76EKS1_S1_EviT_T0_PT6_S3_lS6_S3_lS4_PT7_S3_li
                                        ; -- End function
	.set _ZL32rocblas_syrkx_herkx_small_kernelIl19rocblas_complex_numIfELi16ELb0ELb0ELc67ELc76EKS1_S1_EviT_T0_PT6_S3_lS6_S3_lS4_PT7_S3_li.num_vgpr, 56
	.set _ZL32rocblas_syrkx_herkx_small_kernelIl19rocblas_complex_numIfELi16ELb0ELb0ELc67ELc76EKS1_S1_EviT_T0_PT6_S3_lS6_S3_lS4_PT7_S3_li.num_agpr, 0
	.set _ZL32rocblas_syrkx_herkx_small_kernelIl19rocblas_complex_numIfELi16ELb0ELb0ELc67ELc76EKS1_S1_EviT_T0_PT6_S3_lS6_S3_lS4_PT7_S3_li.numbered_sgpr, 28
	.set _ZL32rocblas_syrkx_herkx_small_kernelIl19rocblas_complex_numIfELi16ELb0ELb0ELc67ELc76EKS1_S1_EviT_T0_PT6_S3_lS6_S3_lS4_PT7_S3_li.num_named_barrier, 0
	.set _ZL32rocblas_syrkx_herkx_small_kernelIl19rocblas_complex_numIfELi16ELb0ELb0ELc67ELc76EKS1_S1_EviT_T0_PT6_S3_lS6_S3_lS4_PT7_S3_li.private_seg_size, 0
	.set _ZL32rocblas_syrkx_herkx_small_kernelIl19rocblas_complex_numIfELi16ELb0ELb0ELc67ELc76EKS1_S1_EviT_T0_PT6_S3_lS6_S3_lS4_PT7_S3_li.uses_vcc, 1
	.set _ZL32rocblas_syrkx_herkx_small_kernelIl19rocblas_complex_numIfELi16ELb0ELb0ELc67ELc76EKS1_S1_EviT_T0_PT6_S3_lS6_S3_lS4_PT7_S3_li.uses_flat_scratch, 0
	.set _ZL32rocblas_syrkx_herkx_small_kernelIl19rocblas_complex_numIfELi16ELb0ELb0ELc67ELc76EKS1_S1_EviT_T0_PT6_S3_lS6_S3_lS4_PT7_S3_li.has_dyn_sized_stack, 0
	.set _ZL32rocblas_syrkx_herkx_small_kernelIl19rocblas_complex_numIfELi16ELb0ELb0ELc67ELc76EKS1_S1_EviT_T0_PT6_S3_lS6_S3_lS4_PT7_S3_li.has_recursion, 0
	.set _ZL32rocblas_syrkx_herkx_small_kernelIl19rocblas_complex_numIfELi16ELb0ELb0ELc67ELc76EKS1_S1_EviT_T0_PT6_S3_lS6_S3_lS4_PT7_S3_li.has_indirect_call, 0
	.section	.AMDGPU.csdata,"",@progbits
; Kernel info:
; codeLenInByte = 1396
; TotalNumSgprs: 32
; NumVgprs: 56
; ScratchSize: 0
; MemoryBound: 1
; FloatMode: 240
; IeeeMode: 1
; LDSByteSize: 4096 bytes/workgroup (compile time only)
; SGPRBlocks: 3
; VGPRBlocks: 13
; NumSGPRsForWavesPerEU: 32
; NumVGPRsForWavesPerEU: 56
; Occupancy: 4
; WaveLimiterHint : 0
; COMPUTE_PGM_RSRC2:SCRATCH_EN: 0
; COMPUTE_PGM_RSRC2:USER_SGPR: 6
; COMPUTE_PGM_RSRC2:TRAP_HANDLER: 0
; COMPUTE_PGM_RSRC2:TGID_X_EN: 1
; COMPUTE_PGM_RSRC2:TGID_Y_EN: 1
; COMPUTE_PGM_RSRC2:TGID_Z_EN: 1
; COMPUTE_PGM_RSRC2:TIDIG_COMP_CNT: 1
	.section	.text._ZL32rocblas_syrkx_herkx_small_kernelIl19rocblas_complex_numIfELi16ELb0ELb0ELc78ELc76EKS1_S1_EviT_T0_PT6_S3_lS6_S3_lS4_PT7_S3_li,"axG",@progbits,_ZL32rocblas_syrkx_herkx_small_kernelIl19rocblas_complex_numIfELi16ELb0ELb0ELc78ELc76EKS1_S1_EviT_T0_PT6_S3_lS6_S3_lS4_PT7_S3_li,comdat
	.globl	_ZL32rocblas_syrkx_herkx_small_kernelIl19rocblas_complex_numIfELi16ELb0ELb0ELc78ELc76EKS1_S1_EviT_T0_PT6_S3_lS6_S3_lS4_PT7_S3_li ; -- Begin function _ZL32rocblas_syrkx_herkx_small_kernelIl19rocblas_complex_numIfELi16ELb0ELb0ELc78ELc76EKS1_S1_EviT_T0_PT6_S3_lS6_S3_lS4_PT7_S3_li
	.p2align	8
	.type	_ZL32rocblas_syrkx_herkx_small_kernelIl19rocblas_complex_numIfELi16ELb0ELb0ELc78ELc76EKS1_S1_EviT_T0_PT6_S3_lS6_S3_lS4_PT7_S3_li,@function
_ZL32rocblas_syrkx_herkx_small_kernelIl19rocblas_complex_numIfELi16ELb0ELb0ELc78ELc76EKS1_S1_EviT_T0_PT6_S3_lS6_S3_lS4_PT7_S3_li: ; @_ZL32rocblas_syrkx_herkx_small_kernelIl19rocblas_complex_numIfELi16ELb0ELb0ELc78ELc76EKS1_S1_EviT_T0_PT6_S3_lS6_S3_lS4_PT7_S3_li
; %bb.0:
	s_load_dwordx16 s[12:27], s[4:5], 0x8
	s_load_dword s9, s[4:5], 0x0
	v_lshl_add_u32 v2, s6, 4, v0
	v_lshl_add_u32 v4, s7, 4, v1
	v_ashrrev_i32_e32 v3, 31, v2
	s_waitcnt lgkmcnt(0)
	v_cmp_lt_i64_e64 s[0:1], s[12:13], 1
	v_cmp_gt_i32_e64 s[2:3], s9, v2
	s_and_b64 vcc, exec, s[0:1]
	v_ashrrev_i32_e32 v5, 31, v4
	s_cbranch_vccnz .LBB1136_9
; %bb.1:
	v_lshlrev_b32_e32 v7, 7, v1
	v_lshlrev_b32_e32 v16, 3, v0
	v_add_u32_e32 v17, v16, v7
	v_add_u32_e32 v18, 0x800, v7
	v_mad_u64_u32 v[7:8], s[6:7], s24, v0, 0
	s_mul_i32 s10, s27, s8
	s_mul_hi_u32 s11, s26, s8
	v_mad_u64_u32 v[8:9], s[6:7], s25, v0, v[8:9]
	s_add_i32 s7, s11, s10
	s_mul_i32 s6, s26, s8
	v_lshlrev_b64 v[7:8], 3, v[7:8]
	s_lshl_b64 s[6:7], s[6:7], 3
	v_mov_b32_e32 v9, s7
	v_add_co_u32_e32 v10, vcc, s6, v7
	v_addc_co_u32_e32 v9, vcc, v9, v8, vcc
	v_lshlrev_b64 v[7:8], 3, v[4:5]
	s_mul_i32 s21, s21, s8
	v_add_co_u32_e32 v7, vcc, v10, v7
	v_mad_u64_u32 v[10:11], s[6:7], s18, v1, 0
	v_addc_co_u32_e32 v8, vcc, v9, v8, vcc
	v_mov_b32_e32 v9, s23
	v_add_co_u32_e32 v7, vcc, s22, v7
	v_addc_co_u32_e32 v9, vcc, v9, v8, vcc
	v_add_co_u32_e32 v8, vcc, 4, v7
	v_mov_b32_e32 v7, v11
	v_mad_u64_u32 v[11:12], s[10:11], s19, v1, v[7:8]
	s_mul_hi_u32 s22, s20, s8
	s_add_i32 s11, s22, s21
	s_mul_i32 s10, s20, s8
	v_lshlrev_b64 v[10:11], 3, v[10:11]
	v_addc_co_u32_e32 v9, vcc, 0, v9, vcc
	s_lshl_b64 s[10:11], s[10:11], 3
	v_mov_b32_e32 v7, s11
	v_add_co_u32_e32 v12, vcc, s10, v10
	v_addc_co_u32_e32 v7, vcc, v7, v11, vcc
	v_lshlrev_b64 v[10:11], 3, v[2:3]
	s_lshl_b64 s[6:7], s[24:25], 7
	v_add_co_u32_e32 v10, vcc, v12, v10
	v_addc_co_u32_e32 v7, vcc, v7, v11, vcc
	v_mov_b32_e32 v11, s17
	v_add_co_u32_e32 v10, vcc, s16, v10
	s_lshl_b64 s[10:11], s[18:19], 7
	v_mov_b32_e32 v12, s12
	v_mov_b32_e32 v6, 0
	v_cmp_gt_i32_e64 s[0:1], s9, v4
	v_add_u32_e32 v19, v18, v16
	v_addc_co_u32_e32 v11, vcc, v11, v7, vcc
	s_mov_b64 s[16:17], 0
	s_xor_b64 s[18:19], s[2:3], -1
	v_mov_b32_e32 v22, s7
	v_mov_b32_e32 v23, s11
	v_mov_b32_e32 v20, 0
	v_mov_b32_e32 v21, 0
	v_mov_b32_e32 v13, s13
	s_branch .LBB1136_3
.LBB1136_2:                             ;   in Loop: Header=BB1136_3 Depth=1
	s_or_b64 exec, exec, s[2:3]
	s_waitcnt vmcnt(0)
	ds_write_b64 v19, v[14:15]
	s_waitcnt lgkmcnt(0)
	s_barrier
	ds_read2_b64 v[24:27], v16 offset1:16
	ds_read_b128 v[28:31], v18
	ds_read_b128 v[32:35], v18 offset:16
	ds_read2_b64 v[36:39], v16 offset0:32 offset1:48
	s_add_u32 s16, s16, 16
	v_add_co_u32_e32 v8, vcc, s6, v8
	s_waitcnt lgkmcnt(2)
	v_mul_f32_e32 v7, v29, v25
	v_mul_f32_e32 v14, v28, v25
	v_fma_f32 v7, v28, v24, -v7
	v_fmac_f32_e32 v14, v29, v24
	v_mul_f32_e32 v15, v31, v27
	v_mul_f32_e32 v40, v30, v27
	s_waitcnt lgkmcnt(0)
	v_mul_f32_e32 v24, v33, v37
	v_fma_f32 v15, v30, v26, -v15
	v_fmac_f32_e32 v40, v31, v26
	v_fma_f32 v41, v32, v36, -v24
	ds_read2_b64 v[24:27], v16 offset0:64 offset1:80
	ds_read_b128 v[28:31], v18 offset:32
	v_mul_f32_e32 v42, v32, v37
	v_fmac_f32_e32 v42, v33, v36
	v_mul_f32_e32 v32, v35, v39
	v_mul_f32_e32 v44, v34, v39
	s_waitcnt lgkmcnt(0)
	v_mul_f32_e32 v36, v29, v25
	v_fma_f32 v43, v34, v38, -v32
	v_fmac_f32_e32 v44, v35, v38
	ds_read_b128 v[32:35], v18 offset:48
	v_fma_f32 v45, v28, v24, -v36
	ds_read2_b64 v[36:39], v16 offset0:96 offset1:112
	v_mul_f32_e32 v46, v28, v25
	v_fmac_f32_e32 v46, v29, v24
	v_mul_f32_e32 v24, v31, v27
	v_fma_f32 v47, v30, v26, -v24
	v_mul_f32_e32 v48, v30, v27
	s_waitcnt lgkmcnt(0)
	v_mul_f32_e32 v24, v33, v37
	v_fmac_f32_e32 v48, v31, v26
	v_fma_f32 v49, v32, v36, -v24
	ds_read2_b64 v[24:27], v16 offset0:128 offset1:144
	ds_read_b128 v[28:31], v18 offset:64
	v_mul_f32_e32 v50, v32, v37
	v_fmac_f32_e32 v50, v33, v36
	v_mul_f32_e32 v32, v35, v39
	v_mul_f32_e32 v52, v34, v39
	s_waitcnt lgkmcnt(0)
	v_mul_f32_e32 v36, v29, v25
	v_fma_f32 v51, v34, v38, -v32
	v_fmac_f32_e32 v52, v35, v38
	ds_read_b128 v[32:35], v18 offset:80
	v_fma_f32 v53, v28, v24, -v36
	ds_read2_b64 v[36:39], v16 offset0:160 offset1:176
	v_mul_f32_e32 v54, v28, v25
	v_fmac_f32_e32 v54, v29, v24
	v_mul_f32_e32 v24, v31, v27
	v_fma_f32 v55, v30, v26, -v24
	v_mul_f32_e32 v56, v30, v27
	s_waitcnt lgkmcnt(0)
	v_mul_f32_e32 v24, v33, v37
	v_add_f32_e32 v7, v21, v7
	v_add_f32_e32 v14, v20, v14
	v_fmac_f32_e32 v56, v31, v26
	v_fma_f32 v57, v32, v36, -v24
	ds_read2_b64 v[24:27], v16 offset0:192 offset1:208
	ds_read_b128 v[28:31], v18 offset:96
	v_add_f32_e32 v7, v7, v15
	v_add_f32_e32 v14, v14, v40
	;; [unrolled: 1-line block ×8, first 2 shown]
	v_mul_f32_e32 v58, v32, v37
	v_add_f32_e32 v7, v7, v47
	v_add_f32_e32 v14, v14, v48
	v_fmac_f32_e32 v58, v33, v36
	v_mul_f32_e32 v32, v35, v39
	v_mul_f32_e32 v60, v34, v39
	s_waitcnt lgkmcnt(0)
	v_mul_f32_e32 v36, v29, v25
	v_add_f32_e32 v7, v7, v49
	v_add_f32_e32 v14, v14, v50
	v_fma_f32 v59, v34, v38, -v32
	v_fmac_f32_e32 v60, v35, v38
	ds_read_b128 v[32:35], v18 offset:112
	v_fma_f32 v61, v28, v24, -v36
	ds_read2_b64 v[36:39], v16 offset0:224 offset1:240
	v_add_f32_e32 v7, v7, v51
	v_add_f32_e32 v14, v14, v52
	v_add_f32_e32 v7, v7, v53
	v_add_f32_e32 v14, v14, v54
	v_add_f32_e32 v7, v7, v55
	v_add_f32_e32 v14, v14, v56
	v_mul_f32_e32 v25, v28, v25
	v_add_f32_e32 v7, v7, v57
	v_add_f32_e32 v14, v14, v58
	v_fmac_f32_e32 v25, v29, v24
	v_mul_f32_e32 v24, v31, v27
	v_mul_f32_e32 v27, v30, v27
	v_add_f32_e32 v7, v7, v59
	v_add_f32_e32 v14, v14, v60
	v_fma_f32 v24, v30, v26, -v24
	v_fmac_f32_e32 v27, v31, v26
	s_waitcnt lgkmcnt(0)
	v_mul_f32_e32 v26, v33, v37
	v_mul_f32_e32 v28, v32, v37
	v_add_f32_e32 v7, v7, v61
	v_add_f32_e32 v14, v14, v25
	s_addc_u32 s17, s17, 0
	v_addc_co_u32_e32 v9, vcc, v9, v22, vcc
	v_fma_f32 v26, v32, v36, -v26
	v_fmac_f32_e32 v28, v33, v36
	v_mul_f32_e32 v29, v35, v39
	v_mul_f32_e32 v30, v34, v39
	v_add_f32_e32 v7, v7, v24
	v_add_f32_e32 v14, v14, v27
	v_cmp_ge_i64_e32 vcc, s[16:17], v[12:13]
	v_fma_f32 v29, v34, v38, -v29
	v_fmac_f32_e32 v30, v35, v38
	v_add_f32_e32 v7, v7, v26
	v_add_f32_e32 v14, v14, v28
	v_add_co_u32_e64 v10, s[2:3], s10, v10
	v_add_f32_e32 v21, v7, v29
	v_add_f32_e32 v20, v14, v30
	v_addc_co_u32_e64 v11, s[2:3], v11, v23, s[2:3]
	s_barrier
	s_cbranch_vccnz .LBB1136_10
.LBB1136_3:                             ; =>This Inner Loop Header: Depth=1
	v_mov_b32_e32 v7, s17
	v_add_co_u32_e32 v14, vcc, s16, v1
	v_addc_co_u32_e32 v15, vcc, 0, v7, vcc
	v_cmp_le_i64_e32 vcc, s[12:13], v[14:15]
	s_or_b64 s[2:3], s[18:19], vcc
	s_and_saveexec_b64 s[20:21], s[2:3]
	s_xor_b64 s[2:3], exec, s[20:21]
; %bb.4:                                ;   in Loop: Header=BB1136_3 Depth=1
	v_mov_b32_e32 v7, v6
	ds_write_b64 v17, v[6:7]
; %bb.5:                                ;   in Loop: Header=BB1136_3 Depth=1
	s_andn2_saveexec_b64 s[2:3], s[2:3]
	s_cbranch_execz .LBB1136_7
; %bb.6:                                ;   in Loop: Header=BB1136_3 Depth=1
	global_load_dwordx2 v[14:15], v[10:11], off
	s_waitcnt vmcnt(0)
	ds_write_b64 v17, v[14:15]
.LBB1136_7:                             ;   in Loop: Header=BB1136_3 Depth=1
	s_or_b64 exec, exec, s[2:3]
	v_mov_b32_e32 v7, s17
	v_add_co_u32_e32 v14, vcc, s16, v0
	v_addc_co_u32_e32 v15, vcc, 0, v7, vcc
	v_cmp_gt_i64_e32 vcc, s[12:13], v[14:15]
	v_mov_b32_e32 v14, 0
	s_and_b64 s[20:21], s[0:1], vcc
	v_mov_b32_e32 v15, 0
	s_and_saveexec_b64 s[2:3], s[20:21]
	s_cbranch_execz .LBB1136_2
; %bb.8:                                ;   in Loop: Header=BB1136_3 Depth=1
	global_load_dwordx2 v[14:15], v[8:9], off offset:-4
	s_branch .LBB1136_2
.LBB1136_9:
	v_mov_b32_e32 v20, 0
	v_mov_b32_e32 v21, 0
.LBB1136_10:
	s_load_dwordx8 s[16:23], s[4:5], 0x48
	v_cmp_le_i32_e32 vcc, v4, v2
	v_cmp_gt_i32_e64 s[0:1], s9, v2
	s_and_b64 s[0:1], vcc, s[0:1]
	s_and_saveexec_b64 s[2:3], s[0:1]
	s_cbranch_execz .LBB1136_12
; %bb.11:
	s_waitcnt lgkmcnt(0)
	v_mul_lo_u32 v6, s21, v4
	v_mul_lo_u32 v5, s20, v5
	v_mad_u64_u32 v[0:1], s[2:3], s20, v4, 0
	s_mul_i32 s0, s23, s8
	s_mul_hi_u32 s1, s22, s8
	s_add_i32 s1, s1, s0
	s_mul_i32 s0, s22, s8
	s_lshl_b64 s[0:1], s[0:1], 3
	v_add3_u32 v1, v1, v5, v6
	s_add_u32 s0, s18, s0
	v_lshlrev_b64 v[0:1], 3, v[0:1]
	s_addc_u32 s1, s19, s1
	v_mov_b32_e32 v4, s1
	v_add_co_u32_e32 v5, vcc, s0, v0
	v_addc_co_u32_e32 v4, vcc, v4, v1, vcc
	v_lshlrev_b64 v[0:1], 3, v[2:3]
	v_add_co_u32_e32 v0, vcc, v5, v0
	v_addc_co_u32_e32 v1, vcc, v4, v1, vcc
	global_load_dwordx2 v[2:3], v[0:1], off
	v_mul_f32_e32 v4, s15, v20
	v_mul_f32_e32 v5, s14, v20
	v_fma_f32 v4, v21, s14, -v4
	v_fmac_f32_e32 v5, s15, v21
	s_waitcnt vmcnt(0)
	v_mul_f32_e32 v6, s17, v3
	v_mul_f32_e32 v3, s16, v3
	v_fma_f32 v6, v2, s16, -v6
	v_fmac_f32_e32 v3, s17, v2
	v_add_f32_e32 v2, v4, v6
	v_add_f32_e32 v3, v5, v3
	global_store_dwordx2 v[0:1], v[2:3], off
.LBB1136_12:
	s_endpgm
	.section	.rodata,"a",@progbits
	.p2align	6, 0x0
	.amdhsa_kernel _ZL32rocblas_syrkx_herkx_small_kernelIl19rocblas_complex_numIfELi16ELb0ELb0ELc78ELc76EKS1_S1_EviT_T0_PT6_S3_lS6_S3_lS4_PT7_S3_li
		.amdhsa_group_segment_fixed_size 4096
		.amdhsa_private_segment_fixed_size 0
		.amdhsa_kernarg_size 108
		.amdhsa_user_sgpr_count 6
		.amdhsa_user_sgpr_private_segment_buffer 1
		.amdhsa_user_sgpr_dispatch_ptr 0
		.amdhsa_user_sgpr_queue_ptr 0
		.amdhsa_user_sgpr_kernarg_segment_ptr 1
		.amdhsa_user_sgpr_dispatch_id 0
		.amdhsa_user_sgpr_flat_scratch_init 0
		.amdhsa_user_sgpr_private_segment_size 0
		.amdhsa_uses_dynamic_stack 0
		.amdhsa_system_sgpr_private_segment_wavefront_offset 0
		.amdhsa_system_sgpr_workgroup_id_x 1
		.amdhsa_system_sgpr_workgroup_id_y 1
		.amdhsa_system_sgpr_workgroup_id_z 1
		.amdhsa_system_sgpr_workgroup_info 0
		.amdhsa_system_vgpr_workitem_id 1
		.amdhsa_next_free_vgpr 62
		.amdhsa_next_free_sgpr 28
		.amdhsa_reserve_vcc 1
		.amdhsa_reserve_flat_scratch 0
		.amdhsa_float_round_mode_32 0
		.amdhsa_float_round_mode_16_64 0
		.amdhsa_float_denorm_mode_32 3
		.amdhsa_float_denorm_mode_16_64 3
		.amdhsa_dx10_clamp 1
		.amdhsa_ieee_mode 1
		.amdhsa_fp16_overflow 0
		.amdhsa_exception_fp_ieee_invalid_op 0
		.amdhsa_exception_fp_denorm_src 0
		.amdhsa_exception_fp_ieee_div_zero 0
		.amdhsa_exception_fp_ieee_overflow 0
		.amdhsa_exception_fp_ieee_underflow 0
		.amdhsa_exception_fp_ieee_inexact 0
		.amdhsa_exception_int_div_zero 0
	.end_amdhsa_kernel
	.section	.text._ZL32rocblas_syrkx_herkx_small_kernelIl19rocblas_complex_numIfELi16ELb0ELb0ELc78ELc76EKS1_S1_EviT_T0_PT6_S3_lS6_S3_lS4_PT7_S3_li,"axG",@progbits,_ZL32rocblas_syrkx_herkx_small_kernelIl19rocblas_complex_numIfELi16ELb0ELb0ELc78ELc76EKS1_S1_EviT_T0_PT6_S3_lS6_S3_lS4_PT7_S3_li,comdat
.Lfunc_end1136:
	.size	_ZL32rocblas_syrkx_herkx_small_kernelIl19rocblas_complex_numIfELi16ELb0ELb0ELc78ELc76EKS1_S1_EviT_T0_PT6_S3_lS6_S3_lS4_PT7_S3_li, .Lfunc_end1136-_ZL32rocblas_syrkx_herkx_small_kernelIl19rocblas_complex_numIfELi16ELb0ELb0ELc78ELc76EKS1_S1_EviT_T0_PT6_S3_lS6_S3_lS4_PT7_S3_li
                                        ; -- End function
	.set _ZL32rocblas_syrkx_herkx_small_kernelIl19rocblas_complex_numIfELi16ELb0ELb0ELc78ELc76EKS1_S1_EviT_T0_PT6_S3_lS6_S3_lS4_PT7_S3_li.num_vgpr, 62
	.set _ZL32rocblas_syrkx_herkx_small_kernelIl19rocblas_complex_numIfELi16ELb0ELb0ELc78ELc76EKS1_S1_EviT_T0_PT6_S3_lS6_S3_lS4_PT7_S3_li.num_agpr, 0
	.set _ZL32rocblas_syrkx_herkx_small_kernelIl19rocblas_complex_numIfELi16ELb0ELb0ELc78ELc76EKS1_S1_EviT_T0_PT6_S3_lS6_S3_lS4_PT7_S3_li.numbered_sgpr, 28
	.set _ZL32rocblas_syrkx_herkx_small_kernelIl19rocblas_complex_numIfELi16ELb0ELb0ELc78ELc76EKS1_S1_EviT_T0_PT6_S3_lS6_S3_lS4_PT7_S3_li.num_named_barrier, 0
	.set _ZL32rocblas_syrkx_herkx_small_kernelIl19rocblas_complex_numIfELi16ELb0ELb0ELc78ELc76EKS1_S1_EviT_T0_PT6_S3_lS6_S3_lS4_PT7_S3_li.private_seg_size, 0
	.set _ZL32rocblas_syrkx_herkx_small_kernelIl19rocblas_complex_numIfELi16ELb0ELb0ELc78ELc76EKS1_S1_EviT_T0_PT6_S3_lS6_S3_lS4_PT7_S3_li.uses_vcc, 1
	.set _ZL32rocblas_syrkx_herkx_small_kernelIl19rocblas_complex_numIfELi16ELb0ELb0ELc78ELc76EKS1_S1_EviT_T0_PT6_S3_lS6_S3_lS4_PT7_S3_li.uses_flat_scratch, 0
	.set _ZL32rocblas_syrkx_herkx_small_kernelIl19rocblas_complex_numIfELi16ELb0ELb0ELc78ELc76EKS1_S1_EviT_T0_PT6_S3_lS6_S3_lS4_PT7_S3_li.has_dyn_sized_stack, 0
	.set _ZL32rocblas_syrkx_herkx_small_kernelIl19rocblas_complex_numIfELi16ELb0ELb0ELc78ELc76EKS1_S1_EviT_T0_PT6_S3_lS6_S3_lS4_PT7_S3_li.has_recursion, 0
	.set _ZL32rocblas_syrkx_herkx_small_kernelIl19rocblas_complex_numIfELi16ELb0ELb0ELc78ELc76EKS1_S1_EviT_T0_PT6_S3_lS6_S3_lS4_PT7_S3_li.has_indirect_call, 0
	.section	.AMDGPU.csdata,"",@progbits
; Kernel info:
; codeLenInByte = 1336
; TotalNumSgprs: 32
; NumVgprs: 62
; ScratchSize: 0
; MemoryBound: 1
; FloatMode: 240
; IeeeMode: 1
; LDSByteSize: 4096 bytes/workgroup (compile time only)
; SGPRBlocks: 3
; VGPRBlocks: 15
; NumSGPRsForWavesPerEU: 32
; NumVGPRsForWavesPerEU: 62
; Occupancy: 4
; WaveLimiterHint : 0
; COMPUTE_PGM_RSRC2:SCRATCH_EN: 0
; COMPUTE_PGM_RSRC2:USER_SGPR: 6
; COMPUTE_PGM_RSRC2:TRAP_HANDLER: 0
; COMPUTE_PGM_RSRC2:TGID_X_EN: 1
; COMPUTE_PGM_RSRC2:TGID_Y_EN: 1
; COMPUTE_PGM_RSRC2:TGID_Z_EN: 1
; COMPUTE_PGM_RSRC2:TIDIG_COMP_CNT: 1
	.section	.text._ZL32rocblas_syrkx_herkx_small_kernelIl19rocblas_complex_numIfELi16ELb0ELb0ELc84ELc85EKS1_S1_EviT_T0_PT6_S3_lS6_S3_lS4_PT7_S3_li,"axG",@progbits,_ZL32rocblas_syrkx_herkx_small_kernelIl19rocblas_complex_numIfELi16ELb0ELb0ELc84ELc85EKS1_S1_EviT_T0_PT6_S3_lS6_S3_lS4_PT7_S3_li,comdat
	.globl	_ZL32rocblas_syrkx_herkx_small_kernelIl19rocblas_complex_numIfELi16ELb0ELb0ELc84ELc85EKS1_S1_EviT_T0_PT6_S3_lS6_S3_lS4_PT7_S3_li ; -- Begin function _ZL32rocblas_syrkx_herkx_small_kernelIl19rocblas_complex_numIfELi16ELb0ELb0ELc84ELc85EKS1_S1_EviT_T0_PT6_S3_lS6_S3_lS4_PT7_S3_li
	.p2align	8
	.type	_ZL32rocblas_syrkx_herkx_small_kernelIl19rocblas_complex_numIfELi16ELb0ELb0ELc84ELc85EKS1_S1_EviT_T0_PT6_S3_lS6_S3_lS4_PT7_S3_li,@function
_ZL32rocblas_syrkx_herkx_small_kernelIl19rocblas_complex_numIfELi16ELb0ELb0ELc84ELc85EKS1_S1_EviT_T0_PT6_S3_lS6_S3_lS4_PT7_S3_li: ; @_ZL32rocblas_syrkx_herkx_small_kernelIl19rocblas_complex_numIfELi16ELb0ELb0ELc84ELc85EKS1_S1_EviT_T0_PT6_S3_lS6_S3_lS4_PT7_S3_li
; %bb.0:
	s_load_dwordx16 s[12:27], s[4:5], 0x8
	s_load_dword s9, s[4:5], 0x0
	v_lshl_add_u32 v2, s6, 4, v0
	v_lshl_add_u32 v12, s7, 4, v1
	v_ashrrev_i32_e32 v3, 31, v2
	s_waitcnt lgkmcnt(0)
	v_cmp_lt_i64_e64 s[0:1], s[12:13], 1
	v_ashrrev_i32_e32 v13, 31, v12
	s_and_b64 vcc, exec, s[0:1]
	v_cmp_gt_i32_e64 s[0:1], s9, v12
	s_cbranch_vccnz .LBB1137_11
; %bb.1:
	v_mul_lo_u32 v8, s25, v12
	v_mul_lo_u32 v9, s24, v13
	v_mad_u64_u32 v[5:6], s[2:3], s24, v12, 0
	s_mul_i32 s2, s27, s8
	s_mul_hi_u32 s3, s26, s8
	v_add3_u32 v6, v6, v9, v8
	v_lshlrev_b64 v[5:6], 3, v[5:6]
	s_add_i32 s3, s3, s2
	s_mul_i32 s2, s26, s8
	v_lshlrev_b32_e32 v7, 7, v1
	v_lshlrev_b32_e32 v14, 3, v0
	s_lshl_b64 s[2:3], s[2:3], 3
	v_add_u32_e32 v15, v14, v7
	v_add_u32_e32 v16, 0x800, v7
	v_mov_b32_e32 v7, s3
	v_add_co_u32_e64 v5, s[2:3], s2, v5
	v_addc_co_u32_e64 v6, s[2:3], v6, v7, s[2:3]
	v_add_co_u32_e64 v5, s[2:3], v5, v14
	v_addc_co_u32_e64 v7, s[2:3], 0, v6, s[2:3]
	v_mul_lo_u32 v11, s19, v2
	v_mul_lo_u32 v18, s18, v3
	v_mad_u64_u32 v[8:9], s[2:3], s18, v2, 0
	v_mov_b32_e32 v10, s23
	v_add_co_u32_e64 v6, s[2:3], s22, v5
	v_addc_co_u32_e64 v7, s[2:3], v10, v7, s[2:3]
	v_add3_u32 v9, v9, v18, v11
	s_mul_i32 s2, s21, s8
	s_mul_hi_u32 s3, s20, s8
	v_lshlrev_b64 v[8:9], 3, v[8:9]
	s_add_i32 s3, s3, s2
	s_mul_i32 s2, s20, s8
	s_lshl_b64 s[2:3], s[2:3], 3
	v_mov_b32_e32 v5, s3
	v_add_co_u32_e64 v8, s[2:3], s2, v8
	v_addc_co_u32_e64 v5, s[2:3], v9, v5, s[2:3]
	v_lshlrev_b32_e32 v9, 3, v1
	v_add_co_u32_e64 v8, s[2:3], v8, v9
	v_addc_co_u32_e64 v5, s[2:3], 0, v5, s[2:3]
	v_mov_b32_e32 v9, s17
	v_add_co_u32_e64 v8, s[2:3], s16, v8
	v_cmp_gt_i32_e32 vcc, s9, v2
	v_addc_co_u32_e64 v9, s[2:3], v9, v5, s[2:3]
	v_mov_b32_e32 v10, s12
	v_mov_b32_e32 v4, 0
	v_add_u32_e32 v17, v16, v14
	s_mov_b64 s[2:3], 0
	s_xor_b64 s[6:7], vcc, -1
	s_xor_b64 s[10:11], s[0:1], -1
	v_mov_b32_e32 v11, s13
	v_mov_b32_e32 v18, 0
	;; [unrolled: 1-line block ×3, first 2 shown]
	s_branch .LBB1137_3
.LBB1137_2:                             ;   in Loop: Header=BB1137_3 Depth=1
	s_or_b64 exec, exec, s[0:1]
	s_waitcnt lgkmcnt(0)
	s_barrier
	ds_read2_b64 v[20:23], v14 offset1:16
	ds_read_b128 v[24:27], v16
	ds_read_b128 v[28:31], v16 offset:16
	ds_read2_b64 v[32:35], v14 offset0:32 offset1:48
	s_add_u32 s2, s2, 16
	v_add_co_u32_e32 v6, vcc, 0x80, v6
	s_waitcnt lgkmcnt(2)
	v_mul_f32_e32 v5, v25, v21
	v_mul_f32_e32 v36, v24, v21
	v_fma_f32 v5, v24, v20, -v5
	v_fmac_f32_e32 v36, v25, v20
	v_mul_f32_e32 v20, v27, v23
	v_fma_f32 v37, v26, v22, -v20
	v_mul_f32_e32 v38, v26, v23
	s_waitcnt lgkmcnt(0)
	v_mul_f32_e32 v20, v29, v33
	v_fmac_f32_e32 v38, v27, v22
	v_fma_f32 v39, v28, v32, -v20
	ds_read2_b64 v[20:23], v14 offset0:64 offset1:80
	ds_read_b128 v[24:27], v16 offset:32
	v_mul_f32_e32 v40, v28, v33
	v_fmac_f32_e32 v40, v29, v32
	v_mul_f32_e32 v28, v31, v35
	v_mul_f32_e32 v42, v30, v35
	s_waitcnt lgkmcnt(0)
	v_mul_f32_e32 v32, v25, v21
	v_fma_f32 v41, v30, v34, -v28
	v_fmac_f32_e32 v42, v31, v34
	ds_read_b128 v[28:31], v16 offset:48
	v_fma_f32 v43, v24, v20, -v32
	ds_read2_b64 v[32:35], v14 offset0:96 offset1:112
	v_mul_f32_e32 v44, v24, v21
	v_fmac_f32_e32 v44, v25, v20
	v_mul_f32_e32 v20, v27, v23
	v_fma_f32 v45, v26, v22, -v20
	v_mul_f32_e32 v46, v26, v23
	s_waitcnt lgkmcnt(0)
	v_mul_f32_e32 v20, v29, v33
	v_fmac_f32_e32 v46, v27, v22
	v_fma_f32 v47, v28, v32, -v20
	ds_read2_b64 v[20:23], v14 offset0:128 offset1:144
	ds_read_b128 v[24:27], v16 offset:64
	v_mul_f32_e32 v48, v28, v33
	v_fmac_f32_e32 v48, v29, v32
	v_mul_f32_e32 v28, v31, v35
	v_mul_f32_e32 v50, v30, v35
	s_waitcnt lgkmcnt(0)
	v_mul_f32_e32 v32, v25, v21
	v_fma_f32 v49, v30, v34, -v28
	v_fmac_f32_e32 v50, v31, v34
	ds_read_b128 v[28:31], v16 offset:80
	v_fma_f32 v51, v24, v20, -v32
	ds_read2_b64 v[32:35], v14 offset0:160 offset1:176
	v_mul_f32_e32 v52, v24, v21
	v_add_f32_e32 v18, v18, v36
	v_fmac_f32_e32 v52, v25, v20
	v_mul_f32_e32 v20, v27, v23
	v_add_f32_e32 v18, v18, v38
	v_fma_f32 v53, v26, v22, -v20
	v_mul_f32_e32 v54, v26, v23
	s_waitcnt lgkmcnt(0)
	v_mul_f32_e32 v20, v29, v33
	v_add_f32_e32 v18, v18, v40
	v_fmac_f32_e32 v54, v27, v22
	v_fma_f32 v55, v28, v32, -v20
	ds_read2_b64 v[20:23], v14 offset0:192 offset1:208
	ds_read_b128 v[24:27], v16 offset:96
	v_add_f32_e32 v18, v18, v42
	v_add_f32_e32 v18, v18, v44
	;; [unrolled: 1-line block ×6, first 2 shown]
	v_mul_f32_e32 v33, v28, v33
	v_mul_f32_e32 v28, v31, v35
	;; [unrolled: 1-line block ×3, first 2 shown]
	v_add_f32_e32 v5, v5, v39
	v_add_f32_e32 v18, v18, v50
	v_fmac_f32_e32 v33, v29, v32
	v_fma_f32 v32, v30, v34, -v28
	v_fmac_f32_e32 v35, v31, v34
	s_waitcnt lgkmcnt(0)
	v_mul_f32_e32 v34, v25, v21
	v_add_f32_e32 v5, v5, v41
	v_add_f32_e32 v18, v18, v52
	v_fma_f32 v34, v24, v20, -v34
	v_mul_f32_e32 v24, v24, v21
	v_add_f32_e32 v5, v5, v43
	v_add_f32_e32 v18, v18, v54
	v_fmac_f32_e32 v24, v25, v20
	v_mul_f32_e32 v20, v27, v23
	v_mul_f32_e32 v23, v26, v23
	v_add_f32_e32 v5, v5, v45
	v_add_f32_e32 v18, v18, v33
	ds_read_b128 v[28:31], v16 offset:112
	v_fma_f32 v25, v26, v22, -v20
	v_fmac_f32_e32 v23, v27, v22
	v_add_f32_e32 v5, v5, v47
	v_add_f32_e32 v22, v18, v35
	ds_read2_b64 v[18:21], v14 offset0:224 offset1:240
	v_add_f32_e32 v5, v5, v49
	v_add_f32_e32 v5, v5, v51
	v_add_f32_e32 v5, v5, v53
	v_add_f32_e32 v5, v5, v55
	v_add_f32_e32 v22, v22, v24
	v_add_f32_e32 v5, v5, v32
	v_add_f32_e32 v22, v22, v23
	s_waitcnt lgkmcnt(0)
	v_mul_f32_e32 v23, v29, v19
	v_mul_f32_e32 v19, v28, v19
	v_add_f32_e32 v5, v5, v34
	v_fmac_f32_e32 v19, v29, v18
	s_addc_u32 s3, s3, 0
	v_addc_co_u32_e32 v7, vcc, 0, v7, vcc
	v_add_f32_e32 v5, v5, v25
	v_fma_f32 v23, v28, v18, -v23
	v_add_f32_e32 v18, v22, v19
	v_mul_f32_e32 v19, v31, v21
	v_mul_f32_e32 v21, v30, v21
	v_add_co_u32_e32 v8, vcc, 0x80, v8
	v_cmp_ge_i64_e64 s[0:1], s[2:3], v[10:11]
	v_add_f32_e32 v5, v5, v23
	v_fma_f32 v19, v30, v20, -v19
	v_fmac_f32_e32 v21, v31, v20
	v_addc_co_u32_e32 v9, vcc, 0, v9, vcc
	v_add_f32_e32 v19, v5, v19
	v_add_f32_e32 v18, v18, v21
	s_and_b64 vcc, exec, s[0:1]
	s_barrier
	s_cbranch_vccnz .LBB1137_12
.LBB1137_3:                             ; =>This Inner Loop Header: Depth=1
	v_mov_b32_e32 v5, s3
	v_add_co_u32_e32 v20, vcc, s2, v1
	v_addc_co_u32_e32 v21, vcc, 0, v5, vcc
	v_cmp_le_i64_e32 vcc, s[12:13], v[20:21]
	s_or_b64 s[0:1], s[6:7], vcc
	s_and_saveexec_b64 s[16:17], s[0:1]
	s_xor_b64 s[0:1], exec, s[16:17]
; %bb.4:                                ;   in Loop: Header=BB1137_3 Depth=1
	v_mov_b32_e32 v5, v4
	ds_write_b64 v15, v[4:5]
; %bb.5:                                ;   in Loop: Header=BB1137_3 Depth=1
	s_andn2_saveexec_b64 s[0:1], s[0:1]
	s_cbranch_execz .LBB1137_7
; %bb.6:                                ;   in Loop: Header=BB1137_3 Depth=1
	global_load_dwordx2 v[20:21], v[8:9], off
	s_waitcnt vmcnt(0)
	ds_write_b64 v15, v[20:21]
.LBB1137_7:                             ;   in Loop: Header=BB1137_3 Depth=1
	s_or_b64 exec, exec, s[0:1]
	v_mov_b32_e32 v5, s3
	v_add_co_u32_e32 v20, vcc, s2, v0
	v_addc_co_u32_e32 v21, vcc, 0, v5, vcc
	v_cmp_le_i64_e32 vcc, s[12:13], v[20:21]
	s_or_b64 s[0:1], s[10:11], vcc
	s_and_saveexec_b64 s[16:17], s[0:1]
	s_xor_b64 s[0:1], exec, s[16:17]
; %bb.8:                                ;   in Loop: Header=BB1137_3 Depth=1
	v_mov_b32_e32 v5, v4
	ds_write_b64 v17, v[4:5]
; %bb.9:                                ;   in Loop: Header=BB1137_3 Depth=1
	s_andn2_saveexec_b64 s[0:1], s[0:1]
	s_cbranch_execz .LBB1137_2
; %bb.10:                               ;   in Loop: Header=BB1137_3 Depth=1
	global_load_dwordx2 v[20:21], v[6:7], off
	s_waitcnt vmcnt(0)
	ds_write_b64 v17, v[20:21]
	s_branch .LBB1137_2
.LBB1137_11:
	v_mov_b32_e32 v18, 0
	v_mov_b32_e32 v19, 0
.LBB1137_12:
	s_load_dwordx8 s[16:23], s[4:5], 0x48
	v_cmp_le_i32_e32 vcc, v2, v12
	v_cmp_gt_i32_e64 s[0:1], s9, v12
	s_and_b64 s[0:1], vcc, s[0:1]
	s_and_saveexec_b64 s[2:3], s[0:1]
	s_cbranch_execz .LBB1137_14
; %bb.13:
	s_waitcnt lgkmcnt(0)
	v_mul_lo_u32 v4, s21, v12
	v_mul_lo_u32 v5, s20, v13
	v_mad_u64_u32 v[0:1], s[2:3], s20, v12, 0
	s_mul_i32 s0, s23, s8
	s_mul_hi_u32 s1, s22, s8
	s_add_i32 s1, s1, s0
	s_mul_i32 s0, s22, s8
	s_lshl_b64 s[0:1], s[0:1], 3
	v_add3_u32 v1, v1, v5, v4
	s_add_u32 s0, s18, s0
	v_lshlrev_b64 v[0:1], 3, v[0:1]
	s_addc_u32 s1, s19, s1
	v_mov_b32_e32 v4, s1
	v_add_co_u32_e32 v5, vcc, s0, v0
	v_addc_co_u32_e32 v4, vcc, v4, v1, vcc
	v_lshlrev_b64 v[0:1], 3, v[2:3]
	v_add_co_u32_e32 v0, vcc, v5, v0
	v_addc_co_u32_e32 v1, vcc, v4, v1, vcc
	global_load_dwordx2 v[2:3], v[0:1], off
	v_mul_f32_e32 v4, s15, v18
	v_mul_f32_e32 v5, s14, v18
	v_fma_f32 v4, v19, s14, -v4
	v_fmac_f32_e32 v5, s15, v19
	s_waitcnt vmcnt(0)
	v_mul_f32_e32 v6, s17, v3
	v_mul_f32_e32 v3, s16, v3
	v_fma_f32 v6, v2, s16, -v6
	v_fmac_f32_e32 v3, s17, v2
	v_add_f32_e32 v2, v4, v6
	v_add_f32_e32 v3, v5, v3
	global_store_dwordx2 v[0:1], v[2:3], off
.LBB1137_14:
	s_endpgm
	.section	.rodata,"a",@progbits
	.p2align	6, 0x0
	.amdhsa_kernel _ZL32rocblas_syrkx_herkx_small_kernelIl19rocblas_complex_numIfELi16ELb0ELb0ELc84ELc85EKS1_S1_EviT_T0_PT6_S3_lS6_S3_lS4_PT7_S3_li
		.amdhsa_group_segment_fixed_size 4096
		.amdhsa_private_segment_fixed_size 0
		.amdhsa_kernarg_size 108
		.amdhsa_user_sgpr_count 6
		.amdhsa_user_sgpr_private_segment_buffer 1
		.amdhsa_user_sgpr_dispatch_ptr 0
		.amdhsa_user_sgpr_queue_ptr 0
		.amdhsa_user_sgpr_kernarg_segment_ptr 1
		.amdhsa_user_sgpr_dispatch_id 0
		.amdhsa_user_sgpr_flat_scratch_init 0
		.amdhsa_user_sgpr_private_segment_size 0
		.amdhsa_uses_dynamic_stack 0
		.amdhsa_system_sgpr_private_segment_wavefront_offset 0
		.amdhsa_system_sgpr_workgroup_id_x 1
		.amdhsa_system_sgpr_workgroup_id_y 1
		.amdhsa_system_sgpr_workgroup_id_z 1
		.amdhsa_system_sgpr_workgroup_info 0
		.amdhsa_system_vgpr_workitem_id 1
		.amdhsa_next_free_vgpr 56
		.amdhsa_next_free_sgpr 28
		.amdhsa_reserve_vcc 1
		.amdhsa_reserve_flat_scratch 0
		.amdhsa_float_round_mode_32 0
		.amdhsa_float_round_mode_16_64 0
		.amdhsa_float_denorm_mode_32 3
		.amdhsa_float_denorm_mode_16_64 3
		.amdhsa_dx10_clamp 1
		.amdhsa_ieee_mode 1
		.amdhsa_fp16_overflow 0
		.amdhsa_exception_fp_ieee_invalid_op 0
		.amdhsa_exception_fp_denorm_src 0
		.amdhsa_exception_fp_ieee_div_zero 0
		.amdhsa_exception_fp_ieee_overflow 0
		.amdhsa_exception_fp_ieee_underflow 0
		.amdhsa_exception_fp_ieee_inexact 0
		.amdhsa_exception_int_div_zero 0
	.end_amdhsa_kernel
	.section	.text._ZL32rocblas_syrkx_herkx_small_kernelIl19rocblas_complex_numIfELi16ELb0ELb0ELc84ELc85EKS1_S1_EviT_T0_PT6_S3_lS6_S3_lS4_PT7_S3_li,"axG",@progbits,_ZL32rocblas_syrkx_herkx_small_kernelIl19rocblas_complex_numIfELi16ELb0ELb0ELc84ELc85EKS1_S1_EviT_T0_PT6_S3_lS6_S3_lS4_PT7_S3_li,comdat
.Lfunc_end1137:
	.size	_ZL32rocblas_syrkx_herkx_small_kernelIl19rocblas_complex_numIfELi16ELb0ELb0ELc84ELc85EKS1_S1_EviT_T0_PT6_S3_lS6_S3_lS4_PT7_S3_li, .Lfunc_end1137-_ZL32rocblas_syrkx_herkx_small_kernelIl19rocblas_complex_numIfELi16ELb0ELb0ELc84ELc85EKS1_S1_EviT_T0_PT6_S3_lS6_S3_lS4_PT7_S3_li
                                        ; -- End function
	.set _ZL32rocblas_syrkx_herkx_small_kernelIl19rocblas_complex_numIfELi16ELb0ELb0ELc84ELc85EKS1_S1_EviT_T0_PT6_S3_lS6_S3_lS4_PT7_S3_li.num_vgpr, 56
	.set _ZL32rocblas_syrkx_herkx_small_kernelIl19rocblas_complex_numIfELi16ELb0ELb0ELc84ELc85EKS1_S1_EviT_T0_PT6_S3_lS6_S3_lS4_PT7_S3_li.num_agpr, 0
	.set _ZL32rocblas_syrkx_herkx_small_kernelIl19rocblas_complex_numIfELi16ELb0ELb0ELc84ELc85EKS1_S1_EviT_T0_PT6_S3_lS6_S3_lS4_PT7_S3_li.numbered_sgpr, 28
	.set _ZL32rocblas_syrkx_herkx_small_kernelIl19rocblas_complex_numIfELi16ELb0ELb0ELc84ELc85EKS1_S1_EviT_T0_PT6_S3_lS6_S3_lS4_PT7_S3_li.num_named_barrier, 0
	.set _ZL32rocblas_syrkx_herkx_small_kernelIl19rocblas_complex_numIfELi16ELb0ELb0ELc84ELc85EKS1_S1_EviT_T0_PT6_S3_lS6_S3_lS4_PT7_S3_li.private_seg_size, 0
	.set _ZL32rocblas_syrkx_herkx_small_kernelIl19rocblas_complex_numIfELi16ELb0ELb0ELc84ELc85EKS1_S1_EviT_T0_PT6_S3_lS6_S3_lS4_PT7_S3_li.uses_vcc, 1
	.set _ZL32rocblas_syrkx_herkx_small_kernelIl19rocblas_complex_numIfELi16ELb0ELb0ELc84ELc85EKS1_S1_EviT_T0_PT6_S3_lS6_S3_lS4_PT7_S3_li.uses_flat_scratch, 0
	.set _ZL32rocblas_syrkx_herkx_small_kernelIl19rocblas_complex_numIfELi16ELb0ELb0ELc84ELc85EKS1_S1_EviT_T0_PT6_S3_lS6_S3_lS4_PT7_S3_li.has_dyn_sized_stack, 0
	.set _ZL32rocblas_syrkx_herkx_small_kernelIl19rocblas_complex_numIfELi16ELb0ELb0ELc84ELc85EKS1_S1_EviT_T0_PT6_S3_lS6_S3_lS4_PT7_S3_li.has_recursion, 0
	.set _ZL32rocblas_syrkx_herkx_small_kernelIl19rocblas_complex_numIfELi16ELb0ELb0ELc84ELc85EKS1_S1_EviT_T0_PT6_S3_lS6_S3_lS4_PT7_S3_li.has_indirect_call, 0
	.section	.AMDGPU.csdata,"",@progbits
; Kernel info:
; codeLenInByte = 1396
; TotalNumSgprs: 32
; NumVgprs: 56
; ScratchSize: 0
; MemoryBound: 1
; FloatMode: 240
; IeeeMode: 1
; LDSByteSize: 4096 bytes/workgroup (compile time only)
; SGPRBlocks: 3
; VGPRBlocks: 13
; NumSGPRsForWavesPerEU: 32
; NumVGPRsForWavesPerEU: 56
; Occupancy: 4
; WaveLimiterHint : 0
; COMPUTE_PGM_RSRC2:SCRATCH_EN: 0
; COMPUTE_PGM_RSRC2:USER_SGPR: 6
; COMPUTE_PGM_RSRC2:TRAP_HANDLER: 0
; COMPUTE_PGM_RSRC2:TGID_X_EN: 1
; COMPUTE_PGM_RSRC2:TGID_Y_EN: 1
; COMPUTE_PGM_RSRC2:TGID_Z_EN: 1
; COMPUTE_PGM_RSRC2:TIDIG_COMP_CNT: 1
	.section	.text._ZL32rocblas_syrkx_herkx_small_kernelIl19rocblas_complex_numIfELi16ELb0ELb0ELc67ELc85EKS1_S1_EviT_T0_PT6_S3_lS6_S3_lS4_PT7_S3_li,"axG",@progbits,_ZL32rocblas_syrkx_herkx_small_kernelIl19rocblas_complex_numIfELi16ELb0ELb0ELc67ELc85EKS1_S1_EviT_T0_PT6_S3_lS6_S3_lS4_PT7_S3_li,comdat
	.globl	_ZL32rocblas_syrkx_herkx_small_kernelIl19rocblas_complex_numIfELi16ELb0ELb0ELc67ELc85EKS1_S1_EviT_T0_PT6_S3_lS6_S3_lS4_PT7_S3_li ; -- Begin function _ZL32rocblas_syrkx_herkx_small_kernelIl19rocblas_complex_numIfELi16ELb0ELb0ELc67ELc85EKS1_S1_EviT_T0_PT6_S3_lS6_S3_lS4_PT7_S3_li
	.p2align	8
	.type	_ZL32rocblas_syrkx_herkx_small_kernelIl19rocblas_complex_numIfELi16ELb0ELb0ELc67ELc85EKS1_S1_EviT_T0_PT6_S3_lS6_S3_lS4_PT7_S3_li,@function
_ZL32rocblas_syrkx_herkx_small_kernelIl19rocblas_complex_numIfELi16ELb0ELb0ELc67ELc85EKS1_S1_EviT_T0_PT6_S3_lS6_S3_lS4_PT7_S3_li: ; @_ZL32rocblas_syrkx_herkx_small_kernelIl19rocblas_complex_numIfELi16ELb0ELb0ELc67ELc85EKS1_S1_EviT_T0_PT6_S3_lS6_S3_lS4_PT7_S3_li
; %bb.0:
	s_load_dwordx16 s[12:27], s[4:5], 0x8
	s_load_dword s9, s[4:5], 0x0
	v_lshl_add_u32 v2, s6, 4, v0
	v_lshl_add_u32 v14, s7, 4, v1
	v_ashrrev_i32_e32 v3, 31, v2
	s_waitcnt lgkmcnt(0)
	v_cmp_lt_i64_e64 s[0:1], s[12:13], 1
	v_cmp_gt_i32_e64 s[2:3], s9, v14
	s_and_b64 vcc, exec, s[0:1]
	v_ashrrev_i32_e32 v15, 31, v14
	s_cbranch_vccnz .LBB1138_9
; %bb.1:
	v_mul_lo_u32 v8, s25, v14
	v_mul_lo_u32 v9, s24, v15
	v_mad_u64_u32 v[5:6], s[6:7], s24, v14, 0
	s_mul_i32 s6, s27, s8
	s_mul_hi_u32 s7, s26, s8
	v_add3_u32 v6, v6, v9, v8
	v_lshlrev_b64 v[5:6], 3, v[5:6]
	s_add_i32 s7, s7, s6
	s_mul_i32 s6, s26, s8
	v_lshlrev_b32_e32 v7, 7, v1
	v_lshlrev_b32_e32 v16, 3, v0
	s_lshl_b64 s[6:7], s[6:7], 3
	v_add_u32_e32 v17, v16, v7
	v_add_u32_e32 v18, 0x800, v7
	v_mov_b32_e32 v7, s7
	v_add_co_u32_e32 v5, vcc, s6, v5
	v_mul_lo_u32 v11, s19, v2
	v_mul_lo_u32 v12, s18, v3
	v_mad_u64_u32 v[8:9], s[6:7], s18, v2, 0
	v_addc_co_u32_e32 v6, vcc, v6, v7, vcc
	v_add_co_u32_e32 v5, vcc, v5, v16
	v_addc_co_u32_e32 v7, vcc, 0, v6, vcc
	v_add3_u32 v9, v9, v12, v11
	s_mul_i32 s6, s21, s8
	s_mul_hi_u32 s7, s20, s8
	v_mov_b32_e32 v10, s23
	v_add_co_u32_e32 v6, vcc, s22, v5
	v_lshlrev_b64 v[8:9], 3, v[8:9]
	s_add_i32 s7, s7, s6
	s_mul_i32 s6, s20, s8
	v_addc_co_u32_e32 v7, vcc, v10, v7, vcc
	s_lshl_b64 s[6:7], s[6:7], 3
	v_mov_b32_e32 v5, s7
	v_add_co_u32_e32 v8, vcc, s6, v8
	v_addc_co_u32_e32 v5, vcc, v9, v5, vcc
	v_lshlrev_b32_e32 v9, 3, v1
	v_add_co_u32_e32 v8, vcc, v8, v9
	v_addc_co_u32_e32 v5, vcc, 0, v5, vcc
	v_mov_b32_e32 v9, s17
	v_add_co_u32_e32 v8, vcc, s16, v8
	v_addc_co_u32_e32 v5, vcc, v9, v5, vcc
	v_add_co_u32_e32 v8, vcc, 4, v8
	v_mov_b32_e32 v10, s12
	v_mov_b32_e32 v4, 0
	v_cmp_gt_i32_e64 s[0:1], s9, v2
	v_add_u32_e32 v19, v18, v16
	v_addc_co_u32_e32 v9, vcc, 0, v5, vcc
	s_mov_b64 s[6:7], 0
	s_xor_b64 s[10:11], s[2:3], -1
	v_mov_b32_e32 v11, s13
	v_mov_b32_e32 v20, 0
	;; [unrolled: 1-line block ×3, first 2 shown]
	s_branch .LBB1138_3
.LBB1138_2:                             ;   in Loop: Header=BB1138_3 Depth=1
	s_or_b64 exec, exec, s[2:3]
	s_waitcnt lgkmcnt(0)
	s_barrier
	ds_read2_b64 v[22:25], v16 offset1:16
	ds_read_b128 v[26:29], v18
	ds_read_b128 v[30:33], v18 offset:16
	ds_read2_b64 v[34:37], v16 offset0:32 offset1:48
	s_add_u32 s6, s6, 16
	v_add_co_u32_e32 v6, vcc, 0x80, v6
	s_waitcnt lgkmcnt(2)
	v_mul_f32_e32 v5, v27, v23
	v_mul_f32_e32 v12, v26, v23
	v_fma_f32 v5, v26, v22, -v5
	v_fmac_f32_e32 v12, v27, v22
	v_mul_f32_e32 v13, v29, v25
	v_mul_f32_e32 v38, v28, v25
	s_waitcnt lgkmcnt(0)
	v_mul_f32_e32 v22, v31, v35
	v_fma_f32 v13, v28, v24, -v13
	v_fmac_f32_e32 v38, v29, v24
	v_fma_f32 v39, v30, v34, -v22
	ds_read2_b64 v[22:25], v16 offset0:64 offset1:80
	ds_read_b128 v[26:29], v18 offset:32
	v_mul_f32_e32 v40, v30, v35
	v_fmac_f32_e32 v40, v31, v34
	v_mul_f32_e32 v30, v33, v37
	v_mul_f32_e32 v42, v32, v37
	s_waitcnt lgkmcnt(0)
	v_mul_f32_e32 v34, v27, v23
	v_fma_f32 v41, v32, v36, -v30
	v_fmac_f32_e32 v42, v33, v36
	ds_read_b128 v[30:33], v18 offset:48
	v_fma_f32 v43, v26, v22, -v34
	ds_read2_b64 v[34:37], v16 offset0:96 offset1:112
	v_mul_f32_e32 v44, v26, v23
	v_fmac_f32_e32 v44, v27, v22
	v_mul_f32_e32 v22, v29, v25
	v_fma_f32 v45, v28, v24, -v22
	v_mul_f32_e32 v46, v28, v25
	s_waitcnt lgkmcnt(0)
	v_mul_f32_e32 v22, v31, v35
	v_fmac_f32_e32 v46, v29, v24
	v_fma_f32 v47, v30, v34, -v22
	ds_read2_b64 v[22:25], v16 offset0:128 offset1:144
	ds_read_b128 v[26:29], v18 offset:64
	v_mul_f32_e32 v48, v30, v35
	v_fmac_f32_e32 v48, v31, v34
	v_mul_f32_e32 v30, v33, v37
	v_mul_f32_e32 v50, v32, v37
	s_waitcnt lgkmcnt(0)
	v_mul_f32_e32 v34, v27, v23
	v_fma_f32 v49, v32, v36, -v30
	v_fmac_f32_e32 v50, v33, v36
	ds_read_b128 v[30:33], v18 offset:80
	v_fma_f32 v51, v26, v22, -v34
	ds_read2_b64 v[34:37], v16 offset0:160 offset1:176
	v_mul_f32_e32 v52, v26, v23
	v_fmac_f32_e32 v52, v27, v22
	v_mul_f32_e32 v22, v29, v25
	v_fma_f32 v53, v28, v24, -v22
	v_mul_f32_e32 v54, v28, v25
	s_waitcnt lgkmcnt(0)
	v_mul_f32_e32 v22, v31, v35
	v_fmac_f32_e32 v54, v29, v24
	v_fma_f32 v55, v30, v34, -v22
	ds_read2_b64 v[22:25], v16 offset0:192 offset1:208
	ds_read_b128 v[26:29], v18 offset:96
	v_add_f32_e32 v5, v21, v5
	v_add_f32_e32 v12, v20, v12
	;; [unrolled: 1-line block ×5, first 2 shown]
	v_mul_f32_e32 v35, v30, v35
	v_mul_f32_e32 v30, v33, v37
	;; [unrolled: 1-line block ×3, first 2 shown]
	v_add_f32_e32 v12, v12, v40
	v_add_f32_e32 v5, v5, v41
	v_fmac_f32_e32 v35, v31, v34
	v_fma_f32 v34, v32, v36, -v30
	v_fmac_f32_e32 v37, v33, v36
	s_waitcnt lgkmcnt(0)
	v_mul_f32_e32 v36, v27, v23
	v_add_f32_e32 v12, v12, v42
	v_add_f32_e32 v5, v5, v43
	v_fma_f32 v36, v26, v22, -v36
	v_mul_f32_e32 v26, v26, v23
	v_add_f32_e32 v12, v12, v44
	v_add_f32_e32 v5, v5, v45
	v_fmac_f32_e32 v26, v27, v22
	v_mul_f32_e32 v22, v29, v25
	v_add_f32_e32 v12, v12, v46
	v_add_f32_e32 v5, v5, v47
	ds_read_b128 v[30:33], v18 offset:112
	v_fma_f32 v27, v28, v24, -v22
	v_add_f32_e32 v12, v12, v48
	v_add_f32_e32 v5, v5, v49
	ds_read2_b64 v[20:23], v16 offset0:224 offset1:240
	v_add_f32_e32 v12, v12, v50
	v_add_f32_e32 v5, v5, v51
	;; [unrolled: 1-line block ×8, first 2 shown]
	v_mul_f32_e32 v25, v28, v25
	v_add_f32_e32 v12, v12, v37
	v_add_f32_e32 v5, v5, v36
	s_waitcnt lgkmcnt(0)
	v_mul_f32_e32 v13, v31, v21
	v_fmac_f32_e32 v25, v29, v24
	v_add_f32_e32 v12, v12, v26
	v_add_f32_e32 v5, v5, v27
	v_fma_f32 v13, v30, v20, -v13
	v_mul_f32_e32 v21, v30, v21
	s_addc_u32 s7, s7, 0
	v_addc_co_u32_e32 v7, vcc, 0, v7, vcc
	v_add_f32_e32 v12, v12, v25
	v_fmac_f32_e32 v21, v31, v20
	v_add_f32_e32 v5, v5, v13
	v_mul_f32_e32 v13, v33, v23
	v_mul_f32_e32 v20, v32, v23
	v_add_co_u32_e32 v8, vcc, 0x80, v8
	v_cmp_ge_i64_e64 s[2:3], s[6:7], v[10:11]
	v_add_f32_e32 v12, v12, v21
	v_fma_f32 v13, v32, v22, -v13
	v_fmac_f32_e32 v20, v33, v22
	v_addc_co_u32_e32 v9, vcc, 0, v9, vcc
	v_add_f32_e32 v21, v5, v13
	v_add_f32_e32 v20, v12, v20
	s_and_b64 vcc, exec, s[2:3]
	s_barrier
	s_cbranch_vccnz .LBB1138_10
.LBB1138_3:                             ; =>This Inner Loop Header: Depth=1
	v_mov_b32_e32 v5, s7
	v_add_co_u32_e32 v12, vcc, s6, v1
	v_addc_co_u32_e32 v13, vcc, 0, v5, vcc
	v_cmp_gt_i64_e32 vcc, s[12:13], v[12:13]
	v_mov_b32_e32 v12, 0
	s_and_b64 s[16:17], s[0:1], vcc
	v_mov_b32_e32 v13, 0
	s_and_saveexec_b64 s[2:3], s[16:17]
	s_cbranch_execz .LBB1138_5
; %bb.4:                                ;   in Loop: Header=BB1138_3 Depth=1
	global_load_dwordx2 v[12:13], v[8:9], off offset:-4
.LBB1138_5:                             ;   in Loop: Header=BB1138_3 Depth=1
	s_or_b64 exec, exec, s[2:3]
	v_mov_b32_e32 v5, s7
	v_add_co_u32_e32 v22, vcc, s6, v0
	v_addc_co_u32_e32 v23, vcc, 0, v5, vcc
	v_cmp_le_i64_e32 vcc, s[12:13], v[22:23]
	s_waitcnt vmcnt(0)
	ds_write_b64 v17, v[12:13]
	s_or_b64 s[2:3], s[10:11], vcc
	s_and_saveexec_b64 s[16:17], s[2:3]
	s_xor_b64 s[2:3], exec, s[16:17]
; %bb.6:                                ;   in Loop: Header=BB1138_3 Depth=1
	v_mov_b32_e32 v5, v4
	ds_write_b64 v19, v[4:5]
; %bb.7:                                ;   in Loop: Header=BB1138_3 Depth=1
	s_andn2_saveexec_b64 s[2:3], s[2:3]
	s_cbranch_execz .LBB1138_2
; %bb.8:                                ;   in Loop: Header=BB1138_3 Depth=1
	global_load_dwordx2 v[12:13], v[6:7], off
	s_waitcnt vmcnt(0)
	ds_write_b64 v19, v[12:13]
	s_branch .LBB1138_2
.LBB1138_9:
	v_mov_b32_e32 v20, 0
	v_mov_b32_e32 v21, 0
.LBB1138_10:
	s_load_dwordx8 s[16:23], s[4:5], 0x48
	v_cmp_le_i32_e32 vcc, v2, v14
	v_cmp_gt_i32_e64 s[0:1], s9, v14
	s_and_b64 s[0:1], vcc, s[0:1]
	s_and_saveexec_b64 s[2:3], s[0:1]
	s_cbranch_execz .LBB1138_12
; %bb.11:
	s_waitcnt lgkmcnt(0)
	v_mul_lo_u32 v4, s21, v14
	v_mul_lo_u32 v5, s20, v15
	v_mad_u64_u32 v[0:1], s[2:3], s20, v14, 0
	s_mul_i32 s0, s23, s8
	s_mul_hi_u32 s1, s22, s8
	s_add_i32 s1, s1, s0
	s_mul_i32 s0, s22, s8
	s_lshl_b64 s[0:1], s[0:1], 3
	v_add3_u32 v1, v1, v5, v4
	s_add_u32 s0, s18, s0
	v_lshlrev_b64 v[0:1], 3, v[0:1]
	s_addc_u32 s1, s19, s1
	v_mov_b32_e32 v4, s1
	v_add_co_u32_e32 v5, vcc, s0, v0
	v_addc_co_u32_e32 v4, vcc, v4, v1, vcc
	v_lshlrev_b64 v[0:1], 3, v[2:3]
	v_add_co_u32_e32 v0, vcc, v5, v0
	v_addc_co_u32_e32 v1, vcc, v4, v1, vcc
	global_load_dwordx2 v[2:3], v[0:1], off
	v_mul_f32_e32 v4, s15, v20
	v_mul_f32_e32 v5, s14, v20
	v_fma_f32 v4, v21, s14, -v4
	v_fmac_f32_e32 v5, s15, v21
	s_waitcnt vmcnt(0)
	v_mul_f32_e32 v6, s17, v3
	v_mul_f32_e32 v3, s16, v3
	v_fma_f32 v6, v2, s16, -v6
	v_fmac_f32_e32 v3, s17, v2
	v_add_f32_e32 v2, v4, v6
	v_add_f32_e32 v3, v5, v3
	global_store_dwordx2 v[0:1], v[2:3], off
.LBB1138_12:
	s_endpgm
	.section	.rodata,"a",@progbits
	.p2align	6, 0x0
	.amdhsa_kernel _ZL32rocblas_syrkx_herkx_small_kernelIl19rocblas_complex_numIfELi16ELb0ELb0ELc67ELc85EKS1_S1_EviT_T0_PT6_S3_lS6_S3_lS4_PT7_S3_li
		.amdhsa_group_segment_fixed_size 4096
		.amdhsa_private_segment_fixed_size 0
		.amdhsa_kernarg_size 108
		.amdhsa_user_sgpr_count 6
		.amdhsa_user_sgpr_private_segment_buffer 1
		.amdhsa_user_sgpr_dispatch_ptr 0
		.amdhsa_user_sgpr_queue_ptr 0
		.amdhsa_user_sgpr_kernarg_segment_ptr 1
		.amdhsa_user_sgpr_dispatch_id 0
		.amdhsa_user_sgpr_flat_scratch_init 0
		.amdhsa_user_sgpr_private_segment_size 0
		.amdhsa_uses_dynamic_stack 0
		.amdhsa_system_sgpr_private_segment_wavefront_offset 0
		.amdhsa_system_sgpr_workgroup_id_x 1
		.amdhsa_system_sgpr_workgroup_id_y 1
		.amdhsa_system_sgpr_workgroup_id_z 1
		.amdhsa_system_sgpr_workgroup_info 0
		.amdhsa_system_vgpr_workitem_id 1
		.amdhsa_next_free_vgpr 56
		.amdhsa_next_free_sgpr 28
		.amdhsa_reserve_vcc 1
		.amdhsa_reserve_flat_scratch 0
		.amdhsa_float_round_mode_32 0
		.amdhsa_float_round_mode_16_64 0
		.amdhsa_float_denorm_mode_32 3
		.amdhsa_float_denorm_mode_16_64 3
		.amdhsa_dx10_clamp 1
		.amdhsa_ieee_mode 1
		.amdhsa_fp16_overflow 0
		.amdhsa_exception_fp_ieee_invalid_op 0
		.amdhsa_exception_fp_denorm_src 0
		.amdhsa_exception_fp_ieee_div_zero 0
		.amdhsa_exception_fp_ieee_overflow 0
		.amdhsa_exception_fp_ieee_underflow 0
		.amdhsa_exception_fp_ieee_inexact 0
		.amdhsa_exception_int_div_zero 0
	.end_amdhsa_kernel
	.section	.text._ZL32rocblas_syrkx_herkx_small_kernelIl19rocblas_complex_numIfELi16ELb0ELb0ELc67ELc85EKS1_S1_EviT_T0_PT6_S3_lS6_S3_lS4_PT7_S3_li,"axG",@progbits,_ZL32rocblas_syrkx_herkx_small_kernelIl19rocblas_complex_numIfELi16ELb0ELb0ELc67ELc85EKS1_S1_EviT_T0_PT6_S3_lS6_S3_lS4_PT7_S3_li,comdat
.Lfunc_end1138:
	.size	_ZL32rocblas_syrkx_herkx_small_kernelIl19rocblas_complex_numIfELi16ELb0ELb0ELc67ELc85EKS1_S1_EviT_T0_PT6_S3_lS6_S3_lS4_PT7_S3_li, .Lfunc_end1138-_ZL32rocblas_syrkx_herkx_small_kernelIl19rocblas_complex_numIfELi16ELb0ELb0ELc67ELc85EKS1_S1_EviT_T0_PT6_S3_lS6_S3_lS4_PT7_S3_li
                                        ; -- End function
	.set _ZL32rocblas_syrkx_herkx_small_kernelIl19rocblas_complex_numIfELi16ELb0ELb0ELc67ELc85EKS1_S1_EviT_T0_PT6_S3_lS6_S3_lS4_PT7_S3_li.num_vgpr, 56
	.set _ZL32rocblas_syrkx_herkx_small_kernelIl19rocblas_complex_numIfELi16ELb0ELb0ELc67ELc85EKS1_S1_EviT_T0_PT6_S3_lS6_S3_lS4_PT7_S3_li.num_agpr, 0
	.set _ZL32rocblas_syrkx_herkx_small_kernelIl19rocblas_complex_numIfELi16ELb0ELb0ELc67ELc85EKS1_S1_EviT_T0_PT6_S3_lS6_S3_lS4_PT7_S3_li.numbered_sgpr, 28
	.set _ZL32rocblas_syrkx_herkx_small_kernelIl19rocblas_complex_numIfELi16ELb0ELb0ELc67ELc85EKS1_S1_EviT_T0_PT6_S3_lS6_S3_lS4_PT7_S3_li.num_named_barrier, 0
	.set _ZL32rocblas_syrkx_herkx_small_kernelIl19rocblas_complex_numIfELi16ELb0ELb0ELc67ELc85EKS1_S1_EviT_T0_PT6_S3_lS6_S3_lS4_PT7_S3_li.private_seg_size, 0
	.set _ZL32rocblas_syrkx_herkx_small_kernelIl19rocblas_complex_numIfELi16ELb0ELb0ELc67ELc85EKS1_S1_EviT_T0_PT6_S3_lS6_S3_lS4_PT7_S3_li.uses_vcc, 1
	.set _ZL32rocblas_syrkx_herkx_small_kernelIl19rocblas_complex_numIfELi16ELb0ELb0ELc67ELc85EKS1_S1_EviT_T0_PT6_S3_lS6_S3_lS4_PT7_S3_li.uses_flat_scratch, 0
	.set _ZL32rocblas_syrkx_herkx_small_kernelIl19rocblas_complex_numIfELi16ELb0ELb0ELc67ELc85EKS1_S1_EviT_T0_PT6_S3_lS6_S3_lS4_PT7_S3_li.has_dyn_sized_stack, 0
	.set _ZL32rocblas_syrkx_herkx_small_kernelIl19rocblas_complex_numIfELi16ELb0ELb0ELc67ELc85EKS1_S1_EviT_T0_PT6_S3_lS6_S3_lS4_PT7_S3_li.has_recursion, 0
	.set _ZL32rocblas_syrkx_herkx_small_kernelIl19rocblas_complex_numIfELi16ELb0ELb0ELc67ELc85EKS1_S1_EviT_T0_PT6_S3_lS6_S3_lS4_PT7_S3_li.has_indirect_call, 0
	.section	.AMDGPU.csdata,"",@progbits
; Kernel info:
; codeLenInByte = 1344
; TotalNumSgprs: 32
; NumVgprs: 56
; ScratchSize: 0
; MemoryBound: 1
; FloatMode: 240
; IeeeMode: 1
; LDSByteSize: 4096 bytes/workgroup (compile time only)
; SGPRBlocks: 3
; VGPRBlocks: 13
; NumSGPRsForWavesPerEU: 32
; NumVGPRsForWavesPerEU: 56
; Occupancy: 4
; WaveLimiterHint : 0
; COMPUTE_PGM_RSRC2:SCRATCH_EN: 0
; COMPUTE_PGM_RSRC2:USER_SGPR: 6
; COMPUTE_PGM_RSRC2:TRAP_HANDLER: 0
; COMPUTE_PGM_RSRC2:TGID_X_EN: 1
; COMPUTE_PGM_RSRC2:TGID_Y_EN: 1
; COMPUTE_PGM_RSRC2:TGID_Z_EN: 1
; COMPUTE_PGM_RSRC2:TIDIG_COMP_CNT: 1
	.section	.text._ZL32rocblas_syrkx_herkx_small_kernelIl19rocblas_complex_numIfELi16ELb0ELb0ELc78ELc85EKS1_S1_EviT_T0_PT6_S3_lS6_S3_lS4_PT7_S3_li,"axG",@progbits,_ZL32rocblas_syrkx_herkx_small_kernelIl19rocblas_complex_numIfELi16ELb0ELb0ELc78ELc85EKS1_S1_EviT_T0_PT6_S3_lS6_S3_lS4_PT7_S3_li,comdat
	.globl	_ZL32rocblas_syrkx_herkx_small_kernelIl19rocblas_complex_numIfELi16ELb0ELb0ELc78ELc85EKS1_S1_EviT_T0_PT6_S3_lS6_S3_lS4_PT7_S3_li ; -- Begin function _ZL32rocblas_syrkx_herkx_small_kernelIl19rocblas_complex_numIfELi16ELb0ELb0ELc78ELc85EKS1_S1_EviT_T0_PT6_S3_lS6_S3_lS4_PT7_S3_li
	.p2align	8
	.type	_ZL32rocblas_syrkx_herkx_small_kernelIl19rocblas_complex_numIfELi16ELb0ELb0ELc78ELc85EKS1_S1_EviT_T0_PT6_S3_lS6_S3_lS4_PT7_S3_li,@function
_ZL32rocblas_syrkx_herkx_small_kernelIl19rocblas_complex_numIfELi16ELb0ELb0ELc78ELc85EKS1_S1_EviT_T0_PT6_S3_lS6_S3_lS4_PT7_S3_li: ; @_ZL32rocblas_syrkx_herkx_small_kernelIl19rocblas_complex_numIfELi16ELb0ELb0ELc78ELc85EKS1_S1_EviT_T0_PT6_S3_lS6_S3_lS4_PT7_S3_li
; %bb.0:
	s_load_dwordx16 s[12:27], s[4:5], 0x8
	s_load_dword s9, s[4:5], 0x0
	v_lshl_add_u32 v2, s6, 4, v0
	v_lshl_add_u32 v4, s7, 4, v1
	v_ashrrev_i32_e32 v3, 31, v2
	s_waitcnt lgkmcnt(0)
	v_cmp_lt_i64_e64 s[0:1], s[12:13], 1
	v_ashrrev_i32_e32 v5, 31, v4
	s_and_b64 vcc, exec, s[0:1]
	v_cmp_gt_i32_e64 s[0:1], s9, v4
	s_cbranch_vccnz .LBB1139_9
; %bb.1:
	v_lshlrev_b32_e32 v7, 7, v1
	v_lshlrev_b32_e32 v16, 3, v0
	v_add_u32_e32 v17, v16, v7
	v_add_u32_e32 v18, 0x800, v7
	v_mad_u64_u32 v[7:8], s[2:3], s24, v0, 0
	s_mul_i32 s6, s27, s8
	s_mul_hi_u32 s7, s26, s8
	v_mad_u64_u32 v[8:9], s[2:3], s25, v0, v[8:9]
	s_add_i32 s3, s7, s6
	s_mul_i32 s2, s26, s8
	v_lshlrev_b64 v[7:8], 3, v[7:8]
	s_lshl_b64 s[2:3], s[2:3], 3
	v_mov_b32_e32 v9, s3
	v_add_co_u32_e64 v10, s[2:3], s2, v7
	v_addc_co_u32_e64 v9, s[2:3], v9, v8, s[2:3]
	v_lshlrev_b64 v[7:8], 3, v[4:5]
	s_mul_i32 s10, s21, s8
	v_add_co_u32_e64 v7, s[2:3], v10, v7
	v_addc_co_u32_e64 v8, s[2:3], v9, v8, s[2:3]
	v_mov_b32_e32 v9, s23
	v_add_co_u32_e64 v7, s[2:3], s22, v7
	v_addc_co_u32_e64 v9, s[2:3], v9, v8, s[2:3]
	v_add_co_u32_e64 v8, s[2:3], 4, v7
	v_addc_co_u32_e64 v9, s[2:3], 0, v9, s[2:3]
	v_mad_u64_u32 v[10:11], s[2:3], s18, v1, 0
	s_mul_hi_u32 s11, s20, s8
	v_cmp_gt_i32_e32 vcc, s9, v2
	v_mov_b32_e32 v7, v11
	v_mad_u64_u32 v[11:12], s[2:3], s19, v1, v[7:8]
	s_add_i32 s3, s11, s10
	s_mul_i32 s2, s20, s8
	v_lshlrev_b64 v[10:11], 3, v[10:11]
	s_lshl_b64 s[2:3], s[2:3], 3
	v_mov_b32_e32 v7, s3
	v_add_co_u32_e64 v12, s[2:3], s2, v10
	v_addc_co_u32_e64 v7, s[2:3], v7, v11, s[2:3]
	v_lshlrev_b64 v[10:11], 3, v[2:3]
	s_lshl_b64 s[6:7], s[24:25], 7
	v_add_co_u32_e64 v10, s[2:3], v12, v10
	v_addc_co_u32_e64 v7, s[2:3], v7, v11, s[2:3]
	v_mov_b32_e32 v11, s17
	v_add_co_u32_e64 v10, s[2:3], s16, v10
	s_lshl_b64 s[10:11], s[18:19], 7
	v_mov_b32_e32 v12, s12
	v_mov_b32_e32 v6, 0
	v_add_u32_e32 v19, v18, v16
	v_addc_co_u32_e64 v11, s[2:3], v11, v7, s[2:3]
	s_mov_b64 s[16:17], 0
	s_xor_b64 s[18:19], vcc, -1
	v_mov_b32_e32 v22, s7
	v_mov_b32_e32 v23, s11
	;; [unrolled: 1-line block ×5, first 2 shown]
	s_branch .LBB1139_3
.LBB1139_2:                             ;   in Loop: Header=BB1139_3 Depth=1
	s_or_b64 exec, exec, s[2:3]
	s_waitcnt vmcnt(0)
	ds_write_b64 v19, v[14:15]
	s_waitcnt lgkmcnt(0)
	s_barrier
	ds_read2_b64 v[24:27], v16 offset1:16
	ds_read_b128 v[28:31], v18
	ds_read_b128 v[32:35], v18 offset:16
	ds_read2_b64 v[36:39], v16 offset0:32 offset1:48
	s_add_u32 s16, s16, 16
	v_add_co_u32_e32 v8, vcc, s6, v8
	s_waitcnt lgkmcnt(2)
	v_mul_f32_e32 v7, v29, v25
	v_mul_f32_e32 v14, v28, v25
	v_fma_f32 v7, v28, v24, -v7
	v_fmac_f32_e32 v14, v29, v24
	v_mul_f32_e32 v15, v31, v27
	v_mul_f32_e32 v40, v30, v27
	s_waitcnt lgkmcnt(0)
	v_mul_f32_e32 v24, v33, v37
	v_fma_f32 v15, v30, v26, -v15
	v_fmac_f32_e32 v40, v31, v26
	v_fma_f32 v41, v32, v36, -v24
	ds_read2_b64 v[24:27], v16 offset0:64 offset1:80
	ds_read_b128 v[28:31], v18 offset:32
	v_mul_f32_e32 v42, v32, v37
	v_fmac_f32_e32 v42, v33, v36
	v_mul_f32_e32 v32, v35, v39
	v_mul_f32_e32 v44, v34, v39
	s_waitcnt lgkmcnt(0)
	v_mul_f32_e32 v36, v29, v25
	v_fma_f32 v43, v34, v38, -v32
	v_fmac_f32_e32 v44, v35, v38
	ds_read_b128 v[32:35], v18 offset:48
	v_fma_f32 v45, v28, v24, -v36
	ds_read2_b64 v[36:39], v16 offset0:96 offset1:112
	v_mul_f32_e32 v46, v28, v25
	v_fmac_f32_e32 v46, v29, v24
	v_mul_f32_e32 v24, v31, v27
	v_fma_f32 v47, v30, v26, -v24
	v_mul_f32_e32 v48, v30, v27
	s_waitcnt lgkmcnt(0)
	v_mul_f32_e32 v24, v33, v37
	v_fmac_f32_e32 v48, v31, v26
	v_fma_f32 v49, v32, v36, -v24
	ds_read2_b64 v[24:27], v16 offset0:128 offset1:144
	ds_read_b128 v[28:31], v18 offset:64
	v_mul_f32_e32 v50, v32, v37
	v_fmac_f32_e32 v50, v33, v36
	v_mul_f32_e32 v32, v35, v39
	v_mul_f32_e32 v52, v34, v39
	s_waitcnt lgkmcnt(0)
	v_mul_f32_e32 v36, v29, v25
	v_fma_f32 v51, v34, v38, -v32
	v_fmac_f32_e32 v52, v35, v38
	ds_read_b128 v[32:35], v18 offset:80
	v_fma_f32 v53, v28, v24, -v36
	ds_read2_b64 v[36:39], v16 offset0:160 offset1:176
	v_mul_f32_e32 v54, v28, v25
	v_fmac_f32_e32 v54, v29, v24
	v_mul_f32_e32 v24, v31, v27
	v_fma_f32 v55, v30, v26, -v24
	v_mul_f32_e32 v56, v30, v27
	s_waitcnt lgkmcnt(0)
	v_mul_f32_e32 v24, v33, v37
	v_add_f32_e32 v7, v21, v7
	v_add_f32_e32 v14, v20, v14
	v_fmac_f32_e32 v56, v31, v26
	v_fma_f32 v57, v32, v36, -v24
	ds_read2_b64 v[24:27], v16 offset0:192 offset1:208
	ds_read_b128 v[28:31], v18 offset:96
	v_add_f32_e32 v7, v7, v15
	v_add_f32_e32 v14, v14, v40
	;; [unrolled: 1-line block ×8, first 2 shown]
	v_mul_f32_e32 v58, v32, v37
	v_add_f32_e32 v7, v7, v47
	v_add_f32_e32 v14, v14, v48
	v_fmac_f32_e32 v58, v33, v36
	v_mul_f32_e32 v32, v35, v39
	v_mul_f32_e32 v60, v34, v39
	s_waitcnt lgkmcnt(0)
	v_mul_f32_e32 v36, v29, v25
	v_add_f32_e32 v7, v7, v49
	v_add_f32_e32 v14, v14, v50
	v_fma_f32 v59, v34, v38, -v32
	v_fmac_f32_e32 v60, v35, v38
	ds_read_b128 v[32:35], v18 offset:112
	v_fma_f32 v61, v28, v24, -v36
	ds_read2_b64 v[36:39], v16 offset0:224 offset1:240
	v_add_f32_e32 v7, v7, v51
	v_add_f32_e32 v14, v14, v52
	;; [unrolled: 1-line block ×6, first 2 shown]
	v_mul_f32_e32 v25, v28, v25
	v_add_f32_e32 v7, v7, v57
	v_add_f32_e32 v14, v14, v58
	v_fmac_f32_e32 v25, v29, v24
	v_mul_f32_e32 v24, v31, v27
	v_mul_f32_e32 v27, v30, v27
	v_add_f32_e32 v7, v7, v59
	v_add_f32_e32 v14, v14, v60
	v_fma_f32 v24, v30, v26, -v24
	v_fmac_f32_e32 v27, v31, v26
	s_waitcnt lgkmcnt(0)
	v_mul_f32_e32 v26, v33, v37
	v_mul_f32_e32 v28, v32, v37
	v_add_f32_e32 v7, v7, v61
	v_add_f32_e32 v14, v14, v25
	s_addc_u32 s17, s17, 0
	v_addc_co_u32_e32 v9, vcc, v9, v22, vcc
	v_fma_f32 v26, v32, v36, -v26
	v_fmac_f32_e32 v28, v33, v36
	v_mul_f32_e32 v29, v35, v39
	v_mul_f32_e32 v30, v34, v39
	v_add_f32_e32 v7, v7, v24
	v_add_f32_e32 v14, v14, v27
	v_cmp_ge_i64_e32 vcc, s[16:17], v[12:13]
	v_fma_f32 v29, v34, v38, -v29
	v_fmac_f32_e32 v30, v35, v38
	v_add_f32_e32 v7, v7, v26
	v_add_f32_e32 v14, v14, v28
	v_add_co_u32_e64 v10, s[2:3], s10, v10
	v_add_f32_e32 v21, v7, v29
	v_add_f32_e32 v20, v14, v30
	v_addc_co_u32_e64 v11, s[2:3], v11, v23, s[2:3]
	s_barrier
	s_cbranch_vccnz .LBB1139_10
.LBB1139_3:                             ; =>This Inner Loop Header: Depth=1
	v_mov_b32_e32 v7, s17
	v_add_co_u32_e32 v14, vcc, s16, v1
	v_addc_co_u32_e32 v15, vcc, 0, v7, vcc
	v_cmp_le_i64_e32 vcc, s[12:13], v[14:15]
	s_or_b64 s[2:3], s[18:19], vcc
	s_and_saveexec_b64 s[20:21], s[2:3]
	s_xor_b64 s[2:3], exec, s[20:21]
; %bb.4:                                ;   in Loop: Header=BB1139_3 Depth=1
	v_mov_b32_e32 v7, v6
	ds_write_b64 v17, v[6:7]
; %bb.5:                                ;   in Loop: Header=BB1139_3 Depth=1
	s_andn2_saveexec_b64 s[2:3], s[2:3]
	s_cbranch_execz .LBB1139_7
; %bb.6:                                ;   in Loop: Header=BB1139_3 Depth=1
	global_load_dwordx2 v[14:15], v[10:11], off
	s_waitcnt vmcnt(0)
	ds_write_b64 v17, v[14:15]
.LBB1139_7:                             ;   in Loop: Header=BB1139_3 Depth=1
	s_or_b64 exec, exec, s[2:3]
	v_mov_b32_e32 v7, s17
	v_add_co_u32_e32 v14, vcc, s16, v0
	v_addc_co_u32_e32 v15, vcc, 0, v7, vcc
	v_cmp_gt_i64_e32 vcc, s[12:13], v[14:15]
	v_mov_b32_e32 v14, 0
	s_and_b64 s[20:21], s[0:1], vcc
	v_mov_b32_e32 v15, 0
	s_and_saveexec_b64 s[2:3], s[20:21]
	s_cbranch_execz .LBB1139_2
; %bb.8:                                ;   in Loop: Header=BB1139_3 Depth=1
	global_load_dwordx2 v[14:15], v[8:9], off offset:-4
	s_branch .LBB1139_2
.LBB1139_9:
	v_mov_b32_e32 v20, 0
	v_mov_b32_e32 v21, 0
.LBB1139_10:
	s_load_dwordx8 s[16:23], s[4:5], 0x48
	v_cmp_le_i32_e32 vcc, v2, v4
	v_cmp_gt_i32_e64 s[0:1], s9, v4
	s_and_b64 s[0:1], vcc, s[0:1]
	s_and_saveexec_b64 s[2:3], s[0:1]
	s_cbranch_execz .LBB1139_12
; %bb.11:
	s_waitcnt lgkmcnt(0)
	v_mul_lo_u32 v6, s21, v4
	v_mul_lo_u32 v5, s20, v5
	v_mad_u64_u32 v[0:1], s[2:3], s20, v4, 0
	s_mul_i32 s0, s23, s8
	s_mul_hi_u32 s1, s22, s8
	s_add_i32 s1, s1, s0
	s_mul_i32 s0, s22, s8
	s_lshl_b64 s[0:1], s[0:1], 3
	v_add3_u32 v1, v1, v5, v6
	s_add_u32 s0, s18, s0
	v_lshlrev_b64 v[0:1], 3, v[0:1]
	s_addc_u32 s1, s19, s1
	v_mov_b32_e32 v4, s1
	v_add_co_u32_e32 v5, vcc, s0, v0
	v_addc_co_u32_e32 v4, vcc, v4, v1, vcc
	v_lshlrev_b64 v[0:1], 3, v[2:3]
	v_add_co_u32_e32 v0, vcc, v5, v0
	v_addc_co_u32_e32 v1, vcc, v4, v1, vcc
	global_load_dwordx2 v[2:3], v[0:1], off
	v_mul_f32_e32 v4, s15, v20
	v_mul_f32_e32 v5, s14, v20
	v_fma_f32 v4, v21, s14, -v4
	v_fmac_f32_e32 v5, s15, v21
	s_waitcnt vmcnt(0)
	v_mul_f32_e32 v6, s17, v3
	v_mul_f32_e32 v3, s16, v3
	v_fma_f32 v6, v2, s16, -v6
	v_fmac_f32_e32 v3, s17, v2
	v_add_f32_e32 v2, v4, v6
	v_add_f32_e32 v3, v5, v3
	global_store_dwordx2 v[0:1], v[2:3], off
.LBB1139_12:
	s_endpgm
	.section	.rodata,"a",@progbits
	.p2align	6, 0x0
	.amdhsa_kernel _ZL32rocblas_syrkx_herkx_small_kernelIl19rocblas_complex_numIfELi16ELb0ELb0ELc78ELc85EKS1_S1_EviT_T0_PT6_S3_lS6_S3_lS4_PT7_S3_li
		.amdhsa_group_segment_fixed_size 4096
		.amdhsa_private_segment_fixed_size 0
		.amdhsa_kernarg_size 108
		.amdhsa_user_sgpr_count 6
		.amdhsa_user_sgpr_private_segment_buffer 1
		.amdhsa_user_sgpr_dispatch_ptr 0
		.amdhsa_user_sgpr_queue_ptr 0
		.amdhsa_user_sgpr_kernarg_segment_ptr 1
		.amdhsa_user_sgpr_dispatch_id 0
		.amdhsa_user_sgpr_flat_scratch_init 0
		.amdhsa_user_sgpr_private_segment_size 0
		.amdhsa_uses_dynamic_stack 0
		.amdhsa_system_sgpr_private_segment_wavefront_offset 0
		.amdhsa_system_sgpr_workgroup_id_x 1
		.amdhsa_system_sgpr_workgroup_id_y 1
		.amdhsa_system_sgpr_workgroup_id_z 1
		.amdhsa_system_sgpr_workgroup_info 0
		.amdhsa_system_vgpr_workitem_id 1
		.amdhsa_next_free_vgpr 62
		.amdhsa_next_free_sgpr 28
		.amdhsa_reserve_vcc 1
		.amdhsa_reserve_flat_scratch 0
		.amdhsa_float_round_mode_32 0
		.amdhsa_float_round_mode_16_64 0
		.amdhsa_float_denorm_mode_32 3
		.amdhsa_float_denorm_mode_16_64 3
		.amdhsa_dx10_clamp 1
		.amdhsa_ieee_mode 1
		.amdhsa_fp16_overflow 0
		.amdhsa_exception_fp_ieee_invalid_op 0
		.amdhsa_exception_fp_denorm_src 0
		.amdhsa_exception_fp_ieee_div_zero 0
		.amdhsa_exception_fp_ieee_overflow 0
		.amdhsa_exception_fp_ieee_underflow 0
		.amdhsa_exception_fp_ieee_inexact 0
		.amdhsa_exception_int_div_zero 0
	.end_amdhsa_kernel
	.section	.text._ZL32rocblas_syrkx_herkx_small_kernelIl19rocblas_complex_numIfELi16ELb0ELb0ELc78ELc85EKS1_S1_EviT_T0_PT6_S3_lS6_S3_lS4_PT7_S3_li,"axG",@progbits,_ZL32rocblas_syrkx_herkx_small_kernelIl19rocblas_complex_numIfELi16ELb0ELb0ELc78ELc85EKS1_S1_EviT_T0_PT6_S3_lS6_S3_lS4_PT7_S3_li,comdat
.Lfunc_end1139:
	.size	_ZL32rocblas_syrkx_herkx_small_kernelIl19rocblas_complex_numIfELi16ELb0ELb0ELc78ELc85EKS1_S1_EviT_T0_PT6_S3_lS6_S3_lS4_PT7_S3_li, .Lfunc_end1139-_ZL32rocblas_syrkx_herkx_small_kernelIl19rocblas_complex_numIfELi16ELb0ELb0ELc78ELc85EKS1_S1_EviT_T0_PT6_S3_lS6_S3_lS4_PT7_S3_li
                                        ; -- End function
	.set _ZL32rocblas_syrkx_herkx_small_kernelIl19rocblas_complex_numIfELi16ELb0ELb0ELc78ELc85EKS1_S1_EviT_T0_PT6_S3_lS6_S3_lS4_PT7_S3_li.num_vgpr, 62
	.set _ZL32rocblas_syrkx_herkx_small_kernelIl19rocblas_complex_numIfELi16ELb0ELb0ELc78ELc85EKS1_S1_EviT_T0_PT6_S3_lS6_S3_lS4_PT7_S3_li.num_agpr, 0
	.set _ZL32rocblas_syrkx_herkx_small_kernelIl19rocblas_complex_numIfELi16ELb0ELb0ELc78ELc85EKS1_S1_EviT_T0_PT6_S3_lS6_S3_lS4_PT7_S3_li.numbered_sgpr, 28
	.set _ZL32rocblas_syrkx_herkx_small_kernelIl19rocblas_complex_numIfELi16ELb0ELb0ELc78ELc85EKS1_S1_EviT_T0_PT6_S3_lS6_S3_lS4_PT7_S3_li.num_named_barrier, 0
	.set _ZL32rocblas_syrkx_herkx_small_kernelIl19rocblas_complex_numIfELi16ELb0ELb0ELc78ELc85EKS1_S1_EviT_T0_PT6_S3_lS6_S3_lS4_PT7_S3_li.private_seg_size, 0
	.set _ZL32rocblas_syrkx_herkx_small_kernelIl19rocblas_complex_numIfELi16ELb0ELb0ELc78ELc85EKS1_S1_EviT_T0_PT6_S3_lS6_S3_lS4_PT7_S3_li.uses_vcc, 1
	.set _ZL32rocblas_syrkx_herkx_small_kernelIl19rocblas_complex_numIfELi16ELb0ELb0ELc78ELc85EKS1_S1_EviT_T0_PT6_S3_lS6_S3_lS4_PT7_S3_li.uses_flat_scratch, 0
	.set _ZL32rocblas_syrkx_herkx_small_kernelIl19rocblas_complex_numIfELi16ELb0ELb0ELc78ELc85EKS1_S1_EviT_T0_PT6_S3_lS6_S3_lS4_PT7_S3_li.has_dyn_sized_stack, 0
	.set _ZL32rocblas_syrkx_herkx_small_kernelIl19rocblas_complex_numIfELi16ELb0ELb0ELc78ELc85EKS1_S1_EviT_T0_PT6_S3_lS6_S3_lS4_PT7_S3_li.has_recursion, 0
	.set _ZL32rocblas_syrkx_herkx_small_kernelIl19rocblas_complex_numIfELi16ELb0ELb0ELc78ELc85EKS1_S1_EviT_T0_PT6_S3_lS6_S3_lS4_PT7_S3_li.has_indirect_call, 0
	.section	.AMDGPU.csdata,"",@progbits
; Kernel info:
; codeLenInByte = 1388
; TotalNumSgprs: 32
; NumVgprs: 62
; ScratchSize: 0
; MemoryBound: 1
; FloatMode: 240
; IeeeMode: 1
; LDSByteSize: 4096 bytes/workgroup (compile time only)
; SGPRBlocks: 3
; VGPRBlocks: 15
; NumSGPRsForWavesPerEU: 32
; NumVGPRsForWavesPerEU: 62
; Occupancy: 4
; WaveLimiterHint : 0
; COMPUTE_PGM_RSRC2:SCRATCH_EN: 0
; COMPUTE_PGM_RSRC2:USER_SGPR: 6
; COMPUTE_PGM_RSRC2:TRAP_HANDLER: 0
; COMPUTE_PGM_RSRC2:TGID_X_EN: 1
; COMPUTE_PGM_RSRC2:TGID_Y_EN: 1
; COMPUTE_PGM_RSRC2:TGID_Z_EN: 1
; COMPUTE_PGM_RSRC2:TIDIG_COMP_CNT: 1
	.section	.text._ZL34rocblas_syrkx_herkx_general_kernelIl19rocblas_complex_numIfELi16ELi32ELi8ELb1ELb0ELc84ELc76EKS1_S1_EviT_T0_PT8_S3_lS6_S3_lS4_PT9_S3_li,"axG",@progbits,_ZL34rocblas_syrkx_herkx_general_kernelIl19rocblas_complex_numIfELi16ELi32ELi8ELb1ELb0ELc84ELc76EKS1_S1_EviT_T0_PT8_S3_lS6_S3_lS4_PT9_S3_li,comdat
	.globl	_ZL34rocblas_syrkx_herkx_general_kernelIl19rocblas_complex_numIfELi16ELi32ELi8ELb1ELb0ELc84ELc76EKS1_S1_EviT_T0_PT8_S3_lS6_S3_lS4_PT9_S3_li ; -- Begin function _ZL34rocblas_syrkx_herkx_general_kernelIl19rocblas_complex_numIfELi16ELi32ELi8ELb1ELb0ELc84ELc76EKS1_S1_EviT_T0_PT8_S3_lS6_S3_lS4_PT9_S3_li
	.p2align	8
	.type	_ZL34rocblas_syrkx_herkx_general_kernelIl19rocblas_complex_numIfELi16ELi32ELi8ELb1ELb0ELc84ELc76EKS1_S1_EviT_T0_PT8_S3_lS6_S3_lS4_PT9_S3_li,@function
_ZL34rocblas_syrkx_herkx_general_kernelIl19rocblas_complex_numIfELi16ELi32ELi8ELb1ELb0ELc84ELc76EKS1_S1_EviT_T0_PT8_S3_lS6_S3_lS4_PT9_S3_li: ; @_ZL34rocblas_syrkx_herkx_general_kernelIl19rocblas_complex_numIfELi16ELi32ELi8ELb1ELb0ELc84ELc76EKS1_S1_EviT_T0_PT8_S3_lS6_S3_lS4_PT9_S3_li
; %bb.0:
	s_load_dwordx16 s[12:27], s[4:5], 0x8
	s_load_dword s9, s[4:5], 0x0
	s_lshl_b32 s28, s6, 5
	s_lshl_b32 s29, s7, 5
	s_waitcnt lgkmcnt(0)
	v_cmp_lt_i64_e64 s[0:1], s[12:13], 1
	s_and_b64 vcc, exec, s[0:1]
	s_cbranch_vccnz .LBB1140_11
; %bb.1:
	v_lshl_add_u32 v2, v1, 4, v0
	v_and_b32_e32 v5, 31, v2
	v_or_b32_e32 v6, s28, v5
	v_and_b32_e32 v11, 7, v0
	v_lshrrev_b32_e32 v3, 3, v2
	v_lshrrev_b32_e32 v10, 5, v2
	v_cmp_gt_i32_e32 vcc, s9, v6
	v_lshlrev_b32_e32 v2, 3, v5
	v_lshlrev_b32_e32 v6, 3, v11
	v_lshl_or_b32 v12, v10, 8, v2
	v_lshl_or_b32 v2, v3, 6, v6
	v_add_u32_e32 v13, 0x800, v2
	v_add_u32_e32 v2, s28, v5
	;; [unrolled: 1-line block ×3, first 2 shown]
	v_ashrrev_i32_e32 v3, 31, v2
	v_mul_lo_u32 v5, s18, v3
	v_mul_lo_u32 v8, s19, v2
	v_mad_u64_u32 v[2:3], s[2:3], s18, v2, 0
	s_mul_i32 s2, s21, s8
	s_mul_hi_u32 s3, s20, s8
	v_add3_u32 v3, v3, v5, v8
	v_lshlrev_b64 v[2:3], 3, v[2:3]
	s_add_i32 s3, s3, s2
	s_mul_i32 s2, s20, s8
	s_lshl_b64 s[2:3], s[2:3], 3
	v_mov_b32_e32 v5, s3
	v_add_co_u32_e64 v2, s[2:3], s2, v2
	v_addc_co_u32_e64 v3, s[2:3], v3, v5, s[2:3]
	v_lshlrev_b32_e32 v5, 3, v10
	v_ashrrev_i32_e32 v7, 31, v4
	v_mov_b32_e32 v9, 0x800
	v_add_co_u32_e64 v2, s[2:3], v2, v5
	v_cmp_gt_i32_e64 s[0:1], s9, v4
	v_lshl_add_u32 v15, v1, 6, v9
	v_addc_co_u32_e64 v3, s[2:3], 0, v3, s[2:3]
	v_mul_lo_u32 v7, s24, v7
	v_mul_lo_u32 v9, s25, v4
	v_mad_u64_u32 v[4:5], s[2:3], s24, v4, 0
	v_mov_b32_e32 v8, s17
	v_add_co_u32_e64 v2, s[2:3], s16, v2
	v_addc_co_u32_e64 v3, s[2:3], v8, v3, s[2:3]
	v_add3_u32 v5, v5, v7, v9
	s_mul_i32 s2, s27, s8
	s_mul_hi_u32 s3, s26, s8
	v_lshlrev_b64 v[4:5], 3, v[4:5]
	s_add_i32 s3, s3, s2
	s_mul_i32 s2, s26, s8
	s_lshl_b64 s[2:3], s[2:3], 3
	v_mov_b32_e32 v7, s3
	v_add_co_u32_e64 v4, s[2:3], s2, v4
	v_addc_co_u32_e64 v5, s[2:3], v5, v7, s[2:3]
	v_add_co_u32_e64 v4, s[2:3], v4, v6
	v_addc_co_u32_e64 v5, s[2:3], 0, v5, s[2:3]
	v_mov_b32_e32 v6, s23
	v_add_co_u32_e64 v4, s[2:3], s22, v4
	v_addc_co_u32_e64 v5, s[2:3], v6, v5, s[2:3]
	v_mov_b32_e32 v8, s12
	v_lshlrev_b32_e32 v14, 3, v0
	s_mov_b64 s[2:3], 0
	s_xor_b64 s[6:7], vcc, -1
	s_xor_b64 s[10:11], s[0:1], -1
	v_mov_b32_e32 v19, 0
	v_mov_b32_e32 v18, 0
	;; [unrolled: 1-line block ×10, first 2 shown]
	s_branch .LBB1140_3
.LBB1140_2:                             ;   in Loop: Header=BB1140_3 Depth=1
	s_or_b64 exec, exec, s[0:1]
	s_waitcnt lgkmcnt(0)
	s_barrier
	ds_read2_b64 v[24:27], v14 offset1:16
	ds_read_b128 v[28:31], v15
	ds_read_b128 v[32:35], v15 offset:16
	s_add_u32 s2, s2, 8
	v_add_co_u32_e32 v2, vcc, 64, v2
	s_waitcnt lgkmcnt(1)
	v_mul_f32_e32 v36, v28, v25
	v_fmac_f32_e32 v36, v29, v24
	v_add_f32_e32 v44, v21, v36
	ds_read_b128 v[36:39], v15 offset:1024
	v_mul_f32_e32 v7, v29, v25
	v_fma_f32 v7, v28, v24, -v7
	v_add_f32_e32 v7, v20, v7
	v_mul_f32_e32 v20, v29, v27
	v_mul_f32_e32 v21, v28, v27
	v_fma_f32 v20, v28, v26, -v20
	v_fmac_f32_e32 v21, v29, v26
	v_add_f32_e32 v28, v22, v20
	v_add_f32_e32 v29, v23, v21
	ds_read_b128 v[20:23], v15 offset:1040
	s_waitcnt lgkmcnt(1)
	v_mul_f32_e32 v40, v37, v25
	v_fma_f32 v40, v36, v24, -v40
	v_add_f32_e32 v45, v16, v40
	ds_read2_b64 v[40:43], v14 offset0:32 offset1:48
	v_mul_f32_e32 v25, v36, v25
	v_mul_f32_e32 v16, v37, v27
	v_fmac_f32_e32 v25, v37, v24
	v_fma_f32 v16, v36, v26, -v16
	v_add_f32_e32 v46, v17, v25
	v_mul_f32_e32 v17, v36, v27
	v_add_f32_e32 v36, v18, v16
	s_waitcnt lgkmcnt(0)
	v_mul_f32_e32 v16, v31, v41
	v_fma_f32 v47, v30, v40, -v16
	v_mul_f32_e32 v16, v31, v43
	v_fma_f32 v49, v30, v42, -v16
	v_mul_f32_e32 v48, v30, v41
	v_mul_f32_e32 v30, v30, v43
	v_add_f32_e32 v7, v7, v47
	v_add_f32_e32 v47, v28, v49
	v_mul_f32_e32 v28, v39, v41
	v_fmac_f32_e32 v17, v37, v26
	v_fmac_f32_e32 v48, v31, v40
	;; [unrolled: 1-line block ×3, first 2 shown]
	v_fma_f32 v49, v38, v40, -v28
	v_mul_f32_e32 v41, v38, v41
	v_mul_f32_e32 v28, v39, v43
	v_add_f32_e32 v37, v19, v17
	ds_read_b128 v[16:19], v15 offset:32
	ds_read_b128 v[24:27], v15 offset:48
	v_add_f32_e32 v44, v44, v48
	v_add_f32_e32 v48, v29, v30
	v_fmac_f32_e32 v41, v39, v40
	v_fma_f32 v40, v38, v42, -v28
	ds_read2_b64 v[28:31], v14 offset0:64 offset1:80
	v_add_f32_e32 v40, v36, v40
	v_mul_f32_e32 v38, v38, v43
	v_fmac_f32_e32 v38, v39, v42
	v_add_f32_e32 v42, v37, v38
	s_waitcnt lgkmcnt(0)
	v_mul_f32_e32 v36, v33, v29
	v_fma_f32 v36, v32, v28, -v36
	v_add_f32_e32 v7, v7, v36
	v_mul_f32_e32 v36, v33, v31
	v_mul_f32_e32 v37, v32, v29
	v_fma_f32 v36, v32, v30, -v36
	v_mul_f32_e32 v32, v32, v31
	v_fmac_f32_e32 v37, v33, v28
	v_fmac_f32_e32 v32, v33, v30
	v_add_f32_e32 v33, v47, v36
	v_mul_f32_e32 v36, v21, v29
	v_add_f32_e32 v39, v45, v49
	v_fma_f32 v36, v20, v28, -v36
	v_mul_f32_e32 v29, v20, v29
	v_add_f32_e32 v41, v46, v41
	v_fmac_f32_e32 v29, v21, v28
	v_add_f32_e32 v28, v39, v36
	v_mul_f32_e32 v36, v21, v31
	v_add_f32_e32 v43, v44, v37
	v_add_f32_e32 v29, v41, v29
	v_fma_f32 v41, v20, v30, -v36
	ds_read2_b64 v[36:39], v14 offset0:96 offset1:112
	v_mul_f32_e32 v20, v20, v31
	v_fmac_f32_e32 v20, v21, v30
	v_add_f32_e32 v21, v40, v41
	v_add_f32_e32 v32, v48, v32
	s_waitcnt lgkmcnt(0)
	v_mul_f32_e32 v30, v35, v37
	v_fma_f32 v30, v34, v36, -v30
	v_mul_f32_e32 v31, v34, v37
	v_fmac_f32_e32 v31, v35, v36
	v_add_f32_e32 v7, v7, v30
	v_mul_f32_e32 v30, v35, v39
	v_add_f32_e32 v40, v43, v31
	v_fma_f32 v30, v34, v38, -v30
	v_mul_f32_e32 v31, v34, v39
	v_fmac_f32_e32 v31, v35, v38
	v_add_f32_e32 v33, v33, v30
	v_mul_f32_e32 v30, v23, v37
	v_add_f32_e32 v32, v32, v31
	;; [unrolled: 6-line block ×3, first 2 shown]
	v_fma_f32 v34, v22, v38, -v28
	ds_read2_b64 v[28:31], v14 offset0:128 offset1:144
	v_mul_f32_e32 v22, v22, v39
	v_add_f32_e32 v20, v42, v20
	v_fmac_f32_e32 v22, v23, v38
	v_add_f32_e32 v42, v20, v22
	s_waitcnt lgkmcnt(0)
	v_mul_f32_e32 v20, v17, v29
	v_add_f32_e32 v41, v21, v34
	v_fma_f32 v20, v16, v28, -v20
	v_mul_f32_e32 v21, v16, v29
	v_fmac_f32_e32 v21, v17, v28
	v_add_f32_e32 v7, v7, v20
	v_mul_f32_e32 v20, v17, v31
	v_add_f32_e32 v40, v40, v21
	v_fma_f32 v34, v16, v30, -v20
	ds_read_b128 v[20:23], v15 offset:1056
	v_mul_f32_e32 v16, v16, v31
	v_fmac_f32_e32 v16, v17, v30
	v_add_f32_e32 v17, v33, v34
	v_add_f32_e32 v16, v32, v16
	ds_read_b128 v[32:35], v15 offset:1072
	s_waitcnt lgkmcnt(1)
	v_mul_f32_e32 v38, v21, v29
	v_fma_f32 v38, v20, v28, -v38
	v_mul_f32_e32 v29, v20, v29
	v_fmac_f32_e32 v29, v21, v28
	v_add_f32_e32 v28, v36, v38
	v_mul_f32_e32 v36, v21, v31
	v_add_f32_e32 v29, v37, v29
	v_fma_f32 v43, v20, v30, -v36
	ds_read2_b64 v[36:39], v14 offset0:160 offset1:176
	v_mul_f32_e32 v20, v20, v31
	v_fmac_f32_e32 v20, v21, v30
	v_add_f32_e32 v20, v42, v20
	v_add_f32_e32 v21, v41, v43
	s_waitcnt lgkmcnt(0)
	v_mul_f32_e32 v30, v19, v37
	v_mul_f32_e32 v31, v18, v37
	v_fma_f32 v30, v18, v36, -v30
	v_fmac_f32_e32 v31, v19, v36
	v_add_f32_e32 v7, v7, v30
	v_add_f32_e32 v30, v40, v31
	v_mul_f32_e32 v31, v19, v39
	v_fma_f32 v31, v18, v38, -v31
	v_mul_f32_e32 v18, v18, v39
	v_fmac_f32_e32 v18, v19, v38
	v_add_f32_e32 v40, v16, v18
	v_mul_f32_e32 v16, v23, v37
	v_add_f32_e32 v31, v17, v31
	v_fma_f32 v16, v22, v36, -v16
	v_mul_f32_e32 v17, v22, v37
	v_fmac_f32_e32 v17, v23, v36
	v_add_f32_e32 v28, v28, v16
	v_mul_f32_e32 v16, v23, v39
	v_add_f32_e32 v29, v29, v17
	v_fma_f32 v36, v22, v38, -v16
	ds_read2_b64 v[16:19], v14 offset0:192 offset1:208
	v_mul_f32_e32 v22, v22, v39
	v_fmac_f32_e32 v22, v23, v38
	v_add_f32_e32 v20, v20, v22
	v_add_f32_e32 v21, v21, v36
	s_waitcnt lgkmcnt(0)
	v_mul_f32_e32 v22, v25, v17
	v_mul_f32_e32 v23, v24, v17
	v_fma_f32 v22, v24, v16, -v22
	v_fmac_f32_e32 v23, v25, v16
	v_add_f32_e32 v7, v7, v22
	v_add_f32_e32 v22, v30, v23
	v_mul_f32_e32 v23, v25, v19
	v_fma_f32 v23, v24, v18, -v23
	v_mul_f32_e32 v24, v24, v19
	v_fmac_f32_e32 v24, v25, v18
	v_mul_f32_e32 v25, v33, v17
	v_mul_f32_e32 v17, v32, v17
	v_fma_f32 v25, v32, v16, -v25
	v_fmac_f32_e32 v17, v33, v16
	v_add_f32_e32 v23, v31, v23
	v_add_f32_e32 v16, v28, v25
	;; [unrolled: 1-line block ×3, first 2 shown]
	ds_read2_b64 v[28:31], v14 offset0:224 offset1:240
	v_mul_f32_e32 v25, v33, v19
	v_mul_f32_e32 v19, v32, v19
	v_fmac_f32_e32 v19, v33, v18
	v_add_f32_e32 v19, v20, v19
	s_waitcnt lgkmcnt(0)
	v_mul_f32_e32 v20, v27, v29
	v_fma_f32 v25, v32, v18, -v25
	v_fma_f32 v20, v26, v28, -v20
	v_add_f32_e32 v18, v21, v25
	v_mul_f32_e32 v21, v26, v29
	v_add_f32_e32 v20, v7, v20
	v_mul_f32_e32 v7, v27, v31
	v_mul_f32_e32 v25, v26, v31
	v_add_f32_e32 v24, v40, v24
	v_fmac_f32_e32 v21, v27, v28
	v_fma_f32 v7, v26, v30, -v7
	v_fmac_f32_e32 v25, v27, v30
	v_add_f32_e32 v21, v22, v21
	v_add_f32_e32 v22, v23, v7
	;; [unrolled: 1-line block ×3, first 2 shown]
	v_mul_f32_e32 v7, v35, v29
	v_mul_f32_e32 v24, v34, v29
	v_fma_f32 v7, v34, v28, -v7
	v_fmac_f32_e32 v24, v35, v28
	s_addc_u32 s3, s3, 0
	v_addc_co_u32_e32 v3, vcc, 0, v3, vcc
	v_add_f32_e32 v16, v16, v7
	v_add_f32_e32 v17, v17, v24
	v_mul_f32_e32 v7, v35, v31
	v_mul_f32_e32 v24, v34, v31
	v_cmp_ge_i64_e32 vcc, s[2:3], v[8:9]
	v_fma_f32 v7, v34, v30, -v7
	v_fmac_f32_e32 v24, v35, v30
	v_add_co_u32_e64 v4, s[0:1], 64, v4
	v_add_f32_e32 v18, v18, v7
	v_add_f32_e32 v19, v19, v24
	v_addc_co_u32_e64 v5, s[0:1], 0, v5, s[0:1]
	s_barrier
	s_cbranch_vccnz .LBB1140_12
.LBB1140_3:                             ; =>This Inner Loop Header: Depth=1
	v_mov_b32_e32 v7, s3
	v_add_co_u32_e32 v24, vcc, s2, v10
	v_addc_co_u32_e32 v25, vcc, 0, v7, vcc
	v_cmp_le_i64_e32 vcc, s[12:13], v[24:25]
	s_or_b64 s[0:1], s[6:7], vcc
	s_and_saveexec_b64 s[16:17], s[0:1]
	s_xor_b64 s[0:1], exec, s[16:17]
; %bb.4:                                ;   in Loop: Header=BB1140_3 Depth=1
	v_mov_b32_e32 v7, v6
	ds_write_b64 v12, v[6:7]
; %bb.5:                                ;   in Loop: Header=BB1140_3 Depth=1
	s_andn2_saveexec_b64 s[0:1], s[0:1]
	s_cbranch_execz .LBB1140_7
; %bb.6:                                ;   in Loop: Header=BB1140_3 Depth=1
	global_load_dwordx2 v[24:25], v[2:3], off
	s_waitcnt vmcnt(0)
	ds_write_b64 v12, v[24:25]
.LBB1140_7:                             ;   in Loop: Header=BB1140_3 Depth=1
	s_or_b64 exec, exec, s[0:1]
	v_mov_b32_e32 v7, s3
	v_add_co_u32_e32 v24, vcc, s2, v11
	v_addc_co_u32_e32 v25, vcc, 0, v7, vcc
	v_cmp_le_i64_e32 vcc, s[12:13], v[24:25]
	s_or_b64 s[0:1], vcc, s[10:11]
	s_and_saveexec_b64 s[16:17], s[0:1]
	s_xor_b64 s[0:1], exec, s[16:17]
; %bb.8:                                ;   in Loop: Header=BB1140_3 Depth=1
	v_mov_b32_e32 v7, v6
	ds_write_b64 v13, v[6:7]
; %bb.9:                                ;   in Loop: Header=BB1140_3 Depth=1
	s_andn2_saveexec_b64 s[0:1], s[0:1]
	s_cbranch_execz .LBB1140_2
; %bb.10:                               ;   in Loop: Header=BB1140_3 Depth=1
	global_load_dwordx2 v[24:25], v[4:5], off
	s_waitcnt vmcnt(0)
	ds_write_b64 v13, v[24:25]
	s_branch .LBB1140_2
.LBB1140_11:
	v_mov_b32_e32 v20, 0
	v_mov_b32_e32 v21, 0
	;; [unrolled: 1-line block ×8, first 2 shown]
.LBB1140_12:
	s_load_dwordx2 s[0:1], s[4:5], 0x60
	s_load_dwordx4 s[16:19], s[4:5], 0x50
	v_add_u32_e32 v4, s29, v1
	v_ashrrev_i32_e32 v1, 31, v4
	v_add_u32_e32 v0, s28, v0
	s_waitcnt lgkmcnt(0)
	s_mul_i32 s1, s1, s8
	s_mul_hi_u32 s2, s0, s8
	s_add_i32 s1, s2, s1
	v_mul_lo_u32 v3, s18, v1
	v_mul_lo_u32 v5, s19, v4
	v_mad_u64_u32 v[1:2], s[2:3], s18, v4, 0
	s_mul_i32 s0, s0, s8
	s_lshl_b64 s[0:1], s[0:1], 3
	v_add3_u32 v2, v2, v3, v5
	s_add_u32 s6, s16, s0
	v_lshlrev_b64 v[1:2], 3, v[1:2]
	s_addc_u32 s7, s17, s1
	v_mov_b32_e32 v3, s7
	v_add_co_u32_e32 v5, vcc, s6, v1
	v_addc_co_u32_e32 v6, vcc, v3, v2, vcc
	v_cmp_le_i32_e64 s[0:1], v4, v0
	v_cmp_gt_i32_e32 vcc, s9, v0
	s_and_b64 s[0:1], s[0:1], vcc
	s_and_saveexec_b64 s[2:3], s[0:1]
	s_cbranch_execz .LBB1140_14
; %bb.13:
	v_mul_f32_e32 v1, s15, v21
	v_fma_f32 v2, v20, s14, -v1
	v_ashrrev_i32_e32 v1, 31, v0
	v_lshlrev_b64 v[7:8], 3, v[0:1]
	v_mul_f32_e32 v3, s14, v21
	v_add_co_u32_e64 v7, s[0:1], v5, v7
	v_fmac_f32_e32 v3, s15, v20
	v_addc_co_u32_e64 v8, s[0:1], v6, v8, s[0:1]
	global_store_dwordx2 v[7:8], v[2:3], off
.LBB1140_14:
	s_or_b64 exec, exec, s[2:3]
	v_add_u32_e32 v2, 16, v0
	v_cmp_le_i32_e64 s[2:3], v4, v2
	v_cmp_gt_i32_e64 s[0:1], s9, v2
	s_and_b64 s[2:3], s[2:3], s[0:1]
	s_and_saveexec_b64 s[4:5], s[2:3]
	s_cbranch_execz .LBB1140_16
; %bb.15:
	v_ashrrev_i32_e32 v3, 31, v2
	v_lshlrev_b64 v[9:10], 3, v[2:3]
	v_mul_f32_e32 v1, s15, v23
	v_mul_f32_e32 v8, s14, v23
	v_add_co_u32_e64 v5, s[2:3], v5, v9
	v_fma_f32 v7, v22, s14, -v1
	v_fmac_f32_e32 v8, s15, v22
	v_addc_co_u32_e64 v6, s[2:3], v6, v10, s[2:3]
	global_store_dwordx2 v[5:6], v[7:8], off
.LBB1140_16:
	s_or_b64 exec, exec, s[4:5]
	v_add_u32_e32 v3, 16, v4
	v_ashrrev_i32_e32 v1, 31, v3
	v_mul_lo_u32 v6, s19, v3
	v_mad_u64_u32 v[4:5], s[2:3], s18, v3, 0
	v_mul_lo_u32 v1, s18, v1
	v_add3_u32 v5, v5, v1, v6
	v_lshlrev_b64 v[4:5], 3, v[4:5]
	v_mov_b32_e32 v1, s7
	v_add_co_u32_e64 v4, s[2:3], s6, v4
	v_addc_co_u32_e64 v5, s[2:3], v1, v5, s[2:3]
	v_cmp_le_i32_e64 s[2:3], v3, v0
	s_and_b64 s[4:5], s[2:3], vcc
	s_and_saveexec_b64 s[2:3], s[4:5]
	s_cbranch_execz .LBB1140_18
; %bb.17:
	v_mul_f32_e32 v1, s15, v17
	v_fma_f32 v6, v16, s14, -v1
	v_ashrrev_i32_e32 v1, 31, v0
	v_lshlrev_b64 v[0:1], 3, v[0:1]
	v_mul_f32_e32 v7, s14, v17
	v_add_co_u32_e32 v0, vcc, v4, v0
	v_fmac_f32_e32 v7, s15, v16
	v_addc_co_u32_e32 v1, vcc, v5, v1, vcc
	global_store_dwordx2 v[0:1], v[6:7], off
.LBB1140_18:
	s_or_b64 exec, exec, s[2:3]
	v_cmp_le_i32_e32 vcc, v3, v2
	s_and_b64 s[0:1], vcc, s[0:1]
	s_and_saveexec_b64 s[2:3], s[0:1]
	s_cbranch_execz .LBB1140_20
; %bb.19:
	v_ashrrev_i32_e32 v3, 31, v2
	v_lshlrev_b64 v[2:3], 3, v[2:3]
	v_mul_f32_e32 v0, s15, v19
	v_mul_f32_e32 v1, s14, v19
	v_add_co_u32_e32 v2, vcc, v4, v2
	v_fma_f32 v0, v18, s14, -v0
	v_fmac_f32_e32 v1, s15, v18
	v_addc_co_u32_e32 v3, vcc, v5, v3, vcc
	global_store_dwordx2 v[2:3], v[0:1], off
.LBB1140_20:
	s_endpgm
	.section	.rodata,"a",@progbits
	.p2align	6, 0x0
	.amdhsa_kernel _ZL34rocblas_syrkx_herkx_general_kernelIl19rocblas_complex_numIfELi16ELi32ELi8ELb1ELb0ELc84ELc76EKS1_S1_EviT_T0_PT8_S3_lS6_S3_lS4_PT9_S3_li
		.amdhsa_group_segment_fixed_size 4096
		.amdhsa_private_segment_fixed_size 0
		.amdhsa_kernarg_size 108
		.amdhsa_user_sgpr_count 6
		.amdhsa_user_sgpr_private_segment_buffer 1
		.amdhsa_user_sgpr_dispatch_ptr 0
		.amdhsa_user_sgpr_queue_ptr 0
		.amdhsa_user_sgpr_kernarg_segment_ptr 1
		.amdhsa_user_sgpr_dispatch_id 0
		.amdhsa_user_sgpr_flat_scratch_init 0
		.amdhsa_user_sgpr_private_segment_size 0
		.amdhsa_uses_dynamic_stack 0
		.amdhsa_system_sgpr_private_segment_wavefront_offset 0
		.amdhsa_system_sgpr_workgroup_id_x 1
		.amdhsa_system_sgpr_workgroup_id_y 1
		.amdhsa_system_sgpr_workgroup_id_z 1
		.amdhsa_system_sgpr_workgroup_info 0
		.amdhsa_system_vgpr_workitem_id 1
		.amdhsa_next_free_vgpr 50
		.amdhsa_next_free_sgpr 30
		.amdhsa_reserve_vcc 1
		.amdhsa_reserve_flat_scratch 0
		.amdhsa_float_round_mode_32 0
		.amdhsa_float_round_mode_16_64 0
		.amdhsa_float_denorm_mode_32 3
		.amdhsa_float_denorm_mode_16_64 3
		.amdhsa_dx10_clamp 1
		.amdhsa_ieee_mode 1
		.amdhsa_fp16_overflow 0
		.amdhsa_exception_fp_ieee_invalid_op 0
		.amdhsa_exception_fp_denorm_src 0
		.amdhsa_exception_fp_ieee_div_zero 0
		.amdhsa_exception_fp_ieee_overflow 0
		.amdhsa_exception_fp_ieee_underflow 0
		.amdhsa_exception_fp_ieee_inexact 0
		.amdhsa_exception_int_div_zero 0
	.end_amdhsa_kernel
	.section	.text._ZL34rocblas_syrkx_herkx_general_kernelIl19rocblas_complex_numIfELi16ELi32ELi8ELb1ELb0ELc84ELc76EKS1_S1_EviT_T0_PT8_S3_lS6_S3_lS4_PT9_S3_li,"axG",@progbits,_ZL34rocblas_syrkx_herkx_general_kernelIl19rocblas_complex_numIfELi16ELi32ELi8ELb1ELb0ELc84ELc76EKS1_S1_EviT_T0_PT8_S3_lS6_S3_lS4_PT9_S3_li,comdat
.Lfunc_end1140:
	.size	_ZL34rocblas_syrkx_herkx_general_kernelIl19rocblas_complex_numIfELi16ELi32ELi8ELb1ELb0ELc84ELc76EKS1_S1_EviT_T0_PT8_S3_lS6_S3_lS4_PT9_S3_li, .Lfunc_end1140-_ZL34rocblas_syrkx_herkx_general_kernelIl19rocblas_complex_numIfELi16ELi32ELi8ELb1ELb0ELc84ELc76EKS1_S1_EviT_T0_PT8_S3_lS6_S3_lS4_PT9_S3_li
                                        ; -- End function
	.set _ZL34rocblas_syrkx_herkx_general_kernelIl19rocblas_complex_numIfELi16ELi32ELi8ELb1ELb0ELc84ELc76EKS1_S1_EviT_T0_PT8_S3_lS6_S3_lS4_PT9_S3_li.num_vgpr, 50
	.set _ZL34rocblas_syrkx_herkx_general_kernelIl19rocblas_complex_numIfELi16ELi32ELi8ELb1ELb0ELc84ELc76EKS1_S1_EviT_T0_PT8_S3_lS6_S3_lS4_PT9_S3_li.num_agpr, 0
	.set _ZL34rocblas_syrkx_herkx_general_kernelIl19rocblas_complex_numIfELi16ELi32ELi8ELb1ELb0ELc84ELc76EKS1_S1_EviT_T0_PT8_S3_lS6_S3_lS4_PT9_S3_li.numbered_sgpr, 30
	.set _ZL34rocblas_syrkx_herkx_general_kernelIl19rocblas_complex_numIfELi16ELi32ELi8ELb1ELb0ELc84ELc76EKS1_S1_EviT_T0_PT8_S3_lS6_S3_lS4_PT9_S3_li.num_named_barrier, 0
	.set _ZL34rocblas_syrkx_herkx_general_kernelIl19rocblas_complex_numIfELi16ELi32ELi8ELb1ELb0ELc84ELc76EKS1_S1_EviT_T0_PT8_S3_lS6_S3_lS4_PT9_S3_li.private_seg_size, 0
	.set _ZL34rocblas_syrkx_herkx_general_kernelIl19rocblas_complex_numIfELi16ELi32ELi8ELb1ELb0ELc84ELc76EKS1_S1_EviT_T0_PT8_S3_lS6_S3_lS4_PT9_S3_li.uses_vcc, 1
	.set _ZL34rocblas_syrkx_herkx_general_kernelIl19rocblas_complex_numIfELi16ELi32ELi8ELb1ELb0ELc84ELc76EKS1_S1_EviT_T0_PT8_S3_lS6_S3_lS4_PT9_S3_li.uses_flat_scratch, 0
	.set _ZL34rocblas_syrkx_herkx_general_kernelIl19rocblas_complex_numIfELi16ELi32ELi8ELb1ELb0ELc84ELc76EKS1_S1_EviT_T0_PT8_S3_lS6_S3_lS4_PT9_S3_li.has_dyn_sized_stack, 0
	.set _ZL34rocblas_syrkx_herkx_general_kernelIl19rocblas_complex_numIfELi16ELi32ELi8ELb1ELb0ELc84ELc76EKS1_S1_EviT_T0_PT8_S3_lS6_S3_lS4_PT9_S3_li.has_recursion, 0
	.set _ZL34rocblas_syrkx_herkx_general_kernelIl19rocblas_complex_numIfELi16ELi32ELi8ELb1ELb0ELc84ELc76EKS1_S1_EviT_T0_PT8_S3_lS6_S3_lS4_PT9_S3_li.has_indirect_call, 0
	.section	.AMDGPU.csdata,"",@progbits
; Kernel info:
; codeLenInByte = 2240
; TotalNumSgprs: 34
; NumVgprs: 50
; ScratchSize: 0
; MemoryBound: 1
; FloatMode: 240
; IeeeMode: 1
; LDSByteSize: 4096 bytes/workgroup (compile time only)
; SGPRBlocks: 4
; VGPRBlocks: 12
; NumSGPRsForWavesPerEU: 34
; NumVGPRsForWavesPerEU: 50
; Occupancy: 4
; WaveLimiterHint : 0
; COMPUTE_PGM_RSRC2:SCRATCH_EN: 0
; COMPUTE_PGM_RSRC2:USER_SGPR: 6
; COMPUTE_PGM_RSRC2:TRAP_HANDLER: 0
; COMPUTE_PGM_RSRC2:TGID_X_EN: 1
; COMPUTE_PGM_RSRC2:TGID_Y_EN: 1
; COMPUTE_PGM_RSRC2:TGID_Z_EN: 1
; COMPUTE_PGM_RSRC2:TIDIG_COMP_CNT: 1
	.section	.text._ZL34rocblas_syrkx_herkx_general_kernelIl19rocblas_complex_numIfELi16ELi32ELi8ELb1ELb0ELc67ELc76EKS1_S1_EviT_T0_PT8_S3_lS6_S3_lS4_PT9_S3_li,"axG",@progbits,_ZL34rocblas_syrkx_herkx_general_kernelIl19rocblas_complex_numIfELi16ELi32ELi8ELb1ELb0ELc67ELc76EKS1_S1_EviT_T0_PT8_S3_lS6_S3_lS4_PT9_S3_li,comdat
	.globl	_ZL34rocblas_syrkx_herkx_general_kernelIl19rocblas_complex_numIfELi16ELi32ELi8ELb1ELb0ELc67ELc76EKS1_S1_EviT_T0_PT8_S3_lS6_S3_lS4_PT9_S3_li ; -- Begin function _ZL34rocblas_syrkx_herkx_general_kernelIl19rocblas_complex_numIfELi16ELi32ELi8ELb1ELb0ELc67ELc76EKS1_S1_EviT_T0_PT8_S3_lS6_S3_lS4_PT9_S3_li
	.p2align	8
	.type	_ZL34rocblas_syrkx_herkx_general_kernelIl19rocblas_complex_numIfELi16ELi32ELi8ELb1ELb0ELc67ELc76EKS1_S1_EviT_T0_PT8_S3_lS6_S3_lS4_PT9_S3_li,@function
_ZL34rocblas_syrkx_herkx_general_kernelIl19rocblas_complex_numIfELi16ELi32ELi8ELb1ELb0ELc67ELc76EKS1_S1_EviT_T0_PT8_S3_lS6_S3_lS4_PT9_S3_li: ; @_ZL34rocblas_syrkx_herkx_general_kernelIl19rocblas_complex_numIfELi16ELi32ELi8ELb1ELb0ELc67ELc76EKS1_S1_EviT_T0_PT8_S3_lS6_S3_lS4_PT9_S3_li
; %bb.0:
	s_load_dwordx16 s[12:27], s[4:5], 0x8
	s_load_dword s9, s[4:5], 0x0
	s_lshl_b32 s28, s6, 5
	s_lshl_b32 s29, s7, 5
	s_waitcnt lgkmcnt(0)
	v_cmp_lt_i64_e64 s[0:1], s[12:13], 1
	s_and_b64 vcc, exec, s[0:1]
	s_cbranch_vccnz .LBB1141_9
; %bb.1:
	v_lshl_add_u32 v2, v1, 4, v0
	v_and_b32_e32 v5, 31, v2
	v_or_b32_e32 v6, s28, v5
	v_and_b32_e32 v13, 7, v0
	v_lshrrev_b32_e32 v3, 3, v2
	v_lshrrev_b32_e32 v12, 5, v2
	v_cmp_gt_i32_e64 s[0:1], s9, v6
	v_lshlrev_b32_e32 v2, 3, v5
	v_lshlrev_b32_e32 v6, 3, v13
	v_lshl_or_b32 v14, v12, 8, v2
	v_lshl_or_b32 v2, v3, 6, v6
	v_add_u32_e32 v15, 0x800, v2
	v_add_u32_e32 v2, s28, v5
	;; [unrolled: 1-line block ×3, first 2 shown]
	v_ashrrev_i32_e32 v3, 31, v2
	v_mul_lo_u32 v5, s18, v3
	v_mul_lo_u32 v8, s19, v2
	v_mad_u64_u32 v[2:3], s[2:3], s18, v2, 0
	s_mul_i32 s2, s21, s8
	s_mul_hi_u32 s3, s20, s8
	v_add3_u32 v3, v3, v5, v8
	v_lshlrev_b64 v[2:3], 3, v[2:3]
	s_add_i32 s3, s3, s2
	s_mul_i32 s2, s20, s8
	s_lshl_b64 s[2:3], s[2:3], 3
	v_mov_b32_e32 v5, s3
	v_add_co_u32_e64 v2, s[2:3], s2, v2
	v_addc_co_u32_e64 v3, s[2:3], v3, v5, s[2:3]
	v_lshlrev_b32_e32 v5, 3, v12
	v_add_co_u32_e64 v2, s[2:3], v2, v5
	v_addc_co_u32_e64 v3, s[2:3], 0, v3, s[2:3]
	v_ashrrev_i32_e32 v7, 31, v4
	v_mov_b32_e32 v5, s17
	v_add_co_u32_e64 v2, s[2:3], s16, v2
	v_cmp_gt_i32_e32 vcc, s9, v4
	v_addc_co_u32_e64 v3, s[2:3], v5, v3, s[2:3]
	v_mul_lo_u32 v7, s24, v7
	v_mul_lo_u32 v8, s25, v4
	v_mad_u64_u32 v[4:5], s[2:3], s24, v4, 0
	v_add_co_u32_e64 v2, s[2:3], 4, v2
	v_addc_co_u32_e64 v3, s[2:3], 0, v3, s[2:3]
	v_add3_u32 v5, v5, v7, v8
	s_mul_i32 s2, s27, s8
	s_mul_hi_u32 s3, s26, s8
	v_lshlrev_b64 v[4:5], 3, v[4:5]
	s_add_i32 s3, s3, s2
	s_mul_i32 s2, s26, s8
	s_lshl_b64 s[2:3], s[2:3], 3
	v_mov_b32_e32 v7, s3
	v_add_co_u32_e64 v4, s[2:3], s2, v4
	v_addc_co_u32_e64 v5, s[2:3], v5, v7, s[2:3]
	v_add_co_u32_e64 v4, s[2:3], v4, v6
	v_mov_b32_e32 v9, 0x800
	v_addc_co_u32_e64 v5, s[2:3], 0, v5, s[2:3]
	v_lshl_add_u32 v17, v1, 6, v9
	v_mov_b32_e32 v6, s23
	v_add_co_u32_e64 v4, s[2:3], s22, v4
	v_mov_b32_e32 v8, s12
	v_lshlrev_b32_e32 v16, 3, v0
	v_addc_co_u32_e64 v5, s[2:3], v6, v5, s[2:3]
	s_mov_b64 s[6:7], 0
	s_xor_b64 s[10:11], vcc, -1
	v_mov_b32_e32 v21, 0
	v_mov_b32_e32 v20, 0
	v_mov_b32_e32 v19, 0
	v_mov_b32_e32 v18, 0
	v_mov_b32_e32 v25, 0
	v_mov_b32_e32 v24, 0
	v_mov_b32_e32 v23, 0
	v_mov_b32_e32 v22, 0
	v_mov_b32_e32 v6, 0
	v_mov_b32_e32 v9, s13
	s_branch .LBB1141_3
.LBB1141_2:                             ;   in Loop: Header=BB1141_3 Depth=1
	s_or_b64 exec, exec, s[2:3]
	s_waitcnt lgkmcnt(0)
	s_barrier
	ds_read2_b64 v[26:29], v16 offset1:16
	ds_read_b128 v[30:33], v17
	ds_read_b128 v[34:37], v17 offset:16
	ds_read_b128 v[38:41], v17 offset:1024
	ds_read2_b64 v[42:45], v16 offset0:32 offset1:48
	s_add_u32 s6, s6, 8
	s_waitcnt lgkmcnt(3)
	v_mul_f32_e32 v7, v31, v27
	v_fma_f32 v7, v30, v26, -v7
	v_mul_f32_e32 v10, v30, v27
	v_add_f32_e32 v7, v22, v7
	v_mul_f32_e32 v11, v31, v29
	v_mul_f32_e32 v22, v30, v29
	v_fmac_f32_e32 v10, v31, v26
	v_fma_f32 v11, v30, v28, -v11
	v_fmac_f32_e32 v22, v31, v28
	v_add_f32_e32 v10, v23, v10
	v_add_f32_e32 v11, v24, v11
	;; [unrolled: 1-line block ×3, first 2 shown]
	ds_read_b128 v[22:25], v17 offset:1040
	s_waitcnt lgkmcnt(2)
	v_mul_f32_e32 v31, v39, v27
	v_fma_f32 v31, v38, v26, -v31
	v_mul_f32_e32 v27, v38, v27
	v_add_f32_e32 v46, v18, v31
	v_mul_f32_e32 v18, v39, v29
	v_fmac_f32_e32 v27, v39, v26
	v_fma_f32 v18, v38, v28, -v18
	v_add_f32_e32 v47, v19, v27
	v_mul_f32_e32 v19, v38, v29
	v_add_f32_e32 v38, v20, v18
	s_waitcnt lgkmcnt(1)
	v_mul_f32_e32 v18, v33, v43
	v_fma_f32 v31, v32, v42, -v18
	v_mul_f32_e32 v18, v33, v45
	v_mul_f32_e32 v48, v32, v43
	v_fma_f32 v49, v32, v44, -v18
	v_mul_f32_e32 v32, v32, v45
	v_fmac_f32_e32 v48, v33, v42
	v_fmac_f32_e32 v32, v33, v44
	v_add_f32_e32 v10, v10, v48
	v_add_f32_e32 v48, v30, v32
	v_mul_f32_e32 v30, v41, v43
	v_fmac_f32_e32 v19, v39, v28
	v_add_f32_e32 v11, v11, v49
	v_fma_f32 v49, v40, v42, -v30
	v_mul_f32_e32 v43, v40, v43
	v_mul_f32_e32 v30, v41, v45
	v_add_f32_e32 v39, v21, v19
	ds_read_b128 v[18:21], v17 offset:32
	ds_read_b128 v[26:29], v17 offset:48
	v_add_f32_e32 v7, v7, v31
	v_fmac_f32_e32 v43, v41, v42
	v_fma_f32 v42, v40, v44, -v30
	ds_read2_b64 v[30:33], v16 offset0:64 offset1:80
	v_add_f32_e32 v42, v38, v42
	v_mul_f32_e32 v40, v40, v45
	v_fmac_f32_e32 v40, v41, v44
	v_add_f32_e32 v44, v39, v40
	s_waitcnt lgkmcnt(0)
	v_mul_f32_e32 v38, v35, v31
	v_fma_f32 v38, v34, v30, -v38
	v_add_f32_e32 v7, v7, v38
	v_mul_f32_e32 v38, v35, v33
	v_mul_f32_e32 v39, v34, v31
	v_fma_f32 v38, v34, v32, -v38
	v_mul_f32_e32 v34, v34, v33
	v_fmac_f32_e32 v39, v35, v30
	v_fmac_f32_e32 v34, v35, v32
	v_mul_f32_e32 v35, v23, v31
	v_add_f32_e32 v41, v46, v49
	v_fma_f32 v35, v22, v30, -v35
	v_mul_f32_e32 v31, v22, v31
	v_add_f32_e32 v10, v10, v39
	v_add_f32_e32 v11, v11, v38
	v_fmac_f32_e32 v31, v23, v30
	v_add_f32_e32 v30, v41, v35
	ds_read2_b64 v[38:41], v16 offset0:96 offset1:112
	v_mul_f32_e32 v35, v23, v33
	v_fma_f32 v35, v22, v32, -v35
	v_mul_f32_e32 v22, v22, v33
	v_fmac_f32_e32 v22, v23, v32
	s_waitcnt lgkmcnt(0)
	v_mul_f32_e32 v32, v37, v39
	v_fma_f32 v32, v36, v38, -v32
	v_mul_f32_e32 v33, v36, v39
	v_fmac_f32_e32 v33, v37, v38
	v_add_f32_e32 v7, v7, v32
	v_mul_f32_e32 v32, v37, v41
	v_add_f32_e32 v10, v10, v33
	v_fma_f32 v32, v36, v40, -v32
	v_mul_f32_e32 v33, v36, v41
	v_add_f32_e32 v34, v48, v34
	v_fmac_f32_e32 v33, v37, v40
	v_add_f32_e32 v11, v11, v32
	v_mul_f32_e32 v32, v25, v39
	v_add_f32_e32 v43, v47, v43
	v_add_f32_e32 v34, v34, v33
	v_fma_f32 v32, v24, v38, -v32
	v_mul_f32_e32 v33, v24, v39
	v_add_f32_e32 v31, v43, v31
	v_fmac_f32_e32 v33, v25, v38
	v_add_f32_e32 v38, v30, v32
	v_mul_f32_e32 v30, v25, v41
	v_add_f32_e32 v23, v42, v35
	v_add_f32_e32 v39, v31, v33
	v_fma_f32 v35, v24, v40, -v30
	ds_read2_b64 v[30:33], v16 offset0:128 offset1:144
	v_mul_f32_e32 v24, v24, v41
	v_add_f32_e32 v22, v44, v22
	v_fmac_f32_e32 v24, v25, v40
	v_add_f32_e32 v43, v22, v24
	s_waitcnt lgkmcnt(0)
	v_mul_f32_e32 v22, v19, v31
	v_add_f32_e32 v42, v23, v35
	v_fma_f32 v22, v18, v30, -v22
	v_mul_f32_e32 v23, v18, v31
	v_fmac_f32_e32 v23, v19, v30
	v_add_f32_e32 v7, v7, v22
	v_mul_f32_e32 v22, v19, v33
	v_add_f32_e32 v10, v10, v23
	v_fma_f32 v35, v18, v32, -v22
	ds_read_b128 v[22:25], v17 offset:1056
	v_mul_f32_e32 v18, v18, v33
	v_fmac_f32_e32 v18, v19, v32
	v_add_f32_e32 v11, v11, v35
	v_add_f32_e32 v18, v34, v18
	ds_read_b128 v[34:37], v17 offset:1072
	s_waitcnt lgkmcnt(1)
	v_mul_f32_e32 v19, v23, v31
	v_mul_f32_e32 v31, v22, v31
	v_fma_f32 v19, v22, v30, -v19
	v_fmac_f32_e32 v31, v23, v30
	v_add_f32_e32 v19, v38, v19
	v_add_f32_e32 v30, v39, v31
	ds_read2_b64 v[38:41], v16 offset0:160 offset1:176
	v_mul_f32_e32 v31, v23, v33
	v_fma_f32 v31, v22, v32, -v31
	v_mul_f32_e32 v22, v22, v33
	v_fmac_f32_e32 v22, v23, v32
	v_add_f32_e32 v23, v42, v31
	s_waitcnt lgkmcnt(0)
	v_mul_f32_e32 v31, v21, v39
	v_fma_f32 v31, v20, v38, -v31
	v_add_f32_e32 v7, v7, v31
	v_mul_f32_e32 v31, v21, v41
	v_mul_f32_e32 v32, v20, v39
	v_fma_f32 v31, v20, v40, -v31
	v_mul_f32_e32 v20, v20, v41
	v_fmac_f32_e32 v20, v21, v40
	v_add_f32_e32 v11, v11, v31
	v_add_f32_e32 v31, v18, v20
	v_mul_f32_e32 v18, v25, v39
	v_fmac_f32_e32 v32, v21, v38
	v_fma_f32 v18, v24, v38, -v18
	v_mul_f32_e32 v20, v24, v39
	v_add_f32_e32 v10, v10, v32
	v_fmac_f32_e32 v20, v25, v38
	v_add_f32_e32 v32, v19, v18
	v_mul_f32_e32 v18, v25, v41
	v_add_f32_e32 v30, v30, v20
	v_fma_f32 v33, v24, v40, -v18
	ds_read2_b64 v[18:21], v16 offset0:192 offset1:208
	v_mul_f32_e32 v24, v24, v41
	v_add_f32_e32 v22, v43, v22
	v_fmac_f32_e32 v24, v25, v40
	v_add_f32_e32 v22, v22, v24
	s_waitcnt lgkmcnt(0)
	v_mul_f32_e32 v24, v27, v19
	v_fma_f32 v24, v26, v18, -v24
	v_mul_f32_e32 v25, v26, v19
	v_add_f32_e32 v7, v7, v24
	v_mul_f32_e32 v24, v27, v21
	v_fmac_f32_e32 v25, v27, v18
	v_fma_f32 v24, v26, v20, -v24
	v_add_f32_e32 v10, v10, v25
	v_mul_f32_e32 v25, v26, v21
	v_add_f32_e32 v11, v11, v24
	v_mul_f32_e32 v24, v35, v19
	v_mul_f32_e32 v19, v34, v19
	v_fmac_f32_e32 v25, v27, v20
	v_fma_f32 v24, v34, v18, -v24
	v_fmac_f32_e32 v19, v35, v18
	v_add_f32_e32 v23, v23, v33
	v_add_f32_e32 v25, v31, v25
	v_add_f32_e32 v18, v32, v24
	v_add_f32_e32 v19, v30, v19
	ds_read2_b64 v[30:33], v16 offset0:224 offset1:240
	v_mul_f32_e32 v24, v35, v21
	v_mul_f32_e32 v21, v34, v21
	v_fma_f32 v24, v34, v20, -v24
	v_fmac_f32_e32 v21, v35, v20
	v_add_f32_e32 v20, v23, v24
	v_add_f32_e32 v21, v22, v21
	s_waitcnt lgkmcnt(0)
	v_mul_f32_e32 v22, v29, v31
	v_mul_f32_e32 v23, v28, v31
	v_fma_f32 v22, v28, v30, -v22
	v_fmac_f32_e32 v23, v29, v30
	v_add_f32_e32 v22, v7, v22
	v_add_f32_e32 v23, v10, v23
	v_mul_f32_e32 v7, v29, v33
	v_mul_f32_e32 v10, v28, v33
	v_fma_f32 v7, v28, v32, -v7
	v_fmac_f32_e32 v10, v29, v32
	v_add_f32_e32 v24, v11, v7
	v_add_f32_e32 v25, v25, v10
	v_mul_f32_e32 v7, v37, v31
	v_mul_f32_e32 v10, v36, v31
	v_add_co_u32_e32 v2, vcc, 64, v2
	v_fma_f32 v7, v36, v30, -v7
	v_fmac_f32_e32 v10, v37, v30
	s_addc_u32 s7, s7, 0
	v_addc_co_u32_e32 v3, vcc, 0, v3, vcc
	v_add_f32_e32 v18, v18, v7
	v_add_f32_e32 v19, v19, v10
	v_mul_f32_e32 v7, v37, v33
	v_mul_f32_e32 v10, v36, v33
	v_cmp_ge_i64_e32 vcc, s[6:7], v[8:9]
	v_fma_f32 v7, v36, v32, -v7
	v_fmac_f32_e32 v10, v37, v32
	v_add_co_u32_e64 v4, s[2:3], 64, v4
	v_add_f32_e32 v20, v20, v7
	v_add_f32_e32 v21, v21, v10
	v_addc_co_u32_e64 v5, s[2:3], 0, v5, s[2:3]
	s_barrier
	s_cbranch_vccnz .LBB1141_10
.LBB1141_3:                             ; =>This Inner Loop Header: Depth=1
	v_mov_b32_e32 v7, s7
	v_add_co_u32_e32 v10, vcc, s6, v12
	v_addc_co_u32_e32 v11, vcc, 0, v7, vcc
	v_cmp_gt_i64_e32 vcc, s[12:13], v[10:11]
	v_mov_b32_e32 v10, 0
	s_and_b64 s[16:17], s[0:1], vcc
	v_mov_b32_e32 v11, 0
	s_and_saveexec_b64 s[2:3], s[16:17]
	s_cbranch_execz .LBB1141_5
; %bb.4:                                ;   in Loop: Header=BB1141_3 Depth=1
	global_load_dwordx2 v[10:11], v[2:3], off offset:-4
.LBB1141_5:                             ;   in Loop: Header=BB1141_3 Depth=1
	s_or_b64 exec, exec, s[2:3]
	v_mov_b32_e32 v7, s7
	v_add_co_u32_e32 v26, vcc, s6, v13
	v_addc_co_u32_e32 v27, vcc, 0, v7, vcc
	v_cmp_le_i64_e32 vcc, s[12:13], v[26:27]
	s_waitcnt vmcnt(0)
	ds_write_b64 v14, v[10:11]
	s_or_b64 s[2:3], vcc, s[10:11]
	s_and_saveexec_b64 s[16:17], s[2:3]
	s_xor_b64 s[2:3], exec, s[16:17]
; %bb.6:                                ;   in Loop: Header=BB1141_3 Depth=1
	v_mov_b32_e32 v7, v6
	ds_write_b64 v15, v[6:7]
; %bb.7:                                ;   in Loop: Header=BB1141_3 Depth=1
	s_andn2_saveexec_b64 s[2:3], s[2:3]
	s_cbranch_execz .LBB1141_2
; %bb.8:                                ;   in Loop: Header=BB1141_3 Depth=1
	global_load_dwordx2 v[10:11], v[4:5], off
	s_waitcnt vmcnt(0)
	ds_write_b64 v15, v[10:11]
	s_branch .LBB1141_2
.LBB1141_9:
	v_mov_b32_e32 v22, 0
	v_mov_b32_e32 v23, 0
	;; [unrolled: 1-line block ×8, first 2 shown]
.LBB1141_10:
	s_load_dwordx2 s[0:1], s[4:5], 0x60
	s_load_dwordx4 s[16:19], s[4:5], 0x50
	v_add_u32_e32 v4, s29, v1
	v_ashrrev_i32_e32 v1, 31, v4
	v_add_u32_e32 v0, s28, v0
	s_waitcnt lgkmcnt(0)
	s_mul_i32 s1, s1, s8
	s_mul_hi_u32 s2, s0, s8
	s_add_i32 s1, s2, s1
	v_mul_lo_u32 v3, s18, v1
	v_mul_lo_u32 v5, s19, v4
	v_mad_u64_u32 v[1:2], s[2:3], s18, v4, 0
	s_mul_i32 s0, s0, s8
	s_lshl_b64 s[0:1], s[0:1], 3
	v_add3_u32 v2, v2, v3, v5
	s_add_u32 s6, s16, s0
	v_lshlrev_b64 v[1:2], 3, v[1:2]
	s_addc_u32 s7, s17, s1
	v_mov_b32_e32 v3, s7
	v_add_co_u32_e32 v5, vcc, s6, v1
	v_addc_co_u32_e32 v6, vcc, v3, v2, vcc
	v_cmp_le_i32_e64 s[0:1], v4, v0
	v_cmp_gt_i32_e32 vcc, s9, v0
	s_and_b64 s[0:1], s[0:1], vcc
	s_and_saveexec_b64 s[2:3], s[0:1]
	s_cbranch_execz .LBB1141_12
; %bb.11:
	v_mul_f32_e32 v1, s15, v23
	v_fma_f32 v2, v22, s14, -v1
	v_ashrrev_i32_e32 v1, 31, v0
	v_lshlrev_b64 v[7:8], 3, v[0:1]
	v_mul_f32_e32 v3, s14, v23
	v_add_co_u32_e64 v7, s[0:1], v5, v7
	v_fmac_f32_e32 v3, s15, v22
	v_addc_co_u32_e64 v8, s[0:1], v6, v8, s[0:1]
	global_store_dwordx2 v[7:8], v[2:3], off
.LBB1141_12:
	s_or_b64 exec, exec, s[2:3]
	v_add_u32_e32 v2, 16, v0
	v_cmp_le_i32_e64 s[2:3], v4, v2
	v_cmp_gt_i32_e64 s[0:1], s9, v2
	s_and_b64 s[2:3], s[2:3], s[0:1]
	s_and_saveexec_b64 s[4:5], s[2:3]
	s_cbranch_execz .LBB1141_14
; %bb.13:
	v_ashrrev_i32_e32 v3, 31, v2
	v_lshlrev_b64 v[9:10], 3, v[2:3]
	v_mul_f32_e32 v1, s15, v25
	v_mul_f32_e32 v8, s14, v25
	v_add_co_u32_e64 v5, s[2:3], v5, v9
	v_fma_f32 v7, v24, s14, -v1
	v_fmac_f32_e32 v8, s15, v24
	v_addc_co_u32_e64 v6, s[2:3], v6, v10, s[2:3]
	global_store_dwordx2 v[5:6], v[7:8], off
.LBB1141_14:
	s_or_b64 exec, exec, s[4:5]
	v_add_u32_e32 v3, 16, v4
	v_ashrrev_i32_e32 v1, 31, v3
	v_mul_lo_u32 v6, s19, v3
	v_mad_u64_u32 v[4:5], s[2:3], s18, v3, 0
	v_mul_lo_u32 v1, s18, v1
	v_add3_u32 v5, v5, v1, v6
	v_lshlrev_b64 v[4:5], 3, v[4:5]
	v_mov_b32_e32 v1, s7
	v_add_co_u32_e64 v4, s[2:3], s6, v4
	v_addc_co_u32_e64 v5, s[2:3], v1, v5, s[2:3]
	v_cmp_le_i32_e64 s[2:3], v3, v0
	s_and_b64 s[4:5], s[2:3], vcc
	s_and_saveexec_b64 s[2:3], s[4:5]
	s_cbranch_execz .LBB1141_16
; %bb.15:
	v_mul_f32_e32 v1, s15, v19
	v_fma_f32 v6, v18, s14, -v1
	v_ashrrev_i32_e32 v1, 31, v0
	v_lshlrev_b64 v[0:1], 3, v[0:1]
	v_mul_f32_e32 v7, s14, v19
	v_add_co_u32_e32 v0, vcc, v4, v0
	v_fmac_f32_e32 v7, s15, v18
	v_addc_co_u32_e32 v1, vcc, v5, v1, vcc
	global_store_dwordx2 v[0:1], v[6:7], off
.LBB1141_16:
	s_or_b64 exec, exec, s[2:3]
	v_cmp_le_i32_e32 vcc, v3, v2
	s_and_b64 s[0:1], vcc, s[0:1]
	s_and_saveexec_b64 s[2:3], s[0:1]
	s_cbranch_execz .LBB1141_18
; %bb.17:
	v_ashrrev_i32_e32 v3, 31, v2
	v_lshlrev_b64 v[2:3], 3, v[2:3]
	v_mul_f32_e32 v0, s15, v21
	v_mul_f32_e32 v1, s14, v21
	v_add_co_u32_e32 v2, vcc, v4, v2
	v_fma_f32 v0, v20, s14, -v0
	v_fmac_f32_e32 v1, s15, v20
	v_addc_co_u32_e32 v3, vcc, v5, v3, vcc
	global_store_dwordx2 v[2:3], v[0:1], off
.LBB1141_18:
	s_endpgm
	.section	.rodata,"a",@progbits
	.p2align	6, 0x0
	.amdhsa_kernel _ZL34rocblas_syrkx_herkx_general_kernelIl19rocblas_complex_numIfELi16ELi32ELi8ELb1ELb0ELc67ELc76EKS1_S1_EviT_T0_PT8_S3_lS6_S3_lS4_PT9_S3_li
		.amdhsa_group_segment_fixed_size 4096
		.amdhsa_private_segment_fixed_size 0
		.amdhsa_kernarg_size 108
		.amdhsa_user_sgpr_count 6
		.amdhsa_user_sgpr_private_segment_buffer 1
		.amdhsa_user_sgpr_dispatch_ptr 0
		.amdhsa_user_sgpr_queue_ptr 0
		.amdhsa_user_sgpr_kernarg_segment_ptr 1
		.amdhsa_user_sgpr_dispatch_id 0
		.amdhsa_user_sgpr_flat_scratch_init 0
		.amdhsa_user_sgpr_private_segment_size 0
		.amdhsa_uses_dynamic_stack 0
		.amdhsa_system_sgpr_private_segment_wavefront_offset 0
		.amdhsa_system_sgpr_workgroup_id_x 1
		.amdhsa_system_sgpr_workgroup_id_y 1
		.amdhsa_system_sgpr_workgroup_id_z 1
		.amdhsa_system_sgpr_workgroup_info 0
		.amdhsa_system_vgpr_workitem_id 1
		.amdhsa_next_free_vgpr 50
		.amdhsa_next_free_sgpr 30
		.amdhsa_reserve_vcc 1
		.amdhsa_reserve_flat_scratch 0
		.amdhsa_float_round_mode_32 0
		.amdhsa_float_round_mode_16_64 0
		.amdhsa_float_denorm_mode_32 3
		.amdhsa_float_denorm_mode_16_64 3
		.amdhsa_dx10_clamp 1
		.amdhsa_ieee_mode 1
		.amdhsa_fp16_overflow 0
		.amdhsa_exception_fp_ieee_invalid_op 0
		.amdhsa_exception_fp_denorm_src 0
		.amdhsa_exception_fp_ieee_div_zero 0
		.amdhsa_exception_fp_ieee_overflow 0
		.amdhsa_exception_fp_ieee_underflow 0
		.amdhsa_exception_fp_ieee_inexact 0
		.amdhsa_exception_int_div_zero 0
	.end_amdhsa_kernel
	.section	.text._ZL34rocblas_syrkx_herkx_general_kernelIl19rocblas_complex_numIfELi16ELi32ELi8ELb1ELb0ELc67ELc76EKS1_S1_EviT_T0_PT8_S3_lS6_S3_lS4_PT9_S3_li,"axG",@progbits,_ZL34rocblas_syrkx_herkx_general_kernelIl19rocblas_complex_numIfELi16ELi32ELi8ELb1ELb0ELc67ELc76EKS1_S1_EviT_T0_PT8_S3_lS6_S3_lS4_PT9_S3_li,comdat
.Lfunc_end1141:
	.size	_ZL34rocblas_syrkx_herkx_general_kernelIl19rocblas_complex_numIfELi16ELi32ELi8ELb1ELb0ELc67ELc76EKS1_S1_EviT_T0_PT8_S3_lS6_S3_lS4_PT9_S3_li, .Lfunc_end1141-_ZL34rocblas_syrkx_herkx_general_kernelIl19rocblas_complex_numIfELi16ELi32ELi8ELb1ELb0ELc67ELc76EKS1_S1_EviT_T0_PT8_S3_lS6_S3_lS4_PT9_S3_li
                                        ; -- End function
	.set _ZL34rocblas_syrkx_herkx_general_kernelIl19rocblas_complex_numIfELi16ELi32ELi8ELb1ELb0ELc67ELc76EKS1_S1_EviT_T0_PT8_S3_lS6_S3_lS4_PT9_S3_li.num_vgpr, 50
	.set _ZL34rocblas_syrkx_herkx_general_kernelIl19rocblas_complex_numIfELi16ELi32ELi8ELb1ELb0ELc67ELc76EKS1_S1_EviT_T0_PT8_S3_lS6_S3_lS4_PT9_S3_li.num_agpr, 0
	.set _ZL34rocblas_syrkx_herkx_general_kernelIl19rocblas_complex_numIfELi16ELi32ELi8ELb1ELb0ELc67ELc76EKS1_S1_EviT_T0_PT8_S3_lS6_S3_lS4_PT9_S3_li.numbered_sgpr, 30
	.set _ZL34rocblas_syrkx_herkx_general_kernelIl19rocblas_complex_numIfELi16ELi32ELi8ELb1ELb0ELc67ELc76EKS1_S1_EviT_T0_PT8_S3_lS6_S3_lS4_PT9_S3_li.num_named_barrier, 0
	.set _ZL34rocblas_syrkx_herkx_general_kernelIl19rocblas_complex_numIfELi16ELi32ELi8ELb1ELb0ELc67ELc76EKS1_S1_EviT_T0_PT8_S3_lS6_S3_lS4_PT9_S3_li.private_seg_size, 0
	.set _ZL34rocblas_syrkx_herkx_general_kernelIl19rocblas_complex_numIfELi16ELi32ELi8ELb1ELb0ELc67ELc76EKS1_S1_EviT_T0_PT8_S3_lS6_S3_lS4_PT9_S3_li.uses_vcc, 1
	.set _ZL34rocblas_syrkx_herkx_general_kernelIl19rocblas_complex_numIfELi16ELi32ELi8ELb1ELb0ELc67ELc76EKS1_S1_EviT_T0_PT8_S3_lS6_S3_lS4_PT9_S3_li.uses_flat_scratch, 0
	.set _ZL34rocblas_syrkx_herkx_general_kernelIl19rocblas_complex_numIfELi16ELi32ELi8ELb1ELb0ELc67ELc76EKS1_S1_EviT_T0_PT8_S3_lS6_S3_lS4_PT9_S3_li.has_dyn_sized_stack, 0
	.set _ZL34rocblas_syrkx_herkx_general_kernelIl19rocblas_complex_numIfELi16ELi32ELi8ELb1ELb0ELc67ELc76EKS1_S1_EviT_T0_PT8_S3_lS6_S3_lS4_PT9_S3_li.has_recursion, 0
	.set _ZL34rocblas_syrkx_herkx_general_kernelIl19rocblas_complex_numIfELi16ELi32ELi8ELb1ELb0ELc67ELc76EKS1_S1_EviT_T0_PT8_S3_lS6_S3_lS4_PT9_S3_li.has_indirect_call, 0
	.section	.AMDGPU.csdata,"",@progbits
; Kernel info:
; codeLenInByte = 2240
; TotalNumSgprs: 34
; NumVgprs: 50
; ScratchSize: 0
; MemoryBound: 1
; FloatMode: 240
; IeeeMode: 1
; LDSByteSize: 4096 bytes/workgroup (compile time only)
; SGPRBlocks: 4
; VGPRBlocks: 12
; NumSGPRsForWavesPerEU: 34
; NumVGPRsForWavesPerEU: 50
; Occupancy: 4
; WaveLimiterHint : 0
; COMPUTE_PGM_RSRC2:SCRATCH_EN: 0
; COMPUTE_PGM_RSRC2:USER_SGPR: 6
; COMPUTE_PGM_RSRC2:TRAP_HANDLER: 0
; COMPUTE_PGM_RSRC2:TGID_X_EN: 1
; COMPUTE_PGM_RSRC2:TGID_Y_EN: 1
; COMPUTE_PGM_RSRC2:TGID_Z_EN: 1
; COMPUTE_PGM_RSRC2:TIDIG_COMP_CNT: 1
	.section	.text._ZL34rocblas_syrkx_herkx_general_kernelIl19rocblas_complex_numIfELi16ELi32ELi8ELb1ELb0ELc78ELc76EKS1_S1_EviT_T0_PT8_S3_lS6_S3_lS4_PT9_S3_li,"axG",@progbits,_ZL34rocblas_syrkx_herkx_general_kernelIl19rocblas_complex_numIfELi16ELi32ELi8ELb1ELb0ELc78ELc76EKS1_S1_EviT_T0_PT8_S3_lS6_S3_lS4_PT9_S3_li,comdat
	.globl	_ZL34rocblas_syrkx_herkx_general_kernelIl19rocblas_complex_numIfELi16ELi32ELi8ELb1ELb0ELc78ELc76EKS1_S1_EviT_T0_PT8_S3_lS6_S3_lS4_PT9_S3_li ; -- Begin function _ZL34rocblas_syrkx_herkx_general_kernelIl19rocblas_complex_numIfELi16ELi32ELi8ELb1ELb0ELc78ELc76EKS1_S1_EviT_T0_PT8_S3_lS6_S3_lS4_PT9_S3_li
	.p2align	8
	.type	_ZL34rocblas_syrkx_herkx_general_kernelIl19rocblas_complex_numIfELi16ELi32ELi8ELb1ELb0ELc78ELc76EKS1_S1_EviT_T0_PT8_S3_lS6_S3_lS4_PT9_S3_li,@function
_ZL34rocblas_syrkx_herkx_general_kernelIl19rocblas_complex_numIfELi16ELi32ELi8ELb1ELb0ELc78ELc76EKS1_S1_EviT_T0_PT8_S3_lS6_S3_lS4_PT9_S3_li: ; @_ZL34rocblas_syrkx_herkx_general_kernelIl19rocblas_complex_numIfELi16ELi32ELi8ELb1ELb0ELc78ELc76EKS1_S1_EviT_T0_PT8_S3_lS6_S3_lS4_PT9_S3_li
; %bb.0:
	s_load_dwordx16 s[12:27], s[4:5], 0x8
	s_load_dword s9, s[4:5], 0x0
	s_lshl_b32 s28, s6, 5
	s_lshl_b32 s29, s7, 5
	s_waitcnt lgkmcnt(0)
	v_cmp_lt_i64_e64 s[0:1], s[12:13], 1
	s_and_b64 vcc, exec, s[0:1]
	s_cbranch_vccnz .LBB1142_9
; %bb.1:
	v_lshl_add_u32 v2, v1, 4, v0
	v_and_b32_e32 v8, 31, v2
	v_lshrrev_b32_e32 v5, 3, v2
	v_or_b32_e32 v3, s28, v8
	v_lshrrev_b32_e32 v12, 5, v2
	v_lshlrev_b32_e32 v2, 3, v8
	v_cmp_gt_i32_e32 vcc, s9, v3
	v_lshl_or_b32 v14, v12, 8, v2
	v_mad_u64_u32 v[2:3], s[2:3], s18, v12, 0
	v_and_b32_e32 v13, 7, v0
	v_add_u32_e32 v4, s29, v5
	v_lshlrev_b32_e32 v6, 3, v13
	v_lshl_or_b32 v5, v5, 6, v6
	v_mad_u64_u32 v[6:7], s[2:3], s19, v12, v[3:4]
	v_mov_b32_e32 v3, 0x800
	v_lshl_add_u32 v17, v1, 6, v3
	v_mov_b32_e32 v3, v6
	s_mul_i32 s2, s21, s8
	s_mul_hi_u32 s3, s20, s8
	v_lshlrev_b64 v[2:3], 3, v[2:3]
	s_add_i32 s3, s3, s2
	s_mul_i32 s2, s20, s8
	s_lshl_b64 s[2:3], s[2:3], 3
	v_mov_b32_e32 v6, s3
	v_add_co_u32_e64 v7, s[2:3], s2, v2
	v_add_u32_e32 v2, s28, v8
	v_addc_co_u32_e64 v6, s[2:3], v3, v6, s[2:3]
	v_ashrrev_i32_e32 v3, 31, v2
	v_lshlrev_b64 v[2:3], 3, v[2:3]
	s_mul_i32 s10, s27, s8
	v_add_co_u32_e64 v2, s[2:3], v7, v2
	v_addc_co_u32_e64 v3, s[2:3], v6, v3, s[2:3]
	v_mov_b32_e32 v6, s17
	v_add_co_u32_e64 v2, s[2:3], s16, v2
	v_addc_co_u32_e64 v3, s[2:3], v6, v3, s[2:3]
	v_mad_u64_u32 v[6:7], s[2:3], s24, v13, 0
	s_mul_hi_u32 s11, s26, s8
	v_add_u32_e32 v15, 0x800, v5
	v_mad_u64_u32 v[7:8], s[2:3], s25, v13, v[7:8]
	s_add_i32 s3, s11, s10
	s_mul_i32 s2, s26, s8
	v_lshlrev_b64 v[6:7], 3, v[6:7]
	v_ashrrev_i32_e32 v5, 31, v4
	s_lshl_b64 s[2:3], s[2:3], 3
	v_cmp_gt_i32_e64 s[0:1], s9, v4
	v_mov_b32_e32 v8, s3
	v_add_co_u32_e64 v6, s[2:3], s2, v6
	v_lshlrev_b64 v[4:5], 3, v[4:5]
	v_addc_co_u32_e64 v7, s[2:3], v8, v7, s[2:3]
	v_add_co_u32_e64 v4, s[2:3], v6, v4
	v_addc_co_u32_e64 v5, s[2:3], v7, v5, s[2:3]
	v_mov_b32_e32 v6, s23
	v_add_co_u32_e64 v4, s[2:3], s22, v4
	v_addc_co_u32_e64 v5, s[2:3], v6, v5, s[2:3]
	s_lshl_b64 s[6:7], s[18:19], 6
	v_add_co_u32_e64 v4, s[2:3], 4, v4
	s_lshl_b64 s[10:11], s[24:25], 6
	v_mov_b32_e32 v8, s12
	v_lshlrev_b32_e32 v16, 3, v0
	v_addc_co_u32_e64 v5, s[2:3], 0, v5, s[2:3]
	s_mov_b64 s[16:17], 0
	s_xor_b64 s[18:19], vcc, -1
	v_mov_b32_e32 v18, s7
	v_mov_b32_e32 v19, s11
	;; [unrolled: 1-line block ×12, first 2 shown]
	s_branch .LBB1142_3
.LBB1142_2:                             ;   in Loop: Header=BB1142_3 Depth=1
	s_or_b64 exec, exec, s[2:3]
	s_waitcnt vmcnt(0)
	ds_write_b64 v15, v[10:11]
	s_waitcnt lgkmcnt(0)
	s_barrier
	ds_read2_b64 v[28:31], v16 offset1:16
	ds_read_b128 v[32:35], v17
	ds_read_b128 v[36:39], v17 offset:16
	ds_read_b128 v[40:43], v17 offset:1024
	s_add_u32 s16, s16, 8
	v_add_co_u32_e32 v2, vcc, s6, v2
	s_waitcnt lgkmcnt(2)
	v_mul_f32_e32 v7, v33, v29
	v_fma_f32 v7, v32, v28, -v7
	v_mul_f32_e32 v10, v32, v29
	v_add_f32_e32 v7, v26, v7
	v_mul_f32_e32 v11, v33, v31
	v_mul_f32_e32 v26, v32, v31
	v_fmac_f32_e32 v10, v33, v28
	v_fma_f32 v11, v32, v30, -v11
	v_fmac_f32_e32 v26, v33, v30
	v_add_f32_e32 v10, v27, v10
	v_add_f32_e32 v11, v24, v11
	;; [unrolled: 1-line block ×3, first 2 shown]
	ds_read_b128 v[24:27], v17 offset:1040
	s_waitcnt lgkmcnt(1)
	v_mul_f32_e32 v33, v41, v29
	v_mul_f32_e32 v44, v40, v29
	v_fma_f32 v33, v40, v28, -v33
	v_fmac_f32_e32 v44, v41, v28
	v_mul_f32_e32 v28, v41, v31
	v_fma_f32 v45, v40, v30, -v28
	v_mul_f32_e32 v40, v40, v31
	v_fmac_f32_e32 v40, v41, v30
	ds_read2_b64 v[28:31], v16 offset0:32 offset1:48
	v_add_f32_e32 v20, v20, v33
	v_add_f32_e32 v33, v22, v45
	v_add_f32_e32 v40, v23, v40
	v_add_f32_e32 v21, v21, v44
	s_waitcnt lgkmcnt(0)
	v_mul_f32_e32 v22, v35, v29
	v_fma_f32 v22, v34, v28, -v22
	v_mul_f32_e32 v23, v34, v29
	v_fmac_f32_e32 v23, v35, v28
	v_add_f32_e32 v7, v7, v22
	v_mul_f32_e32 v22, v35, v31
	v_add_f32_e32 v10, v10, v23
	v_fma_f32 v22, v34, v30, -v22
	v_mul_f32_e32 v23, v34, v31
	v_fmac_f32_e32 v23, v35, v30
	v_add_f32_e32 v11, v11, v22
	v_mul_f32_e32 v22, v43, v29
	v_add_f32_e32 v32, v32, v23
	;; [unrolled: 6-line block ×3, first 2 shown]
	v_fma_f32 v34, v42, v30, -v20
	ds_read2_b64 v[20:23], v16 offset0:64 offset1:80
	v_mul_f32_e32 v31, v42, v31
	v_fmac_f32_e32 v31, v43, v30
	v_add_f32_e32 v33, v33, v34
	v_add_f32_e32 v34, v40, v31
	s_waitcnt lgkmcnt(0)
	v_mul_f32_e32 v30, v37, v21
	v_fma_f32 v30, v36, v20, -v30
	v_mul_f32_e32 v31, v36, v21
	v_add_f32_e32 v7, v7, v30
	v_mul_f32_e32 v30, v37, v23
	v_fmac_f32_e32 v31, v37, v20
	v_fma_f32 v30, v36, v22, -v30
	v_add_f32_e32 v10, v10, v31
	v_mul_f32_e32 v31, v36, v23
	v_add_f32_e32 v11, v11, v30
	v_mul_f32_e32 v30, v25, v21
	v_mul_f32_e32 v21, v24, v21
	v_fmac_f32_e32 v31, v37, v22
	v_fma_f32 v30, v24, v20, -v30
	v_fmac_f32_e32 v21, v25, v20
	v_add_f32_e32 v32, v32, v31
	v_add_f32_e32 v35, v28, v30
	;; [unrolled: 1-line block ×3, first 2 shown]
	ds_read2_b64 v[28:31], v16 offset0:96 offset1:112
	v_mul_f32_e32 v20, v25, v23
	v_fma_f32 v37, v24, v22, -v20
	v_mul_f32_e32 v24, v24, v23
	v_fmac_f32_e32 v24, v25, v22
	v_add_f32_e32 v24, v34, v24
	s_waitcnt lgkmcnt(0)
	v_mul_f32_e32 v34, v38, v29
	v_fmac_f32_e32 v34, v39, v28
	v_add_f32_e32 v25, v33, v37
	v_mul_f32_e32 v33, v39, v29
	v_add_f32_e32 v10, v10, v34
	v_mul_f32_e32 v34, v38, v31
	v_fma_f32 v33, v38, v28, -v33
	v_fmac_f32_e32 v34, v39, v30
	v_add_f32_e32 v7, v7, v33
	v_mul_f32_e32 v33, v39, v31
	v_add_f32_e32 v40, v32, v34
	v_mul_f32_e32 v32, v27, v29
	v_fma_f32 v33, v38, v30, -v33
	v_fma_f32 v32, v26, v28, -v32
	ds_read_b128 v[20:23], v17 offset:32
	v_add_f32_e32 v11, v11, v33
	v_add_f32_e32 v44, v35, v32
	ds_read2_b64 v[32:35], v16 offset0:128 offset1:144
	v_mul_f32_e32 v29, v26, v29
	v_fmac_f32_e32 v29, v27, v28
	v_mul_f32_e32 v28, v27, v31
	v_fma_f32 v28, v26, v30, -v28
	v_mul_f32_e32 v26, v26, v31
	v_fmac_f32_e32 v26, v27, v30
	v_add_f32_e32 v45, v36, v29
	v_add_f32_e32 v25, v25, v28
	;; [unrolled: 1-line block ×3, first 2 shown]
	ds_read_b128 v[26:29], v17 offset:48
	s_waitcnt lgkmcnt(1)
	v_mul_f32_e32 v30, v21, v33
	ds_read_b128 v[36:39], v17 offset:1056
	v_fma_f32 v30, v20, v32, -v30
	v_add_f32_e32 v7, v7, v30
	v_mul_f32_e32 v30, v21, v35
	v_mul_f32_e32 v31, v20, v33
	v_fma_f32 v30, v20, v34, -v30
	v_mul_f32_e32 v20, v20, v35
	v_fmac_f32_e32 v20, v21, v34
	v_fmac_f32_e32 v31, v21, v32
	v_add_f32_e32 v11, v11, v30
	v_add_f32_e32 v20, v40, v20
	ds_read_b128 v[40:43], v17 offset:1072
	s_waitcnt lgkmcnt(1)
	v_mul_f32_e32 v21, v37, v33
	v_mul_f32_e32 v46, v36, v33
	;; [unrolled: 1-line block ×3, first 2 shown]
	v_add_f32_e32 v10, v10, v31
	v_fma_f32 v21, v36, v32, -v21
	v_fmac_f32_e32 v46, v37, v32
	v_fma_f32 v47, v36, v34, -v30
	ds_read2_b64 v[30:33], v16 offset0:160 offset1:176
	v_mul_f32_e32 v35, v36, v35
	v_fmac_f32_e32 v35, v37, v34
	v_add_f32_e32 v24, v24, v35
	v_add_f32_e32 v21, v44, v21
	s_waitcnt lgkmcnt(0)
	v_mul_f32_e32 v35, v23, v31
	v_fma_f32 v35, v22, v30, -v35
	v_add_f32_e32 v7, v7, v35
	v_mul_f32_e32 v35, v23, v33
	v_mul_f32_e32 v36, v22, v31
	v_fma_f32 v35, v22, v32, -v35
	v_mul_f32_e32 v22, v22, v33
	v_fmac_f32_e32 v22, v23, v32
	v_add_f32_e32 v11, v11, v35
	v_add_f32_e32 v35, v20, v22
	v_mul_f32_e32 v20, v39, v31
	v_fma_f32 v20, v38, v30, -v20
	v_mul_f32_e32 v22, v38, v31
	v_add_f32_e32 v34, v45, v46
	v_fmac_f32_e32 v36, v23, v30
	v_fmac_f32_e32 v22, v39, v30
	v_add_f32_e32 v30, v21, v20
	v_mul_f32_e32 v20, v39, v33
	v_add_f32_e32 v31, v34, v22
	v_fma_f32 v34, v38, v32, -v20
	ds_read2_b64 v[20:23], v16 offset0:192 offset1:208
	v_mul_f32_e32 v33, v38, v33
	v_fmac_f32_e32 v33, v39, v32
	v_add_f32_e32 v24, v24, v33
	v_add_f32_e32 v25, v25, v47
	s_waitcnt lgkmcnt(0)
	v_mul_f32_e32 v32, v27, v21
	v_fma_f32 v32, v26, v20, -v32
	v_add_f32_e32 v7, v7, v32
	v_mul_f32_e32 v32, v27, v23
	v_mul_f32_e32 v33, v26, v21
	v_fma_f32 v32, v26, v22, -v32
	v_mul_f32_e32 v26, v26, v23
	v_fmac_f32_e32 v26, v27, v22
	v_add_f32_e32 v25, v25, v34
	v_add_f32_e32 v34, v35, v26
	v_mul_f32_e32 v26, v41, v21
	v_mul_f32_e32 v21, v40, v21
	v_add_f32_e32 v10, v10, v36
	v_fmac_f32_e32 v33, v27, v20
	v_fma_f32 v26, v40, v20, -v26
	v_fmac_f32_e32 v21, v41, v20
	v_add_f32_e32 v10, v10, v33
	v_add_f32_e32 v11, v11, v32
	;; [unrolled: 1-line block ×4, first 2 shown]
	ds_read2_b64 v[30:33], v16 offset0:224 offset1:240
	v_mul_f32_e32 v26, v41, v23
	v_mul_f32_e32 v23, v40, v23
	v_fma_f32 v26, v40, v22, -v26
	v_fmac_f32_e32 v23, v41, v22
	v_add_f32_e32 v22, v25, v26
	v_add_f32_e32 v23, v24, v23
	s_waitcnt lgkmcnt(0)
	v_mul_f32_e32 v24, v29, v31
	v_mul_f32_e32 v25, v28, v31
	v_fma_f32 v24, v28, v30, -v24
	v_fmac_f32_e32 v25, v29, v30
	v_add_f32_e32 v26, v7, v24
	v_add_f32_e32 v27, v10, v25
	v_mul_f32_e32 v7, v29, v33
	v_mul_f32_e32 v10, v28, v33
	v_fma_f32 v7, v28, v32, -v7
	v_fmac_f32_e32 v10, v29, v32
	v_add_f32_e32 v24, v11, v7
	v_add_f32_e32 v25, v34, v10
	v_mul_f32_e32 v7, v43, v31
	v_mul_f32_e32 v10, v42, v31
	v_fma_f32 v7, v42, v30, -v7
	v_fmac_f32_e32 v10, v43, v30
	s_addc_u32 s17, s17, 0
	v_addc_co_u32_e32 v3, vcc, v3, v18, vcc
	v_add_f32_e32 v20, v20, v7
	v_add_f32_e32 v21, v21, v10
	v_mul_f32_e32 v7, v43, v33
	v_mul_f32_e32 v10, v42, v33
	v_cmp_ge_i64_e32 vcc, s[16:17], v[8:9]
	v_fma_f32 v7, v42, v32, -v7
	v_fmac_f32_e32 v10, v43, v32
	v_add_co_u32_e64 v4, s[2:3], s10, v4
	v_add_f32_e32 v22, v22, v7
	v_add_f32_e32 v23, v23, v10
	v_addc_co_u32_e64 v5, s[2:3], v5, v19, s[2:3]
	s_barrier
	s_cbranch_vccnz .LBB1142_10
.LBB1142_3:                             ; =>This Inner Loop Header: Depth=1
	v_mov_b32_e32 v7, s17
	v_add_co_u32_e32 v10, vcc, s16, v12
	v_addc_co_u32_e32 v11, vcc, 0, v7, vcc
	v_cmp_le_i64_e32 vcc, s[12:13], v[10:11]
	s_or_b64 s[2:3], s[18:19], vcc
	s_and_saveexec_b64 s[20:21], s[2:3]
	s_xor_b64 s[2:3], exec, s[20:21]
; %bb.4:                                ;   in Loop: Header=BB1142_3 Depth=1
	v_mov_b32_e32 v7, v6
	ds_write_b64 v14, v[6:7]
; %bb.5:                                ;   in Loop: Header=BB1142_3 Depth=1
	s_andn2_saveexec_b64 s[2:3], s[2:3]
	s_cbranch_execz .LBB1142_7
; %bb.6:                                ;   in Loop: Header=BB1142_3 Depth=1
	global_load_dwordx2 v[10:11], v[2:3], off
	s_waitcnt vmcnt(0)
	ds_write_b64 v14, v[10:11]
.LBB1142_7:                             ;   in Loop: Header=BB1142_3 Depth=1
	s_or_b64 exec, exec, s[2:3]
	v_mov_b32_e32 v7, s17
	v_add_co_u32_e32 v10, vcc, s16, v13
	v_addc_co_u32_e32 v11, vcc, 0, v7, vcc
	v_cmp_gt_i64_e32 vcc, s[12:13], v[10:11]
	v_mov_b32_e32 v10, 0
	s_and_b64 s[20:21], vcc, s[0:1]
	v_mov_b32_e32 v11, 0
	s_and_saveexec_b64 s[2:3], s[20:21]
	s_cbranch_execz .LBB1142_2
; %bb.8:                                ;   in Loop: Header=BB1142_3 Depth=1
	global_load_dwordx2 v[10:11], v[4:5], off offset:-4
	s_branch .LBB1142_2
.LBB1142_9:
	v_mov_b32_e32 v26, 0
	v_mov_b32_e32 v27, 0
	;; [unrolled: 1-line block ×8, first 2 shown]
.LBB1142_10:
	s_load_dwordx2 s[0:1], s[4:5], 0x60
	s_load_dwordx4 s[16:19], s[4:5], 0x50
	v_add_u32_e32 v4, s29, v1
	v_ashrrev_i32_e32 v1, 31, v4
	v_add_u32_e32 v0, s28, v0
	s_waitcnt lgkmcnt(0)
	s_mul_i32 s1, s1, s8
	s_mul_hi_u32 s2, s0, s8
	s_add_i32 s1, s2, s1
	v_mul_lo_u32 v3, s18, v1
	v_mul_lo_u32 v5, s19, v4
	v_mad_u64_u32 v[1:2], s[2:3], s18, v4, 0
	s_mul_i32 s0, s0, s8
	s_lshl_b64 s[0:1], s[0:1], 3
	v_add3_u32 v2, v2, v3, v5
	s_add_u32 s6, s16, s0
	v_lshlrev_b64 v[1:2], 3, v[1:2]
	s_addc_u32 s7, s17, s1
	v_mov_b32_e32 v3, s7
	v_add_co_u32_e32 v5, vcc, s6, v1
	v_addc_co_u32_e32 v6, vcc, v3, v2, vcc
	v_cmp_le_i32_e64 s[0:1], v4, v0
	v_cmp_gt_i32_e32 vcc, s9, v0
	s_and_b64 s[0:1], s[0:1], vcc
	s_and_saveexec_b64 s[2:3], s[0:1]
	s_cbranch_execz .LBB1142_12
; %bb.11:
	v_mul_f32_e32 v1, s15, v27
	v_fma_f32 v2, v26, s14, -v1
	v_ashrrev_i32_e32 v1, 31, v0
	v_lshlrev_b64 v[7:8], 3, v[0:1]
	v_mul_f32_e32 v3, s14, v27
	v_add_co_u32_e64 v7, s[0:1], v5, v7
	v_fmac_f32_e32 v3, s15, v26
	v_addc_co_u32_e64 v8, s[0:1], v6, v8, s[0:1]
	global_store_dwordx2 v[7:8], v[2:3], off
.LBB1142_12:
	s_or_b64 exec, exec, s[2:3]
	v_add_u32_e32 v2, 16, v0
	v_cmp_le_i32_e64 s[2:3], v4, v2
	v_cmp_gt_i32_e64 s[0:1], s9, v2
	s_and_b64 s[2:3], s[2:3], s[0:1]
	s_and_saveexec_b64 s[4:5], s[2:3]
	s_cbranch_execz .LBB1142_14
; %bb.13:
	v_ashrrev_i32_e32 v3, 31, v2
	v_lshlrev_b64 v[9:10], 3, v[2:3]
	v_mul_f32_e32 v1, s15, v25
	v_mul_f32_e32 v8, s14, v25
	v_add_co_u32_e64 v5, s[2:3], v5, v9
	v_fma_f32 v7, v24, s14, -v1
	v_fmac_f32_e32 v8, s15, v24
	v_addc_co_u32_e64 v6, s[2:3], v6, v10, s[2:3]
	global_store_dwordx2 v[5:6], v[7:8], off
.LBB1142_14:
	s_or_b64 exec, exec, s[4:5]
	v_add_u32_e32 v3, 16, v4
	v_ashrrev_i32_e32 v1, 31, v3
	v_mul_lo_u32 v6, s19, v3
	v_mad_u64_u32 v[4:5], s[2:3], s18, v3, 0
	v_mul_lo_u32 v1, s18, v1
	v_add3_u32 v5, v5, v1, v6
	v_lshlrev_b64 v[4:5], 3, v[4:5]
	v_mov_b32_e32 v1, s7
	v_add_co_u32_e64 v4, s[2:3], s6, v4
	v_addc_co_u32_e64 v5, s[2:3], v1, v5, s[2:3]
	v_cmp_le_i32_e64 s[2:3], v3, v0
	s_and_b64 s[4:5], s[2:3], vcc
	s_and_saveexec_b64 s[2:3], s[4:5]
	s_cbranch_execz .LBB1142_16
; %bb.15:
	v_mul_f32_e32 v1, s15, v21
	v_fma_f32 v6, v20, s14, -v1
	v_ashrrev_i32_e32 v1, 31, v0
	v_lshlrev_b64 v[0:1], 3, v[0:1]
	v_mul_f32_e32 v7, s14, v21
	v_add_co_u32_e32 v0, vcc, v4, v0
	v_fmac_f32_e32 v7, s15, v20
	v_addc_co_u32_e32 v1, vcc, v5, v1, vcc
	global_store_dwordx2 v[0:1], v[6:7], off
.LBB1142_16:
	s_or_b64 exec, exec, s[2:3]
	v_cmp_le_i32_e32 vcc, v3, v2
	s_and_b64 s[0:1], vcc, s[0:1]
	s_and_saveexec_b64 s[2:3], s[0:1]
	s_cbranch_execz .LBB1142_18
; %bb.17:
	v_ashrrev_i32_e32 v3, 31, v2
	v_lshlrev_b64 v[2:3], 3, v[2:3]
	v_mul_f32_e32 v0, s15, v23
	v_mul_f32_e32 v1, s14, v23
	v_add_co_u32_e32 v2, vcc, v4, v2
	v_fma_f32 v0, v22, s14, -v0
	v_fmac_f32_e32 v1, s15, v22
	v_addc_co_u32_e32 v3, vcc, v5, v3, vcc
	global_store_dwordx2 v[2:3], v[0:1], off
.LBB1142_18:
	s_endpgm
	.section	.rodata,"a",@progbits
	.p2align	6, 0x0
	.amdhsa_kernel _ZL34rocblas_syrkx_herkx_general_kernelIl19rocblas_complex_numIfELi16ELi32ELi8ELb1ELb0ELc78ELc76EKS1_S1_EviT_T0_PT8_S3_lS6_S3_lS4_PT9_S3_li
		.amdhsa_group_segment_fixed_size 4096
		.amdhsa_private_segment_fixed_size 0
		.amdhsa_kernarg_size 108
		.amdhsa_user_sgpr_count 6
		.amdhsa_user_sgpr_private_segment_buffer 1
		.amdhsa_user_sgpr_dispatch_ptr 0
		.amdhsa_user_sgpr_queue_ptr 0
		.amdhsa_user_sgpr_kernarg_segment_ptr 1
		.amdhsa_user_sgpr_dispatch_id 0
		.amdhsa_user_sgpr_flat_scratch_init 0
		.amdhsa_user_sgpr_private_segment_size 0
		.amdhsa_uses_dynamic_stack 0
		.amdhsa_system_sgpr_private_segment_wavefront_offset 0
		.amdhsa_system_sgpr_workgroup_id_x 1
		.amdhsa_system_sgpr_workgroup_id_y 1
		.amdhsa_system_sgpr_workgroup_id_z 1
		.amdhsa_system_sgpr_workgroup_info 0
		.amdhsa_system_vgpr_workitem_id 1
		.amdhsa_next_free_vgpr 48
		.amdhsa_next_free_sgpr 30
		.amdhsa_reserve_vcc 1
		.amdhsa_reserve_flat_scratch 0
		.amdhsa_float_round_mode_32 0
		.amdhsa_float_round_mode_16_64 0
		.amdhsa_float_denorm_mode_32 3
		.amdhsa_float_denorm_mode_16_64 3
		.amdhsa_dx10_clamp 1
		.amdhsa_ieee_mode 1
		.amdhsa_fp16_overflow 0
		.amdhsa_exception_fp_ieee_invalid_op 0
		.amdhsa_exception_fp_denorm_src 0
		.amdhsa_exception_fp_ieee_div_zero 0
		.amdhsa_exception_fp_ieee_overflow 0
		.amdhsa_exception_fp_ieee_underflow 0
		.amdhsa_exception_fp_ieee_inexact 0
		.amdhsa_exception_int_div_zero 0
	.end_amdhsa_kernel
	.section	.text._ZL34rocblas_syrkx_herkx_general_kernelIl19rocblas_complex_numIfELi16ELi32ELi8ELb1ELb0ELc78ELc76EKS1_S1_EviT_T0_PT8_S3_lS6_S3_lS4_PT9_S3_li,"axG",@progbits,_ZL34rocblas_syrkx_herkx_general_kernelIl19rocblas_complex_numIfELi16ELi32ELi8ELb1ELb0ELc78ELc76EKS1_S1_EviT_T0_PT8_S3_lS6_S3_lS4_PT9_S3_li,comdat
.Lfunc_end1142:
	.size	_ZL34rocblas_syrkx_herkx_general_kernelIl19rocblas_complex_numIfELi16ELi32ELi8ELb1ELb0ELc78ELc76EKS1_S1_EviT_T0_PT8_S3_lS6_S3_lS4_PT9_S3_li, .Lfunc_end1142-_ZL34rocblas_syrkx_herkx_general_kernelIl19rocblas_complex_numIfELi16ELi32ELi8ELb1ELb0ELc78ELc76EKS1_S1_EviT_T0_PT8_S3_lS6_S3_lS4_PT9_S3_li
                                        ; -- End function
	.set _ZL34rocblas_syrkx_herkx_general_kernelIl19rocblas_complex_numIfELi16ELi32ELi8ELb1ELb0ELc78ELc76EKS1_S1_EviT_T0_PT8_S3_lS6_S3_lS4_PT9_S3_li.num_vgpr, 48
	.set _ZL34rocblas_syrkx_herkx_general_kernelIl19rocblas_complex_numIfELi16ELi32ELi8ELb1ELb0ELc78ELc76EKS1_S1_EviT_T0_PT8_S3_lS6_S3_lS4_PT9_S3_li.num_agpr, 0
	.set _ZL34rocblas_syrkx_herkx_general_kernelIl19rocblas_complex_numIfELi16ELi32ELi8ELb1ELb0ELc78ELc76EKS1_S1_EviT_T0_PT8_S3_lS6_S3_lS4_PT9_S3_li.numbered_sgpr, 30
	.set _ZL34rocblas_syrkx_herkx_general_kernelIl19rocblas_complex_numIfELi16ELi32ELi8ELb1ELb0ELc78ELc76EKS1_S1_EviT_T0_PT8_S3_lS6_S3_lS4_PT9_S3_li.num_named_barrier, 0
	.set _ZL34rocblas_syrkx_herkx_general_kernelIl19rocblas_complex_numIfELi16ELi32ELi8ELb1ELb0ELc78ELc76EKS1_S1_EviT_T0_PT8_S3_lS6_S3_lS4_PT9_S3_li.private_seg_size, 0
	.set _ZL34rocblas_syrkx_herkx_general_kernelIl19rocblas_complex_numIfELi16ELi32ELi8ELb1ELb0ELc78ELc76EKS1_S1_EviT_T0_PT8_S3_lS6_S3_lS4_PT9_S3_li.uses_vcc, 1
	.set _ZL34rocblas_syrkx_herkx_general_kernelIl19rocblas_complex_numIfELi16ELi32ELi8ELb1ELb0ELc78ELc76EKS1_S1_EviT_T0_PT8_S3_lS6_S3_lS4_PT9_S3_li.uses_flat_scratch, 0
	.set _ZL34rocblas_syrkx_herkx_general_kernelIl19rocblas_complex_numIfELi16ELi32ELi8ELb1ELb0ELc78ELc76EKS1_S1_EviT_T0_PT8_S3_lS6_S3_lS4_PT9_S3_li.has_dyn_sized_stack, 0
	.set _ZL34rocblas_syrkx_herkx_general_kernelIl19rocblas_complex_numIfELi16ELi32ELi8ELb1ELb0ELc78ELc76EKS1_S1_EviT_T0_PT8_S3_lS6_S3_lS4_PT9_S3_li.has_recursion, 0
	.set _ZL34rocblas_syrkx_herkx_general_kernelIl19rocblas_complex_numIfELi16ELi32ELi8ELb1ELb0ELc78ELc76EKS1_S1_EviT_T0_PT8_S3_lS6_S3_lS4_PT9_S3_li.has_indirect_call, 0
	.section	.AMDGPU.csdata,"",@progbits
; Kernel info:
; codeLenInByte = 2240
; TotalNumSgprs: 34
; NumVgprs: 48
; ScratchSize: 0
; MemoryBound: 1
; FloatMode: 240
; IeeeMode: 1
; LDSByteSize: 4096 bytes/workgroup (compile time only)
; SGPRBlocks: 4
; VGPRBlocks: 11
; NumSGPRsForWavesPerEU: 34
; NumVGPRsForWavesPerEU: 48
; Occupancy: 5
; WaveLimiterHint : 0
; COMPUTE_PGM_RSRC2:SCRATCH_EN: 0
; COMPUTE_PGM_RSRC2:USER_SGPR: 6
; COMPUTE_PGM_RSRC2:TRAP_HANDLER: 0
; COMPUTE_PGM_RSRC2:TGID_X_EN: 1
; COMPUTE_PGM_RSRC2:TGID_Y_EN: 1
; COMPUTE_PGM_RSRC2:TGID_Z_EN: 1
; COMPUTE_PGM_RSRC2:TIDIG_COMP_CNT: 1
	.section	.text._ZL34rocblas_syrkx_herkx_general_kernelIl19rocblas_complex_numIfELi16ELi32ELi8ELb1ELb0ELc84ELc85EKS1_S1_EviT_T0_PT8_S3_lS6_S3_lS4_PT9_S3_li,"axG",@progbits,_ZL34rocblas_syrkx_herkx_general_kernelIl19rocblas_complex_numIfELi16ELi32ELi8ELb1ELb0ELc84ELc85EKS1_S1_EviT_T0_PT8_S3_lS6_S3_lS4_PT9_S3_li,comdat
	.globl	_ZL34rocblas_syrkx_herkx_general_kernelIl19rocblas_complex_numIfELi16ELi32ELi8ELb1ELb0ELc84ELc85EKS1_S1_EviT_T0_PT8_S3_lS6_S3_lS4_PT9_S3_li ; -- Begin function _ZL34rocblas_syrkx_herkx_general_kernelIl19rocblas_complex_numIfELi16ELi32ELi8ELb1ELb0ELc84ELc85EKS1_S1_EviT_T0_PT8_S3_lS6_S3_lS4_PT9_S3_li
	.p2align	8
	.type	_ZL34rocblas_syrkx_herkx_general_kernelIl19rocblas_complex_numIfELi16ELi32ELi8ELb1ELb0ELc84ELc85EKS1_S1_EviT_T0_PT8_S3_lS6_S3_lS4_PT9_S3_li,@function
_ZL34rocblas_syrkx_herkx_general_kernelIl19rocblas_complex_numIfELi16ELi32ELi8ELb1ELb0ELc84ELc85EKS1_S1_EviT_T0_PT8_S3_lS6_S3_lS4_PT9_S3_li: ; @_ZL34rocblas_syrkx_herkx_general_kernelIl19rocblas_complex_numIfELi16ELi32ELi8ELb1ELb0ELc84ELc85EKS1_S1_EviT_T0_PT8_S3_lS6_S3_lS4_PT9_S3_li
; %bb.0:
	s_load_dwordx16 s[12:27], s[4:5], 0x8
	s_load_dword s9, s[4:5], 0x0
	s_lshl_b32 s28, s6, 5
	s_lshl_b32 s29, s7, 5
	s_waitcnt lgkmcnt(0)
	v_cmp_lt_i64_e64 s[0:1], s[12:13], 1
	s_and_b64 vcc, exec, s[0:1]
	s_cbranch_vccnz .LBB1143_11
; %bb.1:
	v_lshl_add_u32 v2, v1, 4, v0
	v_and_b32_e32 v5, 31, v2
	v_or_b32_e32 v6, s28, v5
	v_and_b32_e32 v11, 7, v0
	v_lshrrev_b32_e32 v3, 3, v2
	v_lshrrev_b32_e32 v10, 5, v2
	v_cmp_gt_i32_e32 vcc, s9, v6
	v_lshlrev_b32_e32 v2, 3, v5
	v_lshlrev_b32_e32 v6, 3, v11
	v_lshl_or_b32 v12, v10, 8, v2
	v_lshl_or_b32 v2, v3, 6, v6
	v_add_u32_e32 v13, 0x800, v2
	v_add_u32_e32 v2, s28, v5
	;; [unrolled: 1-line block ×3, first 2 shown]
	v_ashrrev_i32_e32 v3, 31, v2
	v_mul_lo_u32 v5, s18, v3
	v_mul_lo_u32 v8, s19, v2
	v_mad_u64_u32 v[2:3], s[2:3], s18, v2, 0
	s_mul_i32 s2, s21, s8
	s_mul_hi_u32 s3, s20, s8
	v_add3_u32 v3, v3, v5, v8
	v_lshlrev_b64 v[2:3], 3, v[2:3]
	s_add_i32 s3, s3, s2
	s_mul_i32 s2, s20, s8
	s_lshl_b64 s[2:3], s[2:3], 3
	v_mov_b32_e32 v5, s3
	v_add_co_u32_e64 v2, s[2:3], s2, v2
	v_addc_co_u32_e64 v3, s[2:3], v3, v5, s[2:3]
	v_lshlrev_b32_e32 v5, 3, v10
	v_ashrrev_i32_e32 v7, 31, v4
	v_mov_b32_e32 v9, 0x800
	v_add_co_u32_e64 v2, s[2:3], v2, v5
	v_cmp_gt_i32_e64 s[0:1], s9, v4
	v_lshl_add_u32 v15, v1, 6, v9
	v_addc_co_u32_e64 v3, s[2:3], 0, v3, s[2:3]
	v_mul_lo_u32 v7, s24, v7
	v_mul_lo_u32 v9, s25, v4
	v_mad_u64_u32 v[4:5], s[2:3], s24, v4, 0
	v_mov_b32_e32 v8, s17
	v_add_co_u32_e64 v2, s[2:3], s16, v2
	v_addc_co_u32_e64 v3, s[2:3], v8, v3, s[2:3]
	v_add3_u32 v5, v5, v7, v9
	s_mul_i32 s2, s27, s8
	s_mul_hi_u32 s3, s26, s8
	v_lshlrev_b64 v[4:5], 3, v[4:5]
	s_add_i32 s3, s3, s2
	s_mul_i32 s2, s26, s8
	s_lshl_b64 s[2:3], s[2:3], 3
	v_mov_b32_e32 v7, s3
	v_add_co_u32_e64 v4, s[2:3], s2, v4
	v_addc_co_u32_e64 v5, s[2:3], v5, v7, s[2:3]
	v_add_co_u32_e64 v4, s[2:3], v4, v6
	v_addc_co_u32_e64 v5, s[2:3], 0, v5, s[2:3]
	v_mov_b32_e32 v6, s23
	v_add_co_u32_e64 v4, s[2:3], s22, v4
	v_addc_co_u32_e64 v5, s[2:3], v6, v5, s[2:3]
	v_mov_b32_e32 v8, s12
	v_lshlrev_b32_e32 v14, 3, v0
	s_mov_b64 s[2:3], 0
	s_xor_b64 s[6:7], vcc, -1
	s_xor_b64 s[10:11], s[0:1], -1
	v_mov_b32_e32 v19, 0
	v_mov_b32_e32 v18, 0
	;; [unrolled: 1-line block ×10, first 2 shown]
	s_branch .LBB1143_3
.LBB1143_2:                             ;   in Loop: Header=BB1143_3 Depth=1
	s_or_b64 exec, exec, s[0:1]
	s_waitcnt lgkmcnt(0)
	s_barrier
	ds_read2_b64 v[24:27], v14 offset1:16
	ds_read_b128 v[28:31], v15
	ds_read_b128 v[32:35], v15 offset:16
	s_add_u32 s2, s2, 8
	v_add_co_u32_e32 v2, vcc, 64, v2
	s_waitcnt lgkmcnt(1)
	v_mul_f32_e32 v36, v28, v25
	v_fmac_f32_e32 v36, v29, v24
	v_add_f32_e32 v44, v21, v36
	ds_read_b128 v[36:39], v15 offset:1024
	v_mul_f32_e32 v7, v29, v25
	v_fma_f32 v7, v28, v24, -v7
	v_add_f32_e32 v7, v20, v7
	v_mul_f32_e32 v20, v29, v27
	v_mul_f32_e32 v21, v28, v27
	v_fma_f32 v20, v28, v26, -v20
	v_fmac_f32_e32 v21, v29, v26
	v_add_f32_e32 v28, v22, v20
	v_add_f32_e32 v29, v23, v21
	ds_read_b128 v[20:23], v15 offset:1040
	s_waitcnt lgkmcnt(1)
	v_mul_f32_e32 v40, v37, v25
	v_fma_f32 v40, v36, v24, -v40
	v_add_f32_e32 v45, v16, v40
	ds_read2_b64 v[40:43], v14 offset0:32 offset1:48
	v_mul_f32_e32 v25, v36, v25
	v_mul_f32_e32 v16, v37, v27
	v_fmac_f32_e32 v25, v37, v24
	v_fma_f32 v16, v36, v26, -v16
	v_add_f32_e32 v46, v17, v25
	v_mul_f32_e32 v17, v36, v27
	v_add_f32_e32 v36, v18, v16
	s_waitcnt lgkmcnt(0)
	v_mul_f32_e32 v16, v31, v41
	v_fma_f32 v47, v30, v40, -v16
	v_mul_f32_e32 v16, v31, v43
	v_fma_f32 v49, v30, v42, -v16
	v_mul_f32_e32 v48, v30, v41
	v_mul_f32_e32 v30, v30, v43
	v_add_f32_e32 v7, v7, v47
	v_add_f32_e32 v47, v28, v49
	v_mul_f32_e32 v28, v39, v41
	v_fmac_f32_e32 v17, v37, v26
	v_fmac_f32_e32 v48, v31, v40
	;; [unrolled: 1-line block ×3, first 2 shown]
	v_fma_f32 v49, v38, v40, -v28
	v_mul_f32_e32 v41, v38, v41
	v_mul_f32_e32 v28, v39, v43
	v_add_f32_e32 v37, v19, v17
	ds_read_b128 v[16:19], v15 offset:32
	ds_read_b128 v[24:27], v15 offset:48
	v_add_f32_e32 v44, v44, v48
	v_add_f32_e32 v48, v29, v30
	v_fmac_f32_e32 v41, v39, v40
	v_fma_f32 v40, v38, v42, -v28
	ds_read2_b64 v[28:31], v14 offset0:64 offset1:80
	v_add_f32_e32 v40, v36, v40
	v_mul_f32_e32 v38, v38, v43
	v_fmac_f32_e32 v38, v39, v42
	v_add_f32_e32 v42, v37, v38
	s_waitcnt lgkmcnt(0)
	v_mul_f32_e32 v36, v33, v29
	v_fma_f32 v36, v32, v28, -v36
	v_add_f32_e32 v7, v7, v36
	v_mul_f32_e32 v36, v33, v31
	v_mul_f32_e32 v37, v32, v29
	v_fma_f32 v36, v32, v30, -v36
	v_mul_f32_e32 v32, v32, v31
	v_fmac_f32_e32 v37, v33, v28
	v_fmac_f32_e32 v32, v33, v30
	v_add_f32_e32 v33, v47, v36
	v_mul_f32_e32 v36, v21, v29
	v_add_f32_e32 v39, v45, v49
	v_fma_f32 v36, v20, v28, -v36
	v_mul_f32_e32 v29, v20, v29
	v_add_f32_e32 v41, v46, v41
	v_fmac_f32_e32 v29, v21, v28
	v_add_f32_e32 v28, v39, v36
	v_mul_f32_e32 v36, v21, v31
	v_add_f32_e32 v43, v44, v37
	v_add_f32_e32 v29, v41, v29
	v_fma_f32 v41, v20, v30, -v36
	ds_read2_b64 v[36:39], v14 offset0:96 offset1:112
	v_mul_f32_e32 v20, v20, v31
	v_fmac_f32_e32 v20, v21, v30
	v_add_f32_e32 v21, v40, v41
	v_add_f32_e32 v32, v48, v32
	s_waitcnt lgkmcnt(0)
	v_mul_f32_e32 v30, v35, v37
	v_fma_f32 v30, v34, v36, -v30
	v_mul_f32_e32 v31, v34, v37
	v_fmac_f32_e32 v31, v35, v36
	v_add_f32_e32 v7, v7, v30
	v_mul_f32_e32 v30, v35, v39
	v_add_f32_e32 v40, v43, v31
	v_fma_f32 v30, v34, v38, -v30
	v_mul_f32_e32 v31, v34, v39
	v_fmac_f32_e32 v31, v35, v38
	v_add_f32_e32 v33, v33, v30
	v_mul_f32_e32 v30, v23, v37
	v_add_f32_e32 v32, v32, v31
	;; [unrolled: 6-line block ×3, first 2 shown]
	v_fma_f32 v34, v22, v38, -v28
	ds_read2_b64 v[28:31], v14 offset0:128 offset1:144
	v_mul_f32_e32 v22, v22, v39
	v_add_f32_e32 v20, v42, v20
	v_fmac_f32_e32 v22, v23, v38
	v_add_f32_e32 v42, v20, v22
	s_waitcnt lgkmcnt(0)
	v_mul_f32_e32 v20, v17, v29
	v_add_f32_e32 v41, v21, v34
	v_fma_f32 v20, v16, v28, -v20
	v_mul_f32_e32 v21, v16, v29
	v_fmac_f32_e32 v21, v17, v28
	v_add_f32_e32 v7, v7, v20
	v_mul_f32_e32 v20, v17, v31
	v_add_f32_e32 v40, v40, v21
	v_fma_f32 v34, v16, v30, -v20
	ds_read_b128 v[20:23], v15 offset:1056
	v_mul_f32_e32 v16, v16, v31
	v_fmac_f32_e32 v16, v17, v30
	v_add_f32_e32 v17, v33, v34
	v_add_f32_e32 v16, v32, v16
	ds_read_b128 v[32:35], v15 offset:1072
	s_waitcnt lgkmcnt(1)
	v_mul_f32_e32 v38, v21, v29
	v_fma_f32 v38, v20, v28, -v38
	v_mul_f32_e32 v29, v20, v29
	v_fmac_f32_e32 v29, v21, v28
	v_add_f32_e32 v28, v36, v38
	v_mul_f32_e32 v36, v21, v31
	v_add_f32_e32 v29, v37, v29
	v_fma_f32 v43, v20, v30, -v36
	ds_read2_b64 v[36:39], v14 offset0:160 offset1:176
	v_mul_f32_e32 v20, v20, v31
	v_fmac_f32_e32 v20, v21, v30
	v_add_f32_e32 v20, v42, v20
	v_add_f32_e32 v21, v41, v43
	s_waitcnt lgkmcnt(0)
	v_mul_f32_e32 v30, v19, v37
	v_mul_f32_e32 v31, v18, v37
	v_fma_f32 v30, v18, v36, -v30
	v_fmac_f32_e32 v31, v19, v36
	v_add_f32_e32 v7, v7, v30
	v_add_f32_e32 v30, v40, v31
	v_mul_f32_e32 v31, v19, v39
	v_fma_f32 v31, v18, v38, -v31
	v_mul_f32_e32 v18, v18, v39
	v_fmac_f32_e32 v18, v19, v38
	v_add_f32_e32 v40, v16, v18
	v_mul_f32_e32 v16, v23, v37
	v_add_f32_e32 v31, v17, v31
	v_fma_f32 v16, v22, v36, -v16
	v_mul_f32_e32 v17, v22, v37
	v_fmac_f32_e32 v17, v23, v36
	v_add_f32_e32 v28, v28, v16
	v_mul_f32_e32 v16, v23, v39
	v_add_f32_e32 v29, v29, v17
	v_fma_f32 v36, v22, v38, -v16
	ds_read2_b64 v[16:19], v14 offset0:192 offset1:208
	v_mul_f32_e32 v22, v22, v39
	v_fmac_f32_e32 v22, v23, v38
	v_add_f32_e32 v20, v20, v22
	v_add_f32_e32 v21, v21, v36
	s_waitcnt lgkmcnt(0)
	v_mul_f32_e32 v22, v25, v17
	v_mul_f32_e32 v23, v24, v17
	v_fma_f32 v22, v24, v16, -v22
	v_fmac_f32_e32 v23, v25, v16
	v_add_f32_e32 v7, v7, v22
	v_add_f32_e32 v22, v30, v23
	v_mul_f32_e32 v23, v25, v19
	v_fma_f32 v23, v24, v18, -v23
	v_mul_f32_e32 v24, v24, v19
	v_fmac_f32_e32 v24, v25, v18
	v_mul_f32_e32 v25, v33, v17
	v_mul_f32_e32 v17, v32, v17
	v_fma_f32 v25, v32, v16, -v25
	v_fmac_f32_e32 v17, v33, v16
	v_add_f32_e32 v23, v31, v23
	v_add_f32_e32 v16, v28, v25
	;; [unrolled: 1-line block ×3, first 2 shown]
	ds_read2_b64 v[28:31], v14 offset0:224 offset1:240
	v_mul_f32_e32 v25, v33, v19
	v_mul_f32_e32 v19, v32, v19
	v_fmac_f32_e32 v19, v33, v18
	v_add_f32_e32 v19, v20, v19
	s_waitcnt lgkmcnt(0)
	v_mul_f32_e32 v20, v27, v29
	v_fma_f32 v25, v32, v18, -v25
	v_fma_f32 v20, v26, v28, -v20
	v_add_f32_e32 v18, v21, v25
	v_mul_f32_e32 v21, v26, v29
	v_add_f32_e32 v20, v7, v20
	v_mul_f32_e32 v7, v27, v31
	v_mul_f32_e32 v25, v26, v31
	v_add_f32_e32 v24, v40, v24
	v_fmac_f32_e32 v21, v27, v28
	v_fma_f32 v7, v26, v30, -v7
	v_fmac_f32_e32 v25, v27, v30
	v_add_f32_e32 v21, v22, v21
	v_add_f32_e32 v22, v23, v7
	;; [unrolled: 1-line block ×3, first 2 shown]
	v_mul_f32_e32 v7, v35, v29
	v_mul_f32_e32 v24, v34, v29
	v_fma_f32 v7, v34, v28, -v7
	v_fmac_f32_e32 v24, v35, v28
	s_addc_u32 s3, s3, 0
	v_addc_co_u32_e32 v3, vcc, 0, v3, vcc
	v_add_f32_e32 v16, v16, v7
	v_add_f32_e32 v17, v17, v24
	v_mul_f32_e32 v7, v35, v31
	v_mul_f32_e32 v24, v34, v31
	v_cmp_ge_i64_e32 vcc, s[2:3], v[8:9]
	v_fma_f32 v7, v34, v30, -v7
	v_fmac_f32_e32 v24, v35, v30
	v_add_co_u32_e64 v4, s[0:1], 64, v4
	v_add_f32_e32 v18, v18, v7
	v_add_f32_e32 v19, v19, v24
	v_addc_co_u32_e64 v5, s[0:1], 0, v5, s[0:1]
	s_barrier
	s_cbranch_vccnz .LBB1143_12
.LBB1143_3:                             ; =>This Inner Loop Header: Depth=1
	v_mov_b32_e32 v7, s3
	v_add_co_u32_e32 v24, vcc, s2, v10
	v_addc_co_u32_e32 v25, vcc, 0, v7, vcc
	v_cmp_le_i64_e32 vcc, s[12:13], v[24:25]
	s_or_b64 s[0:1], s[6:7], vcc
	s_and_saveexec_b64 s[16:17], s[0:1]
	s_xor_b64 s[0:1], exec, s[16:17]
; %bb.4:                                ;   in Loop: Header=BB1143_3 Depth=1
	v_mov_b32_e32 v7, v6
	ds_write_b64 v12, v[6:7]
; %bb.5:                                ;   in Loop: Header=BB1143_3 Depth=1
	s_andn2_saveexec_b64 s[0:1], s[0:1]
	s_cbranch_execz .LBB1143_7
; %bb.6:                                ;   in Loop: Header=BB1143_3 Depth=1
	global_load_dwordx2 v[24:25], v[2:3], off
	s_waitcnt vmcnt(0)
	ds_write_b64 v12, v[24:25]
.LBB1143_7:                             ;   in Loop: Header=BB1143_3 Depth=1
	s_or_b64 exec, exec, s[0:1]
	v_mov_b32_e32 v7, s3
	v_add_co_u32_e32 v24, vcc, s2, v11
	v_addc_co_u32_e32 v25, vcc, 0, v7, vcc
	v_cmp_le_i64_e32 vcc, s[12:13], v[24:25]
	s_or_b64 s[0:1], vcc, s[10:11]
	s_and_saveexec_b64 s[16:17], s[0:1]
	s_xor_b64 s[0:1], exec, s[16:17]
; %bb.8:                                ;   in Loop: Header=BB1143_3 Depth=1
	v_mov_b32_e32 v7, v6
	ds_write_b64 v13, v[6:7]
; %bb.9:                                ;   in Loop: Header=BB1143_3 Depth=1
	s_andn2_saveexec_b64 s[0:1], s[0:1]
	s_cbranch_execz .LBB1143_2
; %bb.10:                               ;   in Loop: Header=BB1143_3 Depth=1
	global_load_dwordx2 v[24:25], v[4:5], off
	s_waitcnt vmcnt(0)
	ds_write_b64 v13, v[24:25]
	s_branch .LBB1143_2
.LBB1143_11:
	v_mov_b32_e32 v20, 0
	v_mov_b32_e32 v21, 0
	;; [unrolled: 1-line block ×8, first 2 shown]
.LBB1143_12:
	s_load_dwordx2 s[6:7], s[4:5], 0x60
	s_load_dwordx4 s[0:3], s[4:5], 0x50
	v_add_u32_e32 v4, s29, v1
	v_ashrrev_i32_e32 v1, 31, v4
	v_add_u32_e32 v0, s28, v0
	s_waitcnt lgkmcnt(0)
	s_mul_i32 s5, s7, s8
	v_mul_lo_u32 v3, s2, v1
	v_mul_lo_u32 v5, s3, v4
	v_mad_u64_u32 v[1:2], s[10:11], s2, v4, 0
	s_mul_hi_u32 s7, s6, s8
	s_mul_i32 s4, s6, s8
	s_add_i32 s5, s7, s5
	s_lshl_b64 s[4:5], s[4:5], 3
	v_add3_u32 v2, v2, v3, v5
	s_add_u32 s6, s0, s4
	v_lshlrev_b64 v[1:2], 3, v[1:2]
	s_addc_u32 s7, s1, s5
	v_mov_b32_e32 v3, s7
	v_add_co_u32_e64 v5, s[0:1], s6, v1
	v_addc_co_u32_e64 v6, s[0:1], v3, v2, s[0:1]
	v_cmp_gt_i32_e32 vcc, s9, v4
	v_cmp_le_i32_e64 s[0:1], v0, v4
	s_and_b64 s[0:1], vcc, s[0:1]
	s_and_saveexec_b64 s[4:5], s[0:1]
	s_cbranch_execz .LBB1143_14
; %bb.13:
	v_mul_f32_e32 v1, s15, v21
	v_fma_f32 v2, v20, s14, -v1
	v_ashrrev_i32_e32 v1, 31, v0
	v_lshlrev_b64 v[7:8], 3, v[0:1]
	v_mul_f32_e32 v3, s14, v21
	v_add_co_u32_e64 v7, s[0:1], v5, v7
	v_fmac_f32_e32 v3, s15, v20
	v_addc_co_u32_e64 v8, s[0:1], v6, v8, s[0:1]
	global_store_dwordx2 v[7:8], v[2:3], off
.LBB1143_14:
	s_or_b64 exec, exec, s[4:5]
	v_add_u32_e32 v2, 16, v0
	v_cmp_le_i32_e64 s[0:1], v2, v4
	s_and_b64 s[4:5], vcc, s[0:1]
	s_and_saveexec_b64 s[0:1], s[4:5]
	s_cbranch_execz .LBB1143_16
; %bb.15:
	v_ashrrev_i32_e32 v3, 31, v2
	v_lshlrev_b64 v[9:10], 3, v[2:3]
	v_mul_f32_e32 v1, s15, v23
	v_mul_f32_e32 v8, s14, v23
	v_add_co_u32_e32 v5, vcc, v5, v9
	v_fma_f32 v7, v22, s14, -v1
	v_fmac_f32_e32 v8, s15, v22
	v_addc_co_u32_e32 v6, vcc, v6, v10, vcc
	global_store_dwordx2 v[5:6], v[7:8], off
.LBB1143_16:
	s_or_b64 exec, exec, s[0:1]
	v_add_u32_e32 v3, 16, v4
	v_ashrrev_i32_e32 v1, 31, v3
	v_mul_lo_u32 v1, s2, v1
	v_mul_lo_u32 v6, s3, v3
	v_mad_u64_u32 v[4:5], s[0:1], s2, v3, 0
	v_cmp_gt_i32_e32 vcc, s9, v3
	v_add3_u32 v5, v5, v1, v6
	v_lshlrev_b64 v[4:5], 3, v[4:5]
	v_mov_b32_e32 v1, s7
	v_add_co_u32_e64 v4, s[0:1], s6, v4
	v_addc_co_u32_e64 v5, s[0:1], v1, v5, s[0:1]
	v_cmp_le_i32_e64 s[0:1], v0, v3
	s_and_b64 s[0:1], vcc, s[0:1]
	s_and_saveexec_b64 s[2:3], s[0:1]
	s_cbranch_execz .LBB1143_18
; %bb.17:
	v_mul_f32_e32 v1, s15, v17
	v_fma_f32 v6, v16, s14, -v1
	v_ashrrev_i32_e32 v1, 31, v0
	v_lshlrev_b64 v[0:1], 3, v[0:1]
	v_mul_f32_e32 v7, s14, v17
	v_add_co_u32_e64 v0, s[0:1], v4, v0
	v_fmac_f32_e32 v7, s15, v16
	v_addc_co_u32_e64 v1, s[0:1], v5, v1, s[0:1]
	global_store_dwordx2 v[0:1], v[6:7], off
.LBB1143_18:
	s_or_b64 exec, exec, s[2:3]
	v_cmp_le_i32_e64 s[0:1], v2, v3
	s_and_b64 s[0:1], vcc, s[0:1]
	s_and_saveexec_b64 s[2:3], s[0:1]
	s_cbranch_execz .LBB1143_20
; %bb.19:
	v_ashrrev_i32_e32 v3, 31, v2
	v_lshlrev_b64 v[2:3], 3, v[2:3]
	v_mul_f32_e32 v0, s15, v19
	v_mul_f32_e32 v1, s14, v19
	v_add_co_u32_e32 v2, vcc, v4, v2
	v_fma_f32 v0, v18, s14, -v0
	v_fmac_f32_e32 v1, s15, v18
	v_addc_co_u32_e32 v3, vcc, v5, v3, vcc
	global_store_dwordx2 v[2:3], v[0:1], off
.LBB1143_20:
	s_endpgm
	.section	.rodata,"a",@progbits
	.p2align	6, 0x0
	.amdhsa_kernel _ZL34rocblas_syrkx_herkx_general_kernelIl19rocblas_complex_numIfELi16ELi32ELi8ELb1ELb0ELc84ELc85EKS1_S1_EviT_T0_PT8_S3_lS6_S3_lS4_PT9_S3_li
		.amdhsa_group_segment_fixed_size 4096
		.amdhsa_private_segment_fixed_size 0
		.amdhsa_kernarg_size 108
		.amdhsa_user_sgpr_count 6
		.amdhsa_user_sgpr_private_segment_buffer 1
		.amdhsa_user_sgpr_dispatch_ptr 0
		.amdhsa_user_sgpr_queue_ptr 0
		.amdhsa_user_sgpr_kernarg_segment_ptr 1
		.amdhsa_user_sgpr_dispatch_id 0
		.amdhsa_user_sgpr_flat_scratch_init 0
		.amdhsa_user_sgpr_private_segment_size 0
		.amdhsa_uses_dynamic_stack 0
		.amdhsa_system_sgpr_private_segment_wavefront_offset 0
		.amdhsa_system_sgpr_workgroup_id_x 1
		.amdhsa_system_sgpr_workgroup_id_y 1
		.amdhsa_system_sgpr_workgroup_id_z 1
		.amdhsa_system_sgpr_workgroup_info 0
		.amdhsa_system_vgpr_workitem_id 1
		.amdhsa_next_free_vgpr 50
		.amdhsa_next_free_sgpr 30
		.amdhsa_reserve_vcc 1
		.amdhsa_reserve_flat_scratch 0
		.amdhsa_float_round_mode_32 0
		.amdhsa_float_round_mode_16_64 0
		.amdhsa_float_denorm_mode_32 3
		.amdhsa_float_denorm_mode_16_64 3
		.amdhsa_dx10_clamp 1
		.amdhsa_ieee_mode 1
		.amdhsa_fp16_overflow 0
		.amdhsa_exception_fp_ieee_invalid_op 0
		.amdhsa_exception_fp_denorm_src 0
		.amdhsa_exception_fp_ieee_div_zero 0
		.amdhsa_exception_fp_ieee_overflow 0
		.amdhsa_exception_fp_ieee_underflow 0
		.amdhsa_exception_fp_ieee_inexact 0
		.amdhsa_exception_int_div_zero 0
	.end_amdhsa_kernel
	.section	.text._ZL34rocblas_syrkx_herkx_general_kernelIl19rocblas_complex_numIfELi16ELi32ELi8ELb1ELb0ELc84ELc85EKS1_S1_EviT_T0_PT8_S3_lS6_S3_lS4_PT9_S3_li,"axG",@progbits,_ZL34rocblas_syrkx_herkx_general_kernelIl19rocblas_complex_numIfELi16ELi32ELi8ELb1ELb0ELc84ELc85EKS1_S1_EviT_T0_PT8_S3_lS6_S3_lS4_PT9_S3_li,comdat
.Lfunc_end1143:
	.size	_ZL34rocblas_syrkx_herkx_general_kernelIl19rocblas_complex_numIfELi16ELi32ELi8ELb1ELb0ELc84ELc85EKS1_S1_EviT_T0_PT8_S3_lS6_S3_lS4_PT9_S3_li, .Lfunc_end1143-_ZL34rocblas_syrkx_herkx_general_kernelIl19rocblas_complex_numIfELi16ELi32ELi8ELb1ELb0ELc84ELc85EKS1_S1_EviT_T0_PT8_S3_lS6_S3_lS4_PT9_S3_li
                                        ; -- End function
	.set _ZL34rocblas_syrkx_herkx_general_kernelIl19rocblas_complex_numIfELi16ELi32ELi8ELb1ELb0ELc84ELc85EKS1_S1_EviT_T0_PT8_S3_lS6_S3_lS4_PT9_S3_li.num_vgpr, 50
	.set _ZL34rocblas_syrkx_herkx_general_kernelIl19rocblas_complex_numIfELi16ELi32ELi8ELb1ELb0ELc84ELc85EKS1_S1_EviT_T0_PT8_S3_lS6_S3_lS4_PT9_S3_li.num_agpr, 0
	.set _ZL34rocblas_syrkx_herkx_general_kernelIl19rocblas_complex_numIfELi16ELi32ELi8ELb1ELb0ELc84ELc85EKS1_S1_EviT_T0_PT8_S3_lS6_S3_lS4_PT9_S3_li.numbered_sgpr, 30
	.set _ZL34rocblas_syrkx_herkx_general_kernelIl19rocblas_complex_numIfELi16ELi32ELi8ELb1ELb0ELc84ELc85EKS1_S1_EviT_T0_PT8_S3_lS6_S3_lS4_PT9_S3_li.num_named_barrier, 0
	.set _ZL34rocblas_syrkx_herkx_general_kernelIl19rocblas_complex_numIfELi16ELi32ELi8ELb1ELb0ELc84ELc85EKS1_S1_EviT_T0_PT8_S3_lS6_S3_lS4_PT9_S3_li.private_seg_size, 0
	.set _ZL34rocblas_syrkx_herkx_general_kernelIl19rocblas_complex_numIfELi16ELi32ELi8ELb1ELb0ELc84ELc85EKS1_S1_EviT_T0_PT8_S3_lS6_S3_lS4_PT9_S3_li.uses_vcc, 1
	.set _ZL34rocblas_syrkx_herkx_general_kernelIl19rocblas_complex_numIfELi16ELi32ELi8ELb1ELb0ELc84ELc85EKS1_S1_EviT_T0_PT8_S3_lS6_S3_lS4_PT9_S3_li.uses_flat_scratch, 0
	.set _ZL34rocblas_syrkx_herkx_general_kernelIl19rocblas_complex_numIfELi16ELi32ELi8ELb1ELb0ELc84ELc85EKS1_S1_EviT_T0_PT8_S3_lS6_S3_lS4_PT9_S3_li.has_dyn_sized_stack, 0
	.set _ZL34rocblas_syrkx_herkx_general_kernelIl19rocblas_complex_numIfELi16ELi32ELi8ELb1ELb0ELc84ELc85EKS1_S1_EviT_T0_PT8_S3_lS6_S3_lS4_PT9_S3_li.has_recursion, 0
	.set _ZL34rocblas_syrkx_herkx_general_kernelIl19rocblas_complex_numIfELi16ELi32ELi8ELb1ELb0ELc84ELc85EKS1_S1_EviT_T0_PT8_S3_lS6_S3_lS4_PT9_S3_li.has_indirect_call, 0
	.section	.AMDGPU.csdata,"",@progbits
; Kernel info:
; codeLenInByte = 2248
; TotalNumSgprs: 34
; NumVgprs: 50
; ScratchSize: 0
; MemoryBound: 1
; FloatMode: 240
; IeeeMode: 1
; LDSByteSize: 4096 bytes/workgroup (compile time only)
; SGPRBlocks: 4
; VGPRBlocks: 12
; NumSGPRsForWavesPerEU: 34
; NumVGPRsForWavesPerEU: 50
; Occupancy: 4
; WaveLimiterHint : 0
; COMPUTE_PGM_RSRC2:SCRATCH_EN: 0
; COMPUTE_PGM_RSRC2:USER_SGPR: 6
; COMPUTE_PGM_RSRC2:TRAP_HANDLER: 0
; COMPUTE_PGM_RSRC2:TGID_X_EN: 1
; COMPUTE_PGM_RSRC2:TGID_Y_EN: 1
; COMPUTE_PGM_RSRC2:TGID_Z_EN: 1
; COMPUTE_PGM_RSRC2:TIDIG_COMP_CNT: 1
	.section	.text._ZL34rocblas_syrkx_herkx_general_kernelIl19rocblas_complex_numIfELi16ELi32ELi8ELb1ELb0ELc67ELc85EKS1_S1_EviT_T0_PT8_S3_lS6_S3_lS4_PT9_S3_li,"axG",@progbits,_ZL34rocblas_syrkx_herkx_general_kernelIl19rocblas_complex_numIfELi16ELi32ELi8ELb1ELb0ELc67ELc85EKS1_S1_EviT_T0_PT8_S3_lS6_S3_lS4_PT9_S3_li,comdat
	.globl	_ZL34rocblas_syrkx_herkx_general_kernelIl19rocblas_complex_numIfELi16ELi32ELi8ELb1ELb0ELc67ELc85EKS1_S1_EviT_T0_PT8_S3_lS6_S3_lS4_PT9_S3_li ; -- Begin function _ZL34rocblas_syrkx_herkx_general_kernelIl19rocblas_complex_numIfELi16ELi32ELi8ELb1ELb0ELc67ELc85EKS1_S1_EviT_T0_PT8_S3_lS6_S3_lS4_PT9_S3_li
	.p2align	8
	.type	_ZL34rocblas_syrkx_herkx_general_kernelIl19rocblas_complex_numIfELi16ELi32ELi8ELb1ELb0ELc67ELc85EKS1_S1_EviT_T0_PT8_S3_lS6_S3_lS4_PT9_S3_li,@function
_ZL34rocblas_syrkx_herkx_general_kernelIl19rocblas_complex_numIfELi16ELi32ELi8ELb1ELb0ELc67ELc85EKS1_S1_EviT_T0_PT8_S3_lS6_S3_lS4_PT9_S3_li: ; @_ZL34rocblas_syrkx_herkx_general_kernelIl19rocblas_complex_numIfELi16ELi32ELi8ELb1ELb0ELc67ELc85EKS1_S1_EviT_T0_PT8_S3_lS6_S3_lS4_PT9_S3_li
; %bb.0:
	s_load_dwordx16 s[12:27], s[4:5], 0x8
	s_load_dword s9, s[4:5], 0x0
	s_lshl_b32 s28, s6, 5
	s_lshl_b32 s29, s7, 5
	s_waitcnt lgkmcnt(0)
	v_cmp_lt_i64_e64 s[0:1], s[12:13], 1
	s_and_b64 vcc, exec, s[0:1]
	s_cbranch_vccnz .LBB1144_9
; %bb.1:
	v_lshl_add_u32 v2, v1, 4, v0
	v_and_b32_e32 v5, 31, v2
	v_or_b32_e32 v6, s28, v5
	v_and_b32_e32 v13, 7, v0
	v_lshrrev_b32_e32 v3, 3, v2
	v_lshrrev_b32_e32 v12, 5, v2
	v_cmp_gt_i32_e64 s[0:1], s9, v6
	v_lshlrev_b32_e32 v2, 3, v5
	v_lshlrev_b32_e32 v6, 3, v13
	v_lshl_or_b32 v14, v12, 8, v2
	v_lshl_or_b32 v2, v3, 6, v6
	v_add_u32_e32 v15, 0x800, v2
	v_add_u32_e32 v2, s28, v5
	;; [unrolled: 1-line block ×3, first 2 shown]
	v_ashrrev_i32_e32 v3, 31, v2
	v_mul_lo_u32 v5, s18, v3
	v_mul_lo_u32 v8, s19, v2
	v_mad_u64_u32 v[2:3], s[2:3], s18, v2, 0
	s_mul_i32 s2, s21, s8
	s_mul_hi_u32 s3, s20, s8
	v_add3_u32 v3, v3, v5, v8
	v_lshlrev_b64 v[2:3], 3, v[2:3]
	s_add_i32 s3, s3, s2
	s_mul_i32 s2, s20, s8
	s_lshl_b64 s[2:3], s[2:3], 3
	v_mov_b32_e32 v5, s3
	v_add_co_u32_e64 v2, s[2:3], s2, v2
	v_addc_co_u32_e64 v3, s[2:3], v3, v5, s[2:3]
	v_lshlrev_b32_e32 v5, 3, v12
	v_add_co_u32_e64 v2, s[2:3], v2, v5
	v_addc_co_u32_e64 v3, s[2:3], 0, v3, s[2:3]
	v_ashrrev_i32_e32 v7, 31, v4
	v_mov_b32_e32 v5, s17
	v_add_co_u32_e64 v2, s[2:3], s16, v2
	v_cmp_gt_i32_e32 vcc, s9, v4
	v_addc_co_u32_e64 v3, s[2:3], v5, v3, s[2:3]
	v_mul_lo_u32 v7, s24, v7
	v_mul_lo_u32 v8, s25, v4
	v_mad_u64_u32 v[4:5], s[2:3], s24, v4, 0
	v_add_co_u32_e64 v2, s[2:3], 4, v2
	v_addc_co_u32_e64 v3, s[2:3], 0, v3, s[2:3]
	v_add3_u32 v5, v5, v7, v8
	s_mul_i32 s2, s27, s8
	s_mul_hi_u32 s3, s26, s8
	v_lshlrev_b64 v[4:5], 3, v[4:5]
	s_add_i32 s3, s3, s2
	s_mul_i32 s2, s26, s8
	s_lshl_b64 s[2:3], s[2:3], 3
	v_mov_b32_e32 v7, s3
	v_add_co_u32_e64 v4, s[2:3], s2, v4
	v_addc_co_u32_e64 v5, s[2:3], v5, v7, s[2:3]
	v_add_co_u32_e64 v4, s[2:3], v4, v6
	v_mov_b32_e32 v9, 0x800
	v_addc_co_u32_e64 v5, s[2:3], 0, v5, s[2:3]
	v_lshl_add_u32 v17, v1, 6, v9
	v_mov_b32_e32 v6, s23
	v_add_co_u32_e64 v4, s[2:3], s22, v4
	v_mov_b32_e32 v8, s12
	v_lshlrev_b32_e32 v16, 3, v0
	v_addc_co_u32_e64 v5, s[2:3], v6, v5, s[2:3]
	s_mov_b64 s[6:7], 0
	s_xor_b64 s[10:11], vcc, -1
	v_mov_b32_e32 v21, 0
	v_mov_b32_e32 v20, 0
	;; [unrolled: 1-line block ×10, first 2 shown]
	s_branch .LBB1144_3
.LBB1144_2:                             ;   in Loop: Header=BB1144_3 Depth=1
	s_or_b64 exec, exec, s[2:3]
	s_waitcnt lgkmcnt(0)
	s_barrier
	ds_read2_b64 v[26:29], v16 offset1:16
	ds_read_b128 v[30:33], v17
	ds_read_b128 v[34:37], v17 offset:16
	ds_read_b128 v[38:41], v17 offset:1024
	ds_read2_b64 v[42:45], v16 offset0:32 offset1:48
	s_add_u32 s6, s6, 8
	s_waitcnt lgkmcnt(3)
	v_mul_f32_e32 v7, v31, v27
	v_fma_f32 v7, v30, v26, -v7
	v_mul_f32_e32 v10, v30, v27
	v_add_f32_e32 v7, v22, v7
	v_mul_f32_e32 v11, v31, v29
	v_mul_f32_e32 v22, v30, v29
	v_fmac_f32_e32 v10, v31, v26
	v_fma_f32 v11, v30, v28, -v11
	v_fmac_f32_e32 v22, v31, v28
	v_add_f32_e32 v10, v23, v10
	v_add_f32_e32 v11, v24, v11
	v_add_f32_e32 v30, v25, v22
	ds_read_b128 v[22:25], v17 offset:1040
	s_waitcnt lgkmcnt(2)
	v_mul_f32_e32 v31, v39, v27
	v_fma_f32 v31, v38, v26, -v31
	v_mul_f32_e32 v27, v38, v27
	v_add_f32_e32 v46, v18, v31
	v_mul_f32_e32 v18, v39, v29
	v_fmac_f32_e32 v27, v39, v26
	v_fma_f32 v18, v38, v28, -v18
	v_add_f32_e32 v47, v19, v27
	v_mul_f32_e32 v19, v38, v29
	v_add_f32_e32 v38, v20, v18
	s_waitcnt lgkmcnt(1)
	v_mul_f32_e32 v18, v33, v43
	v_fma_f32 v31, v32, v42, -v18
	v_mul_f32_e32 v18, v33, v45
	v_mul_f32_e32 v48, v32, v43
	v_fma_f32 v49, v32, v44, -v18
	v_mul_f32_e32 v32, v32, v45
	v_fmac_f32_e32 v48, v33, v42
	v_fmac_f32_e32 v32, v33, v44
	v_add_f32_e32 v10, v10, v48
	v_add_f32_e32 v48, v30, v32
	v_mul_f32_e32 v30, v41, v43
	v_fmac_f32_e32 v19, v39, v28
	v_add_f32_e32 v11, v11, v49
	v_fma_f32 v49, v40, v42, -v30
	v_mul_f32_e32 v43, v40, v43
	v_mul_f32_e32 v30, v41, v45
	v_add_f32_e32 v39, v21, v19
	ds_read_b128 v[18:21], v17 offset:32
	ds_read_b128 v[26:29], v17 offset:48
	v_add_f32_e32 v7, v7, v31
	v_fmac_f32_e32 v43, v41, v42
	v_fma_f32 v42, v40, v44, -v30
	ds_read2_b64 v[30:33], v16 offset0:64 offset1:80
	v_add_f32_e32 v42, v38, v42
	v_mul_f32_e32 v40, v40, v45
	v_fmac_f32_e32 v40, v41, v44
	v_add_f32_e32 v44, v39, v40
	s_waitcnt lgkmcnt(0)
	v_mul_f32_e32 v38, v35, v31
	v_fma_f32 v38, v34, v30, -v38
	v_add_f32_e32 v7, v7, v38
	v_mul_f32_e32 v38, v35, v33
	v_mul_f32_e32 v39, v34, v31
	v_fma_f32 v38, v34, v32, -v38
	v_mul_f32_e32 v34, v34, v33
	v_fmac_f32_e32 v39, v35, v30
	v_fmac_f32_e32 v34, v35, v32
	v_mul_f32_e32 v35, v23, v31
	v_add_f32_e32 v41, v46, v49
	v_fma_f32 v35, v22, v30, -v35
	v_mul_f32_e32 v31, v22, v31
	v_add_f32_e32 v10, v10, v39
	v_add_f32_e32 v11, v11, v38
	v_fmac_f32_e32 v31, v23, v30
	v_add_f32_e32 v30, v41, v35
	ds_read2_b64 v[38:41], v16 offset0:96 offset1:112
	v_mul_f32_e32 v35, v23, v33
	v_fma_f32 v35, v22, v32, -v35
	v_mul_f32_e32 v22, v22, v33
	v_fmac_f32_e32 v22, v23, v32
	s_waitcnt lgkmcnt(0)
	v_mul_f32_e32 v32, v37, v39
	v_fma_f32 v32, v36, v38, -v32
	v_mul_f32_e32 v33, v36, v39
	v_fmac_f32_e32 v33, v37, v38
	v_add_f32_e32 v7, v7, v32
	v_mul_f32_e32 v32, v37, v41
	v_add_f32_e32 v10, v10, v33
	v_fma_f32 v32, v36, v40, -v32
	v_mul_f32_e32 v33, v36, v41
	v_add_f32_e32 v34, v48, v34
	v_fmac_f32_e32 v33, v37, v40
	v_add_f32_e32 v11, v11, v32
	v_mul_f32_e32 v32, v25, v39
	v_add_f32_e32 v43, v47, v43
	v_add_f32_e32 v34, v34, v33
	v_fma_f32 v32, v24, v38, -v32
	v_mul_f32_e32 v33, v24, v39
	v_add_f32_e32 v31, v43, v31
	v_fmac_f32_e32 v33, v25, v38
	v_add_f32_e32 v38, v30, v32
	v_mul_f32_e32 v30, v25, v41
	v_add_f32_e32 v23, v42, v35
	v_add_f32_e32 v39, v31, v33
	v_fma_f32 v35, v24, v40, -v30
	ds_read2_b64 v[30:33], v16 offset0:128 offset1:144
	v_mul_f32_e32 v24, v24, v41
	v_add_f32_e32 v22, v44, v22
	v_fmac_f32_e32 v24, v25, v40
	v_add_f32_e32 v43, v22, v24
	s_waitcnt lgkmcnt(0)
	v_mul_f32_e32 v22, v19, v31
	v_add_f32_e32 v42, v23, v35
	v_fma_f32 v22, v18, v30, -v22
	v_mul_f32_e32 v23, v18, v31
	v_fmac_f32_e32 v23, v19, v30
	v_add_f32_e32 v7, v7, v22
	v_mul_f32_e32 v22, v19, v33
	v_add_f32_e32 v10, v10, v23
	v_fma_f32 v35, v18, v32, -v22
	ds_read_b128 v[22:25], v17 offset:1056
	v_mul_f32_e32 v18, v18, v33
	v_fmac_f32_e32 v18, v19, v32
	v_add_f32_e32 v11, v11, v35
	v_add_f32_e32 v18, v34, v18
	ds_read_b128 v[34:37], v17 offset:1072
	s_waitcnt lgkmcnt(1)
	v_mul_f32_e32 v19, v23, v31
	v_mul_f32_e32 v31, v22, v31
	v_fma_f32 v19, v22, v30, -v19
	v_fmac_f32_e32 v31, v23, v30
	v_add_f32_e32 v19, v38, v19
	v_add_f32_e32 v30, v39, v31
	ds_read2_b64 v[38:41], v16 offset0:160 offset1:176
	v_mul_f32_e32 v31, v23, v33
	v_fma_f32 v31, v22, v32, -v31
	v_mul_f32_e32 v22, v22, v33
	v_fmac_f32_e32 v22, v23, v32
	v_add_f32_e32 v23, v42, v31
	s_waitcnt lgkmcnt(0)
	v_mul_f32_e32 v31, v21, v39
	v_fma_f32 v31, v20, v38, -v31
	v_add_f32_e32 v7, v7, v31
	v_mul_f32_e32 v31, v21, v41
	v_mul_f32_e32 v32, v20, v39
	v_fma_f32 v31, v20, v40, -v31
	v_mul_f32_e32 v20, v20, v41
	v_fmac_f32_e32 v20, v21, v40
	v_add_f32_e32 v11, v11, v31
	v_add_f32_e32 v31, v18, v20
	v_mul_f32_e32 v18, v25, v39
	v_fmac_f32_e32 v32, v21, v38
	v_fma_f32 v18, v24, v38, -v18
	v_mul_f32_e32 v20, v24, v39
	v_add_f32_e32 v10, v10, v32
	v_fmac_f32_e32 v20, v25, v38
	v_add_f32_e32 v32, v19, v18
	v_mul_f32_e32 v18, v25, v41
	v_add_f32_e32 v30, v30, v20
	v_fma_f32 v33, v24, v40, -v18
	ds_read2_b64 v[18:21], v16 offset0:192 offset1:208
	v_mul_f32_e32 v24, v24, v41
	v_add_f32_e32 v22, v43, v22
	v_fmac_f32_e32 v24, v25, v40
	v_add_f32_e32 v22, v22, v24
	s_waitcnt lgkmcnt(0)
	v_mul_f32_e32 v24, v27, v19
	v_fma_f32 v24, v26, v18, -v24
	v_mul_f32_e32 v25, v26, v19
	v_add_f32_e32 v7, v7, v24
	v_mul_f32_e32 v24, v27, v21
	v_fmac_f32_e32 v25, v27, v18
	v_fma_f32 v24, v26, v20, -v24
	v_add_f32_e32 v10, v10, v25
	v_mul_f32_e32 v25, v26, v21
	v_add_f32_e32 v11, v11, v24
	v_mul_f32_e32 v24, v35, v19
	v_mul_f32_e32 v19, v34, v19
	v_fmac_f32_e32 v25, v27, v20
	v_fma_f32 v24, v34, v18, -v24
	v_fmac_f32_e32 v19, v35, v18
	v_add_f32_e32 v23, v23, v33
	v_add_f32_e32 v25, v31, v25
	;; [unrolled: 1-line block ×4, first 2 shown]
	ds_read2_b64 v[30:33], v16 offset0:224 offset1:240
	v_mul_f32_e32 v24, v35, v21
	v_mul_f32_e32 v21, v34, v21
	v_fma_f32 v24, v34, v20, -v24
	v_fmac_f32_e32 v21, v35, v20
	v_add_f32_e32 v20, v23, v24
	v_add_f32_e32 v21, v22, v21
	s_waitcnt lgkmcnt(0)
	v_mul_f32_e32 v22, v29, v31
	v_mul_f32_e32 v23, v28, v31
	v_fma_f32 v22, v28, v30, -v22
	v_fmac_f32_e32 v23, v29, v30
	v_add_f32_e32 v22, v7, v22
	v_add_f32_e32 v23, v10, v23
	v_mul_f32_e32 v7, v29, v33
	v_mul_f32_e32 v10, v28, v33
	v_fma_f32 v7, v28, v32, -v7
	v_fmac_f32_e32 v10, v29, v32
	v_add_f32_e32 v24, v11, v7
	v_add_f32_e32 v25, v25, v10
	v_mul_f32_e32 v7, v37, v31
	v_mul_f32_e32 v10, v36, v31
	v_add_co_u32_e32 v2, vcc, 64, v2
	v_fma_f32 v7, v36, v30, -v7
	v_fmac_f32_e32 v10, v37, v30
	s_addc_u32 s7, s7, 0
	v_addc_co_u32_e32 v3, vcc, 0, v3, vcc
	v_add_f32_e32 v18, v18, v7
	v_add_f32_e32 v19, v19, v10
	v_mul_f32_e32 v7, v37, v33
	v_mul_f32_e32 v10, v36, v33
	v_cmp_ge_i64_e32 vcc, s[6:7], v[8:9]
	v_fma_f32 v7, v36, v32, -v7
	v_fmac_f32_e32 v10, v37, v32
	v_add_co_u32_e64 v4, s[2:3], 64, v4
	v_add_f32_e32 v20, v20, v7
	v_add_f32_e32 v21, v21, v10
	v_addc_co_u32_e64 v5, s[2:3], 0, v5, s[2:3]
	s_barrier
	s_cbranch_vccnz .LBB1144_10
.LBB1144_3:                             ; =>This Inner Loop Header: Depth=1
	v_mov_b32_e32 v7, s7
	v_add_co_u32_e32 v10, vcc, s6, v12
	v_addc_co_u32_e32 v11, vcc, 0, v7, vcc
	v_cmp_gt_i64_e32 vcc, s[12:13], v[10:11]
	v_mov_b32_e32 v10, 0
	s_and_b64 s[16:17], s[0:1], vcc
	v_mov_b32_e32 v11, 0
	s_and_saveexec_b64 s[2:3], s[16:17]
	s_cbranch_execz .LBB1144_5
; %bb.4:                                ;   in Loop: Header=BB1144_3 Depth=1
	global_load_dwordx2 v[10:11], v[2:3], off offset:-4
.LBB1144_5:                             ;   in Loop: Header=BB1144_3 Depth=1
	s_or_b64 exec, exec, s[2:3]
	v_mov_b32_e32 v7, s7
	v_add_co_u32_e32 v26, vcc, s6, v13
	v_addc_co_u32_e32 v27, vcc, 0, v7, vcc
	v_cmp_le_i64_e32 vcc, s[12:13], v[26:27]
	s_waitcnt vmcnt(0)
	ds_write_b64 v14, v[10:11]
	s_or_b64 s[2:3], vcc, s[10:11]
	s_and_saveexec_b64 s[16:17], s[2:3]
	s_xor_b64 s[2:3], exec, s[16:17]
; %bb.6:                                ;   in Loop: Header=BB1144_3 Depth=1
	v_mov_b32_e32 v7, v6
	ds_write_b64 v15, v[6:7]
; %bb.7:                                ;   in Loop: Header=BB1144_3 Depth=1
	s_andn2_saveexec_b64 s[2:3], s[2:3]
	s_cbranch_execz .LBB1144_2
; %bb.8:                                ;   in Loop: Header=BB1144_3 Depth=1
	global_load_dwordx2 v[10:11], v[4:5], off
	s_waitcnt vmcnt(0)
	ds_write_b64 v15, v[10:11]
	s_branch .LBB1144_2
.LBB1144_9:
	v_mov_b32_e32 v22, 0
	v_mov_b32_e32 v23, 0
	;; [unrolled: 1-line block ×8, first 2 shown]
.LBB1144_10:
	s_load_dwordx2 s[6:7], s[4:5], 0x60
	s_load_dwordx4 s[0:3], s[4:5], 0x50
	v_add_u32_e32 v4, s29, v1
	v_ashrrev_i32_e32 v1, 31, v4
	v_add_u32_e32 v0, s28, v0
	s_waitcnt lgkmcnt(0)
	s_mul_i32 s5, s7, s8
	v_mul_lo_u32 v3, s2, v1
	v_mul_lo_u32 v5, s3, v4
	v_mad_u64_u32 v[1:2], s[10:11], s2, v4, 0
	s_mul_hi_u32 s7, s6, s8
	s_mul_i32 s4, s6, s8
	s_add_i32 s5, s7, s5
	s_lshl_b64 s[4:5], s[4:5], 3
	v_add3_u32 v2, v2, v3, v5
	s_add_u32 s6, s0, s4
	v_lshlrev_b64 v[1:2], 3, v[1:2]
	s_addc_u32 s7, s1, s5
	v_mov_b32_e32 v3, s7
	v_add_co_u32_e64 v5, s[0:1], s6, v1
	v_addc_co_u32_e64 v6, s[0:1], v3, v2, s[0:1]
	v_cmp_gt_i32_e32 vcc, s9, v4
	v_cmp_le_i32_e64 s[0:1], v0, v4
	s_and_b64 s[0:1], vcc, s[0:1]
	s_and_saveexec_b64 s[4:5], s[0:1]
	s_cbranch_execz .LBB1144_12
; %bb.11:
	v_mul_f32_e32 v1, s15, v23
	v_fma_f32 v2, v22, s14, -v1
	v_ashrrev_i32_e32 v1, 31, v0
	v_lshlrev_b64 v[7:8], 3, v[0:1]
	v_mul_f32_e32 v3, s14, v23
	v_add_co_u32_e64 v7, s[0:1], v5, v7
	v_fmac_f32_e32 v3, s15, v22
	v_addc_co_u32_e64 v8, s[0:1], v6, v8, s[0:1]
	global_store_dwordx2 v[7:8], v[2:3], off
.LBB1144_12:
	s_or_b64 exec, exec, s[4:5]
	v_add_u32_e32 v2, 16, v0
	v_cmp_le_i32_e64 s[0:1], v2, v4
	s_and_b64 s[4:5], vcc, s[0:1]
	s_and_saveexec_b64 s[0:1], s[4:5]
	s_cbranch_execz .LBB1144_14
; %bb.13:
	v_ashrrev_i32_e32 v3, 31, v2
	v_lshlrev_b64 v[9:10], 3, v[2:3]
	v_mul_f32_e32 v1, s15, v25
	v_mul_f32_e32 v8, s14, v25
	v_add_co_u32_e32 v5, vcc, v5, v9
	v_fma_f32 v7, v24, s14, -v1
	v_fmac_f32_e32 v8, s15, v24
	v_addc_co_u32_e32 v6, vcc, v6, v10, vcc
	global_store_dwordx2 v[5:6], v[7:8], off
.LBB1144_14:
	s_or_b64 exec, exec, s[0:1]
	v_add_u32_e32 v3, 16, v4
	v_ashrrev_i32_e32 v1, 31, v3
	v_mul_lo_u32 v1, s2, v1
	v_mul_lo_u32 v6, s3, v3
	v_mad_u64_u32 v[4:5], s[0:1], s2, v3, 0
	v_cmp_gt_i32_e32 vcc, s9, v3
	v_add3_u32 v5, v5, v1, v6
	v_lshlrev_b64 v[4:5], 3, v[4:5]
	v_mov_b32_e32 v1, s7
	v_add_co_u32_e64 v4, s[0:1], s6, v4
	v_addc_co_u32_e64 v5, s[0:1], v1, v5, s[0:1]
	v_cmp_le_i32_e64 s[0:1], v0, v3
	s_and_b64 s[0:1], vcc, s[0:1]
	s_and_saveexec_b64 s[2:3], s[0:1]
	s_cbranch_execz .LBB1144_16
; %bb.15:
	v_mul_f32_e32 v1, s15, v19
	v_fma_f32 v6, v18, s14, -v1
	v_ashrrev_i32_e32 v1, 31, v0
	v_lshlrev_b64 v[0:1], 3, v[0:1]
	v_mul_f32_e32 v7, s14, v19
	v_add_co_u32_e64 v0, s[0:1], v4, v0
	v_fmac_f32_e32 v7, s15, v18
	v_addc_co_u32_e64 v1, s[0:1], v5, v1, s[0:1]
	global_store_dwordx2 v[0:1], v[6:7], off
.LBB1144_16:
	s_or_b64 exec, exec, s[2:3]
	v_cmp_le_i32_e64 s[0:1], v2, v3
	s_and_b64 s[0:1], vcc, s[0:1]
	s_and_saveexec_b64 s[2:3], s[0:1]
	s_cbranch_execz .LBB1144_18
; %bb.17:
	v_ashrrev_i32_e32 v3, 31, v2
	v_lshlrev_b64 v[2:3], 3, v[2:3]
	v_mul_f32_e32 v0, s15, v21
	v_mul_f32_e32 v1, s14, v21
	v_add_co_u32_e32 v2, vcc, v4, v2
	v_fma_f32 v0, v20, s14, -v0
	v_fmac_f32_e32 v1, s15, v20
	v_addc_co_u32_e32 v3, vcc, v5, v3, vcc
	global_store_dwordx2 v[2:3], v[0:1], off
.LBB1144_18:
	s_endpgm
	.section	.rodata,"a",@progbits
	.p2align	6, 0x0
	.amdhsa_kernel _ZL34rocblas_syrkx_herkx_general_kernelIl19rocblas_complex_numIfELi16ELi32ELi8ELb1ELb0ELc67ELc85EKS1_S1_EviT_T0_PT8_S3_lS6_S3_lS4_PT9_S3_li
		.amdhsa_group_segment_fixed_size 4096
		.amdhsa_private_segment_fixed_size 0
		.amdhsa_kernarg_size 108
		.amdhsa_user_sgpr_count 6
		.amdhsa_user_sgpr_private_segment_buffer 1
		.amdhsa_user_sgpr_dispatch_ptr 0
		.amdhsa_user_sgpr_queue_ptr 0
		.amdhsa_user_sgpr_kernarg_segment_ptr 1
		.amdhsa_user_sgpr_dispatch_id 0
		.amdhsa_user_sgpr_flat_scratch_init 0
		.amdhsa_user_sgpr_private_segment_size 0
		.amdhsa_uses_dynamic_stack 0
		.amdhsa_system_sgpr_private_segment_wavefront_offset 0
		.amdhsa_system_sgpr_workgroup_id_x 1
		.amdhsa_system_sgpr_workgroup_id_y 1
		.amdhsa_system_sgpr_workgroup_id_z 1
		.amdhsa_system_sgpr_workgroup_info 0
		.amdhsa_system_vgpr_workitem_id 1
		.amdhsa_next_free_vgpr 50
		.amdhsa_next_free_sgpr 30
		.amdhsa_reserve_vcc 1
		.amdhsa_reserve_flat_scratch 0
		.amdhsa_float_round_mode_32 0
		.amdhsa_float_round_mode_16_64 0
		.amdhsa_float_denorm_mode_32 3
		.amdhsa_float_denorm_mode_16_64 3
		.amdhsa_dx10_clamp 1
		.amdhsa_ieee_mode 1
		.amdhsa_fp16_overflow 0
		.amdhsa_exception_fp_ieee_invalid_op 0
		.amdhsa_exception_fp_denorm_src 0
		.amdhsa_exception_fp_ieee_div_zero 0
		.amdhsa_exception_fp_ieee_overflow 0
		.amdhsa_exception_fp_ieee_underflow 0
		.amdhsa_exception_fp_ieee_inexact 0
		.amdhsa_exception_int_div_zero 0
	.end_amdhsa_kernel
	.section	.text._ZL34rocblas_syrkx_herkx_general_kernelIl19rocblas_complex_numIfELi16ELi32ELi8ELb1ELb0ELc67ELc85EKS1_S1_EviT_T0_PT8_S3_lS6_S3_lS4_PT9_S3_li,"axG",@progbits,_ZL34rocblas_syrkx_herkx_general_kernelIl19rocblas_complex_numIfELi16ELi32ELi8ELb1ELb0ELc67ELc85EKS1_S1_EviT_T0_PT8_S3_lS6_S3_lS4_PT9_S3_li,comdat
.Lfunc_end1144:
	.size	_ZL34rocblas_syrkx_herkx_general_kernelIl19rocblas_complex_numIfELi16ELi32ELi8ELb1ELb0ELc67ELc85EKS1_S1_EviT_T0_PT8_S3_lS6_S3_lS4_PT9_S3_li, .Lfunc_end1144-_ZL34rocblas_syrkx_herkx_general_kernelIl19rocblas_complex_numIfELi16ELi32ELi8ELb1ELb0ELc67ELc85EKS1_S1_EviT_T0_PT8_S3_lS6_S3_lS4_PT9_S3_li
                                        ; -- End function
	.set _ZL34rocblas_syrkx_herkx_general_kernelIl19rocblas_complex_numIfELi16ELi32ELi8ELb1ELb0ELc67ELc85EKS1_S1_EviT_T0_PT8_S3_lS6_S3_lS4_PT9_S3_li.num_vgpr, 50
	.set _ZL34rocblas_syrkx_herkx_general_kernelIl19rocblas_complex_numIfELi16ELi32ELi8ELb1ELb0ELc67ELc85EKS1_S1_EviT_T0_PT8_S3_lS6_S3_lS4_PT9_S3_li.num_agpr, 0
	.set _ZL34rocblas_syrkx_herkx_general_kernelIl19rocblas_complex_numIfELi16ELi32ELi8ELb1ELb0ELc67ELc85EKS1_S1_EviT_T0_PT8_S3_lS6_S3_lS4_PT9_S3_li.numbered_sgpr, 30
	.set _ZL34rocblas_syrkx_herkx_general_kernelIl19rocblas_complex_numIfELi16ELi32ELi8ELb1ELb0ELc67ELc85EKS1_S1_EviT_T0_PT8_S3_lS6_S3_lS4_PT9_S3_li.num_named_barrier, 0
	.set _ZL34rocblas_syrkx_herkx_general_kernelIl19rocblas_complex_numIfELi16ELi32ELi8ELb1ELb0ELc67ELc85EKS1_S1_EviT_T0_PT8_S3_lS6_S3_lS4_PT9_S3_li.private_seg_size, 0
	.set _ZL34rocblas_syrkx_herkx_general_kernelIl19rocblas_complex_numIfELi16ELi32ELi8ELb1ELb0ELc67ELc85EKS1_S1_EviT_T0_PT8_S3_lS6_S3_lS4_PT9_S3_li.uses_vcc, 1
	.set _ZL34rocblas_syrkx_herkx_general_kernelIl19rocblas_complex_numIfELi16ELi32ELi8ELb1ELb0ELc67ELc85EKS1_S1_EviT_T0_PT8_S3_lS6_S3_lS4_PT9_S3_li.uses_flat_scratch, 0
	.set _ZL34rocblas_syrkx_herkx_general_kernelIl19rocblas_complex_numIfELi16ELi32ELi8ELb1ELb0ELc67ELc85EKS1_S1_EviT_T0_PT8_S3_lS6_S3_lS4_PT9_S3_li.has_dyn_sized_stack, 0
	.set _ZL34rocblas_syrkx_herkx_general_kernelIl19rocblas_complex_numIfELi16ELi32ELi8ELb1ELb0ELc67ELc85EKS1_S1_EviT_T0_PT8_S3_lS6_S3_lS4_PT9_S3_li.has_recursion, 0
	.set _ZL34rocblas_syrkx_herkx_general_kernelIl19rocblas_complex_numIfELi16ELi32ELi8ELb1ELb0ELc67ELc85EKS1_S1_EviT_T0_PT8_S3_lS6_S3_lS4_PT9_S3_li.has_indirect_call, 0
	.section	.AMDGPU.csdata,"",@progbits
; Kernel info:
; codeLenInByte = 2248
; TotalNumSgprs: 34
; NumVgprs: 50
; ScratchSize: 0
; MemoryBound: 1
; FloatMode: 240
; IeeeMode: 1
; LDSByteSize: 4096 bytes/workgroup (compile time only)
; SGPRBlocks: 4
; VGPRBlocks: 12
; NumSGPRsForWavesPerEU: 34
; NumVGPRsForWavesPerEU: 50
; Occupancy: 4
; WaveLimiterHint : 0
; COMPUTE_PGM_RSRC2:SCRATCH_EN: 0
; COMPUTE_PGM_RSRC2:USER_SGPR: 6
; COMPUTE_PGM_RSRC2:TRAP_HANDLER: 0
; COMPUTE_PGM_RSRC2:TGID_X_EN: 1
; COMPUTE_PGM_RSRC2:TGID_Y_EN: 1
; COMPUTE_PGM_RSRC2:TGID_Z_EN: 1
; COMPUTE_PGM_RSRC2:TIDIG_COMP_CNT: 1
	.section	.text._ZL34rocblas_syrkx_herkx_general_kernelIl19rocblas_complex_numIfELi16ELi32ELi8ELb1ELb0ELc78ELc85EKS1_S1_EviT_T0_PT8_S3_lS6_S3_lS4_PT9_S3_li,"axG",@progbits,_ZL34rocblas_syrkx_herkx_general_kernelIl19rocblas_complex_numIfELi16ELi32ELi8ELb1ELb0ELc78ELc85EKS1_S1_EviT_T0_PT8_S3_lS6_S3_lS4_PT9_S3_li,comdat
	.globl	_ZL34rocblas_syrkx_herkx_general_kernelIl19rocblas_complex_numIfELi16ELi32ELi8ELb1ELb0ELc78ELc85EKS1_S1_EviT_T0_PT8_S3_lS6_S3_lS4_PT9_S3_li ; -- Begin function _ZL34rocblas_syrkx_herkx_general_kernelIl19rocblas_complex_numIfELi16ELi32ELi8ELb1ELb0ELc78ELc85EKS1_S1_EviT_T0_PT8_S3_lS6_S3_lS4_PT9_S3_li
	.p2align	8
	.type	_ZL34rocblas_syrkx_herkx_general_kernelIl19rocblas_complex_numIfELi16ELi32ELi8ELb1ELb0ELc78ELc85EKS1_S1_EviT_T0_PT8_S3_lS6_S3_lS4_PT9_S3_li,@function
_ZL34rocblas_syrkx_herkx_general_kernelIl19rocblas_complex_numIfELi16ELi32ELi8ELb1ELb0ELc78ELc85EKS1_S1_EviT_T0_PT8_S3_lS6_S3_lS4_PT9_S3_li: ; @_ZL34rocblas_syrkx_herkx_general_kernelIl19rocblas_complex_numIfELi16ELi32ELi8ELb1ELb0ELc78ELc85EKS1_S1_EviT_T0_PT8_S3_lS6_S3_lS4_PT9_S3_li
; %bb.0:
	s_load_dwordx16 s[12:27], s[4:5], 0x8
	s_load_dword s9, s[4:5], 0x0
	s_lshl_b32 s28, s6, 5
	s_lshl_b32 s29, s7, 5
	s_waitcnt lgkmcnt(0)
	v_cmp_lt_i64_e64 s[0:1], s[12:13], 1
	s_and_b64 vcc, exec, s[0:1]
	s_cbranch_vccnz .LBB1145_9
; %bb.1:
	v_lshl_add_u32 v2, v1, 4, v0
	v_and_b32_e32 v8, 31, v2
	v_lshrrev_b32_e32 v5, 3, v2
	v_or_b32_e32 v3, s28, v8
	v_lshrrev_b32_e32 v12, 5, v2
	v_lshlrev_b32_e32 v2, 3, v8
	v_cmp_gt_i32_e32 vcc, s9, v3
	v_lshl_or_b32 v14, v12, 8, v2
	v_mad_u64_u32 v[2:3], s[2:3], s18, v12, 0
	v_and_b32_e32 v13, 7, v0
	v_add_u32_e32 v4, s29, v5
	v_lshlrev_b32_e32 v6, 3, v13
	v_lshl_or_b32 v5, v5, 6, v6
	v_mad_u64_u32 v[6:7], s[2:3], s19, v12, v[3:4]
	v_mov_b32_e32 v3, 0x800
	v_lshl_add_u32 v17, v1, 6, v3
	v_mov_b32_e32 v3, v6
	s_mul_i32 s2, s21, s8
	s_mul_hi_u32 s3, s20, s8
	v_lshlrev_b64 v[2:3], 3, v[2:3]
	s_add_i32 s3, s3, s2
	s_mul_i32 s2, s20, s8
	s_lshl_b64 s[2:3], s[2:3], 3
	v_mov_b32_e32 v6, s3
	v_add_co_u32_e64 v7, s[2:3], s2, v2
	v_add_u32_e32 v2, s28, v8
	v_addc_co_u32_e64 v6, s[2:3], v3, v6, s[2:3]
	v_ashrrev_i32_e32 v3, 31, v2
	v_lshlrev_b64 v[2:3], 3, v[2:3]
	s_mul_i32 s10, s27, s8
	v_add_co_u32_e64 v2, s[2:3], v7, v2
	v_addc_co_u32_e64 v3, s[2:3], v6, v3, s[2:3]
	v_mov_b32_e32 v6, s17
	v_add_co_u32_e64 v2, s[2:3], s16, v2
	v_addc_co_u32_e64 v3, s[2:3], v6, v3, s[2:3]
	v_mad_u64_u32 v[6:7], s[2:3], s24, v13, 0
	s_mul_hi_u32 s11, s26, s8
	v_add_u32_e32 v15, 0x800, v5
	v_mad_u64_u32 v[7:8], s[2:3], s25, v13, v[7:8]
	s_add_i32 s3, s11, s10
	s_mul_i32 s2, s26, s8
	v_lshlrev_b64 v[6:7], 3, v[6:7]
	v_ashrrev_i32_e32 v5, 31, v4
	s_lshl_b64 s[2:3], s[2:3], 3
	v_cmp_gt_i32_e64 s[0:1], s9, v4
	v_mov_b32_e32 v8, s3
	v_add_co_u32_e64 v6, s[2:3], s2, v6
	v_lshlrev_b64 v[4:5], 3, v[4:5]
	v_addc_co_u32_e64 v7, s[2:3], v8, v7, s[2:3]
	v_add_co_u32_e64 v4, s[2:3], v6, v4
	v_addc_co_u32_e64 v5, s[2:3], v7, v5, s[2:3]
	v_mov_b32_e32 v6, s23
	v_add_co_u32_e64 v4, s[2:3], s22, v4
	v_addc_co_u32_e64 v5, s[2:3], v6, v5, s[2:3]
	s_lshl_b64 s[6:7], s[18:19], 6
	v_add_co_u32_e64 v4, s[2:3], 4, v4
	s_lshl_b64 s[10:11], s[24:25], 6
	v_mov_b32_e32 v8, s12
	v_lshlrev_b32_e32 v16, 3, v0
	v_addc_co_u32_e64 v5, s[2:3], 0, v5, s[2:3]
	s_mov_b64 s[16:17], 0
	s_xor_b64 s[18:19], vcc, -1
	v_mov_b32_e32 v18, s7
	v_mov_b32_e32 v19, s11
	;; [unrolled: 1-line block ×12, first 2 shown]
	s_branch .LBB1145_3
.LBB1145_2:                             ;   in Loop: Header=BB1145_3 Depth=1
	s_or_b64 exec, exec, s[2:3]
	s_waitcnt vmcnt(0)
	ds_write_b64 v15, v[10:11]
	s_waitcnt lgkmcnt(0)
	s_barrier
	ds_read2_b64 v[28:31], v16 offset1:16
	ds_read_b128 v[32:35], v17
	ds_read_b128 v[36:39], v17 offset:16
	ds_read_b128 v[40:43], v17 offset:1024
	s_add_u32 s16, s16, 8
	v_add_co_u32_e32 v2, vcc, s6, v2
	s_waitcnt lgkmcnt(2)
	v_mul_f32_e32 v7, v33, v29
	v_fma_f32 v7, v32, v28, -v7
	v_mul_f32_e32 v10, v32, v29
	v_add_f32_e32 v7, v26, v7
	v_mul_f32_e32 v11, v33, v31
	v_mul_f32_e32 v26, v32, v31
	v_fmac_f32_e32 v10, v33, v28
	v_fma_f32 v11, v32, v30, -v11
	v_fmac_f32_e32 v26, v33, v30
	v_add_f32_e32 v10, v27, v10
	v_add_f32_e32 v11, v24, v11
	;; [unrolled: 1-line block ×3, first 2 shown]
	ds_read_b128 v[24:27], v17 offset:1040
	s_waitcnt lgkmcnt(1)
	v_mul_f32_e32 v33, v41, v29
	v_mul_f32_e32 v44, v40, v29
	v_fma_f32 v33, v40, v28, -v33
	v_fmac_f32_e32 v44, v41, v28
	v_mul_f32_e32 v28, v41, v31
	v_fma_f32 v45, v40, v30, -v28
	v_mul_f32_e32 v40, v40, v31
	v_fmac_f32_e32 v40, v41, v30
	ds_read2_b64 v[28:31], v16 offset0:32 offset1:48
	v_add_f32_e32 v20, v20, v33
	v_add_f32_e32 v33, v22, v45
	;; [unrolled: 1-line block ×4, first 2 shown]
	s_waitcnt lgkmcnt(0)
	v_mul_f32_e32 v22, v35, v29
	v_fma_f32 v22, v34, v28, -v22
	v_mul_f32_e32 v23, v34, v29
	v_fmac_f32_e32 v23, v35, v28
	v_add_f32_e32 v7, v7, v22
	v_mul_f32_e32 v22, v35, v31
	v_add_f32_e32 v10, v10, v23
	v_fma_f32 v22, v34, v30, -v22
	v_mul_f32_e32 v23, v34, v31
	v_fmac_f32_e32 v23, v35, v30
	v_add_f32_e32 v11, v11, v22
	v_mul_f32_e32 v22, v43, v29
	v_add_f32_e32 v32, v32, v23
	;; [unrolled: 6-line block ×3, first 2 shown]
	v_fma_f32 v34, v42, v30, -v20
	ds_read2_b64 v[20:23], v16 offset0:64 offset1:80
	v_mul_f32_e32 v31, v42, v31
	v_fmac_f32_e32 v31, v43, v30
	v_add_f32_e32 v33, v33, v34
	v_add_f32_e32 v34, v40, v31
	s_waitcnt lgkmcnt(0)
	v_mul_f32_e32 v30, v37, v21
	v_fma_f32 v30, v36, v20, -v30
	v_mul_f32_e32 v31, v36, v21
	v_add_f32_e32 v7, v7, v30
	v_mul_f32_e32 v30, v37, v23
	v_fmac_f32_e32 v31, v37, v20
	v_fma_f32 v30, v36, v22, -v30
	v_add_f32_e32 v10, v10, v31
	v_mul_f32_e32 v31, v36, v23
	v_add_f32_e32 v11, v11, v30
	v_mul_f32_e32 v30, v25, v21
	v_mul_f32_e32 v21, v24, v21
	v_fmac_f32_e32 v31, v37, v22
	v_fma_f32 v30, v24, v20, -v30
	v_fmac_f32_e32 v21, v25, v20
	v_add_f32_e32 v32, v32, v31
	v_add_f32_e32 v35, v28, v30
	;; [unrolled: 1-line block ×3, first 2 shown]
	ds_read2_b64 v[28:31], v16 offset0:96 offset1:112
	v_mul_f32_e32 v20, v25, v23
	v_fma_f32 v37, v24, v22, -v20
	v_mul_f32_e32 v24, v24, v23
	v_fmac_f32_e32 v24, v25, v22
	v_add_f32_e32 v24, v34, v24
	s_waitcnt lgkmcnt(0)
	v_mul_f32_e32 v34, v38, v29
	v_fmac_f32_e32 v34, v39, v28
	v_add_f32_e32 v25, v33, v37
	v_mul_f32_e32 v33, v39, v29
	v_add_f32_e32 v10, v10, v34
	v_mul_f32_e32 v34, v38, v31
	v_fma_f32 v33, v38, v28, -v33
	v_fmac_f32_e32 v34, v39, v30
	v_add_f32_e32 v7, v7, v33
	v_mul_f32_e32 v33, v39, v31
	v_add_f32_e32 v40, v32, v34
	v_mul_f32_e32 v32, v27, v29
	v_fma_f32 v33, v38, v30, -v33
	v_fma_f32 v32, v26, v28, -v32
	ds_read_b128 v[20:23], v17 offset:32
	v_add_f32_e32 v11, v11, v33
	v_add_f32_e32 v44, v35, v32
	ds_read2_b64 v[32:35], v16 offset0:128 offset1:144
	v_mul_f32_e32 v29, v26, v29
	v_fmac_f32_e32 v29, v27, v28
	v_mul_f32_e32 v28, v27, v31
	v_fma_f32 v28, v26, v30, -v28
	v_mul_f32_e32 v26, v26, v31
	v_fmac_f32_e32 v26, v27, v30
	v_add_f32_e32 v45, v36, v29
	v_add_f32_e32 v25, v25, v28
	;; [unrolled: 1-line block ×3, first 2 shown]
	ds_read_b128 v[26:29], v17 offset:48
	s_waitcnt lgkmcnt(1)
	v_mul_f32_e32 v30, v21, v33
	ds_read_b128 v[36:39], v17 offset:1056
	v_fma_f32 v30, v20, v32, -v30
	v_add_f32_e32 v7, v7, v30
	v_mul_f32_e32 v30, v21, v35
	v_mul_f32_e32 v31, v20, v33
	v_fma_f32 v30, v20, v34, -v30
	v_mul_f32_e32 v20, v20, v35
	v_fmac_f32_e32 v20, v21, v34
	v_fmac_f32_e32 v31, v21, v32
	v_add_f32_e32 v11, v11, v30
	v_add_f32_e32 v20, v40, v20
	ds_read_b128 v[40:43], v17 offset:1072
	s_waitcnt lgkmcnt(1)
	v_mul_f32_e32 v21, v37, v33
	v_mul_f32_e32 v46, v36, v33
	;; [unrolled: 1-line block ×3, first 2 shown]
	v_add_f32_e32 v10, v10, v31
	v_fma_f32 v21, v36, v32, -v21
	v_fmac_f32_e32 v46, v37, v32
	v_fma_f32 v47, v36, v34, -v30
	ds_read2_b64 v[30:33], v16 offset0:160 offset1:176
	v_mul_f32_e32 v35, v36, v35
	v_fmac_f32_e32 v35, v37, v34
	v_add_f32_e32 v24, v24, v35
	v_add_f32_e32 v21, v44, v21
	s_waitcnt lgkmcnt(0)
	v_mul_f32_e32 v35, v23, v31
	v_fma_f32 v35, v22, v30, -v35
	v_add_f32_e32 v7, v7, v35
	v_mul_f32_e32 v35, v23, v33
	v_mul_f32_e32 v36, v22, v31
	v_fma_f32 v35, v22, v32, -v35
	v_mul_f32_e32 v22, v22, v33
	v_fmac_f32_e32 v22, v23, v32
	v_add_f32_e32 v11, v11, v35
	v_add_f32_e32 v35, v20, v22
	v_mul_f32_e32 v20, v39, v31
	v_fma_f32 v20, v38, v30, -v20
	v_mul_f32_e32 v22, v38, v31
	v_add_f32_e32 v34, v45, v46
	v_fmac_f32_e32 v36, v23, v30
	v_fmac_f32_e32 v22, v39, v30
	v_add_f32_e32 v30, v21, v20
	v_mul_f32_e32 v20, v39, v33
	v_add_f32_e32 v31, v34, v22
	v_fma_f32 v34, v38, v32, -v20
	ds_read2_b64 v[20:23], v16 offset0:192 offset1:208
	v_mul_f32_e32 v33, v38, v33
	v_fmac_f32_e32 v33, v39, v32
	v_add_f32_e32 v24, v24, v33
	v_add_f32_e32 v25, v25, v47
	s_waitcnt lgkmcnt(0)
	v_mul_f32_e32 v32, v27, v21
	v_fma_f32 v32, v26, v20, -v32
	v_add_f32_e32 v7, v7, v32
	v_mul_f32_e32 v32, v27, v23
	v_mul_f32_e32 v33, v26, v21
	v_fma_f32 v32, v26, v22, -v32
	v_mul_f32_e32 v26, v26, v23
	v_fmac_f32_e32 v26, v27, v22
	v_add_f32_e32 v25, v25, v34
	v_add_f32_e32 v34, v35, v26
	v_mul_f32_e32 v26, v41, v21
	v_mul_f32_e32 v21, v40, v21
	v_add_f32_e32 v10, v10, v36
	v_fmac_f32_e32 v33, v27, v20
	v_fma_f32 v26, v40, v20, -v26
	v_fmac_f32_e32 v21, v41, v20
	v_add_f32_e32 v10, v10, v33
	v_add_f32_e32 v11, v11, v32
	v_add_f32_e32 v20, v30, v26
	v_add_f32_e32 v21, v31, v21
	ds_read2_b64 v[30:33], v16 offset0:224 offset1:240
	v_mul_f32_e32 v26, v41, v23
	v_mul_f32_e32 v23, v40, v23
	v_fma_f32 v26, v40, v22, -v26
	v_fmac_f32_e32 v23, v41, v22
	v_add_f32_e32 v22, v25, v26
	v_add_f32_e32 v23, v24, v23
	s_waitcnt lgkmcnt(0)
	v_mul_f32_e32 v24, v29, v31
	v_mul_f32_e32 v25, v28, v31
	v_fma_f32 v24, v28, v30, -v24
	v_fmac_f32_e32 v25, v29, v30
	v_add_f32_e32 v26, v7, v24
	v_add_f32_e32 v27, v10, v25
	v_mul_f32_e32 v7, v29, v33
	v_mul_f32_e32 v10, v28, v33
	v_fma_f32 v7, v28, v32, -v7
	v_fmac_f32_e32 v10, v29, v32
	v_add_f32_e32 v24, v11, v7
	v_add_f32_e32 v25, v34, v10
	v_mul_f32_e32 v7, v43, v31
	v_mul_f32_e32 v10, v42, v31
	v_fma_f32 v7, v42, v30, -v7
	v_fmac_f32_e32 v10, v43, v30
	s_addc_u32 s17, s17, 0
	v_addc_co_u32_e32 v3, vcc, v3, v18, vcc
	v_add_f32_e32 v20, v20, v7
	v_add_f32_e32 v21, v21, v10
	v_mul_f32_e32 v7, v43, v33
	v_mul_f32_e32 v10, v42, v33
	v_cmp_ge_i64_e32 vcc, s[16:17], v[8:9]
	v_fma_f32 v7, v42, v32, -v7
	v_fmac_f32_e32 v10, v43, v32
	v_add_co_u32_e64 v4, s[2:3], s10, v4
	v_add_f32_e32 v22, v22, v7
	v_add_f32_e32 v23, v23, v10
	v_addc_co_u32_e64 v5, s[2:3], v5, v19, s[2:3]
	s_barrier
	s_cbranch_vccnz .LBB1145_10
.LBB1145_3:                             ; =>This Inner Loop Header: Depth=1
	v_mov_b32_e32 v7, s17
	v_add_co_u32_e32 v10, vcc, s16, v12
	v_addc_co_u32_e32 v11, vcc, 0, v7, vcc
	v_cmp_le_i64_e32 vcc, s[12:13], v[10:11]
	s_or_b64 s[2:3], s[18:19], vcc
	s_and_saveexec_b64 s[20:21], s[2:3]
	s_xor_b64 s[2:3], exec, s[20:21]
; %bb.4:                                ;   in Loop: Header=BB1145_3 Depth=1
	v_mov_b32_e32 v7, v6
	ds_write_b64 v14, v[6:7]
; %bb.5:                                ;   in Loop: Header=BB1145_3 Depth=1
	s_andn2_saveexec_b64 s[2:3], s[2:3]
	s_cbranch_execz .LBB1145_7
; %bb.6:                                ;   in Loop: Header=BB1145_3 Depth=1
	global_load_dwordx2 v[10:11], v[2:3], off
	s_waitcnt vmcnt(0)
	ds_write_b64 v14, v[10:11]
.LBB1145_7:                             ;   in Loop: Header=BB1145_3 Depth=1
	s_or_b64 exec, exec, s[2:3]
	v_mov_b32_e32 v7, s17
	v_add_co_u32_e32 v10, vcc, s16, v13
	v_addc_co_u32_e32 v11, vcc, 0, v7, vcc
	v_cmp_gt_i64_e32 vcc, s[12:13], v[10:11]
	v_mov_b32_e32 v10, 0
	s_and_b64 s[20:21], vcc, s[0:1]
	v_mov_b32_e32 v11, 0
	s_and_saveexec_b64 s[2:3], s[20:21]
	s_cbranch_execz .LBB1145_2
; %bb.8:                                ;   in Loop: Header=BB1145_3 Depth=1
	global_load_dwordx2 v[10:11], v[4:5], off offset:-4
	s_branch .LBB1145_2
.LBB1145_9:
	v_mov_b32_e32 v26, 0
	v_mov_b32_e32 v27, 0
	v_mov_b32_e32 v24, 0
	v_mov_b32_e32 v25, 0
	v_mov_b32_e32 v20, 0
	v_mov_b32_e32 v21, 0
	v_mov_b32_e32 v22, 0
	v_mov_b32_e32 v23, 0
.LBB1145_10:
	s_load_dwordx2 s[6:7], s[4:5], 0x60
	s_load_dwordx4 s[0:3], s[4:5], 0x50
	v_add_u32_e32 v4, s29, v1
	v_ashrrev_i32_e32 v1, 31, v4
	v_add_u32_e32 v0, s28, v0
	s_waitcnt lgkmcnt(0)
	s_mul_i32 s5, s7, s8
	v_mul_lo_u32 v3, s2, v1
	v_mul_lo_u32 v5, s3, v4
	v_mad_u64_u32 v[1:2], s[10:11], s2, v4, 0
	s_mul_hi_u32 s7, s6, s8
	s_mul_i32 s4, s6, s8
	s_add_i32 s5, s7, s5
	s_lshl_b64 s[4:5], s[4:5], 3
	v_add3_u32 v2, v2, v3, v5
	s_add_u32 s6, s0, s4
	v_lshlrev_b64 v[1:2], 3, v[1:2]
	s_addc_u32 s7, s1, s5
	v_mov_b32_e32 v3, s7
	v_add_co_u32_e64 v5, s[0:1], s6, v1
	v_addc_co_u32_e64 v6, s[0:1], v3, v2, s[0:1]
	v_cmp_gt_i32_e32 vcc, s9, v4
	v_cmp_le_i32_e64 s[0:1], v0, v4
	s_and_b64 s[0:1], vcc, s[0:1]
	s_and_saveexec_b64 s[4:5], s[0:1]
	s_cbranch_execz .LBB1145_12
; %bb.11:
	v_mul_f32_e32 v1, s15, v27
	v_fma_f32 v2, v26, s14, -v1
	v_ashrrev_i32_e32 v1, 31, v0
	v_lshlrev_b64 v[7:8], 3, v[0:1]
	v_mul_f32_e32 v3, s14, v27
	v_add_co_u32_e64 v7, s[0:1], v5, v7
	v_fmac_f32_e32 v3, s15, v26
	v_addc_co_u32_e64 v8, s[0:1], v6, v8, s[0:1]
	global_store_dwordx2 v[7:8], v[2:3], off
.LBB1145_12:
	s_or_b64 exec, exec, s[4:5]
	v_add_u32_e32 v2, 16, v0
	v_cmp_le_i32_e64 s[0:1], v2, v4
	s_and_b64 s[4:5], vcc, s[0:1]
	s_and_saveexec_b64 s[0:1], s[4:5]
	s_cbranch_execz .LBB1145_14
; %bb.13:
	v_ashrrev_i32_e32 v3, 31, v2
	v_lshlrev_b64 v[9:10], 3, v[2:3]
	v_mul_f32_e32 v1, s15, v25
	v_mul_f32_e32 v8, s14, v25
	v_add_co_u32_e32 v5, vcc, v5, v9
	v_fma_f32 v7, v24, s14, -v1
	v_fmac_f32_e32 v8, s15, v24
	v_addc_co_u32_e32 v6, vcc, v6, v10, vcc
	global_store_dwordx2 v[5:6], v[7:8], off
.LBB1145_14:
	s_or_b64 exec, exec, s[0:1]
	v_add_u32_e32 v3, 16, v4
	v_ashrrev_i32_e32 v1, 31, v3
	v_mul_lo_u32 v1, s2, v1
	v_mul_lo_u32 v6, s3, v3
	v_mad_u64_u32 v[4:5], s[0:1], s2, v3, 0
	v_cmp_gt_i32_e32 vcc, s9, v3
	v_add3_u32 v5, v5, v1, v6
	v_lshlrev_b64 v[4:5], 3, v[4:5]
	v_mov_b32_e32 v1, s7
	v_add_co_u32_e64 v4, s[0:1], s6, v4
	v_addc_co_u32_e64 v5, s[0:1], v1, v5, s[0:1]
	v_cmp_le_i32_e64 s[0:1], v0, v3
	s_and_b64 s[0:1], vcc, s[0:1]
	s_and_saveexec_b64 s[2:3], s[0:1]
	s_cbranch_execz .LBB1145_16
; %bb.15:
	v_mul_f32_e32 v1, s15, v21
	v_fma_f32 v6, v20, s14, -v1
	v_ashrrev_i32_e32 v1, 31, v0
	v_lshlrev_b64 v[0:1], 3, v[0:1]
	v_mul_f32_e32 v7, s14, v21
	v_add_co_u32_e64 v0, s[0:1], v4, v0
	v_fmac_f32_e32 v7, s15, v20
	v_addc_co_u32_e64 v1, s[0:1], v5, v1, s[0:1]
	global_store_dwordx2 v[0:1], v[6:7], off
.LBB1145_16:
	s_or_b64 exec, exec, s[2:3]
	v_cmp_le_i32_e64 s[0:1], v2, v3
	s_and_b64 s[0:1], vcc, s[0:1]
	s_and_saveexec_b64 s[2:3], s[0:1]
	s_cbranch_execz .LBB1145_18
; %bb.17:
	v_ashrrev_i32_e32 v3, 31, v2
	v_lshlrev_b64 v[2:3], 3, v[2:3]
	v_mul_f32_e32 v0, s15, v23
	v_mul_f32_e32 v1, s14, v23
	v_add_co_u32_e32 v2, vcc, v4, v2
	v_fma_f32 v0, v22, s14, -v0
	v_fmac_f32_e32 v1, s15, v22
	v_addc_co_u32_e32 v3, vcc, v5, v3, vcc
	global_store_dwordx2 v[2:3], v[0:1], off
.LBB1145_18:
	s_endpgm
	.section	.rodata,"a",@progbits
	.p2align	6, 0x0
	.amdhsa_kernel _ZL34rocblas_syrkx_herkx_general_kernelIl19rocblas_complex_numIfELi16ELi32ELi8ELb1ELb0ELc78ELc85EKS1_S1_EviT_T0_PT8_S3_lS6_S3_lS4_PT9_S3_li
		.amdhsa_group_segment_fixed_size 4096
		.amdhsa_private_segment_fixed_size 0
		.amdhsa_kernarg_size 108
		.amdhsa_user_sgpr_count 6
		.amdhsa_user_sgpr_private_segment_buffer 1
		.amdhsa_user_sgpr_dispatch_ptr 0
		.amdhsa_user_sgpr_queue_ptr 0
		.amdhsa_user_sgpr_kernarg_segment_ptr 1
		.amdhsa_user_sgpr_dispatch_id 0
		.amdhsa_user_sgpr_flat_scratch_init 0
		.amdhsa_user_sgpr_private_segment_size 0
		.amdhsa_uses_dynamic_stack 0
		.amdhsa_system_sgpr_private_segment_wavefront_offset 0
		.amdhsa_system_sgpr_workgroup_id_x 1
		.amdhsa_system_sgpr_workgroup_id_y 1
		.amdhsa_system_sgpr_workgroup_id_z 1
		.amdhsa_system_sgpr_workgroup_info 0
		.amdhsa_system_vgpr_workitem_id 1
		.amdhsa_next_free_vgpr 48
		.amdhsa_next_free_sgpr 30
		.amdhsa_reserve_vcc 1
		.amdhsa_reserve_flat_scratch 0
		.amdhsa_float_round_mode_32 0
		.amdhsa_float_round_mode_16_64 0
		.amdhsa_float_denorm_mode_32 3
		.amdhsa_float_denorm_mode_16_64 3
		.amdhsa_dx10_clamp 1
		.amdhsa_ieee_mode 1
		.amdhsa_fp16_overflow 0
		.amdhsa_exception_fp_ieee_invalid_op 0
		.amdhsa_exception_fp_denorm_src 0
		.amdhsa_exception_fp_ieee_div_zero 0
		.amdhsa_exception_fp_ieee_overflow 0
		.amdhsa_exception_fp_ieee_underflow 0
		.amdhsa_exception_fp_ieee_inexact 0
		.amdhsa_exception_int_div_zero 0
	.end_amdhsa_kernel
	.section	.text._ZL34rocblas_syrkx_herkx_general_kernelIl19rocblas_complex_numIfELi16ELi32ELi8ELb1ELb0ELc78ELc85EKS1_S1_EviT_T0_PT8_S3_lS6_S3_lS4_PT9_S3_li,"axG",@progbits,_ZL34rocblas_syrkx_herkx_general_kernelIl19rocblas_complex_numIfELi16ELi32ELi8ELb1ELb0ELc78ELc85EKS1_S1_EviT_T0_PT8_S3_lS6_S3_lS4_PT9_S3_li,comdat
.Lfunc_end1145:
	.size	_ZL34rocblas_syrkx_herkx_general_kernelIl19rocblas_complex_numIfELi16ELi32ELi8ELb1ELb0ELc78ELc85EKS1_S1_EviT_T0_PT8_S3_lS6_S3_lS4_PT9_S3_li, .Lfunc_end1145-_ZL34rocblas_syrkx_herkx_general_kernelIl19rocblas_complex_numIfELi16ELi32ELi8ELb1ELb0ELc78ELc85EKS1_S1_EviT_T0_PT8_S3_lS6_S3_lS4_PT9_S3_li
                                        ; -- End function
	.set _ZL34rocblas_syrkx_herkx_general_kernelIl19rocblas_complex_numIfELi16ELi32ELi8ELb1ELb0ELc78ELc85EKS1_S1_EviT_T0_PT8_S3_lS6_S3_lS4_PT9_S3_li.num_vgpr, 48
	.set _ZL34rocblas_syrkx_herkx_general_kernelIl19rocblas_complex_numIfELi16ELi32ELi8ELb1ELb0ELc78ELc85EKS1_S1_EviT_T0_PT8_S3_lS6_S3_lS4_PT9_S3_li.num_agpr, 0
	.set _ZL34rocblas_syrkx_herkx_general_kernelIl19rocblas_complex_numIfELi16ELi32ELi8ELb1ELb0ELc78ELc85EKS1_S1_EviT_T0_PT8_S3_lS6_S3_lS4_PT9_S3_li.numbered_sgpr, 30
	.set _ZL34rocblas_syrkx_herkx_general_kernelIl19rocblas_complex_numIfELi16ELi32ELi8ELb1ELb0ELc78ELc85EKS1_S1_EviT_T0_PT8_S3_lS6_S3_lS4_PT9_S3_li.num_named_barrier, 0
	.set _ZL34rocblas_syrkx_herkx_general_kernelIl19rocblas_complex_numIfELi16ELi32ELi8ELb1ELb0ELc78ELc85EKS1_S1_EviT_T0_PT8_S3_lS6_S3_lS4_PT9_S3_li.private_seg_size, 0
	.set _ZL34rocblas_syrkx_herkx_general_kernelIl19rocblas_complex_numIfELi16ELi32ELi8ELb1ELb0ELc78ELc85EKS1_S1_EviT_T0_PT8_S3_lS6_S3_lS4_PT9_S3_li.uses_vcc, 1
	.set _ZL34rocblas_syrkx_herkx_general_kernelIl19rocblas_complex_numIfELi16ELi32ELi8ELb1ELb0ELc78ELc85EKS1_S1_EviT_T0_PT8_S3_lS6_S3_lS4_PT9_S3_li.uses_flat_scratch, 0
	.set _ZL34rocblas_syrkx_herkx_general_kernelIl19rocblas_complex_numIfELi16ELi32ELi8ELb1ELb0ELc78ELc85EKS1_S1_EviT_T0_PT8_S3_lS6_S3_lS4_PT9_S3_li.has_dyn_sized_stack, 0
	.set _ZL34rocblas_syrkx_herkx_general_kernelIl19rocblas_complex_numIfELi16ELi32ELi8ELb1ELb0ELc78ELc85EKS1_S1_EviT_T0_PT8_S3_lS6_S3_lS4_PT9_S3_li.has_recursion, 0
	.set _ZL34rocblas_syrkx_herkx_general_kernelIl19rocblas_complex_numIfELi16ELi32ELi8ELb1ELb0ELc78ELc85EKS1_S1_EviT_T0_PT8_S3_lS6_S3_lS4_PT9_S3_li.has_indirect_call, 0
	.section	.AMDGPU.csdata,"",@progbits
; Kernel info:
; codeLenInByte = 2248
; TotalNumSgprs: 34
; NumVgprs: 48
; ScratchSize: 0
; MemoryBound: 1
; FloatMode: 240
; IeeeMode: 1
; LDSByteSize: 4096 bytes/workgroup (compile time only)
; SGPRBlocks: 4
; VGPRBlocks: 11
; NumSGPRsForWavesPerEU: 34
; NumVGPRsForWavesPerEU: 48
; Occupancy: 5
; WaveLimiterHint : 0
; COMPUTE_PGM_RSRC2:SCRATCH_EN: 0
; COMPUTE_PGM_RSRC2:USER_SGPR: 6
; COMPUTE_PGM_RSRC2:TRAP_HANDLER: 0
; COMPUTE_PGM_RSRC2:TGID_X_EN: 1
; COMPUTE_PGM_RSRC2:TGID_Y_EN: 1
; COMPUTE_PGM_RSRC2:TGID_Z_EN: 1
; COMPUTE_PGM_RSRC2:TIDIG_COMP_CNT: 1
	.section	.text._ZL34rocblas_syrkx_herkx_general_kernelIl19rocblas_complex_numIfELi16ELi32ELi8ELb0ELb0ELc84ELc76EKS1_S1_EviT_T0_PT8_S3_lS6_S3_lS4_PT9_S3_li,"axG",@progbits,_ZL34rocblas_syrkx_herkx_general_kernelIl19rocblas_complex_numIfELi16ELi32ELi8ELb0ELb0ELc84ELc76EKS1_S1_EviT_T0_PT8_S3_lS6_S3_lS4_PT9_S3_li,comdat
	.globl	_ZL34rocblas_syrkx_herkx_general_kernelIl19rocblas_complex_numIfELi16ELi32ELi8ELb0ELb0ELc84ELc76EKS1_S1_EviT_T0_PT8_S3_lS6_S3_lS4_PT9_S3_li ; -- Begin function _ZL34rocblas_syrkx_herkx_general_kernelIl19rocblas_complex_numIfELi16ELi32ELi8ELb0ELb0ELc84ELc76EKS1_S1_EviT_T0_PT8_S3_lS6_S3_lS4_PT9_S3_li
	.p2align	8
	.type	_ZL34rocblas_syrkx_herkx_general_kernelIl19rocblas_complex_numIfELi16ELi32ELi8ELb0ELb0ELc84ELc76EKS1_S1_EviT_T0_PT8_S3_lS6_S3_lS4_PT9_S3_li,@function
_ZL34rocblas_syrkx_herkx_general_kernelIl19rocblas_complex_numIfELi16ELi32ELi8ELb0ELb0ELc84ELc76EKS1_S1_EviT_T0_PT8_S3_lS6_S3_lS4_PT9_S3_li: ; @_ZL34rocblas_syrkx_herkx_general_kernelIl19rocblas_complex_numIfELi16ELi32ELi8ELb0ELb0ELc84ELc76EKS1_S1_EviT_T0_PT8_S3_lS6_S3_lS4_PT9_S3_li
; %bb.0:
	s_load_dwordx16 s[12:27], s[4:5], 0x8
	s_load_dword s9, s[4:5], 0x0
	s_lshl_b32 s28, s6, 5
	s_lshl_b32 s29, s7, 5
	s_waitcnt lgkmcnt(0)
	v_cmp_lt_i64_e64 s[0:1], s[12:13], 1
	s_and_b64 vcc, exec, s[0:1]
	s_cbranch_vccnz .LBB1146_11
; %bb.1:
	v_lshl_add_u32 v2, v1, 4, v0
	v_and_b32_e32 v5, 31, v2
	v_or_b32_e32 v6, s28, v5
	v_and_b32_e32 v11, 7, v0
	v_lshrrev_b32_e32 v3, 3, v2
	v_lshrrev_b32_e32 v10, 5, v2
	v_cmp_gt_i32_e32 vcc, s9, v6
	v_lshlrev_b32_e32 v2, 3, v5
	v_lshlrev_b32_e32 v6, 3, v11
	v_lshl_or_b32 v12, v10, 8, v2
	v_lshl_or_b32 v2, v3, 6, v6
	v_add_u32_e32 v13, 0x800, v2
	v_add_u32_e32 v2, s28, v5
	;; [unrolled: 1-line block ×3, first 2 shown]
	v_ashrrev_i32_e32 v3, 31, v2
	v_mul_lo_u32 v5, s18, v3
	v_mul_lo_u32 v8, s19, v2
	v_mad_u64_u32 v[2:3], s[2:3], s18, v2, 0
	s_mul_i32 s2, s21, s8
	s_mul_hi_u32 s3, s20, s8
	v_add3_u32 v3, v3, v5, v8
	v_lshlrev_b64 v[2:3], 3, v[2:3]
	s_add_i32 s3, s3, s2
	s_mul_i32 s2, s20, s8
	s_lshl_b64 s[2:3], s[2:3], 3
	v_mov_b32_e32 v5, s3
	v_add_co_u32_e64 v2, s[2:3], s2, v2
	v_addc_co_u32_e64 v3, s[2:3], v3, v5, s[2:3]
	v_lshlrev_b32_e32 v5, 3, v10
	v_ashrrev_i32_e32 v7, 31, v4
	v_mov_b32_e32 v9, 0x800
	v_add_co_u32_e64 v2, s[2:3], v2, v5
	v_cmp_gt_i32_e64 s[0:1], s9, v4
	v_lshl_add_u32 v15, v1, 6, v9
	v_addc_co_u32_e64 v3, s[2:3], 0, v3, s[2:3]
	v_mul_lo_u32 v7, s24, v7
	v_mul_lo_u32 v9, s25, v4
	v_mad_u64_u32 v[4:5], s[2:3], s24, v4, 0
	v_mov_b32_e32 v8, s17
	v_add_co_u32_e64 v2, s[2:3], s16, v2
	v_addc_co_u32_e64 v3, s[2:3], v8, v3, s[2:3]
	v_add3_u32 v5, v5, v7, v9
	s_mul_i32 s2, s27, s8
	s_mul_hi_u32 s3, s26, s8
	v_lshlrev_b64 v[4:5], 3, v[4:5]
	s_add_i32 s3, s3, s2
	s_mul_i32 s2, s26, s8
	s_lshl_b64 s[2:3], s[2:3], 3
	v_mov_b32_e32 v7, s3
	v_add_co_u32_e64 v4, s[2:3], s2, v4
	v_addc_co_u32_e64 v5, s[2:3], v5, v7, s[2:3]
	v_add_co_u32_e64 v4, s[2:3], v4, v6
	v_addc_co_u32_e64 v5, s[2:3], 0, v5, s[2:3]
	v_mov_b32_e32 v6, s23
	v_add_co_u32_e64 v4, s[2:3], s22, v4
	v_addc_co_u32_e64 v5, s[2:3], v6, v5, s[2:3]
	v_mov_b32_e32 v8, s12
	v_lshlrev_b32_e32 v14, 3, v0
	s_mov_b64 s[2:3], 0
	s_xor_b64 s[6:7], vcc, -1
	s_xor_b64 s[10:11], s[0:1], -1
	v_mov_b32_e32 v19, 0
	v_mov_b32_e32 v18, 0
	;; [unrolled: 1-line block ×10, first 2 shown]
	s_branch .LBB1146_3
.LBB1146_2:                             ;   in Loop: Header=BB1146_3 Depth=1
	s_or_b64 exec, exec, s[0:1]
	s_waitcnt lgkmcnt(0)
	s_barrier
	ds_read2_b64 v[24:27], v14 offset1:16
	ds_read_b128 v[28:31], v15
	ds_read_b128 v[32:35], v15 offset:16
	s_add_u32 s2, s2, 8
	v_add_co_u32_e32 v2, vcc, 64, v2
	s_waitcnt lgkmcnt(1)
	v_mul_f32_e32 v36, v28, v25
	v_fmac_f32_e32 v36, v29, v24
	v_add_f32_e32 v44, v21, v36
	ds_read_b128 v[36:39], v15 offset:1024
	v_mul_f32_e32 v7, v29, v25
	v_fma_f32 v7, v28, v24, -v7
	v_add_f32_e32 v7, v20, v7
	v_mul_f32_e32 v20, v29, v27
	v_mul_f32_e32 v21, v28, v27
	v_fma_f32 v20, v28, v26, -v20
	v_fmac_f32_e32 v21, v29, v26
	v_add_f32_e32 v28, v22, v20
	v_add_f32_e32 v29, v23, v21
	ds_read_b128 v[20:23], v15 offset:1040
	s_waitcnt lgkmcnt(1)
	v_mul_f32_e32 v40, v37, v25
	v_fma_f32 v40, v36, v24, -v40
	v_add_f32_e32 v45, v16, v40
	ds_read2_b64 v[40:43], v14 offset0:32 offset1:48
	v_mul_f32_e32 v25, v36, v25
	v_mul_f32_e32 v16, v37, v27
	v_fmac_f32_e32 v25, v37, v24
	v_fma_f32 v16, v36, v26, -v16
	v_add_f32_e32 v46, v17, v25
	v_mul_f32_e32 v17, v36, v27
	v_add_f32_e32 v36, v18, v16
	s_waitcnt lgkmcnt(0)
	v_mul_f32_e32 v16, v31, v41
	v_fma_f32 v47, v30, v40, -v16
	v_mul_f32_e32 v16, v31, v43
	v_fma_f32 v49, v30, v42, -v16
	v_mul_f32_e32 v48, v30, v41
	v_mul_f32_e32 v30, v30, v43
	v_add_f32_e32 v7, v7, v47
	v_add_f32_e32 v47, v28, v49
	v_mul_f32_e32 v28, v39, v41
	v_fmac_f32_e32 v17, v37, v26
	v_fmac_f32_e32 v48, v31, v40
	;; [unrolled: 1-line block ×3, first 2 shown]
	v_fma_f32 v49, v38, v40, -v28
	v_mul_f32_e32 v41, v38, v41
	v_mul_f32_e32 v28, v39, v43
	v_add_f32_e32 v37, v19, v17
	ds_read_b128 v[16:19], v15 offset:32
	ds_read_b128 v[24:27], v15 offset:48
	v_add_f32_e32 v44, v44, v48
	v_add_f32_e32 v48, v29, v30
	v_fmac_f32_e32 v41, v39, v40
	v_fma_f32 v40, v38, v42, -v28
	ds_read2_b64 v[28:31], v14 offset0:64 offset1:80
	v_add_f32_e32 v40, v36, v40
	v_mul_f32_e32 v38, v38, v43
	v_fmac_f32_e32 v38, v39, v42
	v_add_f32_e32 v42, v37, v38
	s_waitcnt lgkmcnt(0)
	v_mul_f32_e32 v36, v33, v29
	v_fma_f32 v36, v32, v28, -v36
	v_add_f32_e32 v7, v7, v36
	v_mul_f32_e32 v36, v33, v31
	v_mul_f32_e32 v37, v32, v29
	v_fma_f32 v36, v32, v30, -v36
	v_mul_f32_e32 v32, v32, v31
	v_fmac_f32_e32 v37, v33, v28
	v_fmac_f32_e32 v32, v33, v30
	v_add_f32_e32 v33, v47, v36
	v_mul_f32_e32 v36, v21, v29
	v_add_f32_e32 v39, v45, v49
	v_fma_f32 v36, v20, v28, -v36
	v_mul_f32_e32 v29, v20, v29
	v_add_f32_e32 v41, v46, v41
	v_fmac_f32_e32 v29, v21, v28
	v_add_f32_e32 v28, v39, v36
	v_mul_f32_e32 v36, v21, v31
	v_add_f32_e32 v43, v44, v37
	v_add_f32_e32 v29, v41, v29
	v_fma_f32 v41, v20, v30, -v36
	ds_read2_b64 v[36:39], v14 offset0:96 offset1:112
	v_mul_f32_e32 v20, v20, v31
	v_fmac_f32_e32 v20, v21, v30
	v_add_f32_e32 v21, v40, v41
	v_add_f32_e32 v32, v48, v32
	s_waitcnt lgkmcnt(0)
	v_mul_f32_e32 v30, v35, v37
	v_fma_f32 v30, v34, v36, -v30
	v_mul_f32_e32 v31, v34, v37
	v_fmac_f32_e32 v31, v35, v36
	v_add_f32_e32 v7, v7, v30
	v_mul_f32_e32 v30, v35, v39
	v_add_f32_e32 v40, v43, v31
	v_fma_f32 v30, v34, v38, -v30
	v_mul_f32_e32 v31, v34, v39
	v_fmac_f32_e32 v31, v35, v38
	v_add_f32_e32 v33, v33, v30
	v_mul_f32_e32 v30, v23, v37
	v_add_f32_e32 v32, v32, v31
	;; [unrolled: 6-line block ×3, first 2 shown]
	v_fma_f32 v34, v22, v38, -v28
	ds_read2_b64 v[28:31], v14 offset0:128 offset1:144
	v_mul_f32_e32 v22, v22, v39
	v_add_f32_e32 v20, v42, v20
	v_fmac_f32_e32 v22, v23, v38
	v_add_f32_e32 v42, v20, v22
	s_waitcnt lgkmcnt(0)
	v_mul_f32_e32 v20, v17, v29
	v_add_f32_e32 v41, v21, v34
	v_fma_f32 v20, v16, v28, -v20
	v_mul_f32_e32 v21, v16, v29
	v_fmac_f32_e32 v21, v17, v28
	v_add_f32_e32 v7, v7, v20
	v_mul_f32_e32 v20, v17, v31
	v_add_f32_e32 v40, v40, v21
	v_fma_f32 v34, v16, v30, -v20
	ds_read_b128 v[20:23], v15 offset:1056
	v_mul_f32_e32 v16, v16, v31
	v_fmac_f32_e32 v16, v17, v30
	v_add_f32_e32 v17, v33, v34
	v_add_f32_e32 v16, v32, v16
	ds_read_b128 v[32:35], v15 offset:1072
	s_waitcnt lgkmcnt(1)
	v_mul_f32_e32 v38, v21, v29
	v_fma_f32 v38, v20, v28, -v38
	v_mul_f32_e32 v29, v20, v29
	v_fmac_f32_e32 v29, v21, v28
	v_add_f32_e32 v28, v36, v38
	v_mul_f32_e32 v36, v21, v31
	v_add_f32_e32 v29, v37, v29
	v_fma_f32 v43, v20, v30, -v36
	ds_read2_b64 v[36:39], v14 offset0:160 offset1:176
	v_mul_f32_e32 v20, v20, v31
	v_fmac_f32_e32 v20, v21, v30
	v_add_f32_e32 v20, v42, v20
	v_add_f32_e32 v21, v41, v43
	s_waitcnt lgkmcnt(0)
	v_mul_f32_e32 v30, v19, v37
	v_mul_f32_e32 v31, v18, v37
	v_fma_f32 v30, v18, v36, -v30
	v_fmac_f32_e32 v31, v19, v36
	v_add_f32_e32 v7, v7, v30
	v_add_f32_e32 v30, v40, v31
	v_mul_f32_e32 v31, v19, v39
	v_fma_f32 v31, v18, v38, -v31
	v_mul_f32_e32 v18, v18, v39
	v_fmac_f32_e32 v18, v19, v38
	v_add_f32_e32 v40, v16, v18
	v_mul_f32_e32 v16, v23, v37
	v_add_f32_e32 v31, v17, v31
	v_fma_f32 v16, v22, v36, -v16
	v_mul_f32_e32 v17, v22, v37
	v_fmac_f32_e32 v17, v23, v36
	v_add_f32_e32 v28, v28, v16
	v_mul_f32_e32 v16, v23, v39
	v_add_f32_e32 v29, v29, v17
	v_fma_f32 v36, v22, v38, -v16
	ds_read2_b64 v[16:19], v14 offset0:192 offset1:208
	v_mul_f32_e32 v22, v22, v39
	v_fmac_f32_e32 v22, v23, v38
	v_add_f32_e32 v20, v20, v22
	v_add_f32_e32 v21, v21, v36
	s_waitcnt lgkmcnt(0)
	v_mul_f32_e32 v22, v25, v17
	v_mul_f32_e32 v23, v24, v17
	v_fma_f32 v22, v24, v16, -v22
	v_fmac_f32_e32 v23, v25, v16
	v_add_f32_e32 v7, v7, v22
	v_add_f32_e32 v22, v30, v23
	v_mul_f32_e32 v23, v25, v19
	v_fma_f32 v23, v24, v18, -v23
	v_mul_f32_e32 v24, v24, v19
	v_fmac_f32_e32 v24, v25, v18
	v_mul_f32_e32 v25, v33, v17
	v_mul_f32_e32 v17, v32, v17
	v_fma_f32 v25, v32, v16, -v25
	v_fmac_f32_e32 v17, v33, v16
	v_add_f32_e32 v23, v31, v23
	v_add_f32_e32 v16, v28, v25
	;; [unrolled: 1-line block ×3, first 2 shown]
	ds_read2_b64 v[28:31], v14 offset0:224 offset1:240
	v_mul_f32_e32 v25, v33, v19
	v_mul_f32_e32 v19, v32, v19
	v_fmac_f32_e32 v19, v33, v18
	v_add_f32_e32 v19, v20, v19
	s_waitcnt lgkmcnt(0)
	v_mul_f32_e32 v20, v27, v29
	v_fma_f32 v25, v32, v18, -v25
	v_fma_f32 v20, v26, v28, -v20
	v_add_f32_e32 v18, v21, v25
	v_mul_f32_e32 v21, v26, v29
	v_add_f32_e32 v20, v7, v20
	v_mul_f32_e32 v7, v27, v31
	v_mul_f32_e32 v25, v26, v31
	v_add_f32_e32 v24, v40, v24
	v_fmac_f32_e32 v21, v27, v28
	v_fma_f32 v7, v26, v30, -v7
	v_fmac_f32_e32 v25, v27, v30
	v_add_f32_e32 v21, v22, v21
	v_add_f32_e32 v22, v23, v7
	;; [unrolled: 1-line block ×3, first 2 shown]
	v_mul_f32_e32 v7, v35, v29
	v_mul_f32_e32 v24, v34, v29
	v_fma_f32 v7, v34, v28, -v7
	v_fmac_f32_e32 v24, v35, v28
	s_addc_u32 s3, s3, 0
	v_addc_co_u32_e32 v3, vcc, 0, v3, vcc
	v_add_f32_e32 v16, v16, v7
	v_add_f32_e32 v17, v17, v24
	v_mul_f32_e32 v7, v35, v31
	v_mul_f32_e32 v24, v34, v31
	v_cmp_ge_i64_e32 vcc, s[2:3], v[8:9]
	v_fma_f32 v7, v34, v30, -v7
	v_fmac_f32_e32 v24, v35, v30
	v_add_co_u32_e64 v4, s[0:1], 64, v4
	v_add_f32_e32 v18, v18, v7
	v_add_f32_e32 v19, v19, v24
	v_addc_co_u32_e64 v5, s[0:1], 0, v5, s[0:1]
	s_barrier
	s_cbranch_vccnz .LBB1146_12
.LBB1146_3:                             ; =>This Inner Loop Header: Depth=1
	v_mov_b32_e32 v7, s3
	v_add_co_u32_e32 v24, vcc, s2, v10
	v_addc_co_u32_e32 v25, vcc, 0, v7, vcc
	v_cmp_le_i64_e32 vcc, s[12:13], v[24:25]
	s_or_b64 s[0:1], s[6:7], vcc
	s_and_saveexec_b64 s[16:17], s[0:1]
	s_xor_b64 s[0:1], exec, s[16:17]
; %bb.4:                                ;   in Loop: Header=BB1146_3 Depth=1
	v_mov_b32_e32 v7, v6
	ds_write_b64 v12, v[6:7]
; %bb.5:                                ;   in Loop: Header=BB1146_3 Depth=1
	s_andn2_saveexec_b64 s[0:1], s[0:1]
	s_cbranch_execz .LBB1146_7
; %bb.6:                                ;   in Loop: Header=BB1146_3 Depth=1
	global_load_dwordx2 v[24:25], v[2:3], off
	s_waitcnt vmcnt(0)
	ds_write_b64 v12, v[24:25]
.LBB1146_7:                             ;   in Loop: Header=BB1146_3 Depth=1
	s_or_b64 exec, exec, s[0:1]
	v_mov_b32_e32 v7, s3
	v_add_co_u32_e32 v24, vcc, s2, v11
	v_addc_co_u32_e32 v25, vcc, 0, v7, vcc
	v_cmp_le_i64_e32 vcc, s[12:13], v[24:25]
	s_or_b64 s[0:1], vcc, s[10:11]
	s_and_saveexec_b64 s[16:17], s[0:1]
	s_xor_b64 s[0:1], exec, s[16:17]
; %bb.8:                                ;   in Loop: Header=BB1146_3 Depth=1
	v_mov_b32_e32 v7, v6
	ds_write_b64 v13, v[6:7]
; %bb.9:                                ;   in Loop: Header=BB1146_3 Depth=1
	s_andn2_saveexec_b64 s[0:1], s[0:1]
	s_cbranch_execz .LBB1146_2
; %bb.10:                               ;   in Loop: Header=BB1146_3 Depth=1
	global_load_dwordx2 v[24:25], v[4:5], off
	s_waitcnt vmcnt(0)
	ds_write_b64 v13, v[24:25]
	s_branch .LBB1146_2
.LBB1146_11:
	v_mov_b32_e32 v20, 0
	v_mov_b32_e32 v21, 0
	;; [unrolled: 1-line block ×8, first 2 shown]
.LBB1146_12:
	s_load_dwordx8 s[16:23], s[4:5], 0x48
	v_add_u32_e32 v4, s29, v1
	v_ashrrev_i32_e32 v1, 31, v4
	v_add_u32_e32 v0, s28, v0
	s_waitcnt lgkmcnt(0)
	v_mul_lo_u32 v3, s20, v1
	v_mul_lo_u32 v5, s21, v4
	v_mad_u64_u32 v[1:2], s[2:3], s20, v4, 0
	s_mul_i32 s0, s23, s8
	s_mul_hi_u32 s1, s22, s8
	s_add_i32 s1, s1, s0
	s_mul_i32 s0, s22, s8
	s_lshl_b64 s[0:1], s[0:1], 3
	v_add3_u32 v2, v2, v3, v5
	s_add_u32 s6, s18, s0
	v_lshlrev_b64 v[1:2], 3, v[1:2]
	s_addc_u32 s7, s19, s1
	v_mov_b32_e32 v3, s7
	v_add_co_u32_e32 v5, vcc, s6, v1
	v_addc_co_u32_e32 v6, vcc, v3, v2, vcc
	v_cmp_le_i32_e64 s[0:1], v4, v0
	v_cmp_gt_i32_e32 vcc, s9, v0
	s_and_b64 s[0:1], s[0:1], vcc
	s_and_saveexec_b64 s[2:3], s[0:1]
	s_cbranch_execz .LBB1146_14
; %bb.13:
	v_ashrrev_i32_e32 v1, 31, v0
	v_lshlrev_b64 v[1:2], 3, v[0:1]
	v_mul_f32_e32 v3, s15, v21
	v_add_co_u32_e64 v1, s[0:1], v5, v1
	v_addc_co_u32_e64 v2, s[0:1], v6, v2, s[0:1]
	global_load_dwordx2 v[7:8], v[1:2], off
	v_mul_f32_e32 v9, s14, v21
	v_fma_f32 v3, v20, s14, -v3
	v_fmac_f32_e32 v9, s15, v20
	s_waitcnt vmcnt(0)
	v_mul_f32_e32 v10, s17, v8
	v_mul_f32_e32 v8, s16, v8
	v_fma_f32 v10, v7, s16, -v10
	v_fmac_f32_e32 v8, s17, v7
	v_add_f32_e32 v7, v3, v10
	v_add_f32_e32 v8, v9, v8
	global_store_dwordx2 v[1:2], v[7:8], off
.LBB1146_14:
	s_or_b64 exec, exec, s[2:3]
	v_add_u32_e32 v2, 16, v0
	v_cmp_le_i32_e64 s[2:3], v4, v2
	v_cmp_gt_i32_e64 s[0:1], s9, v2
	s_and_b64 s[2:3], s[2:3], s[0:1]
	s_and_saveexec_b64 s[4:5], s[2:3]
	s_cbranch_execz .LBB1146_16
; %bb.15:
	v_ashrrev_i32_e32 v3, 31, v2
	v_lshlrev_b64 v[7:8], 3, v[2:3]
	v_mul_f32_e32 v1, s15, v23
	v_add_co_u32_e64 v5, s[2:3], v5, v7
	v_addc_co_u32_e64 v6, s[2:3], v6, v8, s[2:3]
	global_load_dwordx2 v[7:8], v[5:6], off
	v_mul_f32_e32 v3, s14, v23
	v_fma_f32 v1, v22, s14, -v1
	v_fmac_f32_e32 v3, s15, v22
	s_waitcnt vmcnt(0)
	v_mul_f32_e32 v9, s17, v8
	v_mul_f32_e32 v8, s16, v8
	v_fma_f32 v9, v7, s16, -v9
	v_fmac_f32_e32 v8, s17, v7
	v_add_f32_e32 v7, v1, v9
	v_add_f32_e32 v8, v3, v8
	global_store_dwordx2 v[5:6], v[7:8], off
.LBB1146_16:
	s_or_b64 exec, exec, s[4:5]
	v_add_u32_e32 v3, 16, v4
	v_ashrrev_i32_e32 v1, 31, v3
	v_mul_lo_u32 v6, s21, v3
	v_mad_u64_u32 v[4:5], s[2:3], s20, v3, 0
	v_mul_lo_u32 v1, s20, v1
	v_add3_u32 v5, v5, v1, v6
	v_lshlrev_b64 v[4:5], 3, v[4:5]
	v_mov_b32_e32 v1, s7
	v_add_co_u32_e64 v4, s[2:3], s6, v4
	v_addc_co_u32_e64 v5, s[2:3], v1, v5, s[2:3]
	v_cmp_le_i32_e64 s[2:3], v3, v0
	s_and_b64 s[4:5], s[2:3], vcc
	s_and_saveexec_b64 s[2:3], s[4:5]
	s_cbranch_execz .LBB1146_18
; %bb.17:
	v_ashrrev_i32_e32 v1, 31, v0
	v_lshlrev_b64 v[0:1], 3, v[0:1]
	v_mul_f32_e32 v8, s15, v17
	v_add_co_u32_e32 v0, vcc, v4, v0
	v_addc_co_u32_e32 v1, vcc, v5, v1, vcc
	global_load_dwordx2 v[6:7], v[0:1], off
	v_mul_f32_e32 v9, s14, v17
	v_fma_f32 v8, v16, s14, -v8
	v_fmac_f32_e32 v9, s15, v16
	s_waitcnt vmcnt(0)
	v_mul_f32_e32 v10, s17, v7
	v_mul_f32_e32 v7, s16, v7
	v_fma_f32 v10, v6, s16, -v10
	v_fmac_f32_e32 v7, s17, v6
	v_add_f32_e32 v6, v8, v10
	v_add_f32_e32 v7, v9, v7
	global_store_dwordx2 v[0:1], v[6:7], off
.LBB1146_18:
	s_or_b64 exec, exec, s[2:3]
	v_cmp_le_i32_e32 vcc, v3, v2
	s_and_b64 s[0:1], vcc, s[0:1]
	s_and_saveexec_b64 s[2:3], s[0:1]
	s_cbranch_execz .LBB1146_20
; %bb.19:
	v_ashrrev_i32_e32 v3, 31, v2
	v_lshlrev_b64 v[0:1], 3, v[2:3]
	v_add_co_u32_e32 v0, vcc, v4, v0
	v_addc_co_u32_e32 v1, vcc, v5, v1, vcc
	global_load_dwordx2 v[2:3], v[0:1], off
	v_mul_f32_e32 v4, s15, v19
	v_mul_f32_e32 v5, s14, v19
	v_fma_f32 v4, v18, s14, -v4
	v_fmac_f32_e32 v5, s15, v18
	s_waitcnt vmcnt(0)
	v_mul_f32_e32 v6, s17, v3
	v_mul_f32_e32 v3, s16, v3
	v_fma_f32 v6, v2, s16, -v6
	v_fmac_f32_e32 v3, s17, v2
	v_add_f32_e32 v2, v4, v6
	v_add_f32_e32 v3, v5, v3
	global_store_dwordx2 v[0:1], v[2:3], off
.LBB1146_20:
	s_endpgm
	.section	.rodata,"a",@progbits
	.p2align	6, 0x0
	.amdhsa_kernel _ZL34rocblas_syrkx_herkx_general_kernelIl19rocblas_complex_numIfELi16ELi32ELi8ELb0ELb0ELc84ELc76EKS1_S1_EviT_T0_PT8_S3_lS6_S3_lS4_PT9_S3_li
		.amdhsa_group_segment_fixed_size 4096
		.amdhsa_private_segment_fixed_size 0
		.amdhsa_kernarg_size 108
		.amdhsa_user_sgpr_count 6
		.amdhsa_user_sgpr_private_segment_buffer 1
		.amdhsa_user_sgpr_dispatch_ptr 0
		.amdhsa_user_sgpr_queue_ptr 0
		.amdhsa_user_sgpr_kernarg_segment_ptr 1
		.amdhsa_user_sgpr_dispatch_id 0
		.amdhsa_user_sgpr_flat_scratch_init 0
		.amdhsa_user_sgpr_private_segment_size 0
		.amdhsa_uses_dynamic_stack 0
		.amdhsa_system_sgpr_private_segment_wavefront_offset 0
		.amdhsa_system_sgpr_workgroup_id_x 1
		.amdhsa_system_sgpr_workgroup_id_y 1
		.amdhsa_system_sgpr_workgroup_id_z 1
		.amdhsa_system_sgpr_workgroup_info 0
		.amdhsa_system_vgpr_workitem_id 1
		.amdhsa_next_free_vgpr 50
		.amdhsa_next_free_sgpr 30
		.amdhsa_reserve_vcc 1
		.amdhsa_reserve_flat_scratch 0
		.amdhsa_float_round_mode_32 0
		.amdhsa_float_round_mode_16_64 0
		.amdhsa_float_denorm_mode_32 3
		.amdhsa_float_denorm_mode_16_64 3
		.amdhsa_dx10_clamp 1
		.amdhsa_ieee_mode 1
		.amdhsa_fp16_overflow 0
		.amdhsa_exception_fp_ieee_invalid_op 0
		.amdhsa_exception_fp_denorm_src 0
		.amdhsa_exception_fp_ieee_div_zero 0
		.amdhsa_exception_fp_ieee_overflow 0
		.amdhsa_exception_fp_ieee_underflow 0
		.amdhsa_exception_fp_ieee_inexact 0
		.amdhsa_exception_int_div_zero 0
	.end_amdhsa_kernel
	.section	.text._ZL34rocblas_syrkx_herkx_general_kernelIl19rocblas_complex_numIfELi16ELi32ELi8ELb0ELb0ELc84ELc76EKS1_S1_EviT_T0_PT8_S3_lS6_S3_lS4_PT9_S3_li,"axG",@progbits,_ZL34rocblas_syrkx_herkx_general_kernelIl19rocblas_complex_numIfELi16ELi32ELi8ELb0ELb0ELc84ELc76EKS1_S1_EviT_T0_PT8_S3_lS6_S3_lS4_PT9_S3_li,comdat
.Lfunc_end1146:
	.size	_ZL34rocblas_syrkx_herkx_general_kernelIl19rocblas_complex_numIfELi16ELi32ELi8ELb0ELb0ELc84ELc76EKS1_S1_EviT_T0_PT8_S3_lS6_S3_lS4_PT9_S3_li, .Lfunc_end1146-_ZL34rocblas_syrkx_herkx_general_kernelIl19rocblas_complex_numIfELi16ELi32ELi8ELb0ELb0ELc84ELc76EKS1_S1_EviT_T0_PT8_S3_lS6_S3_lS4_PT9_S3_li
                                        ; -- End function
	.set _ZL34rocblas_syrkx_herkx_general_kernelIl19rocblas_complex_numIfELi16ELi32ELi8ELb0ELb0ELc84ELc76EKS1_S1_EviT_T0_PT8_S3_lS6_S3_lS4_PT9_S3_li.num_vgpr, 50
	.set _ZL34rocblas_syrkx_herkx_general_kernelIl19rocblas_complex_numIfELi16ELi32ELi8ELb0ELb0ELc84ELc76EKS1_S1_EviT_T0_PT8_S3_lS6_S3_lS4_PT9_S3_li.num_agpr, 0
	.set _ZL34rocblas_syrkx_herkx_general_kernelIl19rocblas_complex_numIfELi16ELi32ELi8ELb0ELb0ELc84ELc76EKS1_S1_EviT_T0_PT8_S3_lS6_S3_lS4_PT9_S3_li.numbered_sgpr, 30
	.set _ZL34rocblas_syrkx_herkx_general_kernelIl19rocblas_complex_numIfELi16ELi32ELi8ELb0ELb0ELc84ELc76EKS1_S1_EviT_T0_PT8_S3_lS6_S3_lS4_PT9_S3_li.num_named_barrier, 0
	.set _ZL34rocblas_syrkx_herkx_general_kernelIl19rocblas_complex_numIfELi16ELi32ELi8ELb0ELb0ELc84ELc76EKS1_S1_EviT_T0_PT8_S3_lS6_S3_lS4_PT9_S3_li.private_seg_size, 0
	.set _ZL34rocblas_syrkx_herkx_general_kernelIl19rocblas_complex_numIfELi16ELi32ELi8ELb0ELb0ELc84ELc76EKS1_S1_EviT_T0_PT8_S3_lS6_S3_lS4_PT9_S3_li.uses_vcc, 1
	.set _ZL34rocblas_syrkx_herkx_general_kernelIl19rocblas_complex_numIfELi16ELi32ELi8ELb0ELb0ELc84ELc76EKS1_S1_EviT_T0_PT8_S3_lS6_S3_lS4_PT9_S3_li.uses_flat_scratch, 0
	.set _ZL34rocblas_syrkx_herkx_general_kernelIl19rocblas_complex_numIfELi16ELi32ELi8ELb0ELb0ELc84ELc76EKS1_S1_EviT_T0_PT8_S3_lS6_S3_lS4_PT9_S3_li.has_dyn_sized_stack, 0
	.set _ZL34rocblas_syrkx_herkx_general_kernelIl19rocblas_complex_numIfELi16ELi32ELi8ELb0ELb0ELc84ELc76EKS1_S1_EviT_T0_PT8_S3_lS6_S3_lS4_PT9_S3_li.has_recursion, 0
	.set _ZL34rocblas_syrkx_herkx_general_kernelIl19rocblas_complex_numIfELi16ELi32ELi8ELb0ELb0ELc84ELc76EKS1_S1_EviT_T0_PT8_S3_lS6_S3_lS4_PT9_S3_li.has_indirect_call, 0
	.section	.AMDGPU.csdata,"",@progbits
; Kernel info:
; codeLenInByte = 2392
; TotalNumSgprs: 34
; NumVgprs: 50
; ScratchSize: 0
; MemoryBound: 1
; FloatMode: 240
; IeeeMode: 1
; LDSByteSize: 4096 bytes/workgroup (compile time only)
; SGPRBlocks: 4
; VGPRBlocks: 12
; NumSGPRsForWavesPerEU: 34
; NumVGPRsForWavesPerEU: 50
; Occupancy: 4
; WaveLimiterHint : 0
; COMPUTE_PGM_RSRC2:SCRATCH_EN: 0
; COMPUTE_PGM_RSRC2:USER_SGPR: 6
; COMPUTE_PGM_RSRC2:TRAP_HANDLER: 0
; COMPUTE_PGM_RSRC2:TGID_X_EN: 1
; COMPUTE_PGM_RSRC2:TGID_Y_EN: 1
; COMPUTE_PGM_RSRC2:TGID_Z_EN: 1
; COMPUTE_PGM_RSRC2:TIDIG_COMP_CNT: 1
	.section	.text._ZL34rocblas_syrkx_herkx_general_kernelIl19rocblas_complex_numIfELi16ELi32ELi8ELb0ELb0ELc67ELc76EKS1_S1_EviT_T0_PT8_S3_lS6_S3_lS4_PT9_S3_li,"axG",@progbits,_ZL34rocblas_syrkx_herkx_general_kernelIl19rocblas_complex_numIfELi16ELi32ELi8ELb0ELb0ELc67ELc76EKS1_S1_EviT_T0_PT8_S3_lS6_S3_lS4_PT9_S3_li,comdat
	.globl	_ZL34rocblas_syrkx_herkx_general_kernelIl19rocblas_complex_numIfELi16ELi32ELi8ELb0ELb0ELc67ELc76EKS1_S1_EviT_T0_PT8_S3_lS6_S3_lS4_PT9_S3_li ; -- Begin function _ZL34rocblas_syrkx_herkx_general_kernelIl19rocblas_complex_numIfELi16ELi32ELi8ELb0ELb0ELc67ELc76EKS1_S1_EviT_T0_PT8_S3_lS6_S3_lS4_PT9_S3_li
	.p2align	8
	.type	_ZL34rocblas_syrkx_herkx_general_kernelIl19rocblas_complex_numIfELi16ELi32ELi8ELb0ELb0ELc67ELc76EKS1_S1_EviT_T0_PT8_S3_lS6_S3_lS4_PT9_S3_li,@function
_ZL34rocblas_syrkx_herkx_general_kernelIl19rocblas_complex_numIfELi16ELi32ELi8ELb0ELb0ELc67ELc76EKS1_S1_EviT_T0_PT8_S3_lS6_S3_lS4_PT9_S3_li: ; @_ZL34rocblas_syrkx_herkx_general_kernelIl19rocblas_complex_numIfELi16ELi32ELi8ELb0ELb0ELc67ELc76EKS1_S1_EviT_T0_PT8_S3_lS6_S3_lS4_PT9_S3_li
; %bb.0:
	s_load_dwordx16 s[12:27], s[4:5], 0x8
	s_load_dword s9, s[4:5], 0x0
	s_lshl_b32 s28, s6, 5
	s_lshl_b32 s29, s7, 5
	s_waitcnt lgkmcnt(0)
	v_cmp_lt_i64_e64 s[0:1], s[12:13], 1
	s_and_b64 vcc, exec, s[0:1]
	s_cbranch_vccnz .LBB1147_9
; %bb.1:
	v_lshl_add_u32 v2, v1, 4, v0
	v_and_b32_e32 v5, 31, v2
	v_or_b32_e32 v6, s28, v5
	v_and_b32_e32 v13, 7, v0
	v_lshrrev_b32_e32 v3, 3, v2
	v_lshrrev_b32_e32 v12, 5, v2
	v_cmp_gt_i32_e64 s[0:1], s9, v6
	v_lshlrev_b32_e32 v2, 3, v5
	v_lshlrev_b32_e32 v6, 3, v13
	v_lshl_or_b32 v14, v12, 8, v2
	v_lshl_or_b32 v2, v3, 6, v6
	v_add_u32_e32 v15, 0x800, v2
	v_add_u32_e32 v2, s28, v5
	;; [unrolled: 1-line block ×3, first 2 shown]
	v_ashrrev_i32_e32 v3, 31, v2
	v_mul_lo_u32 v5, s18, v3
	v_mul_lo_u32 v8, s19, v2
	v_mad_u64_u32 v[2:3], s[2:3], s18, v2, 0
	s_mul_i32 s2, s21, s8
	s_mul_hi_u32 s3, s20, s8
	v_add3_u32 v3, v3, v5, v8
	v_lshlrev_b64 v[2:3], 3, v[2:3]
	s_add_i32 s3, s3, s2
	s_mul_i32 s2, s20, s8
	s_lshl_b64 s[2:3], s[2:3], 3
	v_mov_b32_e32 v5, s3
	v_add_co_u32_e64 v2, s[2:3], s2, v2
	v_addc_co_u32_e64 v3, s[2:3], v3, v5, s[2:3]
	v_lshlrev_b32_e32 v5, 3, v12
	v_add_co_u32_e64 v2, s[2:3], v2, v5
	v_addc_co_u32_e64 v3, s[2:3], 0, v3, s[2:3]
	v_ashrrev_i32_e32 v7, 31, v4
	v_mov_b32_e32 v5, s17
	v_add_co_u32_e64 v2, s[2:3], s16, v2
	v_cmp_gt_i32_e32 vcc, s9, v4
	v_addc_co_u32_e64 v3, s[2:3], v5, v3, s[2:3]
	v_mul_lo_u32 v7, s24, v7
	v_mul_lo_u32 v8, s25, v4
	v_mad_u64_u32 v[4:5], s[2:3], s24, v4, 0
	v_add_co_u32_e64 v2, s[2:3], 4, v2
	v_addc_co_u32_e64 v3, s[2:3], 0, v3, s[2:3]
	v_add3_u32 v5, v5, v7, v8
	s_mul_i32 s2, s27, s8
	s_mul_hi_u32 s3, s26, s8
	v_lshlrev_b64 v[4:5], 3, v[4:5]
	s_add_i32 s3, s3, s2
	s_mul_i32 s2, s26, s8
	s_lshl_b64 s[2:3], s[2:3], 3
	v_mov_b32_e32 v7, s3
	v_add_co_u32_e64 v4, s[2:3], s2, v4
	v_addc_co_u32_e64 v5, s[2:3], v5, v7, s[2:3]
	v_add_co_u32_e64 v4, s[2:3], v4, v6
	v_mov_b32_e32 v9, 0x800
	v_addc_co_u32_e64 v5, s[2:3], 0, v5, s[2:3]
	v_lshl_add_u32 v17, v1, 6, v9
	v_mov_b32_e32 v6, s23
	v_add_co_u32_e64 v4, s[2:3], s22, v4
	v_mov_b32_e32 v8, s12
	v_lshlrev_b32_e32 v16, 3, v0
	v_addc_co_u32_e64 v5, s[2:3], v6, v5, s[2:3]
	s_mov_b64 s[6:7], 0
	s_xor_b64 s[10:11], vcc, -1
	v_mov_b32_e32 v21, 0
	v_mov_b32_e32 v20, 0
	;; [unrolled: 1-line block ×10, first 2 shown]
	s_branch .LBB1147_3
.LBB1147_2:                             ;   in Loop: Header=BB1147_3 Depth=1
	s_or_b64 exec, exec, s[2:3]
	s_waitcnt lgkmcnt(0)
	s_barrier
	ds_read2_b64 v[26:29], v16 offset1:16
	ds_read_b128 v[30:33], v17
	ds_read_b128 v[34:37], v17 offset:16
	ds_read_b128 v[38:41], v17 offset:1024
	ds_read2_b64 v[42:45], v16 offset0:32 offset1:48
	s_add_u32 s6, s6, 8
	s_waitcnt lgkmcnt(3)
	v_mul_f32_e32 v7, v31, v27
	v_fma_f32 v7, v30, v26, -v7
	v_mul_f32_e32 v10, v30, v27
	v_add_f32_e32 v7, v22, v7
	v_mul_f32_e32 v11, v31, v29
	v_mul_f32_e32 v22, v30, v29
	v_fmac_f32_e32 v10, v31, v26
	v_fma_f32 v11, v30, v28, -v11
	v_fmac_f32_e32 v22, v31, v28
	v_add_f32_e32 v10, v23, v10
	v_add_f32_e32 v11, v24, v11
	;; [unrolled: 1-line block ×3, first 2 shown]
	ds_read_b128 v[22:25], v17 offset:1040
	s_waitcnt lgkmcnt(2)
	v_mul_f32_e32 v31, v39, v27
	v_fma_f32 v31, v38, v26, -v31
	v_mul_f32_e32 v27, v38, v27
	v_add_f32_e32 v46, v18, v31
	v_mul_f32_e32 v18, v39, v29
	v_fmac_f32_e32 v27, v39, v26
	v_fma_f32 v18, v38, v28, -v18
	v_add_f32_e32 v47, v19, v27
	v_mul_f32_e32 v19, v38, v29
	v_add_f32_e32 v38, v20, v18
	s_waitcnt lgkmcnt(1)
	v_mul_f32_e32 v18, v33, v43
	v_fma_f32 v31, v32, v42, -v18
	v_mul_f32_e32 v18, v33, v45
	v_mul_f32_e32 v48, v32, v43
	v_fma_f32 v49, v32, v44, -v18
	v_mul_f32_e32 v32, v32, v45
	v_fmac_f32_e32 v48, v33, v42
	v_fmac_f32_e32 v32, v33, v44
	v_add_f32_e32 v10, v10, v48
	v_add_f32_e32 v48, v30, v32
	v_mul_f32_e32 v30, v41, v43
	v_fmac_f32_e32 v19, v39, v28
	v_add_f32_e32 v11, v11, v49
	v_fma_f32 v49, v40, v42, -v30
	v_mul_f32_e32 v43, v40, v43
	v_mul_f32_e32 v30, v41, v45
	v_add_f32_e32 v39, v21, v19
	ds_read_b128 v[18:21], v17 offset:32
	ds_read_b128 v[26:29], v17 offset:48
	v_add_f32_e32 v7, v7, v31
	v_fmac_f32_e32 v43, v41, v42
	v_fma_f32 v42, v40, v44, -v30
	ds_read2_b64 v[30:33], v16 offset0:64 offset1:80
	v_add_f32_e32 v42, v38, v42
	v_mul_f32_e32 v40, v40, v45
	v_fmac_f32_e32 v40, v41, v44
	v_add_f32_e32 v44, v39, v40
	s_waitcnt lgkmcnt(0)
	v_mul_f32_e32 v38, v35, v31
	v_fma_f32 v38, v34, v30, -v38
	v_add_f32_e32 v7, v7, v38
	v_mul_f32_e32 v38, v35, v33
	v_mul_f32_e32 v39, v34, v31
	v_fma_f32 v38, v34, v32, -v38
	v_mul_f32_e32 v34, v34, v33
	v_fmac_f32_e32 v39, v35, v30
	v_fmac_f32_e32 v34, v35, v32
	v_mul_f32_e32 v35, v23, v31
	v_add_f32_e32 v41, v46, v49
	v_fma_f32 v35, v22, v30, -v35
	v_mul_f32_e32 v31, v22, v31
	v_add_f32_e32 v10, v10, v39
	v_add_f32_e32 v11, v11, v38
	v_fmac_f32_e32 v31, v23, v30
	v_add_f32_e32 v30, v41, v35
	ds_read2_b64 v[38:41], v16 offset0:96 offset1:112
	v_mul_f32_e32 v35, v23, v33
	v_fma_f32 v35, v22, v32, -v35
	v_mul_f32_e32 v22, v22, v33
	v_fmac_f32_e32 v22, v23, v32
	s_waitcnt lgkmcnt(0)
	v_mul_f32_e32 v32, v37, v39
	v_fma_f32 v32, v36, v38, -v32
	v_mul_f32_e32 v33, v36, v39
	v_fmac_f32_e32 v33, v37, v38
	v_add_f32_e32 v7, v7, v32
	v_mul_f32_e32 v32, v37, v41
	v_add_f32_e32 v10, v10, v33
	v_fma_f32 v32, v36, v40, -v32
	v_mul_f32_e32 v33, v36, v41
	v_add_f32_e32 v34, v48, v34
	v_fmac_f32_e32 v33, v37, v40
	v_add_f32_e32 v11, v11, v32
	v_mul_f32_e32 v32, v25, v39
	v_add_f32_e32 v43, v47, v43
	v_add_f32_e32 v34, v34, v33
	v_fma_f32 v32, v24, v38, -v32
	v_mul_f32_e32 v33, v24, v39
	v_add_f32_e32 v31, v43, v31
	v_fmac_f32_e32 v33, v25, v38
	v_add_f32_e32 v38, v30, v32
	v_mul_f32_e32 v30, v25, v41
	v_add_f32_e32 v23, v42, v35
	v_add_f32_e32 v39, v31, v33
	v_fma_f32 v35, v24, v40, -v30
	ds_read2_b64 v[30:33], v16 offset0:128 offset1:144
	v_mul_f32_e32 v24, v24, v41
	v_add_f32_e32 v22, v44, v22
	v_fmac_f32_e32 v24, v25, v40
	v_add_f32_e32 v43, v22, v24
	s_waitcnt lgkmcnt(0)
	v_mul_f32_e32 v22, v19, v31
	v_add_f32_e32 v42, v23, v35
	v_fma_f32 v22, v18, v30, -v22
	v_mul_f32_e32 v23, v18, v31
	v_fmac_f32_e32 v23, v19, v30
	v_add_f32_e32 v7, v7, v22
	v_mul_f32_e32 v22, v19, v33
	v_add_f32_e32 v10, v10, v23
	v_fma_f32 v35, v18, v32, -v22
	ds_read_b128 v[22:25], v17 offset:1056
	v_mul_f32_e32 v18, v18, v33
	v_fmac_f32_e32 v18, v19, v32
	v_add_f32_e32 v11, v11, v35
	v_add_f32_e32 v18, v34, v18
	ds_read_b128 v[34:37], v17 offset:1072
	s_waitcnt lgkmcnt(1)
	v_mul_f32_e32 v19, v23, v31
	v_mul_f32_e32 v31, v22, v31
	v_fma_f32 v19, v22, v30, -v19
	v_fmac_f32_e32 v31, v23, v30
	v_add_f32_e32 v19, v38, v19
	v_add_f32_e32 v30, v39, v31
	ds_read2_b64 v[38:41], v16 offset0:160 offset1:176
	v_mul_f32_e32 v31, v23, v33
	v_fma_f32 v31, v22, v32, -v31
	v_mul_f32_e32 v22, v22, v33
	v_fmac_f32_e32 v22, v23, v32
	v_add_f32_e32 v23, v42, v31
	s_waitcnt lgkmcnt(0)
	v_mul_f32_e32 v31, v21, v39
	v_fma_f32 v31, v20, v38, -v31
	v_add_f32_e32 v7, v7, v31
	v_mul_f32_e32 v31, v21, v41
	v_mul_f32_e32 v32, v20, v39
	v_fma_f32 v31, v20, v40, -v31
	v_mul_f32_e32 v20, v20, v41
	v_fmac_f32_e32 v20, v21, v40
	v_add_f32_e32 v11, v11, v31
	v_add_f32_e32 v31, v18, v20
	v_mul_f32_e32 v18, v25, v39
	v_fmac_f32_e32 v32, v21, v38
	v_fma_f32 v18, v24, v38, -v18
	v_mul_f32_e32 v20, v24, v39
	v_add_f32_e32 v10, v10, v32
	v_fmac_f32_e32 v20, v25, v38
	v_add_f32_e32 v32, v19, v18
	v_mul_f32_e32 v18, v25, v41
	v_add_f32_e32 v30, v30, v20
	v_fma_f32 v33, v24, v40, -v18
	ds_read2_b64 v[18:21], v16 offset0:192 offset1:208
	v_mul_f32_e32 v24, v24, v41
	v_add_f32_e32 v22, v43, v22
	v_fmac_f32_e32 v24, v25, v40
	v_add_f32_e32 v22, v22, v24
	s_waitcnt lgkmcnt(0)
	v_mul_f32_e32 v24, v27, v19
	v_fma_f32 v24, v26, v18, -v24
	v_mul_f32_e32 v25, v26, v19
	v_add_f32_e32 v7, v7, v24
	v_mul_f32_e32 v24, v27, v21
	v_fmac_f32_e32 v25, v27, v18
	v_fma_f32 v24, v26, v20, -v24
	v_add_f32_e32 v10, v10, v25
	v_mul_f32_e32 v25, v26, v21
	v_add_f32_e32 v11, v11, v24
	v_mul_f32_e32 v24, v35, v19
	v_mul_f32_e32 v19, v34, v19
	v_fmac_f32_e32 v25, v27, v20
	v_fma_f32 v24, v34, v18, -v24
	v_fmac_f32_e32 v19, v35, v18
	v_add_f32_e32 v23, v23, v33
	v_add_f32_e32 v25, v31, v25
	;; [unrolled: 1-line block ×4, first 2 shown]
	ds_read2_b64 v[30:33], v16 offset0:224 offset1:240
	v_mul_f32_e32 v24, v35, v21
	v_mul_f32_e32 v21, v34, v21
	v_fma_f32 v24, v34, v20, -v24
	v_fmac_f32_e32 v21, v35, v20
	v_add_f32_e32 v20, v23, v24
	v_add_f32_e32 v21, v22, v21
	s_waitcnt lgkmcnt(0)
	v_mul_f32_e32 v22, v29, v31
	v_mul_f32_e32 v23, v28, v31
	v_fma_f32 v22, v28, v30, -v22
	v_fmac_f32_e32 v23, v29, v30
	v_add_f32_e32 v22, v7, v22
	v_add_f32_e32 v23, v10, v23
	v_mul_f32_e32 v7, v29, v33
	v_mul_f32_e32 v10, v28, v33
	v_fma_f32 v7, v28, v32, -v7
	v_fmac_f32_e32 v10, v29, v32
	v_add_f32_e32 v24, v11, v7
	v_add_f32_e32 v25, v25, v10
	v_mul_f32_e32 v7, v37, v31
	v_mul_f32_e32 v10, v36, v31
	v_add_co_u32_e32 v2, vcc, 64, v2
	v_fma_f32 v7, v36, v30, -v7
	v_fmac_f32_e32 v10, v37, v30
	s_addc_u32 s7, s7, 0
	v_addc_co_u32_e32 v3, vcc, 0, v3, vcc
	v_add_f32_e32 v18, v18, v7
	v_add_f32_e32 v19, v19, v10
	v_mul_f32_e32 v7, v37, v33
	v_mul_f32_e32 v10, v36, v33
	v_cmp_ge_i64_e32 vcc, s[6:7], v[8:9]
	v_fma_f32 v7, v36, v32, -v7
	v_fmac_f32_e32 v10, v37, v32
	v_add_co_u32_e64 v4, s[2:3], 64, v4
	v_add_f32_e32 v20, v20, v7
	v_add_f32_e32 v21, v21, v10
	v_addc_co_u32_e64 v5, s[2:3], 0, v5, s[2:3]
	s_barrier
	s_cbranch_vccnz .LBB1147_10
.LBB1147_3:                             ; =>This Inner Loop Header: Depth=1
	v_mov_b32_e32 v7, s7
	v_add_co_u32_e32 v10, vcc, s6, v12
	v_addc_co_u32_e32 v11, vcc, 0, v7, vcc
	v_cmp_gt_i64_e32 vcc, s[12:13], v[10:11]
	v_mov_b32_e32 v10, 0
	s_and_b64 s[16:17], s[0:1], vcc
	v_mov_b32_e32 v11, 0
	s_and_saveexec_b64 s[2:3], s[16:17]
	s_cbranch_execz .LBB1147_5
; %bb.4:                                ;   in Loop: Header=BB1147_3 Depth=1
	global_load_dwordx2 v[10:11], v[2:3], off offset:-4
.LBB1147_5:                             ;   in Loop: Header=BB1147_3 Depth=1
	s_or_b64 exec, exec, s[2:3]
	v_mov_b32_e32 v7, s7
	v_add_co_u32_e32 v26, vcc, s6, v13
	v_addc_co_u32_e32 v27, vcc, 0, v7, vcc
	v_cmp_le_i64_e32 vcc, s[12:13], v[26:27]
	s_waitcnt vmcnt(0)
	ds_write_b64 v14, v[10:11]
	s_or_b64 s[2:3], vcc, s[10:11]
	s_and_saveexec_b64 s[16:17], s[2:3]
	s_xor_b64 s[2:3], exec, s[16:17]
; %bb.6:                                ;   in Loop: Header=BB1147_3 Depth=1
	v_mov_b32_e32 v7, v6
	ds_write_b64 v15, v[6:7]
; %bb.7:                                ;   in Loop: Header=BB1147_3 Depth=1
	s_andn2_saveexec_b64 s[2:3], s[2:3]
	s_cbranch_execz .LBB1147_2
; %bb.8:                                ;   in Loop: Header=BB1147_3 Depth=1
	global_load_dwordx2 v[10:11], v[4:5], off
	s_waitcnt vmcnt(0)
	ds_write_b64 v15, v[10:11]
	s_branch .LBB1147_2
.LBB1147_9:
	v_mov_b32_e32 v22, 0
	v_mov_b32_e32 v23, 0
	;; [unrolled: 1-line block ×8, first 2 shown]
.LBB1147_10:
	s_load_dwordx8 s[16:23], s[4:5], 0x48
	v_add_u32_e32 v4, s29, v1
	v_ashrrev_i32_e32 v1, 31, v4
	v_add_u32_e32 v0, s28, v0
	s_waitcnt lgkmcnt(0)
	v_mul_lo_u32 v3, s20, v1
	v_mul_lo_u32 v5, s21, v4
	v_mad_u64_u32 v[1:2], s[2:3], s20, v4, 0
	s_mul_i32 s0, s23, s8
	s_mul_hi_u32 s1, s22, s8
	s_add_i32 s1, s1, s0
	s_mul_i32 s0, s22, s8
	s_lshl_b64 s[0:1], s[0:1], 3
	v_add3_u32 v2, v2, v3, v5
	s_add_u32 s6, s18, s0
	v_lshlrev_b64 v[1:2], 3, v[1:2]
	s_addc_u32 s7, s19, s1
	v_mov_b32_e32 v3, s7
	v_add_co_u32_e32 v5, vcc, s6, v1
	v_addc_co_u32_e32 v6, vcc, v3, v2, vcc
	v_cmp_le_i32_e64 s[0:1], v4, v0
	v_cmp_gt_i32_e32 vcc, s9, v0
	s_and_b64 s[0:1], s[0:1], vcc
	s_and_saveexec_b64 s[2:3], s[0:1]
	s_cbranch_execz .LBB1147_12
; %bb.11:
	v_ashrrev_i32_e32 v1, 31, v0
	v_lshlrev_b64 v[1:2], 3, v[0:1]
	v_mul_f32_e32 v3, s15, v23
	v_add_co_u32_e64 v1, s[0:1], v5, v1
	v_addc_co_u32_e64 v2, s[0:1], v6, v2, s[0:1]
	global_load_dwordx2 v[7:8], v[1:2], off
	v_mul_f32_e32 v9, s14, v23
	v_fma_f32 v3, v22, s14, -v3
	v_fmac_f32_e32 v9, s15, v22
	s_waitcnt vmcnt(0)
	v_mul_f32_e32 v10, s17, v8
	v_mul_f32_e32 v8, s16, v8
	v_fma_f32 v10, v7, s16, -v10
	v_fmac_f32_e32 v8, s17, v7
	v_add_f32_e32 v7, v3, v10
	v_add_f32_e32 v8, v9, v8
	global_store_dwordx2 v[1:2], v[7:8], off
.LBB1147_12:
	s_or_b64 exec, exec, s[2:3]
	v_add_u32_e32 v2, 16, v0
	v_cmp_le_i32_e64 s[2:3], v4, v2
	v_cmp_gt_i32_e64 s[0:1], s9, v2
	s_and_b64 s[2:3], s[2:3], s[0:1]
	s_and_saveexec_b64 s[4:5], s[2:3]
	s_cbranch_execz .LBB1147_14
; %bb.13:
	v_ashrrev_i32_e32 v3, 31, v2
	v_lshlrev_b64 v[7:8], 3, v[2:3]
	v_mul_f32_e32 v1, s15, v25
	v_add_co_u32_e64 v5, s[2:3], v5, v7
	v_addc_co_u32_e64 v6, s[2:3], v6, v8, s[2:3]
	global_load_dwordx2 v[7:8], v[5:6], off
	v_mul_f32_e32 v3, s14, v25
	v_fma_f32 v1, v24, s14, -v1
	v_fmac_f32_e32 v3, s15, v24
	s_waitcnt vmcnt(0)
	v_mul_f32_e32 v9, s17, v8
	v_mul_f32_e32 v8, s16, v8
	v_fma_f32 v9, v7, s16, -v9
	v_fmac_f32_e32 v8, s17, v7
	v_add_f32_e32 v7, v1, v9
	v_add_f32_e32 v8, v3, v8
	global_store_dwordx2 v[5:6], v[7:8], off
.LBB1147_14:
	s_or_b64 exec, exec, s[4:5]
	v_add_u32_e32 v3, 16, v4
	v_ashrrev_i32_e32 v1, 31, v3
	v_mul_lo_u32 v6, s21, v3
	v_mad_u64_u32 v[4:5], s[2:3], s20, v3, 0
	v_mul_lo_u32 v1, s20, v1
	v_add3_u32 v5, v5, v1, v6
	v_lshlrev_b64 v[4:5], 3, v[4:5]
	v_mov_b32_e32 v1, s7
	v_add_co_u32_e64 v4, s[2:3], s6, v4
	v_addc_co_u32_e64 v5, s[2:3], v1, v5, s[2:3]
	v_cmp_le_i32_e64 s[2:3], v3, v0
	s_and_b64 s[4:5], s[2:3], vcc
	s_and_saveexec_b64 s[2:3], s[4:5]
	s_cbranch_execz .LBB1147_16
; %bb.15:
	v_ashrrev_i32_e32 v1, 31, v0
	v_lshlrev_b64 v[0:1], 3, v[0:1]
	v_mul_f32_e32 v8, s15, v19
	v_add_co_u32_e32 v0, vcc, v4, v0
	v_addc_co_u32_e32 v1, vcc, v5, v1, vcc
	global_load_dwordx2 v[6:7], v[0:1], off
	v_mul_f32_e32 v9, s14, v19
	v_fma_f32 v8, v18, s14, -v8
	v_fmac_f32_e32 v9, s15, v18
	s_waitcnt vmcnt(0)
	v_mul_f32_e32 v10, s17, v7
	v_mul_f32_e32 v7, s16, v7
	v_fma_f32 v10, v6, s16, -v10
	v_fmac_f32_e32 v7, s17, v6
	v_add_f32_e32 v6, v8, v10
	v_add_f32_e32 v7, v9, v7
	global_store_dwordx2 v[0:1], v[6:7], off
.LBB1147_16:
	s_or_b64 exec, exec, s[2:3]
	v_cmp_le_i32_e32 vcc, v3, v2
	s_and_b64 s[0:1], vcc, s[0:1]
	s_and_saveexec_b64 s[2:3], s[0:1]
	s_cbranch_execz .LBB1147_18
; %bb.17:
	v_ashrrev_i32_e32 v3, 31, v2
	v_lshlrev_b64 v[0:1], 3, v[2:3]
	v_add_co_u32_e32 v0, vcc, v4, v0
	v_addc_co_u32_e32 v1, vcc, v5, v1, vcc
	global_load_dwordx2 v[2:3], v[0:1], off
	v_mul_f32_e32 v4, s15, v21
	v_mul_f32_e32 v5, s14, v21
	v_fma_f32 v4, v20, s14, -v4
	v_fmac_f32_e32 v5, s15, v20
	s_waitcnt vmcnt(0)
	v_mul_f32_e32 v6, s17, v3
	v_mul_f32_e32 v3, s16, v3
	v_fma_f32 v6, v2, s16, -v6
	v_fmac_f32_e32 v3, s17, v2
	v_add_f32_e32 v2, v4, v6
	v_add_f32_e32 v3, v5, v3
	global_store_dwordx2 v[0:1], v[2:3], off
.LBB1147_18:
	s_endpgm
	.section	.rodata,"a",@progbits
	.p2align	6, 0x0
	.amdhsa_kernel _ZL34rocblas_syrkx_herkx_general_kernelIl19rocblas_complex_numIfELi16ELi32ELi8ELb0ELb0ELc67ELc76EKS1_S1_EviT_T0_PT8_S3_lS6_S3_lS4_PT9_S3_li
		.amdhsa_group_segment_fixed_size 4096
		.amdhsa_private_segment_fixed_size 0
		.amdhsa_kernarg_size 108
		.amdhsa_user_sgpr_count 6
		.amdhsa_user_sgpr_private_segment_buffer 1
		.amdhsa_user_sgpr_dispatch_ptr 0
		.amdhsa_user_sgpr_queue_ptr 0
		.amdhsa_user_sgpr_kernarg_segment_ptr 1
		.amdhsa_user_sgpr_dispatch_id 0
		.amdhsa_user_sgpr_flat_scratch_init 0
		.amdhsa_user_sgpr_private_segment_size 0
		.amdhsa_uses_dynamic_stack 0
		.amdhsa_system_sgpr_private_segment_wavefront_offset 0
		.amdhsa_system_sgpr_workgroup_id_x 1
		.amdhsa_system_sgpr_workgroup_id_y 1
		.amdhsa_system_sgpr_workgroup_id_z 1
		.amdhsa_system_sgpr_workgroup_info 0
		.amdhsa_system_vgpr_workitem_id 1
		.amdhsa_next_free_vgpr 50
		.amdhsa_next_free_sgpr 30
		.amdhsa_reserve_vcc 1
		.amdhsa_reserve_flat_scratch 0
		.amdhsa_float_round_mode_32 0
		.amdhsa_float_round_mode_16_64 0
		.amdhsa_float_denorm_mode_32 3
		.amdhsa_float_denorm_mode_16_64 3
		.amdhsa_dx10_clamp 1
		.amdhsa_ieee_mode 1
		.amdhsa_fp16_overflow 0
		.amdhsa_exception_fp_ieee_invalid_op 0
		.amdhsa_exception_fp_denorm_src 0
		.amdhsa_exception_fp_ieee_div_zero 0
		.amdhsa_exception_fp_ieee_overflow 0
		.amdhsa_exception_fp_ieee_underflow 0
		.amdhsa_exception_fp_ieee_inexact 0
		.amdhsa_exception_int_div_zero 0
	.end_amdhsa_kernel
	.section	.text._ZL34rocblas_syrkx_herkx_general_kernelIl19rocblas_complex_numIfELi16ELi32ELi8ELb0ELb0ELc67ELc76EKS1_S1_EviT_T0_PT8_S3_lS6_S3_lS4_PT9_S3_li,"axG",@progbits,_ZL34rocblas_syrkx_herkx_general_kernelIl19rocblas_complex_numIfELi16ELi32ELi8ELb0ELb0ELc67ELc76EKS1_S1_EviT_T0_PT8_S3_lS6_S3_lS4_PT9_S3_li,comdat
.Lfunc_end1147:
	.size	_ZL34rocblas_syrkx_herkx_general_kernelIl19rocblas_complex_numIfELi16ELi32ELi8ELb0ELb0ELc67ELc76EKS1_S1_EviT_T0_PT8_S3_lS6_S3_lS4_PT9_S3_li, .Lfunc_end1147-_ZL34rocblas_syrkx_herkx_general_kernelIl19rocblas_complex_numIfELi16ELi32ELi8ELb0ELb0ELc67ELc76EKS1_S1_EviT_T0_PT8_S3_lS6_S3_lS4_PT9_S3_li
                                        ; -- End function
	.set _ZL34rocblas_syrkx_herkx_general_kernelIl19rocblas_complex_numIfELi16ELi32ELi8ELb0ELb0ELc67ELc76EKS1_S1_EviT_T0_PT8_S3_lS6_S3_lS4_PT9_S3_li.num_vgpr, 50
	.set _ZL34rocblas_syrkx_herkx_general_kernelIl19rocblas_complex_numIfELi16ELi32ELi8ELb0ELb0ELc67ELc76EKS1_S1_EviT_T0_PT8_S3_lS6_S3_lS4_PT9_S3_li.num_agpr, 0
	.set _ZL34rocblas_syrkx_herkx_general_kernelIl19rocblas_complex_numIfELi16ELi32ELi8ELb0ELb0ELc67ELc76EKS1_S1_EviT_T0_PT8_S3_lS6_S3_lS4_PT9_S3_li.numbered_sgpr, 30
	.set _ZL34rocblas_syrkx_herkx_general_kernelIl19rocblas_complex_numIfELi16ELi32ELi8ELb0ELb0ELc67ELc76EKS1_S1_EviT_T0_PT8_S3_lS6_S3_lS4_PT9_S3_li.num_named_barrier, 0
	.set _ZL34rocblas_syrkx_herkx_general_kernelIl19rocblas_complex_numIfELi16ELi32ELi8ELb0ELb0ELc67ELc76EKS1_S1_EviT_T0_PT8_S3_lS6_S3_lS4_PT9_S3_li.private_seg_size, 0
	.set _ZL34rocblas_syrkx_herkx_general_kernelIl19rocblas_complex_numIfELi16ELi32ELi8ELb0ELb0ELc67ELc76EKS1_S1_EviT_T0_PT8_S3_lS6_S3_lS4_PT9_S3_li.uses_vcc, 1
	.set _ZL34rocblas_syrkx_herkx_general_kernelIl19rocblas_complex_numIfELi16ELi32ELi8ELb0ELb0ELc67ELc76EKS1_S1_EviT_T0_PT8_S3_lS6_S3_lS4_PT9_S3_li.uses_flat_scratch, 0
	.set _ZL34rocblas_syrkx_herkx_general_kernelIl19rocblas_complex_numIfELi16ELi32ELi8ELb0ELb0ELc67ELc76EKS1_S1_EviT_T0_PT8_S3_lS6_S3_lS4_PT9_S3_li.has_dyn_sized_stack, 0
	.set _ZL34rocblas_syrkx_herkx_general_kernelIl19rocblas_complex_numIfELi16ELi32ELi8ELb0ELb0ELc67ELc76EKS1_S1_EviT_T0_PT8_S3_lS6_S3_lS4_PT9_S3_li.has_recursion, 0
	.set _ZL34rocblas_syrkx_herkx_general_kernelIl19rocblas_complex_numIfELi16ELi32ELi8ELb0ELb0ELc67ELc76EKS1_S1_EviT_T0_PT8_S3_lS6_S3_lS4_PT9_S3_li.has_indirect_call, 0
	.section	.AMDGPU.csdata,"",@progbits
; Kernel info:
; codeLenInByte = 2392
; TotalNumSgprs: 34
; NumVgprs: 50
; ScratchSize: 0
; MemoryBound: 1
; FloatMode: 240
; IeeeMode: 1
; LDSByteSize: 4096 bytes/workgroup (compile time only)
; SGPRBlocks: 4
; VGPRBlocks: 12
; NumSGPRsForWavesPerEU: 34
; NumVGPRsForWavesPerEU: 50
; Occupancy: 4
; WaveLimiterHint : 0
; COMPUTE_PGM_RSRC2:SCRATCH_EN: 0
; COMPUTE_PGM_RSRC2:USER_SGPR: 6
; COMPUTE_PGM_RSRC2:TRAP_HANDLER: 0
; COMPUTE_PGM_RSRC2:TGID_X_EN: 1
; COMPUTE_PGM_RSRC2:TGID_Y_EN: 1
; COMPUTE_PGM_RSRC2:TGID_Z_EN: 1
; COMPUTE_PGM_RSRC2:TIDIG_COMP_CNT: 1
	.section	.text._ZL34rocblas_syrkx_herkx_general_kernelIl19rocblas_complex_numIfELi16ELi32ELi8ELb0ELb0ELc78ELc76EKS1_S1_EviT_T0_PT8_S3_lS6_S3_lS4_PT9_S3_li,"axG",@progbits,_ZL34rocblas_syrkx_herkx_general_kernelIl19rocblas_complex_numIfELi16ELi32ELi8ELb0ELb0ELc78ELc76EKS1_S1_EviT_T0_PT8_S3_lS6_S3_lS4_PT9_S3_li,comdat
	.globl	_ZL34rocblas_syrkx_herkx_general_kernelIl19rocblas_complex_numIfELi16ELi32ELi8ELb0ELb0ELc78ELc76EKS1_S1_EviT_T0_PT8_S3_lS6_S3_lS4_PT9_S3_li ; -- Begin function _ZL34rocblas_syrkx_herkx_general_kernelIl19rocblas_complex_numIfELi16ELi32ELi8ELb0ELb0ELc78ELc76EKS1_S1_EviT_T0_PT8_S3_lS6_S3_lS4_PT9_S3_li
	.p2align	8
	.type	_ZL34rocblas_syrkx_herkx_general_kernelIl19rocblas_complex_numIfELi16ELi32ELi8ELb0ELb0ELc78ELc76EKS1_S1_EviT_T0_PT8_S3_lS6_S3_lS4_PT9_S3_li,@function
_ZL34rocblas_syrkx_herkx_general_kernelIl19rocblas_complex_numIfELi16ELi32ELi8ELb0ELb0ELc78ELc76EKS1_S1_EviT_T0_PT8_S3_lS6_S3_lS4_PT9_S3_li: ; @_ZL34rocblas_syrkx_herkx_general_kernelIl19rocblas_complex_numIfELi16ELi32ELi8ELb0ELb0ELc78ELc76EKS1_S1_EviT_T0_PT8_S3_lS6_S3_lS4_PT9_S3_li
; %bb.0:
	s_load_dwordx16 s[12:27], s[4:5], 0x8
	s_load_dword s9, s[4:5], 0x0
	s_lshl_b32 s28, s6, 5
	s_lshl_b32 s29, s7, 5
	s_waitcnt lgkmcnt(0)
	v_cmp_lt_i64_e64 s[0:1], s[12:13], 1
	s_and_b64 vcc, exec, s[0:1]
	s_cbranch_vccnz .LBB1148_9
; %bb.1:
	v_lshl_add_u32 v2, v1, 4, v0
	v_and_b32_e32 v8, 31, v2
	v_lshrrev_b32_e32 v5, 3, v2
	v_or_b32_e32 v3, s28, v8
	v_lshrrev_b32_e32 v12, 5, v2
	v_lshlrev_b32_e32 v2, 3, v8
	v_cmp_gt_i32_e32 vcc, s9, v3
	v_lshl_or_b32 v14, v12, 8, v2
	v_mad_u64_u32 v[2:3], s[2:3], s18, v12, 0
	v_and_b32_e32 v13, 7, v0
	v_add_u32_e32 v4, s29, v5
	v_lshlrev_b32_e32 v6, 3, v13
	v_lshl_or_b32 v5, v5, 6, v6
	v_mad_u64_u32 v[6:7], s[2:3], s19, v12, v[3:4]
	v_mov_b32_e32 v3, 0x800
	v_lshl_add_u32 v17, v1, 6, v3
	v_mov_b32_e32 v3, v6
	s_mul_i32 s2, s21, s8
	s_mul_hi_u32 s3, s20, s8
	v_lshlrev_b64 v[2:3], 3, v[2:3]
	s_add_i32 s3, s3, s2
	s_mul_i32 s2, s20, s8
	s_lshl_b64 s[2:3], s[2:3], 3
	v_mov_b32_e32 v6, s3
	v_add_co_u32_e64 v7, s[2:3], s2, v2
	v_add_u32_e32 v2, s28, v8
	v_addc_co_u32_e64 v6, s[2:3], v3, v6, s[2:3]
	v_ashrrev_i32_e32 v3, 31, v2
	v_lshlrev_b64 v[2:3], 3, v[2:3]
	s_mul_i32 s10, s27, s8
	v_add_co_u32_e64 v2, s[2:3], v7, v2
	v_addc_co_u32_e64 v3, s[2:3], v6, v3, s[2:3]
	v_mov_b32_e32 v6, s17
	v_add_co_u32_e64 v2, s[2:3], s16, v2
	v_addc_co_u32_e64 v3, s[2:3], v6, v3, s[2:3]
	v_mad_u64_u32 v[6:7], s[2:3], s24, v13, 0
	s_mul_hi_u32 s11, s26, s8
	v_add_u32_e32 v15, 0x800, v5
	v_mad_u64_u32 v[7:8], s[2:3], s25, v13, v[7:8]
	s_add_i32 s3, s11, s10
	s_mul_i32 s2, s26, s8
	v_lshlrev_b64 v[6:7], 3, v[6:7]
	v_ashrrev_i32_e32 v5, 31, v4
	s_lshl_b64 s[2:3], s[2:3], 3
	v_cmp_gt_i32_e64 s[0:1], s9, v4
	v_mov_b32_e32 v8, s3
	v_add_co_u32_e64 v6, s[2:3], s2, v6
	v_lshlrev_b64 v[4:5], 3, v[4:5]
	v_addc_co_u32_e64 v7, s[2:3], v8, v7, s[2:3]
	v_add_co_u32_e64 v4, s[2:3], v6, v4
	v_addc_co_u32_e64 v5, s[2:3], v7, v5, s[2:3]
	v_mov_b32_e32 v6, s23
	v_add_co_u32_e64 v4, s[2:3], s22, v4
	v_addc_co_u32_e64 v5, s[2:3], v6, v5, s[2:3]
	s_lshl_b64 s[6:7], s[18:19], 6
	v_add_co_u32_e64 v4, s[2:3], 4, v4
	s_lshl_b64 s[10:11], s[24:25], 6
	v_mov_b32_e32 v8, s12
	v_lshlrev_b32_e32 v16, 3, v0
	v_addc_co_u32_e64 v5, s[2:3], 0, v5, s[2:3]
	s_mov_b64 s[16:17], 0
	s_xor_b64 s[18:19], vcc, -1
	v_mov_b32_e32 v18, s7
	v_mov_b32_e32 v19, s11
	;; [unrolled: 1-line block ×12, first 2 shown]
	s_branch .LBB1148_3
.LBB1148_2:                             ;   in Loop: Header=BB1148_3 Depth=1
	s_or_b64 exec, exec, s[2:3]
	s_waitcnt vmcnt(0)
	ds_write_b64 v15, v[10:11]
	s_waitcnt lgkmcnt(0)
	s_barrier
	ds_read2_b64 v[28:31], v16 offset1:16
	ds_read_b128 v[32:35], v17
	ds_read_b128 v[36:39], v17 offset:16
	ds_read_b128 v[40:43], v17 offset:1024
	s_add_u32 s16, s16, 8
	v_add_co_u32_e32 v2, vcc, s6, v2
	s_waitcnt lgkmcnt(2)
	v_mul_f32_e32 v7, v33, v29
	v_fma_f32 v7, v32, v28, -v7
	v_mul_f32_e32 v10, v32, v29
	v_add_f32_e32 v7, v26, v7
	v_mul_f32_e32 v11, v33, v31
	v_mul_f32_e32 v26, v32, v31
	v_fmac_f32_e32 v10, v33, v28
	v_fma_f32 v11, v32, v30, -v11
	v_fmac_f32_e32 v26, v33, v30
	v_add_f32_e32 v10, v27, v10
	v_add_f32_e32 v11, v24, v11
	;; [unrolled: 1-line block ×3, first 2 shown]
	ds_read_b128 v[24:27], v17 offset:1040
	s_waitcnt lgkmcnt(1)
	v_mul_f32_e32 v33, v41, v29
	v_mul_f32_e32 v44, v40, v29
	v_fma_f32 v33, v40, v28, -v33
	v_fmac_f32_e32 v44, v41, v28
	v_mul_f32_e32 v28, v41, v31
	v_fma_f32 v45, v40, v30, -v28
	v_mul_f32_e32 v40, v40, v31
	v_fmac_f32_e32 v40, v41, v30
	ds_read2_b64 v[28:31], v16 offset0:32 offset1:48
	v_add_f32_e32 v20, v20, v33
	v_add_f32_e32 v33, v22, v45
	;; [unrolled: 1-line block ×4, first 2 shown]
	s_waitcnt lgkmcnt(0)
	v_mul_f32_e32 v22, v35, v29
	v_fma_f32 v22, v34, v28, -v22
	v_mul_f32_e32 v23, v34, v29
	v_fmac_f32_e32 v23, v35, v28
	v_add_f32_e32 v7, v7, v22
	v_mul_f32_e32 v22, v35, v31
	v_add_f32_e32 v10, v10, v23
	v_fma_f32 v22, v34, v30, -v22
	v_mul_f32_e32 v23, v34, v31
	v_fmac_f32_e32 v23, v35, v30
	v_add_f32_e32 v11, v11, v22
	v_mul_f32_e32 v22, v43, v29
	v_add_f32_e32 v32, v32, v23
	;; [unrolled: 6-line block ×3, first 2 shown]
	v_fma_f32 v34, v42, v30, -v20
	ds_read2_b64 v[20:23], v16 offset0:64 offset1:80
	v_mul_f32_e32 v31, v42, v31
	v_fmac_f32_e32 v31, v43, v30
	v_add_f32_e32 v33, v33, v34
	v_add_f32_e32 v34, v40, v31
	s_waitcnt lgkmcnt(0)
	v_mul_f32_e32 v30, v37, v21
	v_fma_f32 v30, v36, v20, -v30
	v_mul_f32_e32 v31, v36, v21
	v_add_f32_e32 v7, v7, v30
	v_mul_f32_e32 v30, v37, v23
	v_fmac_f32_e32 v31, v37, v20
	v_fma_f32 v30, v36, v22, -v30
	v_add_f32_e32 v10, v10, v31
	v_mul_f32_e32 v31, v36, v23
	v_add_f32_e32 v11, v11, v30
	v_mul_f32_e32 v30, v25, v21
	v_mul_f32_e32 v21, v24, v21
	v_fmac_f32_e32 v31, v37, v22
	v_fma_f32 v30, v24, v20, -v30
	v_fmac_f32_e32 v21, v25, v20
	v_add_f32_e32 v32, v32, v31
	v_add_f32_e32 v35, v28, v30
	;; [unrolled: 1-line block ×3, first 2 shown]
	ds_read2_b64 v[28:31], v16 offset0:96 offset1:112
	v_mul_f32_e32 v20, v25, v23
	v_fma_f32 v37, v24, v22, -v20
	v_mul_f32_e32 v24, v24, v23
	v_fmac_f32_e32 v24, v25, v22
	v_add_f32_e32 v24, v34, v24
	s_waitcnt lgkmcnt(0)
	v_mul_f32_e32 v34, v38, v29
	v_fmac_f32_e32 v34, v39, v28
	v_add_f32_e32 v25, v33, v37
	v_mul_f32_e32 v33, v39, v29
	v_add_f32_e32 v10, v10, v34
	v_mul_f32_e32 v34, v38, v31
	v_fma_f32 v33, v38, v28, -v33
	v_fmac_f32_e32 v34, v39, v30
	v_add_f32_e32 v7, v7, v33
	v_mul_f32_e32 v33, v39, v31
	v_add_f32_e32 v40, v32, v34
	v_mul_f32_e32 v32, v27, v29
	v_fma_f32 v33, v38, v30, -v33
	v_fma_f32 v32, v26, v28, -v32
	ds_read_b128 v[20:23], v17 offset:32
	v_add_f32_e32 v11, v11, v33
	v_add_f32_e32 v44, v35, v32
	ds_read2_b64 v[32:35], v16 offset0:128 offset1:144
	v_mul_f32_e32 v29, v26, v29
	v_fmac_f32_e32 v29, v27, v28
	v_mul_f32_e32 v28, v27, v31
	v_fma_f32 v28, v26, v30, -v28
	v_mul_f32_e32 v26, v26, v31
	v_fmac_f32_e32 v26, v27, v30
	v_add_f32_e32 v45, v36, v29
	v_add_f32_e32 v25, v25, v28
	;; [unrolled: 1-line block ×3, first 2 shown]
	ds_read_b128 v[26:29], v17 offset:48
	s_waitcnt lgkmcnt(1)
	v_mul_f32_e32 v30, v21, v33
	ds_read_b128 v[36:39], v17 offset:1056
	v_fma_f32 v30, v20, v32, -v30
	v_add_f32_e32 v7, v7, v30
	v_mul_f32_e32 v30, v21, v35
	v_mul_f32_e32 v31, v20, v33
	v_fma_f32 v30, v20, v34, -v30
	v_mul_f32_e32 v20, v20, v35
	v_fmac_f32_e32 v20, v21, v34
	v_fmac_f32_e32 v31, v21, v32
	v_add_f32_e32 v11, v11, v30
	v_add_f32_e32 v20, v40, v20
	ds_read_b128 v[40:43], v17 offset:1072
	s_waitcnt lgkmcnt(1)
	v_mul_f32_e32 v21, v37, v33
	v_mul_f32_e32 v46, v36, v33
	;; [unrolled: 1-line block ×3, first 2 shown]
	v_add_f32_e32 v10, v10, v31
	v_fma_f32 v21, v36, v32, -v21
	v_fmac_f32_e32 v46, v37, v32
	v_fma_f32 v47, v36, v34, -v30
	ds_read2_b64 v[30:33], v16 offset0:160 offset1:176
	v_mul_f32_e32 v35, v36, v35
	v_fmac_f32_e32 v35, v37, v34
	v_add_f32_e32 v24, v24, v35
	v_add_f32_e32 v21, v44, v21
	s_waitcnt lgkmcnt(0)
	v_mul_f32_e32 v35, v23, v31
	v_fma_f32 v35, v22, v30, -v35
	v_add_f32_e32 v7, v7, v35
	v_mul_f32_e32 v35, v23, v33
	v_mul_f32_e32 v36, v22, v31
	v_fma_f32 v35, v22, v32, -v35
	v_mul_f32_e32 v22, v22, v33
	v_fmac_f32_e32 v22, v23, v32
	v_add_f32_e32 v11, v11, v35
	v_add_f32_e32 v35, v20, v22
	v_mul_f32_e32 v20, v39, v31
	v_fma_f32 v20, v38, v30, -v20
	v_mul_f32_e32 v22, v38, v31
	v_add_f32_e32 v34, v45, v46
	v_fmac_f32_e32 v36, v23, v30
	v_fmac_f32_e32 v22, v39, v30
	v_add_f32_e32 v30, v21, v20
	v_mul_f32_e32 v20, v39, v33
	v_add_f32_e32 v31, v34, v22
	v_fma_f32 v34, v38, v32, -v20
	ds_read2_b64 v[20:23], v16 offset0:192 offset1:208
	v_mul_f32_e32 v33, v38, v33
	v_fmac_f32_e32 v33, v39, v32
	v_add_f32_e32 v24, v24, v33
	v_add_f32_e32 v25, v25, v47
	s_waitcnt lgkmcnt(0)
	v_mul_f32_e32 v32, v27, v21
	v_fma_f32 v32, v26, v20, -v32
	v_add_f32_e32 v7, v7, v32
	v_mul_f32_e32 v32, v27, v23
	v_mul_f32_e32 v33, v26, v21
	v_fma_f32 v32, v26, v22, -v32
	v_mul_f32_e32 v26, v26, v23
	v_fmac_f32_e32 v26, v27, v22
	v_add_f32_e32 v25, v25, v34
	v_add_f32_e32 v34, v35, v26
	v_mul_f32_e32 v26, v41, v21
	v_mul_f32_e32 v21, v40, v21
	v_add_f32_e32 v10, v10, v36
	v_fmac_f32_e32 v33, v27, v20
	v_fma_f32 v26, v40, v20, -v26
	v_fmac_f32_e32 v21, v41, v20
	v_add_f32_e32 v10, v10, v33
	v_add_f32_e32 v11, v11, v32
	;; [unrolled: 1-line block ×4, first 2 shown]
	ds_read2_b64 v[30:33], v16 offset0:224 offset1:240
	v_mul_f32_e32 v26, v41, v23
	v_mul_f32_e32 v23, v40, v23
	v_fma_f32 v26, v40, v22, -v26
	v_fmac_f32_e32 v23, v41, v22
	v_add_f32_e32 v22, v25, v26
	v_add_f32_e32 v23, v24, v23
	s_waitcnt lgkmcnt(0)
	v_mul_f32_e32 v24, v29, v31
	v_mul_f32_e32 v25, v28, v31
	v_fma_f32 v24, v28, v30, -v24
	v_fmac_f32_e32 v25, v29, v30
	v_add_f32_e32 v26, v7, v24
	v_add_f32_e32 v27, v10, v25
	v_mul_f32_e32 v7, v29, v33
	v_mul_f32_e32 v10, v28, v33
	v_fma_f32 v7, v28, v32, -v7
	v_fmac_f32_e32 v10, v29, v32
	v_add_f32_e32 v24, v11, v7
	v_add_f32_e32 v25, v34, v10
	v_mul_f32_e32 v7, v43, v31
	v_mul_f32_e32 v10, v42, v31
	v_fma_f32 v7, v42, v30, -v7
	v_fmac_f32_e32 v10, v43, v30
	s_addc_u32 s17, s17, 0
	v_addc_co_u32_e32 v3, vcc, v3, v18, vcc
	v_add_f32_e32 v20, v20, v7
	v_add_f32_e32 v21, v21, v10
	v_mul_f32_e32 v7, v43, v33
	v_mul_f32_e32 v10, v42, v33
	v_cmp_ge_i64_e32 vcc, s[16:17], v[8:9]
	v_fma_f32 v7, v42, v32, -v7
	v_fmac_f32_e32 v10, v43, v32
	v_add_co_u32_e64 v4, s[2:3], s10, v4
	v_add_f32_e32 v22, v22, v7
	v_add_f32_e32 v23, v23, v10
	v_addc_co_u32_e64 v5, s[2:3], v5, v19, s[2:3]
	s_barrier
	s_cbranch_vccnz .LBB1148_10
.LBB1148_3:                             ; =>This Inner Loop Header: Depth=1
	v_mov_b32_e32 v7, s17
	v_add_co_u32_e32 v10, vcc, s16, v12
	v_addc_co_u32_e32 v11, vcc, 0, v7, vcc
	v_cmp_le_i64_e32 vcc, s[12:13], v[10:11]
	s_or_b64 s[2:3], s[18:19], vcc
	s_and_saveexec_b64 s[20:21], s[2:3]
	s_xor_b64 s[2:3], exec, s[20:21]
; %bb.4:                                ;   in Loop: Header=BB1148_3 Depth=1
	v_mov_b32_e32 v7, v6
	ds_write_b64 v14, v[6:7]
; %bb.5:                                ;   in Loop: Header=BB1148_3 Depth=1
	s_andn2_saveexec_b64 s[2:3], s[2:3]
	s_cbranch_execz .LBB1148_7
; %bb.6:                                ;   in Loop: Header=BB1148_3 Depth=1
	global_load_dwordx2 v[10:11], v[2:3], off
	s_waitcnt vmcnt(0)
	ds_write_b64 v14, v[10:11]
.LBB1148_7:                             ;   in Loop: Header=BB1148_3 Depth=1
	s_or_b64 exec, exec, s[2:3]
	v_mov_b32_e32 v7, s17
	v_add_co_u32_e32 v10, vcc, s16, v13
	v_addc_co_u32_e32 v11, vcc, 0, v7, vcc
	v_cmp_gt_i64_e32 vcc, s[12:13], v[10:11]
	v_mov_b32_e32 v10, 0
	s_and_b64 s[20:21], vcc, s[0:1]
	v_mov_b32_e32 v11, 0
	s_and_saveexec_b64 s[2:3], s[20:21]
	s_cbranch_execz .LBB1148_2
; %bb.8:                                ;   in Loop: Header=BB1148_3 Depth=1
	global_load_dwordx2 v[10:11], v[4:5], off offset:-4
	s_branch .LBB1148_2
.LBB1148_9:
	v_mov_b32_e32 v26, 0
	v_mov_b32_e32 v27, 0
	v_mov_b32_e32 v24, 0
	v_mov_b32_e32 v25, 0
	v_mov_b32_e32 v20, 0
	v_mov_b32_e32 v21, 0
	v_mov_b32_e32 v22, 0
	v_mov_b32_e32 v23, 0
.LBB1148_10:
	s_load_dwordx8 s[16:23], s[4:5], 0x48
	v_add_u32_e32 v4, s29, v1
	v_ashrrev_i32_e32 v1, 31, v4
	v_add_u32_e32 v0, s28, v0
	s_waitcnt lgkmcnt(0)
	v_mul_lo_u32 v3, s20, v1
	v_mul_lo_u32 v5, s21, v4
	v_mad_u64_u32 v[1:2], s[2:3], s20, v4, 0
	s_mul_i32 s0, s23, s8
	s_mul_hi_u32 s1, s22, s8
	s_add_i32 s1, s1, s0
	s_mul_i32 s0, s22, s8
	s_lshl_b64 s[0:1], s[0:1], 3
	v_add3_u32 v2, v2, v3, v5
	s_add_u32 s6, s18, s0
	v_lshlrev_b64 v[1:2], 3, v[1:2]
	s_addc_u32 s7, s19, s1
	v_mov_b32_e32 v3, s7
	v_add_co_u32_e32 v5, vcc, s6, v1
	v_addc_co_u32_e32 v6, vcc, v3, v2, vcc
	v_cmp_le_i32_e64 s[0:1], v4, v0
	v_cmp_gt_i32_e32 vcc, s9, v0
	s_and_b64 s[0:1], s[0:1], vcc
	s_and_saveexec_b64 s[2:3], s[0:1]
	s_cbranch_execz .LBB1148_12
; %bb.11:
	v_ashrrev_i32_e32 v1, 31, v0
	v_lshlrev_b64 v[1:2], 3, v[0:1]
	v_mul_f32_e32 v3, s15, v27
	v_add_co_u32_e64 v1, s[0:1], v5, v1
	v_addc_co_u32_e64 v2, s[0:1], v6, v2, s[0:1]
	global_load_dwordx2 v[7:8], v[1:2], off
	v_mul_f32_e32 v9, s14, v27
	v_fma_f32 v3, v26, s14, -v3
	v_fmac_f32_e32 v9, s15, v26
	s_waitcnt vmcnt(0)
	v_mul_f32_e32 v10, s17, v8
	v_mul_f32_e32 v8, s16, v8
	v_fma_f32 v10, v7, s16, -v10
	v_fmac_f32_e32 v8, s17, v7
	v_add_f32_e32 v7, v3, v10
	v_add_f32_e32 v8, v9, v8
	global_store_dwordx2 v[1:2], v[7:8], off
.LBB1148_12:
	s_or_b64 exec, exec, s[2:3]
	v_add_u32_e32 v2, 16, v0
	v_cmp_le_i32_e64 s[2:3], v4, v2
	v_cmp_gt_i32_e64 s[0:1], s9, v2
	s_and_b64 s[2:3], s[2:3], s[0:1]
	s_and_saveexec_b64 s[4:5], s[2:3]
	s_cbranch_execz .LBB1148_14
; %bb.13:
	v_ashrrev_i32_e32 v3, 31, v2
	v_lshlrev_b64 v[7:8], 3, v[2:3]
	v_mul_f32_e32 v1, s15, v25
	v_add_co_u32_e64 v5, s[2:3], v5, v7
	v_addc_co_u32_e64 v6, s[2:3], v6, v8, s[2:3]
	global_load_dwordx2 v[7:8], v[5:6], off
	v_mul_f32_e32 v3, s14, v25
	v_fma_f32 v1, v24, s14, -v1
	v_fmac_f32_e32 v3, s15, v24
	s_waitcnt vmcnt(0)
	v_mul_f32_e32 v9, s17, v8
	v_mul_f32_e32 v8, s16, v8
	v_fma_f32 v9, v7, s16, -v9
	v_fmac_f32_e32 v8, s17, v7
	v_add_f32_e32 v7, v1, v9
	v_add_f32_e32 v8, v3, v8
	global_store_dwordx2 v[5:6], v[7:8], off
.LBB1148_14:
	s_or_b64 exec, exec, s[4:5]
	v_add_u32_e32 v3, 16, v4
	v_ashrrev_i32_e32 v1, 31, v3
	v_mul_lo_u32 v6, s21, v3
	v_mad_u64_u32 v[4:5], s[2:3], s20, v3, 0
	v_mul_lo_u32 v1, s20, v1
	v_add3_u32 v5, v5, v1, v6
	v_lshlrev_b64 v[4:5], 3, v[4:5]
	v_mov_b32_e32 v1, s7
	v_add_co_u32_e64 v4, s[2:3], s6, v4
	v_addc_co_u32_e64 v5, s[2:3], v1, v5, s[2:3]
	v_cmp_le_i32_e64 s[2:3], v3, v0
	s_and_b64 s[4:5], s[2:3], vcc
	s_and_saveexec_b64 s[2:3], s[4:5]
	s_cbranch_execz .LBB1148_16
; %bb.15:
	v_ashrrev_i32_e32 v1, 31, v0
	v_lshlrev_b64 v[0:1], 3, v[0:1]
	v_mul_f32_e32 v8, s15, v21
	v_add_co_u32_e32 v0, vcc, v4, v0
	v_addc_co_u32_e32 v1, vcc, v5, v1, vcc
	global_load_dwordx2 v[6:7], v[0:1], off
	v_mul_f32_e32 v9, s14, v21
	v_fma_f32 v8, v20, s14, -v8
	v_fmac_f32_e32 v9, s15, v20
	s_waitcnt vmcnt(0)
	v_mul_f32_e32 v10, s17, v7
	v_mul_f32_e32 v7, s16, v7
	v_fma_f32 v10, v6, s16, -v10
	v_fmac_f32_e32 v7, s17, v6
	v_add_f32_e32 v6, v8, v10
	v_add_f32_e32 v7, v9, v7
	global_store_dwordx2 v[0:1], v[6:7], off
.LBB1148_16:
	s_or_b64 exec, exec, s[2:3]
	v_cmp_le_i32_e32 vcc, v3, v2
	s_and_b64 s[0:1], vcc, s[0:1]
	s_and_saveexec_b64 s[2:3], s[0:1]
	s_cbranch_execz .LBB1148_18
; %bb.17:
	v_ashrrev_i32_e32 v3, 31, v2
	v_lshlrev_b64 v[0:1], 3, v[2:3]
	v_add_co_u32_e32 v0, vcc, v4, v0
	v_addc_co_u32_e32 v1, vcc, v5, v1, vcc
	global_load_dwordx2 v[2:3], v[0:1], off
	v_mul_f32_e32 v4, s15, v23
	v_mul_f32_e32 v5, s14, v23
	v_fma_f32 v4, v22, s14, -v4
	v_fmac_f32_e32 v5, s15, v22
	s_waitcnt vmcnt(0)
	v_mul_f32_e32 v6, s17, v3
	v_mul_f32_e32 v3, s16, v3
	v_fma_f32 v6, v2, s16, -v6
	v_fmac_f32_e32 v3, s17, v2
	v_add_f32_e32 v2, v4, v6
	v_add_f32_e32 v3, v5, v3
	global_store_dwordx2 v[0:1], v[2:3], off
.LBB1148_18:
	s_endpgm
	.section	.rodata,"a",@progbits
	.p2align	6, 0x0
	.amdhsa_kernel _ZL34rocblas_syrkx_herkx_general_kernelIl19rocblas_complex_numIfELi16ELi32ELi8ELb0ELb0ELc78ELc76EKS1_S1_EviT_T0_PT8_S3_lS6_S3_lS4_PT9_S3_li
		.amdhsa_group_segment_fixed_size 4096
		.amdhsa_private_segment_fixed_size 0
		.amdhsa_kernarg_size 108
		.amdhsa_user_sgpr_count 6
		.amdhsa_user_sgpr_private_segment_buffer 1
		.amdhsa_user_sgpr_dispatch_ptr 0
		.amdhsa_user_sgpr_queue_ptr 0
		.amdhsa_user_sgpr_kernarg_segment_ptr 1
		.amdhsa_user_sgpr_dispatch_id 0
		.amdhsa_user_sgpr_flat_scratch_init 0
		.amdhsa_user_sgpr_private_segment_size 0
		.amdhsa_uses_dynamic_stack 0
		.amdhsa_system_sgpr_private_segment_wavefront_offset 0
		.amdhsa_system_sgpr_workgroup_id_x 1
		.amdhsa_system_sgpr_workgroup_id_y 1
		.amdhsa_system_sgpr_workgroup_id_z 1
		.amdhsa_system_sgpr_workgroup_info 0
		.amdhsa_system_vgpr_workitem_id 1
		.amdhsa_next_free_vgpr 48
		.amdhsa_next_free_sgpr 30
		.amdhsa_reserve_vcc 1
		.amdhsa_reserve_flat_scratch 0
		.amdhsa_float_round_mode_32 0
		.amdhsa_float_round_mode_16_64 0
		.amdhsa_float_denorm_mode_32 3
		.amdhsa_float_denorm_mode_16_64 3
		.amdhsa_dx10_clamp 1
		.amdhsa_ieee_mode 1
		.amdhsa_fp16_overflow 0
		.amdhsa_exception_fp_ieee_invalid_op 0
		.amdhsa_exception_fp_denorm_src 0
		.amdhsa_exception_fp_ieee_div_zero 0
		.amdhsa_exception_fp_ieee_overflow 0
		.amdhsa_exception_fp_ieee_underflow 0
		.amdhsa_exception_fp_ieee_inexact 0
		.amdhsa_exception_int_div_zero 0
	.end_amdhsa_kernel
	.section	.text._ZL34rocblas_syrkx_herkx_general_kernelIl19rocblas_complex_numIfELi16ELi32ELi8ELb0ELb0ELc78ELc76EKS1_S1_EviT_T0_PT8_S3_lS6_S3_lS4_PT9_S3_li,"axG",@progbits,_ZL34rocblas_syrkx_herkx_general_kernelIl19rocblas_complex_numIfELi16ELi32ELi8ELb0ELb0ELc78ELc76EKS1_S1_EviT_T0_PT8_S3_lS6_S3_lS4_PT9_S3_li,comdat
.Lfunc_end1148:
	.size	_ZL34rocblas_syrkx_herkx_general_kernelIl19rocblas_complex_numIfELi16ELi32ELi8ELb0ELb0ELc78ELc76EKS1_S1_EviT_T0_PT8_S3_lS6_S3_lS4_PT9_S3_li, .Lfunc_end1148-_ZL34rocblas_syrkx_herkx_general_kernelIl19rocblas_complex_numIfELi16ELi32ELi8ELb0ELb0ELc78ELc76EKS1_S1_EviT_T0_PT8_S3_lS6_S3_lS4_PT9_S3_li
                                        ; -- End function
	.set _ZL34rocblas_syrkx_herkx_general_kernelIl19rocblas_complex_numIfELi16ELi32ELi8ELb0ELb0ELc78ELc76EKS1_S1_EviT_T0_PT8_S3_lS6_S3_lS4_PT9_S3_li.num_vgpr, 48
	.set _ZL34rocblas_syrkx_herkx_general_kernelIl19rocblas_complex_numIfELi16ELi32ELi8ELb0ELb0ELc78ELc76EKS1_S1_EviT_T0_PT8_S3_lS6_S3_lS4_PT9_S3_li.num_agpr, 0
	.set _ZL34rocblas_syrkx_herkx_general_kernelIl19rocblas_complex_numIfELi16ELi32ELi8ELb0ELb0ELc78ELc76EKS1_S1_EviT_T0_PT8_S3_lS6_S3_lS4_PT9_S3_li.numbered_sgpr, 30
	.set _ZL34rocblas_syrkx_herkx_general_kernelIl19rocblas_complex_numIfELi16ELi32ELi8ELb0ELb0ELc78ELc76EKS1_S1_EviT_T0_PT8_S3_lS6_S3_lS4_PT9_S3_li.num_named_barrier, 0
	.set _ZL34rocblas_syrkx_herkx_general_kernelIl19rocblas_complex_numIfELi16ELi32ELi8ELb0ELb0ELc78ELc76EKS1_S1_EviT_T0_PT8_S3_lS6_S3_lS4_PT9_S3_li.private_seg_size, 0
	.set _ZL34rocblas_syrkx_herkx_general_kernelIl19rocblas_complex_numIfELi16ELi32ELi8ELb0ELb0ELc78ELc76EKS1_S1_EviT_T0_PT8_S3_lS6_S3_lS4_PT9_S3_li.uses_vcc, 1
	.set _ZL34rocblas_syrkx_herkx_general_kernelIl19rocblas_complex_numIfELi16ELi32ELi8ELb0ELb0ELc78ELc76EKS1_S1_EviT_T0_PT8_S3_lS6_S3_lS4_PT9_S3_li.uses_flat_scratch, 0
	.set _ZL34rocblas_syrkx_herkx_general_kernelIl19rocblas_complex_numIfELi16ELi32ELi8ELb0ELb0ELc78ELc76EKS1_S1_EviT_T0_PT8_S3_lS6_S3_lS4_PT9_S3_li.has_dyn_sized_stack, 0
	.set _ZL34rocblas_syrkx_herkx_general_kernelIl19rocblas_complex_numIfELi16ELi32ELi8ELb0ELb0ELc78ELc76EKS1_S1_EviT_T0_PT8_S3_lS6_S3_lS4_PT9_S3_li.has_recursion, 0
	.set _ZL34rocblas_syrkx_herkx_general_kernelIl19rocblas_complex_numIfELi16ELi32ELi8ELb0ELb0ELc78ELc76EKS1_S1_EviT_T0_PT8_S3_lS6_S3_lS4_PT9_S3_li.has_indirect_call, 0
	.section	.AMDGPU.csdata,"",@progbits
; Kernel info:
; codeLenInByte = 2392
; TotalNumSgprs: 34
; NumVgprs: 48
; ScratchSize: 0
; MemoryBound: 1
; FloatMode: 240
; IeeeMode: 1
; LDSByteSize: 4096 bytes/workgroup (compile time only)
; SGPRBlocks: 4
; VGPRBlocks: 11
; NumSGPRsForWavesPerEU: 34
; NumVGPRsForWavesPerEU: 48
; Occupancy: 5
; WaveLimiterHint : 0
; COMPUTE_PGM_RSRC2:SCRATCH_EN: 0
; COMPUTE_PGM_RSRC2:USER_SGPR: 6
; COMPUTE_PGM_RSRC2:TRAP_HANDLER: 0
; COMPUTE_PGM_RSRC2:TGID_X_EN: 1
; COMPUTE_PGM_RSRC2:TGID_Y_EN: 1
; COMPUTE_PGM_RSRC2:TGID_Z_EN: 1
; COMPUTE_PGM_RSRC2:TIDIG_COMP_CNT: 1
	.section	.text._ZL34rocblas_syrkx_herkx_general_kernelIl19rocblas_complex_numIfELi16ELi32ELi8ELb0ELb0ELc84ELc85EKS1_S1_EviT_T0_PT8_S3_lS6_S3_lS4_PT9_S3_li,"axG",@progbits,_ZL34rocblas_syrkx_herkx_general_kernelIl19rocblas_complex_numIfELi16ELi32ELi8ELb0ELb0ELc84ELc85EKS1_S1_EviT_T0_PT8_S3_lS6_S3_lS4_PT9_S3_li,comdat
	.globl	_ZL34rocblas_syrkx_herkx_general_kernelIl19rocblas_complex_numIfELi16ELi32ELi8ELb0ELb0ELc84ELc85EKS1_S1_EviT_T0_PT8_S3_lS6_S3_lS4_PT9_S3_li ; -- Begin function _ZL34rocblas_syrkx_herkx_general_kernelIl19rocblas_complex_numIfELi16ELi32ELi8ELb0ELb0ELc84ELc85EKS1_S1_EviT_T0_PT8_S3_lS6_S3_lS4_PT9_S3_li
	.p2align	8
	.type	_ZL34rocblas_syrkx_herkx_general_kernelIl19rocblas_complex_numIfELi16ELi32ELi8ELb0ELb0ELc84ELc85EKS1_S1_EviT_T0_PT8_S3_lS6_S3_lS4_PT9_S3_li,@function
_ZL34rocblas_syrkx_herkx_general_kernelIl19rocblas_complex_numIfELi16ELi32ELi8ELb0ELb0ELc84ELc85EKS1_S1_EviT_T0_PT8_S3_lS6_S3_lS4_PT9_S3_li: ; @_ZL34rocblas_syrkx_herkx_general_kernelIl19rocblas_complex_numIfELi16ELi32ELi8ELb0ELb0ELc84ELc85EKS1_S1_EviT_T0_PT8_S3_lS6_S3_lS4_PT9_S3_li
; %bb.0:
	s_load_dwordx16 s[12:27], s[4:5], 0x8
	s_load_dword s9, s[4:5], 0x0
	s_lshl_b32 s28, s6, 5
	s_lshl_b32 s29, s7, 5
	s_waitcnt lgkmcnt(0)
	v_cmp_lt_i64_e64 s[0:1], s[12:13], 1
	s_and_b64 vcc, exec, s[0:1]
	s_cbranch_vccnz .LBB1149_11
; %bb.1:
	v_lshl_add_u32 v2, v1, 4, v0
	v_and_b32_e32 v5, 31, v2
	v_or_b32_e32 v6, s28, v5
	v_and_b32_e32 v11, 7, v0
	v_lshrrev_b32_e32 v3, 3, v2
	v_lshrrev_b32_e32 v10, 5, v2
	v_cmp_gt_i32_e32 vcc, s9, v6
	v_lshlrev_b32_e32 v2, 3, v5
	v_lshlrev_b32_e32 v6, 3, v11
	v_lshl_or_b32 v12, v10, 8, v2
	v_lshl_or_b32 v2, v3, 6, v6
	v_add_u32_e32 v13, 0x800, v2
	v_add_u32_e32 v2, s28, v5
	;; [unrolled: 1-line block ×3, first 2 shown]
	v_ashrrev_i32_e32 v3, 31, v2
	v_mul_lo_u32 v5, s18, v3
	v_mul_lo_u32 v8, s19, v2
	v_mad_u64_u32 v[2:3], s[2:3], s18, v2, 0
	s_mul_i32 s2, s21, s8
	s_mul_hi_u32 s3, s20, s8
	v_add3_u32 v3, v3, v5, v8
	v_lshlrev_b64 v[2:3], 3, v[2:3]
	s_add_i32 s3, s3, s2
	s_mul_i32 s2, s20, s8
	s_lshl_b64 s[2:3], s[2:3], 3
	v_mov_b32_e32 v5, s3
	v_add_co_u32_e64 v2, s[2:3], s2, v2
	v_addc_co_u32_e64 v3, s[2:3], v3, v5, s[2:3]
	v_lshlrev_b32_e32 v5, 3, v10
	v_ashrrev_i32_e32 v7, 31, v4
	v_mov_b32_e32 v9, 0x800
	v_add_co_u32_e64 v2, s[2:3], v2, v5
	v_cmp_gt_i32_e64 s[0:1], s9, v4
	v_lshl_add_u32 v15, v1, 6, v9
	v_addc_co_u32_e64 v3, s[2:3], 0, v3, s[2:3]
	v_mul_lo_u32 v7, s24, v7
	v_mul_lo_u32 v9, s25, v4
	v_mad_u64_u32 v[4:5], s[2:3], s24, v4, 0
	v_mov_b32_e32 v8, s17
	v_add_co_u32_e64 v2, s[2:3], s16, v2
	v_addc_co_u32_e64 v3, s[2:3], v8, v3, s[2:3]
	v_add3_u32 v5, v5, v7, v9
	s_mul_i32 s2, s27, s8
	s_mul_hi_u32 s3, s26, s8
	v_lshlrev_b64 v[4:5], 3, v[4:5]
	s_add_i32 s3, s3, s2
	s_mul_i32 s2, s26, s8
	s_lshl_b64 s[2:3], s[2:3], 3
	v_mov_b32_e32 v7, s3
	v_add_co_u32_e64 v4, s[2:3], s2, v4
	v_addc_co_u32_e64 v5, s[2:3], v5, v7, s[2:3]
	v_add_co_u32_e64 v4, s[2:3], v4, v6
	v_addc_co_u32_e64 v5, s[2:3], 0, v5, s[2:3]
	v_mov_b32_e32 v6, s23
	v_add_co_u32_e64 v4, s[2:3], s22, v4
	v_addc_co_u32_e64 v5, s[2:3], v6, v5, s[2:3]
	v_mov_b32_e32 v8, s12
	v_lshlrev_b32_e32 v14, 3, v0
	s_mov_b64 s[2:3], 0
	s_xor_b64 s[6:7], vcc, -1
	s_xor_b64 s[10:11], s[0:1], -1
	v_mov_b32_e32 v19, 0
	v_mov_b32_e32 v18, 0
	;; [unrolled: 1-line block ×10, first 2 shown]
	s_branch .LBB1149_3
.LBB1149_2:                             ;   in Loop: Header=BB1149_3 Depth=1
	s_or_b64 exec, exec, s[0:1]
	s_waitcnt lgkmcnt(0)
	s_barrier
	ds_read2_b64 v[24:27], v14 offset1:16
	ds_read_b128 v[28:31], v15
	ds_read_b128 v[32:35], v15 offset:16
	s_add_u32 s2, s2, 8
	v_add_co_u32_e32 v2, vcc, 64, v2
	s_waitcnt lgkmcnt(1)
	v_mul_f32_e32 v36, v28, v25
	v_fmac_f32_e32 v36, v29, v24
	v_add_f32_e32 v44, v21, v36
	ds_read_b128 v[36:39], v15 offset:1024
	v_mul_f32_e32 v7, v29, v25
	v_fma_f32 v7, v28, v24, -v7
	v_add_f32_e32 v7, v20, v7
	v_mul_f32_e32 v20, v29, v27
	v_mul_f32_e32 v21, v28, v27
	v_fma_f32 v20, v28, v26, -v20
	v_fmac_f32_e32 v21, v29, v26
	v_add_f32_e32 v28, v22, v20
	v_add_f32_e32 v29, v23, v21
	ds_read_b128 v[20:23], v15 offset:1040
	s_waitcnt lgkmcnt(1)
	v_mul_f32_e32 v40, v37, v25
	v_fma_f32 v40, v36, v24, -v40
	v_add_f32_e32 v45, v16, v40
	ds_read2_b64 v[40:43], v14 offset0:32 offset1:48
	v_mul_f32_e32 v25, v36, v25
	v_mul_f32_e32 v16, v37, v27
	v_fmac_f32_e32 v25, v37, v24
	v_fma_f32 v16, v36, v26, -v16
	v_add_f32_e32 v46, v17, v25
	v_mul_f32_e32 v17, v36, v27
	v_add_f32_e32 v36, v18, v16
	s_waitcnt lgkmcnt(0)
	v_mul_f32_e32 v16, v31, v41
	v_fma_f32 v47, v30, v40, -v16
	v_mul_f32_e32 v16, v31, v43
	v_fma_f32 v49, v30, v42, -v16
	v_mul_f32_e32 v48, v30, v41
	v_mul_f32_e32 v30, v30, v43
	v_add_f32_e32 v7, v7, v47
	v_add_f32_e32 v47, v28, v49
	v_mul_f32_e32 v28, v39, v41
	v_fmac_f32_e32 v17, v37, v26
	v_fmac_f32_e32 v48, v31, v40
	;; [unrolled: 1-line block ×3, first 2 shown]
	v_fma_f32 v49, v38, v40, -v28
	v_mul_f32_e32 v41, v38, v41
	v_mul_f32_e32 v28, v39, v43
	v_add_f32_e32 v37, v19, v17
	ds_read_b128 v[16:19], v15 offset:32
	ds_read_b128 v[24:27], v15 offset:48
	v_add_f32_e32 v44, v44, v48
	v_add_f32_e32 v48, v29, v30
	v_fmac_f32_e32 v41, v39, v40
	v_fma_f32 v40, v38, v42, -v28
	ds_read2_b64 v[28:31], v14 offset0:64 offset1:80
	v_add_f32_e32 v40, v36, v40
	v_mul_f32_e32 v38, v38, v43
	v_fmac_f32_e32 v38, v39, v42
	v_add_f32_e32 v42, v37, v38
	s_waitcnt lgkmcnt(0)
	v_mul_f32_e32 v36, v33, v29
	v_fma_f32 v36, v32, v28, -v36
	v_add_f32_e32 v7, v7, v36
	v_mul_f32_e32 v36, v33, v31
	v_mul_f32_e32 v37, v32, v29
	v_fma_f32 v36, v32, v30, -v36
	v_mul_f32_e32 v32, v32, v31
	v_fmac_f32_e32 v37, v33, v28
	v_fmac_f32_e32 v32, v33, v30
	v_add_f32_e32 v33, v47, v36
	v_mul_f32_e32 v36, v21, v29
	v_add_f32_e32 v39, v45, v49
	v_fma_f32 v36, v20, v28, -v36
	v_mul_f32_e32 v29, v20, v29
	v_add_f32_e32 v41, v46, v41
	v_fmac_f32_e32 v29, v21, v28
	v_add_f32_e32 v28, v39, v36
	v_mul_f32_e32 v36, v21, v31
	v_add_f32_e32 v43, v44, v37
	v_add_f32_e32 v29, v41, v29
	v_fma_f32 v41, v20, v30, -v36
	ds_read2_b64 v[36:39], v14 offset0:96 offset1:112
	v_mul_f32_e32 v20, v20, v31
	v_fmac_f32_e32 v20, v21, v30
	v_add_f32_e32 v21, v40, v41
	v_add_f32_e32 v32, v48, v32
	s_waitcnt lgkmcnt(0)
	v_mul_f32_e32 v30, v35, v37
	v_fma_f32 v30, v34, v36, -v30
	v_mul_f32_e32 v31, v34, v37
	v_fmac_f32_e32 v31, v35, v36
	v_add_f32_e32 v7, v7, v30
	v_mul_f32_e32 v30, v35, v39
	v_add_f32_e32 v40, v43, v31
	v_fma_f32 v30, v34, v38, -v30
	v_mul_f32_e32 v31, v34, v39
	v_fmac_f32_e32 v31, v35, v38
	v_add_f32_e32 v33, v33, v30
	v_mul_f32_e32 v30, v23, v37
	v_add_f32_e32 v32, v32, v31
	;; [unrolled: 6-line block ×3, first 2 shown]
	v_fma_f32 v34, v22, v38, -v28
	ds_read2_b64 v[28:31], v14 offset0:128 offset1:144
	v_mul_f32_e32 v22, v22, v39
	v_add_f32_e32 v20, v42, v20
	v_fmac_f32_e32 v22, v23, v38
	v_add_f32_e32 v42, v20, v22
	s_waitcnt lgkmcnt(0)
	v_mul_f32_e32 v20, v17, v29
	v_add_f32_e32 v41, v21, v34
	v_fma_f32 v20, v16, v28, -v20
	v_mul_f32_e32 v21, v16, v29
	v_fmac_f32_e32 v21, v17, v28
	v_add_f32_e32 v7, v7, v20
	v_mul_f32_e32 v20, v17, v31
	v_add_f32_e32 v40, v40, v21
	v_fma_f32 v34, v16, v30, -v20
	ds_read_b128 v[20:23], v15 offset:1056
	v_mul_f32_e32 v16, v16, v31
	v_fmac_f32_e32 v16, v17, v30
	v_add_f32_e32 v17, v33, v34
	v_add_f32_e32 v16, v32, v16
	ds_read_b128 v[32:35], v15 offset:1072
	s_waitcnt lgkmcnt(1)
	v_mul_f32_e32 v38, v21, v29
	v_fma_f32 v38, v20, v28, -v38
	v_mul_f32_e32 v29, v20, v29
	v_fmac_f32_e32 v29, v21, v28
	v_add_f32_e32 v28, v36, v38
	v_mul_f32_e32 v36, v21, v31
	v_add_f32_e32 v29, v37, v29
	v_fma_f32 v43, v20, v30, -v36
	ds_read2_b64 v[36:39], v14 offset0:160 offset1:176
	v_mul_f32_e32 v20, v20, v31
	v_fmac_f32_e32 v20, v21, v30
	v_add_f32_e32 v20, v42, v20
	v_add_f32_e32 v21, v41, v43
	s_waitcnt lgkmcnt(0)
	v_mul_f32_e32 v30, v19, v37
	v_mul_f32_e32 v31, v18, v37
	v_fma_f32 v30, v18, v36, -v30
	v_fmac_f32_e32 v31, v19, v36
	v_add_f32_e32 v7, v7, v30
	v_add_f32_e32 v30, v40, v31
	v_mul_f32_e32 v31, v19, v39
	v_fma_f32 v31, v18, v38, -v31
	v_mul_f32_e32 v18, v18, v39
	v_fmac_f32_e32 v18, v19, v38
	v_add_f32_e32 v40, v16, v18
	v_mul_f32_e32 v16, v23, v37
	v_add_f32_e32 v31, v17, v31
	v_fma_f32 v16, v22, v36, -v16
	v_mul_f32_e32 v17, v22, v37
	v_fmac_f32_e32 v17, v23, v36
	v_add_f32_e32 v28, v28, v16
	v_mul_f32_e32 v16, v23, v39
	v_add_f32_e32 v29, v29, v17
	v_fma_f32 v36, v22, v38, -v16
	ds_read2_b64 v[16:19], v14 offset0:192 offset1:208
	v_mul_f32_e32 v22, v22, v39
	v_fmac_f32_e32 v22, v23, v38
	v_add_f32_e32 v20, v20, v22
	v_add_f32_e32 v21, v21, v36
	s_waitcnt lgkmcnt(0)
	v_mul_f32_e32 v22, v25, v17
	v_mul_f32_e32 v23, v24, v17
	v_fma_f32 v22, v24, v16, -v22
	v_fmac_f32_e32 v23, v25, v16
	v_add_f32_e32 v7, v7, v22
	v_add_f32_e32 v22, v30, v23
	v_mul_f32_e32 v23, v25, v19
	v_fma_f32 v23, v24, v18, -v23
	v_mul_f32_e32 v24, v24, v19
	v_fmac_f32_e32 v24, v25, v18
	v_mul_f32_e32 v25, v33, v17
	v_mul_f32_e32 v17, v32, v17
	v_fma_f32 v25, v32, v16, -v25
	v_fmac_f32_e32 v17, v33, v16
	v_add_f32_e32 v23, v31, v23
	v_add_f32_e32 v16, v28, v25
	;; [unrolled: 1-line block ×3, first 2 shown]
	ds_read2_b64 v[28:31], v14 offset0:224 offset1:240
	v_mul_f32_e32 v25, v33, v19
	v_mul_f32_e32 v19, v32, v19
	v_fmac_f32_e32 v19, v33, v18
	v_add_f32_e32 v19, v20, v19
	s_waitcnt lgkmcnt(0)
	v_mul_f32_e32 v20, v27, v29
	v_fma_f32 v25, v32, v18, -v25
	v_fma_f32 v20, v26, v28, -v20
	v_add_f32_e32 v18, v21, v25
	v_mul_f32_e32 v21, v26, v29
	v_add_f32_e32 v20, v7, v20
	v_mul_f32_e32 v7, v27, v31
	v_mul_f32_e32 v25, v26, v31
	v_add_f32_e32 v24, v40, v24
	v_fmac_f32_e32 v21, v27, v28
	v_fma_f32 v7, v26, v30, -v7
	v_fmac_f32_e32 v25, v27, v30
	v_add_f32_e32 v21, v22, v21
	v_add_f32_e32 v22, v23, v7
	;; [unrolled: 1-line block ×3, first 2 shown]
	v_mul_f32_e32 v7, v35, v29
	v_mul_f32_e32 v24, v34, v29
	v_fma_f32 v7, v34, v28, -v7
	v_fmac_f32_e32 v24, v35, v28
	s_addc_u32 s3, s3, 0
	v_addc_co_u32_e32 v3, vcc, 0, v3, vcc
	v_add_f32_e32 v16, v16, v7
	v_add_f32_e32 v17, v17, v24
	v_mul_f32_e32 v7, v35, v31
	v_mul_f32_e32 v24, v34, v31
	v_cmp_ge_i64_e32 vcc, s[2:3], v[8:9]
	v_fma_f32 v7, v34, v30, -v7
	v_fmac_f32_e32 v24, v35, v30
	v_add_co_u32_e64 v4, s[0:1], 64, v4
	v_add_f32_e32 v18, v18, v7
	v_add_f32_e32 v19, v19, v24
	v_addc_co_u32_e64 v5, s[0:1], 0, v5, s[0:1]
	s_barrier
	s_cbranch_vccnz .LBB1149_12
.LBB1149_3:                             ; =>This Inner Loop Header: Depth=1
	v_mov_b32_e32 v7, s3
	v_add_co_u32_e32 v24, vcc, s2, v10
	v_addc_co_u32_e32 v25, vcc, 0, v7, vcc
	v_cmp_le_i64_e32 vcc, s[12:13], v[24:25]
	s_or_b64 s[0:1], s[6:7], vcc
	s_and_saveexec_b64 s[16:17], s[0:1]
	s_xor_b64 s[0:1], exec, s[16:17]
; %bb.4:                                ;   in Loop: Header=BB1149_3 Depth=1
	v_mov_b32_e32 v7, v6
	ds_write_b64 v12, v[6:7]
; %bb.5:                                ;   in Loop: Header=BB1149_3 Depth=1
	s_andn2_saveexec_b64 s[0:1], s[0:1]
	s_cbranch_execz .LBB1149_7
; %bb.6:                                ;   in Loop: Header=BB1149_3 Depth=1
	global_load_dwordx2 v[24:25], v[2:3], off
	s_waitcnt vmcnt(0)
	ds_write_b64 v12, v[24:25]
.LBB1149_7:                             ;   in Loop: Header=BB1149_3 Depth=1
	s_or_b64 exec, exec, s[0:1]
	v_mov_b32_e32 v7, s3
	v_add_co_u32_e32 v24, vcc, s2, v11
	v_addc_co_u32_e32 v25, vcc, 0, v7, vcc
	v_cmp_le_i64_e32 vcc, s[12:13], v[24:25]
	s_or_b64 s[0:1], vcc, s[10:11]
	s_and_saveexec_b64 s[16:17], s[0:1]
	s_xor_b64 s[0:1], exec, s[16:17]
; %bb.8:                                ;   in Loop: Header=BB1149_3 Depth=1
	v_mov_b32_e32 v7, v6
	ds_write_b64 v13, v[6:7]
; %bb.9:                                ;   in Loop: Header=BB1149_3 Depth=1
	s_andn2_saveexec_b64 s[0:1], s[0:1]
	s_cbranch_execz .LBB1149_2
; %bb.10:                               ;   in Loop: Header=BB1149_3 Depth=1
	global_load_dwordx2 v[24:25], v[4:5], off
	s_waitcnt vmcnt(0)
	ds_write_b64 v13, v[24:25]
	s_branch .LBB1149_2
.LBB1149_11:
	v_mov_b32_e32 v20, 0
	v_mov_b32_e32 v21, 0
	;; [unrolled: 1-line block ×8, first 2 shown]
.LBB1149_12:
	s_load_dwordx8 s[16:23], s[4:5], 0x48
	v_add_u32_e32 v4, s29, v1
	v_ashrrev_i32_e32 v1, 31, v4
	v_add_u32_e32 v0, s28, v0
	v_cmp_gt_i32_e32 vcc, s9, v4
	s_waitcnt lgkmcnt(0)
	v_mul_lo_u32 v3, s20, v1
	v_mul_lo_u32 v5, s21, v4
	v_mad_u64_u32 v[1:2], s[2:3], s20, v4, 0
	s_mul_i32 s0, s23, s8
	s_mul_hi_u32 s1, s22, s8
	s_add_i32 s1, s1, s0
	s_mul_i32 s0, s22, s8
	s_lshl_b64 s[0:1], s[0:1], 3
	v_add3_u32 v2, v2, v3, v5
	s_add_u32 s4, s18, s0
	v_lshlrev_b64 v[1:2], 3, v[1:2]
	s_addc_u32 s5, s19, s1
	v_mov_b32_e32 v3, s5
	v_add_co_u32_e64 v5, s[0:1], s4, v1
	v_addc_co_u32_e64 v6, s[0:1], v3, v2, s[0:1]
	v_cmp_le_i32_e64 s[0:1], v0, v4
	s_and_b64 s[0:1], vcc, s[0:1]
	s_and_saveexec_b64 s[2:3], s[0:1]
	s_cbranch_execz .LBB1149_14
; %bb.13:
	v_ashrrev_i32_e32 v1, 31, v0
	v_lshlrev_b64 v[1:2], 3, v[0:1]
	v_mul_f32_e32 v3, s15, v21
	v_add_co_u32_e64 v1, s[0:1], v5, v1
	v_addc_co_u32_e64 v2, s[0:1], v6, v2, s[0:1]
	global_load_dwordx2 v[7:8], v[1:2], off
	v_mul_f32_e32 v9, s14, v21
	v_fma_f32 v3, v20, s14, -v3
	v_fmac_f32_e32 v9, s15, v20
	s_waitcnt vmcnt(0)
	v_mul_f32_e32 v10, s17, v8
	v_mul_f32_e32 v8, s16, v8
	v_fma_f32 v10, v7, s16, -v10
	v_fmac_f32_e32 v8, s17, v7
	v_add_f32_e32 v7, v3, v10
	v_add_f32_e32 v8, v9, v8
	global_store_dwordx2 v[1:2], v[7:8], off
.LBB1149_14:
	s_or_b64 exec, exec, s[2:3]
	v_add_u32_e32 v2, 16, v0
	v_cmp_le_i32_e64 s[0:1], v2, v4
	s_and_b64 s[2:3], vcc, s[0:1]
	s_and_saveexec_b64 s[0:1], s[2:3]
	s_cbranch_execz .LBB1149_16
; %bb.15:
	v_ashrrev_i32_e32 v3, 31, v2
	v_lshlrev_b64 v[7:8], 3, v[2:3]
	v_mul_f32_e32 v1, s15, v23
	v_add_co_u32_e32 v5, vcc, v5, v7
	v_addc_co_u32_e32 v6, vcc, v6, v8, vcc
	global_load_dwordx2 v[7:8], v[5:6], off
	v_mul_f32_e32 v3, s14, v23
	v_fma_f32 v1, v22, s14, -v1
	v_fmac_f32_e32 v3, s15, v22
	s_waitcnt vmcnt(0)
	v_mul_f32_e32 v9, s17, v8
	v_mul_f32_e32 v8, s16, v8
	v_fma_f32 v9, v7, s16, -v9
	v_fmac_f32_e32 v8, s17, v7
	v_add_f32_e32 v7, v1, v9
	v_add_f32_e32 v8, v3, v8
	global_store_dwordx2 v[5:6], v[7:8], off
.LBB1149_16:
	s_or_b64 exec, exec, s[0:1]
	v_add_u32_e32 v3, 16, v4
	v_ashrrev_i32_e32 v1, 31, v3
	v_mul_lo_u32 v1, s20, v1
	v_mul_lo_u32 v6, s21, v3
	v_mad_u64_u32 v[4:5], s[0:1], s20, v3, 0
	v_cmp_gt_i32_e32 vcc, s9, v3
	v_add3_u32 v5, v5, v1, v6
	v_lshlrev_b64 v[4:5], 3, v[4:5]
	v_mov_b32_e32 v1, s5
	v_add_co_u32_e64 v4, s[0:1], s4, v4
	v_addc_co_u32_e64 v5, s[0:1], v1, v5, s[0:1]
	v_cmp_le_i32_e64 s[0:1], v0, v3
	s_and_b64 s[0:1], vcc, s[0:1]
	s_and_saveexec_b64 s[2:3], s[0:1]
	s_cbranch_execz .LBB1149_18
; %bb.17:
	v_ashrrev_i32_e32 v1, 31, v0
	v_lshlrev_b64 v[0:1], 3, v[0:1]
	v_mul_f32_e32 v8, s15, v17
	v_add_co_u32_e64 v0, s[0:1], v4, v0
	v_addc_co_u32_e64 v1, s[0:1], v5, v1, s[0:1]
	global_load_dwordx2 v[6:7], v[0:1], off
	v_mul_f32_e32 v9, s14, v17
	v_fma_f32 v8, v16, s14, -v8
	v_fmac_f32_e32 v9, s15, v16
	s_waitcnt vmcnt(0)
	v_mul_f32_e32 v10, s17, v7
	v_mul_f32_e32 v7, s16, v7
	v_fma_f32 v10, v6, s16, -v10
	v_fmac_f32_e32 v7, s17, v6
	v_add_f32_e32 v6, v8, v10
	v_add_f32_e32 v7, v9, v7
	global_store_dwordx2 v[0:1], v[6:7], off
.LBB1149_18:
	s_or_b64 exec, exec, s[2:3]
	v_cmp_le_i32_e64 s[0:1], v2, v3
	s_and_b64 s[0:1], vcc, s[0:1]
	s_and_saveexec_b64 s[2:3], s[0:1]
	s_cbranch_execz .LBB1149_20
; %bb.19:
	v_ashrrev_i32_e32 v3, 31, v2
	v_lshlrev_b64 v[0:1], 3, v[2:3]
	v_add_co_u32_e32 v0, vcc, v4, v0
	v_addc_co_u32_e32 v1, vcc, v5, v1, vcc
	global_load_dwordx2 v[2:3], v[0:1], off
	v_mul_f32_e32 v4, s15, v19
	v_mul_f32_e32 v5, s14, v19
	v_fma_f32 v4, v18, s14, -v4
	v_fmac_f32_e32 v5, s15, v18
	s_waitcnt vmcnt(0)
	v_mul_f32_e32 v6, s17, v3
	v_mul_f32_e32 v3, s16, v3
	v_fma_f32 v6, v2, s16, -v6
	v_fmac_f32_e32 v3, s17, v2
	v_add_f32_e32 v2, v4, v6
	v_add_f32_e32 v3, v5, v3
	global_store_dwordx2 v[0:1], v[2:3], off
.LBB1149_20:
	s_endpgm
	.section	.rodata,"a",@progbits
	.p2align	6, 0x0
	.amdhsa_kernel _ZL34rocblas_syrkx_herkx_general_kernelIl19rocblas_complex_numIfELi16ELi32ELi8ELb0ELb0ELc84ELc85EKS1_S1_EviT_T0_PT8_S3_lS6_S3_lS4_PT9_S3_li
		.amdhsa_group_segment_fixed_size 4096
		.amdhsa_private_segment_fixed_size 0
		.amdhsa_kernarg_size 108
		.amdhsa_user_sgpr_count 6
		.amdhsa_user_sgpr_private_segment_buffer 1
		.amdhsa_user_sgpr_dispatch_ptr 0
		.amdhsa_user_sgpr_queue_ptr 0
		.amdhsa_user_sgpr_kernarg_segment_ptr 1
		.amdhsa_user_sgpr_dispatch_id 0
		.amdhsa_user_sgpr_flat_scratch_init 0
		.amdhsa_user_sgpr_private_segment_size 0
		.amdhsa_uses_dynamic_stack 0
		.amdhsa_system_sgpr_private_segment_wavefront_offset 0
		.amdhsa_system_sgpr_workgroup_id_x 1
		.amdhsa_system_sgpr_workgroup_id_y 1
		.amdhsa_system_sgpr_workgroup_id_z 1
		.amdhsa_system_sgpr_workgroup_info 0
		.amdhsa_system_vgpr_workitem_id 1
		.amdhsa_next_free_vgpr 50
		.amdhsa_next_free_sgpr 30
		.amdhsa_reserve_vcc 1
		.amdhsa_reserve_flat_scratch 0
		.amdhsa_float_round_mode_32 0
		.amdhsa_float_round_mode_16_64 0
		.amdhsa_float_denorm_mode_32 3
		.amdhsa_float_denorm_mode_16_64 3
		.amdhsa_dx10_clamp 1
		.amdhsa_ieee_mode 1
		.amdhsa_fp16_overflow 0
		.amdhsa_exception_fp_ieee_invalid_op 0
		.amdhsa_exception_fp_denorm_src 0
		.amdhsa_exception_fp_ieee_div_zero 0
		.amdhsa_exception_fp_ieee_overflow 0
		.amdhsa_exception_fp_ieee_underflow 0
		.amdhsa_exception_fp_ieee_inexact 0
		.amdhsa_exception_int_div_zero 0
	.end_amdhsa_kernel
	.section	.text._ZL34rocblas_syrkx_herkx_general_kernelIl19rocblas_complex_numIfELi16ELi32ELi8ELb0ELb0ELc84ELc85EKS1_S1_EviT_T0_PT8_S3_lS6_S3_lS4_PT9_S3_li,"axG",@progbits,_ZL34rocblas_syrkx_herkx_general_kernelIl19rocblas_complex_numIfELi16ELi32ELi8ELb0ELb0ELc84ELc85EKS1_S1_EviT_T0_PT8_S3_lS6_S3_lS4_PT9_S3_li,comdat
.Lfunc_end1149:
	.size	_ZL34rocblas_syrkx_herkx_general_kernelIl19rocblas_complex_numIfELi16ELi32ELi8ELb0ELb0ELc84ELc85EKS1_S1_EviT_T0_PT8_S3_lS6_S3_lS4_PT9_S3_li, .Lfunc_end1149-_ZL34rocblas_syrkx_herkx_general_kernelIl19rocblas_complex_numIfELi16ELi32ELi8ELb0ELb0ELc84ELc85EKS1_S1_EviT_T0_PT8_S3_lS6_S3_lS4_PT9_S3_li
                                        ; -- End function
	.set _ZL34rocblas_syrkx_herkx_general_kernelIl19rocblas_complex_numIfELi16ELi32ELi8ELb0ELb0ELc84ELc85EKS1_S1_EviT_T0_PT8_S3_lS6_S3_lS4_PT9_S3_li.num_vgpr, 50
	.set _ZL34rocblas_syrkx_herkx_general_kernelIl19rocblas_complex_numIfELi16ELi32ELi8ELb0ELb0ELc84ELc85EKS1_S1_EviT_T0_PT8_S3_lS6_S3_lS4_PT9_S3_li.num_agpr, 0
	.set _ZL34rocblas_syrkx_herkx_general_kernelIl19rocblas_complex_numIfELi16ELi32ELi8ELb0ELb0ELc84ELc85EKS1_S1_EviT_T0_PT8_S3_lS6_S3_lS4_PT9_S3_li.numbered_sgpr, 30
	.set _ZL34rocblas_syrkx_herkx_general_kernelIl19rocblas_complex_numIfELi16ELi32ELi8ELb0ELb0ELc84ELc85EKS1_S1_EviT_T0_PT8_S3_lS6_S3_lS4_PT9_S3_li.num_named_barrier, 0
	.set _ZL34rocblas_syrkx_herkx_general_kernelIl19rocblas_complex_numIfELi16ELi32ELi8ELb0ELb0ELc84ELc85EKS1_S1_EviT_T0_PT8_S3_lS6_S3_lS4_PT9_S3_li.private_seg_size, 0
	.set _ZL34rocblas_syrkx_herkx_general_kernelIl19rocblas_complex_numIfELi16ELi32ELi8ELb0ELb0ELc84ELc85EKS1_S1_EviT_T0_PT8_S3_lS6_S3_lS4_PT9_S3_li.uses_vcc, 1
	.set _ZL34rocblas_syrkx_herkx_general_kernelIl19rocblas_complex_numIfELi16ELi32ELi8ELb0ELb0ELc84ELc85EKS1_S1_EviT_T0_PT8_S3_lS6_S3_lS4_PT9_S3_li.uses_flat_scratch, 0
	.set _ZL34rocblas_syrkx_herkx_general_kernelIl19rocblas_complex_numIfELi16ELi32ELi8ELb0ELb0ELc84ELc85EKS1_S1_EviT_T0_PT8_S3_lS6_S3_lS4_PT9_S3_li.has_dyn_sized_stack, 0
	.set _ZL34rocblas_syrkx_herkx_general_kernelIl19rocblas_complex_numIfELi16ELi32ELi8ELb0ELb0ELc84ELc85EKS1_S1_EviT_T0_PT8_S3_lS6_S3_lS4_PT9_S3_li.has_recursion, 0
	.set _ZL34rocblas_syrkx_herkx_general_kernelIl19rocblas_complex_numIfELi16ELi32ELi8ELb0ELb0ELc84ELc85EKS1_S1_EviT_T0_PT8_S3_lS6_S3_lS4_PT9_S3_li.has_indirect_call, 0
	.section	.AMDGPU.csdata,"",@progbits
; Kernel info:
; codeLenInByte = 2400
; TotalNumSgprs: 34
; NumVgprs: 50
; ScratchSize: 0
; MemoryBound: 1
; FloatMode: 240
; IeeeMode: 1
; LDSByteSize: 4096 bytes/workgroup (compile time only)
; SGPRBlocks: 4
; VGPRBlocks: 12
; NumSGPRsForWavesPerEU: 34
; NumVGPRsForWavesPerEU: 50
; Occupancy: 4
; WaveLimiterHint : 0
; COMPUTE_PGM_RSRC2:SCRATCH_EN: 0
; COMPUTE_PGM_RSRC2:USER_SGPR: 6
; COMPUTE_PGM_RSRC2:TRAP_HANDLER: 0
; COMPUTE_PGM_RSRC2:TGID_X_EN: 1
; COMPUTE_PGM_RSRC2:TGID_Y_EN: 1
; COMPUTE_PGM_RSRC2:TGID_Z_EN: 1
; COMPUTE_PGM_RSRC2:TIDIG_COMP_CNT: 1
	.section	.text._ZL34rocblas_syrkx_herkx_general_kernelIl19rocblas_complex_numIfELi16ELi32ELi8ELb0ELb0ELc67ELc85EKS1_S1_EviT_T0_PT8_S3_lS6_S3_lS4_PT9_S3_li,"axG",@progbits,_ZL34rocblas_syrkx_herkx_general_kernelIl19rocblas_complex_numIfELi16ELi32ELi8ELb0ELb0ELc67ELc85EKS1_S1_EviT_T0_PT8_S3_lS6_S3_lS4_PT9_S3_li,comdat
	.globl	_ZL34rocblas_syrkx_herkx_general_kernelIl19rocblas_complex_numIfELi16ELi32ELi8ELb0ELb0ELc67ELc85EKS1_S1_EviT_T0_PT8_S3_lS6_S3_lS4_PT9_S3_li ; -- Begin function _ZL34rocblas_syrkx_herkx_general_kernelIl19rocblas_complex_numIfELi16ELi32ELi8ELb0ELb0ELc67ELc85EKS1_S1_EviT_T0_PT8_S3_lS6_S3_lS4_PT9_S3_li
	.p2align	8
	.type	_ZL34rocblas_syrkx_herkx_general_kernelIl19rocblas_complex_numIfELi16ELi32ELi8ELb0ELb0ELc67ELc85EKS1_S1_EviT_T0_PT8_S3_lS6_S3_lS4_PT9_S3_li,@function
_ZL34rocblas_syrkx_herkx_general_kernelIl19rocblas_complex_numIfELi16ELi32ELi8ELb0ELb0ELc67ELc85EKS1_S1_EviT_T0_PT8_S3_lS6_S3_lS4_PT9_S3_li: ; @_ZL34rocblas_syrkx_herkx_general_kernelIl19rocblas_complex_numIfELi16ELi32ELi8ELb0ELb0ELc67ELc85EKS1_S1_EviT_T0_PT8_S3_lS6_S3_lS4_PT9_S3_li
; %bb.0:
	s_load_dwordx16 s[12:27], s[4:5], 0x8
	s_load_dword s9, s[4:5], 0x0
	s_lshl_b32 s28, s6, 5
	s_lshl_b32 s29, s7, 5
	s_waitcnt lgkmcnt(0)
	v_cmp_lt_i64_e64 s[0:1], s[12:13], 1
	s_and_b64 vcc, exec, s[0:1]
	s_cbranch_vccnz .LBB1150_9
; %bb.1:
	v_lshl_add_u32 v2, v1, 4, v0
	v_and_b32_e32 v5, 31, v2
	v_or_b32_e32 v6, s28, v5
	v_and_b32_e32 v13, 7, v0
	v_lshrrev_b32_e32 v3, 3, v2
	v_lshrrev_b32_e32 v12, 5, v2
	v_cmp_gt_i32_e64 s[0:1], s9, v6
	v_lshlrev_b32_e32 v2, 3, v5
	v_lshlrev_b32_e32 v6, 3, v13
	v_lshl_or_b32 v14, v12, 8, v2
	v_lshl_or_b32 v2, v3, 6, v6
	v_add_u32_e32 v15, 0x800, v2
	v_add_u32_e32 v2, s28, v5
	;; [unrolled: 1-line block ×3, first 2 shown]
	v_ashrrev_i32_e32 v3, 31, v2
	v_mul_lo_u32 v5, s18, v3
	v_mul_lo_u32 v8, s19, v2
	v_mad_u64_u32 v[2:3], s[2:3], s18, v2, 0
	s_mul_i32 s2, s21, s8
	s_mul_hi_u32 s3, s20, s8
	v_add3_u32 v3, v3, v5, v8
	v_lshlrev_b64 v[2:3], 3, v[2:3]
	s_add_i32 s3, s3, s2
	s_mul_i32 s2, s20, s8
	s_lshl_b64 s[2:3], s[2:3], 3
	v_mov_b32_e32 v5, s3
	v_add_co_u32_e64 v2, s[2:3], s2, v2
	v_addc_co_u32_e64 v3, s[2:3], v3, v5, s[2:3]
	v_lshlrev_b32_e32 v5, 3, v12
	v_add_co_u32_e64 v2, s[2:3], v2, v5
	v_addc_co_u32_e64 v3, s[2:3], 0, v3, s[2:3]
	v_ashrrev_i32_e32 v7, 31, v4
	v_mov_b32_e32 v5, s17
	v_add_co_u32_e64 v2, s[2:3], s16, v2
	v_cmp_gt_i32_e32 vcc, s9, v4
	v_addc_co_u32_e64 v3, s[2:3], v5, v3, s[2:3]
	v_mul_lo_u32 v7, s24, v7
	v_mul_lo_u32 v8, s25, v4
	v_mad_u64_u32 v[4:5], s[2:3], s24, v4, 0
	v_add_co_u32_e64 v2, s[2:3], 4, v2
	v_addc_co_u32_e64 v3, s[2:3], 0, v3, s[2:3]
	v_add3_u32 v5, v5, v7, v8
	s_mul_i32 s2, s27, s8
	s_mul_hi_u32 s3, s26, s8
	v_lshlrev_b64 v[4:5], 3, v[4:5]
	s_add_i32 s3, s3, s2
	s_mul_i32 s2, s26, s8
	s_lshl_b64 s[2:3], s[2:3], 3
	v_mov_b32_e32 v7, s3
	v_add_co_u32_e64 v4, s[2:3], s2, v4
	v_addc_co_u32_e64 v5, s[2:3], v5, v7, s[2:3]
	v_add_co_u32_e64 v4, s[2:3], v4, v6
	v_mov_b32_e32 v9, 0x800
	v_addc_co_u32_e64 v5, s[2:3], 0, v5, s[2:3]
	v_lshl_add_u32 v17, v1, 6, v9
	v_mov_b32_e32 v6, s23
	v_add_co_u32_e64 v4, s[2:3], s22, v4
	v_mov_b32_e32 v8, s12
	v_lshlrev_b32_e32 v16, 3, v0
	v_addc_co_u32_e64 v5, s[2:3], v6, v5, s[2:3]
	s_mov_b64 s[6:7], 0
	s_xor_b64 s[10:11], vcc, -1
	v_mov_b32_e32 v21, 0
	v_mov_b32_e32 v20, 0
	;; [unrolled: 1-line block ×10, first 2 shown]
	s_branch .LBB1150_3
.LBB1150_2:                             ;   in Loop: Header=BB1150_3 Depth=1
	s_or_b64 exec, exec, s[2:3]
	s_waitcnt lgkmcnt(0)
	s_barrier
	ds_read2_b64 v[26:29], v16 offset1:16
	ds_read_b128 v[30:33], v17
	ds_read_b128 v[34:37], v17 offset:16
	ds_read_b128 v[38:41], v17 offset:1024
	ds_read2_b64 v[42:45], v16 offset0:32 offset1:48
	s_add_u32 s6, s6, 8
	s_waitcnt lgkmcnt(3)
	v_mul_f32_e32 v7, v31, v27
	v_fma_f32 v7, v30, v26, -v7
	v_mul_f32_e32 v10, v30, v27
	v_add_f32_e32 v7, v22, v7
	v_mul_f32_e32 v11, v31, v29
	v_mul_f32_e32 v22, v30, v29
	v_fmac_f32_e32 v10, v31, v26
	v_fma_f32 v11, v30, v28, -v11
	v_fmac_f32_e32 v22, v31, v28
	v_add_f32_e32 v10, v23, v10
	v_add_f32_e32 v11, v24, v11
	;; [unrolled: 1-line block ×3, first 2 shown]
	ds_read_b128 v[22:25], v17 offset:1040
	s_waitcnt lgkmcnt(2)
	v_mul_f32_e32 v31, v39, v27
	v_fma_f32 v31, v38, v26, -v31
	v_mul_f32_e32 v27, v38, v27
	v_add_f32_e32 v46, v18, v31
	v_mul_f32_e32 v18, v39, v29
	v_fmac_f32_e32 v27, v39, v26
	v_fma_f32 v18, v38, v28, -v18
	v_add_f32_e32 v47, v19, v27
	v_mul_f32_e32 v19, v38, v29
	v_add_f32_e32 v38, v20, v18
	s_waitcnt lgkmcnt(1)
	v_mul_f32_e32 v18, v33, v43
	v_fma_f32 v31, v32, v42, -v18
	v_mul_f32_e32 v18, v33, v45
	v_mul_f32_e32 v48, v32, v43
	v_fma_f32 v49, v32, v44, -v18
	v_mul_f32_e32 v32, v32, v45
	v_fmac_f32_e32 v48, v33, v42
	v_fmac_f32_e32 v32, v33, v44
	v_add_f32_e32 v10, v10, v48
	v_add_f32_e32 v48, v30, v32
	v_mul_f32_e32 v30, v41, v43
	v_fmac_f32_e32 v19, v39, v28
	v_add_f32_e32 v11, v11, v49
	v_fma_f32 v49, v40, v42, -v30
	v_mul_f32_e32 v43, v40, v43
	v_mul_f32_e32 v30, v41, v45
	v_add_f32_e32 v39, v21, v19
	ds_read_b128 v[18:21], v17 offset:32
	ds_read_b128 v[26:29], v17 offset:48
	v_add_f32_e32 v7, v7, v31
	v_fmac_f32_e32 v43, v41, v42
	v_fma_f32 v42, v40, v44, -v30
	ds_read2_b64 v[30:33], v16 offset0:64 offset1:80
	v_add_f32_e32 v42, v38, v42
	v_mul_f32_e32 v40, v40, v45
	v_fmac_f32_e32 v40, v41, v44
	v_add_f32_e32 v44, v39, v40
	s_waitcnt lgkmcnt(0)
	v_mul_f32_e32 v38, v35, v31
	v_fma_f32 v38, v34, v30, -v38
	v_add_f32_e32 v7, v7, v38
	v_mul_f32_e32 v38, v35, v33
	v_mul_f32_e32 v39, v34, v31
	v_fma_f32 v38, v34, v32, -v38
	v_mul_f32_e32 v34, v34, v33
	v_fmac_f32_e32 v39, v35, v30
	v_fmac_f32_e32 v34, v35, v32
	v_mul_f32_e32 v35, v23, v31
	v_add_f32_e32 v41, v46, v49
	v_fma_f32 v35, v22, v30, -v35
	v_mul_f32_e32 v31, v22, v31
	v_add_f32_e32 v10, v10, v39
	v_add_f32_e32 v11, v11, v38
	v_fmac_f32_e32 v31, v23, v30
	v_add_f32_e32 v30, v41, v35
	ds_read2_b64 v[38:41], v16 offset0:96 offset1:112
	v_mul_f32_e32 v35, v23, v33
	v_fma_f32 v35, v22, v32, -v35
	v_mul_f32_e32 v22, v22, v33
	v_fmac_f32_e32 v22, v23, v32
	s_waitcnt lgkmcnt(0)
	v_mul_f32_e32 v32, v37, v39
	v_fma_f32 v32, v36, v38, -v32
	v_mul_f32_e32 v33, v36, v39
	v_fmac_f32_e32 v33, v37, v38
	v_add_f32_e32 v7, v7, v32
	v_mul_f32_e32 v32, v37, v41
	v_add_f32_e32 v10, v10, v33
	v_fma_f32 v32, v36, v40, -v32
	v_mul_f32_e32 v33, v36, v41
	v_add_f32_e32 v34, v48, v34
	v_fmac_f32_e32 v33, v37, v40
	v_add_f32_e32 v11, v11, v32
	v_mul_f32_e32 v32, v25, v39
	v_add_f32_e32 v43, v47, v43
	v_add_f32_e32 v34, v34, v33
	v_fma_f32 v32, v24, v38, -v32
	v_mul_f32_e32 v33, v24, v39
	v_add_f32_e32 v31, v43, v31
	v_fmac_f32_e32 v33, v25, v38
	v_add_f32_e32 v38, v30, v32
	v_mul_f32_e32 v30, v25, v41
	v_add_f32_e32 v23, v42, v35
	v_add_f32_e32 v39, v31, v33
	v_fma_f32 v35, v24, v40, -v30
	ds_read2_b64 v[30:33], v16 offset0:128 offset1:144
	v_mul_f32_e32 v24, v24, v41
	v_add_f32_e32 v22, v44, v22
	v_fmac_f32_e32 v24, v25, v40
	v_add_f32_e32 v43, v22, v24
	s_waitcnt lgkmcnt(0)
	v_mul_f32_e32 v22, v19, v31
	v_add_f32_e32 v42, v23, v35
	v_fma_f32 v22, v18, v30, -v22
	v_mul_f32_e32 v23, v18, v31
	v_fmac_f32_e32 v23, v19, v30
	v_add_f32_e32 v7, v7, v22
	v_mul_f32_e32 v22, v19, v33
	v_add_f32_e32 v10, v10, v23
	v_fma_f32 v35, v18, v32, -v22
	ds_read_b128 v[22:25], v17 offset:1056
	v_mul_f32_e32 v18, v18, v33
	v_fmac_f32_e32 v18, v19, v32
	v_add_f32_e32 v11, v11, v35
	v_add_f32_e32 v18, v34, v18
	ds_read_b128 v[34:37], v17 offset:1072
	s_waitcnt lgkmcnt(1)
	v_mul_f32_e32 v19, v23, v31
	v_mul_f32_e32 v31, v22, v31
	v_fma_f32 v19, v22, v30, -v19
	v_fmac_f32_e32 v31, v23, v30
	v_add_f32_e32 v19, v38, v19
	v_add_f32_e32 v30, v39, v31
	ds_read2_b64 v[38:41], v16 offset0:160 offset1:176
	v_mul_f32_e32 v31, v23, v33
	v_fma_f32 v31, v22, v32, -v31
	v_mul_f32_e32 v22, v22, v33
	v_fmac_f32_e32 v22, v23, v32
	v_add_f32_e32 v23, v42, v31
	s_waitcnt lgkmcnt(0)
	v_mul_f32_e32 v31, v21, v39
	v_fma_f32 v31, v20, v38, -v31
	v_add_f32_e32 v7, v7, v31
	v_mul_f32_e32 v31, v21, v41
	v_mul_f32_e32 v32, v20, v39
	v_fma_f32 v31, v20, v40, -v31
	v_mul_f32_e32 v20, v20, v41
	v_fmac_f32_e32 v20, v21, v40
	v_add_f32_e32 v11, v11, v31
	v_add_f32_e32 v31, v18, v20
	v_mul_f32_e32 v18, v25, v39
	v_fmac_f32_e32 v32, v21, v38
	v_fma_f32 v18, v24, v38, -v18
	v_mul_f32_e32 v20, v24, v39
	v_add_f32_e32 v10, v10, v32
	v_fmac_f32_e32 v20, v25, v38
	v_add_f32_e32 v32, v19, v18
	v_mul_f32_e32 v18, v25, v41
	v_add_f32_e32 v30, v30, v20
	v_fma_f32 v33, v24, v40, -v18
	ds_read2_b64 v[18:21], v16 offset0:192 offset1:208
	v_mul_f32_e32 v24, v24, v41
	v_add_f32_e32 v22, v43, v22
	v_fmac_f32_e32 v24, v25, v40
	v_add_f32_e32 v22, v22, v24
	s_waitcnt lgkmcnt(0)
	v_mul_f32_e32 v24, v27, v19
	v_fma_f32 v24, v26, v18, -v24
	v_mul_f32_e32 v25, v26, v19
	v_add_f32_e32 v7, v7, v24
	v_mul_f32_e32 v24, v27, v21
	v_fmac_f32_e32 v25, v27, v18
	v_fma_f32 v24, v26, v20, -v24
	v_add_f32_e32 v10, v10, v25
	v_mul_f32_e32 v25, v26, v21
	v_add_f32_e32 v11, v11, v24
	v_mul_f32_e32 v24, v35, v19
	v_mul_f32_e32 v19, v34, v19
	v_fmac_f32_e32 v25, v27, v20
	v_fma_f32 v24, v34, v18, -v24
	v_fmac_f32_e32 v19, v35, v18
	v_add_f32_e32 v23, v23, v33
	v_add_f32_e32 v25, v31, v25
	v_add_f32_e32 v18, v32, v24
	v_add_f32_e32 v19, v30, v19
	ds_read2_b64 v[30:33], v16 offset0:224 offset1:240
	v_mul_f32_e32 v24, v35, v21
	v_mul_f32_e32 v21, v34, v21
	v_fma_f32 v24, v34, v20, -v24
	v_fmac_f32_e32 v21, v35, v20
	v_add_f32_e32 v20, v23, v24
	v_add_f32_e32 v21, v22, v21
	s_waitcnt lgkmcnt(0)
	v_mul_f32_e32 v22, v29, v31
	v_mul_f32_e32 v23, v28, v31
	v_fma_f32 v22, v28, v30, -v22
	v_fmac_f32_e32 v23, v29, v30
	v_add_f32_e32 v22, v7, v22
	v_add_f32_e32 v23, v10, v23
	v_mul_f32_e32 v7, v29, v33
	v_mul_f32_e32 v10, v28, v33
	v_fma_f32 v7, v28, v32, -v7
	v_fmac_f32_e32 v10, v29, v32
	v_add_f32_e32 v24, v11, v7
	v_add_f32_e32 v25, v25, v10
	v_mul_f32_e32 v7, v37, v31
	v_mul_f32_e32 v10, v36, v31
	v_add_co_u32_e32 v2, vcc, 64, v2
	v_fma_f32 v7, v36, v30, -v7
	v_fmac_f32_e32 v10, v37, v30
	s_addc_u32 s7, s7, 0
	v_addc_co_u32_e32 v3, vcc, 0, v3, vcc
	v_add_f32_e32 v18, v18, v7
	v_add_f32_e32 v19, v19, v10
	v_mul_f32_e32 v7, v37, v33
	v_mul_f32_e32 v10, v36, v33
	v_cmp_ge_i64_e32 vcc, s[6:7], v[8:9]
	v_fma_f32 v7, v36, v32, -v7
	v_fmac_f32_e32 v10, v37, v32
	v_add_co_u32_e64 v4, s[2:3], 64, v4
	v_add_f32_e32 v20, v20, v7
	v_add_f32_e32 v21, v21, v10
	v_addc_co_u32_e64 v5, s[2:3], 0, v5, s[2:3]
	s_barrier
	s_cbranch_vccnz .LBB1150_10
.LBB1150_3:                             ; =>This Inner Loop Header: Depth=1
	v_mov_b32_e32 v7, s7
	v_add_co_u32_e32 v10, vcc, s6, v12
	v_addc_co_u32_e32 v11, vcc, 0, v7, vcc
	v_cmp_gt_i64_e32 vcc, s[12:13], v[10:11]
	v_mov_b32_e32 v10, 0
	s_and_b64 s[16:17], s[0:1], vcc
	v_mov_b32_e32 v11, 0
	s_and_saveexec_b64 s[2:3], s[16:17]
	s_cbranch_execz .LBB1150_5
; %bb.4:                                ;   in Loop: Header=BB1150_3 Depth=1
	global_load_dwordx2 v[10:11], v[2:3], off offset:-4
.LBB1150_5:                             ;   in Loop: Header=BB1150_3 Depth=1
	s_or_b64 exec, exec, s[2:3]
	v_mov_b32_e32 v7, s7
	v_add_co_u32_e32 v26, vcc, s6, v13
	v_addc_co_u32_e32 v27, vcc, 0, v7, vcc
	v_cmp_le_i64_e32 vcc, s[12:13], v[26:27]
	s_waitcnt vmcnt(0)
	ds_write_b64 v14, v[10:11]
	s_or_b64 s[2:3], vcc, s[10:11]
	s_and_saveexec_b64 s[16:17], s[2:3]
	s_xor_b64 s[2:3], exec, s[16:17]
; %bb.6:                                ;   in Loop: Header=BB1150_3 Depth=1
	v_mov_b32_e32 v7, v6
	ds_write_b64 v15, v[6:7]
; %bb.7:                                ;   in Loop: Header=BB1150_3 Depth=1
	s_andn2_saveexec_b64 s[2:3], s[2:3]
	s_cbranch_execz .LBB1150_2
; %bb.8:                                ;   in Loop: Header=BB1150_3 Depth=1
	global_load_dwordx2 v[10:11], v[4:5], off
	s_waitcnt vmcnt(0)
	ds_write_b64 v15, v[10:11]
	s_branch .LBB1150_2
.LBB1150_9:
	v_mov_b32_e32 v22, 0
	v_mov_b32_e32 v23, 0
	;; [unrolled: 1-line block ×8, first 2 shown]
.LBB1150_10:
	s_load_dwordx8 s[16:23], s[4:5], 0x48
	v_add_u32_e32 v4, s29, v1
	v_ashrrev_i32_e32 v1, 31, v4
	v_add_u32_e32 v0, s28, v0
	v_cmp_gt_i32_e32 vcc, s9, v4
	s_waitcnt lgkmcnt(0)
	v_mul_lo_u32 v3, s20, v1
	v_mul_lo_u32 v5, s21, v4
	v_mad_u64_u32 v[1:2], s[2:3], s20, v4, 0
	s_mul_i32 s0, s23, s8
	s_mul_hi_u32 s1, s22, s8
	s_add_i32 s1, s1, s0
	s_mul_i32 s0, s22, s8
	s_lshl_b64 s[0:1], s[0:1], 3
	v_add3_u32 v2, v2, v3, v5
	s_add_u32 s4, s18, s0
	v_lshlrev_b64 v[1:2], 3, v[1:2]
	s_addc_u32 s5, s19, s1
	v_mov_b32_e32 v3, s5
	v_add_co_u32_e64 v5, s[0:1], s4, v1
	v_addc_co_u32_e64 v6, s[0:1], v3, v2, s[0:1]
	v_cmp_le_i32_e64 s[0:1], v0, v4
	s_and_b64 s[0:1], vcc, s[0:1]
	s_and_saveexec_b64 s[2:3], s[0:1]
	s_cbranch_execz .LBB1150_12
; %bb.11:
	v_ashrrev_i32_e32 v1, 31, v0
	v_lshlrev_b64 v[1:2], 3, v[0:1]
	v_mul_f32_e32 v3, s15, v23
	v_add_co_u32_e64 v1, s[0:1], v5, v1
	v_addc_co_u32_e64 v2, s[0:1], v6, v2, s[0:1]
	global_load_dwordx2 v[7:8], v[1:2], off
	v_mul_f32_e32 v9, s14, v23
	v_fma_f32 v3, v22, s14, -v3
	v_fmac_f32_e32 v9, s15, v22
	s_waitcnt vmcnt(0)
	v_mul_f32_e32 v10, s17, v8
	v_mul_f32_e32 v8, s16, v8
	v_fma_f32 v10, v7, s16, -v10
	v_fmac_f32_e32 v8, s17, v7
	v_add_f32_e32 v7, v3, v10
	v_add_f32_e32 v8, v9, v8
	global_store_dwordx2 v[1:2], v[7:8], off
.LBB1150_12:
	s_or_b64 exec, exec, s[2:3]
	v_add_u32_e32 v2, 16, v0
	v_cmp_le_i32_e64 s[0:1], v2, v4
	s_and_b64 s[2:3], vcc, s[0:1]
	s_and_saveexec_b64 s[0:1], s[2:3]
	s_cbranch_execz .LBB1150_14
; %bb.13:
	v_ashrrev_i32_e32 v3, 31, v2
	v_lshlrev_b64 v[7:8], 3, v[2:3]
	v_mul_f32_e32 v1, s15, v25
	v_add_co_u32_e32 v5, vcc, v5, v7
	v_addc_co_u32_e32 v6, vcc, v6, v8, vcc
	global_load_dwordx2 v[7:8], v[5:6], off
	v_mul_f32_e32 v3, s14, v25
	v_fma_f32 v1, v24, s14, -v1
	v_fmac_f32_e32 v3, s15, v24
	s_waitcnt vmcnt(0)
	v_mul_f32_e32 v9, s17, v8
	v_mul_f32_e32 v8, s16, v8
	v_fma_f32 v9, v7, s16, -v9
	v_fmac_f32_e32 v8, s17, v7
	v_add_f32_e32 v7, v1, v9
	v_add_f32_e32 v8, v3, v8
	global_store_dwordx2 v[5:6], v[7:8], off
.LBB1150_14:
	s_or_b64 exec, exec, s[0:1]
	v_add_u32_e32 v3, 16, v4
	v_ashrrev_i32_e32 v1, 31, v3
	v_mul_lo_u32 v1, s20, v1
	v_mul_lo_u32 v6, s21, v3
	v_mad_u64_u32 v[4:5], s[0:1], s20, v3, 0
	v_cmp_gt_i32_e32 vcc, s9, v3
	v_add3_u32 v5, v5, v1, v6
	v_lshlrev_b64 v[4:5], 3, v[4:5]
	v_mov_b32_e32 v1, s5
	v_add_co_u32_e64 v4, s[0:1], s4, v4
	v_addc_co_u32_e64 v5, s[0:1], v1, v5, s[0:1]
	v_cmp_le_i32_e64 s[0:1], v0, v3
	s_and_b64 s[0:1], vcc, s[0:1]
	s_and_saveexec_b64 s[2:3], s[0:1]
	s_cbranch_execz .LBB1150_16
; %bb.15:
	v_ashrrev_i32_e32 v1, 31, v0
	v_lshlrev_b64 v[0:1], 3, v[0:1]
	v_mul_f32_e32 v8, s15, v19
	v_add_co_u32_e64 v0, s[0:1], v4, v0
	v_addc_co_u32_e64 v1, s[0:1], v5, v1, s[0:1]
	global_load_dwordx2 v[6:7], v[0:1], off
	v_mul_f32_e32 v9, s14, v19
	v_fma_f32 v8, v18, s14, -v8
	v_fmac_f32_e32 v9, s15, v18
	s_waitcnt vmcnt(0)
	v_mul_f32_e32 v10, s17, v7
	v_mul_f32_e32 v7, s16, v7
	v_fma_f32 v10, v6, s16, -v10
	v_fmac_f32_e32 v7, s17, v6
	v_add_f32_e32 v6, v8, v10
	v_add_f32_e32 v7, v9, v7
	global_store_dwordx2 v[0:1], v[6:7], off
.LBB1150_16:
	s_or_b64 exec, exec, s[2:3]
	v_cmp_le_i32_e64 s[0:1], v2, v3
	s_and_b64 s[0:1], vcc, s[0:1]
	s_and_saveexec_b64 s[2:3], s[0:1]
	s_cbranch_execz .LBB1150_18
; %bb.17:
	v_ashrrev_i32_e32 v3, 31, v2
	v_lshlrev_b64 v[0:1], 3, v[2:3]
	v_add_co_u32_e32 v0, vcc, v4, v0
	v_addc_co_u32_e32 v1, vcc, v5, v1, vcc
	global_load_dwordx2 v[2:3], v[0:1], off
	v_mul_f32_e32 v4, s15, v21
	v_mul_f32_e32 v5, s14, v21
	v_fma_f32 v4, v20, s14, -v4
	v_fmac_f32_e32 v5, s15, v20
	s_waitcnt vmcnt(0)
	v_mul_f32_e32 v6, s17, v3
	v_mul_f32_e32 v3, s16, v3
	v_fma_f32 v6, v2, s16, -v6
	v_fmac_f32_e32 v3, s17, v2
	v_add_f32_e32 v2, v4, v6
	v_add_f32_e32 v3, v5, v3
	global_store_dwordx2 v[0:1], v[2:3], off
.LBB1150_18:
	s_endpgm
	.section	.rodata,"a",@progbits
	.p2align	6, 0x0
	.amdhsa_kernel _ZL34rocblas_syrkx_herkx_general_kernelIl19rocblas_complex_numIfELi16ELi32ELi8ELb0ELb0ELc67ELc85EKS1_S1_EviT_T0_PT8_S3_lS6_S3_lS4_PT9_S3_li
		.amdhsa_group_segment_fixed_size 4096
		.amdhsa_private_segment_fixed_size 0
		.amdhsa_kernarg_size 108
		.amdhsa_user_sgpr_count 6
		.amdhsa_user_sgpr_private_segment_buffer 1
		.amdhsa_user_sgpr_dispatch_ptr 0
		.amdhsa_user_sgpr_queue_ptr 0
		.amdhsa_user_sgpr_kernarg_segment_ptr 1
		.amdhsa_user_sgpr_dispatch_id 0
		.amdhsa_user_sgpr_flat_scratch_init 0
		.amdhsa_user_sgpr_private_segment_size 0
		.amdhsa_uses_dynamic_stack 0
		.amdhsa_system_sgpr_private_segment_wavefront_offset 0
		.amdhsa_system_sgpr_workgroup_id_x 1
		.amdhsa_system_sgpr_workgroup_id_y 1
		.amdhsa_system_sgpr_workgroup_id_z 1
		.amdhsa_system_sgpr_workgroup_info 0
		.amdhsa_system_vgpr_workitem_id 1
		.amdhsa_next_free_vgpr 50
		.amdhsa_next_free_sgpr 30
		.amdhsa_reserve_vcc 1
		.amdhsa_reserve_flat_scratch 0
		.amdhsa_float_round_mode_32 0
		.amdhsa_float_round_mode_16_64 0
		.amdhsa_float_denorm_mode_32 3
		.amdhsa_float_denorm_mode_16_64 3
		.amdhsa_dx10_clamp 1
		.amdhsa_ieee_mode 1
		.amdhsa_fp16_overflow 0
		.amdhsa_exception_fp_ieee_invalid_op 0
		.amdhsa_exception_fp_denorm_src 0
		.amdhsa_exception_fp_ieee_div_zero 0
		.amdhsa_exception_fp_ieee_overflow 0
		.amdhsa_exception_fp_ieee_underflow 0
		.amdhsa_exception_fp_ieee_inexact 0
		.amdhsa_exception_int_div_zero 0
	.end_amdhsa_kernel
	.section	.text._ZL34rocblas_syrkx_herkx_general_kernelIl19rocblas_complex_numIfELi16ELi32ELi8ELb0ELb0ELc67ELc85EKS1_S1_EviT_T0_PT8_S3_lS6_S3_lS4_PT9_S3_li,"axG",@progbits,_ZL34rocblas_syrkx_herkx_general_kernelIl19rocblas_complex_numIfELi16ELi32ELi8ELb0ELb0ELc67ELc85EKS1_S1_EviT_T0_PT8_S3_lS6_S3_lS4_PT9_S3_li,comdat
.Lfunc_end1150:
	.size	_ZL34rocblas_syrkx_herkx_general_kernelIl19rocblas_complex_numIfELi16ELi32ELi8ELb0ELb0ELc67ELc85EKS1_S1_EviT_T0_PT8_S3_lS6_S3_lS4_PT9_S3_li, .Lfunc_end1150-_ZL34rocblas_syrkx_herkx_general_kernelIl19rocblas_complex_numIfELi16ELi32ELi8ELb0ELb0ELc67ELc85EKS1_S1_EviT_T0_PT8_S3_lS6_S3_lS4_PT9_S3_li
                                        ; -- End function
	.set _ZL34rocblas_syrkx_herkx_general_kernelIl19rocblas_complex_numIfELi16ELi32ELi8ELb0ELb0ELc67ELc85EKS1_S1_EviT_T0_PT8_S3_lS6_S3_lS4_PT9_S3_li.num_vgpr, 50
	.set _ZL34rocblas_syrkx_herkx_general_kernelIl19rocblas_complex_numIfELi16ELi32ELi8ELb0ELb0ELc67ELc85EKS1_S1_EviT_T0_PT8_S3_lS6_S3_lS4_PT9_S3_li.num_agpr, 0
	.set _ZL34rocblas_syrkx_herkx_general_kernelIl19rocblas_complex_numIfELi16ELi32ELi8ELb0ELb0ELc67ELc85EKS1_S1_EviT_T0_PT8_S3_lS6_S3_lS4_PT9_S3_li.numbered_sgpr, 30
	.set _ZL34rocblas_syrkx_herkx_general_kernelIl19rocblas_complex_numIfELi16ELi32ELi8ELb0ELb0ELc67ELc85EKS1_S1_EviT_T0_PT8_S3_lS6_S3_lS4_PT9_S3_li.num_named_barrier, 0
	.set _ZL34rocblas_syrkx_herkx_general_kernelIl19rocblas_complex_numIfELi16ELi32ELi8ELb0ELb0ELc67ELc85EKS1_S1_EviT_T0_PT8_S3_lS6_S3_lS4_PT9_S3_li.private_seg_size, 0
	.set _ZL34rocblas_syrkx_herkx_general_kernelIl19rocblas_complex_numIfELi16ELi32ELi8ELb0ELb0ELc67ELc85EKS1_S1_EviT_T0_PT8_S3_lS6_S3_lS4_PT9_S3_li.uses_vcc, 1
	.set _ZL34rocblas_syrkx_herkx_general_kernelIl19rocblas_complex_numIfELi16ELi32ELi8ELb0ELb0ELc67ELc85EKS1_S1_EviT_T0_PT8_S3_lS6_S3_lS4_PT9_S3_li.uses_flat_scratch, 0
	.set _ZL34rocblas_syrkx_herkx_general_kernelIl19rocblas_complex_numIfELi16ELi32ELi8ELb0ELb0ELc67ELc85EKS1_S1_EviT_T0_PT8_S3_lS6_S3_lS4_PT9_S3_li.has_dyn_sized_stack, 0
	.set _ZL34rocblas_syrkx_herkx_general_kernelIl19rocblas_complex_numIfELi16ELi32ELi8ELb0ELb0ELc67ELc85EKS1_S1_EviT_T0_PT8_S3_lS6_S3_lS4_PT9_S3_li.has_recursion, 0
	.set _ZL34rocblas_syrkx_herkx_general_kernelIl19rocblas_complex_numIfELi16ELi32ELi8ELb0ELb0ELc67ELc85EKS1_S1_EviT_T0_PT8_S3_lS6_S3_lS4_PT9_S3_li.has_indirect_call, 0
	.section	.AMDGPU.csdata,"",@progbits
; Kernel info:
; codeLenInByte = 2400
; TotalNumSgprs: 34
; NumVgprs: 50
; ScratchSize: 0
; MemoryBound: 1
; FloatMode: 240
; IeeeMode: 1
; LDSByteSize: 4096 bytes/workgroup (compile time only)
; SGPRBlocks: 4
; VGPRBlocks: 12
; NumSGPRsForWavesPerEU: 34
; NumVGPRsForWavesPerEU: 50
; Occupancy: 4
; WaveLimiterHint : 0
; COMPUTE_PGM_RSRC2:SCRATCH_EN: 0
; COMPUTE_PGM_RSRC2:USER_SGPR: 6
; COMPUTE_PGM_RSRC2:TRAP_HANDLER: 0
; COMPUTE_PGM_RSRC2:TGID_X_EN: 1
; COMPUTE_PGM_RSRC2:TGID_Y_EN: 1
; COMPUTE_PGM_RSRC2:TGID_Z_EN: 1
; COMPUTE_PGM_RSRC2:TIDIG_COMP_CNT: 1
	.section	.text._ZL34rocblas_syrkx_herkx_general_kernelIl19rocblas_complex_numIfELi16ELi32ELi8ELb0ELb0ELc78ELc85EKS1_S1_EviT_T0_PT8_S3_lS6_S3_lS4_PT9_S3_li,"axG",@progbits,_ZL34rocblas_syrkx_herkx_general_kernelIl19rocblas_complex_numIfELi16ELi32ELi8ELb0ELb0ELc78ELc85EKS1_S1_EviT_T0_PT8_S3_lS6_S3_lS4_PT9_S3_li,comdat
	.globl	_ZL34rocblas_syrkx_herkx_general_kernelIl19rocblas_complex_numIfELi16ELi32ELi8ELb0ELb0ELc78ELc85EKS1_S1_EviT_T0_PT8_S3_lS6_S3_lS4_PT9_S3_li ; -- Begin function _ZL34rocblas_syrkx_herkx_general_kernelIl19rocblas_complex_numIfELi16ELi32ELi8ELb0ELb0ELc78ELc85EKS1_S1_EviT_T0_PT8_S3_lS6_S3_lS4_PT9_S3_li
	.p2align	8
	.type	_ZL34rocblas_syrkx_herkx_general_kernelIl19rocblas_complex_numIfELi16ELi32ELi8ELb0ELb0ELc78ELc85EKS1_S1_EviT_T0_PT8_S3_lS6_S3_lS4_PT9_S3_li,@function
_ZL34rocblas_syrkx_herkx_general_kernelIl19rocblas_complex_numIfELi16ELi32ELi8ELb0ELb0ELc78ELc85EKS1_S1_EviT_T0_PT8_S3_lS6_S3_lS4_PT9_S3_li: ; @_ZL34rocblas_syrkx_herkx_general_kernelIl19rocblas_complex_numIfELi16ELi32ELi8ELb0ELb0ELc78ELc85EKS1_S1_EviT_T0_PT8_S3_lS6_S3_lS4_PT9_S3_li
; %bb.0:
	s_load_dwordx16 s[12:27], s[4:5], 0x8
	s_load_dword s9, s[4:5], 0x0
	s_lshl_b32 s28, s6, 5
	s_lshl_b32 s29, s7, 5
	s_waitcnt lgkmcnt(0)
	v_cmp_lt_i64_e64 s[0:1], s[12:13], 1
	s_and_b64 vcc, exec, s[0:1]
	s_cbranch_vccnz .LBB1151_9
; %bb.1:
	v_lshl_add_u32 v2, v1, 4, v0
	v_and_b32_e32 v8, 31, v2
	v_lshrrev_b32_e32 v5, 3, v2
	v_or_b32_e32 v3, s28, v8
	v_lshrrev_b32_e32 v12, 5, v2
	v_lshlrev_b32_e32 v2, 3, v8
	v_cmp_gt_i32_e32 vcc, s9, v3
	v_lshl_or_b32 v14, v12, 8, v2
	v_mad_u64_u32 v[2:3], s[2:3], s18, v12, 0
	v_and_b32_e32 v13, 7, v0
	v_add_u32_e32 v4, s29, v5
	v_lshlrev_b32_e32 v6, 3, v13
	v_lshl_or_b32 v5, v5, 6, v6
	v_mad_u64_u32 v[6:7], s[2:3], s19, v12, v[3:4]
	v_mov_b32_e32 v3, 0x800
	v_lshl_add_u32 v17, v1, 6, v3
	v_mov_b32_e32 v3, v6
	s_mul_i32 s2, s21, s8
	s_mul_hi_u32 s3, s20, s8
	v_lshlrev_b64 v[2:3], 3, v[2:3]
	s_add_i32 s3, s3, s2
	s_mul_i32 s2, s20, s8
	s_lshl_b64 s[2:3], s[2:3], 3
	v_mov_b32_e32 v6, s3
	v_add_co_u32_e64 v7, s[2:3], s2, v2
	v_add_u32_e32 v2, s28, v8
	v_addc_co_u32_e64 v6, s[2:3], v3, v6, s[2:3]
	v_ashrrev_i32_e32 v3, 31, v2
	v_lshlrev_b64 v[2:3], 3, v[2:3]
	s_mul_i32 s10, s27, s8
	v_add_co_u32_e64 v2, s[2:3], v7, v2
	v_addc_co_u32_e64 v3, s[2:3], v6, v3, s[2:3]
	v_mov_b32_e32 v6, s17
	v_add_co_u32_e64 v2, s[2:3], s16, v2
	v_addc_co_u32_e64 v3, s[2:3], v6, v3, s[2:3]
	v_mad_u64_u32 v[6:7], s[2:3], s24, v13, 0
	s_mul_hi_u32 s11, s26, s8
	v_add_u32_e32 v15, 0x800, v5
	v_mad_u64_u32 v[7:8], s[2:3], s25, v13, v[7:8]
	s_add_i32 s3, s11, s10
	s_mul_i32 s2, s26, s8
	v_lshlrev_b64 v[6:7], 3, v[6:7]
	v_ashrrev_i32_e32 v5, 31, v4
	s_lshl_b64 s[2:3], s[2:3], 3
	v_cmp_gt_i32_e64 s[0:1], s9, v4
	v_mov_b32_e32 v8, s3
	v_add_co_u32_e64 v6, s[2:3], s2, v6
	v_lshlrev_b64 v[4:5], 3, v[4:5]
	v_addc_co_u32_e64 v7, s[2:3], v8, v7, s[2:3]
	v_add_co_u32_e64 v4, s[2:3], v6, v4
	v_addc_co_u32_e64 v5, s[2:3], v7, v5, s[2:3]
	v_mov_b32_e32 v6, s23
	v_add_co_u32_e64 v4, s[2:3], s22, v4
	v_addc_co_u32_e64 v5, s[2:3], v6, v5, s[2:3]
	s_lshl_b64 s[6:7], s[18:19], 6
	v_add_co_u32_e64 v4, s[2:3], 4, v4
	s_lshl_b64 s[10:11], s[24:25], 6
	v_mov_b32_e32 v8, s12
	v_lshlrev_b32_e32 v16, 3, v0
	v_addc_co_u32_e64 v5, s[2:3], 0, v5, s[2:3]
	s_mov_b64 s[16:17], 0
	s_xor_b64 s[18:19], vcc, -1
	v_mov_b32_e32 v18, s7
	v_mov_b32_e32 v19, s11
	;; [unrolled: 1-line block ×12, first 2 shown]
	s_branch .LBB1151_3
.LBB1151_2:                             ;   in Loop: Header=BB1151_3 Depth=1
	s_or_b64 exec, exec, s[2:3]
	s_waitcnt vmcnt(0)
	ds_write_b64 v15, v[10:11]
	s_waitcnt lgkmcnt(0)
	s_barrier
	ds_read2_b64 v[28:31], v16 offset1:16
	ds_read_b128 v[32:35], v17
	ds_read_b128 v[36:39], v17 offset:16
	ds_read_b128 v[40:43], v17 offset:1024
	s_add_u32 s16, s16, 8
	v_add_co_u32_e32 v2, vcc, s6, v2
	s_waitcnt lgkmcnt(2)
	v_mul_f32_e32 v7, v33, v29
	v_fma_f32 v7, v32, v28, -v7
	v_mul_f32_e32 v10, v32, v29
	v_add_f32_e32 v7, v26, v7
	v_mul_f32_e32 v11, v33, v31
	v_mul_f32_e32 v26, v32, v31
	v_fmac_f32_e32 v10, v33, v28
	v_fma_f32 v11, v32, v30, -v11
	v_fmac_f32_e32 v26, v33, v30
	v_add_f32_e32 v10, v27, v10
	v_add_f32_e32 v11, v24, v11
	;; [unrolled: 1-line block ×3, first 2 shown]
	ds_read_b128 v[24:27], v17 offset:1040
	s_waitcnt lgkmcnt(1)
	v_mul_f32_e32 v33, v41, v29
	v_mul_f32_e32 v44, v40, v29
	v_fma_f32 v33, v40, v28, -v33
	v_fmac_f32_e32 v44, v41, v28
	v_mul_f32_e32 v28, v41, v31
	v_fma_f32 v45, v40, v30, -v28
	v_mul_f32_e32 v40, v40, v31
	v_fmac_f32_e32 v40, v41, v30
	ds_read2_b64 v[28:31], v16 offset0:32 offset1:48
	v_add_f32_e32 v20, v20, v33
	v_add_f32_e32 v33, v22, v45
	;; [unrolled: 1-line block ×4, first 2 shown]
	s_waitcnt lgkmcnt(0)
	v_mul_f32_e32 v22, v35, v29
	v_fma_f32 v22, v34, v28, -v22
	v_mul_f32_e32 v23, v34, v29
	v_fmac_f32_e32 v23, v35, v28
	v_add_f32_e32 v7, v7, v22
	v_mul_f32_e32 v22, v35, v31
	v_add_f32_e32 v10, v10, v23
	v_fma_f32 v22, v34, v30, -v22
	v_mul_f32_e32 v23, v34, v31
	v_fmac_f32_e32 v23, v35, v30
	v_add_f32_e32 v11, v11, v22
	v_mul_f32_e32 v22, v43, v29
	v_add_f32_e32 v32, v32, v23
	;; [unrolled: 6-line block ×3, first 2 shown]
	v_fma_f32 v34, v42, v30, -v20
	ds_read2_b64 v[20:23], v16 offset0:64 offset1:80
	v_mul_f32_e32 v31, v42, v31
	v_fmac_f32_e32 v31, v43, v30
	v_add_f32_e32 v33, v33, v34
	v_add_f32_e32 v34, v40, v31
	s_waitcnt lgkmcnt(0)
	v_mul_f32_e32 v30, v37, v21
	v_fma_f32 v30, v36, v20, -v30
	v_mul_f32_e32 v31, v36, v21
	v_add_f32_e32 v7, v7, v30
	v_mul_f32_e32 v30, v37, v23
	v_fmac_f32_e32 v31, v37, v20
	v_fma_f32 v30, v36, v22, -v30
	v_add_f32_e32 v10, v10, v31
	v_mul_f32_e32 v31, v36, v23
	v_add_f32_e32 v11, v11, v30
	v_mul_f32_e32 v30, v25, v21
	v_mul_f32_e32 v21, v24, v21
	v_fmac_f32_e32 v31, v37, v22
	v_fma_f32 v30, v24, v20, -v30
	v_fmac_f32_e32 v21, v25, v20
	v_add_f32_e32 v32, v32, v31
	v_add_f32_e32 v35, v28, v30
	;; [unrolled: 1-line block ×3, first 2 shown]
	ds_read2_b64 v[28:31], v16 offset0:96 offset1:112
	v_mul_f32_e32 v20, v25, v23
	v_fma_f32 v37, v24, v22, -v20
	v_mul_f32_e32 v24, v24, v23
	v_fmac_f32_e32 v24, v25, v22
	v_add_f32_e32 v24, v34, v24
	s_waitcnt lgkmcnt(0)
	v_mul_f32_e32 v34, v38, v29
	v_fmac_f32_e32 v34, v39, v28
	v_add_f32_e32 v25, v33, v37
	v_mul_f32_e32 v33, v39, v29
	v_add_f32_e32 v10, v10, v34
	v_mul_f32_e32 v34, v38, v31
	v_fma_f32 v33, v38, v28, -v33
	v_fmac_f32_e32 v34, v39, v30
	v_add_f32_e32 v7, v7, v33
	v_mul_f32_e32 v33, v39, v31
	v_add_f32_e32 v40, v32, v34
	v_mul_f32_e32 v32, v27, v29
	v_fma_f32 v33, v38, v30, -v33
	v_fma_f32 v32, v26, v28, -v32
	ds_read_b128 v[20:23], v17 offset:32
	v_add_f32_e32 v11, v11, v33
	v_add_f32_e32 v44, v35, v32
	ds_read2_b64 v[32:35], v16 offset0:128 offset1:144
	v_mul_f32_e32 v29, v26, v29
	v_fmac_f32_e32 v29, v27, v28
	v_mul_f32_e32 v28, v27, v31
	v_fma_f32 v28, v26, v30, -v28
	v_mul_f32_e32 v26, v26, v31
	v_fmac_f32_e32 v26, v27, v30
	v_add_f32_e32 v45, v36, v29
	v_add_f32_e32 v25, v25, v28
	;; [unrolled: 1-line block ×3, first 2 shown]
	ds_read_b128 v[26:29], v17 offset:48
	s_waitcnt lgkmcnt(1)
	v_mul_f32_e32 v30, v21, v33
	ds_read_b128 v[36:39], v17 offset:1056
	v_fma_f32 v30, v20, v32, -v30
	v_add_f32_e32 v7, v7, v30
	v_mul_f32_e32 v30, v21, v35
	v_mul_f32_e32 v31, v20, v33
	v_fma_f32 v30, v20, v34, -v30
	v_mul_f32_e32 v20, v20, v35
	v_fmac_f32_e32 v20, v21, v34
	v_fmac_f32_e32 v31, v21, v32
	v_add_f32_e32 v11, v11, v30
	v_add_f32_e32 v20, v40, v20
	ds_read_b128 v[40:43], v17 offset:1072
	s_waitcnt lgkmcnt(1)
	v_mul_f32_e32 v21, v37, v33
	v_mul_f32_e32 v46, v36, v33
	;; [unrolled: 1-line block ×3, first 2 shown]
	v_add_f32_e32 v10, v10, v31
	v_fma_f32 v21, v36, v32, -v21
	v_fmac_f32_e32 v46, v37, v32
	v_fma_f32 v47, v36, v34, -v30
	ds_read2_b64 v[30:33], v16 offset0:160 offset1:176
	v_mul_f32_e32 v35, v36, v35
	v_fmac_f32_e32 v35, v37, v34
	v_add_f32_e32 v24, v24, v35
	v_add_f32_e32 v21, v44, v21
	s_waitcnt lgkmcnt(0)
	v_mul_f32_e32 v35, v23, v31
	v_fma_f32 v35, v22, v30, -v35
	v_add_f32_e32 v7, v7, v35
	v_mul_f32_e32 v35, v23, v33
	v_mul_f32_e32 v36, v22, v31
	v_fma_f32 v35, v22, v32, -v35
	v_mul_f32_e32 v22, v22, v33
	v_fmac_f32_e32 v22, v23, v32
	v_add_f32_e32 v11, v11, v35
	v_add_f32_e32 v35, v20, v22
	v_mul_f32_e32 v20, v39, v31
	v_fma_f32 v20, v38, v30, -v20
	v_mul_f32_e32 v22, v38, v31
	v_add_f32_e32 v34, v45, v46
	v_fmac_f32_e32 v36, v23, v30
	v_fmac_f32_e32 v22, v39, v30
	v_add_f32_e32 v30, v21, v20
	v_mul_f32_e32 v20, v39, v33
	v_add_f32_e32 v31, v34, v22
	v_fma_f32 v34, v38, v32, -v20
	ds_read2_b64 v[20:23], v16 offset0:192 offset1:208
	v_mul_f32_e32 v33, v38, v33
	v_fmac_f32_e32 v33, v39, v32
	v_add_f32_e32 v24, v24, v33
	v_add_f32_e32 v25, v25, v47
	s_waitcnt lgkmcnt(0)
	v_mul_f32_e32 v32, v27, v21
	v_fma_f32 v32, v26, v20, -v32
	v_add_f32_e32 v7, v7, v32
	v_mul_f32_e32 v32, v27, v23
	v_mul_f32_e32 v33, v26, v21
	v_fma_f32 v32, v26, v22, -v32
	v_mul_f32_e32 v26, v26, v23
	v_fmac_f32_e32 v26, v27, v22
	v_add_f32_e32 v25, v25, v34
	v_add_f32_e32 v34, v35, v26
	v_mul_f32_e32 v26, v41, v21
	v_mul_f32_e32 v21, v40, v21
	v_add_f32_e32 v10, v10, v36
	v_fmac_f32_e32 v33, v27, v20
	v_fma_f32 v26, v40, v20, -v26
	v_fmac_f32_e32 v21, v41, v20
	v_add_f32_e32 v10, v10, v33
	v_add_f32_e32 v11, v11, v32
	;; [unrolled: 1-line block ×4, first 2 shown]
	ds_read2_b64 v[30:33], v16 offset0:224 offset1:240
	v_mul_f32_e32 v26, v41, v23
	v_mul_f32_e32 v23, v40, v23
	v_fma_f32 v26, v40, v22, -v26
	v_fmac_f32_e32 v23, v41, v22
	v_add_f32_e32 v22, v25, v26
	v_add_f32_e32 v23, v24, v23
	s_waitcnt lgkmcnt(0)
	v_mul_f32_e32 v24, v29, v31
	v_mul_f32_e32 v25, v28, v31
	v_fma_f32 v24, v28, v30, -v24
	v_fmac_f32_e32 v25, v29, v30
	v_add_f32_e32 v26, v7, v24
	v_add_f32_e32 v27, v10, v25
	v_mul_f32_e32 v7, v29, v33
	v_mul_f32_e32 v10, v28, v33
	v_fma_f32 v7, v28, v32, -v7
	v_fmac_f32_e32 v10, v29, v32
	v_add_f32_e32 v24, v11, v7
	v_add_f32_e32 v25, v34, v10
	v_mul_f32_e32 v7, v43, v31
	v_mul_f32_e32 v10, v42, v31
	v_fma_f32 v7, v42, v30, -v7
	v_fmac_f32_e32 v10, v43, v30
	s_addc_u32 s17, s17, 0
	v_addc_co_u32_e32 v3, vcc, v3, v18, vcc
	v_add_f32_e32 v20, v20, v7
	v_add_f32_e32 v21, v21, v10
	v_mul_f32_e32 v7, v43, v33
	v_mul_f32_e32 v10, v42, v33
	v_cmp_ge_i64_e32 vcc, s[16:17], v[8:9]
	v_fma_f32 v7, v42, v32, -v7
	v_fmac_f32_e32 v10, v43, v32
	v_add_co_u32_e64 v4, s[2:3], s10, v4
	v_add_f32_e32 v22, v22, v7
	v_add_f32_e32 v23, v23, v10
	v_addc_co_u32_e64 v5, s[2:3], v5, v19, s[2:3]
	s_barrier
	s_cbranch_vccnz .LBB1151_10
.LBB1151_3:                             ; =>This Inner Loop Header: Depth=1
	v_mov_b32_e32 v7, s17
	v_add_co_u32_e32 v10, vcc, s16, v12
	v_addc_co_u32_e32 v11, vcc, 0, v7, vcc
	v_cmp_le_i64_e32 vcc, s[12:13], v[10:11]
	s_or_b64 s[2:3], s[18:19], vcc
	s_and_saveexec_b64 s[20:21], s[2:3]
	s_xor_b64 s[2:3], exec, s[20:21]
; %bb.4:                                ;   in Loop: Header=BB1151_3 Depth=1
	v_mov_b32_e32 v7, v6
	ds_write_b64 v14, v[6:7]
; %bb.5:                                ;   in Loop: Header=BB1151_3 Depth=1
	s_andn2_saveexec_b64 s[2:3], s[2:3]
	s_cbranch_execz .LBB1151_7
; %bb.6:                                ;   in Loop: Header=BB1151_3 Depth=1
	global_load_dwordx2 v[10:11], v[2:3], off
	s_waitcnt vmcnt(0)
	ds_write_b64 v14, v[10:11]
.LBB1151_7:                             ;   in Loop: Header=BB1151_3 Depth=1
	s_or_b64 exec, exec, s[2:3]
	v_mov_b32_e32 v7, s17
	v_add_co_u32_e32 v10, vcc, s16, v13
	v_addc_co_u32_e32 v11, vcc, 0, v7, vcc
	v_cmp_gt_i64_e32 vcc, s[12:13], v[10:11]
	v_mov_b32_e32 v10, 0
	s_and_b64 s[20:21], vcc, s[0:1]
	v_mov_b32_e32 v11, 0
	s_and_saveexec_b64 s[2:3], s[20:21]
	s_cbranch_execz .LBB1151_2
; %bb.8:                                ;   in Loop: Header=BB1151_3 Depth=1
	global_load_dwordx2 v[10:11], v[4:5], off offset:-4
	s_branch .LBB1151_2
.LBB1151_9:
	v_mov_b32_e32 v26, 0
	v_mov_b32_e32 v27, 0
	;; [unrolled: 1-line block ×8, first 2 shown]
.LBB1151_10:
	s_load_dwordx8 s[16:23], s[4:5], 0x48
	v_add_u32_e32 v4, s29, v1
	v_ashrrev_i32_e32 v1, 31, v4
	v_add_u32_e32 v0, s28, v0
	v_cmp_gt_i32_e32 vcc, s9, v4
	s_waitcnt lgkmcnt(0)
	v_mul_lo_u32 v3, s20, v1
	v_mul_lo_u32 v5, s21, v4
	v_mad_u64_u32 v[1:2], s[2:3], s20, v4, 0
	s_mul_i32 s0, s23, s8
	s_mul_hi_u32 s1, s22, s8
	s_add_i32 s1, s1, s0
	s_mul_i32 s0, s22, s8
	s_lshl_b64 s[0:1], s[0:1], 3
	v_add3_u32 v2, v2, v3, v5
	s_add_u32 s4, s18, s0
	v_lshlrev_b64 v[1:2], 3, v[1:2]
	s_addc_u32 s5, s19, s1
	v_mov_b32_e32 v3, s5
	v_add_co_u32_e64 v5, s[0:1], s4, v1
	v_addc_co_u32_e64 v6, s[0:1], v3, v2, s[0:1]
	v_cmp_le_i32_e64 s[0:1], v0, v4
	s_and_b64 s[0:1], vcc, s[0:1]
	s_and_saveexec_b64 s[2:3], s[0:1]
	s_cbranch_execz .LBB1151_12
; %bb.11:
	v_ashrrev_i32_e32 v1, 31, v0
	v_lshlrev_b64 v[1:2], 3, v[0:1]
	v_mul_f32_e32 v3, s15, v27
	v_add_co_u32_e64 v1, s[0:1], v5, v1
	v_addc_co_u32_e64 v2, s[0:1], v6, v2, s[0:1]
	global_load_dwordx2 v[7:8], v[1:2], off
	v_mul_f32_e32 v9, s14, v27
	v_fma_f32 v3, v26, s14, -v3
	v_fmac_f32_e32 v9, s15, v26
	s_waitcnt vmcnt(0)
	v_mul_f32_e32 v10, s17, v8
	v_mul_f32_e32 v8, s16, v8
	v_fma_f32 v10, v7, s16, -v10
	v_fmac_f32_e32 v8, s17, v7
	v_add_f32_e32 v7, v3, v10
	v_add_f32_e32 v8, v9, v8
	global_store_dwordx2 v[1:2], v[7:8], off
.LBB1151_12:
	s_or_b64 exec, exec, s[2:3]
	v_add_u32_e32 v2, 16, v0
	v_cmp_le_i32_e64 s[0:1], v2, v4
	s_and_b64 s[2:3], vcc, s[0:1]
	s_and_saveexec_b64 s[0:1], s[2:3]
	s_cbranch_execz .LBB1151_14
; %bb.13:
	v_ashrrev_i32_e32 v3, 31, v2
	v_lshlrev_b64 v[7:8], 3, v[2:3]
	v_mul_f32_e32 v1, s15, v25
	v_add_co_u32_e32 v5, vcc, v5, v7
	v_addc_co_u32_e32 v6, vcc, v6, v8, vcc
	global_load_dwordx2 v[7:8], v[5:6], off
	v_mul_f32_e32 v3, s14, v25
	v_fma_f32 v1, v24, s14, -v1
	v_fmac_f32_e32 v3, s15, v24
	s_waitcnt vmcnt(0)
	v_mul_f32_e32 v9, s17, v8
	v_mul_f32_e32 v8, s16, v8
	v_fma_f32 v9, v7, s16, -v9
	v_fmac_f32_e32 v8, s17, v7
	v_add_f32_e32 v7, v1, v9
	v_add_f32_e32 v8, v3, v8
	global_store_dwordx2 v[5:6], v[7:8], off
.LBB1151_14:
	s_or_b64 exec, exec, s[0:1]
	v_add_u32_e32 v3, 16, v4
	v_ashrrev_i32_e32 v1, 31, v3
	v_mul_lo_u32 v1, s20, v1
	v_mul_lo_u32 v6, s21, v3
	v_mad_u64_u32 v[4:5], s[0:1], s20, v3, 0
	v_cmp_gt_i32_e32 vcc, s9, v3
	v_add3_u32 v5, v5, v1, v6
	v_lshlrev_b64 v[4:5], 3, v[4:5]
	v_mov_b32_e32 v1, s5
	v_add_co_u32_e64 v4, s[0:1], s4, v4
	v_addc_co_u32_e64 v5, s[0:1], v1, v5, s[0:1]
	v_cmp_le_i32_e64 s[0:1], v0, v3
	s_and_b64 s[0:1], vcc, s[0:1]
	s_and_saveexec_b64 s[2:3], s[0:1]
	s_cbranch_execz .LBB1151_16
; %bb.15:
	v_ashrrev_i32_e32 v1, 31, v0
	v_lshlrev_b64 v[0:1], 3, v[0:1]
	v_mul_f32_e32 v8, s15, v21
	v_add_co_u32_e64 v0, s[0:1], v4, v0
	v_addc_co_u32_e64 v1, s[0:1], v5, v1, s[0:1]
	global_load_dwordx2 v[6:7], v[0:1], off
	v_mul_f32_e32 v9, s14, v21
	v_fma_f32 v8, v20, s14, -v8
	v_fmac_f32_e32 v9, s15, v20
	s_waitcnt vmcnt(0)
	v_mul_f32_e32 v10, s17, v7
	v_mul_f32_e32 v7, s16, v7
	v_fma_f32 v10, v6, s16, -v10
	v_fmac_f32_e32 v7, s17, v6
	v_add_f32_e32 v6, v8, v10
	v_add_f32_e32 v7, v9, v7
	global_store_dwordx2 v[0:1], v[6:7], off
.LBB1151_16:
	s_or_b64 exec, exec, s[2:3]
	v_cmp_le_i32_e64 s[0:1], v2, v3
	s_and_b64 s[0:1], vcc, s[0:1]
	s_and_saveexec_b64 s[2:3], s[0:1]
	s_cbranch_execz .LBB1151_18
; %bb.17:
	v_ashrrev_i32_e32 v3, 31, v2
	v_lshlrev_b64 v[0:1], 3, v[2:3]
	v_add_co_u32_e32 v0, vcc, v4, v0
	v_addc_co_u32_e32 v1, vcc, v5, v1, vcc
	global_load_dwordx2 v[2:3], v[0:1], off
	v_mul_f32_e32 v4, s15, v23
	v_mul_f32_e32 v5, s14, v23
	v_fma_f32 v4, v22, s14, -v4
	v_fmac_f32_e32 v5, s15, v22
	s_waitcnt vmcnt(0)
	v_mul_f32_e32 v6, s17, v3
	v_mul_f32_e32 v3, s16, v3
	v_fma_f32 v6, v2, s16, -v6
	v_fmac_f32_e32 v3, s17, v2
	v_add_f32_e32 v2, v4, v6
	v_add_f32_e32 v3, v5, v3
	global_store_dwordx2 v[0:1], v[2:3], off
.LBB1151_18:
	s_endpgm
	.section	.rodata,"a",@progbits
	.p2align	6, 0x0
	.amdhsa_kernel _ZL34rocblas_syrkx_herkx_general_kernelIl19rocblas_complex_numIfELi16ELi32ELi8ELb0ELb0ELc78ELc85EKS1_S1_EviT_T0_PT8_S3_lS6_S3_lS4_PT9_S3_li
		.amdhsa_group_segment_fixed_size 4096
		.amdhsa_private_segment_fixed_size 0
		.amdhsa_kernarg_size 108
		.amdhsa_user_sgpr_count 6
		.amdhsa_user_sgpr_private_segment_buffer 1
		.amdhsa_user_sgpr_dispatch_ptr 0
		.amdhsa_user_sgpr_queue_ptr 0
		.amdhsa_user_sgpr_kernarg_segment_ptr 1
		.amdhsa_user_sgpr_dispatch_id 0
		.amdhsa_user_sgpr_flat_scratch_init 0
		.amdhsa_user_sgpr_private_segment_size 0
		.amdhsa_uses_dynamic_stack 0
		.amdhsa_system_sgpr_private_segment_wavefront_offset 0
		.amdhsa_system_sgpr_workgroup_id_x 1
		.amdhsa_system_sgpr_workgroup_id_y 1
		.amdhsa_system_sgpr_workgroup_id_z 1
		.amdhsa_system_sgpr_workgroup_info 0
		.amdhsa_system_vgpr_workitem_id 1
		.amdhsa_next_free_vgpr 48
		.amdhsa_next_free_sgpr 30
		.amdhsa_reserve_vcc 1
		.amdhsa_reserve_flat_scratch 0
		.amdhsa_float_round_mode_32 0
		.amdhsa_float_round_mode_16_64 0
		.amdhsa_float_denorm_mode_32 3
		.amdhsa_float_denorm_mode_16_64 3
		.amdhsa_dx10_clamp 1
		.amdhsa_ieee_mode 1
		.amdhsa_fp16_overflow 0
		.amdhsa_exception_fp_ieee_invalid_op 0
		.amdhsa_exception_fp_denorm_src 0
		.amdhsa_exception_fp_ieee_div_zero 0
		.amdhsa_exception_fp_ieee_overflow 0
		.amdhsa_exception_fp_ieee_underflow 0
		.amdhsa_exception_fp_ieee_inexact 0
		.amdhsa_exception_int_div_zero 0
	.end_amdhsa_kernel
	.section	.text._ZL34rocblas_syrkx_herkx_general_kernelIl19rocblas_complex_numIfELi16ELi32ELi8ELb0ELb0ELc78ELc85EKS1_S1_EviT_T0_PT8_S3_lS6_S3_lS4_PT9_S3_li,"axG",@progbits,_ZL34rocblas_syrkx_herkx_general_kernelIl19rocblas_complex_numIfELi16ELi32ELi8ELb0ELb0ELc78ELc85EKS1_S1_EviT_T0_PT8_S3_lS6_S3_lS4_PT9_S3_li,comdat
.Lfunc_end1151:
	.size	_ZL34rocblas_syrkx_herkx_general_kernelIl19rocblas_complex_numIfELi16ELi32ELi8ELb0ELb0ELc78ELc85EKS1_S1_EviT_T0_PT8_S3_lS6_S3_lS4_PT9_S3_li, .Lfunc_end1151-_ZL34rocblas_syrkx_herkx_general_kernelIl19rocblas_complex_numIfELi16ELi32ELi8ELb0ELb0ELc78ELc85EKS1_S1_EviT_T0_PT8_S3_lS6_S3_lS4_PT9_S3_li
                                        ; -- End function
	.set _ZL34rocblas_syrkx_herkx_general_kernelIl19rocblas_complex_numIfELi16ELi32ELi8ELb0ELb0ELc78ELc85EKS1_S1_EviT_T0_PT8_S3_lS6_S3_lS4_PT9_S3_li.num_vgpr, 48
	.set _ZL34rocblas_syrkx_herkx_general_kernelIl19rocblas_complex_numIfELi16ELi32ELi8ELb0ELb0ELc78ELc85EKS1_S1_EviT_T0_PT8_S3_lS6_S3_lS4_PT9_S3_li.num_agpr, 0
	.set _ZL34rocblas_syrkx_herkx_general_kernelIl19rocblas_complex_numIfELi16ELi32ELi8ELb0ELb0ELc78ELc85EKS1_S1_EviT_T0_PT8_S3_lS6_S3_lS4_PT9_S3_li.numbered_sgpr, 30
	.set _ZL34rocblas_syrkx_herkx_general_kernelIl19rocblas_complex_numIfELi16ELi32ELi8ELb0ELb0ELc78ELc85EKS1_S1_EviT_T0_PT8_S3_lS6_S3_lS4_PT9_S3_li.num_named_barrier, 0
	.set _ZL34rocblas_syrkx_herkx_general_kernelIl19rocblas_complex_numIfELi16ELi32ELi8ELb0ELb0ELc78ELc85EKS1_S1_EviT_T0_PT8_S3_lS6_S3_lS4_PT9_S3_li.private_seg_size, 0
	.set _ZL34rocblas_syrkx_herkx_general_kernelIl19rocblas_complex_numIfELi16ELi32ELi8ELb0ELb0ELc78ELc85EKS1_S1_EviT_T0_PT8_S3_lS6_S3_lS4_PT9_S3_li.uses_vcc, 1
	.set _ZL34rocblas_syrkx_herkx_general_kernelIl19rocblas_complex_numIfELi16ELi32ELi8ELb0ELb0ELc78ELc85EKS1_S1_EviT_T0_PT8_S3_lS6_S3_lS4_PT9_S3_li.uses_flat_scratch, 0
	.set _ZL34rocblas_syrkx_herkx_general_kernelIl19rocblas_complex_numIfELi16ELi32ELi8ELb0ELb0ELc78ELc85EKS1_S1_EviT_T0_PT8_S3_lS6_S3_lS4_PT9_S3_li.has_dyn_sized_stack, 0
	.set _ZL34rocblas_syrkx_herkx_general_kernelIl19rocblas_complex_numIfELi16ELi32ELi8ELb0ELb0ELc78ELc85EKS1_S1_EviT_T0_PT8_S3_lS6_S3_lS4_PT9_S3_li.has_recursion, 0
	.set _ZL34rocblas_syrkx_herkx_general_kernelIl19rocblas_complex_numIfELi16ELi32ELi8ELb0ELb0ELc78ELc85EKS1_S1_EviT_T0_PT8_S3_lS6_S3_lS4_PT9_S3_li.has_indirect_call, 0
	.section	.AMDGPU.csdata,"",@progbits
; Kernel info:
; codeLenInByte = 2400
; TotalNumSgprs: 34
; NumVgprs: 48
; ScratchSize: 0
; MemoryBound: 1
; FloatMode: 240
; IeeeMode: 1
; LDSByteSize: 4096 bytes/workgroup (compile time only)
; SGPRBlocks: 4
; VGPRBlocks: 11
; NumSGPRsForWavesPerEU: 34
; NumVGPRsForWavesPerEU: 48
; Occupancy: 5
; WaveLimiterHint : 0
; COMPUTE_PGM_RSRC2:SCRATCH_EN: 0
; COMPUTE_PGM_RSRC2:USER_SGPR: 6
; COMPUTE_PGM_RSRC2:TRAP_HANDLER: 0
; COMPUTE_PGM_RSRC2:TGID_X_EN: 1
; COMPUTE_PGM_RSRC2:TGID_Y_EN: 1
; COMPUTE_PGM_RSRC2:TGID_Z_EN: 1
; COMPUTE_PGM_RSRC2:TIDIG_COMP_CNT: 1
	.section	.text._ZL26rocblas_syr2k_scale_kernelIlLi128ELi8ELb0E19rocblas_complex_numIfES1_PS1_EvbiT_T3_T4_T5_S3_li,"axG",@progbits,_ZL26rocblas_syr2k_scale_kernelIlLi128ELi8ELb0E19rocblas_complex_numIfES1_PS1_EvbiT_T3_T4_T5_S3_li,comdat
	.globl	_ZL26rocblas_syr2k_scale_kernelIlLi128ELi8ELb0E19rocblas_complex_numIfES1_PS1_EvbiT_T3_T4_T5_S3_li ; -- Begin function _ZL26rocblas_syr2k_scale_kernelIlLi128ELi8ELb0E19rocblas_complex_numIfES1_PS1_EvbiT_T3_T4_T5_S3_li
	.p2align	8
	.type	_ZL26rocblas_syr2k_scale_kernelIlLi128ELi8ELb0E19rocblas_complex_numIfES1_PS1_EvbiT_T3_T4_T5_S3_li,@function
_ZL26rocblas_syr2k_scale_kernelIlLi128ELi8ELb0E19rocblas_complex_numIfES1_PS1_EvbiT_T3_T4_T5_S3_li: ; @_ZL26rocblas_syr2k_scale_kernelIlLi128ELi8ELb0E19rocblas_complex_numIfES1_PS1_EvbiT_T3_T4_T5_S3_li
; %bb.0:
	s_load_dwordx2 s[2:3], s[4:5], 0x18
	s_waitcnt lgkmcnt(0)
	v_cmp_eq_f32_e64 s[0:1], s2, 1.0
	v_cmp_eq_f32_e64 s[10:11], s3, 0
	s_and_b64 s[0:1], s[0:1], s[10:11]
	s_and_b64 vcc, exec, s[0:1]
	s_cbranch_vccnz .LBB1152_5
; %bb.1:
	s_load_dwordx2 s[0:1], s[4:5], 0x0
	s_load_dword s9, s[4:5], 0x4c
	s_waitcnt lgkmcnt(0)
	s_bitcmp1_b32 s0, 0
	s_cselect_b64 vcc, -1, 0
	s_lshr_b32 s0, s9, 16
	s_and_b32 s9, s9, 0xffff
	s_mul_i32 s6, s6, s9
	s_mul_i32 s7, s7, s0
	v_add_u32_e32 v0, s6, v0
	v_add_u32_e32 v1, s7, v1
	v_cndmask_b32_e32 v2, v1, v0, vcc
	v_cndmask_b32_e32 v3, v0, v1, vcc
	v_max_u32_e32 v4, v0, v1
	v_cmp_gt_u32_e32 vcc, s1, v4
	v_cmp_le_i32_e64 s[0:1], v2, v3
	s_and_b64 s[0:1], vcc, s[0:1]
	s_and_saveexec_b64 s[6:7], s[0:1]
	s_cbranch_execz .LBB1152_5
; %bb.2:
	s_load_dwordx2 s[0:1], s[4:5], 0x30
	s_load_dwordx4 s[12:15], s[4:5], 0x20
	s_waitcnt lgkmcnt(0)
	s_mul_i32 s1, s1, s8
	v_mad_u64_u32 v[2:3], s[4:5], s14, v1, 0
	s_mul_hi_u32 s4, s0, s8
	s_add_i32 s1, s4, s1
	v_mad_u64_u32 v[3:4], s[4:5], s15, v1, v[3:4]
	s_mul_i32 s0, s0, s8
	s_lshl_b64 s[0:1], s[0:1], 3
	s_add_u32 s0, s12, s0
	v_lshlrev_b64 v[2:3], 3, v[2:3]
	s_addc_u32 s1, s13, s1
	v_mov_b32_e32 v1, 0
	v_mov_b32_e32 v4, s1
	v_add_co_u32_e32 v5, vcc, s0, v2
	v_addc_co_u32_e32 v4, vcc, v4, v3, vcc
	v_lshlrev_b64 v[2:3], 3, v[0:1]
	s_or_b32 s0, s2, s3
	v_add_co_u32_e32 v2, vcc, v5, v2
	s_bitset0_b32 s0, 31
	v_addc_co_u32_e32 v3, vcc, v4, v3, vcc
	s_cmp_eq_u32 s0, 0
	v_mov_b32_e32 v0, v1
	s_cbranch_scc1 .LBB1152_4
; %bb.3:
	global_load_dwordx2 v[4:5], v[2:3], off
	s_waitcnt vmcnt(0)
	v_mul_f32_e32 v0, s3, v5
	v_mul_f32_e32 v1, s2, v5
	v_fma_f32 v0, v4, s2, -v0
	v_fmac_f32_e32 v1, s3, v4
.LBB1152_4:
	global_store_dwordx2 v[2:3], v[0:1], off
.LBB1152_5:
	s_endpgm
	.section	.rodata,"a",@progbits
	.p2align	6, 0x0
	.amdhsa_kernel _ZL26rocblas_syr2k_scale_kernelIlLi128ELi8ELb0E19rocblas_complex_numIfES1_PS1_EvbiT_T3_T4_T5_S3_li
		.amdhsa_group_segment_fixed_size 0
		.amdhsa_private_segment_fixed_size 0
		.amdhsa_kernarg_size 320
		.amdhsa_user_sgpr_count 6
		.amdhsa_user_sgpr_private_segment_buffer 1
		.amdhsa_user_sgpr_dispatch_ptr 0
		.amdhsa_user_sgpr_queue_ptr 0
		.amdhsa_user_sgpr_kernarg_segment_ptr 1
		.amdhsa_user_sgpr_dispatch_id 0
		.amdhsa_user_sgpr_flat_scratch_init 0
		.amdhsa_user_sgpr_private_segment_size 0
		.amdhsa_uses_dynamic_stack 0
		.amdhsa_system_sgpr_private_segment_wavefront_offset 0
		.amdhsa_system_sgpr_workgroup_id_x 1
		.amdhsa_system_sgpr_workgroup_id_y 1
		.amdhsa_system_sgpr_workgroup_id_z 1
		.amdhsa_system_sgpr_workgroup_info 0
		.amdhsa_system_vgpr_workitem_id 1
		.amdhsa_next_free_vgpr 6
		.amdhsa_next_free_sgpr 16
		.amdhsa_reserve_vcc 1
		.amdhsa_reserve_flat_scratch 0
		.amdhsa_float_round_mode_32 0
		.amdhsa_float_round_mode_16_64 0
		.amdhsa_float_denorm_mode_32 3
		.amdhsa_float_denorm_mode_16_64 3
		.amdhsa_dx10_clamp 1
		.amdhsa_ieee_mode 1
		.amdhsa_fp16_overflow 0
		.amdhsa_exception_fp_ieee_invalid_op 0
		.amdhsa_exception_fp_denorm_src 0
		.amdhsa_exception_fp_ieee_div_zero 0
		.amdhsa_exception_fp_ieee_overflow 0
		.amdhsa_exception_fp_ieee_underflow 0
		.amdhsa_exception_fp_ieee_inexact 0
		.amdhsa_exception_int_div_zero 0
	.end_amdhsa_kernel
	.section	.text._ZL26rocblas_syr2k_scale_kernelIlLi128ELi8ELb0E19rocblas_complex_numIfES1_PS1_EvbiT_T3_T4_T5_S3_li,"axG",@progbits,_ZL26rocblas_syr2k_scale_kernelIlLi128ELi8ELb0E19rocblas_complex_numIfES1_PS1_EvbiT_T3_T4_T5_S3_li,comdat
.Lfunc_end1152:
	.size	_ZL26rocblas_syr2k_scale_kernelIlLi128ELi8ELb0E19rocblas_complex_numIfES1_PS1_EvbiT_T3_T4_T5_S3_li, .Lfunc_end1152-_ZL26rocblas_syr2k_scale_kernelIlLi128ELi8ELb0E19rocblas_complex_numIfES1_PS1_EvbiT_T3_T4_T5_S3_li
                                        ; -- End function
	.set _ZL26rocblas_syr2k_scale_kernelIlLi128ELi8ELb0E19rocblas_complex_numIfES1_PS1_EvbiT_T3_T4_T5_S3_li.num_vgpr, 6
	.set _ZL26rocblas_syr2k_scale_kernelIlLi128ELi8ELb0E19rocblas_complex_numIfES1_PS1_EvbiT_T3_T4_T5_S3_li.num_agpr, 0
	.set _ZL26rocblas_syr2k_scale_kernelIlLi128ELi8ELb0E19rocblas_complex_numIfES1_PS1_EvbiT_T3_T4_T5_S3_li.numbered_sgpr, 16
	.set _ZL26rocblas_syr2k_scale_kernelIlLi128ELi8ELb0E19rocblas_complex_numIfES1_PS1_EvbiT_T3_T4_T5_S3_li.num_named_barrier, 0
	.set _ZL26rocblas_syr2k_scale_kernelIlLi128ELi8ELb0E19rocblas_complex_numIfES1_PS1_EvbiT_T3_T4_T5_S3_li.private_seg_size, 0
	.set _ZL26rocblas_syr2k_scale_kernelIlLi128ELi8ELb0E19rocblas_complex_numIfES1_PS1_EvbiT_T3_T4_T5_S3_li.uses_vcc, 1
	.set _ZL26rocblas_syr2k_scale_kernelIlLi128ELi8ELb0E19rocblas_complex_numIfES1_PS1_EvbiT_T3_T4_T5_S3_li.uses_flat_scratch, 0
	.set _ZL26rocblas_syr2k_scale_kernelIlLi128ELi8ELb0E19rocblas_complex_numIfES1_PS1_EvbiT_T3_T4_T5_S3_li.has_dyn_sized_stack, 0
	.set _ZL26rocblas_syr2k_scale_kernelIlLi128ELi8ELb0E19rocblas_complex_numIfES1_PS1_EvbiT_T3_T4_T5_S3_li.has_recursion, 0
	.set _ZL26rocblas_syr2k_scale_kernelIlLi128ELi8ELb0E19rocblas_complex_numIfES1_PS1_EvbiT_T3_T4_T5_S3_li.has_indirect_call, 0
	.section	.AMDGPU.csdata,"",@progbits
; Kernel info:
; codeLenInByte = 300
; TotalNumSgprs: 20
; NumVgprs: 6
; ScratchSize: 0
; MemoryBound: 0
; FloatMode: 240
; IeeeMode: 1
; LDSByteSize: 0 bytes/workgroup (compile time only)
; SGPRBlocks: 2
; VGPRBlocks: 1
; NumSGPRsForWavesPerEU: 20
; NumVGPRsForWavesPerEU: 6
; Occupancy: 10
; WaveLimiterHint : 0
; COMPUTE_PGM_RSRC2:SCRATCH_EN: 0
; COMPUTE_PGM_RSRC2:USER_SGPR: 6
; COMPUTE_PGM_RSRC2:TRAP_HANDLER: 0
; COMPUTE_PGM_RSRC2:TGID_X_EN: 1
; COMPUTE_PGM_RSRC2:TGID_Y_EN: 1
; COMPUTE_PGM_RSRC2:TGID_Z_EN: 1
; COMPUTE_PGM_RSRC2:TIDIG_COMP_CNT: 1
	.section	.text._ZL26rocblas_syr2k_her2k_kernelIlLb0ELb0ELb0ELi32EPK19rocblas_complex_numIfES3_PS1_EvbiT_T4_T5_S5_lS7_S5_lT6_S5_li,"axG",@progbits,_ZL26rocblas_syr2k_her2k_kernelIlLb0ELb0ELb0ELi32EPK19rocblas_complex_numIfES3_PS1_EvbiT_T4_T5_S5_lS7_S5_lT6_S5_li,comdat
	.globl	_ZL26rocblas_syr2k_her2k_kernelIlLb0ELb0ELb0ELi32EPK19rocblas_complex_numIfES3_PS1_EvbiT_T4_T5_S5_lS7_S5_lT6_S5_li ; -- Begin function _ZL26rocblas_syr2k_her2k_kernelIlLb0ELb0ELb0ELi32EPK19rocblas_complex_numIfES3_PS1_EvbiT_T4_T5_S5_lS7_S5_lT6_S5_li
	.p2align	8
	.type	_ZL26rocblas_syr2k_her2k_kernelIlLb0ELb0ELb0ELi32EPK19rocblas_complex_numIfES3_PS1_EvbiT_T4_T5_S5_lS7_S5_lT6_S5_li,@function
_ZL26rocblas_syr2k_her2k_kernelIlLb0ELb0ELb0ELi32EPK19rocblas_complex_numIfES3_PS1_EvbiT_T4_T5_S5_lS7_S5_lT6_S5_li: ; @_ZL26rocblas_syr2k_her2k_kernelIlLb0ELb0ELb0ELi32EPK19rocblas_complex_numIfES3_PS1_EvbiT_T4_T5_S5_lS7_S5_lT6_S5_li
; %bb.0:
	s_load_dwordx16 s[12:27], s[4:5], 0x8
	s_waitcnt lgkmcnt(0)
	s_load_dwordx2 s[10:11], s[14:15], 0x0
	s_waitcnt lgkmcnt(0)
	v_cmp_eq_f32_e64 s[0:1], s10, 0
	v_cmp_eq_f32_e64 s[2:3], s11, 0
	s_and_b64 s[0:1], s[0:1], s[2:3]
	s_and_b64 vcc, exec, s[0:1]
	s_cbranch_vccnz .LBB1153_10
; %bb.1:
	s_load_dwordx2 s[14:15], s[4:5], 0x0
	s_lshl_b32 s3, s7, 5
	s_lshl_b32 s2, s6, 5
	s_waitcnt lgkmcnt(0)
	s_and_b32 s0, 1, s14
	s_cmp_eq_u32 s0, 1
	s_cselect_b64 s[0:1], -1, 0
	s_and_b64 s[6:7], s[0:1], exec
	s_cselect_b32 s6, s2, s3
	s_cselect_b32 s7, s3, s2
	s_cmp_gt_i32 s6, s7
	v_cmp_lt_i64_e64 s[6:7], s[12:13], 1
	s_cselect_b64 s[28:29], -1, 0
	s_or_b64 s[6:7], s[28:29], s[6:7]
	s_and_b64 vcc, exec, s[6:7]
	s_cbranch_vccnz .LBB1153_10
; %bb.2:
	s_load_dwordx2 s[6:7], s[4:5], 0x58
	s_load_dwordx4 s[28:31], s[4:5], 0x48
	v_add_u32_e32 v2, s3, v1
	v_lshlrev_b32_e32 v16, 8, v0
	v_lshlrev_b32_e32 v6, 3, v1
	s_waitcnt lgkmcnt(0)
	s_mul_i32 s3, s7, s8
	s_mul_hi_u32 s5, s6, s8
	s_mul_i32 s4, s6, s8
	s_add_i32 s5, s5, s3
	s_lshl_b64 s[4:5], s[4:5], 3
	s_add_u32 s9, s28, s4
	v_add_u32_e32 v17, v16, v6
	v_or_b32_e32 v18, 0x2000, v6
	v_ashrrev_i32_e32 v6, 31, v2
	s_addc_u32 s14, s29, s5
	v_mul_lo_u32 v11, s30, v6
	v_mul_lo_u32 v12, s31, v2
	v_mad_u64_u32 v[6:7], s[4:5], s30, v2, 0
	v_add_u32_e32 v4, s2, v0
	v_cndmask_b32_e64 v8, v4, v2, s[0:1]
	v_add3_u32 v7, v7, v11, v12
	v_cndmask_b32_e64 v9, v2, v4, s[0:1]
	v_max_i32_e32 v10, v4, v2
	v_lshlrev_b64 v[6:7], 3, v[6:7]
	v_cmp_gt_i32_e32 vcc, s15, v10
	v_cmp_le_i32_e64 s[4:5], v9, v8
	s_and_b64 s[6:7], s[4:5], vcc
	v_ashrrev_i32_e32 v9, 31, v4
	v_mov_b32_e32 v8, v4
	v_mov_b32_e32 v10, s14
	v_add_co_u32_e32 v11, vcc, s9, v6
	v_addc_co_u32_e32 v12, vcc, v10, v7, vcc
	v_lshlrev_b64 v[6:7], 3, v[8:9]
	v_mad_u64_u32 v[8:9], s[4:5], s24, v0, 0
	v_add_co_u32_e32 v10, vcc, v11, v6
	v_mov_b32_e32 v6, v9
	v_addc_co_u32_e32 v11, vcc, v12, v7, vcc
	v_mad_u64_u32 v[6:7], s[4:5], s25, v0, v[6:7]
	s_mul_i32 s9, s27, s8
	s_mul_hi_u32 s14, s26, s8
	v_mov_b32_e32 v9, v6
	v_mov_b32_e32 v5, 0
	s_add_i32 s5, s14, s9
	s_mul_i32 s4, s26, s8
	v_lshlrev_b64 v[6:7], 3, v[8:9]
	s_ashr_i32 s3, s15, 31
	s_mov_b32 s2, s15
	v_mov_b32_e32 v3, v5
	s_lshl_b64 s[4:5], s[4:5], 3
	v_cmp_gt_i64_e64 s[0:1], s[2:3], v[4:5]
	v_cmp_gt_i64_e64 s[2:3], s[2:3], v[2:3]
	v_mov_b32_e32 v8, s5
	v_add_co_u32_e32 v6, vcc, s4, v6
	v_lshlrev_b64 v[2:3], 3, v[2:3]
	v_addc_co_u32_e32 v7, vcc, v8, v7, vcc
	v_add_co_u32_e32 v2, vcc, v6, v2
	v_addc_co_u32_e32 v3, vcc, v7, v3, vcc
	v_mov_b32_e32 v6, s23
	v_add_co_u32_e32 v2, vcc, s22, v2
	v_addc_co_u32_e32 v3, vcc, v6, v3, vcc
	v_add_co_u32_e32 v12, vcc, 4, v2
	v_addc_co_u32_e32 v13, vcc, 0, v3, vcc
	v_mad_u64_u32 v[2:3], s[4:5], s18, v1, 0
	s_mul_i32 s9, s21, s8
	s_mul_hi_u32 s21, s20, s8
	v_mad_u64_u32 v[6:7], s[4:5], s19, v1, v[3:4]
	s_add_i32 s5, s21, s9
	s_mul_i32 s4, s20, s8
	v_mov_b32_e32 v3, v6
	v_lshlrev_b64 v[2:3], 3, v[2:3]
	s_lshl_b64 s[4:5], s[4:5], 3
	v_mov_b32_e32 v6, s5
	v_add_co_u32_e32 v7, vcc, s4, v2
	v_addc_co_u32_e32 v6, vcc, v6, v3, vcc
	v_lshlrev_b64 v[2:3], 3, v[4:5]
	v_mov_b32_e32 v4, s17
	v_add_co_u32_e32 v2, vcc, v7, v2
	v_addc_co_u32_e32 v3, vcc, v6, v3, vcc
	v_add_co_u32_e32 v2, vcc, s16, v2
	v_addc_co_u32_e32 v3, vcc, v4, v3, vcc
	v_add_co_u32_e32 v14, vcc, 4, v2
	v_add_u32_e32 v19, v18, v16
	s_lshl_b64 s[14:15], s[24:25], 8
	v_addc_co_u32_e32 v15, vcc, 0, v3, vcc
	s_lshl_b64 s[8:9], s[18:19], 8
	s_mov_b64 s[16:17], 0
	s_branch .LBB1153_4
.LBB1153_3:                             ;   in Loop: Header=BB1153_4 Depth=1
	s_or_b64 exec, exec, s[4:5]
	v_mov_b32_e32 v2, s15
	v_add_co_u32_e32 v12, vcc, s14, v12
	s_add_u32 s16, s16, 32
	v_addc_co_u32_e32 v13, vcc, v13, v2, vcc
	v_mov_b32_e32 v2, s12
	s_addc_u32 s17, s17, 0
	v_mov_b32_e32 v3, s13
	v_cmp_lt_i64_e32 vcc, s[16:17], v[2:3]
	v_mov_b32_e32 v4, s9
	v_add_co_u32_e64 v14, s[4:5], s8, v14
	v_addc_co_u32_e64 v15, s[4:5], v15, v4, s[4:5]
	s_waitcnt vmcnt(0)
	s_barrier
	s_cbranch_vccz .LBB1153_10
.LBB1153_4:                             ; =>This Inner Loop Header: Depth=1
	v_mov_b32_e32 v3, s17
	v_add_co_u32_e32 v2, vcc, s16, v1
	v_addc_co_u32_e32 v3, vcc, 0, v3, vcc
	v_cmp_gt_i64_e32 vcc, s[12:13], v[2:3]
	v_mov_b32_e32 v2, 0
	s_and_b64 s[18:19], s[0:1], vcc
	v_mov_b32_e32 v3, 0
	s_and_saveexec_b64 s[4:5], s[18:19]
	s_cbranch_execz .LBB1153_6
; %bb.5:                                ;   in Loop: Header=BB1153_4 Depth=1
	global_load_dwordx2 v[2:3], v[14:15], off offset:-4
.LBB1153_6:                             ;   in Loop: Header=BB1153_4 Depth=1
	s_or_b64 exec, exec, s[4:5]
	v_mov_b32_e32 v5, s17
	v_add_co_u32_e32 v4, vcc, s16, v0
	v_addc_co_u32_e32 v5, vcc, 0, v5, vcc
	v_cmp_gt_i64_e32 vcc, s[12:13], v[4:5]
	s_waitcnt vmcnt(0)
	ds_write_b64 v17, v[2:3]
	s_and_b64 s[18:19], s[2:3], vcc
	v_mov_b32_e32 v2, 0
	v_mov_b32_e32 v3, 0
	s_and_saveexec_b64 s[4:5], s[18:19]
	s_cbranch_execz .LBB1153_8
; %bb.7:                                ;   in Loop: Header=BB1153_4 Depth=1
	global_load_dwordx2 v[2:3], v[12:13], off offset:-4
.LBB1153_8:                             ;   in Loop: Header=BB1153_4 Depth=1
	s_or_b64 exec, exec, s[4:5]
	s_waitcnt vmcnt(0)
	ds_write_b64 v19, v[2:3]
	s_waitcnt lgkmcnt(0)
	s_barrier
	s_and_saveexec_b64 s[4:5], s[6:7]
	s_cbranch_execz .LBB1153_3
; %bb.9:                                ;   in Loop: Header=BB1153_4 Depth=1
	ds_read2_b64 v[2:5], v18 offset1:32
	ds_read_b128 v[6:9], v16
	ds_read_b128 v[20:23], v16 offset:16
	s_waitcnt lgkmcnt(1)
	v_mul_f32_e32 v24, v3, v7
	v_mul_f32_e32 v25, v2, v7
	v_fma_f32 v24, v2, v6, -v24
	v_mul_f32_e32 v2, v5, v9
	v_mul_f32_e32 v27, v4, v9
	v_fmac_f32_e32 v25, v3, v6
	v_fma_f32 v26, v4, v8, -v2
	v_fmac_f32_e32 v27, v5, v8
	ds_read2_b64 v[2:5], v18 offset0:64 offset1:96
	s_waitcnt lgkmcnt(0)
	v_mul_f32_e32 v6, v3, v21
	v_fma_f32 v28, v2, v20, -v6
	v_mul_f32_e32 v21, v2, v21
	v_mul_f32_e32 v2, v5, v23
	;; [unrolled: 1-line block ×3, first 2 shown]
	v_fmac_f32_e32 v21, v3, v20
	v_fma_f32 v20, v4, v22, -v2
	v_fmac_f32_e32 v23, v5, v22
	ds_read_b128 v[2:5], v16 offset:32
	ds_read2_b64 v[6:9], v18 offset0:128 offset1:160
	s_waitcnt lgkmcnt(0)
	v_mul_f32_e32 v22, v7, v3
	v_mul_f32_e32 v29, v6, v3
	v_fma_f32 v22, v6, v2, -v22
	v_fmac_f32_e32 v29, v7, v2
	v_add_f32_e32 v6, 0, v24
	v_add_f32_e32 v7, 0, v25
	;; [unrolled: 1-line block ×4, first 2 shown]
	v_mul_f32_e32 v2, v9, v5
	v_mul_f32_e32 v31, v8, v5
	v_add_f32_e32 v6, v6, v28
	v_add_f32_e32 v7, v7, v21
	v_fma_f32 v30, v8, v4, -v2
	v_fmac_f32_e32 v31, v9, v4
	ds_read_b128 v[2:5], v16 offset:48
	v_add_f32_e32 v20, v6, v20
	v_add_f32_e32 v21, v7, v23
	ds_read2_b64 v[6:9], v18 offset0:192 offset1:224
	v_add_f32_e32 v20, v20, v22
	v_add_u32_e32 v26, 0x800, v18
	v_add_f32_e32 v21, v21, v29
	v_add_f32_e32 v20, v20, v30
	s_waitcnt lgkmcnt(0)
	v_mul_f32_e32 v22, v7, v3
	v_mul_f32_e32 v23, v6, v3
	v_fma_f32 v22, v6, v2, -v22
	v_fmac_f32_e32 v23, v7, v2
	v_mul_f32_e32 v2, v9, v5
	v_mul_f32_e32 v25, v8, v5
	v_fma_f32 v24, v8, v4, -v2
	v_fmac_f32_e32 v25, v9, v4
	ds_read_b128 v[2:5], v16 offset:64
	ds_read2_b64 v[6:9], v26 offset1:32
	v_add_f32_e32 v21, v21, v31
	v_add_f32_e32 v20, v20, v22
	;; [unrolled: 1-line block ×4, first 2 shown]
	s_waitcnt lgkmcnt(0)
	v_mul_f32_e32 v22, v7, v3
	v_mul_f32_e32 v23, v6, v3
	v_fma_f32 v22, v6, v2, -v22
	v_fmac_f32_e32 v23, v7, v2
	v_mul_f32_e32 v2, v9, v5
	v_mul_f32_e32 v25, v8, v5
	v_add_f32_e32 v20, v20, v24
	v_fma_f32 v24, v8, v4, -v2
	v_fmac_f32_e32 v25, v9, v4
	ds_read_b128 v[2:5], v16 offset:80
	ds_read2_b64 v[6:9], v26 offset0:64 offset1:96
	v_add_f32_e32 v20, v20, v22
	v_add_f32_e32 v21, v21, v23
	v_add_f32_e32 v21, v21, v25
	v_add_f32_e32 v20, v20, v24
	s_waitcnt lgkmcnt(0)
	v_mul_f32_e32 v22, v7, v3
	v_mul_f32_e32 v23, v6, v3
	v_fma_f32 v22, v6, v2, -v22
	v_fmac_f32_e32 v23, v7, v2
	v_mul_f32_e32 v2, v9, v5
	v_mul_f32_e32 v25, v8, v5
	v_fma_f32 v24, v8, v4, -v2
	v_fmac_f32_e32 v25, v9, v4
	ds_read_b128 v[2:5], v16 offset:96
	ds_read2_b64 v[6:9], v26 offset0:128 offset1:160
	v_add_f32_e32 v20, v20, v22
	v_add_f32_e32 v21, v21, v23
	v_add_f32_e32 v21, v21, v25
	v_add_f32_e32 v20, v20, v24
	s_waitcnt lgkmcnt(0)
	v_mul_f32_e32 v22, v7, v3
	v_mul_f32_e32 v23, v6, v3
	v_fma_f32 v22, v6, v2, -v22
	v_fmac_f32_e32 v23, v7, v2
	v_mul_f32_e32 v2, v9, v5
	v_mul_f32_e32 v25, v8, v5
	;; [unrolled: 15-line block ×3, first 2 shown]
	v_add_u32_e32 v20, 0x1000, v18
	v_fma_f32 v25, v8, v4, -v2
	v_fmac_f32_e32 v26, v9, v4
	ds_read_b128 v[2:5], v16 offset:128
	ds_read2_b64 v[6:9], v20 offset1:32
	v_add_f32_e32 v22, v22, v23
	v_add_f32_e32 v21, v21, v24
	;; [unrolled: 1-line block ×4, first 2 shown]
	s_waitcnt lgkmcnt(0)
	v_mul_f32_e32 v23, v7, v3
	v_mul_f32_e32 v24, v6, v3
	v_fma_f32 v23, v6, v2, -v23
	v_fmac_f32_e32 v24, v7, v2
	v_mul_f32_e32 v2, v9, v5
	v_mul_f32_e32 v26, v8, v5
	v_fma_f32 v25, v8, v4, -v2
	v_fmac_f32_e32 v26, v9, v4
	ds_read_b128 v[2:5], v16 offset:144
	ds_read2_b64 v[6:9], v20 offset0:64 offset1:96
	v_add_f32_e32 v22, v22, v23
	v_add_f32_e32 v21, v21, v24
	;; [unrolled: 1-line block ×4, first 2 shown]
	s_waitcnt lgkmcnt(0)
	v_mul_f32_e32 v23, v7, v3
	v_mul_f32_e32 v24, v6, v3
	v_fma_f32 v23, v6, v2, -v23
	v_fmac_f32_e32 v24, v7, v2
	v_mul_f32_e32 v2, v9, v5
	v_mul_f32_e32 v26, v8, v5
	v_fma_f32 v25, v8, v4, -v2
	v_fmac_f32_e32 v26, v9, v4
	ds_read_b128 v[2:5], v16 offset:160
	ds_read2_b64 v[6:9], v20 offset0:128 offset1:160
	v_add_f32_e32 v21, v21, v24
	v_add_f32_e32 v22, v22, v23
	;; [unrolled: 1-line block ×4, first 2 shown]
	s_waitcnt lgkmcnt(0)
	v_mul_f32_e32 v21, v7, v3
	v_fma_f32 v25, v6, v2, -v21
	global_load_dwordx2 v[21:22], v[10:11], off
	v_mul_f32_e32 v26, v6, v3
	v_fmac_f32_e32 v26, v7, v2
	v_mul_f32_e32 v2, v9, v5
	v_mul_f32_e32 v28, v8, v5
	v_fma_f32 v27, v8, v4, -v2
	v_fmac_f32_e32 v28, v9, v4
	ds_read_b128 v[2:5], v16 offset:176
	ds_read2_b64 v[6:9], v20 offset0:192 offset1:224
	v_add_f32_e32 v20, v23, v25
	v_add_f32_e32 v23, v24, v26
	;; [unrolled: 1-line block ×4, first 2 shown]
	s_waitcnt lgkmcnt(0)
	v_mul_f32_e32 v24, v7, v3
	v_mul_f32_e32 v25, v6, v3
	v_fma_f32 v24, v6, v2, -v24
	v_fmac_f32_e32 v25, v7, v2
	v_mul_f32_e32 v2, v9, v5
	v_mul_f32_e32 v27, v8, v5
	v_add_u32_e32 v28, 0x1800, v18
	v_fma_f32 v26, v8, v4, -v2
	v_fmac_f32_e32 v27, v9, v4
	ds_read_b128 v[2:5], v16 offset:192
	ds_read2_b64 v[6:9], v28 offset1:32
	v_add_f32_e32 v20, v20, v24
	v_add_f32_e32 v23, v23, v25
	v_add_f32_e32 v23, v23, v27
	v_add_f32_e32 v20, v20, v26
	s_waitcnt lgkmcnt(0)
	v_mul_f32_e32 v24, v7, v3
	v_mul_f32_e32 v25, v6, v3
	v_fma_f32 v24, v6, v2, -v24
	v_fmac_f32_e32 v25, v7, v2
	v_mul_f32_e32 v2, v9, v5
	v_mul_f32_e32 v27, v8, v5
	v_fma_f32 v26, v8, v4, -v2
	v_fmac_f32_e32 v27, v9, v4
	ds_read_b128 v[2:5], v16 offset:208
	ds_read2_b64 v[6:9], v28 offset0:64 offset1:96
	v_add_f32_e32 v20, v20, v24
	v_add_f32_e32 v23, v23, v25
	v_add_f32_e32 v23, v23, v27
	v_add_f32_e32 v20, v20, v26
	s_waitcnt lgkmcnt(0)
	v_mul_f32_e32 v24, v7, v3
	v_mul_f32_e32 v25, v6, v3
	v_fma_f32 v24, v6, v2, -v24
	v_fmac_f32_e32 v25, v7, v2
	v_mul_f32_e32 v2, v9, v5
	v_mul_f32_e32 v27, v8, v5
	v_fma_f32 v26, v8, v4, -v2
	v_fmac_f32_e32 v27, v9, v4
	ds_read_b128 v[2:5], v16 offset:224
	ds_read2_b64 v[6:9], v28 offset0:128 offset1:160
	;; [unrolled: 15-line block ×3, first 2 shown]
	v_add_f32_e32 v20, v20, v24
	v_add_f32_e32 v23, v23, v25
	;; [unrolled: 1-line block ×4, first 2 shown]
	s_waitcnt lgkmcnt(0)
	v_mul_f32_e32 v24, v7, v3
	v_mul_f32_e32 v3, v6, v3
	v_fma_f32 v24, v6, v2, -v24
	v_fmac_f32_e32 v3, v7, v2
	v_mul_f32_e32 v6, v9, v5
	v_mul_f32_e32 v5, v8, v5
	v_add_f32_e32 v2, v20, v24
	v_add_f32_e32 v3, v23, v3
	v_fma_f32 v6, v8, v4, -v6
	v_fmac_f32_e32 v5, v9, v4
	v_add_f32_e32 v2, v2, v6
	v_add_f32_e32 v3, v3, v5
	v_mul_f32_e32 v4, s11, v3
	v_mul_f32_e32 v5, s11, v2
	v_fma_f32 v4, s10, v2, -v4
	v_fmac_f32_e32 v5, s10, v3
	s_waitcnt vmcnt(0)
	v_add_f32_e32 v2, v21, v4
	v_add_f32_e32 v3, v22, v5
	global_store_dwordx2 v[10:11], v[2:3], off
	s_branch .LBB1153_3
.LBB1153_10:
	s_endpgm
	.section	.rodata,"a",@progbits
	.p2align	6, 0x0
	.amdhsa_kernel _ZL26rocblas_syr2k_her2k_kernelIlLb0ELb0ELb0ELi32EPK19rocblas_complex_numIfES3_PS1_EvbiT_T4_T5_S5_lS7_S5_lT6_S5_li
		.amdhsa_group_segment_fixed_size 16384
		.amdhsa_private_segment_fixed_size 0
		.amdhsa_kernarg_size 100
		.amdhsa_user_sgpr_count 6
		.amdhsa_user_sgpr_private_segment_buffer 1
		.amdhsa_user_sgpr_dispatch_ptr 0
		.amdhsa_user_sgpr_queue_ptr 0
		.amdhsa_user_sgpr_kernarg_segment_ptr 1
		.amdhsa_user_sgpr_dispatch_id 0
		.amdhsa_user_sgpr_flat_scratch_init 0
		.amdhsa_user_sgpr_private_segment_size 0
		.amdhsa_uses_dynamic_stack 0
		.amdhsa_system_sgpr_private_segment_wavefront_offset 0
		.amdhsa_system_sgpr_workgroup_id_x 1
		.amdhsa_system_sgpr_workgroup_id_y 1
		.amdhsa_system_sgpr_workgroup_id_z 1
		.amdhsa_system_sgpr_workgroup_info 0
		.amdhsa_system_vgpr_workitem_id 1
		.amdhsa_next_free_vgpr 32
		.amdhsa_next_free_sgpr 61
		.amdhsa_reserve_vcc 1
		.amdhsa_reserve_flat_scratch 0
		.amdhsa_float_round_mode_32 0
		.amdhsa_float_round_mode_16_64 0
		.amdhsa_float_denorm_mode_32 3
		.amdhsa_float_denorm_mode_16_64 3
		.amdhsa_dx10_clamp 1
		.amdhsa_ieee_mode 1
		.amdhsa_fp16_overflow 0
		.amdhsa_exception_fp_ieee_invalid_op 0
		.amdhsa_exception_fp_denorm_src 0
		.amdhsa_exception_fp_ieee_div_zero 0
		.amdhsa_exception_fp_ieee_overflow 0
		.amdhsa_exception_fp_ieee_underflow 0
		.amdhsa_exception_fp_ieee_inexact 0
		.amdhsa_exception_int_div_zero 0
	.end_amdhsa_kernel
	.section	.text._ZL26rocblas_syr2k_her2k_kernelIlLb0ELb0ELb0ELi32EPK19rocblas_complex_numIfES3_PS1_EvbiT_T4_T5_S5_lS7_S5_lT6_S5_li,"axG",@progbits,_ZL26rocblas_syr2k_her2k_kernelIlLb0ELb0ELb0ELi32EPK19rocblas_complex_numIfES3_PS1_EvbiT_T4_T5_S5_lS7_S5_lT6_S5_li,comdat
.Lfunc_end1153:
	.size	_ZL26rocblas_syr2k_her2k_kernelIlLb0ELb0ELb0ELi32EPK19rocblas_complex_numIfES3_PS1_EvbiT_T4_T5_S5_lS7_S5_lT6_S5_li, .Lfunc_end1153-_ZL26rocblas_syr2k_her2k_kernelIlLb0ELb0ELb0ELi32EPK19rocblas_complex_numIfES3_PS1_EvbiT_T4_T5_S5_lS7_S5_lT6_S5_li
                                        ; -- End function
	.set _ZL26rocblas_syr2k_her2k_kernelIlLb0ELb0ELb0ELi32EPK19rocblas_complex_numIfES3_PS1_EvbiT_T4_T5_S5_lS7_S5_lT6_S5_li.num_vgpr, 32
	.set _ZL26rocblas_syr2k_her2k_kernelIlLb0ELb0ELb0ELi32EPK19rocblas_complex_numIfES3_PS1_EvbiT_T4_T5_S5_lS7_S5_lT6_S5_li.num_agpr, 0
	.set _ZL26rocblas_syr2k_her2k_kernelIlLb0ELb0ELb0ELi32EPK19rocblas_complex_numIfES3_PS1_EvbiT_T4_T5_S5_lS7_S5_lT6_S5_li.numbered_sgpr, 32
	.set _ZL26rocblas_syr2k_her2k_kernelIlLb0ELb0ELb0ELi32EPK19rocblas_complex_numIfES3_PS1_EvbiT_T4_T5_S5_lS7_S5_lT6_S5_li.num_named_barrier, 0
	.set _ZL26rocblas_syr2k_her2k_kernelIlLb0ELb0ELb0ELi32EPK19rocblas_complex_numIfES3_PS1_EvbiT_T4_T5_S5_lS7_S5_lT6_S5_li.private_seg_size, 0
	.set _ZL26rocblas_syr2k_her2k_kernelIlLb0ELb0ELb0ELi32EPK19rocblas_complex_numIfES3_PS1_EvbiT_T4_T5_S5_lS7_S5_lT6_S5_li.uses_vcc, 1
	.set _ZL26rocblas_syr2k_her2k_kernelIlLb0ELb0ELb0ELi32EPK19rocblas_complex_numIfES3_PS1_EvbiT_T4_T5_S5_lS7_S5_lT6_S5_li.uses_flat_scratch, 0
	.set _ZL26rocblas_syr2k_her2k_kernelIlLb0ELb0ELb0ELi32EPK19rocblas_complex_numIfES3_PS1_EvbiT_T4_T5_S5_lS7_S5_lT6_S5_li.has_dyn_sized_stack, 0
	.set _ZL26rocblas_syr2k_her2k_kernelIlLb0ELb0ELb0ELi32EPK19rocblas_complex_numIfES3_PS1_EvbiT_T4_T5_S5_lS7_S5_lT6_S5_li.has_recursion, 0
	.set _ZL26rocblas_syr2k_her2k_kernelIlLb0ELb0ELb0ELi32EPK19rocblas_complex_numIfES3_PS1_EvbiT_T4_T5_S5_lS7_S5_lT6_S5_li.has_indirect_call, 0
	.section	.AMDGPU.csdata,"",@progbits
; Kernel info:
; codeLenInByte = 2064
; TotalNumSgprs: 36
; NumVgprs: 32
; ScratchSize: 0
; MemoryBound: 0
; FloatMode: 240
; IeeeMode: 1
; LDSByteSize: 16384 bytes/workgroup (compile time only)
; SGPRBlocks: 8
; VGPRBlocks: 7
; NumSGPRsForWavesPerEU: 65
; NumVGPRsForWavesPerEU: 32
; Occupancy: 8
; WaveLimiterHint : 0
; COMPUTE_PGM_RSRC2:SCRATCH_EN: 0
; COMPUTE_PGM_RSRC2:USER_SGPR: 6
; COMPUTE_PGM_RSRC2:TRAP_HANDLER: 0
; COMPUTE_PGM_RSRC2:TGID_X_EN: 1
; COMPUTE_PGM_RSRC2:TGID_Y_EN: 1
; COMPUTE_PGM_RSRC2:TGID_Z_EN: 1
; COMPUTE_PGM_RSRC2:TIDIG_COMP_CNT: 1
	.section	.text._ZL26rocblas_syr2k_her2k_kernelIlLb0ELb0ELb1ELi32EPK19rocblas_complex_numIfES3_PS1_EvbiT_T4_T5_S5_lS7_S5_lT6_S5_li,"axG",@progbits,_ZL26rocblas_syr2k_her2k_kernelIlLb0ELb0ELb1ELi32EPK19rocblas_complex_numIfES3_PS1_EvbiT_T4_T5_S5_lS7_S5_lT6_S5_li,comdat
	.globl	_ZL26rocblas_syr2k_her2k_kernelIlLb0ELb0ELb1ELi32EPK19rocblas_complex_numIfES3_PS1_EvbiT_T4_T5_S5_lS7_S5_lT6_S5_li ; -- Begin function _ZL26rocblas_syr2k_her2k_kernelIlLb0ELb0ELb1ELi32EPK19rocblas_complex_numIfES3_PS1_EvbiT_T4_T5_S5_lS7_S5_lT6_S5_li
	.p2align	8
	.type	_ZL26rocblas_syr2k_her2k_kernelIlLb0ELb0ELb1ELi32EPK19rocblas_complex_numIfES3_PS1_EvbiT_T4_T5_S5_lS7_S5_lT6_S5_li,@function
_ZL26rocblas_syr2k_her2k_kernelIlLb0ELb0ELb1ELi32EPK19rocblas_complex_numIfES3_PS1_EvbiT_T4_T5_S5_lS7_S5_lT6_S5_li: ; @_ZL26rocblas_syr2k_her2k_kernelIlLb0ELb0ELb1ELi32EPK19rocblas_complex_numIfES3_PS1_EvbiT_T4_T5_S5_lS7_S5_lT6_S5_li
; %bb.0:
	s_load_dwordx16 s[12:27], s[4:5], 0x8
	s_waitcnt lgkmcnt(0)
	s_load_dwordx2 s[10:11], s[14:15], 0x0
	s_waitcnt lgkmcnt(0)
	v_cmp_eq_f32_e64 s[0:1], s10, 0
	v_cmp_eq_f32_e64 s[2:3], s11, 0
	s_and_b64 s[0:1], s[0:1], s[2:3]
	s_and_b64 vcc, exec, s[0:1]
	s_cbranch_vccnz .LBB1154_10
; %bb.1:
	s_load_dwordx2 s[14:15], s[4:5], 0x0
	s_lshl_b32 s3, s7, 5
	s_lshl_b32 s2, s6, 5
	s_waitcnt lgkmcnt(0)
	s_and_b32 s0, 1, s14
	s_cmp_eq_u32 s0, 1
	s_cselect_b64 s[0:1], -1, 0
	s_and_b64 s[6:7], s[0:1], exec
	s_cselect_b32 s6, s2, s3
	s_cselect_b32 s7, s3, s2
	s_cmp_gt_i32 s6, s7
	v_cmp_lt_i64_e64 s[6:7], s[12:13], 1
	s_cselect_b64 s[28:29], -1, 0
	s_or_b64 s[6:7], s[28:29], s[6:7]
	s_and_b64 vcc, exec, s[6:7]
	s_cbranch_vccnz .LBB1154_10
; %bb.2:
	s_load_dwordx2 s[6:7], s[4:5], 0x58
	s_load_dwordx4 s[28:31], s[4:5], 0x48
	v_add_u32_e32 v2, s3, v1
	v_add_u32_e32 v4, s2, v0
	s_mov_b32 s2, s15
	s_waitcnt lgkmcnt(0)
	s_mul_i32 s3, s7, s8
	s_mul_hi_u32 s5, s6, s8
	s_mul_i32 s4, s6, s8
	s_add_i32 s5, s5, s3
	s_lshl_b64 s[4:5], s[4:5], 3
	s_add_u32 s9, s28, s4
	s_addc_u32 s14, s29, s5
	s_ashr_i32 s3, s15, 31
	v_mov_b32_e32 v5, 0
	v_cndmask_b32_e64 v8, v4, v2, s[0:1]
	v_cndmask_b32_e64 v9, v2, v4, s[0:1]
	v_cmp_gt_i64_e64 s[0:1], s[2:3], v[4:5]
	v_mov_b32_e32 v3, v5
	v_ashrrev_i32_e32 v5, 31, v2
	v_mul_lo_u32 v5, s30, v5
	v_mul_lo_u32 v11, s31, v2
	v_mad_u64_u32 v[6:7], s[4:5], s30, v2, 0
	v_cmp_gt_i64_e64 s[2:3], s[2:3], v[2:3]
	v_max_i32_e32 v3, v4, v2
	v_add3_u32 v7, v7, v5, v11
	v_lshlrev_b64 v[6:7], 3, v[6:7]
	v_cmp_gt_i32_e32 vcc, s15, v3
	v_cmp_le_i32_e64 s[4:5], v9, v8
	s_and_b64 s[6:7], s[4:5], vcc
	v_mov_b32_e32 v3, s14
	v_add_co_u32_e32 v9, vcc, s9, v6
	v_ashrrev_i32_e32 v5, 31, v4
	v_addc_co_u32_e32 v3, vcc, v3, v7, vcc
	v_mad_u64_u32 v[7:8], s[4:5], s24, v2, 0
	v_lshlrev_b64 v[5:6], 3, v[4:5]
	s_mul_i32 s9, s27, s8
	v_add_co_u32_e32 v14, vcc, v9, v5
	v_addc_co_u32_e32 v15, vcc, v3, v6, vcc
	v_mov_b32_e32 v3, v8
	v_mad_u64_u32 v[2:3], s[4:5], s25, v2, v[3:4]
	s_mul_hi_u32 s14, s26, s8
	s_add_i32 s5, s14, s9
	v_mov_b32_e32 v8, v2
	s_mul_i32 s4, s26, s8
	v_lshlrev_b64 v[2:3], 3, v[7:8]
	s_lshl_b64 s[4:5], s[4:5], 3
	v_mov_b32_e32 v5, s5
	v_add_co_u32_e32 v2, vcc, s4, v2
	v_addc_co_u32_e32 v3, vcc, v5, v3, vcc
	v_lshlrev_b32_e32 v5, 3, v0
	v_add_co_u32_e32 v2, vcc, v2, v5
	v_addc_co_u32_e32 v3, vcc, 0, v3, vcc
	v_mov_b32_e32 v5, s23
	v_add_co_u32_e32 v6, vcc, s22, v2
	v_addc_co_u32_e32 v5, vcc, v5, v3, vcc
	v_mad_u64_u32 v[2:3], s[4:5], s18, v4, 0
	s_mul_i32 s9, s21, s8
	s_mul_hi_u32 s14, s20, s8
	v_mad_u64_u32 v[3:4], s[4:5], s19, v4, v[3:4]
	v_add_co_u32_e32 v16, vcc, 4, v6
	s_add_i32 s5, s14, s9
	s_mul_i32 s4, s20, s8
	v_lshlrev_b64 v[2:3], 3, v[2:3]
	v_addc_co_u32_e32 v17, vcc, 0, v5, vcc
	s_lshl_b64 s[4:5], s[4:5], 3
	v_mov_b32_e32 v4, s5
	v_add_co_u32_e32 v2, vcc, s4, v2
	v_lshlrev_b32_e32 v10, 3, v1
	v_addc_co_u32_e32 v3, vcc, v4, v3, vcc
	v_add_co_u32_e32 v2, vcc, v2, v10
	v_addc_co_u32_e32 v3, vcc, 0, v3, vcc
	v_mov_b32_e32 v4, s17
	v_add_co_u32_e32 v2, vcc, s16, v2
	v_addc_co_u32_e32 v3, vcc, v4, v3, vcc
	v_lshlrev_b32_e32 v20, 8, v0
	v_or_b32_e32 v22, 0x2000, v10
	v_add_co_u32_e32 v18, vcc, 4, v2
	v_add_u32_e32 v21, v20, v10
	v_add_u32_e32 v23, v22, v20
	v_addc_co_u32_e32 v19, vcc, 0, v3, vcc
	s_mov_b64 s[8:9], 0
	v_add_u32_e32 v24, 0x800, v22
	v_add_u32_e32 v25, 0x1000, v22
	;; [unrolled: 1-line block ×3, first 2 shown]
	s_branch .LBB1154_4
.LBB1154_3:                             ;   in Loop: Header=BB1154_4 Depth=1
	s_or_b64 exec, exec, s[4:5]
	s_add_u32 s8, s8, 32
	v_add_co_u32_e32 v16, vcc, 0x100, v16
	v_mov_b32_e32 v2, s12
	s_addc_u32 s9, s9, 0
	v_addc_co_u32_e32 v17, vcc, 0, v17, vcc
	v_mov_b32_e32 v3, s13
	v_add_co_u32_e32 v18, vcc, 0x100, v18
	v_cmp_lt_i64_e64 s[4:5], s[8:9], v[2:3]
	v_addc_co_u32_e32 v19, vcc, 0, v19, vcc
	s_and_b64 vcc, exec, s[4:5]
	s_waitcnt vmcnt(0)
	s_barrier
	s_cbranch_vccz .LBB1154_10
.LBB1154_4:                             ; =>This Inner Loop Header: Depth=1
	v_mov_b32_e32 v3, s9
	v_add_co_u32_e32 v2, vcc, s8, v1
	v_addc_co_u32_e32 v3, vcc, 0, v3, vcc
	v_cmp_gt_i64_e32 vcc, s[12:13], v[2:3]
	v_mov_b32_e32 v2, 0
	s_and_b64 s[14:15], s[0:1], vcc
	v_mov_b32_e32 v3, 0
	s_and_saveexec_b64 s[4:5], s[14:15]
	s_cbranch_execz .LBB1154_6
; %bb.5:                                ;   in Loop: Header=BB1154_4 Depth=1
	global_load_dwordx2 v[2:3], v[18:19], off offset:-4
.LBB1154_6:                             ;   in Loop: Header=BB1154_4 Depth=1
	s_or_b64 exec, exec, s[4:5]
	v_mov_b32_e32 v5, s9
	v_add_co_u32_e32 v4, vcc, s8, v0
	v_addc_co_u32_e32 v5, vcc, 0, v5, vcc
	v_cmp_gt_i64_e32 vcc, s[12:13], v[4:5]
	s_waitcnt vmcnt(0)
	ds_write_b64 v21, v[2:3]
	s_and_b64 s[14:15], s[2:3], vcc
	v_mov_b32_e32 v2, 0
	v_mov_b32_e32 v3, 0
	s_and_saveexec_b64 s[4:5], s[14:15]
	s_cbranch_execz .LBB1154_8
; %bb.7:                                ;   in Loop: Header=BB1154_4 Depth=1
	global_load_dwordx2 v[2:3], v[16:17], off offset:-4
.LBB1154_8:                             ;   in Loop: Header=BB1154_4 Depth=1
	s_or_b64 exec, exec, s[4:5]
	s_waitcnt vmcnt(0)
	ds_write_b64 v23, v[2:3]
	s_waitcnt lgkmcnt(0)
	s_barrier
	s_and_saveexec_b64 s[4:5], s[6:7]
	s_cbranch_execz .LBB1154_3
; %bb.9:                                ;   in Loop: Header=BB1154_4 Depth=1
	ds_read2_b64 v[2:5], v22 offset1:32
	ds_read_b128 v[6:9], v20
	ds_read_b128 v[10:13], v20 offset:16
	s_waitcnt lgkmcnt(1)
	v_mul_f32_e32 v27, v3, v7
	v_fma_f32 v32, v2, v6, -v27
	ds_read2_b64 v[27:30], v22 offset0:64 offset1:96
	v_mul_f32_e32 v31, v2, v7
	v_mul_f32_e32 v2, v5, v9
	v_fma_f32 v33, v4, v8, -v2
	v_fmac_f32_e32 v31, v3, v6
	s_waitcnt lgkmcnt(0)
	v_mul_f32_e32 v2, v28, v11
	v_mul_f32_e32 v34, v4, v9
	v_fma_f32 v35, v27, v10, -v2
	v_mul_f32_e32 v27, v27, v11
	v_mul_f32_e32 v2, v30, v13
	v_fmac_f32_e32 v34, v5, v8
	v_fmac_f32_e32 v27, v28, v10
	v_fma_f32 v28, v29, v12, -v2
	v_mul_f32_e32 v29, v29, v13
	v_add_f32_e32 v10, 0, v32
	v_add_f32_e32 v11, 0, v31
	v_fmac_f32_e32 v29, v30, v12
	ds_read_b128 v[2:5], v20 offset:32
	ds_read_b128 v[6:9], v20 offset:48
	v_add_f32_e32 v30, v10, v33
	v_add_f32_e32 v31, v11, v34
	ds_read2_b64 v[10:13], v22 offset0:128 offset1:160
	v_add_f32_e32 v27, v31, v27
	v_add_f32_e32 v30, v30, v35
	;; [unrolled: 1-line block ×4, first 2 shown]
	s_waitcnt lgkmcnt(0)
	v_mul_f32_e32 v29, v11, v3
	v_mul_f32_e32 v3, v10, v3
	v_fma_f32 v29, v10, v2, -v29
	v_fmac_f32_e32 v3, v11, v2
	v_add_f32_e32 v2, v28, v29
	v_add_f32_e32 v3, v27, v3
	ds_read2_b64 v[27:30], v22 offset0:192 offset1:224
	v_mul_f32_e32 v10, v13, v5
	v_mul_f32_e32 v5, v12, v5
	v_fma_f32 v10, v12, v4, -v10
	v_fmac_f32_e32 v5, v13, v4
	s_waitcnt lgkmcnt(0)
	v_mul_f32_e32 v4, v28, v7
	v_add_f32_e32 v2, v2, v10
	v_add_f32_e32 v3, v3, v5
	v_fma_f32 v4, v27, v6, -v4
	v_mul_f32_e32 v5, v27, v7
	v_fmac_f32_e32 v5, v28, v6
	v_add_f32_e32 v6, v2, v4
	v_mul_f32_e32 v2, v30, v9
	v_add_f32_e32 v7, v3, v5
	v_fma_f32 v13, v29, v8, -v2
	v_mul_f32_e32 v27, v29, v9
	ds_read_b128 v[2:5], v20 offset:64
	ds_read2_b64 v[9:12], v24 offset1:32
	v_fmac_f32_e32 v27, v30, v8
	v_add_f32_e32 v6, v6, v13
	v_add_f32_e32 v7, v7, v27
	ds_read_b128 v[27:30], v20 offset:80
	s_waitcnt lgkmcnt(1)
	v_mul_f32_e32 v8, v10, v3
	v_fma_f32 v8, v9, v2, -v8
	v_mul_f32_e32 v3, v9, v3
	v_fmac_f32_e32 v3, v10, v2
	v_add_f32_e32 v2, v6, v8
	v_mul_f32_e32 v6, v12, v5
	v_add_f32_e32 v3, v7, v3
	v_fma_f32 v10, v11, v4, -v6
	ds_read2_b64 v[6:9], v24 offset0:64 offset1:96
	v_mul_f32_e32 v5, v11, v5
	v_fmac_f32_e32 v5, v12, v4
	v_add_f32_e32 v2, v2, v10
	v_add_f32_e32 v3, v3, v5
	s_waitcnt lgkmcnt(0)
	v_mul_f32_e32 v4, v7, v28
	v_fma_f32 v4, v6, v27, -v4
	v_mul_f32_e32 v5, v6, v28
	v_fmac_f32_e32 v5, v7, v27
	v_add_f32_e32 v6, v2, v4
	v_mul_f32_e32 v2, v9, v30
	v_add_f32_e32 v7, v3, v5
	v_fma_f32 v27, v8, v29, -v2
	ds_read_b128 v[2:5], v20 offset:96
	ds_read2_b64 v[10:13], v24 offset0:128 offset1:160
	v_mul_f32_e32 v8, v8, v30
	v_fmac_f32_e32 v8, v9, v29
	v_add_f32_e32 v27, v6, v27
	v_add_f32_e32 v28, v7, v8
	s_waitcnt lgkmcnt(0)
	v_mul_f32_e32 v29, v11, v3
	v_mul_f32_e32 v3, v10, v3
	v_fma_f32 v29, v10, v2, -v29
	v_fmac_f32_e32 v3, v11, v2
	ds_read_b128 v[6:9], v20 offset:112
	v_add_f32_e32 v2, v27, v29
	v_add_f32_e32 v3, v28, v3
	ds_read2_b64 v[27:30], v24 offset0:192 offset1:224
	v_mul_f32_e32 v10, v13, v5
	v_mul_f32_e32 v5, v12, v5
	v_fma_f32 v10, v12, v4, -v10
	v_fmac_f32_e32 v5, v13, v4
	s_waitcnt lgkmcnt(0)
	v_mul_f32_e32 v4, v28, v7
	v_add_f32_e32 v2, v2, v10
	v_add_f32_e32 v3, v3, v5
	v_fma_f32 v4, v27, v6, -v4
	v_mul_f32_e32 v5, v27, v7
	v_fmac_f32_e32 v5, v28, v6
	v_add_f32_e32 v6, v2, v4
	v_mul_f32_e32 v2, v30, v9
	v_add_f32_e32 v7, v3, v5
	v_fma_f32 v13, v29, v8, -v2
	v_mul_f32_e32 v27, v29, v9
	ds_read_b128 v[2:5], v20 offset:128
	ds_read2_b64 v[9:12], v25 offset1:32
	v_fmac_f32_e32 v27, v30, v8
	v_add_f32_e32 v6, v6, v13
	v_add_f32_e32 v7, v7, v27
	ds_read_b128 v[27:30], v20 offset:144
	s_waitcnt lgkmcnt(1)
	v_mul_f32_e32 v8, v10, v3
	v_fma_f32 v8, v9, v2, -v8
	v_mul_f32_e32 v3, v9, v3
	ds_read2_b64 v[31:34], v25 offset0:64 offset1:96
	v_fmac_f32_e32 v3, v10, v2
	v_add_f32_e32 v2, v6, v8
	v_mul_f32_e32 v6, v12, v5
	v_fma_f32 v6, v11, v4, -v6
	v_mul_f32_e32 v5, v11, v5
	v_add_f32_e32 v3, v7, v3
	v_fmac_f32_e32 v5, v12, v4
	v_add_f32_e32 v2, v2, v6
	ds_read_b128 v[6:9], v20 offset:160
	ds_read2_b64 v[10:13], v25 offset0:128 offset1:160
	v_add_f32_e32 v3, v3, v5
	s_waitcnt lgkmcnt(2)
	v_mul_f32_e32 v4, v32, v28
	v_mul_f32_e32 v5, v31, v28
	v_fma_f32 v4, v31, v27, -v4
	v_fmac_f32_e32 v5, v32, v27
	v_add_f32_e32 v2, v2, v4
	v_add_f32_e32 v3, v3, v5
	v_mul_f32_e32 v4, v34, v30
	v_mul_f32_e32 v5, v33, v30
	v_fma_f32 v4, v33, v29, -v4
	v_fmac_f32_e32 v5, v34, v29
	s_waitcnt lgkmcnt(0)
	v_mul_f32_e32 v29, v11, v7
	v_mul_f32_e32 v30, v10, v7
	v_fma_f32 v29, v10, v6, -v29
	v_fmac_f32_e32 v30, v11, v6
	v_mul_f32_e32 v6, v13, v9
	v_fma_f32 v31, v12, v8, -v6
	global_load_dwordx2 v[6:7], v[14:15], off
	v_mul_f32_e32 v12, v12, v9
	v_add_f32_e32 v27, v2, v4
	v_add_f32_e32 v28, v3, v5
	ds_read_b128 v[2:5], v20 offset:176
	v_fmac_f32_e32 v12, v13, v8
	ds_read2_b64 v[8:11], v25 offset0:192 offset1:224
	v_add_f32_e32 v13, v27, v29
	v_add_f32_e32 v27, v28, v30
	;; [unrolled: 1-line block ×4, first 2 shown]
	s_waitcnt lgkmcnt(0)
	v_mul_f32_e32 v27, v9, v3
	v_mul_f32_e32 v28, v8, v3
	v_fma_f32 v27, v8, v2, -v27
	v_fmac_f32_e32 v28, v9, v2
	v_mul_f32_e32 v2, v11, v5
	v_mul_f32_e32 v29, v10, v5
	v_add_f32_e32 v13, v13, v27
	v_fma_f32 v27, v10, v4, -v2
	v_fmac_f32_e32 v29, v11, v4
	ds_read_b128 v[2:5], v20 offset:192
	ds_read2_b64 v[8:11], v26 offset1:32
	v_add_f32_e32 v12, v12, v28
	v_add_f32_e32 v13, v13, v27
	;; [unrolled: 1-line block ×3, first 2 shown]
	ds_read_b128 v[27:30], v20 offset:208
	s_waitcnt lgkmcnt(1)
	v_mul_f32_e32 v31, v9, v3
	v_fma_f32 v31, v8, v2, -v31
	v_mul_f32_e32 v8, v8, v3
	v_fmac_f32_e32 v8, v9, v2
	v_mul_f32_e32 v2, v11, v5
	v_fma_f32 v9, v10, v4, -v2
	v_mul_f32_e32 v10, v10, v5
	v_fmac_f32_e32 v10, v11, v4
	ds_read2_b64 v[2:5], v26 offset0:64 offset1:96
	v_add_f32_e32 v8, v12, v8
	v_add_f32_e32 v11, v13, v31
	;; [unrolled: 1-line block ×4, first 2 shown]
	s_waitcnt lgkmcnt(0)
	v_mul_f32_e32 v8, v3, v28
	v_fma_f32 v8, v2, v27, -v8
	v_mul_f32_e32 v13, v2, v28
	v_mul_f32_e32 v2, v5, v30
	;; [unrolled: 1-line block ×3, first 2 shown]
	v_fmac_f32_e32 v13, v3, v27
	v_add_f32_e32 v27, v9, v8
	v_fma_f32 v28, v4, v29, -v2
	v_fmac_f32_e32 v30, v5, v29
	ds_read_b128 v[2:5], v20 offset:224
	ds_read2_b64 v[8:11], v26 offset0:128 offset1:160
	v_add_f32_e32 v12, v12, v13
	v_add_f32_e32 v13, v27, v28
	;; [unrolled: 1-line block ×3, first 2 shown]
	ds_read_b128 v[27:30], v20 offset:240
	s_waitcnt lgkmcnt(1)
	v_mul_f32_e32 v31, v9, v3
	v_fma_f32 v31, v8, v2, -v31
	v_mul_f32_e32 v8, v8, v3
	v_fmac_f32_e32 v8, v9, v2
	v_mul_f32_e32 v2, v11, v5
	v_fma_f32 v9, v10, v4, -v2
	v_mul_f32_e32 v10, v10, v5
	v_fmac_f32_e32 v10, v11, v4
	ds_read2_b64 v[2:5], v26 offset0:192 offset1:224
	v_add_f32_e32 v8, v12, v8
	v_add_f32_e32 v8, v8, v10
	;; [unrolled: 1-line block ×4, first 2 shown]
	s_waitcnt lgkmcnt(0)
	v_mul_f32_e32 v10, v3, v28
	v_fma_f32 v10, v2, v27, -v10
	v_mul_f32_e32 v2, v2, v28
	v_fmac_f32_e32 v2, v3, v27
	v_add_f32_e32 v2, v8, v2
	v_mul_f32_e32 v8, v5, v30
	v_fma_f32 v8, v4, v29, -v8
	v_mul_f32_e32 v4, v4, v30
	v_fmac_f32_e32 v4, v5, v29
	v_add_f32_e32 v3, v9, v10
	v_add_f32_e32 v2, v2, v4
	;; [unrolled: 1-line block ×3, first 2 shown]
	v_mul_f32_e32 v4, s11, v2
	v_fma_f32 v4, s10, v3, -v4
	v_mul_f32_e32 v3, s11, v3
	v_fmac_f32_e32 v3, s10, v2
	s_waitcnt vmcnt(0)
	v_add_f32_e32 v2, v6, v4
	v_add_f32_e32 v3, v7, v3
	global_store_dwordx2 v[14:15], v[2:3], off
	s_branch .LBB1154_3
.LBB1154_10:
	s_endpgm
	.section	.rodata,"a",@progbits
	.p2align	6, 0x0
	.amdhsa_kernel _ZL26rocblas_syr2k_her2k_kernelIlLb0ELb0ELb1ELi32EPK19rocblas_complex_numIfES3_PS1_EvbiT_T4_T5_S5_lS7_S5_lT6_S5_li
		.amdhsa_group_segment_fixed_size 16384
		.amdhsa_private_segment_fixed_size 0
		.amdhsa_kernarg_size 100
		.amdhsa_user_sgpr_count 6
		.amdhsa_user_sgpr_private_segment_buffer 1
		.amdhsa_user_sgpr_dispatch_ptr 0
		.amdhsa_user_sgpr_queue_ptr 0
		.amdhsa_user_sgpr_kernarg_segment_ptr 1
		.amdhsa_user_sgpr_dispatch_id 0
		.amdhsa_user_sgpr_flat_scratch_init 0
		.amdhsa_user_sgpr_private_segment_size 0
		.amdhsa_uses_dynamic_stack 0
		.amdhsa_system_sgpr_private_segment_wavefront_offset 0
		.amdhsa_system_sgpr_workgroup_id_x 1
		.amdhsa_system_sgpr_workgroup_id_y 1
		.amdhsa_system_sgpr_workgroup_id_z 1
		.amdhsa_system_sgpr_workgroup_info 0
		.amdhsa_system_vgpr_workitem_id 1
		.amdhsa_next_free_vgpr 36
		.amdhsa_next_free_sgpr 61
		.amdhsa_reserve_vcc 1
		.amdhsa_reserve_flat_scratch 0
		.amdhsa_float_round_mode_32 0
		.amdhsa_float_round_mode_16_64 0
		.amdhsa_float_denorm_mode_32 3
		.amdhsa_float_denorm_mode_16_64 3
		.amdhsa_dx10_clamp 1
		.amdhsa_ieee_mode 1
		.amdhsa_fp16_overflow 0
		.amdhsa_exception_fp_ieee_invalid_op 0
		.amdhsa_exception_fp_denorm_src 0
		.amdhsa_exception_fp_ieee_div_zero 0
		.amdhsa_exception_fp_ieee_overflow 0
		.amdhsa_exception_fp_ieee_underflow 0
		.amdhsa_exception_fp_ieee_inexact 0
		.amdhsa_exception_int_div_zero 0
	.end_amdhsa_kernel
	.section	.text._ZL26rocblas_syr2k_her2k_kernelIlLb0ELb0ELb1ELi32EPK19rocblas_complex_numIfES3_PS1_EvbiT_T4_T5_S5_lS7_S5_lT6_S5_li,"axG",@progbits,_ZL26rocblas_syr2k_her2k_kernelIlLb0ELb0ELb1ELi32EPK19rocblas_complex_numIfES3_PS1_EvbiT_T4_T5_S5_lS7_S5_lT6_S5_li,comdat
.Lfunc_end1154:
	.size	_ZL26rocblas_syr2k_her2k_kernelIlLb0ELb0ELb1ELi32EPK19rocblas_complex_numIfES3_PS1_EvbiT_T4_T5_S5_lS7_S5_lT6_S5_li, .Lfunc_end1154-_ZL26rocblas_syr2k_her2k_kernelIlLb0ELb0ELb1ELi32EPK19rocblas_complex_numIfES3_PS1_EvbiT_T4_T5_S5_lS7_S5_lT6_S5_li
                                        ; -- End function
	.set _ZL26rocblas_syr2k_her2k_kernelIlLb0ELb0ELb1ELi32EPK19rocblas_complex_numIfES3_PS1_EvbiT_T4_T5_S5_lS7_S5_lT6_S5_li.num_vgpr, 36
	.set _ZL26rocblas_syr2k_her2k_kernelIlLb0ELb0ELb1ELi32EPK19rocblas_complex_numIfES3_PS1_EvbiT_T4_T5_S5_lS7_S5_lT6_S5_li.num_agpr, 0
	.set _ZL26rocblas_syr2k_her2k_kernelIlLb0ELb0ELb1ELi32EPK19rocblas_complex_numIfES3_PS1_EvbiT_T4_T5_S5_lS7_S5_lT6_S5_li.numbered_sgpr, 32
	.set _ZL26rocblas_syr2k_her2k_kernelIlLb0ELb0ELb1ELi32EPK19rocblas_complex_numIfES3_PS1_EvbiT_T4_T5_S5_lS7_S5_lT6_S5_li.num_named_barrier, 0
	.set _ZL26rocblas_syr2k_her2k_kernelIlLb0ELb0ELb1ELi32EPK19rocblas_complex_numIfES3_PS1_EvbiT_T4_T5_S5_lS7_S5_lT6_S5_li.private_seg_size, 0
	.set _ZL26rocblas_syr2k_her2k_kernelIlLb0ELb0ELb1ELi32EPK19rocblas_complex_numIfES3_PS1_EvbiT_T4_T5_S5_lS7_S5_lT6_S5_li.uses_vcc, 1
	.set _ZL26rocblas_syr2k_her2k_kernelIlLb0ELb0ELb1ELi32EPK19rocblas_complex_numIfES3_PS1_EvbiT_T4_T5_S5_lS7_S5_lT6_S5_li.uses_flat_scratch, 0
	.set _ZL26rocblas_syr2k_her2k_kernelIlLb0ELb0ELb1ELi32EPK19rocblas_complex_numIfES3_PS1_EvbiT_T4_T5_S5_lS7_S5_lT6_S5_li.has_dyn_sized_stack, 0
	.set _ZL26rocblas_syr2k_her2k_kernelIlLb0ELb0ELb1ELi32EPK19rocblas_complex_numIfES3_PS1_EvbiT_T4_T5_S5_lS7_S5_lT6_S5_li.has_recursion, 0
	.set _ZL26rocblas_syr2k_her2k_kernelIlLb0ELb0ELb1ELi32EPK19rocblas_complex_numIfES3_PS1_EvbiT_T4_T5_S5_lS7_S5_lT6_S5_li.has_indirect_call, 0
	.section	.AMDGPU.csdata,"",@progbits
; Kernel info:
; codeLenInByte = 2036
; TotalNumSgprs: 36
; NumVgprs: 36
; ScratchSize: 0
; MemoryBound: 0
; FloatMode: 240
; IeeeMode: 1
; LDSByteSize: 16384 bytes/workgroup (compile time only)
; SGPRBlocks: 8
; VGPRBlocks: 8
; NumSGPRsForWavesPerEU: 65
; NumVGPRsForWavesPerEU: 36
; Occupancy: 7
; WaveLimiterHint : 0
; COMPUTE_PGM_RSRC2:SCRATCH_EN: 0
; COMPUTE_PGM_RSRC2:USER_SGPR: 6
; COMPUTE_PGM_RSRC2:TRAP_HANDLER: 0
; COMPUTE_PGM_RSRC2:TGID_X_EN: 1
; COMPUTE_PGM_RSRC2:TGID_Y_EN: 1
; COMPUTE_PGM_RSRC2:TGID_Z_EN: 1
; COMPUTE_PGM_RSRC2:TIDIG_COMP_CNT: 1
	.section	.text._ZL26rocblas_syr2k_her2k_kernelIlLb0ELb0ELb0ELi32E19rocblas_complex_numIdEPKS1_PS1_EvbiT_T4_T5_S5_lS7_S5_lT6_S5_li,"axG",@progbits,_ZL26rocblas_syr2k_her2k_kernelIlLb0ELb0ELb0ELi32E19rocblas_complex_numIdEPKS1_PS1_EvbiT_T4_T5_S5_lS7_S5_lT6_S5_li,comdat
	.globl	_ZL26rocblas_syr2k_her2k_kernelIlLb0ELb0ELb0ELi32E19rocblas_complex_numIdEPKS1_PS1_EvbiT_T4_T5_S5_lS7_S5_lT6_S5_li ; -- Begin function _ZL26rocblas_syr2k_her2k_kernelIlLb0ELb0ELb0ELi32E19rocblas_complex_numIdEPKS1_PS1_EvbiT_T4_T5_S5_lS7_S5_lT6_S5_li
	.p2align	8
	.type	_ZL26rocblas_syr2k_her2k_kernelIlLb0ELb0ELb0ELi32E19rocblas_complex_numIdEPKS1_PS1_EvbiT_T4_T5_S5_lS7_S5_lT6_S5_li,@function
_ZL26rocblas_syr2k_her2k_kernelIlLb0ELb0ELb0ELi32E19rocblas_complex_numIdEPKS1_PS1_EvbiT_T4_T5_S5_lS7_S5_lT6_S5_li: ; @_ZL26rocblas_syr2k_her2k_kernelIlLb0ELb0ELb0ELi32E19rocblas_complex_numIdEPKS1_PS1_EvbiT_T4_T5_S5_lS7_S5_lT6_S5_li
; %bb.0:
	s_load_dwordx16 s[12:27], s[4:5], 0x8
	s_waitcnt lgkmcnt(0)
	v_cmp_eq_f64_e64 s[0:1], s[14:15], 0
	v_cmp_eq_f64_e64 s[2:3], s[16:17], 0
	s_and_b64 s[0:1], s[0:1], s[2:3]
	s_and_b64 vcc, exec, s[0:1]
	s_cbranch_vccnz .LBB1155_10
; %bb.1:
	s_load_dwordx2 s[10:11], s[4:5], 0x0
	s_lshl_b32 s2, s7, 5
	s_lshl_b32 s3, s6, 5
	s_waitcnt lgkmcnt(0)
	s_and_b32 s0, 1, s10
	s_cmp_eq_u32 s0, 1
	s_cselect_b64 s[0:1], -1, 0
	s_and_b64 s[6:7], s[0:1], exec
	s_cselect_b32 s6, s3, s2
	s_cselect_b32 s7, s2, s3
	s_cmp_gt_i32 s6, s7
	v_cmp_lt_i64_e64 s[6:7], s[12:13], 1
	s_cselect_b64 s[28:29], -1, 0
	s_or_b64 s[6:7], s[28:29], s[6:7]
	s_and_b64 vcc, exec, s[6:7]
	s_cbranch_vccnz .LBB1155_10
; %bb.2:
	s_load_dwordx8 s[36:43], s[4:5], 0x48
	v_add_u32_e32 v2, s2, v1
	v_lshlrev_b32_e32 v14, 9, v0
	v_lshlrev_b32_e32 v6, 4, v1
	v_add_u32_e32 v4, s3, v0
	s_waitcnt lgkmcnt(0)
	s_mul_i32 s3, s43, s8
	s_mul_hi_u32 s4, s42, s8
	v_add_u32_e32 v15, v14, v6
	v_or_b32_e32 v16, 0x4000, v6
	v_ashrrev_i32_e32 v6, 31, v2
	s_add_i32 s3, s4, s3
	v_mul_lo_u32 v11, s40, v6
	v_mul_lo_u32 v12, s41, v2
	v_mad_u64_u32 v[6:7], s[4:5], s40, v2, 0
	s_mul_i32 s2, s42, s8
	s_lshl_b64 s[2:3], s[2:3], 4
	v_add3_u32 v7, v7, v11, v12
	s_add_u32 s9, s38, s2
	v_cndmask_b32_e64 v8, v4, v2, s[0:1]
	v_cndmask_b32_e64 v9, v2, v4, s[0:1]
	v_max_i32_e32 v10, v4, v2
	v_lshlrev_b64 v[6:7], 4, v[6:7]
	s_addc_u32 s10, s39, s3
	v_cmp_gt_i32_e32 vcc, s11, v10
	v_cmp_le_i32_e64 s[4:5], v9, v8
	s_and_b64 s[6:7], s[4:5], vcc
	v_mov_b32_e32 v10, s10
	v_add_co_u32_e32 v12, vcc, s9, v6
	v_addc_co_u32_e32 v13, vcc, v10, v7, vcc
	v_mad_u64_u32 v[10:11], s[4:5], s26, v0, 0
	v_ashrrev_i32_e32 v9, 31, v4
	v_mov_b32_e32 v8, v4
	v_lshlrev_b64 v[6:7], 4, v[8:9]
	s_mul_i32 s9, s37, s8
	v_add_co_u32_e32 v8, vcc, v12, v6
	v_mov_b32_e32 v6, v11
	v_addc_co_u32_e32 v9, vcc, v13, v7, vcc
	v_mad_u64_u32 v[6:7], s[4:5], s27, v0, v[6:7]
	s_mul_hi_u32 s10, s36, s8
	v_mov_b32_e32 v5, 0
	v_mov_b32_e32 v11, v6
	s_add_i32 s5, s10, s9
	s_mul_i32 s4, s36, s8
	v_lshlrev_b64 v[6:7], 4, v[10:11]
	s_ashr_i32 s3, s11, 31
	s_mov_b32 s2, s11
	v_mov_b32_e32 v3, v5
	s_lshl_b64 s[4:5], s[4:5], 4
	v_cmp_gt_i64_e64 s[0:1], s[2:3], v[4:5]
	v_cmp_gt_i64_e64 s[2:3], s[2:3], v[2:3]
	v_mov_b32_e32 v10, s5
	v_add_co_u32_e32 v6, vcc, s4, v6
	v_lshlrev_b64 v[2:3], 4, v[2:3]
	v_addc_co_u32_e32 v7, vcc, v10, v7, vcc
	v_add_co_u32_e32 v2, vcc, v6, v2
	v_addc_co_u32_e32 v3, vcc, v7, v3, vcc
	v_mov_b32_e32 v6, s25
	v_add_co_u32_e32 v2, vcc, s24, v2
	v_addc_co_u32_e32 v3, vcc, v6, v3, vcc
	v_add_co_u32_e32 v10, vcc, 8, v2
	v_addc_co_u32_e32 v11, vcc, 0, v3, vcc
	v_mad_u64_u32 v[2:3], s[4:5], s20, v1, 0
	s_mul_i32 s9, s23, s8
	s_mul_hi_u32 s23, s22, s8
	v_mad_u64_u32 v[6:7], s[4:5], s21, v1, v[3:4]
	s_add_i32 s5, s23, s9
	s_mul_i32 s4, s22, s8
	v_mov_b32_e32 v3, v6
	v_lshlrev_b64 v[2:3], 4, v[2:3]
	s_lshl_b64 s[4:5], s[4:5], 4
	v_mov_b32_e32 v6, s5
	v_add_co_u32_e32 v7, vcc, s4, v2
	v_addc_co_u32_e32 v6, vcc, v6, v3, vcc
	v_lshlrev_b64 v[2:3], 4, v[4:5]
	v_mov_b32_e32 v4, s19
	v_add_co_u32_e32 v2, vcc, v7, v2
	v_addc_co_u32_e32 v3, vcc, v6, v3, vcc
	v_add_co_u32_e32 v2, vcc, s18, v2
	v_addc_co_u32_e32 v3, vcc, v4, v3, vcc
	v_add_co_u32_e32 v12, vcc, 8, v2
	v_add_u32_e32 v17, v16, v14
	s_lshl_b64 s[10:11], s[26:27], 9
	v_addc_co_u32_e32 v13, vcc, 0, v3, vcc
	s_lshl_b64 s[8:9], s[20:21], 9
	s_mov_b64 s[18:19], 0
	s_branch .LBB1155_4
.LBB1155_3:                             ;   in Loop: Header=BB1155_4 Depth=1
	s_or_b64 exec, exec, s[4:5]
	v_mov_b32_e32 v2, s11
	v_add_co_u32_e32 v10, vcc, s10, v10
	s_add_u32 s18, s18, 32
	v_addc_co_u32_e32 v11, vcc, v11, v2, vcc
	v_mov_b32_e32 v2, s12
	s_addc_u32 s19, s19, 0
	v_mov_b32_e32 v3, s13
	v_cmp_lt_i64_e32 vcc, s[18:19], v[2:3]
	v_mov_b32_e32 v4, s9
	v_add_co_u32_e64 v12, s[4:5], s8, v12
	v_addc_co_u32_e64 v13, s[4:5], v13, v4, s[4:5]
	s_waitcnt vmcnt(0)
	s_barrier
	s_cbranch_vccz .LBB1155_10
.LBB1155_4:                             ; =>This Inner Loop Header: Depth=1
	v_mov_b32_e32 v3, s19
	v_add_co_u32_e32 v2, vcc, s18, v1
	v_addc_co_u32_e32 v3, vcc, 0, v3, vcc
	v_cmp_gt_i64_e32 vcc, s[12:13], v[2:3]
	v_mov_b32_e32 v2, 0
	v_mov_b32_e32 v4, 0
	v_mov_b32_e32 v6, 0
	v_mov_b32_e32 v3, 0
	v_mov_b32_e32 v5, 0
	v_mov_b32_e32 v7, 0
	s_and_b64 s[20:21], s[0:1], vcc
	s_and_saveexec_b64 s[4:5], s[20:21]
	s_cbranch_execz .LBB1155_6
; %bb.5:                                ;   in Loop: Header=BB1155_4 Depth=1
	global_load_dwordx4 v[4:7], v[12:13], off offset:-8
.LBB1155_6:                             ;   in Loop: Header=BB1155_4 Depth=1
	s_or_b64 exec, exec, s[4:5]
	s_waitcnt vmcnt(0)
	ds_write_b128 v15, v[4:7]
	v_mov_b32_e32 v5, s19
	v_add_co_u32_e32 v4, vcc, s18, v0
	v_addc_co_u32_e32 v5, vcc, 0, v5, vcc
	v_cmp_gt_i64_e32 vcc, s[12:13], v[4:5]
	v_mov_b32_e32 v4, 0
	v_mov_b32_e32 v5, 0
	s_and_b64 s[20:21], s[2:3], vcc
	s_and_saveexec_b64 s[4:5], s[20:21]
	s_cbranch_execz .LBB1155_8
; %bb.7:                                ;   in Loop: Header=BB1155_4 Depth=1
	global_load_dwordx4 v[2:5], v[10:11], off offset:-8
.LBB1155_8:                             ;   in Loop: Header=BB1155_4 Depth=1
	s_or_b64 exec, exec, s[4:5]
	s_waitcnt vmcnt(0)
	ds_write_b128 v17, v[2:5]
	s_waitcnt lgkmcnt(0)
	s_barrier
	s_and_saveexec_b64 s[4:5], s[6:7]
	s_cbranch_execz .LBB1155_3
; %bb.9:                                ;   in Loop: Header=BB1155_4 Depth=1
	ds_read_b128 v[18:21], v16
	ds_read_b128 v[22:25], v14
	ds_read_b128 v[26:29], v14 offset:16
	ds_read_b128 v[30:33], v14 offset:32
	;; [unrolled: 1-line block ×3, first 2 shown]
	s_waitcnt lgkmcnt(3)
	v_mul_f64 v[6:7], v[20:21], v[24:25]
	v_fma_f64 v[6:7], v[18:19], v[22:23], -v[6:7]
	v_mul_f64 v[18:19], v[18:19], v[24:25]
	v_add_f64 v[6:7], v[6:7], 0
	v_fma_f64 v[18:19], v[20:21], v[22:23], v[18:19]
	v_add_f64 v[22:23], v[18:19], 0
	ds_read_b128 v[18:21], v16 offset:512
	s_waitcnt lgkmcnt(0)
	v_mul_f64 v[24:25], v[20:21], v[28:29]
	v_fma_f64 v[24:25], v[18:19], v[26:27], -v[24:25]
	v_mul_f64 v[18:19], v[18:19], v[28:29]
	v_add_f64 v[6:7], v[6:7], v[24:25]
	v_fma_f64 v[18:19], v[20:21], v[26:27], v[18:19]
	v_add_f64 v[22:23], v[22:23], v[18:19]
	ds_read_b128 v[18:21], v16 offset:1024
	;; [unrolled: 8-line block ×3, first 2 shown]
	s_waitcnt lgkmcnt(0)
	v_mul_f64 v[24:25], v[20:21], v[4:5]
	v_mul_f64 v[4:5], v[18:19], v[4:5]
	v_fma_f64 v[24:25], v[18:19], v[2:3], -v[24:25]
	v_fma_f64 v[2:3], v[20:21], v[2:3], v[4:5]
	v_add_f64 v[6:7], v[6:7], v[24:25]
	v_add_f64 v[22:23], v[22:23], v[2:3]
	ds_read_b128 v[2:5], v16 offset:2048
	ds_read_b128 v[18:21], v14 offset:64
	s_waitcnt lgkmcnt(0)
	v_mul_f64 v[24:25], v[4:5], v[20:21]
	v_fma_f64 v[24:25], v[2:3], v[18:19], -v[24:25]
	v_mul_f64 v[2:3], v[2:3], v[20:21]
	v_add_f64 v[6:7], v[6:7], v[24:25]
	v_fma_f64 v[2:3], v[4:5], v[18:19], v[2:3]
	v_add_f64 v[22:23], v[22:23], v[2:3]
	ds_read_b128 v[2:5], v16 offset:2560
	ds_read_b128 v[18:21], v14 offset:80
	s_waitcnt lgkmcnt(0)
	v_mul_f64 v[24:25], v[4:5], v[20:21]
	v_fma_f64 v[24:25], v[2:3], v[18:19], -v[24:25]
	v_mul_f64 v[2:3], v[2:3], v[20:21]
	v_add_f64 v[6:7], v[6:7], v[24:25]
	v_fma_f64 v[2:3], v[4:5], v[18:19], v[2:3]
	;; [unrolled: 9-line block ×27, first 2 shown]
	v_add_f64 v[22:23], v[22:23], v[2:3]
	ds_read_b128 v[2:5], v16 offset:15872
	ds_read_b128 v[18:21], v14 offset:496
	s_waitcnt lgkmcnt(0)
	v_mul_f64 v[24:25], v[4:5], v[20:21]
	v_fma_f64 v[24:25], v[2:3], v[18:19], -v[24:25]
	v_mul_f64 v[2:3], v[2:3], v[20:21]
	v_fma_f64 v[2:3], v[4:5], v[18:19], v[2:3]
	global_load_dwordx4 v[18:21], v[8:9], off
	v_add_f64 v[4:5], v[6:7], v[24:25]
	v_add_f64 v[6:7], v[22:23], v[2:3]
	v_mul_f64 v[2:3], s[16:17], v[6:7]
	v_fma_f64 v[2:3], s[14:15], v[4:5], -v[2:3]
	v_mul_f64 v[4:5], s[16:17], v[4:5]
	v_fma_f64 v[4:5], s[14:15], v[6:7], v[4:5]
	s_waitcnt vmcnt(0)
	v_add_f64 v[2:3], v[18:19], v[2:3]
	v_add_f64 v[4:5], v[20:21], v[4:5]
	global_store_dwordx4 v[8:9], v[2:5], off
	s_branch .LBB1155_3
.LBB1155_10:
	s_endpgm
	.section	.rodata,"a",@progbits
	.p2align	6, 0x0
	.amdhsa_kernel _ZL26rocblas_syr2k_her2k_kernelIlLb0ELb0ELb0ELi32E19rocblas_complex_numIdEPKS1_PS1_EvbiT_T4_T5_S5_lS7_S5_lT6_S5_li
		.amdhsa_group_segment_fixed_size 32768
		.amdhsa_private_segment_fixed_size 0
		.amdhsa_kernarg_size 108
		.amdhsa_user_sgpr_count 6
		.amdhsa_user_sgpr_private_segment_buffer 1
		.amdhsa_user_sgpr_dispatch_ptr 0
		.amdhsa_user_sgpr_queue_ptr 0
		.amdhsa_user_sgpr_kernarg_segment_ptr 1
		.amdhsa_user_sgpr_dispatch_id 0
		.amdhsa_user_sgpr_flat_scratch_init 0
		.amdhsa_user_sgpr_private_segment_size 0
		.amdhsa_uses_dynamic_stack 0
		.amdhsa_system_sgpr_private_segment_wavefront_offset 0
		.amdhsa_system_sgpr_workgroup_id_x 1
		.amdhsa_system_sgpr_workgroup_id_y 1
		.amdhsa_system_sgpr_workgroup_id_z 1
		.amdhsa_system_sgpr_workgroup_info 0
		.amdhsa_system_vgpr_workitem_id 1
		.amdhsa_next_free_vgpr 34
		.amdhsa_next_free_sgpr 61
		.amdhsa_reserve_vcc 1
		.amdhsa_reserve_flat_scratch 0
		.amdhsa_float_round_mode_32 0
		.amdhsa_float_round_mode_16_64 0
		.amdhsa_float_denorm_mode_32 3
		.amdhsa_float_denorm_mode_16_64 3
		.amdhsa_dx10_clamp 1
		.amdhsa_ieee_mode 1
		.amdhsa_fp16_overflow 0
		.amdhsa_exception_fp_ieee_invalid_op 0
		.amdhsa_exception_fp_denorm_src 0
		.amdhsa_exception_fp_ieee_div_zero 0
		.amdhsa_exception_fp_ieee_overflow 0
		.amdhsa_exception_fp_ieee_underflow 0
		.amdhsa_exception_fp_ieee_inexact 0
		.amdhsa_exception_int_div_zero 0
	.end_amdhsa_kernel
	.section	.text._ZL26rocblas_syr2k_her2k_kernelIlLb0ELb0ELb0ELi32E19rocblas_complex_numIdEPKS1_PS1_EvbiT_T4_T5_S5_lS7_S5_lT6_S5_li,"axG",@progbits,_ZL26rocblas_syr2k_her2k_kernelIlLb0ELb0ELb0ELi32E19rocblas_complex_numIdEPKS1_PS1_EvbiT_T4_T5_S5_lS7_S5_lT6_S5_li,comdat
.Lfunc_end1155:
	.size	_ZL26rocblas_syr2k_her2k_kernelIlLb0ELb0ELb0ELi32E19rocblas_complex_numIdEPKS1_PS1_EvbiT_T4_T5_S5_lS7_S5_lT6_S5_li, .Lfunc_end1155-_ZL26rocblas_syr2k_her2k_kernelIlLb0ELb0ELb0ELi32E19rocblas_complex_numIdEPKS1_PS1_EvbiT_T4_T5_S5_lS7_S5_lT6_S5_li
                                        ; -- End function
	.set _ZL26rocblas_syr2k_her2k_kernelIlLb0ELb0ELb0ELi32E19rocblas_complex_numIdEPKS1_PS1_EvbiT_T4_T5_S5_lS7_S5_lT6_S5_li.num_vgpr, 34
	.set _ZL26rocblas_syr2k_her2k_kernelIlLb0ELb0ELb0ELi32E19rocblas_complex_numIdEPKS1_PS1_EvbiT_T4_T5_S5_lS7_S5_lT6_S5_li.num_agpr, 0
	.set _ZL26rocblas_syr2k_her2k_kernelIlLb0ELb0ELb0ELi32E19rocblas_complex_numIdEPKS1_PS1_EvbiT_T4_T5_S5_lS7_S5_lT6_S5_li.numbered_sgpr, 44
	.set _ZL26rocblas_syr2k_her2k_kernelIlLb0ELb0ELb0ELi32E19rocblas_complex_numIdEPKS1_PS1_EvbiT_T4_T5_S5_lS7_S5_lT6_S5_li.num_named_barrier, 0
	.set _ZL26rocblas_syr2k_her2k_kernelIlLb0ELb0ELb0ELi32E19rocblas_complex_numIdEPKS1_PS1_EvbiT_T4_T5_S5_lS7_S5_lT6_S5_li.private_seg_size, 0
	.set _ZL26rocblas_syr2k_her2k_kernelIlLb0ELb0ELb0ELi32E19rocblas_complex_numIdEPKS1_PS1_EvbiT_T4_T5_S5_lS7_S5_lT6_S5_li.uses_vcc, 1
	.set _ZL26rocblas_syr2k_her2k_kernelIlLb0ELb0ELb0ELi32E19rocblas_complex_numIdEPKS1_PS1_EvbiT_T4_T5_S5_lS7_S5_lT6_S5_li.uses_flat_scratch, 0
	.set _ZL26rocblas_syr2k_her2k_kernelIlLb0ELb0ELb0ELi32E19rocblas_complex_numIdEPKS1_PS1_EvbiT_T4_T5_S5_lS7_S5_lT6_S5_li.has_dyn_sized_stack, 0
	.set _ZL26rocblas_syr2k_her2k_kernelIlLb0ELb0ELb0ELi32E19rocblas_complex_numIdEPKS1_PS1_EvbiT_T4_T5_S5_lS7_S5_lT6_S5_li.has_recursion, 0
	.set _ZL26rocblas_syr2k_her2k_kernelIlLb0ELb0ELb0ELi32E19rocblas_complex_numIdEPKS1_PS1_EvbiT_T4_T5_S5_lS7_S5_lT6_S5_li.has_indirect_call, 0
	.section	.AMDGPU.csdata,"",@progbits
; Kernel info:
; codeLenInByte = 3016
; TotalNumSgprs: 48
; NumVgprs: 34
; ScratchSize: 0
; MemoryBound: 1
; FloatMode: 240
; IeeeMode: 1
; LDSByteSize: 32768 bytes/workgroup (compile time only)
; SGPRBlocks: 8
; VGPRBlocks: 8
; NumSGPRsForWavesPerEU: 65
; NumVGPRsForWavesPerEU: 34
; Occupancy: 7
; WaveLimiterHint : 0
; COMPUTE_PGM_RSRC2:SCRATCH_EN: 0
; COMPUTE_PGM_RSRC2:USER_SGPR: 6
; COMPUTE_PGM_RSRC2:TRAP_HANDLER: 0
; COMPUTE_PGM_RSRC2:TGID_X_EN: 1
; COMPUTE_PGM_RSRC2:TGID_Y_EN: 1
; COMPUTE_PGM_RSRC2:TGID_Z_EN: 1
; COMPUTE_PGM_RSRC2:TIDIG_COMP_CNT: 1
	.section	.text._ZL26rocblas_syr2k_her2k_kernelIlLb0ELb0ELb1ELi32E19rocblas_complex_numIdEPKS1_PS1_EvbiT_T4_T5_S5_lS7_S5_lT6_S5_li,"axG",@progbits,_ZL26rocblas_syr2k_her2k_kernelIlLb0ELb0ELb1ELi32E19rocblas_complex_numIdEPKS1_PS1_EvbiT_T4_T5_S5_lS7_S5_lT6_S5_li,comdat
	.globl	_ZL26rocblas_syr2k_her2k_kernelIlLb0ELb0ELb1ELi32E19rocblas_complex_numIdEPKS1_PS1_EvbiT_T4_T5_S5_lS7_S5_lT6_S5_li ; -- Begin function _ZL26rocblas_syr2k_her2k_kernelIlLb0ELb0ELb1ELi32E19rocblas_complex_numIdEPKS1_PS1_EvbiT_T4_T5_S5_lS7_S5_lT6_S5_li
	.p2align	8
	.type	_ZL26rocblas_syr2k_her2k_kernelIlLb0ELb0ELb1ELi32E19rocblas_complex_numIdEPKS1_PS1_EvbiT_T4_T5_S5_lS7_S5_lT6_S5_li,@function
_ZL26rocblas_syr2k_her2k_kernelIlLb0ELb0ELb1ELi32E19rocblas_complex_numIdEPKS1_PS1_EvbiT_T4_T5_S5_lS7_S5_lT6_S5_li: ; @_ZL26rocblas_syr2k_her2k_kernelIlLb0ELb0ELb1ELi32E19rocblas_complex_numIdEPKS1_PS1_EvbiT_T4_T5_S5_lS7_S5_lT6_S5_li
; %bb.0:
	s_load_dwordx16 s[12:27], s[4:5], 0x8
	s_waitcnt lgkmcnt(0)
	v_cmp_eq_f64_e64 s[0:1], s[14:15], 0
	v_cmp_eq_f64_e64 s[2:3], s[16:17], 0
	s_and_b64 s[0:1], s[0:1], s[2:3]
	s_and_b64 vcc, exec, s[0:1]
	s_cbranch_vccnz .LBB1156_10
; %bb.1:
	s_load_dwordx2 s[10:11], s[4:5], 0x0
	s_lshl_b32 s2, s7, 5
	s_lshl_b32 s3, s6, 5
	s_waitcnt lgkmcnt(0)
	s_and_b32 s0, 1, s10
	s_cmp_eq_u32 s0, 1
	s_cselect_b64 s[0:1], -1, 0
	s_and_b64 s[6:7], s[0:1], exec
	s_cselect_b32 s6, s3, s2
	s_cselect_b32 s7, s2, s3
	s_cmp_gt_i32 s6, s7
	v_cmp_lt_i64_e64 s[6:7], s[12:13], 1
	s_cselect_b64 s[28:29], -1, 0
	s_or_b64 s[6:7], s[28:29], s[6:7]
	s_and_b64 vcc, exec, s[6:7]
	s_cbranch_vccnz .LBB1156_10
; %bb.2:
	s_load_dwordx8 s[36:43], s[4:5], 0x48
	v_add_u32_e32 v4, s3, v0
	v_add_u32_e32 v2, s2, v1
	v_mov_b32_e32 v5, 0
	v_cndmask_b32_e64 v8, v4, v2, s[0:1]
	s_waitcnt lgkmcnt(0)
	s_mul_i32 s3, s43, s8
	s_mul_hi_u32 s4, s42, s8
	s_mul_i32 s2, s42, s8
	s_add_i32 s3, s4, s3
	s_lshl_b64 s[2:3], s[2:3], 4
	s_add_u32 s9, s38, s2
	s_addc_u32 s10, s39, s3
	s_ashr_i32 s3, s11, 31
	s_mov_b32 s2, s11
	v_cndmask_b32_e64 v9, v2, v4, s[0:1]
	v_cmp_gt_i64_e64 s[0:1], s[2:3], v[4:5]
	v_mov_b32_e32 v3, v5
	v_ashrrev_i32_e32 v5, 31, v2
	v_mul_lo_u32 v5, s40, v5
	v_mul_lo_u32 v10, s41, v2
	v_mad_u64_u32 v[6:7], s[4:5], s40, v2, 0
	v_cmp_gt_i64_e64 s[2:3], s[2:3], v[2:3]
	v_max_i32_e32 v3, v4, v2
	v_add3_u32 v7, v7, v5, v10
	v_cmp_gt_i32_e32 vcc, s11, v3
	v_cmp_le_i32_e64 s[4:5], v9, v8
	v_lshlrev_b64 v[6:7], 4, v[6:7]
	s_and_b64 s[6:7], s[4:5], vcc
	v_ashrrev_i32_e32 v5, 31, v4
	v_mad_u64_u32 v[10:11], s[4:5], s26, v2, 0
	v_mov_b32_e32 v3, s10
	v_add_co_u32_e32 v8, vcc, s9, v6
	v_lshlrev_b64 v[5:6], 4, v[4:5]
	v_addc_co_u32_e32 v3, vcc, v3, v7, vcc
	v_add_co_u32_e32 v8, vcc, v8, v5
	v_addc_co_u32_e32 v9, vcc, v3, v6, vcc
	v_mov_b32_e32 v3, v11
	v_mad_u64_u32 v[2:3], s[4:5], s27, v2, v[3:4]
	s_mul_i32 s9, s37, s8
	s_mul_hi_u32 s10, s36, s8
	v_mov_b32_e32 v11, v2
	s_add_i32 s5, s10, s9
	s_mul_i32 s4, s36, s8
	v_lshlrev_b64 v[2:3], 4, v[10:11]
	s_lshl_b64 s[4:5], s[4:5], 4
	v_mov_b32_e32 v5, s5
	v_add_co_u32_e32 v2, vcc, s4, v2
	v_addc_co_u32_e32 v3, vcc, v5, v3, vcc
	v_lshlrev_b32_e32 v5, 4, v0
	v_add_co_u32_e32 v2, vcc, v2, v5
	v_addc_co_u32_e32 v3, vcc, 0, v3, vcc
	v_mov_b32_e32 v5, s25
	v_add_co_u32_e32 v6, vcc, s24, v2
	v_addc_co_u32_e32 v5, vcc, v5, v3, vcc
	v_mad_u64_u32 v[2:3], s[4:5], s20, v4, 0
	s_mul_i32 s9, s23, s8
	s_mul_hi_u32 s10, s22, s8
	v_mad_u64_u32 v[3:4], s[4:5], s21, v4, v[3:4]
	v_add_co_u32_e32 v10, vcc, 8, v6
	s_add_i32 s5, s10, s9
	s_mul_i32 s4, s22, s8
	v_lshlrev_b64 v[2:3], 4, v[2:3]
	v_addc_co_u32_e32 v11, vcc, 0, v5, vcc
	s_lshl_b64 s[4:5], s[4:5], 4
	v_mov_b32_e32 v4, s5
	v_add_co_u32_e32 v2, vcc, s4, v2
	v_lshlrev_b32_e32 v12, 4, v1
	v_addc_co_u32_e32 v3, vcc, v4, v3, vcc
	v_add_co_u32_e32 v2, vcc, v2, v12
	v_addc_co_u32_e32 v3, vcc, 0, v3, vcc
	v_mov_b32_e32 v4, s19
	v_add_co_u32_e32 v2, vcc, s18, v2
	v_lshlrev_b32_e32 v14, 9, v0
	v_addc_co_u32_e32 v3, vcc, v4, v3, vcc
	v_add_u32_e32 v15, v14, v12
	v_or_b32_e32 v16, 0x4000, v12
	v_add_co_u32_e32 v12, vcc, 8, v2
	v_add_u32_e32 v17, v16, v14
	v_addc_co_u32_e32 v13, vcc, 0, v3, vcc
	s_mov_b64 s[8:9], 0
	s_branch .LBB1156_4
.LBB1156_3:                             ;   in Loop: Header=BB1156_4 Depth=1
	s_or_b64 exec, exec, s[4:5]
	s_add_u32 s8, s8, 32
	v_add_co_u32_e32 v10, vcc, 0x200, v10
	v_mov_b32_e32 v2, s12
	s_addc_u32 s9, s9, 0
	v_addc_co_u32_e32 v11, vcc, 0, v11, vcc
	v_mov_b32_e32 v3, s13
	v_add_co_u32_e32 v12, vcc, 0x200, v12
	v_cmp_lt_i64_e64 s[4:5], s[8:9], v[2:3]
	v_addc_co_u32_e32 v13, vcc, 0, v13, vcc
	s_and_b64 vcc, exec, s[4:5]
	s_waitcnt vmcnt(0)
	s_barrier
	s_cbranch_vccz .LBB1156_10
.LBB1156_4:                             ; =>This Inner Loop Header: Depth=1
	v_mov_b32_e32 v3, s9
	v_add_co_u32_e32 v2, vcc, s8, v1
	v_addc_co_u32_e32 v3, vcc, 0, v3, vcc
	v_cmp_gt_i64_e32 vcc, s[12:13], v[2:3]
	v_mov_b32_e32 v2, 0
	v_mov_b32_e32 v4, 0
	;; [unrolled: 1-line block ×6, first 2 shown]
	s_and_b64 s[10:11], s[0:1], vcc
	s_and_saveexec_b64 s[4:5], s[10:11]
	s_cbranch_execz .LBB1156_6
; %bb.5:                                ;   in Loop: Header=BB1156_4 Depth=1
	global_load_dwordx4 v[4:7], v[12:13], off offset:-8
.LBB1156_6:                             ;   in Loop: Header=BB1156_4 Depth=1
	s_or_b64 exec, exec, s[4:5]
	s_waitcnt vmcnt(0)
	ds_write_b128 v15, v[4:7]
	v_mov_b32_e32 v5, s9
	v_add_co_u32_e32 v4, vcc, s8, v0
	v_addc_co_u32_e32 v5, vcc, 0, v5, vcc
	v_cmp_gt_i64_e32 vcc, s[12:13], v[4:5]
	v_mov_b32_e32 v4, 0
	v_mov_b32_e32 v5, 0
	s_and_b64 s[10:11], s[2:3], vcc
	s_and_saveexec_b64 s[4:5], s[10:11]
	s_cbranch_execz .LBB1156_8
; %bb.7:                                ;   in Loop: Header=BB1156_4 Depth=1
	global_load_dwordx4 v[2:5], v[10:11], off offset:-8
.LBB1156_8:                             ;   in Loop: Header=BB1156_4 Depth=1
	s_or_b64 exec, exec, s[4:5]
	s_waitcnt vmcnt(0)
	ds_write_b128 v17, v[2:5]
	s_waitcnt lgkmcnt(0)
	s_barrier
	s_and_saveexec_b64 s[4:5], s[6:7]
	s_cbranch_execz .LBB1156_3
; %bb.9:                                ;   in Loop: Header=BB1156_4 Depth=1
	ds_read_b128 v[18:21], v16
	ds_read_b128 v[22:25], v14
	ds_read_b128 v[26:29], v14 offset:16
	ds_read_b128 v[30:33], v14 offset:32
	ds_read_b128 v[2:5], v14 offset:48
	s_waitcnt lgkmcnt(3)
	v_mul_f64 v[6:7], v[20:21], v[24:25]
	v_fma_f64 v[6:7], v[18:19], v[22:23], -v[6:7]
	v_mul_f64 v[18:19], v[18:19], v[24:25]
	v_add_f64 v[6:7], v[6:7], 0
	v_fma_f64 v[18:19], v[20:21], v[22:23], v[18:19]
	v_add_f64 v[22:23], v[18:19], 0
	ds_read_b128 v[18:21], v16 offset:512
	s_waitcnt lgkmcnt(0)
	v_mul_f64 v[24:25], v[20:21], v[28:29]
	v_fma_f64 v[24:25], v[18:19], v[26:27], -v[24:25]
	v_mul_f64 v[18:19], v[18:19], v[28:29]
	v_add_f64 v[6:7], v[6:7], v[24:25]
	v_fma_f64 v[18:19], v[20:21], v[26:27], v[18:19]
	v_add_f64 v[22:23], v[22:23], v[18:19]
	ds_read_b128 v[18:21], v16 offset:1024
	;; [unrolled: 8-line block ×3, first 2 shown]
	s_waitcnt lgkmcnt(0)
	v_mul_f64 v[24:25], v[20:21], v[4:5]
	v_mul_f64 v[4:5], v[18:19], v[4:5]
	v_fma_f64 v[24:25], v[18:19], v[2:3], -v[24:25]
	v_fma_f64 v[2:3], v[20:21], v[2:3], v[4:5]
	v_add_f64 v[6:7], v[6:7], v[24:25]
	v_add_f64 v[22:23], v[22:23], v[2:3]
	ds_read_b128 v[2:5], v16 offset:2048
	ds_read_b128 v[18:21], v14 offset:64
	s_waitcnt lgkmcnt(0)
	v_mul_f64 v[24:25], v[4:5], v[20:21]
	v_fma_f64 v[24:25], v[2:3], v[18:19], -v[24:25]
	v_mul_f64 v[2:3], v[2:3], v[20:21]
	v_add_f64 v[6:7], v[6:7], v[24:25]
	v_fma_f64 v[2:3], v[4:5], v[18:19], v[2:3]
	v_add_f64 v[22:23], v[22:23], v[2:3]
	ds_read_b128 v[2:5], v16 offset:2560
	ds_read_b128 v[18:21], v14 offset:80
	s_waitcnt lgkmcnt(0)
	v_mul_f64 v[24:25], v[4:5], v[20:21]
	v_fma_f64 v[24:25], v[2:3], v[18:19], -v[24:25]
	v_mul_f64 v[2:3], v[2:3], v[20:21]
	v_add_f64 v[6:7], v[6:7], v[24:25]
	v_fma_f64 v[2:3], v[4:5], v[18:19], v[2:3]
	;; [unrolled: 9-line block ×27, first 2 shown]
	v_add_f64 v[22:23], v[22:23], v[2:3]
	ds_read_b128 v[2:5], v16 offset:15872
	ds_read_b128 v[18:21], v14 offset:496
	s_waitcnt lgkmcnt(0)
	v_mul_f64 v[24:25], v[4:5], v[20:21]
	v_fma_f64 v[24:25], v[2:3], v[18:19], -v[24:25]
	v_mul_f64 v[2:3], v[2:3], v[20:21]
	v_fma_f64 v[2:3], v[4:5], v[18:19], v[2:3]
	global_load_dwordx4 v[18:21], v[8:9], off
	v_add_f64 v[4:5], v[6:7], v[24:25]
	v_add_f64 v[6:7], v[22:23], v[2:3]
	v_mul_f64 v[2:3], s[16:17], v[6:7]
	v_fma_f64 v[2:3], s[14:15], v[4:5], -v[2:3]
	v_mul_f64 v[4:5], s[16:17], v[4:5]
	v_fma_f64 v[4:5], s[14:15], v[6:7], v[4:5]
	s_waitcnt vmcnt(0)
	v_add_f64 v[2:3], v[18:19], v[2:3]
	v_add_f64 v[4:5], v[20:21], v[4:5]
	global_store_dwordx4 v[8:9], v[2:5], off
	s_branch .LBB1156_3
.LBB1156_10:
	s_endpgm
	.section	.rodata,"a",@progbits
	.p2align	6, 0x0
	.amdhsa_kernel _ZL26rocblas_syr2k_her2k_kernelIlLb0ELb0ELb1ELi32E19rocblas_complex_numIdEPKS1_PS1_EvbiT_T4_T5_S5_lS7_S5_lT6_S5_li
		.amdhsa_group_segment_fixed_size 32768
		.amdhsa_private_segment_fixed_size 0
		.amdhsa_kernarg_size 108
		.amdhsa_user_sgpr_count 6
		.amdhsa_user_sgpr_private_segment_buffer 1
		.amdhsa_user_sgpr_dispatch_ptr 0
		.amdhsa_user_sgpr_queue_ptr 0
		.amdhsa_user_sgpr_kernarg_segment_ptr 1
		.amdhsa_user_sgpr_dispatch_id 0
		.amdhsa_user_sgpr_flat_scratch_init 0
		.amdhsa_user_sgpr_private_segment_size 0
		.amdhsa_uses_dynamic_stack 0
		.amdhsa_system_sgpr_private_segment_wavefront_offset 0
		.amdhsa_system_sgpr_workgroup_id_x 1
		.amdhsa_system_sgpr_workgroup_id_y 1
		.amdhsa_system_sgpr_workgroup_id_z 1
		.amdhsa_system_sgpr_workgroup_info 0
		.amdhsa_system_vgpr_workitem_id 1
		.amdhsa_next_free_vgpr 34
		.amdhsa_next_free_sgpr 61
		.amdhsa_reserve_vcc 1
		.amdhsa_reserve_flat_scratch 0
		.amdhsa_float_round_mode_32 0
		.amdhsa_float_round_mode_16_64 0
		.amdhsa_float_denorm_mode_32 3
		.amdhsa_float_denorm_mode_16_64 3
		.amdhsa_dx10_clamp 1
		.amdhsa_ieee_mode 1
		.amdhsa_fp16_overflow 0
		.amdhsa_exception_fp_ieee_invalid_op 0
		.amdhsa_exception_fp_denorm_src 0
		.amdhsa_exception_fp_ieee_div_zero 0
		.amdhsa_exception_fp_ieee_overflow 0
		.amdhsa_exception_fp_ieee_underflow 0
		.amdhsa_exception_fp_ieee_inexact 0
		.amdhsa_exception_int_div_zero 0
	.end_amdhsa_kernel
	.section	.text._ZL26rocblas_syr2k_her2k_kernelIlLb0ELb0ELb1ELi32E19rocblas_complex_numIdEPKS1_PS1_EvbiT_T4_T5_S5_lS7_S5_lT6_S5_li,"axG",@progbits,_ZL26rocblas_syr2k_her2k_kernelIlLb0ELb0ELb1ELi32E19rocblas_complex_numIdEPKS1_PS1_EvbiT_T4_T5_S5_lS7_S5_lT6_S5_li,comdat
.Lfunc_end1156:
	.size	_ZL26rocblas_syr2k_her2k_kernelIlLb0ELb0ELb1ELi32E19rocblas_complex_numIdEPKS1_PS1_EvbiT_T4_T5_S5_lS7_S5_lT6_S5_li, .Lfunc_end1156-_ZL26rocblas_syr2k_her2k_kernelIlLb0ELb0ELb1ELi32E19rocblas_complex_numIdEPKS1_PS1_EvbiT_T4_T5_S5_lS7_S5_lT6_S5_li
                                        ; -- End function
	.set _ZL26rocblas_syr2k_her2k_kernelIlLb0ELb0ELb1ELi32E19rocblas_complex_numIdEPKS1_PS1_EvbiT_T4_T5_S5_lS7_S5_lT6_S5_li.num_vgpr, 34
	.set _ZL26rocblas_syr2k_her2k_kernelIlLb0ELb0ELb1ELi32E19rocblas_complex_numIdEPKS1_PS1_EvbiT_T4_T5_S5_lS7_S5_lT6_S5_li.num_agpr, 0
	.set _ZL26rocblas_syr2k_her2k_kernelIlLb0ELb0ELb1ELi32E19rocblas_complex_numIdEPKS1_PS1_EvbiT_T4_T5_S5_lS7_S5_lT6_S5_li.numbered_sgpr, 44
	.set _ZL26rocblas_syr2k_her2k_kernelIlLb0ELb0ELb1ELi32E19rocblas_complex_numIdEPKS1_PS1_EvbiT_T4_T5_S5_lS7_S5_lT6_S5_li.num_named_barrier, 0
	.set _ZL26rocblas_syr2k_her2k_kernelIlLb0ELb0ELb1ELi32E19rocblas_complex_numIdEPKS1_PS1_EvbiT_T4_T5_S5_lS7_S5_lT6_S5_li.private_seg_size, 0
	.set _ZL26rocblas_syr2k_her2k_kernelIlLb0ELb0ELb1ELi32E19rocblas_complex_numIdEPKS1_PS1_EvbiT_T4_T5_S5_lS7_S5_lT6_S5_li.uses_vcc, 1
	.set _ZL26rocblas_syr2k_her2k_kernelIlLb0ELb0ELb1ELi32E19rocblas_complex_numIdEPKS1_PS1_EvbiT_T4_T5_S5_lS7_S5_lT6_S5_li.uses_flat_scratch, 0
	.set _ZL26rocblas_syr2k_her2k_kernelIlLb0ELb0ELb1ELi32E19rocblas_complex_numIdEPKS1_PS1_EvbiT_T4_T5_S5_lS7_S5_lT6_S5_li.has_dyn_sized_stack, 0
	.set _ZL26rocblas_syr2k_her2k_kernelIlLb0ELb0ELb1ELi32E19rocblas_complex_numIdEPKS1_PS1_EvbiT_T4_T5_S5_lS7_S5_lT6_S5_li.has_recursion, 0
	.set _ZL26rocblas_syr2k_her2k_kernelIlLb0ELb0ELb1ELi32E19rocblas_complex_numIdEPKS1_PS1_EvbiT_T4_T5_S5_lS7_S5_lT6_S5_li.has_indirect_call, 0
	.section	.AMDGPU.csdata,"",@progbits
; Kernel info:
; codeLenInByte = 2988
; TotalNumSgprs: 48
; NumVgprs: 34
; ScratchSize: 0
; MemoryBound: 1
; FloatMode: 240
; IeeeMode: 1
; LDSByteSize: 32768 bytes/workgroup (compile time only)
; SGPRBlocks: 8
; VGPRBlocks: 8
; NumSGPRsForWavesPerEU: 65
; NumVGPRsForWavesPerEU: 34
; Occupancy: 7
; WaveLimiterHint : 0
; COMPUTE_PGM_RSRC2:SCRATCH_EN: 0
; COMPUTE_PGM_RSRC2:USER_SGPR: 6
; COMPUTE_PGM_RSRC2:TRAP_HANDLER: 0
; COMPUTE_PGM_RSRC2:TGID_X_EN: 1
; COMPUTE_PGM_RSRC2:TGID_Y_EN: 1
; COMPUTE_PGM_RSRC2:TGID_Z_EN: 1
; COMPUTE_PGM_RSRC2:TIDIG_COMP_CNT: 1
	.section	.text._ZL37rocblas_syrkx_herkx_restricted_kernelIl19rocblas_complex_numIdELi16ELi32ELi8ELi1ELi1ELb0ELc84ELc76EKS1_S1_EviT_PT9_S3_lS5_S3_lPT10_S3_li,"axG",@progbits,_ZL37rocblas_syrkx_herkx_restricted_kernelIl19rocblas_complex_numIdELi16ELi32ELi8ELi1ELi1ELb0ELc84ELc76EKS1_S1_EviT_PT9_S3_lS5_S3_lPT10_S3_li,comdat
	.globl	_ZL37rocblas_syrkx_herkx_restricted_kernelIl19rocblas_complex_numIdELi16ELi32ELi8ELi1ELi1ELb0ELc84ELc76EKS1_S1_EviT_PT9_S3_lS5_S3_lPT10_S3_li ; -- Begin function _ZL37rocblas_syrkx_herkx_restricted_kernelIl19rocblas_complex_numIdELi16ELi32ELi8ELi1ELi1ELb0ELc84ELc76EKS1_S1_EviT_PT9_S3_lS5_S3_lPT10_S3_li
	.p2align	8
	.type	_ZL37rocblas_syrkx_herkx_restricted_kernelIl19rocblas_complex_numIdELi16ELi32ELi8ELi1ELi1ELb0ELc84ELc76EKS1_S1_EviT_PT9_S3_lS5_S3_lPT10_S3_li,@function
_ZL37rocblas_syrkx_herkx_restricted_kernelIl19rocblas_complex_numIdELi16ELi32ELi8ELi1ELi1ELb0ELc84ELc76EKS1_S1_EviT_PT9_S3_lS5_S3_lPT10_S3_li: ; @_ZL37rocblas_syrkx_herkx_restricted_kernelIl19rocblas_complex_numIdELi16ELi32ELi8ELi1ELi1ELb0ELc84ELc76EKS1_S1_EviT_PT9_S3_lS5_S3_lPT10_S3_li
; %bb.0:
	s_load_dwordx16 s[12:27], s[4:5], 0x8
	s_lshl_b32 s2, s6, 5
	s_lshl_b32 s3, s7, 5
	s_waitcnt lgkmcnt(0)
	v_cmp_lt_i64_e64 s[0:1], s[12:13], 1
	s_and_b64 vcc, exec, s[0:1]
	s_cbranch_vccnz .LBB1157_3
; %bb.1:
	v_lshl_add_u32 v6, v1, 4, v0
	v_lshrrev_b32_e32 v8, 3, v6
	v_add_u32_e32 v4, s3, v8
	v_ashrrev_i32_e32 v5, 31, v4
	v_and_b32_e32 v2, 7, v0
	v_mov_b32_e32 v3, 0
	v_mul_lo_u32 v7, s22, v5
	v_mul_lo_u32 v9, s23, v4
	v_mad_u64_u32 v[4:5], s[0:1], s22, v4, v[2:3]
	v_lshlrev_b32_e32 v2, 4, v2
	v_lshl_or_b32 v2, v8, 7, v2
	v_add3_u32 v5, v9, v5, v7
	v_and_b32_e32 v9, 31, v6
	v_add_u32_e32 v23, 0x1000, v2
	v_mov_b32_e32 v2, 0x1000
	v_add_u32_e32 v8, s2, v9
	v_lshrrev_b32_e32 v6, 5, v6
	v_mov_b32_e32 v7, v3
	v_lshlrev_b32_e32 v3, 4, v9
	v_lshl_add_u32 v25, v1, 7, v2
	v_ashrrev_i32_e32 v2, 31, v8
	v_lshl_or_b32 v22, v6, 9, v3
	v_mul_lo_u32 v9, s16, v2
	v_mad_u64_u32 v[2:3], s[0:1], s16, v8, v[6:7]
	v_mul_lo_u32 v6, s17, v8
	s_mul_i32 s6, s19, s8
	s_mul_hi_u32 s7, s18, s8
	s_add_i32 s1, s7, s6
	s_mul_i32 s0, s18, s8
	s_lshl_b64 s[0:1], s[0:1], 4
	v_add3_u32 v3, v6, v3, v9
	v_lshlrev_b64 v[2:3], 4, v[2:3]
	s_add_u32 s0, s14, s0
	s_addc_u32 s1, s15, s1
	v_mov_b32_e32 v6, s1
	v_add_co_u32_e32 v2, vcc, s0, v2
	s_mul_i32 s0, s25, s8
	s_mul_hi_u32 s1, s24, s8
	s_add_i32 s1, s1, s0
	s_mul_i32 s0, s24, s8
	v_addc_co_u32_e32 v3, vcc, v6, v3, vcc
	s_lshl_b64 s[0:1], s[0:1], 4
	v_add_co_u32_e32 v2, vcc, 8, v2
	v_lshlrev_b64 v[4:5], 4, v[4:5]
	s_add_u32 s0, s20, s0
	v_addc_co_u32_e32 v3, vcc, 0, v3, vcc
	s_addc_u32 s1, s21, s1
	v_mov_b32_e32 v6, s1
	v_add_co_u32_e32 v4, vcc, s0, v4
	v_addc_co_u32_e32 v5, vcc, v6, v5, vcc
	v_add_co_u32_e32 v4, vcc, 8, v4
	v_mov_b32_e32 v10, 0
	v_mov_b32_e32 v12, 0
	v_mov_b32_e32 v18, 0
	v_mov_b32_e32 v20, 0
	v_mov_b32_e32 v6, 0
	v_mov_b32_e32 v8, 0
	v_mov_b32_e32 v16, 0
	v_mov_b32_e32 v14, 0
	v_lshlrev_b32_e32 v24, 4, v0
	v_addc_co_u32_e32 v5, vcc, 0, v5, vcc
	v_mov_b32_e32 v11, 0
	v_mov_b32_e32 v13, 0
	;; [unrolled: 1-line block ×8, first 2 shown]
	s_mov_b64 s[0:1], 0
.LBB1157_2:                             ; =>This Inner Loop Header: Depth=1
	global_load_dwordx4 v[26:29], v[2:3], off offset:-8
	s_add_u32 s0, s0, 8
	v_add_co_u32_e32 v2, vcc, 0x80, v2
	s_addc_u32 s1, s1, 0
	v_addc_co_u32_e32 v3, vcc, 0, v3, vcc
	s_waitcnt vmcnt(0)
	ds_write_b128 v22, v[26:29]
	global_load_dwordx4 v[26:29], v[4:5], off offset:-8
	v_add_co_u32_e32 v4, vcc, 0x80, v4
	v_addc_co_u32_e32 v5, vcc, 0, v5, vcc
	s_waitcnt vmcnt(0)
	ds_write_b128 v23, v[26:29]
	s_waitcnt lgkmcnt(0)
	s_barrier
	ds_read_b128 v[26:29], v25
	ds_read_b128 v[30:33], v25 offset:16
	ds_read_b128 v[34:37], v25 offset:32
	;; [unrolled: 1-line block ×3, first 2 shown]
	ds_read_b128 v[42:45], v24
	s_waitcnt lgkmcnt(0)
	v_mul_f64 v[46:47], v[28:29], v[44:45]
	v_mul_f64 v[48:49], v[26:27], v[44:45]
	v_fma_f64 v[46:47], v[26:27], v[42:43], -v[46:47]
	v_fma_f64 v[48:49], v[28:29], v[42:43], v[48:49]
	v_add_f64 v[46:47], v[14:15], v[46:47]
	v_add_f64 v[48:49], v[48:49], v[16:17]
	ds_read_b128 v[14:17], v24 offset:256
	s_waitcnt lgkmcnt(0)
	v_mul_f64 v[50:51], v[28:29], v[16:17]
	v_fma_f64 v[50:51], v[26:27], v[14:15], -v[50:51]
	v_mul_f64 v[26:27], v[26:27], v[16:17]
	v_fma_f64 v[26:27], v[28:29], v[14:15], v[26:27]
	v_add_f64 v[28:29], v[8:9], v[50:51]
	v_add_f64 v[26:27], v[26:27], v[6:7]
	ds_read_b128 v[6:9], v25 offset:2048
	s_waitcnt lgkmcnt(0)
	v_mul_f64 v[50:51], v[8:9], v[44:45]
	v_mul_f64 v[44:45], v[6:7], v[44:45]
	v_fma_f64 v[50:51], v[6:7], v[42:43], -v[50:51]
	v_fma_f64 v[42:43], v[8:9], v[42:43], v[44:45]
	v_add_f64 v[20:21], v[20:21], v[50:51]
	v_add_f64 v[18:19], v[42:43], v[18:19]
	v_mul_f64 v[42:43], v[8:9], v[16:17]
	v_fma_f64 v[42:43], v[6:7], v[14:15], -v[42:43]
	v_mul_f64 v[6:7], v[6:7], v[16:17]
	v_add_f64 v[42:43], v[12:13], v[42:43]
	v_fma_f64 v[6:7], v[8:9], v[14:15], v[6:7]
	v_add_f64 v[44:45], v[6:7], v[10:11]
	ds_read_b128 v[6:9], v24 offset:512
	s_waitcnt lgkmcnt(0)
	v_mul_f64 v[10:11], v[32:33], v[8:9]
	v_mul_f64 v[12:13], v[30:31], v[8:9]
	v_fma_f64 v[10:11], v[30:31], v[6:7], -v[10:11]
	v_fma_f64 v[12:13], v[32:33], v[6:7], v[12:13]
	v_add_f64 v[46:47], v[46:47], v[10:11]
	v_add_f64 v[48:49], v[12:13], v[48:49]
	ds_read_b128 v[10:13], v24 offset:768
	s_waitcnt lgkmcnt(0)
	v_mul_f64 v[14:15], v[32:33], v[12:13]
	v_mul_f64 v[16:17], v[30:31], v[12:13]
	v_fma_f64 v[14:15], v[30:31], v[10:11], -v[14:15]
	v_fma_f64 v[16:17], v[32:33], v[10:11], v[16:17]
	v_add_f64 v[28:29], v[28:29], v[14:15]
	v_add_f64 v[26:27], v[16:17], v[26:27]
	ds_read_b128 v[14:17], v25 offset:2064
	s_waitcnt lgkmcnt(0)
	v_mul_f64 v[30:31], v[16:17], v[8:9]
	v_mul_f64 v[8:9], v[14:15], v[8:9]
	v_fma_f64 v[30:31], v[14:15], v[6:7], -v[30:31]
	v_fma_f64 v[6:7], v[16:17], v[6:7], v[8:9]
	v_mul_f64 v[8:9], v[14:15], v[12:13]
	v_add_f64 v[20:21], v[20:21], v[30:31]
	v_add_f64 v[18:19], v[6:7], v[18:19]
	v_mul_f64 v[6:7], v[16:17], v[12:13]
	v_fma_f64 v[8:9], v[16:17], v[10:11], v[8:9]
	v_fma_f64 v[6:7], v[14:15], v[10:11], -v[6:7]
	v_add_f64 v[32:33], v[8:9], v[44:45]
	v_add_f64 v[30:31], v[42:43], v[6:7]
	ds_read_b128 v[6:9], v24 offset:1024
	s_waitcnt lgkmcnt(0)
	v_mul_f64 v[10:11], v[36:37], v[8:9]
	v_mul_f64 v[12:13], v[34:35], v[8:9]
	v_fma_f64 v[10:11], v[34:35], v[6:7], -v[10:11]
	v_fma_f64 v[12:13], v[36:37], v[6:7], v[12:13]
	v_add_f64 v[42:43], v[46:47], v[10:11]
	v_add_f64 v[44:45], v[12:13], v[48:49]
	ds_read_b128 v[10:13], v24 offset:1280
	s_waitcnt lgkmcnt(0)
	v_mul_f64 v[14:15], v[36:37], v[12:13]
	v_mul_f64 v[16:17], v[34:35], v[12:13]
	v_fma_f64 v[14:15], v[34:35], v[10:11], -v[14:15]
	v_fma_f64 v[16:17], v[36:37], v[10:11], v[16:17]
	v_add_f64 v[28:29], v[28:29], v[14:15]
	v_add_f64 v[26:27], v[16:17], v[26:27]
	ds_read_b128 v[14:17], v25 offset:2080
	s_waitcnt lgkmcnt(0)
	v_mul_f64 v[34:35], v[16:17], v[8:9]
	v_mul_f64 v[8:9], v[14:15], v[8:9]
	v_fma_f64 v[34:35], v[14:15], v[6:7], -v[34:35]
	v_fma_f64 v[6:7], v[16:17], v[6:7], v[8:9]
	v_mul_f64 v[8:9], v[14:15], v[12:13]
	v_add_f64 v[20:21], v[20:21], v[34:35]
	v_add_f64 v[18:19], v[6:7], v[18:19]
	v_mul_f64 v[6:7], v[16:17], v[12:13]
	v_fma_f64 v[8:9], v[16:17], v[10:11], v[8:9]
	v_fma_f64 v[6:7], v[14:15], v[10:11], -v[6:7]
	v_add_f64 v[32:33], v[8:9], v[32:33]
	;; [unrolled: 30-line block ×3, first 2 shown]
	v_add_f64 v[30:31], v[30:31], v[6:7]
	ds_read_b128 v[6:9], v25 offset:64
	ds_read_b128 v[10:13], v24 offset:2048
	s_waitcnt lgkmcnt(0)
	v_mul_f64 v[14:15], v[8:9], v[12:13]
	v_mul_f64 v[16:17], v[6:7], v[12:13]
	v_fma_f64 v[14:15], v[6:7], v[10:11], -v[14:15]
	v_fma_f64 v[16:17], v[8:9], v[10:11], v[16:17]
	v_add_f64 v[34:35], v[34:35], v[14:15]
	v_add_f64 v[36:37], v[16:17], v[36:37]
	ds_read_b128 v[14:17], v24 offset:2304
	s_waitcnt lgkmcnt(0)
	v_mul_f64 v[38:39], v[8:9], v[16:17]
	v_fma_f64 v[38:39], v[6:7], v[14:15], -v[38:39]
	v_mul_f64 v[6:7], v[6:7], v[16:17]
	v_add_f64 v[28:29], v[28:29], v[38:39]
	v_fma_f64 v[6:7], v[8:9], v[14:15], v[6:7]
	v_add_f64 v[26:27], v[6:7], v[26:27]
	ds_read_b128 v[6:9], v25 offset:2112
	s_waitcnt lgkmcnt(0)
	v_mul_f64 v[38:39], v[8:9], v[12:13]
	v_mul_f64 v[12:13], v[6:7], v[12:13]
	v_fma_f64 v[38:39], v[6:7], v[10:11], -v[38:39]
	v_fma_f64 v[10:11], v[8:9], v[10:11], v[12:13]
	v_add_f64 v[20:21], v[20:21], v[38:39]
	v_add_f64 v[18:19], v[10:11], v[18:19]
	v_mul_f64 v[10:11], v[8:9], v[16:17]
	v_fma_f64 v[10:11], v[6:7], v[14:15], -v[10:11]
	v_mul_f64 v[6:7], v[6:7], v[16:17]
	v_add_f64 v[30:31], v[30:31], v[10:11]
	v_fma_f64 v[6:7], v[8:9], v[14:15], v[6:7]
	v_add_f64 v[32:33], v[6:7], v[32:33]
	ds_read_b128 v[6:9], v25 offset:80
	ds_read_b128 v[10:13], v24 offset:2560
	s_waitcnt lgkmcnt(0)
	v_mul_f64 v[14:15], v[8:9], v[12:13]
	v_mul_f64 v[16:17], v[6:7], v[12:13]
	v_fma_f64 v[14:15], v[6:7], v[10:11], -v[14:15]
	v_fma_f64 v[16:17], v[8:9], v[10:11], v[16:17]
	v_add_f64 v[34:35], v[34:35], v[14:15]
	v_add_f64 v[36:37], v[16:17], v[36:37]
	ds_read_b128 v[14:17], v24 offset:2816
	s_waitcnt lgkmcnt(0)
	v_mul_f64 v[38:39], v[8:9], v[16:17]
	v_fma_f64 v[38:39], v[6:7], v[14:15], -v[38:39]
	v_mul_f64 v[6:7], v[6:7], v[16:17]
	v_add_f64 v[28:29], v[28:29], v[38:39]
	v_fma_f64 v[6:7], v[8:9], v[14:15], v[6:7]
	v_add_f64 v[26:27], v[6:7], v[26:27]
	ds_read_b128 v[6:9], v25 offset:2128
	s_waitcnt lgkmcnt(0)
	v_mul_f64 v[38:39], v[8:9], v[12:13]
	v_mul_f64 v[12:13], v[6:7], v[12:13]
	v_fma_f64 v[38:39], v[6:7], v[10:11], -v[38:39]
	v_fma_f64 v[10:11], v[8:9], v[10:11], v[12:13]
	v_add_f64 v[20:21], v[20:21], v[38:39]
	v_add_f64 v[18:19], v[10:11], v[18:19]
	v_mul_f64 v[10:11], v[8:9], v[16:17]
	v_fma_f64 v[10:11], v[6:7], v[14:15], -v[10:11]
	v_mul_f64 v[6:7], v[6:7], v[16:17]
	v_add_f64 v[30:31], v[30:31], v[10:11]
	v_fma_f64 v[6:7], v[8:9], v[14:15], v[6:7]
	;; [unrolled: 31-line block ×3, first 2 shown]
	v_add_f64 v[44:45], v[6:7], v[32:33]
	ds_read_b128 v[6:9], v25 offset:112
	ds_read_b128 v[10:13], v24 offset:3584
	;; [unrolled: 1-line block ×3, first 2 shown]
	s_waitcnt lgkmcnt(1)
	v_mul_f64 v[14:15], v[8:9], v[12:13]
	s_waitcnt lgkmcnt(0)
	v_mul_f64 v[30:31], v[8:9], v[28:29]
	v_mul_f64 v[16:17], v[6:7], v[12:13]
	v_fma_f64 v[14:15], v[6:7], v[10:11], -v[14:15]
	v_fma_f64 v[30:31], v[6:7], v[26:27], -v[30:31]
	v_mul_f64 v[6:7], v[6:7], v[28:29]
	v_fma_f64 v[16:17], v[8:9], v[10:11], v[16:17]
	v_add_f64 v[14:15], v[34:35], v[14:15]
	v_fma_f64 v[6:7], v[8:9], v[26:27], v[6:7]
	v_add_f64 v[8:9], v[38:39], v[30:31]
	ds_read_b128 v[30:33], v25 offset:2160
	v_add_f64 v[16:17], v[16:17], v[36:37]
	s_waitcnt lgkmcnt(0)
	s_barrier
	v_mul_f64 v[34:35], v[32:33], v[12:13]
	v_mul_f64 v[12:13], v[30:31], v[12:13]
	v_add_f64 v[6:7], v[6:7], v[40:41]
	v_fma_f64 v[34:35], v[30:31], v[10:11], -v[34:35]
	v_fma_f64 v[10:11], v[32:33], v[10:11], v[12:13]
	v_mul_f64 v[12:13], v[30:31], v[28:29]
	v_add_f64 v[20:21], v[20:21], v[34:35]
	v_add_f64 v[18:19], v[10:11], v[18:19]
	v_mul_f64 v[10:11], v[32:33], v[28:29]
	v_fma_f64 v[10:11], v[30:31], v[26:27], -v[10:11]
	v_fma_f64 v[26:27], v[32:33], v[26:27], v[12:13]
	v_add_f64 v[12:13], v[42:43], v[10:11]
	v_add_f64 v[10:11], v[26:27], v[44:45]
	v_mov_b32_e32 v27, s1
	v_mov_b32_e32 v26, s0
	v_cmp_le_u64_e32 vcc, s[12:13], v[26:27]
	s_cbranch_vccz .LBB1157_2
	s_branch .LBB1157_4
.LBB1157_3:
	v_mov_b32_e32 v14, 0
	v_mov_b32_e32 v16, 0
	;; [unrolled: 1-line block ×16, first 2 shown]
.LBB1157_4:
	s_load_dwordx4 s[12:15], s[4:5], 0x48
	s_load_dword s9, s[4:5], 0x0
	v_add_u32_e32 v4, s3, v1
	v_ashrrev_i32_e32 v1, 31, v4
	v_add_u32_e32 v0, s2, v0
	s_waitcnt lgkmcnt(0)
	v_mul_lo_u32 v3, s12, v1
	v_mul_lo_u32 v5, s13, v4
	v_mad_u64_u32 v[1:2], s[4:5], s12, v4, 0
	s_mul_i32 s1, s15, s8
	s_mul_hi_u32 s3, s14, s8
	s_mul_i32 s0, s14, s8
	s_add_i32 s1, s3, s1
	s_lshl_b64 s[0:1], s[0:1], 4
	v_add3_u32 v2, v2, v3, v5
	s_add_u32 s6, s26, s0
	v_lshlrev_b64 v[1:2], 4, v[1:2]
	s_addc_u32 s7, s27, s1
	v_mov_b32_e32 v3, s7
	v_add_co_u32_e32 v5, vcc, s6, v1
	v_addc_co_u32_e32 v22, vcc, v3, v2, vcc
	v_cmp_le_i32_e64 s[0:1], v4, v0
	v_cmp_gt_i32_e32 vcc, s9, v0
	s_and_b64 s[0:1], s[0:1], vcc
	s_and_saveexec_b64 s[2:3], s[0:1]
	s_cbranch_execz .LBB1157_6
; %bb.5:
	v_ashrrev_i32_e32 v1, 31, v0
	v_lshlrev_b64 v[1:2], 4, v[0:1]
	v_add_co_u32_e64 v1, s[0:1], v5, v1
	v_addc_co_u32_e64 v2, s[0:1], v22, v2, s[0:1]
	global_load_dwordx4 v[23:26], v[1:2], off
	s_waitcnt vmcnt(0)
	v_add_f64 v[14:15], v[14:15], v[23:24]
	v_add_f64 v[16:17], v[16:17], v[25:26]
	global_store_dwordx4 v[1:2], v[14:17], off
.LBB1157_6:
	s_or_b64 exec, exec, s[2:3]
	v_add_u32_e32 v2, 16, v0
	v_cmp_le_i32_e64 s[2:3], v4, v2
	v_cmp_gt_i32_e64 s[0:1], s9, v2
	s_and_b64 s[2:3], s[2:3], s[0:1]
	s_and_saveexec_b64 s[4:5], s[2:3]
	s_cbranch_execz .LBB1157_8
; %bb.7:
	v_ashrrev_i32_e32 v3, 31, v2
	v_lshlrev_b64 v[14:15], 4, v[2:3]
	v_add_co_u32_e64 v23, s[2:3], v5, v14
	v_addc_co_u32_e64 v24, s[2:3], v22, v15, s[2:3]
	global_load_dwordx4 v[14:17], v[23:24], off
	s_waitcnt vmcnt(0)
	v_add_f64 v[14:15], v[8:9], v[14:15]
	v_add_f64 v[16:17], v[6:7], v[16:17]
	global_store_dwordx4 v[23:24], v[14:17], off
.LBB1157_8:
	s_or_b64 exec, exec, s[4:5]
	v_add_u32_e32 v3, 16, v4
	v_ashrrev_i32_e32 v1, 31, v3
	v_mul_lo_u32 v6, s13, v3
	v_mad_u64_u32 v[4:5], s[2:3], s12, v3, 0
	v_mul_lo_u32 v1, s12, v1
	v_add3_u32 v5, v5, v1, v6
	v_lshlrev_b64 v[4:5], 4, v[4:5]
	v_mov_b32_e32 v1, s7
	v_add_co_u32_e64 v4, s[2:3], s6, v4
	v_addc_co_u32_e64 v5, s[2:3], v1, v5, s[2:3]
	v_cmp_le_i32_e64 s[2:3], v3, v0
	s_and_b64 s[4:5], s[2:3], vcc
	s_and_saveexec_b64 s[2:3], s[4:5]
	s_cbranch_execz .LBB1157_10
; %bb.9:
	v_ashrrev_i32_e32 v1, 31, v0
	v_lshlrev_b64 v[0:1], 4, v[0:1]
	v_add_co_u32_e32 v0, vcc, v4, v0
	v_addc_co_u32_e32 v1, vcc, v5, v1, vcc
	global_load_dwordx4 v[6:9], v[0:1], off
	s_waitcnt vmcnt(0)
	v_add_f64 v[6:7], v[20:21], v[6:7]
	v_add_f64 v[8:9], v[18:19], v[8:9]
	global_store_dwordx4 v[0:1], v[6:9], off
.LBB1157_10:
	s_or_b64 exec, exec, s[2:3]
	v_cmp_le_i32_e32 vcc, v3, v2
	s_and_b64 s[0:1], vcc, s[0:1]
	s_and_saveexec_b64 s[2:3], s[0:1]
	s_cbranch_execz .LBB1157_12
; %bb.11:
	v_ashrrev_i32_e32 v3, 31, v2
	v_lshlrev_b64 v[0:1], 4, v[2:3]
	v_add_co_u32_e32 v4, vcc, v4, v0
	v_addc_co_u32_e32 v5, vcc, v5, v1, vcc
	global_load_dwordx4 v[0:3], v[4:5], off
	s_waitcnt vmcnt(0)
	v_add_f64 v[0:1], v[12:13], v[0:1]
	v_add_f64 v[2:3], v[10:11], v[2:3]
	global_store_dwordx4 v[4:5], v[0:3], off
.LBB1157_12:
	s_endpgm
	.section	.rodata,"a",@progbits
	.p2align	6, 0x0
	.amdhsa_kernel _ZL37rocblas_syrkx_herkx_restricted_kernelIl19rocblas_complex_numIdELi16ELi32ELi8ELi1ELi1ELb0ELc84ELc76EKS1_S1_EviT_PT9_S3_lS5_S3_lPT10_S3_li
		.amdhsa_group_segment_fixed_size 8192
		.amdhsa_private_segment_fixed_size 0
		.amdhsa_kernarg_size 92
		.amdhsa_user_sgpr_count 6
		.amdhsa_user_sgpr_private_segment_buffer 1
		.amdhsa_user_sgpr_dispatch_ptr 0
		.amdhsa_user_sgpr_queue_ptr 0
		.amdhsa_user_sgpr_kernarg_segment_ptr 1
		.amdhsa_user_sgpr_dispatch_id 0
		.amdhsa_user_sgpr_flat_scratch_init 0
		.amdhsa_user_sgpr_private_segment_size 0
		.amdhsa_uses_dynamic_stack 0
		.amdhsa_system_sgpr_private_segment_wavefront_offset 0
		.amdhsa_system_sgpr_workgroup_id_x 1
		.amdhsa_system_sgpr_workgroup_id_y 1
		.amdhsa_system_sgpr_workgroup_id_z 1
		.amdhsa_system_sgpr_workgroup_info 0
		.amdhsa_system_vgpr_workitem_id 1
		.amdhsa_next_free_vgpr 52
		.amdhsa_next_free_sgpr 61
		.amdhsa_reserve_vcc 1
		.amdhsa_reserve_flat_scratch 0
		.amdhsa_float_round_mode_32 0
		.amdhsa_float_round_mode_16_64 0
		.amdhsa_float_denorm_mode_32 3
		.amdhsa_float_denorm_mode_16_64 3
		.amdhsa_dx10_clamp 1
		.amdhsa_ieee_mode 1
		.amdhsa_fp16_overflow 0
		.amdhsa_exception_fp_ieee_invalid_op 0
		.amdhsa_exception_fp_denorm_src 0
		.amdhsa_exception_fp_ieee_div_zero 0
		.amdhsa_exception_fp_ieee_overflow 0
		.amdhsa_exception_fp_ieee_underflow 0
		.amdhsa_exception_fp_ieee_inexact 0
		.amdhsa_exception_int_div_zero 0
	.end_amdhsa_kernel
	.section	.text._ZL37rocblas_syrkx_herkx_restricted_kernelIl19rocblas_complex_numIdELi16ELi32ELi8ELi1ELi1ELb0ELc84ELc76EKS1_S1_EviT_PT9_S3_lS5_S3_lPT10_S3_li,"axG",@progbits,_ZL37rocblas_syrkx_herkx_restricted_kernelIl19rocblas_complex_numIdELi16ELi32ELi8ELi1ELi1ELb0ELc84ELc76EKS1_S1_EviT_PT9_S3_lS5_S3_lPT10_S3_li,comdat
.Lfunc_end1157:
	.size	_ZL37rocblas_syrkx_herkx_restricted_kernelIl19rocblas_complex_numIdELi16ELi32ELi8ELi1ELi1ELb0ELc84ELc76EKS1_S1_EviT_PT9_S3_lS5_S3_lPT10_S3_li, .Lfunc_end1157-_ZL37rocblas_syrkx_herkx_restricted_kernelIl19rocblas_complex_numIdELi16ELi32ELi8ELi1ELi1ELb0ELc84ELc76EKS1_S1_EviT_PT9_S3_lS5_S3_lPT10_S3_li
                                        ; -- End function
	.set _ZL37rocblas_syrkx_herkx_restricted_kernelIl19rocblas_complex_numIdELi16ELi32ELi8ELi1ELi1ELb0ELc84ELc76EKS1_S1_EviT_PT9_S3_lS5_S3_lPT10_S3_li.num_vgpr, 52
	.set _ZL37rocblas_syrkx_herkx_restricted_kernelIl19rocblas_complex_numIdELi16ELi32ELi8ELi1ELi1ELb0ELc84ELc76EKS1_S1_EviT_PT9_S3_lS5_S3_lPT10_S3_li.num_agpr, 0
	.set _ZL37rocblas_syrkx_herkx_restricted_kernelIl19rocblas_complex_numIdELi16ELi32ELi8ELi1ELi1ELb0ELc84ELc76EKS1_S1_EviT_PT9_S3_lS5_S3_lPT10_S3_li.numbered_sgpr, 28
	.set _ZL37rocblas_syrkx_herkx_restricted_kernelIl19rocblas_complex_numIdELi16ELi32ELi8ELi1ELi1ELb0ELc84ELc76EKS1_S1_EviT_PT9_S3_lS5_S3_lPT10_S3_li.num_named_barrier, 0
	.set _ZL37rocblas_syrkx_herkx_restricted_kernelIl19rocblas_complex_numIdELi16ELi32ELi8ELi1ELi1ELb0ELc84ELc76EKS1_S1_EviT_PT9_S3_lS5_S3_lPT10_S3_li.private_seg_size, 0
	.set _ZL37rocblas_syrkx_herkx_restricted_kernelIl19rocblas_complex_numIdELi16ELi32ELi8ELi1ELi1ELb0ELc84ELc76EKS1_S1_EviT_PT9_S3_lS5_S3_lPT10_S3_li.uses_vcc, 1
	.set _ZL37rocblas_syrkx_herkx_restricted_kernelIl19rocblas_complex_numIdELi16ELi32ELi8ELi1ELi1ELb0ELc84ELc76EKS1_S1_EviT_PT9_S3_lS5_S3_lPT10_S3_li.uses_flat_scratch, 0
	.set _ZL37rocblas_syrkx_herkx_restricted_kernelIl19rocblas_complex_numIdELi16ELi32ELi8ELi1ELi1ELb0ELc84ELc76EKS1_S1_EviT_PT9_S3_lS5_S3_lPT10_S3_li.has_dyn_sized_stack, 0
	.set _ZL37rocblas_syrkx_herkx_restricted_kernelIl19rocblas_complex_numIdELi16ELi32ELi8ELi1ELi1ELb0ELc84ELc76EKS1_S1_EviT_PT9_S3_lS5_S3_lPT10_S3_li.has_recursion, 0
	.set _ZL37rocblas_syrkx_herkx_restricted_kernelIl19rocblas_complex_numIdELi16ELi32ELi8ELi1ELi1ELb0ELc84ELc76EKS1_S1_EviT_PT9_S3_lS5_S3_lPT10_S3_li.has_indirect_call, 0
	.section	.AMDGPU.csdata,"",@progbits
; Kernel info:
; codeLenInByte = 2964
; TotalNumSgprs: 32
; NumVgprs: 52
; ScratchSize: 0
; MemoryBound: 0
; FloatMode: 240
; IeeeMode: 1
; LDSByteSize: 8192 bytes/workgroup (compile time only)
; SGPRBlocks: 8
; VGPRBlocks: 12
; NumSGPRsForWavesPerEU: 65
; NumVGPRsForWavesPerEU: 52
; Occupancy: 4
; WaveLimiterHint : 1
; COMPUTE_PGM_RSRC2:SCRATCH_EN: 0
; COMPUTE_PGM_RSRC2:USER_SGPR: 6
; COMPUTE_PGM_RSRC2:TRAP_HANDLER: 0
; COMPUTE_PGM_RSRC2:TGID_X_EN: 1
; COMPUTE_PGM_RSRC2:TGID_Y_EN: 1
; COMPUTE_PGM_RSRC2:TGID_Z_EN: 1
; COMPUTE_PGM_RSRC2:TIDIG_COMP_CNT: 1
	.section	.text._ZL37rocblas_syrkx_herkx_restricted_kernelIl19rocblas_complex_numIdELi16ELi32ELi8ELi1ELi1ELb0ELc67ELc76EKS1_S1_EviT_PT9_S3_lS5_S3_lPT10_S3_li,"axG",@progbits,_ZL37rocblas_syrkx_herkx_restricted_kernelIl19rocblas_complex_numIdELi16ELi32ELi8ELi1ELi1ELb0ELc67ELc76EKS1_S1_EviT_PT9_S3_lS5_S3_lPT10_S3_li,comdat
	.globl	_ZL37rocblas_syrkx_herkx_restricted_kernelIl19rocblas_complex_numIdELi16ELi32ELi8ELi1ELi1ELb0ELc67ELc76EKS1_S1_EviT_PT9_S3_lS5_S3_lPT10_S3_li ; -- Begin function _ZL37rocblas_syrkx_herkx_restricted_kernelIl19rocblas_complex_numIdELi16ELi32ELi8ELi1ELi1ELb0ELc67ELc76EKS1_S1_EviT_PT9_S3_lS5_S3_lPT10_S3_li
	.p2align	8
	.type	_ZL37rocblas_syrkx_herkx_restricted_kernelIl19rocblas_complex_numIdELi16ELi32ELi8ELi1ELi1ELb0ELc67ELc76EKS1_S1_EviT_PT9_S3_lS5_S3_lPT10_S3_li,@function
_ZL37rocblas_syrkx_herkx_restricted_kernelIl19rocblas_complex_numIdELi16ELi32ELi8ELi1ELi1ELb0ELc67ELc76EKS1_S1_EviT_PT9_S3_lS5_S3_lPT10_S3_li: ; @_ZL37rocblas_syrkx_herkx_restricted_kernelIl19rocblas_complex_numIdELi16ELi32ELi8ELi1ELi1ELb0ELc67ELc76EKS1_S1_EviT_PT9_S3_lS5_S3_lPT10_S3_li
; %bb.0:
	s_load_dwordx16 s[12:27], s[4:5], 0x8
	s_lshl_b32 s2, s6, 5
	s_lshl_b32 s3, s7, 5
	s_waitcnt lgkmcnt(0)
	v_cmp_lt_i64_e64 s[0:1], s[12:13], 1
	s_and_b64 vcc, exec, s[0:1]
	s_cbranch_vccnz .LBB1158_3
; %bb.1:
	v_lshl_add_u32 v6, v1, 4, v0
	v_lshrrev_b32_e32 v8, 3, v6
	v_add_u32_e32 v4, s3, v8
	v_ashrrev_i32_e32 v5, 31, v4
	v_and_b32_e32 v2, 7, v0
	v_mov_b32_e32 v3, 0
	v_mul_lo_u32 v7, s22, v5
	v_mul_lo_u32 v9, s23, v4
	v_mad_u64_u32 v[4:5], s[0:1], s22, v4, v[2:3]
	v_lshlrev_b32_e32 v2, 4, v2
	v_lshl_or_b32 v2, v8, 7, v2
	v_add3_u32 v5, v9, v5, v7
	v_and_b32_e32 v9, 31, v6
	v_add_u32_e32 v23, 0x1000, v2
	v_mov_b32_e32 v2, 0x1000
	v_add_u32_e32 v8, s2, v9
	v_lshrrev_b32_e32 v6, 5, v6
	v_mov_b32_e32 v7, v3
	v_lshlrev_b32_e32 v3, 4, v9
	v_lshl_add_u32 v25, v1, 7, v2
	v_ashrrev_i32_e32 v2, 31, v8
	v_lshl_or_b32 v22, v6, 9, v3
	v_mul_lo_u32 v9, s16, v2
	v_mad_u64_u32 v[2:3], s[0:1], s16, v8, v[6:7]
	v_mul_lo_u32 v6, s17, v8
	s_mul_i32 s6, s19, s8
	s_mul_hi_u32 s7, s18, s8
	s_add_i32 s1, s7, s6
	s_mul_i32 s0, s18, s8
	s_lshl_b64 s[0:1], s[0:1], 4
	v_add3_u32 v3, v6, v3, v9
	v_lshlrev_b64 v[2:3], 4, v[2:3]
	s_add_u32 s0, s14, s0
	s_addc_u32 s1, s15, s1
	v_mov_b32_e32 v6, s1
	v_add_co_u32_e32 v2, vcc, s0, v2
	s_mul_i32 s0, s25, s8
	s_mul_hi_u32 s1, s24, s8
	s_add_i32 s1, s1, s0
	s_mul_i32 s0, s24, s8
	v_addc_co_u32_e32 v3, vcc, v6, v3, vcc
	s_lshl_b64 s[0:1], s[0:1], 4
	v_add_co_u32_e32 v2, vcc, 8, v2
	v_lshlrev_b64 v[4:5], 4, v[4:5]
	s_add_u32 s0, s20, s0
	v_addc_co_u32_e32 v3, vcc, 0, v3, vcc
	s_addc_u32 s1, s21, s1
	v_mov_b32_e32 v6, s1
	v_add_co_u32_e32 v4, vcc, s0, v4
	v_addc_co_u32_e32 v5, vcc, v6, v5, vcc
	v_add_co_u32_e32 v4, vcc, 8, v4
	v_mov_b32_e32 v10, 0
	v_mov_b32_e32 v12, 0
	;; [unrolled: 1-line block ×8, first 2 shown]
	v_lshlrev_b32_e32 v24, 4, v0
	v_addc_co_u32_e32 v5, vcc, 0, v5, vcc
	v_mov_b32_e32 v11, 0
	v_mov_b32_e32 v13, 0
	;; [unrolled: 1-line block ×8, first 2 shown]
	s_mov_b64 s[0:1], 0
.LBB1158_2:                             ; =>This Inner Loop Header: Depth=1
	global_load_dwordx4 v[26:29], v[2:3], off offset:-8
	s_add_u32 s0, s0, 8
	v_add_co_u32_e32 v2, vcc, 0x80, v2
	s_addc_u32 s1, s1, 0
	v_addc_co_u32_e32 v3, vcc, 0, v3, vcc
	s_waitcnt vmcnt(0)
	ds_write_b128 v22, v[26:29]
	global_load_dwordx4 v[26:29], v[4:5], off offset:-8
	v_add_co_u32_e32 v4, vcc, 0x80, v4
	v_addc_co_u32_e32 v5, vcc, 0, v5, vcc
	s_waitcnt vmcnt(0)
	ds_write_b128 v23, v[26:29]
	s_waitcnt lgkmcnt(0)
	s_barrier
	ds_read_b128 v[26:29], v25
	ds_read_b128 v[30:33], v25 offset:16
	ds_read_b128 v[34:37], v25 offset:32
	;; [unrolled: 1-line block ×3, first 2 shown]
	ds_read_b128 v[42:45], v24
	s_waitcnt lgkmcnt(0)
	v_mul_f64 v[46:47], v[28:29], v[44:45]
	v_mul_f64 v[48:49], v[26:27], v[44:45]
	v_fma_f64 v[46:47], v[26:27], v[42:43], -v[46:47]
	v_fma_f64 v[48:49], v[28:29], v[42:43], v[48:49]
	v_add_f64 v[46:47], v[14:15], v[46:47]
	v_add_f64 v[48:49], v[48:49], v[16:17]
	ds_read_b128 v[14:17], v24 offset:256
	s_waitcnt lgkmcnt(0)
	v_mul_f64 v[50:51], v[28:29], v[16:17]
	v_fma_f64 v[50:51], v[26:27], v[14:15], -v[50:51]
	v_mul_f64 v[26:27], v[26:27], v[16:17]
	v_fma_f64 v[26:27], v[28:29], v[14:15], v[26:27]
	v_add_f64 v[28:29], v[8:9], v[50:51]
	v_add_f64 v[26:27], v[26:27], v[6:7]
	ds_read_b128 v[6:9], v25 offset:2048
	s_waitcnt lgkmcnt(0)
	v_mul_f64 v[50:51], v[8:9], v[44:45]
	v_mul_f64 v[44:45], v[6:7], v[44:45]
	v_fma_f64 v[50:51], v[6:7], v[42:43], -v[50:51]
	v_fma_f64 v[42:43], v[8:9], v[42:43], v[44:45]
	v_add_f64 v[20:21], v[20:21], v[50:51]
	v_add_f64 v[18:19], v[42:43], v[18:19]
	v_mul_f64 v[42:43], v[8:9], v[16:17]
	v_fma_f64 v[42:43], v[6:7], v[14:15], -v[42:43]
	v_mul_f64 v[6:7], v[6:7], v[16:17]
	v_add_f64 v[42:43], v[12:13], v[42:43]
	v_fma_f64 v[6:7], v[8:9], v[14:15], v[6:7]
	v_add_f64 v[44:45], v[6:7], v[10:11]
	ds_read_b128 v[6:9], v24 offset:512
	s_waitcnt lgkmcnt(0)
	v_mul_f64 v[10:11], v[32:33], v[8:9]
	v_mul_f64 v[12:13], v[30:31], v[8:9]
	v_fma_f64 v[10:11], v[30:31], v[6:7], -v[10:11]
	v_fma_f64 v[12:13], v[32:33], v[6:7], v[12:13]
	v_add_f64 v[46:47], v[46:47], v[10:11]
	v_add_f64 v[48:49], v[12:13], v[48:49]
	ds_read_b128 v[10:13], v24 offset:768
	s_waitcnt lgkmcnt(0)
	v_mul_f64 v[14:15], v[32:33], v[12:13]
	v_mul_f64 v[16:17], v[30:31], v[12:13]
	v_fma_f64 v[14:15], v[30:31], v[10:11], -v[14:15]
	v_fma_f64 v[16:17], v[32:33], v[10:11], v[16:17]
	v_add_f64 v[28:29], v[28:29], v[14:15]
	v_add_f64 v[26:27], v[16:17], v[26:27]
	ds_read_b128 v[14:17], v25 offset:2064
	s_waitcnt lgkmcnt(0)
	v_mul_f64 v[30:31], v[16:17], v[8:9]
	v_mul_f64 v[8:9], v[14:15], v[8:9]
	v_fma_f64 v[30:31], v[14:15], v[6:7], -v[30:31]
	v_fma_f64 v[6:7], v[16:17], v[6:7], v[8:9]
	v_mul_f64 v[8:9], v[14:15], v[12:13]
	v_add_f64 v[20:21], v[20:21], v[30:31]
	v_add_f64 v[18:19], v[6:7], v[18:19]
	v_mul_f64 v[6:7], v[16:17], v[12:13]
	v_fma_f64 v[8:9], v[16:17], v[10:11], v[8:9]
	v_fma_f64 v[6:7], v[14:15], v[10:11], -v[6:7]
	v_add_f64 v[32:33], v[8:9], v[44:45]
	v_add_f64 v[30:31], v[42:43], v[6:7]
	ds_read_b128 v[6:9], v24 offset:1024
	s_waitcnt lgkmcnt(0)
	v_mul_f64 v[10:11], v[36:37], v[8:9]
	v_mul_f64 v[12:13], v[34:35], v[8:9]
	v_fma_f64 v[10:11], v[34:35], v[6:7], -v[10:11]
	v_fma_f64 v[12:13], v[36:37], v[6:7], v[12:13]
	v_add_f64 v[42:43], v[46:47], v[10:11]
	v_add_f64 v[44:45], v[12:13], v[48:49]
	ds_read_b128 v[10:13], v24 offset:1280
	s_waitcnt lgkmcnt(0)
	v_mul_f64 v[14:15], v[36:37], v[12:13]
	v_mul_f64 v[16:17], v[34:35], v[12:13]
	v_fma_f64 v[14:15], v[34:35], v[10:11], -v[14:15]
	v_fma_f64 v[16:17], v[36:37], v[10:11], v[16:17]
	v_add_f64 v[28:29], v[28:29], v[14:15]
	v_add_f64 v[26:27], v[16:17], v[26:27]
	ds_read_b128 v[14:17], v25 offset:2080
	s_waitcnt lgkmcnt(0)
	v_mul_f64 v[34:35], v[16:17], v[8:9]
	v_mul_f64 v[8:9], v[14:15], v[8:9]
	v_fma_f64 v[34:35], v[14:15], v[6:7], -v[34:35]
	v_fma_f64 v[6:7], v[16:17], v[6:7], v[8:9]
	v_mul_f64 v[8:9], v[14:15], v[12:13]
	v_add_f64 v[20:21], v[20:21], v[34:35]
	v_add_f64 v[18:19], v[6:7], v[18:19]
	v_mul_f64 v[6:7], v[16:17], v[12:13]
	v_fma_f64 v[8:9], v[16:17], v[10:11], v[8:9]
	v_fma_f64 v[6:7], v[14:15], v[10:11], -v[6:7]
	v_add_f64 v[32:33], v[8:9], v[32:33]
	;; [unrolled: 30-line block ×3, first 2 shown]
	v_add_f64 v[30:31], v[30:31], v[6:7]
	ds_read_b128 v[6:9], v25 offset:64
	ds_read_b128 v[10:13], v24 offset:2048
	s_waitcnt lgkmcnt(0)
	v_mul_f64 v[14:15], v[8:9], v[12:13]
	v_mul_f64 v[16:17], v[6:7], v[12:13]
	v_fma_f64 v[14:15], v[6:7], v[10:11], -v[14:15]
	v_fma_f64 v[16:17], v[8:9], v[10:11], v[16:17]
	v_add_f64 v[34:35], v[34:35], v[14:15]
	v_add_f64 v[36:37], v[16:17], v[36:37]
	ds_read_b128 v[14:17], v24 offset:2304
	s_waitcnt lgkmcnt(0)
	v_mul_f64 v[38:39], v[8:9], v[16:17]
	v_fma_f64 v[38:39], v[6:7], v[14:15], -v[38:39]
	v_mul_f64 v[6:7], v[6:7], v[16:17]
	v_add_f64 v[28:29], v[28:29], v[38:39]
	v_fma_f64 v[6:7], v[8:9], v[14:15], v[6:7]
	v_add_f64 v[26:27], v[6:7], v[26:27]
	ds_read_b128 v[6:9], v25 offset:2112
	s_waitcnt lgkmcnt(0)
	v_mul_f64 v[38:39], v[8:9], v[12:13]
	v_mul_f64 v[12:13], v[6:7], v[12:13]
	v_fma_f64 v[38:39], v[6:7], v[10:11], -v[38:39]
	v_fma_f64 v[10:11], v[8:9], v[10:11], v[12:13]
	v_add_f64 v[20:21], v[20:21], v[38:39]
	v_add_f64 v[18:19], v[10:11], v[18:19]
	v_mul_f64 v[10:11], v[8:9], v[16:17]
	v_fma_f64 v[10:11], v[6:7], v[14:15], -v[10:11]
	v_mul_f64 v[6:7], v[6:7], v[16:17]
	v_add_f64 v[30:31], v[30:31], v[10:11]
	v_fma_f64 v[6:7], v[8:9], v[14:15], v[6:7]
	v_add_f64 v[32:33], v[6:7], v[32:33]
	ds_read_b128 v[6:9], v25 offset:80
	ds_read_b128 v[10:13], v24 offset:2560
	s_waitcnt lgkmcnt(0)
	v_mul_f64 v[14:15], v[8:9], v[12:13]
	v_mul_f64 v[16:17], v[6:7], v[12:13]
	v_fma_f64 v[14:15], v[6:7], v[10:11], -v[14:15]
	v_fma_f64 v[16:17], v[8:9], v[10:11], v[16:17]
	v_add_f64 v[34:35], v[34:35], v[14:15]
	v_add_f64 v[36:37], v[16:17], v[36:37]
	ds_read_b128 v[14:17], v24 offset:2816
	s_waitcnt lgkmcnt(0)
	v_mul_f64 v[38:39], v[8:9], v[16:17]
	v_fma_f64 v[38:39], v[6:7], v[14:15], -v[38:39]
	v_mul_f64 v[6:7], v[6:7], v[16:17]
	v_add_f64 v[28:29], v[28:29], v[38:39]
	v_fma_f64 v[6:7], v[8:9], v[14:15], v[6:7]
	v_add_f64 v[26:27], v[6:7], v[26:27]
	ds_read_b128 v[6:9], v25 offset:2128
	s_waitcnt lgkmcnt(0)
	v_mul_f64 v[38:39], v[8:9], v[12:13]
	v_mul_f64 v[12:13], v[6:7], v[12:13]
	v_fma_f64 v[38:39], v[6:7], v[10:11], -v[38:39]
	v_fma_f64 v[10:11], v[8:9], v[10:11], v[12:13]
	v_add_f64 v[20:21], v[20:21], v[38:39]
	v_add_f64 v[18:19], v[10:11], v[18:19]
	v_mul_f64 v[10:11], v[8:9], v[16:17]
	v_fma_f64 v[10:11], v[6:7], v[14:15], -v[10:11]
	v_mul_f64 v[6:7], v[6:7], v[16:17]
	v_add_f64 v[30:31], v[30:31], v[10:11]
	v_fma_f64 v[6:7], v[8:9], v[14:15], v[6:7]
	;; [unrolled: 31-line block ×3, first 2 shown]
	v_add_f64 v[44:45], v[6:7], v[32:33]
	ds_read_b128 v[6:9], v25 offset:112
	ds_read_b128 v[10:13], v24 offset:3584
	;; [unrolled: 1-line block ×3, first 2 shown]
	s_waitcnt lgkmcnt(1)
	v_mul_f64 v[14:15], v[8:9], v[12:13]
	s_waitcnt lgkmcnt(0)
	v_mul_f64 v[30:31], v[8:9], v[28:29]
	v_mul_f64 v[16:17], v[6:7], v[12:13]
	v_fma_f64 v[14:15], v[6:7], v[10:11], -v[14:15]
	v_fma_f64 v[30:31], v[6:7], v[26:27], -v[30:31]
	v_mul_f64 v[6:7], v[6:7], v[28:29]
	v_fma_f64 v[16:17], v[8:9], v[10:11], v[16:17]
	v_add_f64 v[14:15], v[34:35], v[14:15]
	v_fma_f64 v[6:7], v[8:9], v[26:27], v[6:7]
	v_add_f64 v[8:9], v[38:39], v[30:31]
	ds_read_b128 v[30:33], v25 offset:2160
	v_add_f64 v[16:17], v[16:17], v[36:37]
	s_waitcnt lgkmcnt(0)
	s_barrier
	v_mul_f64 v[34:35], v[32:33], v[12:13]
	v_mul_f64 v[12:13], v[30:31], v[12:13]
	v_add_f64 v[6:7], v[6:7], v[40:41]
	v_fma_f64 v[34:35], v[30:31], v[10:11], -v[34:35]
	v_fma_f64 v[10:11], v[32:33], v[10:11], v[12:13]
	v_mul_f64 v[12:13], v[30:31], v[28:29]
	v_add_f64 v[20:21], v[20:21], v[34:35]
	v_add_f64 v[18:19], v[10:11], v[18:19]
	v_mul_f64 v[10:11], v[32:33], v[28:29]
	v_fma_f64 v[10:11], v[30:31], v[26:27], -v[10:11]
	v_fma_f64 v[26:27], v[32:33], v[26:27], v[12:13]
	v_add_f64 v[12:13], v[42:43], v[10:11]
	v_add_f64 v[10:11], v[26:27], v[44:45]
	v_mov_b32_e32 v27, s1
	v_mov_b32_e32 v26, s0
	v_cmp_le_u64_e32 vcc, s[12:13], v[26:27]
	s_cbranch_vccz .LBB1158_2
	s_branch .LBB1158_4
.LBB1158_3:
	v_mov_b32_e32 v14, 0
	v_mov_b32_e32 v16, 0
	;; [unrolled: 1-line block ×16, first 2 shown]
.LBB1158_4:
	s_load_dwordx4 s[12:15], s[4:5], 0x48
	s_load_dword s9, s[4:5], 0x0
	v_add_u32_e32 v4, s3, v1
	v_ashrrev_i32_e32 v1, 31, v4
	v_add_u32_e32 v0, s2, v0
	s_waitcnt lgkmcnt(0)
	v_mul_lo_u32 v3, s12, v1
	v_mul_lo_u32 v5, s13, v4
	v_mad_u64_u32 v[1:2], s[4:5], s12, v4, 0
	s_mul_i32 s1, s15, s8
	s_mul_hi_u32 s3, s14, s8
	s_mul_i32 s0, s14, s8
	s_add_i32 s1, s3, s1
	s_lshl_b64 s[0:1], s[0:1], 4
	v_add3_u32 v2, v2, v3, v5
	s_add_u32 s6, s26, s0
	v_lshlrev_b64 v[1:2], 4, v[1:2]
	s_addc_u32 s7, s27, s1
	v_mov_b32_e32 v3, s7
	v_add_co_u32_e32 v5, vcc, s6, v1
	v_addc_co_u32_e32 v22, vcc, v3, v2, vcc
	v_cmp_le_i32_e64 s[0:1], v4, v0
	v_cmp_gt_i32_e32 vcc, s9, v0
	s_and_b64 s[0:1], s[0:1], vcc
	s_and_saveexec_b64 s[2:3], s[0:1]
	s_cbranch_execz .LBB1158_6
; %bb.5:
	v_ashrrev_i32_e32 v1, 31, v0
	v_lshlrev_b64 v[1:2], 4, v[0:1]
	v_add_co_u32_e64 v1, s[0:1], v5, v1
	v_addc_co_u32_e64 v2, s[0:1], v22, v2, s[0:1]
	global_load_dwordx4 v[23:26], v[1:2], off
	s_waitcnt vmcnt(0)
	v_add_f64 v[14:15], v[14:15], v[23:24]
	v_add_f64 v[16:17], v[16:17], v[25:26]
	global_store_dwordx4 v[1:2], v[14:17], off
.LBB1158_6:
	s_or_b64 exec, exec, s[2:3]
	v_add_u32_e32 v2, 16, v0
	v_cmp_le_i32_e64 s[2:3], v4, v2
	v_cmp_gt_i32_e64 s[0:1], s9, v2
	s_and_b64 s[2:3], s[2:3], s[0:1]
	s_and_saveexec_b64 s[4:5], s[2:3]
	s_cbranch_execz .LBB1158_8
; %bb.7:
	v_ashrrev_i32_e32 v3, 31, v2
	v_lshlrev_b64 v[14:15], 4, v[2:3]
	v_add_co_u32_e64 v23, s[2:3], v5, v14
	v_addc_co_u32_e64 v24, s[2:3], v22, v15, s[2:3]
	global_load_dwordx4 v[14:17], v[23:24], off
	s_waitcnt vmcnt(0)
	v_add_f64 v[14:15], v[8:9], v[14:15]
	v_add_f64 v[16:17], v[6:7], v[16:17]
	global_store_dwordx4 v[23:24], v[14:17], off
.LBB1158_8:
	s_or_b64 exec, exec, s[4:5]
	v_add_u32_e32 v3, 16, v4
	v_ashrrev_i32_e32 v1, 31, v3
	v_mul_lo_u32 v6, s13, v3
	v_mad_u64_u32 v[4:5], s[2:3], s12, v3, 0
	v_mul_lo_u32 v1, s12, v1
	v_add3_u32 v5, v5, v1, v6
	v_lshlrev_b64 v[4:5], 4, v[4:5]
	v_mov_b32_e32 v1, s7
	v_add_co_u32_e64 v4, s[2:3], s6, v4
	v_addc_co_u32_e64 v5, s[2:3], v1, v5, s[2:3]
	v_cmp_le_i32_e64 s[2:3], v3, v0
	s_and_b64 s[4:5], s[2:3], vcc
	s_and_saveexec_b64 s[2:3], s[4:5]
	s_cbranch_execz .LBB1158_10
; %bb.9:
	v_ashrrev_i32_e32 v1, 31, v0
	v_lshlrev_b64 v[0:1], 4, v[0:1]
	v_add_co_u32_e32 v0, vcc, v4, v0
	v_addc_co_u32_e32 v1, vcc, v5, v1, vcc
	global_load_dwordx4 v[6:9], v[0:1], off
	s_waitcnt vmcnt(0)
	v_add_f64 v[6:7], v[20:21], v[6:7]
	v_add_f64 v[8:9], v[18:19], v[8:9]
	global_store_dwordx4 v[0:1], v[6:9], off
.LBB1158_10:
	s_or_b64 exec, exec, s[2:3]
	v_cmp_le_i32_e32 vcc, v3, v2
	s_and_b64 s[0:1], vcc, s[0:1]
	s_and_saveexec_b64 s[2:3], s[0:1]
	s_cbranch_execz .LBB1158_12
; %bb.11:
	v_ashrrev_i32_e32 v3, 31, v2
	v_lshlrev_b64 v[0:1], 4, v[2:3]
	v_add_co_u32_e32 v4, vcc, v4, v0
	v_addc_co_u32_e32 v5, vcc, v5, v1, vcc
	global_load_dwordx4 v[0:3], v[4:5], off
	s_waitcnt vmcnt(0)
	v_add_f64 v[0:1], v[12:13], v[0:1]
	v_add_f64 v[2:3], v[10:11], v[2:3]
	global_store_dwordx4 v[4:5], v[0:3], off
.LBB1158_12:
	s_endpgm
	.section	.rodata,"a",@progbits
	.p2align	6, 0x0
	.amdhsa_kernel _ZL37rocblas_syrkx_herkx_restricted_kernelIl19rocblas_complex_numIdELi16ELi32ELi8ELi1ELi1ELb0ELc67ELc76EKS1_S1_EviT_PT9_S3_lS5_S3_lPT10_S3_li
		.amdhsa_group_segment_fixed_size 8192
		.amdhsa_private_segment_fixed_size 0
		.amdhsa_kernarg_size 92
		.amdhsa_user_sgpr_count 6
		.amdhsa_user_sgpr_private_segment_buffer 1
		.amdhsa_user_sgpr_dispatch_ptr 0
		.amdhsa_user_sgpr_queue_ptr 0
		.amdhsa_user_sgpr_kernarg_segment_ptr 1
		.amdhsa_user_sgpr_dispatch_id 0
		.amdhsa_user_sgpr_flat_scratch_init 0
		.amdhsa_user_sgpr_private_segment_size 0
		.amdhsa_uses_dynamic_stack 0
		.amdhsa_system_sgpr_private_segment_wavefront_offset 0
		.amdhsa_system_sgpr_workgroup_id_x 1
		.amdhsa_system_sgpr_workgroup_id_y 1
		.amdhsa_system_sgpr_workgroup_id_z 1
		.amdhsa_system_sgpr_workgroup_info 0
		.amdhsa_system_vgpr_workitem_id 1
		.amdhsa_next_free_vgpr 52
		.amdhsa_next_free_sgpr 61
		.amdhsa_reserve_vcc 1
		.amdhsa_reserve_flat_scratch 0
		.amdhsa_float_round_mode_32 0
		.amdhsa_float_round_mode_16_64 0
		.amdhsa_float_denorm_mode_32 3
		.amdhsa_float_denorm_mode_16_64 3
		.amdhsa_dx10_clamp 1
		.amdhsa_ieee_mode 1
		.amdhsa_fp16_overflow 0
		.amdhsa_exception_fp_ieee_invalid_op 0
		.amdhsa_exception_fp_denorm_src 0
		.amdhsa_exception_fp_ieee_div_zero 0
		.amdhsa_exception_fp_ieee_overflow 0
		.amdhsa_exception_fp_ieee_underflow 0
		.amdhsa_exception_fp_ieee_inexact 0
		.amdhsa_exception_int_div_zero 0
	.end_amdhsa_kernel
	.section	.text._ZL37rocblas_syrkx_herkx_restricted_kernelIl19rocblas_complex_numIdELi16ELi32ELi8ELi1ELi1ELb0ELc67ELc76EKS1_S1_EviT_PT9_S3_lS5_S3_lPT10_S3_li,"axG",@progbits,_ZL37rocblas_syrkx_herkx_restricted_kernelIl19rocblas_complex_numIdELi16ELi32ELi8ELi1ELi1ELb0ELc67ELc76EKS1_S1_EviT_PT9_S3_lS5_S3_lPT10_S3_li,comdat
.Lfunc_end1158:
	.size	_ZL37rocblas_syrkx_herkx_restricted_kernelIl19rocblas_complex_numIdELi16ELi32ELi8ELi1ELi1ELb0ELc67ELc76EKS1_S1_EviT_PT9_S3_lS5_S3_lPT10_S3_li, .Lfunc_end1158-_ZL37rocblas_syrkx_herkx_restricted_kernelIl19rocblas_complex_numIdELi16ELi32ELi8ELi1ELi1ELb0ELc67ELc76EKS1_S1_EviT_PT9_S3_lS5_S3_lPT10_S3_li
                                        ; -- End function
	.set _ZL37rocblas_syrkx_herkx_restricted_kernelIl19rocblas_complex_numIdELi16ELi32ELi8ELi1ELi1ELb0ELc67ELc76EKS1_S1_EviT_PT9_S3_lS5_S3_lPT10_S3_li.num_vgpr, 52
	.set _ZL37rocblas_syrkx_herkx_restricted_kernelIl19rocblas_complex_numIdELi16ELi32ELi8ELi1ELi1ELb0ELc67ELc76EKS1_S1_EviT_PT9_S3_lS5_S3_lPT10_S3_li.num_agpr, 0
	.set _ZL37rocblas_syrkx_herkx_restricted_kernelIl19rocblas_complex_numIdELi16ELi32ELi8ELi1ELi1ELb0ELc67ELc76EKS1_S1_EviT_PT9_S3_lS5_S3_lPT10_S3_li.numbered_sgpr, 28
	.set _ZL37rocblas_syrkx_herkx_restricted_kernelIl19rocblas_complex_numIdELi16ELi32ELi8ELi1ELi1ELb0ELc67ELc76EKS1_S1_EviT_PT9_S3_lS5_S3_lPT10_S3_li.num_named_barrier, 0
	.set _ZL37rocblas_syrkx_herkx_restricted_kernelIl19rocblas_complex_numIdELi16ELi32ELi8ELi1ELi1ELb0ELc67ELc76EKS1_S1_EviT_PT9_S3_lS5_S3_lPT10_S3_li.private_seg_size, 0
	.set _ZL37rocblas_syrkx_herkx_restricted_kernelIl19rocblas_complex_numIdELi16ELi32ELi8ELi1ELi1ELb0ELc67ELc76EKS1_S1_EviT_PT9_S3_lS5_S3_lPT10_S3_li.uses_vcc, 1
	.set _ZL37rocblas_syrkx_herkx_restricted_kernelIl19rocblas_complex_numIdELi16ELi32ELi8ELi1ELi1ELb0ELc67ELc76EKS1_S1_EviT_PT9_S3_lS5_S3_lPT10_S3_li.uses_flat_scratch, 0
	.set _ZL37rocblas_syrkx_herkx_restricted_kernelIl19rocblas_complex_numIdELi16ELi32ELi8ELi1ELi1ELb0ELc67ELc76EKS1_S1_EviT_PT9_S3_lS5_S3_lPT10_S3_li.has_dyn_sized_stack, 0
	.set _ZL37rocblas_syrkx_herkx_restricted_kernelIl19rocblas_complex_numIdELi16ELi32ELi8ELi1ELi1ELb0ELc67ELc76EKS1_S1_EviT_PT9_S3_lS5_S3_lPT10_S3_li.has_recursion, 0
	.set _ZL37rocblas_syrkx_herkx_restricted_kernelIl19rocblas_complex_numIdELi16ELi32ELi8ELi1ELi1ELb0ELc67ELc76EKS1_S1_EviT_PT9_S3_lS5_S3_lPT10_S3_li.has_indirect_call, 0
	.section	.AMDGPU.csdata,"",@progbits
; Kernel info:
; codeLenInByte = 2964
; TotalNumSgprs: 32
; NumVgprs: 52
; ScratchSize: 0
; MemoryBound: 0
; FloatMode: 240
; IeeeMode: 1
; LDSByteSize: 8192 bytes/workgroup (compile time only)
; SGPRBlocks: 8
; VGPRBlocks: 12
; NumSGPRsForWavesPerEU: 65
; NumVGPRsForWavesPerEU: 52
; Occupancy: 4
; WaveLimiterHint : 1
; COMPUTE_PGM_RSRC2:SCRATCH_EN: 0
; COMPUTE_PGM_RSRC2:USER_SGPR: 6
; COMPUTE_PGM_RSRC2:TRAP_HANDLER: 0
; COMPUTE_PGM_RSRC2:TGID_X_EN: 1
; COMPUTE_PGM_RSRC2:TGID_Y_EN: 1
; COMPUTE_PGM_RSRC2:TGID_Z_EN: 1
; COMPUTE_PGM_RSRC2:TIDIG_COMP_CNT: 1
	.section	.text._ZL37rocblas_syrkx_herkx_restricted_kernelIl19rocblas_complex_numIdELi16ELi32ELi8ELi1ELi1ELb0ELc78ELc76EKS1_S1_EviT_PT9_S3_lS5_S3_lPT10_S3_li,"axG",@progbits,_ZL37rocblas_syrkx_herkx_restricted_kernelIl19rocblas_complex_numIdELi16ELi32ELi8ELi1ELi1ELb0ELc78ELc76EKS1_S1_EviT_PT9_S3_lS5_S3_lPT10_S3_li,comdat
	.globl	_ZL37rocblas_syrkx_herkx_restricted_kernelIl19rocblas_complex_numIdELi16ELi32ELi8ELi1ELi1ELb0ELc78ELc76EKS1_S1_EviT_PT9_S3_lS5_S3_lPT10_S3_li ; -- Begin function _ZL37rocblas_syrkx_herkx_restricted_kernelIl19rocblas_complex_numIdELi16ELi32ELi8ELi1ELi1ELb0ELc78ELc76EKS1_S1_EviT_PT9_S3_lS5_S3_lPT10_S3_li
	.p2align	8
	.type	_ZL37rocblas_syrkx_herkx_restricted_kernelIl19rocblas_complex_numIdELi16ELi32ELi8ELi1ELi1ELb0ELc78ELc76EKS1_S1_EviT_PT9_S3_lS5_S3_lPT10_S3_li,@function
_ZL37rocblas_syrkx_herkx_restricted_kernelIl19rocblas_complex_numIdELi16ELi32ELi8ELi1ELi1ELb0ELc78ELc76EKS1_S1_EviT_PT9_S3_lS5_S3_lPT10_S3_li: ; @_ZL37rocblas_syrkx_herkx_restricted_kernelIl19rocblas_complex_numIdELi16ELi32ELi8ELi1ELi1ELb0ELc78ELc76EKS1_S1_EviT_PT9_S3_lS5_S3_lPT10_S3_li
; %bb.0:
	s_load_dwordx16 s[12:27], s[4:5], 0x8
	s_lshl_b32 s9, s6, 5
	s_lshl_b32 s10, s7, 5
	s_waitcnt lgkmcnt(0)
	v_cmp_lt_i64_e64 s[0:1], s[12:13], 1
	s_and_b64 vcc, exec, s[0:1]
	s_cbranch_vccnz .LBB1159_3
; %bb.1:
	v_lshl_add_u32 v7, v1, 4, v0
	v_lshrrev_b32_e32 v8, 3, v7
	v_add_u32_e32 v2, s10, v8
	v_and_b32_e32 v6, 7, v0
	v_ashrrev_i32_e32 v3, 31, v2
	v_mad_u64_u32 v[4:5], s[0:1], s22, v6, v[2:3]
	v_lshrrev_b32_e32 v9, 5, v7
	s_mul_i32 s2, s19, s8
	v_mov_b32_e32 v2, v5
	v_mad_u64_u32 v[2:3], s[0:1], s23, v6, v[2:3]
	v_and_b32_e32 v3, 31, v7
	v_lshlrev_b32_e32 v7, 4, v3
	v_mov_b32_e32 v5, v2
	v_lshlrev_b32_e32 v2, 4, v6
	v_lshl_or_b32 v2, v8, 7, v2
	v_add_u32_e32 v23, 0x1000, v2
	v_add_u32_e32 v2, s9, v3
	v_ashrrev_i32_e32 v3, 31, v2
	v_mad_u64_u32 v[2:3], s[0:1], s16, v9, v[2:3]
	v_mov_b32_e32 v6, 0x1000
	v_lshl_or_b32 v22, v9, 9, v7
	v_lshl_add_u32 v25, v1, 7, v6
	v_mad_u64_u32 v[6:7], s[0:1], s17, v9, v[3:4]
	s_mul_hi_u32 s3, s18, s8
	s_add_i32 s1, s3, s2
	s_mul_i32 s0, s18, s8
	s_lshl_b64 s[0:1], s[0:1], 4
	v_mov_b32_e32 v3, v6
	v_lshlrev_b64 v[2:3], 4, v[2:3]
	s_add_u32 s0, s14, s0
	s_addc_u32 s1, s15, s1
	s_mul_i32 s2, s25, s8
	s_mul_hi_u32 s3, s24, s8
	v_mov_b32_e32 v6, s1
	v_add_co_u32_e32 v2, vcc, s0, v2
	s_add_i32 s3, s3, s2
	s_mul_i32 s2, s24, s8
	v_addc_co_u32_e32 v3, vcc, v6, v3, vcc
	s_lshl_b64 s[0:1], s[16:17], 7
	s_lshl_b64 s[2:3], s[2:3], 4
	v_add_co_u32_e32 v2, vcc, 8, v2
	v_lshlrev_b64 v[4:5], 4, v[4:5]
	s_add_u32 s2, s20, s2
	v_addc_co_u32_e32 v3, vcc, 0, v3, vcc
	s_addc_u32 s3, s21, s3
	v_mov_b32_e32 v6, s3
	v_add_co_u32_e32 v4, vcc, s2, v4
	v_addc_co_u32_e32 v5, vcc, v6, v5, vcc
	v_add_co_u32_e32 v4, vcc, 8, v4
	s_lshl_b64 s[2:3], s[22:23], 7
	v_mov_b32_e32 v10, 0
	v_mov_b32_e32 v12, 0
	;; [unrolled: 1-line block ×8, first 2 shown]
	v_lshlrev_b32_e32 v24, 4, v0
	v_addc_co_u32_e32 v5, vcc, 0, v5, vcc
	v_mov_b32_e32 v11, 0
	s_mov_b64 s[6:7], 0
	v_mov_b32_e32 v26, s1
	v_mov_b32_e32 v13, 0
	;; [unrolled: 1-line block ×9, first 2 shown]
.LBB1159_2:                             ; =>This Inner Loop Header: Depth=1
	global_load_dwordx4 v[28:31], v[2:3], off offset:-8
	s_add_u32 s6, s6, 8
	v_add_co_u32_e32 v2, vcc, s0, v2
	s_addc_u32 s7, s7, 0
	v_addc_co_u32_e32 v3, vcc, v3, v26, vcc
	s_waitcnt vmcnt(0)
	ds_write_b128 v22, v[28:31]
	global_load_dwordx4 v[28:31], v[4:5], off offset:-8
	v_add_co_u32_e32 v4, vcc, s2, v4
	v_addc_co_u32_e32 v5, vcc, v5, v27, vcc
	s_waitcnt vmcnt(0)
	ds_write_b128 v23, v[28:31]
	s_waitcnt lgkmcnt(0)
	s_barrier
	ds_read_b128 v[28:31], v25
	ds_read_b128 v[32:35], v25 offset:16
	ds_read_b128 v[36:39], v25 offset:32
	;; [unrolled: 1-line block ×3, first 2 shown]
	ds_read_b128 v[44:47], v24
	s_waitcnt lgkmcnt(0)
	v_mul_f64 v[48:49], v[30:31], v[46:47]
	v_mul_f64 v[50:51], v[28:29], v[46:47]
	v_fma_f64 v[48:49], v[28:29], v[44:45], -v[48:49]
	v_fma_f64 v[50:51], v[30:31], v[44:45], v[50:51]
	v_add_f64 v[48:49], v[18:19], v[48:49]
	v_add_f64 v[50:51], v[50:51], v[20:21]
	ds_read_b128 v[18:21], v24 offset:256
	s_waitcnt lgkmcnt(0)
	v_mul_f64 v[52:53], v[30:31], v[20:21]
	v_fma_f64 v[52:53], v[28:29], v[18:19], -v[52:53]
	v_mul_f64 v[28:29], v[28:29], v[20:21]
	v_fma_f64 v[28:29], v[30:31], v[18:19], v[28:29]
	v_add_f64 v[30:31], v[8:9], v[52:53]
	v_add_f64 v[28:29], v[28:29], v[6:7]
	ds_read_b128 v[6:9], v25 offset:2048
	s_waitcnt lgkmcnt(0)
	v_mul_f64 v[52:53], v[8:9], v[46:47]
	v_mul_f64 v[46:47], v[6:7], v[46:47]
	v_fma_f64 v[52:53], v[6:7], v[44:45], -v[52:53]
	v_fma_f64 v[44:45], v[8:9], v[44:45], v[46:47]
	v_add_f64 v[46:47], v[16:17], v[52:53]
	v_add_f64 v[44:45], v[44:45], v[14:15]
	v_mul_f64 v[14:15], v[8:9], v[20:21]
	v_fma_f64 v[14:15], v[6:7], v[18:19], -v[14:15]
	v_mul_f64 v[6:7], v[6:7], v[20:21]
	v_fma_f64 v[6:7], v[8:9], v[18:19], v[6:7]
	v_add_f64 v[18:19], v[12:13], v[14:15]
	v_add_f64 v[20:21], v[6:7], v[10:11]
	ds_read_b128 v[6:9], v24 offset:512
	s_waitcnt lgkmcnt(0)
	v_mul_f64 v[10:11], v[34:35], v[8:9]
	v_mul_f64 v[12:13], v[32:33], v[8:9]
	v_fma_f64 v[10:11], v[32:33], v[6:7], -v[10:11]
	v_fma_f64 v[12:13], v[34:35], v[6:7], v[12:13]
	v_add_f64 v[48:49], v[48:49], v[10:11]
	v_add_f64 v[50:51], v[12:13], v[50:51]
	ds_read_b128 v[10:13], v24 offset:768
	s_waitcnt lgkmcnt(0)
	v_mul_f64 v[14:15], v[34:35], v[12:13]
	v_mul_f64 v[16:17], v[32:33], v[12:13]
	v_fma_f64 v[14:15], v[32:33], v[10:11], -v[14:15]
	;; [unrolled: 8-line block ×3, first 2 shown]
	v_fma_f64 v[6:7], v[16:17], v[6:7], v[8:9]
	v_mul_f64 v[8:9], v[14:15], v[12:13]
	v_add_f64 v[32:33], v[46:47], v[32:33]
	v_add_f64 v[34:35], v[6:7], v[44:45]
	v_mul_f64 v[6:7], v[16:17], v[12:13]
	v_fma_f64 v[8:9], v[16:17], v[10:11], v[8:9]
	v_fma_f64 v[6:7], v[14:15], v[10:11], -v[6:7]
	v_add_f64 v[20:21], v[8:9], v[20:21]
	v_add_f64 v[18:19], v[18:19], v[6:7]
	ds_read_b128 v[6:9], v24 offset:1024
	s_waitcnt lgkmcnt(0)
	v_mul_f64 v[10:11], v[38:39], v[8:9]
	v_mul_f64 v[12:13], v[36:37], v[8:9]
	v_fma_f64 v[10:11], v[36:37], v[6:7], -v[10:11]
	v_fma_f64 v[12:13], v[38:39], v[6:7], v[12:13]
	v_add_f64 v[44:45], v[48:49], v[10:11]
	v_add_f64 v[46:47], v[12:13], v[50:51]
	ds_read_b128 v[10:13], v24 offset:1280
	s_waitcnt lgkmcnt(0)
	v_mul_f64 v[14:15], v[38:39], v[12:13]
	v_mul_f64 v[16:17], v[36:37], v[12:13]
	v_fma_f64 v[14:15], v[36:37], v[10:11], -v[14:15]
	v_fma_f64 v[16:17], v[38:39], v[10:11], v[16:17]
	;; [unrolled: 8-line block ×3, first 2 shown]
	v_mul_f64 v[8:9], v[14:15], v[12:13]
	v_add_f64 v[32:33], v[32:33], v[36:37]
	v_add_f64 v[34:35], v[6:7], v[34:35]
	v_mul_f64 v[6:7], v[16:17], v[12:13]
	v_fma_f64 v[8:9], v[16:17], v[10:11], v[8:9]
	v_fma_f64 v[6:7], v[14:15], v[10:11], -v[6:7]
	v_add_f64 v[20:21], v[8:9], v[20:21]
	v_add_f64 v[18:19], v[18:19], v[6:7]
	ds_read_b128 v[6:9], v24 offset:1536
	s_waitcnt lgkmcnt(0)
	v_mul_f64 v[10:11], v[42:43], v[8:9]
	v_mul_f64 v[12:13], v[40:41], v[8:9]
	v_fma_f64 v[10:11], v[40:41], v[6:7], -v[10:11]
	v_fma_f64 v[12:13], v[42:43], v[6:7], v[12:13]
	v_add_f64 v[36:37], v[44:45], v[10:11]
	v_add_f64 v[38:39], v[12:13], v[46:47]
	ds_read_b128 v[10:13], v24 offset:1792
	s_waitcnt lgkmcnt(0)
	v_mul_f64 v[14:15], v[42:43], v[12:13]
	v_mul_f64 v[16:17], v[40:41], v[12:13]
	v_fma_f64 v[14:15], v[40:41], v[10:11], -v[14:15]
	v_fma_f64 v[16:17], v[42:43], v[10:11], v[16:17]
	;; [unrolled: 8-line block ×3, first 2 shown]
	v_mul_f64 v[8:9], v[14:15], v[12:13]
	v_add_f64 v[32:33], v[32:33], v[40:41]
	v_add_f64 v[34:35], v[6:7], v[34:35]
	v_mul_f64 v[6:7], v[16:17], v[12:13]
	v_fma_f64 v[8:9], v[16:17], v[10:11], v[8:9]
	v_fma_f64 v[6:7], v[14:15], v[10:11], -v[6:7]
	v_add_f64 v[20:21], v[8:9], v[20:21]
	v_add_f64 v[18:19], v[18:19], v[6:7]
	ds_read_b128 v[6:9], v25 offset:64
	ds_read_b128 v[10:13], v24 offset:2048
	s_waitcnt lgkmcnt(0)
	v_mul_f64 v[14:15], v[8:9], v[12:13]
	v_mul_f64 v[16:17], v[6:7], v[12:13]
	v_fma_f64 v[14:15], v[6:7], v[10:11], -v[14:15]
	v_fma_f64 v[16:17], v[8:9], v[10:11], v[16:17]
	v_add_f64 v[36:37], v[36:37], v[14:15]
	v_add_f64 v[38:39], v[16:17], v[38:39]
	ds_read_b128 v[14:17], v24 offset:2304
	s_waitcnt lgkmcnt(0)
	v_mul_f64 v[40:41], v[8:9], v[16:17]
	v_fma_f64 v[40:41], v[6:7], v[14:15], -v[40:41]
	v_mul_f64 v[6:7], v[6:7], v[16:17]
	v_add_f64 v[30:31], v[30:31], v[40:41]
	v_fma_f64 v[6:7], v[8:9], v[14:15], v[6:7]
	v_add_f64 v[28:29], v[6:7], v[28:29]
	ds_read_b128 v[6:9], v25 offset:2112
	s_waitcnt lgkmcnt(0)
	v_mul_f64 v[40:41], v[8:9], v[12:13]
	v_mul_f64 v[12:13], v[6:7], v[12:13]
	v_fma_f64 v[40:41], v[6:7], v[10:11], -v[40:41]
	v_fma_f64 v[10:11], v[8:9], v[10:11], v[12:13]
	v_add_f64 v[32:33], v[32:33], v[40:41]
	v_add_f64 v[34:35], v[10:11], v[34:35]
	v_mul_f64 v[10:11], v[8:9], v[16:17]
	v_fma_f64 v[10:11], v[6:7], v[14:15], -v[10:11]
	v_mul_f64 v[6:7], v[6:7], v[16:17]
	v_add_f64 v[18:19], v[18:19], v[10:11]
	v_fma_f64 v[6:7], v[8:9], v[14:15], v[6:7]
	v_add_f64 v[20:21], v[6:7], v[20:21]
	ds_read_b128 v[6:9], v25 offset:80
	ds_read_b128 v[10:13], v24 offset:2560
	s_waitcnt lgkmcnt(0)
	v_mul_f64 v[14:15], v[8:9], v[12:13]
	v_mul_f64 v[16:17], v[6:7], v[12:13]
	v_fma_f64 v[14:15], v[6:7], v[10:11], -v[14:15]
	v_fma_f64 v[16:17], v[8:9], v[10:11], v[16:17]
	v_add_f64 v[36:37], v[36:37], v[14:15]
	v_add_f64 v[38:39], v[16:17], v[38:39]
	ds_read_b128 v[14:17], v24 offset:2816
	s_waitcnt lgkmcnt(0)
	v_mul_f64 v[40:41], v[8:9], v[16:17]
	v_fma_f64 v[40:41], v[6:7], v[14:15], -v[40:41]
	v_mul_f64 v[6:7], v[6:7], v[16:17]
	v_add_f64 v[30:31], v[30:31], v[40:41]
	v_fma_f64 v[6:7], v[8:9], v[14:15], v[6:7]
	v_add_f64 v[28:29], v[6:7], v[28:29]
	ds_read_b128 v[6:9], v25 offset:2128
	s_waitcnt lgkmcnt(0)
	v_mul_f64 v[40:41], v[8:9], v[12:13]
	v_mul_f64 v[12:13], v[6:7], v[12:13]
	v_fma_f64 v[40:41], v[6:7], v[10:11], -v[40:41]
	v_fma_f64 v[10:11], v[8:9], v[10:11], v[12:13]
	v_add_f64 v[32:33], v[32:33], v[40:41]
	v_add_f64 v[34:35], v[10:11], v[34:35]
	v_mul_f64 v[10:11], v[8:9], v[16:17]
	v_fma_f64 v[10:11], v[6:7], v[14:15], -v[10:11]
	v_mul_f64 v[6:7], v[6:7], v[16:17]
	v_add_f64 v[18:19], v[18:19], v[10:11]
	v_fma_f64 v[6:7], v[8:9], v[14:15], v[6:7]
	;; [unrolled: 31-line block ×3, first 2 shown]
	v_add_f64 v[50:51], v[6:7], v[20:21]
	ds_read_b128 v[6:9], v25 offset:112
	ds_read_b128 v[10:13], v24 offset:3584
	;; [unrolled: 1-line block ×4, first 2 shown]
	s_waitcnt lgkmcnt(0)
	s_barrier
	v_mul_f64 v[14:15], v[8:9], v[12:13]
	v_mul_f64 v[16:17], v[6:7], v[12:13]
	v_fma_f64 v[14:15], v[6:7], v[10:11], -v[14:15]
	v_fma_f64 v[16:17], v[8:9], v[10:11], v[16:17]
	v_add_f64 v[18:19], v[36:37], v[14:15]
	v_mul_f64 v[14:15], v[8:9], v[30:31]
	v_add_f64 v[20:21], v[16:17], v[38:39]
	v_fma_f64 v[14:15], v[6:7], v[28:29], -v[14:15]
	v_mul_f64 v[6:7], v[6:7], v[30:31]
	v_fma_f64 v[6:7], v[8:9], v[28:29], v[6:7]
	v_add_f64 v[8:9], v[40:41], v[14:15]
	v_mul_f64 v[14:15], v[34:35], v[12:13]
	v_mul_f64 v[12:13], v[32:33], v[12:13]
	v_add_f64 v[6:7], v[6:7], v[42:43]
	v_fma_f64 v[14:15], v[32:33], v[10:11], -v[14:15]
	v_fma_f64 v[10:11], v[34:35], v[10:11], v[12:13]
	v_mul_f64 v[12:13], v[32:33], v[30:31]
	v_add_f64 v[16:17], v[44:45], v[14:15]
	v_add_f64 v[14:15], v[10:11], v[46:47]
	v_mul_f64 v[10:11], v[34:35], v[30:31]
	v_fma_f64 v[10:11], v[32:33], v[28:29], -v[10:11]
	v_fma_f64 v[28:29], v[34:35], v[28:29], v[12:13]
	v_add_f64 v[12:13], v[48:49], v[10:11]
	v_add_f64 v[10:11], v[28:29], v[50:51]
	v_mov_b32_e32 v29, s7
	v_mov_b32_e32 v28, s6
	v_cmp_le_u64_e32 vcc, s[12:13], v[28:29]
	s_cbranch_vccz .LBB1159_2
	s_branch .LBB1159_4
.LBB1159_3:
	v_mov_b32_e32 v18, 0
	v_mov_b32_e32 v20, 0
	;; [unrolled: 1-line block ×16, first 2 shown]
.LBB1159_4:
	s_load_dwordx4 s[12:15], s[4:5], 0x48
	s_load_dword s11, s[4:5], 0x0
	v_add_u32_e32 v4, s10, v1
	v_ashrrev_i32_e32 v1, 31, v4
	v_add_u32_e32 v0, s9, v0
	s_waitcnt lgkmcnt(0)
	s_mul_i32 s1, s15, s8
	s_mul_hi_u32 s2, s14, s8
	s_add_i32 s1, s2, s1
	v_mul_lo_u32 v3, s12, v1
	v_mul_lo_u32 v5, s13, v4
	v_mad_u64_u32 v[1:2], s[2:3], s12, v4, 0
	s_mul_i32 s0, s14, s8
	s_lshl_b64 s[0:1], s[0:1], 4
	v_add3_u32 v2, v2, v3, v5
	s_add_u32 s6, s26, s0
	v_lshlrev_b64 v[1:2], 4, v[1:2]
	s_addc_u32 s7, s27, s1
	v_mov_b32_e32 v3, s7
	v_add_co_u32_e32 v5, vcc, s6, v1
	v_addc_co_u32_e32 v22, vcc, v3, v2, vcc
	v_cmp_le_i32_e64 s[0:1], v4, v0
	v_cmp_gt_i32_e32 vcc, s11, v0
	s_and_b64 s[0:1], s[0:1], vcc
	s_and_saveexec_b64 s[2:3], s[0:1]
	s_cbranch_execz .LBB1159_6
; %bb.5:
	v_ashrrev_i32_e32 v1, 31, v0
	v_lshlrev_b64 v[1:2], 4, v[0:1]
	v_add_co_u32_e64 v1, s[0:1], v5, v1
	v_addc_co_u32_e64 v2, s[0:1], v22, v2, s[0:1]
	global_load_dwordx4 v[23:26], v[1:2], off
	s_waitcnt vmcnt(0)
	v_add_f64 v[18:19], v[18:19], v[23:24]
	v_add_f64 v[20:21], v[20:21], v[25:26]
	global_store_dwordx4 v[1:2], v[18:21], off
.LBB1159_6:
	s_or_b64 exec, exec, s[2:3]
	v_add_u32_e32 v2, 16, v0
	v_cmp_le_i32_e64 s[2:3], v4, v2
	v_cmp_gt_i32_e64 s[0:1], s11, v2
	s_and_b64 s[2:3], s[2:3], s[0:1]
	s_and_saveexec_b64 s[4:5], s[2:3]
	s_cbranch_execz .LBB1159_8
; %bb.7:
	v_ashrrev_i32_e32 v3, 31, v2
	v_lshlrev_b64 v[18:19], 4, v[2:3]
	v_add_co_u32_e64 v23, s[2:3], v5, v18
	v_addc_co_u32_e64 v24, s[2:3], v22, v19, s[2:3]
	global_load_dwordx4 v[18:21], v[23:24], off
	s_waitcnt vmcnt(0)
	v_add_f64 v[18:19], v[8:9], v[18:19]
	v_add_f64 v[20:21], v[6:7], v[20:21]
	global_store_dwordx4 v[23:24], v[18:21], off
.LBB1159_8:
	s_or_b64 exec, exec, s[4:5]
	v_add_u32_e32 v3, 16, v4
	v_ashrrev_i32_e32 v1, 31, v3
	v_mul_lo_u32 v6, s13, v3
	v_mad_u64_u32 v[4:5], s[2:3], s12, v3, 0
	v_mul_lo_u32 v1, s12, v1
	v_add3_u32 v5, v5, v1, v6
	v_lshlrev_b64 v[4:5], 4, v[4:5]
	v_mov_b32_e32 v1, s7
	v_add_co_u32_e64 v4, s[2:3], s6, v4
	v_addc_co_u32_e64 v5, s[2:3], v1, v5, s[2:3]
	v_cmp_le_i32_e64 s[2:3], v3, v0
	s_and_b64 s[4:5], s[2:3], vcc
	s_and_saveexec_b64 s[2:3], s[4:5]
	s_cbranch_execz .LBB1159_10
; %bb.9:
	v_ashrrev_i32_e32 v1, 31, v0
	v_lshlrev_b64 v[0:1], 4, v[0:1]
	v_add_co_u32_e32 v0, vcc, v4, v0
	v_addc_co_u32_e32 v1, vcc, v5, v1, vcc
	global_load_dwordx4 v[6:9], v[0:1], off
	s_waitcnt vmcnt(0)
	v_add_f64 v[6:7], v[16:17], v[6:7]
	v_add_f64 v[8:9], v[14:15], v[8:9]
	global_store_dwordx4 v[0:1], v[6:9], off
.LBB1159_10:
	s_or_b64 exec, exec, s[2:3]
	v_cmp_le_i32_e32 vcc, v3, v2
	s_and_b64 s[0:1], vcc, s[0:1]
	s_and_saveexec_b64 s[2:3], s[0:1]
	s_cbranch_execz .LBB1159_12
; %bb.11:
	v_ashrrev_i32_e32 v3, 31, v2
	v_lshlrev_b64 v[0:1], 4, v[2:3]
	v_add_co_u32_e32 v4, vcc, v4, v0
	v_addc_co_u32_e32 v5, vcc, v5, v1, vcc
	global_load_dwordx4 v[0:3], v[4:5], off
	s_waitcnt vmcnt(0)
	v_add_f64 v[0:1], v[12:13], v[0:1]
	v_add_f64 v[2:3], v[10:11], v[2:3]
	global_store_dwordx4 v[4:5], v[0:3], off
.LBB1159_12:
	s_endpgm
	.section	.rodata,"a",@progbits
	.p2align	6, 0x0
	.amdhsa_kernel _ZL37rocblas_syrkx_herkx_restricted_kernelIl19rocblas_complex_numIdELi16ELi32ELi8ELi1ELi1ELb0ELc78ELc76EKS1_S1_EviT_PT9_S3_lS5_S3_lPT10_S3_li
		.amdhsa_group_segment_fixed_size 8192
		.amdhsa_private_segment_fixed_size 0
		.amdhsa_kernarg_size 92
		.amdhsa_user_sgpr_count 6
		.amdhsa_user_sgpr_private_segment_buffer 1
		.amdhsa_user_sgpr_dispatch_ptr 0
		.amdhsa_user_sgpr_queue_ptr 0
		.amdhsa_user_sgpr_kernarg_segment_ptr 1
		.amdhsa_user_sgpr_dispatch_id 0
		.amdhsa_user_sgpr_flat_scratch_init 0
		.amdhsa_user_sgpr_private_segment_size 0
		.amdhsa_uses_dynamic_stack 0
		.amdhsa_system_sgpr_private_segment_wavefront_offset 0
		.amdhsa_system_sgpr_workgroup_id_x 1
		.amdhsa_system_sgpr_workgroup_id_y 1
		.amdhsa_system_sgpr_workgroup_id_z 1
		.amdhsa_system_sgpr_workgroup_info 0
		.amdhsa_system_vgpr_workitem_id 1
		.amdhsa_next_free_vgpr 54
		.amdhsa_next_free_sgpr 61
		.amdhsa_reserve_vcc 1
		.amdhsa_reserve_flat_scratch 0
		.amdhsa_float_round_mode_32 0
		.amdhsa_float_round_mode_16_64 0
		.amdhsa_float_denorm_mode_32 3
		.amdhsa_float_denorm_mode_16_64 3
		.amdhsa_dx10_clamp 1
		.amdhsa_ieee_mode 1
		.amdhsa_fp16_overflow 0
		.amdhsa_exception_fp_ieee_invalid_op 0
		.amdhsa_exception_fp_denorm_src 0
		.amdhsa_exception_fp_ieee_div_zero 0
		.amdhsa_exception_fp_ieee_overflow 0
		.amdhsa_exception_fp_ieee_underflow 0
		.amdhsa_exception_fp_ieee_inexact 0
		.amdhsa_exception_int_div_zero 0
	.end_amdhsa_kernel
	.section	.text._ZL37rocblas_syrkx_herkx_restricted_kernelIl19rocblas_complex_numIdELi16ELi32ELi8ELi1ELi1ELb0ELc78ELc76EKS1_S1_EviT_PT9_S3_lS5_S3_lPT10_S3_li,"axG",@progbits,_ZL37rocblas_syrkx_herkx_restricted_kernelIl19rocblas_complex_numIdELi16ELi32ELi8ELi1ELi1ELb0ELc78ELc76EKS1_S1_EviT_PT9_S3_lS5_S3_lPT10_S3_li,comdat
.Lfunc_end1159:
	.size	_ZL37rocblas_syrkx_herkx_restricted_kernelIl19rocblas_complex_numIdELi16ELi32ELi8ELi1ELi1ELb0ELc78ELc76EKS1_S1_EviT_PT9_S3_lS5_S3_lPT10_S3_li, .Lfunc_end1159-_ZL37rocblas_syrkx_herkx_restricted_kernelIl19rocblas_complex_numIdELi16ELi32ELi8ELi1ELi1ELb0ELc78ELc76EKS1_S1_EviT_PT9_S3_lS5_S3_lPT10_S3_li
                                        ; -- End function
	.set _ZL37rocblas_syrkx_herkx_restricted_kernelIl19rocblas_complex_numIdELi16ELi32ELi8ELi1ELi1ELb0ELc78ELc76EKS1_S1_EviT_PT9_S3_lS5_S3_lPT10_S3_li.num_vgpr, 54
	.set _ZL37rocblas_syrkx_herkx_restricted_kernelIl19rocblas_complex_numIdELi16ELi32ELi8ELi1ELi1ELb0ELc78ELc76EKS1_S1_EviT_PT9_S3_lS5_S3_lPT10_S3_li.num_agpr, 0
	.set _ZL37rocblas_syrkx_herkx_restricted_kernelIl19rocblas_complex_numIdELi16ELi32ELi8ELi1ELi1ELb0ELc78ELc76EKS1_S1_EviT_PT9_S3_lS5_S3_lPT10_S3_li.numbered_sgpr, 28
	.set _ZL37rocblas_syrkx_herkx_restricted_kernelIl19rocblas_complex_numIdELi16ELi32ELi8ELi1ELi1ELb0ELc78ELc76EKS1_S1_EviT_PT9_S3_lS5_S3_lPT10_S3_li.num_named_barrier, 0
	.set _ZL37rocblas_syrkx_herkx_restricted_kernelIl19rocblas_complex_numIdELi16ELi32ELi8ELi1ELi1ELb0ELc78ELc76EKS1_S1_EviT_PT9_S3_lS5_S3_lPT10_S3_li.private_seg_size, 0
	.set _ZL37rocblas_syrkx_herkx_restricted_kernelIl19rocblas_complex_numIdELi16ELi32ELi8ELi1ELi1ELb0ELc78ELc76EKS1_S1_EviT_PT9_S3_lS5_S3_lPT10_S3_li.uses_vcc, 1
	.set _ZL37rocblas_syrkx_herkx_restricted_kernelIl19rocblas_complex_numIdELi16ELi32ELi8ELi1ELi1ELb0ELc78ELc76EKS1_S1_EviT_PT9_S3_lS5_S3_lPT10_S3_li.uses_flat_scratch, 0
	.set _ZL37rocblas_syrkx_herkx_restricted_kernelIl19rocblas_complex_numIdELi16ELi32ELi8ELi1ELi1ELb0ELc78ELc76EKS1_S1_EviT_PT9_S3_lS5_S3_lPT10_S3_li.has_dyn_sized_stack, 0
	.set _ZL37rocblas_syrkx_herkx_restricted_kernelIl19rocblas_complex_numIdELi16ELi32ELi8ELi1ELi1ELb0ELc78ELc76EKS1_S1_EviT_PT9_S3_lS5_S3_lPT10_S3_li.has_recursion, 0
	.set _ZL37rocblas_syrkx_herkx_restricted_kernelIl19rocblas_complex_numIdELi16ELi32ELi8ELi1ELi1ELb0ELc78ELc76EKS1_S1_EviT_PT9_S3_lS5_S3_lPT10_S3_li.has_indirect_call, 0
	.section	.AMDGPU.csdata,"",@progbits
; Kernel info:
; codeLenInByte = 2936
; TotalNumSgprs: 32
; NumVgprs: 54
; ScratchSize: 0
; MemoryBound: 0
; FloatMode: 240
; IeeeMode: 1
; LDSByteSize: 8192 bytes/workgroup (compile time only)
; SGPRBlocks: 8
; VGPRBlocks: 13
; NumSGPRsForWavesPerEU: 65
; NumVGPRsForWavesPerEU: 54
; Occupancy: 4
; WaveLimiterHint : 1
; COMPUTE_PGM_RSRC2:SCRATCH_EN: 0
; COMPUTE_PGM_RSRC2:USER_SGPR: 6
; COMPUTE_PGM_RSRC2:TRAP_HANDLER: 0
; COMPUTE_PGM_RSRC2:TGID_X_EN: 1
; COMPUTE_PGM_RSRC2:TGID_Y_EN: 1
; COMPUTE_PGM_RSRC2:TGID_Z_EN: 1
; COMPUTE_PGM_RSRC2:TIDIG_COMP_CNT: 1
	.section	.text._ZL37rocblas_syrkx_herkx_restricted_kernelIl19rocblas_complex_numIdELi16ELi32ELi8ELi1ELi1ELb0ELc84ELc85EKS1_S1_EviT_PT9_S3_lS5_S3_lPT10_S3_li,"axG",@progbits,_ZL37rocblas_syrkx_herkx_restricted_kernelIl19rocblas_complex_numIdELi16ELi32ELi8ELi1ELi1ELb0ELc84ELc85EKS1_S1_EviT_PT9_S3_lS5_S3_lPT10_S3_li,comdat
	.globl	_ZL37rocblas_syrkx_herkx_restricted_kernelIl19rocblas_complex_numIdELi16ELi32ELi8ELi1ELi1ELb0ELc84ELc85EKS1_S1_EviT_PT9_S3_lS5_S3_lPT10_S3_li ; -- Begin function _ZL37rocblas_syrkx_herkx_restricted_kernelIl19rocblas_complex_numIdELi16ELi32ELi8ELi1ELi1ELb0ELc84ELc85EKS1_S1_EviT_PT9_S3_lS5_S3_lPT10_S3_li
	.p2align	8
	.type	_ZL37rocblas_syrkx_herkx_restricted_kernelIl19rocblas_complex_numIdELi16ELi32ELi8ELi1ELi1ELb0ELc84ELc85EKS1_S1_EviT_PT9_S3_lS5_S3_lPT10_S3_li,@function
_ZL37rocblas_syrkx_herkx_restricted_kernelIl19rocblas_complex_numIdELi16ELi32ELi8ELi1ELi1ELb0ELc84ELc85EKS1_S1_EviT_PT9_S3_lS5_S3_lPT10_S3_li: ; @_ZL37rocblas_syrkx_herkx_restricted_kernelIl19rocblas_complex_numIdELi16ELi32ELi8ELi1ELi1ELb0ELc84ELc85EKS1_S1_EviT_PT9_S3_lS5_S3_lPT10_S3_li
; %bb.0:
	s_load_dwordx16 s[12:27], s[4:5], 0x8
	s_lshl_b32 s2, s6, 5
	s_lshl_b32 s3, s7, 5
	s_waitcnt lgkmcnt(0)
	v_cmp_lt_i64_e64 s[0:1], s[12:13], 1
	s_and_b64 vcc, exec, s[0:1]
	s_cbranch_vccnz .LBB1160_3
; %bb.1:
	v_lshl_add_u32 v6, v1, 4, v0
	v_lshrrev_b32_e32 v8, 3, v6
	v_add_u32_e32 v4, s3, v8
	v_ashrrev_i32_e32 v5, 31, v4
	v_and_b32_e32 v2, 7, v0
	v_mov_b32_e32 v3, 0
	v_mul_lo_u32 v7, s22, v5
	v_mul_lo_u32 v9, s23, v4
	v_mad_u64_u32 v[4:5], s[0:1], s22, v4, v[2:3]
	v_lshlrev_b32_e32 v2, 4, v2
	v_lshl_or_b32 v2, v8, 7, v2
	v_add3_u32 v5, v9, v5, v7
	v_and_b32_e32 v9, 31, v6
	v_add_u32_e32 v23, 0x1000, v2
	v_mov_b32_e32 v2, 0x1000
	v_add_u32_e32 v8, s2, v9
	v_lshrrev_b32_e32 v6, 5, v6
	v_mov_b32_e32 v7, v3
	v_lshlrev_b32_e32 v3, 4, v9
	v_lshl_add_u32 v25, v1, 7, v2
	v_ashrrev_i32_e32 v2, 31, v8
	v_lshl_or_b32 v22, v6, 9, v3
	v_mul_lo_u32 v9, s16, v2
	v_mad_u64_u32 v[2:3], s[0:1], s16, v8, v[6:7]
	v_mul_lo_u32 v6, s17, v8
	s_mul_i32 s6, s19, s8
	s_mul_hi_u32 s7, s18, s8
	s_add_i32 s1, s7, s6
	s_mul_i32 s0, s18, s8
	s_lshl_b64 s[0:1], s[0:1], 4
	v_add3_u32 v3, v6, v3, v9
	v_lshlrev_b64 v[2:3], 4, v[2:3]
	s_add_u32 s0, s14, s0
	s_addc_u32 s1, s15, s1
	v_mov_b32_e32 v6, s1
	v_add_co_u32_e32 v2, vcc, s0, v2
	s_mul_i32 s0, s25, s8
	s_mul_hi_u32 s1, s24, s8
	s_add_i32 s1, s1, s0
	s_mul_i32 s0, s24, s8
	v_addc_co_u32_e32 v3, vcc, v6, v3, vcc
	s_lshl_b64 s[0:1], s[0:1], 4
	v_add_co_u32_e32 v2, vcc, 8, v2
	v_lshlrev_b64 v[4:5], 4, v[4:5]
	s_add_u32 s0, s20, s0
	v_addc_co_u32_e32 v3, vcc, 0, v3, vcc
	s_addc_u32 s1, s21, s1
	v_mov_b32_e32 v6, s1
	v_add_co_u32_e32 v4, vcc, s0, v4
	v_addc_co_u32_e32 v5, vcc, v6, v5, vcc
	v_add_co_u32_e32 v4, vcc, 8, v4
	v_mov_b32_e32 v10, 0
	v_mov_b32_e32 v12, 0
	;; [unrolled: 1-line block ×8, first 2 shown]
	v_lshlrev_b32_e32 v24, 4, v0
	v_addc_co_u32_e32 v5, vcc, 0, v5, vcc
	v_mov_b32_e32 v11, 0
	v_mov_b32_e32 v13, 0
	v_mov_b32_e32 v19, 0
	v_mov_b32_e32 v21, 0
	v_mov_b32_e32 v7, 0
	v_mov_b32_e32 v9, 0
	v_mov_b32_e32 v17, 0
	v_mov_b32_e32 v15, 0
	s_mov_b64 s[0:1], 0
.LBB1160_2:                             ; =>This Inner Loop Header: Depth=1
	global_load_dwordx4 v[26:29], v[2:3], off offset:-8
	s_add_u32 s0, s0, 8
	v_add_co_u32_e32 v2, vcc, 0x80, v2
	s_addc_u32 s1, s1, 0
	v_addc_co_u32_e32 v3, vcc, 0, v3, vcc
	s_waitcnt vmcnt(0)
	ds_write_b128 v22, v[26:29]
	global_load_dwordx4 v[26:29], v[4:5], off offset:-8
	v_add_co_u32_e32 v4, vcc, 0x80, v4
	v_addc_co_u32_e32 v5, vcc, 0, v5, vcc
	s_waitcnt vmcnt(0)
	ds_write_b128 v23, v[26:29]
	s_waitcnt lgkmcnt(0)
	s_barrier
	ds_read_b128 v[26:29], v25
	ds_read_b128 v[30:33], v25 offset:16
	ds_read_b128 v[34:37], v25 offset:32
	;; [unrolled: 1-line block ×3, first 2 shown]
	ds_read_b128 v[42:45], v24
	s_waitcnt lgkmcnt(0)
	v_mul_f64 v[46:47], v[28:29], v[44:45]
	v_mul_f64 v[48:49], v[26:27], v[44:45]
	v_fma_f64 v[46:47], v[26:27], v[42:43], -v[46:47]
	v_fma_f64 v[48:49], v[28:29], v[42:43], v[48:49]
	v_add_f64 v[46:47], v[14:15], v[46:47]
	v_add_f64 v[48:49], v[48:49], v[16:17]
	ds_read_b128 v[14:17], v24 offset:256
	s_waitcnt lgkmcnt(0)
	v_mul_f64 v[50:51], v[28:29], v[16:17]
	v_fma_f64 v[50:51], v[26:27], v[14:15], -v[50:51]
	v_mul_f64 v[26:27], v[26:27], v[16:17]
	v_fma_f64 v[26:27], v[28:29], v[14:15], v[26:27]
	v_add_f64 v[28:29], v[8:9], v[50:51]
	v_add_f64 v[26:27], v[26:27], v[6:7]
	ds_read_b128 v[6:9], v25 offset:2048
	s_waitcnt lgkmcnt(0)
	v_mul_f64 v[50:51], v[8:9], v[44:45]
	v_mul_f64 v[44:45], v[6:7], v[44:45]
	v_fma_f64 v[50:51], v[6:7], v[42:43], -v[50:51]
	v_fma_f64 v[42:43], v[8:9], v[42:43], v[44:45]
	v_add_f64 v[20:21], v[20:21], v[50:51]
	v_add_f64 v[18:19], v[42:43], v[18:19]
	v_mul_f64 v[42:43], v[8:9], v[16:17]
	v_fma_f64 v[42:43], v[6:7], v[14:15], -v[42:43]
	v_mul_f64 v[6:7], v[6:7], v[16:17]
	v_add_f64 v[42:43], v[12:13], v[42:43]
	v_fma_f64 v[6:7], v[8:9], v[14:15], v[6:7]
	v_add_f64 v[44:45], v[6:7], v[10:11]
	ds_read_b128 v[6:9], v24 offset:512
	s_waitcnt lgkmcnt(0)
	v_mul_f64 v[10:11], v[32:33], v[8:9]
	v_mul_f64 v[12:13], v[30:31], v[8:9]
	v_fma_f64 v[10:11], v[30:31], v[6:7], -v[10:11]
	v_fma_f64 v[12:13], v[32:33], v[6:7], v[12:13]
	v_add_f64 v[46:47], v[46:47], v[10:11]
	v_add_f64 v[48:49], v[12:13], v[48:49]
	ds_read_b128 v[10:13], v24 offset:768
	s_waitcnt lgkmcnt(0)
	v_mul_f64 v[14:15], v[32:33], v[12:13]
	v_mul_f64 v[16:17], v[30:31], v[12:13]
	v_fma_f64 v[14:15], v[30:31], v[10:11], -v[14:15]
	v_fma_f64 v[16:17], v[32:33], v[10:11], v[16:17]
	v_add_f64 v[28:29], v[28:29], v[14:15]
	v_add_f64 v[26:27], v[16:17], v[26:27]
	ds_read_b128 v[14:17], v25 offset:2064
	s_waitcnt lgkmcnt(0)
	v_mul_f64 v[30:31], v[16:17], v[8:9]
	v_mul_f64 v[8:9], v[14:15], v[8:9]
	v_fma_f64 v[30:31], v[14:15], v[6:7], -v[30:31]
	v_fma_f64 v[6:7], v[16:17], v[6:7], v[8:9]
	v_mul_f64 v[8:9], v[14:15], v[12:13]
	v_add_f64 v[20:21], v[20:21], v[30:31]
	v_add_f64 v[18:19], v[6:7], v[18:19]
	v_mul_f64 v[6:7], v[16:17], v[12:13]
	v_fma_f64 v[8:9], v[16:17], v[10:11], v[8:9]
	v_fma_f64 v[6:7], v[14:15], v[10:11], -v[6:7]
	v_add_f64 v[32:33], v[8:9], v[44:45]
	v_add_f64 v[30:31], v[42:43], v[6:7]
	ds_read_b128 v[6:9], v24 offset:1024
	s_waitcnt lgkmcnt(0)
	v_mul_f64 v[10:11], v[36:37], v[8:9]
	v_mul_f64 v[12:13], v[34:35], v[8:9]
	v_fma_f64 v[10:11], v[34:35], v[6:7], -v[10:11]
	v_fma_f64 v[12:13], v[36:37], v[6:7], v[12:13]
	v_add_f64 v[42:43], v[46:47], v[10:11]
	v_add_f64 v[44:45], v[12:13], v[48:49]
	ds_read_b128 v[10:13], v24 offset:1280
	s_waitcnt lgkmcnt(0)
	v_mul_f64 v[14:15], v[36:37], v[12:13]
	v_mul_f64 v[16:17], v[34:35], v[12:13]
	v_fma_f64 v[14:15], v[34:35], v[10:11], -v[14:15]
	v_fma_f64 v[16:17], v[36:37], v[10:11], v[16:17]
	v_add_f64 v[28:29], v[28:29], v[14:15]
	v_add_f64 v[26:27], v[16:17], v[26:27]
	ds_read_b128 v[14:17], v25 offset:2080
	s_waitcnt lgkmcnt(0)
	v_mul_f64 v[34:35], v[16:17], v[8:9]
	v_mul_f64 v[8:9], v[14:15], v[8:9]
	v_fma_f64 v[34:35], v[14:15], v[6:7], -v[34:35]
	v_fma_f64 v[6:7], v[16:17], v[6:7], v[8:9]
	v_mul_f64 v[8:9], v[14:15], v[12:13]
	v_add_f64 v[20:21], v[20:21], v[34:35]
	v_add_f64 v[18:19], v[6:7], v[18:19]
	v_mul_f64 v[6:7], v[16:17], v[12:13]
	v_fma_f64 v[8:9], v[16:17], v[10:11], v[8:9]
	v_fma_f64 v[6:7], v[14:15], v[10:11], -v[6:7]
	v_add_f64 v[32:33], v[8:9], v[32:33]
	;; [unrolled: 30-line block ×3, first 2 shown]
	v_add_f64 v[30:31], v[30:31], v[6:7]
	ds_read_b128 v[6:9], v25 offset:64
	ds_read_b128 v[10:13], v24 offset:2048
	s_waitcnt lgkmcnt(0)
	v_mul_f64 v[14:15], v[8:9], v[12:13]
	v_mul_f64 v[16:17], v[6:7], v[12:13]
	v_fma_f64 v[14:15], v[6:7], v[10:11], -v[14:15]
	v_fma_f64 v[16:17], v[8:9], v[10:11], v[16:17]
	v_add_f64 v[34:35], v[34:35], v[14:15]
	v_add_f64 v[36:37], v[16:17], v[36:37]
	ds_read_b128 v[14:17], v24 offset:2304
	s_waitcnt lgkmcnt(0)
	v_mul_f64 v[38:39], v[8:9], v[16:17]
	v_fma_f64 v[38:39], v[6:7], v[14:15], -v[38:39]
	v_mul_f64 v[6:7], v[6:7], v[16:17]
	v_add_f64 v[28:29], v[28:29], v[38:39]
	v_fma_f64 v[6:7], v[8:9], v[14:15], v[6:7]
	v_add_f64 v[26:27], v[6:7], v[26:27]
	ds_read_b128 v[6:9], v25 offset:2112
	s_waitcnt lgkmcnt(0)
	v_mul_f64 v[38:39], v[8:9], v[12:13]
	v_mul_f64 v[12:13], v[6:7], v[12:13]
	v_fma_f64 v[38:39], v[6:7], v[10:11], -v[38:39]
	v_fma_f64 v[10:11], v[8:9], v[10:11], v[12:13]
	v_add_f64 v[20:21], v[20:21], v[38:39]
	v_add_f64 v[18:19], v[10:11], v[18:19]
	v_mul_f64 v[10:11], v[8:9], v[16:17]
	v_fma_f64 v[10:11], v[6:7], v[14:15], -v[10:11]
	v_mul_f64 v[6:7], v[6:7], v[16:17]
	v_add_f64 v[30:31], v[30:31], v[10:11]
	v_fma_f64 v[6:7], v[8:9], v[14:15], v[6:7]
	v_add_f64 v[32:33], v[6:7], v[32:33]
	ds_read_b128 v[6:9], v25 offset:80
	ds_read_b128 v[10:13], v24 offset:2560
	s_waitcnt lgkmcnt(0)
	v_mul_f64 v[14:15], v[8:9], v[12:13]
	v_mul_f64 v[16:17], v[6:7], v[12:13]
	v_fma_f64 v[14:15], v[6:7], v[10:11], -v[14:15]
	v_fma_f64 v[16:17], v[8:9], v[10:11], v[16:17]
	v_add_f64 v[34:35], v[34:35], v[14:15]
	v_add_f64 v[36:37], v[16:17], v[36:37]
	ds_read_b128 v[14:17], v24 offset:2816
	s_waitcnt lgkmcnt(0)
	v_mul_f64 v[38:39], v[8:9], v[16:17]
	v_fma_f64 v[38:39], v[6:7], v[14:15], -v[38:39]
	v_mul_f64 v[6:7], v[6:7], v[16:17]
	v_add_f64 v[28:29], v[28:29], v[38:39]
	v_fma_f64 v[6:7], v[8:9], v[14:15], v[6:7]
	v_add_f64 v[26:27], v[6:7], v[26:27]
	ds_read_b128 v[6:9], v25 offset:2128
	s_waitcnt lgkmcnt(0)
	v_mul_f64 v[38:39], v[8:9], v[12:13]
	v_mul_f64 v[12:13], v[6:7], v[12:13]
	v_fma_f64 v[38:39], v[6:7], v[10:11], -v[38:39]
	v_fma_f64 v[10:11], v[8:9], v[10:11], v[12:13]
	v_add_f64 v[20:21], v[20:21], v[38:39]
	v_add_f64 v[18:19], v[10:11], v[18:19]
	v_mul_f64 v[10:11], v[8:9], v[16:17]
	v_fma_f64 v[10:11], v[6:7], v[14:15], -v[10:11]
	v_mul_f64 v[6:7], v[6:7], v[16:17]
	v_add_f64 v[30:31], v[30:31], v[10:11]
	v_fma_f64 v[6:7], v[8:9], v[14:15], v[6:7]
	;; [unrolled: 31-line block ×3, first 2 shown]
	v_add_f64 v[44:45], v[6:7], v[32:33]
	ds_read_b128 v[6:9], v25 offset:112
	ds_read_b128 v[10:13], v24 offset:3584
	ds_read_b128 v[26:29], v24 offset:3840
	s_waitcnt lgkmcnt(1)
	v_mul_f64 v[14:15], v[8:9], v[12:13]
	s_waitcnt lgkmcnt(0)
	v_mul_f64 v[30:31], v[8:9], v[28:29]
	v_mul_f64 v[16:17], v[6:7], v[12:13]
	v_fma_f64 v[14:15], v[6:7], v[10:11], -v[14:15]
	v_fma_f64 v[30:31], v[6:7], v[26:27], -v[30:31]
	v_mul_f64 v[6:7], v[6:7], v[28:29]
	v_fma_f64 v[16:17], v[8:9], v[10:11], v[16:17]
	v_add_f64 v[14:15], v[34:35], v[14:15]
	v_fma_f64 v[6:7], v[8:9], v[26:27], v[6:7]
	v_add_f64 v[8:9], v[38:39], v[30:31]
	ds_read_b128 v[30:33], v25 offset:2160
	v_add_f64 v[16:17], v[16:17], v[36:37]
	s_waitcnt lgkmcnt(0)
	s_barrier
	v_mul_f64 v[34:35], v[32:33], v[12:13]
	v_mul_f64 v[12:13], v[30:31], v[12:13]
	v_add_f64 v[6:7], v[6:7], v[40:41]
	v_fma_f64 v[34:35], v[30:31], v[10:11], -v[34:35]
	v_fma_f64 v[10:11], v[32:33], v[10:11], v[12:13]
	v_mul_f64 v[12:13], v[30:31], v[28:29]
	v_add_f64 v[20:21], v[20:21], v[34:35]
	v_add_f64 v[18:19], v[10:11], v[18:19]
	v_mul_f64 v[10:11], v[32:33], v[28:29]
	v_fma_f64 v[10:11], v[30:31], v[26:27], -v[10:11]
	v_fma_f64 v[26:27], v[32:33], v[26:27], v[12:13]
	v_add_f64 v[12:13], v[42:43], v[10:11]
	v_add_f64 v[10:11], v[26:27], v[44:45]
	v_mov_b32_e32 v27, s1
	v_mov_b32_e32 v26, s0
	v_cmp_le_u64_e32 vcc, s[12:13], v[26:27]
	s_cbranch_vccz .LBB1160_2
	s_branch .LBB1160_4
.LBB1160_3:
	v_mov_b32_e32 v14, 0
	v_mov_b32_e32 v16, 0
	;; [unrolled: 1-line block ×16, first 2 shown]
.LBB1160_4:
	s_load_dwordx4 s[12:15], s[4:5], 0x48
	s_load_dword s6, s[4:5], 0x0
	v_add_u32_e32 v4, s3, v1
	v_ashrrev_i32_e32 v1, 31, v4
	v_add_u32_e32 v0, s2, v0
	s_waitcnt lgkmcnt(0)
	s_mul_i32 s1, s15, s8
	s_mul_hi_u32 s3, s14, s8
	s_mul_i32 s0, s14, s8
	v_mul_lo_u32 v3, s12, v1
	v_mul_lo_u32 v5, s13, v4
	v_mad_u64_u32 v[1:2], s[8:9], s12, v4, 0
	s_add_i32 s1, s3, s1
	s_lshl_b64 s[0:1], s[0:1], 4
	v_add3_u32 v2, v2, v3, v5
	s_add_u32 s4, s26, s0
	v_lshlrev_b64 v[1:2], 4, v[1:2]
	s_addc_u32 s5, s27, s1
	v_mov_b32_e32 v3, s5
	v_add_co_u32_e64 v5, s[0:1], s4, v1
	v_addc_co_u32_e64 v22, s[0:1], v3, v2, s[0:1]
	v_cmp_gt_i32_e32 vcc, s6, v4
	v_cmp_le_i32_e64 s[0:1], v0, v4
	s_and_b64 s[0:1], vcc, s[0:1]
	s_and_saveexec_b64 s[2:3], s[0:1]
	s_cbranch_execz .LBB1160_6
; %bb.5:
	v_ashrrev_i32_e32 v1, 31, v0
	v_lshlrev_b64 v[1:2], 4, v[0:1]
	v_add_co_u32_e64 v1, s[0:1], v5, v1
	v_addc_co_u32_e64 v2, s[0:1], v22, v2, s[0:1]
	global_load_dwordx4 v[23:26], v[1:2], off
	s_waitcnt vmcnt(0)
	v_add_f64 v[14:15], v[14:15], v[23:24]
	v_add_f64 v[16:17], v[16:17], v[25:26]
	global_store_dwordx4 v[1:2], v[14:17], off
.LBB1160_6:
	s_or_b64 exec, exec, s[2:3]
	v_add_u32_e32 v2, 16, v0
	v_cmp_le_i32_e64 s[0:1], v2, v4
	s_and_b64 s[2:3], vcc, s[0:1]
	s_and_saveexec_b64 s[0:1], s[2:3]
	s_cbranch_execz .LBB1160_8
; %bb.7:
	v_ashrrev_i32_e32 v3, 31, v2
	v_lshlrev_b64 v[14:15], 4, v[2:3]
	v_add_co_u32_e32 v23, vcc, v5, v14
	v_addc_co_u32_e32 v24, vcc, v22, v15, vcc
	global_load_dwordx4 v[14:17], v[23:24], off
	s_waitcnt vmcnt(0)
	v_add_f64 v[14:15], v[8:9], v[14:15]
	v_add_f64 v[16:17], v[6:7], v[16:17]
	global_store_dwordx4 v[23:24], v[14:17], off
.LBB1160_8:
	s_or_b64 exec, exec, s[0:1]
	v_add_u32_e32 v3, 16, v4
	v_ashrrev_i32_e32 v1, 31, v3
	v_mul_lo_u32 v1, s12, v1
	v_mul_lo_u32 v6, s13, v3
	v_mad_u64_u32 v[4:5], s[0:1], s12, v3, 0
	v_cmp_gt_i32_e32 vcc, s6, v3
	v_add3_u32 v5, v5, v1, v6
	v_lshlrev_b64 v[4:5], 4, v[4:5]
	v_mov_b32_e32 v1, s5
	v_add_co_u32_e64 v4, s[0:1], s4, v4
	v_addc_co_u32_e64 v5, s[0:1], v1, v5, s[0:1]
	v_cmp_le_i32_e64 s[0:1], v0, v3
	s_and_b64 s[0:1], vcc, s[0:1]
	s_and_saveexec_b64 s[2:3], s[0:1]
	s_cbranch_execz .LBB1160_10
; %bb.9:
	v_ashrrev_i32_e32 v1, 31, v0
	v_lshlrev_b64 v[0:1], 4, v[0:1]
	v_add_co_u32_e64 v0, s[0:1], v4, v0
	v_addc_co_u32_e64 v1, s[0:1], v5, v1, s[0:1]
	global_load_dwordx4 v[6:9], v[0:1], off
	s_waitcnt vmcnt(0)
	v_add_f64 v[6:7], v[20:21], v[6:7]
	v_add_f64 v[8:9], v[18:19], v[8:9]
	global_store_dwordx4 v[0:1], v[6:9], off
.LBB1160_10:
	s_or_b64 exec, exec, s[2:3]
	v_cmp_le_i32_e64 s[0:1], v2, v3
	s_and_b64 s[0:1], vcc, s[0:1]
	s_and_saveexec_b64 s[2:3], s[0:1]
	s_cbranch_execz .LBB1160_12
; %bb.11:
	v_ashrrev_i32_e32 v3, 31, v2
	v_lshlrev_b64 v[0:1], 4, v[2:3]
	v_add_co_u32_e32 v4, vcc, v4, v0
	v_addc_co_u32_e32 v5, vcc, v5, v1, vcc
	global_load_dwordx4 v[0:3], v[4:5], off
	s_waitcnt vmcnt(0)
	v_add_f64 v[0:1], v[12:13], v[0:1]
	v_add_f64 v[2:3], v[10:11], v[2:3]
	global_store_dwordx4 v[4:5], v[0:3], off
.LBB1160_12:
	s_endpgm
	.section	.rodata,"a",@progbits
	.p2align	6, 0x0
	.amdhsa_kernel _ZL37rocblas_syrkx_herkx_restricted_kernelIl19rocblas_complex_numIdELi16ELi32ELi8ELi1ELi1ELb0ELc84ELc85EKS1_S1_EviT_PT9_S3_lS5_S3_lPT10_S3_li
		.amdhsa_group_segment_fixed_size 8192
		.amdhsa_private_segment_fixed_size 0
		.amdhsa_kernarg_size 92
		.amdhsa_user_sgpr_count 6
		.amdhsa_user_sgpr_private_segment_buffer 1
		.amdhsa_user_sgpr_dispatch_ptr 0
		.amdhsa_user_sgpr_queue_ptr 0
		.amdhsa_user_sgpr_kernarg_segment_ptr 1
		.amdhsa_user_sgpr_dispatch_id 0
		.amdhsa_user_sgpr_flat_scratch_init 0
		.amdhsa_user_sgpr_private_segment_size 0
		.amdhsa_uses_dynamic_stack 0
		.amdhsa_system_sgpr_private_segment_wavefront_offset 0
		.amdhsa_system_sgpr_workgroup_id_x 1
		.amdhsa_system_sgpr_workgroup_id_y 1
		.amdhsa_system_sgpr_workgroup_id_z 1
		.amdhsa_system_sgpr_workgroup_info 0
		.amdhsa_system_vgpr_workitem_id 1
		.amdhsa_next_free_vgpr 52
		.amdhsa_next_free_sgpr 61
		.amdhsa_reserve_vcc 1
		.amdhsa_reserve_flat_scratch 0
		.amdhsa_float_round_mode_32 0
		.amdhsa_float_round_mode_16_64 0
		.amdhsa_float_denorm_mode_32 3
		.amdhsa_float_denorm_mode_16_64 3
		.amdhsa_dx10_clamp 1
		.amdhsa_ieee_mode 1
		.amdhsa_fp16_overflow 0
		.amdhsa_exception_fp_ieee_invalid_op 0
		.amdhsa_exception_fp_denorm_src 0
		.amdhsa_exception_fp_ieee_div_zero 0
		.amdhsa_exception_fp_ieee_overflow 0
		.amdhsa_exception_fp_ieee_underflow 0
		.amdhsa_exception_fp_ieee_inexact 0
		.amdhsa_exception_int_div_zero 0
	.end_amdhsa_kernel
	.section	.text._ZL37rocblas_syrkx_herkx_restricted_kernelIl19rocblas_complex_numIdELi16ELi32ELi8ELi1ELi1ELb0ELc84ELc85EKS1_S1_EviT_PT9_S3_lS5_S3_lPT10_S3_li,"axG",@progbits,_ZL37rocblas_syrkx_herkx_restricted_kernelIl19rocblas_complex_numIdELi16ELi32ELi8ELi1ELi1ELb0ELc84ELc85EKS1_S1_EviT_PT9_S3_lS5_S3_lPT10_S3_li,comdat
.Lfunc_end1160:
	.size	_ZL37rocblas_syrkx_herkx_restricted_kernelIl19rocblas_complex_numIdELi16ELi32ELi8ELi1ELi1ELb0ELc84ELc85EKS1_S1_EviT_PT9_S3_lS5_S3_lPT10_S3_li, .Lfunc_end1160-_ZL37rocblas_syrkx_herkx_restricted_kernelIl19rocblas_complex_numIdELi16ELi32ELi8ELi1ELi1ELb0ELc84ELc85EKS1_S1_EviT_PT9_S3_lS5_S3_lPT10_S3_li
                                        ; -- End function
	.set _ZL37rocblas_syrkx_herkx_restricted_kernelIl19rocblas_complex_numIdELi16ELi32ELi8ELi1ELi1ELb0ELc84ELc85EKS1_S1_EviT_PT9_S3_lS5_S3_lPT10_S3_li.num_vgpr, 52
	.set _ZL37rocblas_syrkx_herkx_restricted_kernelIl19rocblas_complex_numIdELi16ELi32ELi8ELi1ELi1ELb0ELc84ELc85EKS1_S1_EviT_PT9_S3_lS5_S3_lPT10_S3_li.num_agpr, 0
	.set _ZL37rocblas_syrkx_herkx_restricted_kernelIl19rocblas_complex_numIdELi16ELi32ELi8ELi1ELi1ELb0ELc84ELc85EKS1_S1_EviT_PT9_S3_lS5_S3_lPT10_S3_li.numbered_sgpr, 28
	.set _ZL37rocblas_syrkx_herkx_restricted_kernelIl19rocblas_complex_numIdELi16ELi32ELi8ELi1ELi1ELb0ELc84ELc85EKS1_S1_EviT_PT9_S3_lS5_S3_lPT10_S3_li.num_named_barrier, 0
	.set _ZL37rocblas_syrkx_herkx_restricted_kernelIl19rocblas_complex_numIdELi16ELi32ELi8ELi1ELi1ELb0ELc84ELc85EKS1_S1_EviT_PT9_S3_lS5_S3_lPT10_S3_li.private_seg_size, 0
	.set _ZL37rocblas_syrkx_herkx_restricted_kernelIl19rocblas_complex_numIdELi16ELi32ELi8ELi1ELi1ELb0ELc84ELc85EKS1_S1_EviT_PT9_S3_lS5_S3_lPT10_S3_li.uses_vcc, 1
	.set _ZL37rocblas_syrkx_herkx_restricted_kernelIl19rocblas_complex_numIdELi16ELi32ELi8ELi1ELi1ELb0ELc84ELc85EKS1_S1_EviT_PT9_S3_lS5_S3_lPT10_S3_li.uses_flat_scratch, 0
	.set _ZL37rocblas_syrkx_herkx_restricted_kernelIl19rocblas_complex_numIdELi16ELi32ELi8ELi1ELi1ELb0ELc84ELc85EKS1_S1_EviT_PT9_S3_lS5_S3_lPT10_S3_li.has_dyn_sized_stack, 0
	.set _ZL37rocblas_syrkx_herkx_restricted_kernelIl19rocblas_complex_numIdELi16ELi32ELi8ELi1ELi1ELb0ELc84ELc85EKS1_S1_EviT_PT9_S3_lS5_S3_lPT10_S3_li.has_recursion, 0
	.set _ZL37rocblas_syrkx_herkx_restricted_kernelIl19rocblas_complex_numIdELi16ELi32ELi8ELi1ELi1ELb0ELc84ELc85EKS1_S1_EviT_PT9_S3_lS5_S3_lPT10_S3_li.has_indirect_call, 0
	.section	.AMDGPU.csdata,"",@progbits
; Kernel info:
; codeLenInByte = 2972
; TotalNumSgprs: 32
; NumVgprs: 52
; ScratchSize: 0
; MemoryBound: 0
; FloatMode: 240
; IeeeMode: 1
; LDSByteSize: 8192 bytes/workgroup (compile time only)
; SGPRBlocks: 8
; VGPRBlocks: 12
; NumSGPRsForWavesPerEU: 65
; NumVGPRsForWavesPerEU: 52
; Occupancy: 4
; WaveLimiterHint : 1
; COMPUTE_PGM_RSRC2:SCRATCH_EN: 0
; COMPUTE_PGM_RSRC2:USER_SGPR: 6
; COMPUTE_PGM_RSRC2:TRAP_HANDLER: 0
; COMPUTE_PGM_RSRC2:TGID_X_EN: 1
; COMPUTE_PGM_RSRC2:TGID_Y_EN: 1
; COMPUTE_PGM_RSRC2:TGID_Z_EN: 1
; COMPUTE_PGM_RSRC2:TIDIG_COMP_CNT: 1
	.section	.text._ZL37rocblas_syrkx_herkx_restricted_kernelIl19rocblas_complex_numIdELi16ELi32ELi8ELi1ELi1ELb0ELc67ELc85EKS1_S1_EviT_PT9_S3_lS5_S3_lPT10_S3_li,"axG",@progbits,_ZL37rocblas_syrkx_herkx_restricted_kernelIl19rocblas_complex_numIdELi16ELi32ELi8ELi1ELi1ELb0ELc67ELc85EKS1_S1_EviT_PT9_S3_lS5_S3_lPT10_S3_li,comdat
	.globl	_ZL37rocblas_syrkx_herkx_restricted_kernelIl19rocblas_complex_numIdELi16ELi32ELi8ELi1ELi1ELb0ELc67ELc85EKS1_S1_EviT_PT9_S3_lS5_S3_lPT10_S3_li ; -- Begin function _ZL37rocblas_syrkx_herkx_restricted_kernelIl19rocblas_complex_numIdELi16ELi32ELi8ELi1ELi1ELb0ELc67ELc85EKS1_S1_EviT_PT9_S3_lS5_S3_lPT10_S3_li
	.p2align	8
	.type	_ZL37rocblas_syrkx_herkx_restricted_kernelIl19rocblas_complex_numIdELi16ELi32ELi8ELi1ELi1ELb0ELc67ELc85EKS1_S1_EviT_PT9_S3_lS5_S3_lPT10_S3_li,@function
_ZL37rocblas_syrkx_herkx_restricted_kernelIl19rocblas_complex_numIdELi16ELi32ELi8ELi1ELi1ELb0ELc67ELc85EKS1_S1_EviT_PT9_S3_lS5_S3_lPT10_S3_li: ; @_ZL37rocblas_syrkx_herkx_restricted_kernelIl19rocblas_complex_numIdELi16ELi32ELi8ELi1ELi1ELb0ELc67ELc85EKS1_S1_EviT_PT9_S3_lS5_S3_lPT10_S3_li
; %bb.0:
	s_load_dwordx16 s[12:27], s[4:5], 0x8
	s_lshl_b32 s2, s6, 5
	s_lshl_b32 s3, s7, 5
	s_waitcnt lgkmcnt(0)
	v_cmp_lt_i64_e64 s[0:1], s[12:13], 1
	s_and_b64 vcc, exec, s[0:1]
	s_cbranch_vccnz .LBB1161_3
; %bb.1:
	v_lshl_add_u32 v6, v1, 4, v0
	v_lshrrev_b32_e32 v8, 3, v6
	v_add_u32_e32 v4, s3, v8
	v_ashrrev_i32_e32 v5, 31, v4
	v_and_b32_e32 v2, 7, v0
	v_mov_b32_e32 v3, 0
	v_mul_lo_u32 v7, s22, v5
	v_mul_lo_u32 v9, s23, v4
	v_mad_u64_u32 v[4:5], s[0:1], s22, v4, v[2:3]
	v_lshlrev_b32_e32 v2, 4, v2
	v_lshl_or_b32 v2, v8, 7, v2
	v_add3_u32 v5, v9, v5, v7
	v_and_b32_e32 v9, 31, v6
	v_add_u32_e32 v23, 0x1000, v2
	v_mov_b32_e32 v2, 0x1000
	v_add_u32_e32 v8, s2, v9
	v_lshrrev_b32_e32 v6, 5, v6
	v_mov_b32_e32 v7, v3
	v_lshlrev_b32_e32 v3, 4, v9
	v_lshl_add_u32 v25, v1, 7, v2
	v_ashrrev_i32_e32 v2, 31, v8
	v_lshl_or_b32 v22, v6, 9, v3
	v_mul_lo_u32 v9, s16, v2
	v_mad_u64_u32 v[2:3], s[0:1], s16, v8, v[6:7]
	v_mul_lo_u32 v6, s17, v8
	s_mul_i32 s6, s19, s8
	s_mul_hi_u32 s7, s18, s8
	s_add_i32 s1, s7, s6
	s_mul_i32 s0, s18, s8
	s_lshl_b64 s[0:1], s[0:1], 4
	v_add3_u32 v3, v6, v3, v9
	v_lshlrev_b64 v[2:3], 4, v[2:3]
	s_add_u32 s0, s14, s0
	s_addc_u32 s1, s15, s1
	v_mov_b32_e32 v6, s1
	v_add_co_u32_e32 v2, vcc, s0, v2
	s_mul_i32 s0, s25, s8
	s_mul_hi_u32 s1, s24, s8
	s_add_i32 s1, s1, s0
	s_mul_i32 s0, s24, s8
	v_addc_co_u32_e32 v3, vcc, v6, v3, vcc
	s_lshl_b64 s[0:1], s[0:1], 4
	v_add_co_u32_e32 v2, vcc, 8, v2
	v_lshlrev_b64 v[4:5], 4, v[4:5]
	s_add_u32 s0, s20, s0
	v_addc_co_u32_e32 v3, vcc, 0, v3, vcc
	s_addc_u32 s1, s21, s1
	v_mov_b32_e32 v6, s1
	v_add_co_u32_e32 v4, vcc, s0, v4
	v_addc_co_u32_e32 v5, vcc, v6, v5, vcc
	v_add_co_u32_e32 v4, vcc, 8, v4
	v_mov_b32_e32 v10, 0
	v_mov_b32_e32 v12, 0
	;; [unrolled: 1-line block ×8, first 2 shown]
	v_lshlrev_b32_e32 v24, 4, v0
	v_addc_co_u32_e32 v5, vcc, 0, v5, vcc
	v_mov_b32_e32 v11, 0
	v_mov_b32_e32 v13, 0
	;; [unrolled: 1-line block ×8, first 2 shown]
	s_mov_b64 s[0:1], 0
.LBB1161_2:                             ; =>This Inner Loop Header: Depth=1
	global_load_dwordx4 v[26:29], v[2:3], off offset:-8
	s_add_u32 s0, s0, 8
	v_add_co_u32_e32 v2, vcc, 0x80, v2
	s_addc_u32 s1, s1, 0
	v_addc_co_u32_e32 v3, vcc, 0, v3, vcc
	s_waitcnt vmcnt(0)
	ds_write_b128 v22, v[26:29]
	global_load_dwordx4 v[26:29], v[4:5], off offset:-8
	v_add_co_u32_e32 v4, vcc, 0x80, v4
	v_addc_co_u32_e32 v5, vcc, 0, v5, vcc
	s_waitcnt vmcnt(0)
	ds_write_b128 v23, v[26:29]
	s_waitcnt lgkmcnt(0)
	s_barrier
	ds_read_b128 v[26:29], v25
	ds_read_b128 v[30:33], v25 offset:16
	ds_read_b128 v[34:37], v25 offset:32
	;; [unrolled: 1-line block ×3, first 2 shown]
	ds_read_b128 v[42:45], v24
	s_waitcnt lgkmcnt(0)
	v_mul_f64 v[46:47], v[28:29], v[44:45]
	v_mul_f64 v[48:49], v[26:27], v[44:45]
	v_fma_f64 v[46:47], v[26:27], v[42:43], -v[46:47]
	v_fma_f64 v[48:49], v[28:29], v[42:43], v[48:49]
	v_add_f64 v[46:47], v[14:15], v[46:47]
	v_add_f64 v[48:49], v[48:49], v[16:17]
	ds_read_b128 v[14:17], v24 offset:256
	s_waitcnt lgkmcnt(0)
	v_mul_f64 v[50:51], v[28:29], v[16:17]
	v_fma_f64 v[50:51], v[26:27], v[14:15], -v[50:51]
	v_mul_f64 v[26:27], v[26:27], v[16:17]
	v_fma_f64 v[26:27], v[28:29], v[14:15], v[26:27]
	v_add_f64 v[28:29], v[8:9], v[50:51]
	v_add_f64 v[26:27], v[26:27], v[6:7]
	ds_read_b128 v[6:9], v25 offset:2048
	s_waitcnt lgkmcnt(0)
	v_mul_f64 v[50:51], v[8:9], v[44:45]
	v_mul_f64 v[44:45], v[6:7], v[44:45]
	v_fma_f64 v[50:51], v[6:7], v[42:43], -v[50:51]
	v_fma_f64 v[42:43], v[8:9], v[42:43], v[44:45]
	v_add_f64 v[20:21], v[20:21], v[50:51]
	v_add_f64 v[18:19], v[42:43], v[18:19]
	v_mul_f64 v[42:43], v[8:9], v[16:17]
	v_fma_f64 v[42:43], v[6:7], v[14:15], -v[42:43]
	v_mul_f64 v[6:7], v[6:7], v[16:17]
	v_add_f64 v[42:43], v[12:13], v[42:43]
	v_fma_f64 v[6:7], v[8:9], v[14:15], v[6:7]
	v_add_f64 v[44:45], v[6:7], v[10:11]
	ds_read_b128 v[6:9], v24 offset:512
	s_waitcnt lgkmcnt(0)
	v_mul_f64 v[10:11], v[32:33], v[8:9]
	v_mul_f64 v[12:13], v[30:31], v[8:9]
	v_fma_f64 v[10:11], v[30:31], v[6:7], -v[10:11]
	v_fma_f64 v[12:13], v[32:33], v[6:7], v[12:13]
	v_add_f64 v[46:47], v[46:47], v[10:11]
	v_add_f64 v[48:49], v[12:13], v[48:49]
	ds_read_b128 v[10:13], v24 offset:768
	s_waitcnt lgkmcnt(0)
	v_mul_f64 v[14:15], v[32:33], v[12:13]
	v_mul_f64 v[16:17], v[30:31], v[12:13]
	v_fma_f64 v[14:15], v[30:31], v[10:11], -v[14:15]
	v_fma_f64 v[16:17], v[32:33], v[10:11], v[16:17]
	v_add_f64 v[28:29], v[28:29], v[14:15]
	v_add_f64 v[26:27], v[16:17], v[26:27]
	ds_read_b128 v[14:17], v25 offset:2064
	s_waitcnt lgkmcnt(0)
	v_mul_f64 v[30:31], v[16:17], v[8:9]
	v_mul_f64 v[8:9], v[14:15], v[8:9]
	v_fma_f64 v[30:31], v[14:15], v[6:7], -v[30:31]
	v_fma_f64 v[6:7], v[16:17], v[6:7], v[8:9]
	v_mul_f64 v[8:9], v[14:15], v[12:13]
	v_add_f64 v[20:21], v[20:21], v[30:31]
	v_add_f64 v[18:19], v[6:7], v[18:19]
	v_mul_f64 v[6:7], v[16:17], v[12:13]
	v_fma_f64 v[8:9], v[16:17], v[10:11], v[8:9]
	v_fma_f64 v[6:7], v[14:15], v[10:11], -v[6:7]
	v_add_f64 v[32:33], v[8:9], v[44:45]
	v_add_f64 v[30:31], v[42:43], v[6:7]
	ds_read_b128 v[6:9], v24 offset:1024
	s_waitcnt lgkmcnt(0)
	v_mul_f64 v[10:11], v[36:37], v[8:9]
	v_mul_f64 v[12:13], v[34:35], v[8:9]
	v_fma_f64 v[10:11], v[34:35], v[6:7], -v[10:11]
	v_fma_f64 v[12:13], v[36:37], v[6:7], v[12:13]
	v_add_f64 v[42:43], v[46:47], v[10:11]
	v_add_f64 v[44:45], v[12:13], v[48:49]
	ds_read_b128 v[10:13], v24 offset:1280
	s_waitcnt lgkmcnt(0)
	v_mul_f64 v[14:15], v[36:37], v[12:13]
	v_mul_f64 v[16:17], v[34:35], v[12:13]
	v_fma_f64 v[14:15], v[34:35], v[10:11], -v[14:15]
	v_fma_f64 v[16:17], v[36:37], v[10:11], v[16:17]
	v_add_f64 v[28:29], v[28:29], v[14:15]
	v_add_f64 v[26:27], v[16:17], v[26:27]
	ds_read_b128 v[14:17], v25 offset:2080
	s_waitcnt lgkmcnt(0)
	v_mul_f64 v[34:35], v[16:17], v[8:9]
	v_mul_f64 v[8:9], v[14:15], v[8:9]
	v_fma_f64 v[34:35], v[14:15], v[6:7], -v[34:35]
	v_fma_f64 v[6:7], v[16:17], v[6:7], v[8:9]
	v_mul_f64 v[8:9], v[14:15], v[12:13]
	v_add_f64 v[20:21], v[20:21], v[34:35]
	v_add_f64 v[18:19], v[6:7], v[18:19]
	v_mul_f64 v[6:7], v[16:17], v[12:13]
	v_fma_f64 v[8:9], v[16:17], v[10:11], v[8:9]
	v_fma_f64 v[6:7], v[14:15], v[10:11], -v[6:7]
	v_add_f64 v[32:33], v[8:9], v[32:33]
	v_add_f64 v[30:31], v[30:31], v[6:7]
	ds_read_b128 v[6:9], v24 offset:1536
	s_waitcnt lgkmcnt(0)
	v_mul_f64 v[10:11], v[40:41], v[8:9]
	v_mul_f64 v[12:13], v[38:39], v[8:9]
	v_fma_f64 v[10:11], v[38:39], v[6:7], -v[10:11]
	v_fma_f64 v[12:13], v[40:41], v[6:7], v[12:13]
	v_add_f64 v[34:35], v[42:43], v[10:11]
	v_add_f64 v[36:37], v[12:13], v[44:45]
	ds_read_b128 v[10:13], v24 offset:1792
	s_waitcnt lgkmcnt(0)
	v_mul_f64 v[14:15], v[40:41], v[12:13]
	v_mul_f64 v[16:17], v[38:39], v[12:13]
	v_fma_f64 v[14:15], v[38:39], v[10:11], -v[14:15]
	v_fma_f64 v[16:17], v[40:41], v[10:11], v[16:17]
	v_add_f64 v[28:29], v[28:29], v[14:15]
	v_add_f64 v[26:27], v[16:17], v[26:27]
	ds_read_b128 v[14:17], v25 offset:2096
	s_waitcnt lgkmcnt(0)
	v_mul_f64 v[38:39], v[16:17], v[8:9]
	v_mul_f64 v[8:9], v[14:15], v[8:9]
	v_fma_f64 v[38:39], v[14:15], v[6:7], -v[38:39]
	v_fma_f64 v[6:7], v[16:17], v[6:7], v[8:9]
	v_mul_f64 v[8:9], v[14:15], v[12:13]
	v_add_f64 v[20:21], v[20:21], v[38:39]
	v_add_f64 v[18:19], v[6:7], v[18:19]
	v_mul_f64 v[6:7], v[16:17], v[12:13]
	v_fma_f64 v[8:9], v[16:17], v[10:11], v[8:9]
	v_fma_f64 v[6:7], v[14:15], v[10:11], -v[6:7]
	v_add_f64 v[32:33], v[8:9], v[32:33]
	v_add_f64 v[30:31], v[30:31], v[6:7]
	ds_read_b128 v[6:9], v25 offset:64
	ds_read_b128 v[10:13], v24 offset:2048
	s_waitcnt lgkmcnt(0)
	v_mul_f64 v[14:15], v[8:9], v[12:13]
	v_mul_f64 v[16:17], v[6:7], v[12:13]
	v_fma_f64 v[14:15], v[6:7], v[10:11], -v[14:15]
	v_fma_f64 v[16:17], v[8:9], v[10:11], v[16:17]
	v_add_f64 v[34:35], v[34:35], v[14:15]
	v_add_f64 v[36:37], v[16:17], v[36:37]
	ds_read_b128 v[14:17], v24 offset:2304
	s_waitcnt lgkmcnt(0)
	v_mul_f64 v[38:39], v[8:9], v[16:17]
	v_fma_f64 v[38:39], v[6:7], v[14:15], -v[38:39]
	v_mul_f64 v[6:7], v[6:7], v[16:17]
	v_add_f64 v[28:29], v[28:29], v[38:39]
	v_fma_f64 v[6:7], v[8:9], v[14:15], v[6:7]
	v_add_f64 v[26:27], v[6:7], v[26:27]
	ds_read_b128 v[6:9], v25 offset:2112
	s_waitcnt lgkmcnt(0)
	v_mul_f64 v[38:39], v[8:9], v[12:13]
	v_mul_f64 v[12:13], v[6:7], v[12:13]
	v_fma_f64 v[38:39], v[6:7], v[10:11], -v[38:39]
	v_fma_f64 v[10:11], v[8:9], v[10:11], v[12:13]
	v_add_f64 v[20:21], v[20:21], v[38:39]
	v_add_f64 v[18:19], v[10:11], v[18:19]
	v_mul_f64 v[10:11], v[8:9], v[16:17]
	v_fma_f64 v[10:11], v[6:7], v[14:15], -v[10:11]
	v_mul_f64 v[6:7], v[6:7], v[16:17]
	v_add_f64 v[30:31], v[30:31], v[10:11]
	v_fma_f64 v[6:7], v[8:9], v[14:15], v[6:7]
	v_add_f64 v[32:33], v[6:7], v[32:33]
	ds_read_b128 v[6:9], v25 offset:80
	ds_read_b128 v[10:13], v24 offset:2560
	s_waitcnt lgkmcnt(0)
	v_mul_f64 v[14:15], v[8:9], v[12:13]
	v_mul_f64 v[16:17], v[6:7], v[12:13]
	v_fma_f64 v[14:15], v[6:7], v[10:11], -v[14:15]
	v_fma_f64 v[16:17], v[8:9], v[10:11], v[16:17]
	v_add_f64 v[34:35], v[34:35], v[14:15]
	v_add_f64 v[36:37], v[16:17], v[36:37]
	ds_read_b128 v[14:17], v24 offset:2816
	s_waitcnt lgkmcnt(0)
	v_mul_f64 v[38:39], v[8:9], v[16:17]
	v_fma_f64 v[38:39], v[6:7], v[14:15], -v[38:39]
	v_mul_f64 v[6:7], v[6:7], v[16:17]
	v_add_f64 v[28:29], v[28:29], v[38:39]
	v_fma_f64 v[6:7], v[8:9], v[14:15], v[6:7]
	v_add_f64 v[26:27], v[6:7], v[26:27]
	ds_read_b128 v[6:9], v25 offset:2128
	s_waitcnt lgkmcnt(0)
	v_mul_f64 v[38:39], v[8:9], v[12:13]
	v_mul_f64 v[12:13], v[6:7], v[12:13]
	v_fma_f64 v[38:39], v[6:7], v[10:11], -v[38:39]
	v_fma_f64 v[10:11], v[8:9], v[10:11], v[12:13]
	v_add_f64 v[20:21], v[20:21], v[38:39]
	v_add_f64 v[18:19], v[10:11], v[18:19]
	v_mul_f64 v[10:11], v[8:9], v[16:17]
	v_fma_f64 v[10:11], v[6:7], v[14:15], -v[10:11]
	v_mul_f64 v[6:7], v[6:7], v[16:17]
	v_add_f64 v[30:31], v[30:31], v[10:11]
	v_fma_f64 v[6:7], v[8:9], v[14:15], v[6:7]
	;; [unrolled: 31-line block ×3, first 2 shown]
	v_add_f64 v[44:45], v[6:7], v[32:33]
	ds_read_b128 v[6:9], v25 offset:112
	ds_read_b128 v[10:13], v24 offset:3584
	;; [unrolled: 1-line block ×3, first 2 shown]
	s_waitcnt lgkmcnt(1)
	v_mul_f64 v[14:15], v[8:9], v[12:13]
	s_waitcnt lgkmcnt(0)
	v_mul_f64 v[30:31], v[8:9], v[28:29]
	v_mul_f64 v[16:17], v[6:7], v[12:13]
	v_fma_f64 v[14:15], v[6:7], v[10:11], -v[14:15]
	v_fma_f64 v[30:31], v[6:7], v[26:27], -v[30:31]
	v_mul_f64 v[6:7], v[6:7], v[28:29]
	v_fma_f64 v[16:17], v[8:9], v[10:11], v[16:17]
	v_add_f64 v[14:15], v[34:35], v[14:15]
	v_fma_f64 v[6:7], v[8:9], v[26:27], v[6:7]
	v_add_f64 v[8:9], v[38:39], v[30:31]
	ds_read_b128 v[30:33], v25 offset:2160
	v_add_f64 v[16:17], v[16:17], v[36:37]
	s_waitcnt lgkmcnt(0)
	s_barrier
	v_mul_f64 v[34:35], v[32:33], v[12:13]
	v_mul_f64 v[12:13], v[30:31], v[12:13]
	v_add_f64 v[6:7], v[6:7], v[40:41]
	v_fma_f64 v[34:35], v[30:31], v[10:11], -v[34:35]
	v_fma_f64 v[10:11], v[32:33], v[10:11], v[12:13]
	v_mul_f64 v[12:13], v[30:31], v[28:29]
	v_add_f64 v[20:21], v[20:21], v[34:35]
	v_add_f64 v[18:19], v[10:11], v[18:19]
	v_mul_f64 v[10:11], v[32:33], v[28:29]
	v_fma_f64 v[10:11], v[30:31], v[26:27], -v[10:11]
	v_fma_f64 v[26:27], v[32:33], v[26:27], v[12:13]
	v_add_f64 v[12:13], v[42:43], v[10:11]
	v_add_f64 v[10:11], v[26:27], v[44:45]
	v_mov_b32_e32 v27, s1
	v_mov_b32_e32 v26, s0
	v_cmp_le_u64_e32 vcc, s[12:13], v[26:27]
	s_cbranch_vccz .LBB1161_2
	s_branch .LBB1161_4
.LBB1161_3:
	v_mov_b32_e32 v14, 0
	v_mov_b32_e32 v16, 0
	;; [unrolled: 1-line block ×16, first 2 shown]
.LBB1161_4:
	s_load_dwordx4 s[12:15], s[4:5], 0x48
	s_load_dword s6, s[4:5], 0x0
	v_add_u32_e32 v4, s3, v1
	v_ashrrev_i32_e32 v1, 31, v4
	v_add_u32_e32 v0, s2, v0
	s_waitcnt lgkmcnt(0)
	s_mul_i32 s1, s15, s8
	s_mul_hi_u32 s3, s14, s8
	s_mul_i32 s0, s14, s8
	v_mul_lo_u32 v3, s12, v1
	v_mul_lo_u32 v5, s13, v4
	v_mad_u64_u32 v[1:2], s[8:9], s12, v4, 0
	s_add_i32 s1, s3, s1
	s_lshl_b64 s[0:1], s[0:1], 4
	v_add3_u32 v2, v2, v3, v5
	s_add_u32 s4, s26, s0
	v_lshlrev_b64 v[1:2], 4, v[1:2]
	s_addc_u32 s5, s27, s1
	v_mov_b32_e32 v3, s5
	v_add_co_u32_e64 v5, s[0:1], s4, v1
	v_addc_co_u32_e64 v22, s[0:1], v3, v2, s[0:1]
	v_cmp_gt_i32_e32 vcc, s6, v4
	v_cmp_le_i32_e64 s[0:1], v0, v4
	s_and_b64 s[0:1], vcc, s[0:1]
	s_and_saveexec_b64 s[2:3], s[0:1]
	s_cbranch_execz .LBB1161_6
; %bb.5:
	v_ashrrev_i32_e32 v1, 31, v0
	v_lshlrev_b64 v[1:2], 4, v[0:1]
	v_add_co_u32_e64 v1, s[0:1], v5, v1
	v_addc_co_u32_e64 v2, s[0:1], v22, v2, s[0:1]
	global_load_dwordx4 v[23:26], v[1:2], off
	s_waitcnt vmcnt(0)
	v_add_f64 v[14:15], v[14:15], v[23:24]
	v_add_f64 v[16:17], v[16:17], v[25:26]
	global_store_dwordx4 v[1:2], v[14:17], off
.LBB1161_6:
	s_or_b64 exec, exec, s[2:3]
	v_add_u32_e32 v2, 16, v0
	v_cmp_le_i32_e64 s[0:1], v2, v4
	s_and_b64 s[2:3], vcc, s[0:1]
	s_and_saveexec_b64 s[0:1], s[2:3]
	s_cbranch_execz .LBB1161_8
; %bb.7:
	v_ashrrev_i32_e32 v3, 31, v2
	v_lshlrev_b64 v[14:15], 4, v[2:3]
	v_add_co_u32_e32 v23, vcc, v5, v14
	v_addc_co_u32_e32 v24, vcc, v22, v15, vcc
	global_load_dwordx4 v[14:17], v[23:24], off
	s_waitcnt vmcnt(0)
	v_add_f64 v[14:15], v[8:9], v[14:15]
	v_add_f64 v[16:17], v[6:7], v[16:17]
	global_store_dwordx4 v[23:24], v[14:17], off
.LBB1161_8:
	s_or_b64 exec, exec, s[0:1]
	v_add_u32_e32 v3, 16, v4
	v_ashrrev_i32_e32 v1, 31, v3
	v_mul_lo_u32 v1, s12, v1
	v_mul_lo_u32 v6, s13, v3
	v_mad_u64_u32 v[4:5], s[0:1], s12, v3, 0
	v_cmp_gt_i32_e32 vcc, s6, v3
	v_add3_u32 v5, v5, v1, v6
	v_lshlrev_b64 v[4:5], 4, v[4:5]
	v_mov_b32_e32 v1, s5
	v_add_co_u32_e64 v4, s[0:1], s4, v4
	v_addc_co_u32_e64 v5, s[0:1], v1, v5, s[0:1]
	v_cmp_le_i32_e64 s[0:1], v0, v3
	s_and_b64 s[0:1], vcc, s[0:1]
	s_and_saveexec_b64 s[2:3], s[0:1]
	s_cbranch_execz .LBB1161_10
; %bb.9:
	v_ashrrev_i32_e32 v1, 31, v0
	v_lshlrev_b64 v[0:1], 4, v[0:1]
	v_add_co_u32_e64 v0, s[0:1], v4, v0
	v_addc_co_u32_e64 v1, s[0:1], v5, v1, s[0:1]
	global_load_dwordx4 v[6:9], v[0:1], off
	s_waitcnt vmcnt(0)
	v_add_f64 v[6:7], v[20:21], v[6:7]
	v_add_f64 v[8:9], v[18:19], v[8:9]
	global_store_dwordx4 v[0:1], v[6:9], off
.LBB1161_10:
	s_or_b64 exec, exec, s[2:3]
	v_cmp_le_i32_e64 s[0:1], v2, v3
	s_and_b64 s[0:1], vcc, s[0:1]
	s_and_saveexec_b64 s[2:3], s[0:1]
	s_cbranch_execz .LBB1161_12
; %bb.11:
	v_ashrrev_i32_e32 v3, 31, v2
	v_lshlrev_b64 v[0:1], 4, v[2:3]
	v_add_co_u32_e32 v4, vcc, v4, v0
	v_addc_co_u32_e32 v5, vcc, v5, v1, vcc
	global_load_dwordx4 v[0:3], v[4:5], off
	s_waitcnt vmcnt(0)
	v_add_f64 v[0:1], v[12:13], v[0:1]
	v_add_f64 v[2:3], v[10:11], v[2:3]
	global_store_dwordx4 v[4:5], v[0:3], off
.LBB1161_12:
	s_endpgm
	.section	.rodata,"a",@progbits
	.p2align	6, 0x0
	.amdhsa_kernel _ZL37rocblas_syrkx_herkx_restricted_kernelIl19rocblas_complex_numIdELi16ELi32ELi8ELi1ELi1ELb0ELc67ELc85EKS1_S1_EviT_PT9_S3_lS5_S3_lPT10_S3_li
		.amdhsa_group_segment_fixed_size 8192
		.amdhsa_private_segment_fixed_size 0
		.amdhsa_kernarg_size 92
		.amdhsa_user_sgpr_count 6
		.amdhsa_user_sgpr_private_segment_buffer 1
		.amdhsa_user_sgpr_dispatch_ptr 0
		.amdhsa_user_sgpr_queue_ptr 0
		.amdhsa_user_sgpr_kernarg_segment_ptr 1
		.amdhsa_user_sgpr_dispatch_id 0
		.amdhsa_user_sgpr_flat_scratch_init 0
		.amdhsa_user_sgpr_private_segment_size 0
		.amdhsa_uses_dynamic_stack 0
		.amdhsa_system_sgpr_private_segment_wavefront_offset 0
		.amdhsa_system_sgpr_workgroup_id_x 1
		.amdhsa_system_sgpr_workgroup_id_y 1
		.amdhsa_system_sgpr_workgroup_id_z 1
		.amdhsa_system_sgpr_workgroup_info 0
		.amdhsa_system_vgpr_workitem_id 1
		.amdhsa_next_free_vgpr 52
		.amdhsa_next_free_sgpr 61
		.amdhsa_reserve_vcc 1
		.amdhsa_reserve_flat_scratch 0
		.amdhsa_float_round_mode_32 0
		.amdhsa_float_round_mode_16_64 0
		.amdhsa_float_denorm_mode_32 3
		.amdhsa_float_denorm_mode_16_64 3
		.amdhsa_dx10_clamp 1
		.amdhsa_ieee_mode 1
		.amdhsa_fp16_overflow 0
		.amdhsa_exception_fp_ieee_invalid_op 0
		.amdhsa_exception_fp_denorm_src 0
		.amdhsa_exception_fp_ieee_div_zero 0
		.amdhsa_exception_fp_ieee_overflow 0
		.amdhsa_exception_fp_ieee_underflow 0
		.amdhsa_exception_fp_ieee_inexact 0
		.amdhsa_exception_int_div_zero 0
	.end_amdhsa_kernel
	.section	.text._ZL37rocblas_syrkx_herkx_restricted_kernelIl19rocblas_complex_numIdELi16ELi32ELi8ELi1ELi1ELb0ELc67ELc85EKS1_S1_EviT_PT9_S3_lS5_S3_lPT10_S3_li,"axG",@progbits,_ZL37rocblas_syrkx_herkx_restricted_kernelIl19rocblas_complex_numIdELi16ELi32ELi8ELi1ELi1ELb0ELc67ELc85EKS1_S1_EviT_PT9_S3_lS5_S3_lPT10_S3_li,comdat
.Lfunc_end1161:
	.size	_ZL37rocblas_syrkx_herkx_restricted_kernelIl19rocblas_complex_numIdELi16ELi32ELi8ELi1ELi1ELb0ELc67ELc85EKS1_S1_EviT_PT9_S3_lS5_S3_lPT10_S3_li, .Lfunc_end1161-_ZL37rocblas_syrkx_herkx_restricted_kernelIl19rocblas_complex_numIdELi16ELi32ELi8ELi1ELi1ELb0ELc67ELc85EKS1_S1_EviT_PT9_S3_lS5_S3_lPT10_S3_li
                                        ; -- End function
	.set _ZL37rocblas_syrkx_herkx_restricted_kernelIl19rocblas_complex_numIdELi16ELi32ELi8ELi1ELi1ELb0ELc67ELc85EKS1_S1_EviT_PT9_S3_lS5_S3_lPT10_S3_li.num_vgpr, 52
	.set _ZL37rocblas_syrkx_herkx_restricted_kernelIl19rocblas_complex_numIdELi16ELi32ELi8ELi1ELi1ELb0ELc67ELc85EKS1_S1_EviT_PT9_S3_lS5_S3_lPT10_S3_li.num_agpr, 0
	.set _ZL37rocblas_syrkx_herkx_restricted_kernelIl19rocblas_complex_numIdELi16ELi32ELi8ELi1ELi1ELb0ELc67ELc85EKS1_S1_EviT_PT9_S3_lS5_S3_lPT10_S3_li.numbered_sgpr, 28
	.set _ZL37rocblas_syrkx_herkx_restricted_kernelIl19rocblas_complex_numIdELi16ELi32ELi8ELi1ELi1ELb0ELc67ELc85EKS1_S1_EviT_PT9_S3_lS5_S3_lPT10_S3_li.num_named_barrier, 0
	.set _ZL37rocblas_syrkx_herkx_restricted_kernelIl19rocblas_complex_numIdELi16ELi32ELi8ELi1ELi1ELb0ELc67ELc85EKS1_S1_EviT_PT9_S3_lS5_S3_lPT10_S3_li.private_seg_size, 0
	.set _ZL37rocblas_syrkx_herkx_restricted_kernelIl19rocblas_complex_numIdELi16ELi32ELi8ELi1ELi1ELb0ELc67ELc85EKS1_S1_EviT_PT9_S3_lS5_S3_lPT10_S3_li.uses_vcc, 1
	.set _ZL37rocblas_syrkx_herkx_restricted_kernelIl19rocblas_complex_numIdELi16ELi32ELi8ELi1ELi1ELb0ELc67ELc85EKS1_S1_EviT_PT9_S3_lS5_S3_lPT10_S3_li.uses_flat_scratch, 0
	.set _ZL37rocblas_syrkx_herkx_restricted_kernelIl19rocblas_complex_numIdELi16ELi32ELi8ELi1ELi1ELb0ELc67ELc85EKS1_S1_EviT_PT9_S3_lS5_S3_lPT10_S3_li.has_dyn_sized_stack, 0
	.set _ZL37rocblas_syrkx_herkx_restricted_kernelIl19rocblas_complex_numIdELi16ELi32ELi8ELi1ELi1ELb0ELc67ELc85EKS1_S1_EviT_PT9_S3_lS5_S3_lPT10_S3_li.has_recursion, 0
	.set _ZL37rocblas_syrkx_herkx_restricted_kernelIl19rocblas_complex_numIdELi16ELi32ELi8ELi1ELi1ELb0ELc67ELc85EKS1_S1_EviT_PT9_S3_lS5_S3_lPT10_S3_li.has_indirect_call, 0
	.section	.AMDGPU.csdata,"",@progbits
; Kernel info:
; codeLenInByte = 2972
; TotalNumSgprs: 32
; NumVgprs: 52
; ScratchSize: 0
; MemoryBound: 0
; FloatMode: 240
; IeeeMode: 1
; LDSByteSize: 8192 bytes/workgroup (compile time only)
; SGPRBlocks: 8
; VGPRBlocks: 12
; NumSGPRsForWavesPerEU: 65
; NumVGPRsForWavesPerEU: 52
; Occupancy: 4
; WaveLimiterHint : 1
; COMPUTE_PGM_RSRC2:SCRATCH_EN: 0
; COMPUTE_PGM_RSRC2:USER_SGPR: 6
; COMPUTE_PGM_RSRC2:TRAP_HANDLER: 0
; COMPUTE_PGM_RSRC2:TGID_X_EN: 1
; COMPUTE_PGM_RSRC2:TGID_Y_EN: 1
; COMPUTE_PGM_RSRC2:TGID_Z_EN: 1
; COMPUTE_PGM_RSRC2:TIDIG_COMP_CNT: 1
	.section	.text._ZL37rocblas_syrkx_herkx_restricted_kernelIl19rocblas_complex_numIdELi16ELi32ELi8ELi1ELi1ELb0ELc78ELc85EKS1_S1_EviT_PT9_S3_lS5_S3_lPT10_S3_li,"axG",@progbits,_ZL37rocblas_syrkx_herkx_restricted_kernelIl19rocblas_complex_numIdELi16ELi32ELi8ELi1ELi1ELb0ELc78ELc85EKS1_S1_EviT_PT9_S3_lS5_S3_lPT10_S3_li,comdat
	.globl	_ZL37rocblas_syrkx_herkx_restricted_kernelIl19rocblas_complex_numIdELi16ELi32ELi8ELi1ELi1ELb0ELc78ELc85EKS1_S1_EviT_PT9_S3_lS5_S3_lPT10_S3_li ; -- Begin function _ZL37rocblas_syrkx_herkx_restricted_kernelIl19rocblas_complex_numIdELi16ELi32ELi8ELi1ELi1ELb0ELc78ELc85EKS1_S1_EviT_PT9_S3_lS5_S3_lPT10_S3_li
	.p2align	8
	.type	_ZL37rocblas_syrkx_herkx_restricted_kernelIl19rocblas_complex_numIdELi16ELi32ELi8ELi1ELi1ELb0ELc78ELc85EKS1_S1_EviT_PT9_S3_lS5_S3_lPT10_S3_li,@function
_ZL37rocblas_syrkx_herkx_restricted_kernelIl19rocblas_complex_numIdELi16ELi32ELi8ELi1ELi1ELb0ELc78ELc85EKS1_S1_EviT_PT9_S3_lS5_S3_lPT10_S3_li: ; @_ZL37rocblas_syrkx_herkx_restricted_kernelIl19rocblas_complex_numIdELi16ELi32ELi8ELi1ELi1ELb0ELc78ELc85EKS1_S1_EviT_PT9_S3_lS5_S3_lPT10_S3_li
; %bb.0:
	s_load_dwordx16 s[12:27], s[4:5], 0x8
	s_lshl_b32 s9, s6, 5
	s_lshl_b32 s10, s7, 5
	s_waitcnt lgkmcnt(0)
	v_cmp_lt_i64_e64 s[0:1], s[12:13], 1
	s_and_b64 vcc, exec, s[0:1]
	s_cbranch_vccnz .LBB1162_3
; %bb.1:
	v_lshl_add_u32 v7, v1, 4, v0
	v_lshrrev_b32_e32 v8, 3, v7
	v_add_u32_e32 v2, s10, v8
	v_and_b32_e32 v6, 7, v0
	v_ashrrev_i32_e32 v3, 31, v2
	v_mad_u64_u32 v[4:5], s[0:1], s22, v6, v[2:3]
	v_lshrrev_b32_e32 v9, 5, v7
	s_mul_i32 s2, s19, s8
	v_mov_b32_e32 v2, v5
	v_mad_u64_u32 v[2:3], s[0:1], s23, v6, v[2:3]
	v_and_b32_e32 v3, 31, v7
	v_lshlrev_b32_e32 v7, 4, v3
	v_mov_b32_e32 v5, v2
	v_lshlrev_b32_e32 v2, 4, v6
	v_lshl_or_b32 v2, v8, 7, v2
	v_add_u32_e32 v23, 0x1000, v2
	v_add_u32_e32 v2, s9, v3
	v_ashrrev_i32_e32 v3, 31, v2
	v_mad_u64_u32 v[2:3], s[0:1], s16, v9, v[2:3]
	v_mov_b32_e32 v6, 0x1000
	v_lshl_or_b32 v22, v9, 9, v7
	v_lshl_add_u32 v25, v1, 7, v6
	v_mad_u64_u32 v[6:7], s[0:1], s17, v9, v[3:4]
	s_mul_hi_u32 s3, s18, s8
	s_add_i32 s1, s3, s2
	s_mul_i32 s0, s18, s8
	s_lshl_b64 s[0:1], s[0:1], 4
	v_mov_b32_e32 v3, v6
	v_lshlrev_b64 v[2:3], 4, v[2:3]
	s_add_u32 s0, s14, s0
	s_addc_u32 s1, s15, s1
	s_mul_i32 s2, s25, s8
	s_mul_hi_u32 s3, s24, s8
	v_mov_b32_e32 v6, s1
	v_add_co_u32_e32 v2, vcc, s0, v2
	s_add_i32 s3, s3, s2
	s_mul_i32 s2, s24, s8
	v_addc_co_u32_e32 v3, vcc, v6, v3, vcc
	s_lshl_b64 s[0:1], s[16:17], 7
	s_lshl_b64 s[2:3], s[2:3], 4
	v_add_co_u32_e32 v2, vcc, 8, v2
	v_lshlrev_b64 v[4:5], 4, v[4:5]
	s_add_u32 s2, s20, s2
	v_addc_co_u32_e32 v3, vcc, 0, v3, vcc
	s_addc_u32 s3, s21, s3
	v_mov_b32_e32 v6, s3
	v_add_co_u32_e32 v4, vcc, s2, v4
	v_addc_co_u32_e32 v5, vcc, v6, v5, vcc
	v_add_co_u32_e32 v4, vcc, 8, v4
	s_lshl_b64 s[2:3], s[22:23], 7
	v_mov_b32_e32 v10, 0
	v_mov_b32_e32 v12, 0
	;; [unrolled: 1-line block ×8, first 2 shown]
	v_lshlrev_b32_e32 v24, 4, v0
	v_addc_co_u32_e32 v5, vcc, 0, v5, vcc
	v_mov_b32_e32 v11, 0
	s_mov_b64 s[6:7], 0
	v_mov_b32_e32 v26, s1
	v_mov_b32_e32 v13, 0
	;; [unrolled: 1-line block ×9, first 2 shown]
.LBB1162_2:                             ; =>This Inner Loop Header: Depth=1
	global_load_dwordx4 v[28:31], v[2:3], off offset:-8
	s_add_u32 s6, s6, 8
	v_add_co_u32_e32 v2, vcc, s0, v2
	s_addc_u32 s7, s7, 0
	v_addc_co_u32_e32 v3, vcc, v3, v26, vcc
	s_waitcnt vmcnt(0)
	ds_write_b128 v22, v[28:31]
	global_load_dwordx4 v[28:31], v[4:5], off offset:-8
	v_add_co_u32_e32 v4, vcc, s2, v4
	v_addc_co_u32_e32 v5, vcc, v5, v27, vcc
	s_waitcnt vmcnt(0)
	ds_write_b128 v23, v[28:31]
	s_waitcnt lgkmcnt(0)
	s_barrier
	ds_read_b128 v[28:31], v25
	ds_read_b128 v[32:35], v25 offset:16
	ds_read_b128 v[36:39], v25 offset:32
	ds_read_b128 v[40:43], v25 offset:48
	ds_read_b128 v[44:47], v24
	s_waitcnt lgkmcnt(0)
	v_mul_f64 v[48:49], v[30:31], v[46:47]
	v_mul_f64 v[50:51], v[28:29], v[46:47]
	v_fma_f64 v[48:49], v[28:29], v[44:45], -v[48:49]
	v_fma_f64 v[50:51], v[30:31], v[44:45], v[50:51]
	v_add_f64 v[48:49], v[18:19], v[48:49]
	v_add_f64 v[50:51], v[50:51], v[20:21]
	ds_read_b128 v[18:21], v24 offset:256
	s_waitcnt lgkmcnt(0)
	v_mul_f64 v[52:53], v[30:31], v[20:21]
	v_fma_f64 v[52:53], v[28:29], v[18:19], -v[52:53]
	v_mul_f64 v[28:29], v[28:29], v[20:21]
	v_fma_f64 v[28:29], v[30:31], v[18:19], v[28:29]
	v_add_f64 v[30:31], v[8:9], v[52:53]
	v_add_f64 v[28:29], v[28:29], v[6:7]
	ds_read_b128 v[6:9], v25 offset:2048
	s_waitcnt lgkmcnt(0)
	v_mul_f64 v[52:53], v[8:9], v[46:47]
	v_mul_f64 v[46:47], v[6:7], v[46:47]
	v_fma_f64 v[52:53], v[6:7], v[44:45], -v[52:53]
	v_fma_f64 v[44:45], v[8:9], v[44:45], v[46:47]
	v_add_f64 v[46:47], v[16:17], v[52:53]
	v_add_f64 v[44:45], v[44:45], v[14:15]
	v_mul_f64 v[14:15], v[8:9], v[20:21]
	v_fma_f64 v[14:15], v[6:7], v[18:19], -v[14:15]
	v_mul_f64 v[6:7], v[6:7], v[20:21]
	v_fma_f64 v[6:7], v[8:9], v[18:19], v[6:7]
	v_add_f64 v[18:19], v[12:13], v[14:15]
	v_add_f64 v[20:21], v[6:7], v[10:11]
	ds_read_b128 v[6:9], v24 offset:512
	s_waitcnt lgkmcnt(0)
	v_mul_f64 v[10:11], v[34:35], v[8:9]
	v_mul_f64 v[12:13], v[32:33], v[8:9]
	v_fma_f64 v[10:11], v[32:33], v[6:7], -v[10:11]
	v_fma_f64 v[12:13], v[34:35], v[6:7], v[12:13]
	v_add_f64 v[48:49], v[48:49], v[10:11]
	v_add_f64 v[50:51], v[12:13], v[50:51]
	ds_read_b128 v[10:13], v24 offset:768
	s_waitcnt lgkmcnt(0)
	v_mul_f64 v[14:15], v[34:35], v[12:13]
	v_mul_f64 v[16:17], v[32:33], v[12:13]
	v_fma_f64 v[14:15], v[32:33], v[10:11], -v[14:15]
	;; [unrolled: 8-line block ×3, first 2 shown]
	v_fma_f64 v[6:7], v[16:17], v[6:7], v[8:9]
	v_mul_f64 v[8:9], v[14:15], v[12:13]
	v_add_f64 v[32:33], v[46:47], v[32:33]
	v_add_f64 v[34:35], v[6:7], v[44:45]
	v_mul_f64 v[6:7], v[16:17], v[12:13]
	v_fma_f64 v[8:9], v[16:17], v[10:11], v[8:9]
	v_fma_f64 v[6:7], v[14:15], v[10:11], -v[6:7]
	v_add_f64 v[20:21], v[8:9], v[20:21]
	v_add_f64 v[18:19], v[18:19], v[6:7]
	ds_read_b128 v[6:9], v24 offset:1024
	s_waitcnt lgkmcnt(0)
	v_mul_f64 v[10:11], v[38:39], v[8:9]
	v_mul_f64 v[12:13], v[36:37], v[8:9]
	v_fma_f64 v[10:11], v[36:37], v[6:7], -v[10:11]
	v_fma_f64 v[12:13], v[38:39], v[6:7], v[12:13]
	v_add_f64 v[44:45], v[48:49], v[10:11]
	v_add_f64 v[46:47], v[12:13], v[50:51]
	ds_read_b128 v[10:13], v24 offset:1280
	s_waitcnt lgkmcnt(0)
	v_mul_f64 v[14:15], v[38:39], v[12:13]
	v_mul_f64 v[16:17], v[36:37], v[12:13]
	v_fma_f64 v[14:15], v[36:37], v[10:11], -v[14:15]
	v_fma_f64 v[16:17], v[38:39], v[10:11], v[16:17]
	;; [unrolled: 8-line block ×3, first 2 shown]
	v_mul_f64 v[8:9], v[14:15], v[12:13]
	v_add_f64 v[32:33], v[32:33], v[36:37]
	v_add_f64 v[34:35], v[6:7], v[34:35]
	v_mul_f64 v[6:7], v[16:17], v[12:13]
	v_fma_f64 v[8:9], v[16:17], v[10:11], v[8:9]
	v_fma_f64 v[6:7], v[14:15], v[10:11], -v[6:7]
	v_add_f64 v[20:21], v[8:9], v[20:21]
	v_add_f64 v[18:19], v[18:19], v[6:7]
	ds_read_b128 v[6:9], v24 offset:1536
	s_waitcnt lgkmcnt(0)
	v_mul_f64 v[10:11], v[42:43], v[8:9]
	v_mul_f64 v[12:13], v[40:41], v[8:9]
	v_fma_f64 v[10:11], v[40:41], v[6:7], -v[10:11]
	v_fma_f64 v[12:13], v[42:43], v[6:7], v[12:13]
	v_add_f64 v[36:37], v[44:45], v[10:11]
	v_add_f64 v[38:39], v[12:13], v[46:47]
	ds_read_b128 v[10:13], v24 offset:1792
	s_waitcnt lgkmcnt(0)
	v_mul_f64 v[14:15], v[42:43], v[12:13]
	v_mul_f64 v[16:17], v[40:41], v[12:13]
	v_fma_f64 v[14:15], v[40:41], v[10:11], -v[14:15]
	v_fma_f64 v[16:17], v[42:43], v[10:11], v[16:17]
	;; [unrolled: 8-line block ×3, first 2 shown]
	v_mul_f64 v[8:9], v[14:15], v[12:13]
	v_add_f64 v[32:33], v[32:33], v[40:41]
	v_add_f64 v[34:35], v[6:7], v[34:35]
	v_mul_f64 v[6:7], v[16:17], v[12:13]
	v_fma_f64 v[8:9], v[16:17], v[10:11], v[8:9]
	v_fma_f64 v[6:7], v[14:15], v[10:11], -v[6:7]
	v_add_f64 v[20:21], v[8:9], v[20:21]
	v_add_f64 v[18:19], v[18:19], v[6:7]
	ds_read_b128 v[6:9], v25 offset:64
	ds_read_b128 v[10:13], v24 offset:2048
	s_waitcnt lgkmcnt(0)
	v_mul_f64 v[14:15], v[8:9], v[12:13]
	v_mul_f64 v[16:17], v[6:7], v[12:13]
	v_fma_f64 v[14:15], v[6:7], v[10:11], -v[14:15]
	v_fma_f64 v[16:17], v[8:9], v[10:11], v[16:17]
	v_add_f64 v[36:37], v[36:37], v[14:15]
	v_add_f64 v[38:39], v[16:17], v[38:39]
	ds_read_b128 v[14:17], v24 offset:2304
	s_waitcnt lgkmcnt(0)
	v_mul_f64 v[40:41], v[8:9], v[16:17]
	v_fma_f64 v[40:41], v[6:7], v[14:15], -v[40:41]
	v_mul_f64 v[6:7], v[6:7], v[16:17]
	v_add_f64 v[30:31], v[30:31], v[40:41]
	v_fma_f64 v[6:7], v[8:9], v[14:15], v[6:7]
	v_add_f64 v[28:29], v[6:7], v[28:29]
	ds_read_b128 v[6:9], v25 offset:2112
	s_waitcnt lgkmcnt(0)
	v_mul_f64 v[40:41], v[8:9], v[12:13]
	v_mul_f64 v[12:13], v[6:7], v[12:13]
	v_fma_f64 v[40:41], v[6:7], v[10:11], -v[40:41]
	v_fma_f64 v[10:11], v[8:9], v[10:11], v[12:13]
	v_add_f64 v[32:33], v[32:33], v[40:41]
	v_add_f64 v[34:35], v[10:11], v[34:35]
	v_mul_f64 v[10:11], v[8:9], v[16:17]
	v_fma_f64 v[10:11], v[6:7], v[14:15], -v[10:11]
	v_mul_f64 v[6:7], v[6:7], v[16:17]
	v_add_f64 v[18:19], v[18:19], v[10:11]
	v_fma_f64 v[6:7], v[8:9], v[14:15], v[6:7]
	v_add_f64 v[20:21], v[6:7], v[20:21]
	ds_read_b128 v[6:9], v25 offset:80
	ds_read_b128 v[10:13], v24 offset:2560
	s_waitcnt lgkmcnt(0)
	v_mul_f64 v[14:15], v[8:9], v[12:13]
	v_mul_f64 v[16:17], v[6:7], v[12:13]
	v_fma_f64 v[14:15], v[6:7], v[10:11], -v[14:15]
	v_fma_f64 v[16:17], v[8:9], v[10:11], v[16:17]
	v_add_f64 v[36:37], v[36:37], v[14:15]
	v_add_f64 v[38:39], v[16:17], v[38:39]
	ds_read_b128 v[14:17], v24 offset:2816
	s_waitcnt lgkmcnt(0)
	v_mul_f64 v[40:41], v[8:9], v[16:17]
	v_fma_f64 v[40:41], v[6:7], v[14:15], -v[40:41]
	v_mul_f64 v[6:7], v[6:7], v[16:17]
	v_add_f64 v[30:31], v[30:31], v[40:41]
	v_fma_f64 v[6:7], v[8:9], v[14:15], v[6:7]
	v_add_f64 v[28:29], v[6:7], v[28:29]
	ds_read_b128 v[6:9], v25 offset:2128
	s_waitcnt lgkmcnt(0)
	v_mul_f64 v[40:41], v[8:9], v[12:13]
	v_mul_f64 v[12:13], v[6:7], v[12:13]
	v_fma_f64 v[40:41], v[6:7], v[10:11], -v[40:41]
	v_fma_f64 v[10:11], v[8:9], v[10:11], v[12:13]
	v_add_f64 v[32:33], v[32:33], v[40:41]
	v_add_f64 v[34:35], v[10:11], v[34:35]
	v_mul_f64 v[10:11], v[8:9], v[16:17]
	v_fma_f64 v[10:11], v[6:7], v[14:15], -v[10:11]
	v_mul_f64 v[6:7], v[6:7], v[16:17]
	v_add_f64 v[18:19], v[18:19], v[10:11]
	v_fma_f64 v[6:7], v[8:9], v[14:15], v[6:7]
	;; [unrolled: 31-line block ×3, first 2 shown]
	v_add_f64 v[50:51], v[6:7], v[20:21]
	ds_read_b128 v[6:9], v25 offset:112
	ds_read_b128 v[10:13], v24 offset:3584
	;; [unrolled: 1-line block ×4, first 2 shown]
	s_waitcnt lgkmcnt(0)
	s_barrier
	v_mul_f64 v[14:15], v[8:9], v[12:13]
	v_mul_f64 v[16:17], v[6:7], v[12:13]
	v_fma_f64 v[14:15], v[6:7], v[10:11], -v[14:15]
	v_fma_f64 v[16:17], v[8:9], v[10:11], v[16:17]
	v_add_f64 v[18:19], v[36:37], v[14:15]
	v_mul_f64 v[14:15], v[8:9], v[30:31]
	v_add_f64 v[20:21], v[16:17], v[38:39]
	v_fma_f64 v[14:15], v[6:7], v[28:29], -v[14:15]
	v_mul_f64 v[6:7], v[6:7], v[30:31]
	v_fma_f64 v[6:7], v[8:9], v[28:29], v[6:7]
	v_add_f64 v[8:9], v[40:41], v[14:15]
	v_mul_f64 v[14:15], v[34:35], v[12:13]
	v_mul_f64 v[12:13], v[32:33], v[12:13]
	v_add_f64 v[6:7], v[6:7], v[42:43]
	v_fma_f64 v[14:15], v[32:33], v[10:11], -v[14:15]
	v_fma_f64 v[10:11], v[34:35], v[10:11], v[12:13]
	v_mul_f64 v[12:13], v[32:33], v[30:31]
	v_add_f64 v[16:17], v[44:45], v[14:15]
	v_add_f64 v[14:15], v[10:11], v[46:47]
	v_mul_f64 v[10:11], v[34:35], v[30:31]
	v_fma_f64 v[10:11], v[32:33], v[28:29], -v[10:11]
	v_fma_f64 v[28:29], v[34:35], v[28:29], v[12:13]
	v_add_f64 v[12:13], v[48:49], v[10:11]
	v_add_f64 v[10:11], v[28:29], v[50:51]
	v_mov_b32_e32 v29, s7
	v_mov_b32_e32 v28, s6
	v_cmp_le_u64_e32 vcc, s[12:13], v[28:29]
	s_cbranch_vccz .LBB1162_2
	s_branch .LBB1162_4
.LBB1162_3:
	v_mov_b32_e32 v18, 0
	v_mov_b32_e32 v20, 0
	;; [unrolled: 1-line block ×16, first 2 shown]
.LBB1162_4:
	s_load_dwordx4 s[12:15], s[4:5], 0x48
	s_load_dword s6, s[4:5], 0x0
	v_add_u32_e32 v4, s10, v1
	v_ashrrev_i32_e32 v1, 31, v4
	v_add_u32_e32 v0, s9, v0
	s_waitcnt lgkmcnt(0)
	s_mul_i32 s1, s15, s8
	s_mul_hi_u32 s2, s14, s8
	s_add_i32 s1, s2, s1
	v_mul_lo_u32 v3, s12, v1
	v_mul_lo_u32 v5, s13, v4
	v_mad_u64_u32 v[1:2], s[2:3], s12, v4, 0
	s_mul_i32 s0, s14, s8
	s_lshl_b64 s[0:1], s[0:1], 4
	v_add3_u32 v2, v2, v3, v5
	s_add_u32 s4, s26, s0
	v_lshlrev_b64 v[1:2], 4, v[1:2]
	s_addc_u32 s5, s27, s1
	v_mov_b32_e32 v3, s5
	v_add_co_u32_e64 v5, s[0:1], s4, v1
	v_addc_co_u32_e64 v22, s[0:1], v3, v2, s[0:1]
	v_cmp_gt_i32_e32 vcc, s6, v4
	v_cmp_le_i32_e64 s[0:1], v0, v4
	s_and_b64 s[0:1], vcc, s[0:1]
	s_and_saveexec_b64 s[2:3], s[0:1]
	s_cbranch_execz .LBB1162_6
; %bb.5:
	v_ashrrev_i32_e32 v1, 31, v0
	v_lshlrev_b64 v[1:2], 4, v[0:1]
	v_add_co_u32_e64 v1, s[0:1], v5, v1
	v_addc_co_u32_e64 v2, s[0:1], v22, v2, s[0:1]
	global_load_dwordx4 v[23:26], v[1:2], off
	s_waitcnt vmcnt(0)
	v_add_f64 v[18:19], v[18:19], v[23:24]
	v_add_f64 v[20:21], v[20:21], v[25:26]
	global_store_dwordx4 v[1:2], v[18:21], off
.LBB1162_6:
	s_or_b64 exec, exec, s[2:3]
	v_add_u32_e32 v2, 16, v0
	v_cmp_le_i32_e64 s[0:1], v2, v4
	s_and_b64 s[2:3], vcc, s[0:1]
	s_and_saveexec_b64 s[0:1], s[2:3]
	s_cbranch_execz .LBB1162_8
; %bb.7:
	v_ashrrev_i32_e32 v3, 31, v2
	v_lshlrev_b64 v[18:19], 4, v[2:3]
	v_add_co_u32_e32 v23, vcc, v5, v18
	v_addc_co_u32_e32 v24, vcc, v22, v19, vcc
	global_load_dwordx4 v[18:21], v[23:24], off
	s_waitcnt vmcnt(0)
	v_add_f64 v[18:19], v[8:9], v[18:19]
	v_add_f64 v[20:21], v[6:7], v[20:21]
	global_store_dwordx4 v[23:24], v[18:21], off
.LBB1162_8:
	s_or_b64 exec, exec, s[0:1]
	v_add_u32_e32 v3, 16, v4
	v_ashrrev_i32_e32 v1, 31, v3
	v_mul_lo_u32 v1, s12, v1
	v_mul_lo_u32 v6, s13, v3
	v_mad_u64_u32 v[4:5], s[0:1], s12, v3, 0
	v_cmp_gt_i32_e32 vcc, s6, v3
	v_add3_u32 v5, v5, v1, v6
	v_lshlrev_b64 v[4:5], 4, v[4:5]
	v_mov_b32_e32 v1, s5
	v_add_co_u32_e64 v4, s[0:1], s4, v4
	v_addc_co_u32_e64 v5, s[0:1], v1, v5, s[0:1]
	v_cmp_le_i32_e64 s[0:1], v0, v3
	s_and_b64 s[0:1], vcc, s[0:1]
	s_and_saveexec_b64 s[2:3], s[0:1]
	s_cbranch_execz .LBB1162_10
; %bb.9:
	v_ashrrev_i32_e32 v1, 31, v0
	v_lshlrev_b64 v[0:1], 4, v[0:1]
	v_add_co_u32_e64 v0, s[0:1], v4, v0
	v_addc_co_u32_e64 v1, s[0:1], v5, v1, s[0:1]
	global_load_dwordx4 v[6:9], v[0:1], off
	s_waitcnt vmcnt(0)
	v_add_f64 v[6:7], v[16:17], v[6:7]
	v_add_f64 v[8:9], v[14:15], v[8:9]
	global_store_dwordx4 v[0:1], v[6:9], off
.LBB1162_10:
	s_or_b64 exec, exec, s[2:3]
	v_cmp_le_i32_e64 s[0:1], v2, v3
	s_and_b64 s[0:1], vcc, s[0:1]
	s_and_saveexec_b64 s[2:3], s[0:1]
	s_cbranch_execz .LBB1162_12
; %bb.11:
	v_ashrrev_i32_e32 v3, 31, v2
	v_lshlrev_b64 v[0:1], 4, v[2:3]
	v_add_co_u32_e32 v4, vcc, v4, v0
	v_addc_co_u32_e32 v5, vcc, v5, v1, vcc
	global_load_dwordx4 v[0:3], v[4:5], off
	s_waitcnt vmcnt(0)
	v_add_f64 v[0:1], v[12:13], v[0:1]
	v_add_f64 v[2:3], v[10:11], v[2:3]
	global_store_dwordx4 v[4:5], v[0:3], off
.LBB1162_12:
	s_endpgm
	.section	.rodata,"a",@progbits
	.p2align	6, 0x0
	.amdhsa_kernel _ZL37rocblas_syrkx_herkx_restricted_kernelIl19rocblas_complex_numIdELi16ELi32ELi8ELi1ELi1ELb0ELc78ELc85EKS1_S1_EviT_PT9_S3_lS5_S3_lPT10_S3_li
		.amdhsa_group_segment_fixed_size 8192
		.amdhsa_private_segment_fixed_size 0
		.amdhsa_kernarg_size 92
		.amdhsa_user_sgpr_count 6
		.amdhsa_user_sgpr_private_segment_buffer 1
		.amdhsa_user_sgpr_dispatch_ptr 0
		.amdhsa_user_sgpr_queue_ptr 0
		.amdhsa_user_sgpr_kernarg_segment_ptr 1
		.amdhsa_user_sgpr_dispatch_id 0
		.amdhsa_user_sgpr_flat_scratch_init 0
		.amdhsa_user_sgpr_private_segment_size 0
		.amdhsa_uses_dynamic_stack 0
		.amdhsa_system_sgpr_private_segment_wavefront_offset 0
		.amdhsa_system_sgpr_workgroup_id_x 1
		.amdhsa_system_sgpr_workgroup_id_y 1
		.amdhsa_system_sgpr_workgroup_id_z 1
		.amdhsa_system_sgpr_workgroup_info 0
		.amdhsa_system_vgpr_workitem_id 1
		.amdhsa_next_free_vgpr 54
		.amdhsa_next_free_sgpr 61
		.amdhsa_reserve_vcc 1
		.amdhsa_reserve_flat_scratch 0
		.amdhsa_float_round_mode_32 0
		.amdhsa_float_round_mode_16_64 0
		.amdhsa_float_denorm_mode_32 3
		.amdhsa_float_denorm_mode_16_64 3
		.amdhsa_dx10_clamp 1
		.amdhsa_ieee_mode 1
		.amdhsa_fp16_overflow 0
		.amdhsa_exception_fp_ieee_invalid_op 0
		.amdhsa_exception_fp_denorm_src 0
		.amdhsa_exception_fp_ieee_div_zero 0
		.amdhsa_exception_fp_ieee_overflow 0
		.amdhsa_exception_fp_ieee_underflow 0
		.amdhsa_exception_fp_ieee_inexact 0
		.amdhsa_exception_int_div_zero 0
	.end_amdhsa_kernel
	.section	.text._ZL37rocblas_syrkx_herkx_restricted_kernelIl19rocblas_complex_numIdELi16ELi32ELi8ELi1ELi1ELb0ELc78ELc85EKS1_S1_EviT_PT9_S3_lS5_S3_lPT10_S3_li,"axG",@progbits,_ZL37rocblas_syrkx_herkx_restricted_kernelIl19rocblas_complex_numIdELi16ELi32ELi8ELi1ELi1ELb0ELc78ELc85EKS1_S1_EviT_PT9_S3_lS5_S3_lPT10_S3_li,comdat
.Lfunc_end1162:
	.size	_ZL37rocblas_syrkx_herkx_restricted_kernelIl19rocblas_complex_numIdELi16ELi32ELi8ELi1ELi1ELb0ELc78ELc85EKS1_S1_EviT_PT9_S3_lS5_S3_lPT10_S3_li, .Lfunc_end1162-_ZL37rocblas_syrkx_herkx_restricted_kernelIl19rocblas_complex_numIdELi16ELi32ELi8ELi1ELi1ELb0ELc78ELc85EKS1_S1_EviT_PT9_S3_lS5_S3_lPT10_S3_li
                                        ; -- End function
	.set _ZL37rocblas_syrkx_herkx_restricted_kernelIl19rocblas_complex_numIdELi16ELi32ELi8ELi1ELi1ELb0ELc78ELc85EKS1_S1_EviT_PT9_S3_lS5_S3_lPT10_S3_li.num_vgpr, 54
	.set _ZL37rocblas_syrkx_herkx_restricted_kernelIl19rocblas_complex_numIdELi16ELi32ELi8ELi1ELi1ELb0ELc78ELc85EKS1_S1_EviT_PT9_S3_lS5_S3_lPT10_S3_li.num_agpr, 0
	.set _ZL37rocblas_syrkx_herkx_restricted_kernelIl19rocblas_complex_numIdELi16ELi32ELi8ELi1ELi1ELb0ELc78ELc85EKS1_S1_EviT_PT9_S3_lS5_S3_lPT10_S3_li.numbered_sgpr, 28
	.set _ZL37rocblas_syrkx_herkx_restricted_kernelIl19rocblas_complex_numIdELi16ELi32ELi8ELi1ELi1ELb0ELc78ELc85EKS1_S1_EviT_PT9_S3_lS5_S3_lPT10_S3_li.num_named_barrier, 0
	.set _ZL37rocblas_syrkx_herkx_restricted_kernelIl19rocblas_complex_numIdELi16ELi32ELi8ELi1ELi1ELb0ELc78ELc85EKS1_S1_EviT_PT9_S3_lS5_S3_lPT10_S3_li.private_seg_size, 0
	.set _ZL37rocblas_syrkx_herkx_restricted_kernelIl19rocblas_complex_numIdELi16ELi32ELi8ELi1ELi1ELb0ELc78ELc85EKS1_S1_EviT_PT9_S3_lS5_S3_lPT10_S3_li.uses_vcc, 1
	.set _ZL37rocblas_syrkx_herkx_restricted_kernelIl19rocblas_complex_numIdELi16ELi32ELi8ELi1ELi1ELb0ELc78ELc85EKS1_S1_EviT_PT9_S3_lS5_S3_lPT10_S3_li.uses_flat_scratch, 0
	.set _ZL37rocblas_syrkx_herkx_restricted_kernelIl19rocblas_complex_numIdELi16ELi32ELi8ELi1ELi1ELb0ELc78ELc85EKS1_S1_EviT_PT9_S3_lS5_S3_lPT10_S3_li.has_dyn_sized_stack, 0
	.set _ZL37rocblas_syrkx_herkx_restricted_kernelIl19rocblas_complex_numIdELi16ELi32ELi8ELi1ELi1ELb0ELc78ELc85EKS1_S1_EviT_PT9_S3_lS5_S3_lPT10_S3_li.has_recursion, 0
	.set _ZL37rocblas_syrkx_herkx_restricted_kernelIl19rocblas_complex_numIdELi16ELi32ELi8ELi1ELi1ELb0ELc78ELc85EKS1_S1_EviT_PT9_S3_lS5_S3_lPT10_S3_li.has_indirect_call, 0
	.section	.AMDGPU.csdata,"",@progbits
; Kernel info:
; codeLenInByte = 2944
; TotalNumSgprs: 32
; NumVgprs: 54
; ScratchSize: 0
; MemoryBound: 0
; FloatMode: 240
; IeeeMode: 1
; LDSByteSize: 8192 bytes/workgroup (compile time only)
; SGPRBlocks: 8
; VGPRBlocks: 13
; NumSGPRsForWavesPerEU: 65
; NumVGPRsForWavesPerEU: 54
; Occupancy: 4
; WaveLimiterHint : 1
; COMPUTE_PGM_RSRC2:SCRATCH_EN: 0
; COMPUTE_PGM_RSRC2:USER_SGPR: 6
; COMPUTE_PGM_RSRC2:TRAP_HANDLER: 0
; COMPUTE_PGM_RSRC2:TGID_X_EN: 1
; COMPUTE_PGM_RSRC2:TGID_Y_EN: 1
; COMPUTE_PGM_RSRC2:TGID_Z_EN: 1
; COMPUTE_PGM_RSRC2:TIDIG_COMP_CNT: 1
	.section	.text._ZL37rocblas_syrkx_herkx_restricted_kernelIl19rocblas_complex_numIdELi16ELi32ELi8ELi1ELin1ELb0ELc84ELc76EKS1_S1_EviT_PT9_S3_lS5_S3_lPT10_S3_li,"axG",@progbits,_ZL37rocblas_syrkx_herkx_restricted_kernelIl19rocblas_complex_numIdELi16ELi32ELi8ELi1ELin1ELb0ELc84ELc76EKS1_S1_EviT_PT9_S3_lS5_S3_lPT10_S3_li,comdat
	.globl	_ZL37rocblas_syrkx_herkx_restricted_kernelIl19rocblas_complex_numIdELi16ELi32ELi8ELi1ELin1ELb0ELc84ELc76EKS1_S1_EviT_PT9_S3_lS5_S3_lPT10_S3_li ; -- Begin function _ZL37rocblas_syrkx_herkx_restricted_kernelIl19rocblas_complex_numIdELi16ELi32ELi8ELi1ELin1ELb0ELc84ELc76EKS1_S1_EviT_PT9_S3_lS5_S3_lPT10_S3_li
	.p2align	8
	.type	_ZL37rocblas_syrkx_herkx_restricted_kernelIl19rocblas_complex_numIdELi16ELi32ELi8ELi1ELin1ELb0ELc84ELc76EKS1_S1_EviT_PT9_S3_lS5_S3_lPT10_S3_li,@function
_ZL37rocblas_syrkx_herkx_restricted_kernelIl19rocblas_complex_numIdELi16ELi32ELi8ELi1ELin1ELb0ELc84ELc76EKS1_S1_EviT_PT9_S3_lS5_S3_lPT10_S3_li: ; @_ZL37rocblas_syrkx_herkx_restricted_kernelIl19rocblas_complex_numIdELi16ELi32ELi8ELi1ELin1ELb0ELc84ELc76EKS1_S1_EviT_PT9_S3_lS5_S3_lPT10_S3_li
; %bb.0:
	s_load_dwordx16 s[12:27], s[4:5], 0x8
	s_lshl_b32 s2, s6, 5
	s_lshl_b32 s3, s7, 5
	s_waitcnt lgkmcnt(0)
	v_cmp_lt_i64_e64 s[0:1], s[12:13], 1
	s_and_b64 vcc, exec, s[0:1]
	s_cbranch_vccnz .LBB1163_3
; %bb.1:
	v_lshl_add_u32 v6, v1, 4, v0
	v_lshrrev_b32_e32 v8, 3, v6
	v_add_u32_e32 v4, s3, v8
	v_ashrrev_i32_e32 v5, 31, v4
	v_and_b32_e32 v2, 7, v0
	v_mov_b32_e32 v3, 0
	v_mul_lo_u32 v7, s22, v5
	v_mul_lo_u32 v9, s23, v4
	v_mad_u64_u32 v[4:5], s[0:1], s22, v4, v[2:3]
	v_lshlrev_b32_e32 v2, 4, v2
	v_lshl_or_b32 v2, v8, 7, v2
	v_add3_u32 v5, v9, v5, v7
	v_and_b32_e32 v9, 31, v6
	v_add_u32_e32 v23, 0x1000, v2
	v_mov_b32_e32 v2, 0x1000
	v_add_u32_e32 v8, s2, v9
	v_lshrrev_b32_e32 v6, 5, v6
	v_mov_b32_e32 v7, v3
	v_lshlrev_b32_e32 v3, 4, v9
	v_lshl_add_u32 v25, v1, 7, v2
	v_ashrrev_i32_e32 v2, 31, v8
	v_lshl_or_b32 v22, v6, 9, v3
	v_mul_lo_u32 v9, s16, v2
	v_mad_u64_u32 v[2:3], s[0:1], s16, v8, v[6:7]
	v_mul_lo_u32 v6, s17, v8
	s_mul_i32 s6, s19, s8
	s_mul_hi_u32 s7, s18, s8
	s_add_i32 s1, s7, s6
	s_mul_i32 s0, s18, s8
	s_lshl_b64 s[0:1], s[0:1], 4
	v_add3_u32 v3, v6, v3, v9
	v_lshlrev_b64 v[2:3], 4, v[2:3]
	s_add_u32 s0, s14, s0
	s_addc_u32 s1, s15, s1
	v_mov_b32_e32 v6, s1
	v_add_co_u32_e32 v2, vcc, s0, v2
	s_mul_i32 s0, s25, s8
	s_mul_hi_u32 s1, s24, s8
	s_add_i32 s1, s1, s0
	s_mul_i32 s0, s24, s8
	v_addc_co_u32_e32 v3, vcc, v6, v3, vcc
	s_lshl_b64 s[0:1], s[0:1], 4
	v_add_co_u32_e32 v2, vcc, 8, v2
	v_lshlrev_b64 v[4:5], 4, v[4:5]
	s_add_u32 s0, s20, s0
	v_addc_co_u32_e32 v3, vcc, 0, v3, vcc
	s_addc_u32 s1, s21, s1
	v_mov_b32_e32 v6, s1
	v_add_co_u32_e32 v4, vcc, s0, v4
	v_addc_co_u32_e32 v5, vcc, v6, v5, vcc
	v_add_co_u32_e32 v4, vcc, 8, v4
	v_mov_b32_e32 v10, 0
	v_mov_b32_e32 v12, 0
	;; [unrolled: 1-line block ×8, first 2 shown]
	v_lshlrev_b32_e32 v24, 4, v0
	v_addc_co_u32_e32 v5, vcc, 0, v5, vcc
	v_mov_b32_e32 v11, 0
	v_mov_b32_e32 v13, 0
	;; [unrolled: 1-line block ×8, first 2 shown]
	s_mov_b64 s[0:1], 0
.LBB1163_2:                             ; =>This Inner Loop Header: Depth=1
	global_load_dwordx4 v[26:29], v[2:3], off offset:-8
	s_add_u32 s0, s0, 8
	v_add_co_u32_e32 v2, vcc, 0x80, v2
	s_addc_u32 s1, s1, 0
	v_addc_co_u32_e32 v3, vcc, 0, v3, vcc
	s_waitcnt vmcnt(0)
	ds_write_b128 v22, v[26:29]
	global_load_dwordx4 v[26:29], v[4:5], off offset:-8
	v_add_co_u32_e32 v4, vcc, 0x80, v4
	v_addc_co_u32_e32 v5, vcc, 0, v5, vcc
	s_waitcnt vmcnt(0)
	ds_write_b128 v23, v[26:29]
	s_waitcnt lgkmcnt(0)
	s_barrier
	ds_read_b128 v[26:29], v25
	ds_read_b128 v[30:33], v25 offset:16
	ds_read_b128 v[34:37], v25 offset:32
	;; [unrolled: 1-line block ×3, first 2 shown]
	ds_read_b128 v[42:45], v24
	s_waitcnt lgkmcnt(0)
	v_mul_f64 v[46:47], v[28:29], v[44:45]
	v_mul_f64 v[48:49], v[26:27], v[44:45]
	v_fma_f64 v[46:47], v[26:27], v[42:43], -v[46:47]
	v_fma_f64 v[48:49], v[28:29], v[42:43], v[48:49]
	v_add_f64 v[46:47], v[14:15], v[46:47]
	v_add_f64 v[48:49], v[48:49], v[16:17]
	ds_read_b128 v[14:17], v24 offset:256
	s_waitcnt lgkmcnt(0)
	v_mul_f64 v[50:51], v[28:29], v[16:17]
	v_fma_f64 v[50:51], v[26:27], v[14:15], -v[50:51]
	v_mul_f64 v[26:27], v[26:27], v[16:17]
	v_fma_f64 v[26:27], v[28:29], v[14:15], v[26:27]
	v_add_f64 v[28:29], v[8:9], v[50:51]
	v_add_f64 v[26:27], v[26:27], v[6:7]
	ds_read_b128 v[6:9], v25 offset:2048
	s_waitcnt lgkmcnt(0)
	v_mul_f64 v[50:51], v[8:9], v[44:45]
	v_mul_f64 v[44:45], v[6:7], v[44:45]
	v_fma_f64 v[50:51], v[6:7], v[42:43], -v[50:51]
	v_fma_f64 v[42:43], v[8:9], v[42:43], v[44:45]
	v_add_f64 v[20:21], v[20:21], v[50:51]
	v_add_f64 v[18:19], v[42:43], v[18:19]
	v_mul_f64 v[42:43], v[8:9], v[16:17]
	v_fma_f64 v[42:43], v[6:7], v[14:15], -v[42:43]
	v_mul_f64 v[6:7], v[6:7], v[16:17]
	v_add_f64 v[42:43], v[12:13], v[42:43]
	v_fma_f64 v[6:7], v[8:9], v[14:15], v[6:7]
	v_add_f64 v[44:45], v[6:7], v[10:11]
	ds_read_b128 v[6:9], v24 offset:512
	s_waitcnt lgkmcnt(0)
	v_mul_f64 v[10:11], v[32:33], v[8:9]
	v_mul_f64 v[12:13], v[30:31], v[8:9]
	v_fma_f64 v[10:11], v[30:31], v[6:7], -v[10:11]
	v_fma_f64 v[12:13], v[32:33], v[6:7], v[12:13]
	v_add_f64 v[46:47], v[46:47], v[10:11]
	v_add_f64 v[48:49], v[12:13], v[48:49]
	ds_read_b128 v[10:13], v24 offset:768
	s_waitcnt lgkmcnt(0)
	v_mul_f64 v[14:15], v[32:33], v[12:13]
	v_mul_f64 v[16:17], v[30:31], v[12:13]
	v_fma_f64 v[14:15], v[30:31], v[10:11], -v[14:15]
	v_fma_f64 v[16:17], v[32:33], v[10:11], v[16:17]
	v_add_f64 v[28:29], v[28:29], v[14:15]
	v_add_f64 v[26:27], v[16:17], v[26:27]
	ds_read_b128 v[14:17], v25 offset:2064
	s_waitcnt lgkmcnt(0)
	v_mul_f64 v[30:31], v[16:17], v[8:9]
	v_mul_f64 v[8:9], v[14:15], v[8:9]
	v_fma_f64 v[30:31], v[14:15], v[6:7], -v[30:31]
	v_fma_f64 v[6:7], v[16:17], v[6:7], v[8:9]
	v_mul_f64 v[8:9], v[14:15], v[12:13]
	v_add_f64 v[20:21], v[20:21], v[30:31]
	v_add_f64 v[18:19], v[6:7], v[18:19]
	v_mul_f64 v[6:7], v[16:17], v[12:13]
	v_fma_f64 v[8:9], v[16:17], v[10:11], v[8:9]
	v_fma_f64 v[6:7], v[14:15], v[10:11], -v[6:7]
	v_add_f64 v[32:33], v[8:9], v[44:45]
	v_add_f64 v[30:31], v[42:43], v[6:7]
	ds_read_b128 v[6:9], v24 offset:1024
	s_waitcnt lgkmcnt(0)
	v_mul_f64 v[10:11], v[36:37], v[8:9]
	v_mul_f64 v[12:13], v[34:35], v[8:9]
	v_fma_f64 v[10:11], v[34:35], v[6:7], -v[10:11]
	v_fma_f64 v[12:13], v[36:37], v[6:7], v[12:13]
	v_add_f64 v[42:43], v[46:47], v[10:11]
	v_add_f64 v[44:45], v[12:13], v[48:49]
	ds_read_b128 v[10:13], v24 offset:1280
	s_waitcnt lgkmcnt(0)
	v_mul_f64 v[14:15], v[36:37], v[12:13]
	v_mul_f64 v[16:17], v[34:35], v[12:13]
	v_fma_f64 v[14:15], v[34:35], v[10:11], -v[14:15]
	v_fma_f64 v[16:17], v[36:37], v[10:11], v[16:17]
	v_add_f64 v[28:29], v[28:29], v[14:15]
	v_add_f64 v[26:27], v[16:17], v[26:27]
	ds_read_b128 v[14:17], v25 offset:2080
	s_waitcnt lgkmcnt(0)
	v_mul_f64 v[34:35], v[16:17], v[8:9]
	v_mul_f64 v[8:9], v[14:15], v[8:9]
	v_fma_f64 v[34:35], v[14:15], v[6:7], -v[34:35]
	v_fma_f64 v[6:7], v[16:17], v[6:7], v[8:9]
	v_mul_f64 v[8:9], v[14:15], v[12:13]
	v_add_f64 v[20:21], v[20:21], v[34:35]
	v_add_f64 v[18:19], v[6:7], v[18:19]
	v_mul_f64 v[6:7], v[16:17], v[12:13]
	v_fma_f64 v[8:9], v[16:17], v[10:11], v[8:9]
	v_fma_f64 v[6:7], v[14:15], v[10:11], -v[6:7]
	v_add_f64 v[32:33], v[8:9], v[32:33]
	v_add_f64 v[30:31], v[30:31], v[6:7]
	ds_read_b128 v[6:9], v24 offset:1536
	s_waitcnt lgkmcnt(0)
	v_mul_f64 v[10:11], v[40:41], v[8:9]
	v_mul_f64 v[12:13], v[38:39], v[8:9]
	v_fma_f64 v[10:11], v[38:39], v[6:7], -v[10:11]
	v_fma_f64 v[12:13], v[40:41], v[6:7], v[12:13]
	v_add_f64 v[34:35], v[42:43], v[10:11]
	v_add_f64 v[36:37], v[12:13], v[44:45]
	ds_read_b128 v[10:13], v24 offset:1792
	s_waitcnt lgkmcnt(0)
	v_mul_f64 v[14:15], v[40:41], v[12:13]
	v_mul_f64 v[16:17], v[38:39], v[12:13]
	v_fma_f64 v[14:15], v[38:39], v[10:11], -v[14:15]
	v_fma_f64 v[16:17], v[40:41], v[10:11], v[16:17]
	v_add_f64 v[28:29], v[28:29], v[14:15]
	v_add_f64 v[26:27], v[16:17], v[26:27]
	ds_read_b128 v[14:17], v25 offset:2096
	s_waitcnt lgkmcnt(0)
	v_mul_f64 v[38:39], v[16:17], v[8:9]
	v_mul_f64 v[8:9], v[14:15], v[8:9]
	v_fma_f64 v[38:39], v[14:15], v[6:7], -v[38:39]
	v_fma_f64 v[6:7], v[16:17], v[6:7], v[8:9]
	v_mul_f64 v[8:9], v[14:15], v[12:13]
	v_add_f64 v[20:21], v[20:21], v[38:39]
	v_add_f64 v[18:19], v[6:7], v[18:19]
	v_mul_f64 v[6:7], v[16:17], v[12:13]
	v_fma_f64 v[8:9], v[16:17], v[10:11], v[8:9]
	v_fma_f64 v[6:7], v[14:15], v[10:11], -v[6:7]
	v_add_f64 v[32:33], v[8:9], v[32:33]
	v_add_f64 v[30:31], v[30:31], v[6:7]
	ds_read_b128 v[6:9], v25 offset:64
	ds_read_b128 v[10:13], v24 offset:2048
	s_waitcnt lgkmcnt(0)
	v_mul_f64 v[14:15], v[8:9], v[12:13]
	v_mul_f64 v[16:17], v[6:7], v[12:13]
	v_fma_f64 v[14:15], v[6:7], v[10:11], -v[14:15]
	v_fma_f64 v[16:17], v[8:9], v[10:11], v[16:17]
	v_add_f64 v[34:35], v[34:35], v[14:15]
	v_add_f64 v[36:37], v[16:17], v[36:37]
	ds_read_b128 v[14:17], v24 offset:2304
	s_waitcnt lgkmcnt(0)
	v_mul_f64 v[38:39], v[8:9], v[16:17]
	v_fma_f64 v[38:39], v[6:7], v[14:15], -v[38:39]
	v_mul_f64 v[6:7], v[6:7], v[16:17]
	v_add_f64 v[28:29], v[28:29], v[38:39]
	v_fma_f64 v[6:7], v[8:9], v[14:15], v[6:7]
	v_add_f64 v[26:27], v[6:7], v[26:27]
	ds_read_b128 v[6:9], v25 offset:2112
	s_waitcnt lgkmcnt(0)
	v_mul_f64 v[38:39], v[8:9], v[12:13]
	v_mul_f64 v[12:13], v[6:7], v[12:13]
	v_fma_f64 v[38:39], v[6:7], v[10:11], -v[38:39]
	v_fma_f64 v[10:11], v[8:9], v[10:11], v[12:13]
	v_add_f64 v[20:21], v[20:21], v[38:39]
	v_add_f64 v[18:19], v[10:11], v[18:19]
	v_mul_f64 v[10:11], v[8:9], v[16:17]
	v_fma_f64 v[10:11], v[6:7], v[14:15], -v[10:11]
	v_mul_f64 v[6:7], v[6:7], v[16:17]
	v_add_f64 v[30:31], v[30:31], v[10:11]
	v_fma_f64 v[6:7], v[8:9], v[14:15], v[6:7]
	v_add_f64 v[32:33], v[6:7], v[32:33]
	ds_read_b128 v[6:9], v25 offset:80
	ds_read_b128 v[10:13], v24 offset:2560
	s_waitcnt lgkmcnt(0)
	v_mul_f64 v[14:15], v[8:9], v[12:13]
	v_mul_f64 v[16:17], v[6:7], v[12:13]
	v_fma_f64 v[14:15], v[6:7], v[10:11], -v[14:15]
	v_fma_f64 v[16:17], v[8:9], v[10:11], v[16:17]
	v_add_f64 v[34:35], v[34:35], v[14:15]
	v_add_f64 v[36:37], v[16:17], v[36:37]
	ds_read_b128 v[14:17], v24 offset:2816
	s_waitcnt lgkmcnt(0)
	v_mul_f64 v[38:39], v[8:9], v[16:17]
	v_fma_f64 v[38:39], v[6:7], v[14:15], -v[38:39]
	v_mul_f64 v[6:7], v[6:7], v[16:17]
	v_add_f64 v[28:29], v[28:29], v[38:39]
	v_fma_f64 v[6:7], v[8:9], v[14:15], v[6:7]
	v_add_f64 v[26:27], v[6:7], v[26:27]
	ds_read_b128 v[6:9], v25 offset:2128
	s_waitcnt lgkmcnt(0)
	v_mul_f64 v[38:39], v[8:9], v[12:13]
	v_mul_f64 v[12:13], v[6:7], v[12:13]
	v_fma_f64 v[38:39], v[6:7], v[10:11], -v[38:39]
	v_fma_f64 v[10:11], v[8:9], v[10:11], v[12:13]
	v_add_f64 v[20:21], v[20:21], v[38:39]
	v_add_f64 v[18:19], v[10:11], v[18:19]
	v_mul_f64 v[10:11], v[8:9], v[16:17]
	v_fma_f64 v[10:11], v[6:7], v[14:15], -v[10:11]
	v_mul_f64 v[6:7], v[6:7], v[16:17]
	v_add_f64 v[30:31], v[30:31], v[10:11]
	v_fma_f64 v[6:7], v[8:9], v[14:15], v[6:7]
	;; [unrolled: 31-line block ×3, first 2 shown]
	v_add_f64 v[44:45], v[6:7], v[32:33]
	ds_read_b128 v[6:9], v25 offset:112
	ds_read_b128 v[10:13], v24 offset:3584
	ds_read_b128 v[26:29], v24 offset:3840
	s_waitcnt lgkmcnt(1)
	v_mul_f64 v[14:15], v[8:9], v[12:13]
	s_waitcnt lgkmcnt(0)
	v_mul_f64 v[30:31], v[8:9], v[28:29]
	v_mul_f64 v[16:17], v[6:7], v[12:13]
	v_fma_f64 v[14:15], v[6:7], v[10:11], -v[14:15]
	v_fma_f64 v[30:31], v[6:7], v[26:27], -v[30:31]
	v_mul_f64 v[6:7], v[6:7], v[28:29]
	v_fma_f64 v[16:17], v[8:9], v[10:11], v[16:17]
	v_add_f64 v[14:15], v[34:35], v[14:15]
	v_fma_f64 v[6:7], v[8:9], v[26:27], v[6:7]
	v_add_f64 v[8:9], v[38:39], v[30:31]
	ds_read_b128 v[30:33], v25 offset:2160
	v_add_f64 v[16:17], v[16:17], v[36:37]
	s_waitcnt lgkmcnt(0)
	s_barrier
	v_mul_f64 v[34:35], v[32:33], v[12:13]
	v_mul_f64 v[12:13], v[30:31], v[12:13]
	v_add_f64 v[6:7], v[6:7], v[40:41]
	v_fma_f64 v[34:35], v[30:31], v[10:11], -v[34:35]
	v_fma_f64 v[10:11], v[32:33], v[10:11], v[12:13]
	v_mul_f64 v[12:13], v[30:31], v[28:29]
	v_add_f64 v[20:21], v[20:21], v[34:35]
	v_add_f64 v[18:19], v[10:11], v[18:19]
	v_mul_f64 v[10:11], v[32:33], v[28:29]
	v_fma_f64 v[10:11], v[30:31], v[26:27], -v[10:11]
	v_fma_f64 v[26:27], v[32:33], v[26:27], v[12:13]
	v_add_f64 v[12:13], v[42:43], v[10:11]
	v_add_f64 v[10:11], v[26:27], v[44:45]
	v_mov_b32_e32 v27, s1
	v_mov_b32_e32 v26, s0
	v_cmp_le_u64_e32 vcc, s[12:13], v[26:27]
	s_cbranch_vccz .LBB1163_2
	s_branch .LBB1163_4
.LBB1163_3:
	v_mov_b32_e32 v14, 0
	v_mov_b32_e32 v16, 0
	;; [unrolled: 1-line block ×16, first 2 shown]
.LBB1163_4:
	s_load_dwordx4 s[12:15], s[4:5], 0x48
	s_load_dword s9, s[4:5], 0x0
	v_add_u32_e32 v4, s3, v1
	v_ashrrev_i32_e32 v1, 31, v4
	v_add_u32_e32 v0, s2, v0
	s_waitcnt lgkmcnt(0)
	v_mul_lo_u32 v3, s12, v1
	v_mul_lo_u32 v5, s13, v4
	v_mad_u64_u32 v[1:2], s[4:5], s12, v4, 0
	s_mul_i32 s1, s15, s8
	s_mul_hi_u32 s3, s14, s8
	s_mul_i32 s0, s14, s8
	s_add_i32 s1, s3, s1
	s_lshl_b64 s[0:1], s[0:1], 4
	v_add3_u32 v2, v2, v3, v5
	s_add_u32 s6, s26, s0
	v_lshlrev_b64 v[1:2], 4, v[1:2]
	s_addc_u32 s7, s27, s1
	v_mov_b32_e32 v3, s7
	v_add_co_u32_e32 v5, vcc, s6, v1
	v_addc_co_u32_e32 v22, vcc, v3, v2, vcc
	v_cmp_le_i32_e64 s[0:1], v4, v0
	v_cmp_gt_i32_e32 vcc, s9, v0
	s_and_b64 s[0:1], s[0:1], vcc
	s_and_saveexec_b64 s[2:3], s[0:1]
	s_cbranch_execz .LBB1163_6
; %bb.5:
	v_ashrrev_i32_e32 v1, 31, v0
	v_lshlrev_b64 v[1:2], 4, v[0:1]
	v_add_co_u32_e64 v1, s[0:1], v5, v1
	v_addc_co_u32_e64 v2, s[0:1], v22, v2, s[0:1]
	global_load_dwordx4 v[23:26], v[1:2], off
	s_waitcnt vmcnt(0)
	v_add_f64 v[14:15], v[14:15], -v[23:24]
	v_add_f64 v[16:17], v[16:17], -v[25:26]
	global_store_dwordx4 v[1:2], v[14:17], off
.LBB1163_6:
	s_or_b64 exec, exec, s[2:3]
	v_add_u32_e32 v2, 16, v0
	v_cmp_le_i32_e64 s[2:3], v4, v2
	v_cmp_gt_i32_e64 s[0:1], s9, v2
	s_and_b64 s[2:3], s[2:3], s[0:1]
	s_and_saveexec_b64 s[4:5], s[2:3]
	s_cbranch_execz .LBB1163_8
; %bb.7:
	v_ashrrev_i32_e32 v3, 31, v2
	v_lshlrev_b64 v[14:15], 4, v[2:3]
	v_add_co_u32_e64 v23, s[2:3], v5, v14
	v_addc_co_u32_e64 v24, s[2:3], v22, v15, s[2:3]
	global_load_dwordx4 v[14:17], v[23:24], off
	s_waitcnt vmcnt(0)
	v_add_f64 v[14:15], v[8:9], -v[14:15]
	v_add_f64 v[16:17], v[6:7], -v[16:17]
	global_store_dwordx4 v[23:24], v[14:17], off
.LBB1163_8:
	s_or_b64 exec, exec, s[4:5]
	v_add_u32_e32 v3, 16, v4
	v_ashrrev_i32_e32 v1, 31, v3
	v_mul_lo_u32 v6, s13, v3
	v_mad_u64_u32 v[4:5], s[2:3], s12, v3, 0
	v_mul_lo_u32 v1, s12, v1
	v_add3_u32 v5, v5, v1, v6
	v_lshlrev_b64 v[4:5], 4, v[4:5]
	v_mov_b32_e32 v1, s7
	v_add_co_u32_e64 v4, s[2:3], s6, v4
	v_addc_co_u32_e64 v5, s[2:3], v1, v5, s[2:3]
	v_cmp_le_i32_e64 s[2:3], v3, v0
	s_and_b64 s[4:5], s[2:3], vcc
	s_and_saveexec_b64 s[2:3], s[4:5]
	s_cbranch_execz .LBB1163_10
; %bb.9:
	v_ashrrev_i32_e32 v1, 31, v0
	v_lshlrev_b64 v[0:1], 4, v[0:1]
	v_add_co_u32_e32 v0, vcc, v4, v0
	v_addc_co_u32_e32 v1, vcc, v5, v1, vcc
	global_load_dwordx4 v[6:9], v[0:1], off
	s_waitcnt vmcnt(0)
	v_add_f64 v[6:7], v[20:21], -v[6:7]
	v_add_f64 v[8:9], v[18:19], -v[8:9]
	global_store_dwordx4 v[0:1], v[6:9], off
.LBB1163_10:
	s_or_b64 exec, exec, s[2:3]
	v_cmp_le_i32_e32 vcc, v3, v2
	s_and_b64 s[0:1], vcc, s[0:1]
	s_and_saveexec_b64 s[2:3], s[0:1]
	s_cbranch_execz .LBB1163_12
; %bb.11:
	v_ashrrev_i32_e32 v3, 31, v2
	v_lshlrev_b64 v[0:1], 4, v[2:3]
	v_add_co_u32_e32 v4, vcc, v4, v0
	v_addc_co_u32_e32 v5, vcc, v5, v1, vcc
	global_load_dwordx4 v[0:3], v[4:5], off
	s_waitcnt vmcnt(0)
	v_add_f64 v[0:1], v[12:13], -v[0:1]
	v_add_f64 v[2:3], v[10:11], -v[2:3]
	global_store_dwordx4 v[4:5], v[0:3], off
.LBB1163_12:
	s_endpgm
	.section	.rodata,"a",@progbits
	.p2align	6, 0x0
	.amdhsa_kernel _ZL37rocblas_syrkx_herkx_restricted_kernelIl19rocblas_complex_numIdELi16ELi32ELi8ELi1ELin1ELb0ELc84ELc76EKS1_S1_EviT_PT9_S3_lS5_S3_lPT10_S3_li
		.amdhsa_group_segment_fixed_size 8192
		.amdhsa_private_segment_fixed_size 0
		.amdhsa_kernarg_size 92
		.amdhsa_user_sgpr_count 6
		.amdhsa_user_sgpr_private_segment_buffer 1
		.amdhsa_user_sgpr_dispatch_ptr 0
		.amdhsa_user_sgpr_queue_ptr 0
		.amdhsa_user_sgpr_kernarg_segment_ptr 1
		.amdhsa_user_sgpr_dispatch_id 0
		.amdhsa_user_sgpr_flat_scratch_init 0
		.amdhsa_user_sgpr_private_segment_size 0
		.amdhsa_uses_dynamic_stack 0
		.amdhsa_system_sgpr_private_segment_wavefront_offset 0
		.amdhsa_system_sgpr_workgroup_id_x 1
		.amdhsa_system_sgpr_workgroup_id_y 1
		.amdhsa_system_sgpr_workgroup_id_z 1
		.amdhsa_system_sgpr_workgroup_info 0
		.amdhsa_system_vgpr_workitem_id 1
		.amdhsa_next_free_vgpr 52
		.amdhsa_next_free_sgpr 61
		.amdhsa_reserve_vcc 1
		.amdhsa_reserve_flat_scratch 0
		.amdhsa_float_round_mode_32 0
		.amdhsa_float_round_mode_16_64 0
		.amdhsa_float_denorm_mode_32 3
		.amdhsa_float_denorm_mode_16_64 3
		.amdhsa_dx10_clamp 1
		.amdhsa_ieee_mode 1
		.amdhsa_fp16_overflow 0
		.amdhsa_exception_fp_ieee_invalid_op 0
		.amdhsa_exception_fp_denorm_src 0
		.amdhsa_exception_fp_ieee_div_zero 0
		.amdhsa_exception_fp_ieee_overflow 0
		.amdhsa_exception_fp_ieee_underflow 0
		.amdhsa_exception_fp_ieee_inexact 0
		.amdhsa_exception_int_div_zero 0
	.end_amdhsa_kernel
	.section	.text._ZL37rocblas_syrkx_herkx_restricted_kernelIl19rocblas_complex_numIdELi16ELi32ELi8ELi1ELin1ELb0ELc84ELc76EKS1_S1_EviT_PT9_S3_lS5_S3_lPT10_S3_li,"axG",@progbits,_ZL37rocblas_syrkx_herkx_restricted_kernelIl19rocblas_complex_numIdELi16ELi32ELi8ELi1ELin1ELb0ELc84ELc76EKS1_S1_EviT_PT9_S3_lS5_S3_lPT10_S3_li,comdat
.Lfunc_end1163:
	.size	_ZL37rocblas_syrkx_herkx_restricted_kernelIl19rocblas_complex_numIdELi16ELi32ELi8ELi1ELin1ELb0ELc84ELc76EKS1_S1_EviT_PT9_S3_lS5_S3_lPT10_S3_li, .Lfunc_end1163-_ZL37rocblas_syrkx_herkx_restricted_kernelIl19rocblas_complex_numIdELi16ELi32ELi8ELi1ELin1ELb0ELc84ELc76EKS1_S1_EviT_PT9_S3_lS5_S3_lPT10_S3_li
                                        ; -- End function
	.set _ZL37rocblas_syrkx_herkx_restricted_kernelIl19rocblas_complex_numIdELi16ELi32ELi8ELi1ELin1ELb0ELc84ELc76EKS1_S1_EviT_PT9_S3_lS5_S3_lPT10_S3_li.num_vgpr, 52
	.set _ZL37rocblas_syrkx_herkx_restricted_kernelIl19rocblas_complex_numIdELi16ELi32ELi8ELi1ELin1ELb0ELc84ELc76EKS1_S1_EviT_PT9_S3_lS5_S3_lPT10_S3_li.num_agpr, 0
	.set _ZL37rocblas_syrkx_herkx_restricted_kernelIl19rocblas_complex_numIdELi16ELi32ELi8ELi1ELin1ELb0ELc84ELc76EKS1_S1_EviT_PT9_S3_lS5_S3_lPT10_S3_li.numbered_sgpr, 28
	.set _ZL37rocblas_syrkx_herkx_restricted_kernelIl19rocblas_complex_numIdELi16ELi32ELi8ELi1ELin1ELb0ELc84ELc76EKS1_S1_EviT_PT9_S3_lS5_S3_lPT10_S3_li.num_named_barrier, 0
	.set _ZL37rocblas_syrkx_herkx_restricted_kernelIl19rocblas_complex_numIdELi16ELi32ELi8ELi1ELin1ELb0ELc84ELc76EKS1_S1_EviT_PT9_S3_lS5_S3_lPT10_S3_li.private_seg_size, 0
	.set _ZL37rocblas_syrkx_herkx_restricted_kernelIl19rocblas_complex_numIdELi16ELi32ELi8ELi1ELin1ELb0ELc84ELc76EKS1_S1_EviT_PT9_S3_lS5_S3_lPT10_S3_li.uses_vcc, 1
	.set _ZL37rocblas_syrkx_herkx_restricted_kernelIl19rocblas_complex_numIdELi16ELi32ELi8ELi1ELin1ELb0ELc84ELc76EKS1_S1_EviT_PT9_S3_lS5_S3_lPT10_S3_li.uses_flat_scratch, 0
	.set _ZL37rocblas_syrkx_herkx_restricted_kernelIl19rocblas_complex_numIdELi16ELi32ELi8ELi1ELin1ELb0ELc84ELc76EKS1_S1_EviT_PT9_S3_lS5_S3_lPT10_S3_li.has_dyn_sized_stack, 0
	.set _ZL37rocblas_syrkx_herkx_restricted_kernelIl19rocblas_complex_numIdELi16ELi32ELi8ELi1ELin1ELb0ELc84ELc76EKS1_S1_EviT_PT9_S3_lS5_S3_lPT10_S3_li.has_recursion, 0
	.set _ZL37rocblas_syrkx_herkx_restricted_kernelIl19rocblas_complex_numIdELi16ELi32ELi8ELi1ELin1ELb0ELc84ELc76EKS1_S1_EviT_PT9_S3_lS5_S3_lPT10_S3_li.has_indirect_call, 0
	.section	.AMDGPU.csdata,"",@progbits
; Kernel info:
; codeLenInByte = 2964
; TotalNumSgprs: 32
; NumVgprs: 52
; ScratchSize: 0
; MemoryBound: 0
; FloatMode: 240
; IeeeMode: 1
; LDSByteSize: 8192 bytes/workgroup (compile time only)
; SGPRBlocks: 8
; VGPRBlocks: 12
; NumSGPRsForWavesPerEU: 65
; NumVGPRsForWavesPerEU: 52
; Occupancy: 4
; WaveLimiterHint : 1
; COMPUTE_PGM_RSRC2:SCRATCH_EN: 0
; COMPUTE_PGM_RSRC2:USER_SGPR: 6
; COMPUTE_PGM_RSRC2:TRAP_HANDLER: 0
; COMPUTE_PGM_RSRC2:TGID_X_EN: 1
; COMPUTE_PGM_RSRC2:TGID_Y_EN: 1
; COMPUTE_PGM_RSRC2:TGID_Z_EN: 1
; COMPUTE_PGM_RSRC2:TIDIG_COMP_CNT: 1
	.section	.text._ZL37rocblas_syrkx_herkx_restricted_kernelIl19rocblas_complex_numIdELi16ELi32ELi8ELi1ELin1ELb0ELc67ELc76EKS1_S1_EviT_PT9_S3_lS5_S3_lPT10_S3_li,"axG",@progbits,_ZL37rocblas_syrkx_herkx_restricted_kernelIl19rocblas_complex_numIdELi16ELi32ELi8ELi1ELin1ELb0ELc67ELc76EKS1_S1_EviT_PT9_S3_lS5_S3_lPT10_S3_li,comdat
	.globl	_ZL37rocblas_syrkx_herkx_restricted_kernelIl19rocblas_complex_numIdELi16ELi32ELi8ELi1ELin1ELb0ELc67ELc76EKS1_S1_EviT_PT9_S3_lS5_S3_lPT10_S3_li ; -- Begin function _ZL37rocblas_syrkx_herkx_restricted_kernelIl19rocblas_complex_numIdELi16ELi32ELi8ELi1ELin1ELb0ELc67ELc76EKS1_S1_EviT_PT9_S3_lS5_S3_lPT10_S3_li
	.p2align	8
	.type	_ZL37rocblas_syrkx_herkx_restricted_kernelIl19rocblas_complex_numIdELi16ELi32ELi8ELi1ELin1ELb0ELc67ELc76EKS1_S1_EviT_PT9_S3_lS5_S3_lPT10_S3_li,@function
_ZL37rocblas_syrkx_herkx_restricted_kernelIl19rocblas_complex_numIdELi16ELi32ELi8ELi1ELin1ELb0ELc67ELc76EKS1_S1_EviT_PT9_S3_lS5_S3_lPT10_S3_li: ; @_ZL37rocblas_syrkx_herkx_restricted_kernelIl19rocblas_complex_numIdELi16ELi32ELi8ELi1ELin1ELb0ELc67ELc76EKS1_S1_EviT_PT9_S3_lS5_S3_lPT10_S3_li
; %bb.0:
	s_load_dwordx16 s[12:27], s[4:5], 0x8
	s_lshl_b32 s2, s6, 5
	s_lshl_b32 s3, s7, 5
	s_waitcnt lgkmcnt(0)
	v_cmp_lt_i64_e64 s[0:1], s[12:13], 1
	s_and_b64 vcc, exec, s[0:1]
	s_cbranch_vccnz .LBB1164_3
; %bb.1:
	v_lshl_add_u32 v6, v1, 4, v0
	v_lshrrev_b32_e32 v8, 3, v6
	v_add_u32_e32 v4, s3, v8
	v_ashrrev_i32_e32 v5, 31, v4
	v_and_b32_e32 v2, 7, v0
	v_mov_b32_e32 v3, 0
	v_mul_lo_u32 v7, s22, v5
	v_mul_lo_u32 v9, s23, v4
	v_mad_u64_u32 v[4:5], s[0:1], s22, v4, v[2:3]
	v_lshlrev_b32_e32 v2, 4, v2
	v_lshl_or_b32 v2, v8, 7, v2
	v_add3_u32 v5, v9, v5, v7
	v_and_b32_e32 v9, 31, v6
	v_add_u32_e32 v23, 0x1000, v2
	v_mov_b32_e32 v2, 0x1000
	v_add_u32_e32 v8, s2, v9
	v_lshrrev_b32_e32 v6, 5, v6
	v_mov_b32_e32 v7, v3
	v_lshlrev_b32_e32 v3, 4, v9
	v_lshl_add_u32 v25, v1, 7, v2
	v_ashrrev_i32_e32 v2, 31, v8
	v_lshl_or_b32 v22, v6, 9, v3
	v_mul_lo_u32 v9, s16, v2
	v_mad_u64_u32 v[2:3], s[0:1], s16, v8, v[6:7]
	v_mul_lo_u32 v6, s17, v8
	s_mul_i32 s6, s19, s8
	s_mul_hi_u32 s7, s18, s8
	s_add_i32 s1, s7, s6
	s_mul_i32 s0, s18, s8
	s_lshl_b64 s[0:1], s[0:1], 4
	v_add3_u32 v3, v6, v3, v9
	v_lshlrev_b64 v[2:3], 4, v[2:3]
	s_add_u32 s0, s14, s0
	s_addc_u32 s1, s15, s1
	v_mov_b32_e32 v6, s1
	v_add_co_u32_e32 v2, vcc, s0, v2
	s_mul_i32 s0, s25, s8
	s_mul_hi_u32 s1, s24, s8
	s_add_i32 s1, s1, s0
	s_mul_i32 s0, s24, s8
	v_addc_co_u32_e32 v3, vcc, v6, v3, vcc
	s_lshl_b64 s[0:1], s[0:1], 4
	v_add_co_u32_e32 v2, vcc, 8, v2
	v_lshlrev_b64 v[4:5], 4, v[4:5]
	s_add_u32 s0, s20, s0
	v_addc_co_u32_e32 v3, vcc, 0, v3, vcc
	s_addc_u32 s1, s21, s1
	v_mov_b32_e32 v6, s1
	v_add_co_u32_e32 v4, vcc, s0, v4
	v_addc_co_u32_e32 v5, vcc, v6, v5, vcc
	v_add_co_u32_e32 v4, vcc, 8, v4
	v_mov_b32_e32 v10, 0
	v_mov_b32_e32 v12, 0
	;; [unrolled: 1-line block ×8, first 2 shown]
	v_lshlrev_b32_e32 v24, 4, v0
	v_addc_co_u32_e32 v5, vcc, 0, v5, vcc
	v_mov_b32_e32 v11, 0
	v_mov_b32_e32 v13, 0
	;; [unrolled: 1-line block ×8, first 2 shown]
	s_mov_b64 s[0:1], 0
.LBB1164_2:                             ; =>This Inner Loop Header: Depth=1
	global_load_dwordx4 v[26:29], v[2:3], off offset:-8
	s_add_u32 s0, s0, 8
	v_add_co_u32_e32 v2, vcc, 0x80, v2
	s_addc_u32 s1, s1, 0
	v_addc_co_u32_e32 v3, vcc, 0, v3, vcc
	s_waitcnt vmcnt(0)
	ds_write_b128 v22, v[26:29]
	global_load_dwordx4 v[26:29], v[4:5], off offset:-8
	v_add_co_u32_e32 v4, vcc, 0x80, v4
	v_addc_co_u32_e32 v5, vcc, 0, v5, vcc
	s_waitcnt vmcnt(0)
	ds_write_b128 v23, v[26:29]
	s_waitcnt lgkmcnt(0)
	s_barrier
	ds_read_b128 v[26:29], v25
	ds_read_b128 v[30:33], v25 offset:16
	ds_read_b128 v[34:37], v25 offset:32
	ds_read_b128 v[38:41], v25 offset:48
	ds_read_b128 v[42:45], v24
	s_waitcnt lgkmcnt(0)
	v_mul_f64 v[46:47], v[28:29], v[44:45]
	v_mul_f64 v[48:49], v[26:27], v[44:45]
	v_fma_f64 v[46:47], v[26:27], v[42:43], -v[46:47]
	v_fma_f64 v[48:49], v[28:29], v[42:43], v[48:49]
	v_add_f64 v[46:47], v[14:15], v[46:47]
	v_add_f64 v[48:49], v[48:49], v[16:17]
	ds_read_b128 v[14:17], v24 offset:256
	s_waitcnt lgkmcnt(0)
	v_mul_f64 v[50:51], v[28:29], v[16:17]
	v_fma_f64 v[50:51], v[26:27], v[14:15], -v[50:51]
	v_mul_f64 v[26:27], v[26:27], v[16:17]
	v_fma_f64 v[26:27], v[28:29], v[14:15], v[26:27]
	v_add_f64 v[28:29], v[8:9], v[50:51]
	v_add_f64 v[26:27], v[26:27], v[6:7]
	ds_read_b128 v[6:9], v25 offset:2048
	s_waitcnt lgkmcnt(0)
	v_mul_f64 v[50:51], v[8:9], v[44:45]
	v_mul_f64 v[44:45], v[6:7], v[44:45]
	v_fma_f64 v[50:51], v[6:7], v[42:43], -v[50:51]
	v_fma_f64 v[42:43], v[8:9], v[42:43], v[44:45]
	v_add_f64 v[20:21], v[20:21], v[50:51]
	v_add_f64 v[18:19], v[42:43], v[18:19]
	v_mul_f64 v[42:43], v[8:9], v[16:17]
	v_fma_f64 v[42:43], v[6:7], v[14:15], -v[42:43]
	v_mul_f64 v[6:7], v[6:7], v[16:17]
	v_add_f64 v[42:43], v[12:13], v[42:43]
	v_fma_f64 v[6:7], v[8:9], v[14:15], v[6:7]
	v_add_f64 v[44:45], v[6:7], v[10:11]
	ds_read_b128 v[6:9], v24 offset:512
	s_waitcnt lgkmcnt(0)
	v_mul_f64 v[10:11], v[32:33], v[8:9]
	v_mul_f64 v[12:13], v[30:31], v[8:9]
	v_fma_f64 v[10:11], v[30:31], v[6:7], -v[10:11]
	v_fma_f64 v[12:13], v[32:33], v[6:7], v[12:13]
	v_add_f64 v[46:47], v[46:47], v[10:11]
	v_add_f64 v[48:49], v[12:13], v[48:49]
	ds_read_b128 v[10:13], v24 offset:768
	s_waitcnt lgkmcnt(0)
	v_mul_f64 v[14:15], v[32:33], v[12:13]
	v_mul_f64 v[16:17], v[30:31], v[12:13]
	v_fma_f64 v[14:15], v[30:31], v[10:11], -v[14:15]
	v_fma_f64 v[16:17], v[32:33], v[10:11], v[16:17]
	v_add_f64 v[28:29], v[28:29], v[14:15]
	v_add_f64 v[26:27], v[16:17], v[26:27]
	ds_read_b128 v[14:17], v25 offset:2064
	s_waitcnt lgkmcnt(0)
	v_mul_f64 v[30:31], v[16:17], v[8:9]
	v_mul_f64 v[8:9], v[14:15], v[8:9]
	v_fma_f64 v[30:31], v[14:15], v[6:7], -v[30:31]
	v_fma_f64 v[6:7], v[16:17], v[6:7], v[8:9]
	v_mul_f64 v[8:9], v[14:15], v[12:13]
	v_add_f64 v[20:21], v[20:21], v[30:31]
	v_add_f64 v[18:19], v[6:7], v[18:19]
	v_mul_f64 v[6:7], v[16:17], v[12:13]
	v_fma_f64 v[8:9], v[16:17], v[10:11], v[8:9]
	v_fma_f64 v[6:7], v[14:15], v[10:11], -v[6:7]
	v_add_f64 v[32:33], v[8:9], v[44:45]
	v_add_f64 v[30:31], v[42:43], v[6:7]
	ds_read_b128 v[6:9], v24 offset:1024
	s_waitcnt lgkmcnt(0)
	v_mul_f64 v[10:11], v[36:37], v[8:9]
	v_mul_f64 v[12:13], v[34:35], v[8:9]
	v_fma_f64 v[10:11], v[34:35], v[6:7], -v[10:11]
	v_fma_f64 v[12:13], v[36:37], v[6:7], v[12:13]
	v_add_f64 v[42:43], v[46:47], v[10:11]
	v_add_f64 v[44:45], v[12:13], v[48:49]
	ds_read_b128 v[10:13], v24 offset:1280
	s_waitcnt lgkmcnt(0)
	v_mul_f64 v[14:15], v[36:37], v[12:13]
	v_mul_f64 v[16:17], v[34:35], v[12:13]
	v_fma_f64 v[14:15], v[34:35], v[10:11], -v[14:15]
	v_fma_f64 v[16:17], v[36:37], v[10:11], v[16:17]
	v_add_f64 v[28:29], v[28:29], v[14:15]
	v_add_f64 v[26:27], v[16:17], v[26:27]
	ds_read_b128 v[14:17], v25 offset:2080
	s_waitcnt lgkmcnt(0)
	v_mul_f64 v[34:35], v[16:17], v[8:9]
	v_mul_f64 v[8:9], v[14:15], v[8:9]
	v_fma_f64 v[34:35], v[14:15], v[6:7], -v[34:35]
	v_fma_f64 v[6:7], v[16:17], v[6:7], v[8:9]
	v_mul_f64 v[8:9], v[14:15], v[12:13]
	v_add_f64 v[20:21], v[20:21], v[34:35]
	v_add_f64 v[18:19], v[6:7], v[18:19]
	v_mul_f64 v[6:7], v[16:17], v[12:13]
	v_fma_f64 v[8:9], v[16:17], v[10:11], v[8:9]
	v_fma_f64 v[6:7], v[14:15], v[10:11], -v[6:7]
	v_add_f64 v[32:33], v[8:9], v[32:33]
	;; [unrolled: 30-line block ×3, first 2 shown]
	v_add_f64 v[30:31], v[30:31], v[6:7]
	ds_read_b128 v[6:9], v25 offset:64
	ds_read_b128 v[10:13], v24 offset:2048
	s_waitcnt lgkmcnt(0)
	v_mul_f64 v[14:15], v[8:9], v[12:13]
	v_mul_f64 v[16:17], v[6:7], v[12:13]
	v_fma_f64 v[14:15], v[6:7], v[10:11], -v[14:15]
	v_fma_f64 v[16:17], v[8:9], v[10:11], v[16:17]
	v_add_f64 v[34:35], v[34:35], v[14:15]
	v_add_f64 v[36:37], v[16:17], v[36:37]
	ds_read_b128 v[14:17], v24 offset:2304
	s_waitcnt lgkmcnt(0)
	v_mul_f64 v[38:39], v[8:9], v[16:17]
	v_fma_f64 v[38:39], v[6:7], v[14:15], -v[38:39]
	v_mul_f64 v[6:7], v[6:7], v[16:17]
	v_add_f64 v[28:29], v[28:29], v[38:39]
	v_fma_f64 v[6:7], v[8:9], v[14:15], v[6:7]
	v_add_f64 v[26:27], v[6:7], v[26:27]
	ds_read_b128 v[6:9], v25 offset:2112
	s_waitcnt lgkmcnt(0)
	v_mul_f64 v[38:39], v[8:9], v[12:13]
	v_mul_f64 v[12:13], v[6:7], v[12:13]
	v_fma_f64 v[38:39], v[6:7], v[10:11], -v[38:39]
	v_fma_f64 v[10:11], v[8:9], v[10:11], v[12:13]
	v_add_f64 v[20:21], v[20:21], v[38:39]
	v_add_f64 v[18:19], v[10:11], v[18:19]
	v_mul_f64 v[10:11], v[8:9], v[16:17]
	v_fma_f64 v[10:11], v[6:7], v[14:15], -v[10:11]
	v_mul_f64 v[6:7], v[6:7], v[16:17]
	v_add_f64 v[30:31], v[30:31], v[10:11]
	v_fma_f64 v[6:7], v[8:9], v[14:15], v[6:7]
	v_add_f64 v[32:33], v[6:7], v[32:33]
	ds_read_b128 v[6:9], v25 offset:80
	ds_read_b128 v[10:13], v24 offset:2560
	s_waitcnt lgkmcnt(0)
	v_mul_f64 v[14:15], v[8:9], v[12:13]
	v_mul_f64 v[16:17], v[6:7], v[12:13]
	v_fma_f64 v[14:15], v[6:7], v[10:11], -v[14:15]
	v_fma_f64 v[16:17], v[8:9], v[10:11], v[16:17]
	v_add_f64 v[34:35], v[34:35], v[14:15]
	v_add_f64 v[36:37], v[16:17], v[36:37]
	ds_read_b128 v[14:17], v24 offset:2816
	s_waitcnt lgkmcnt(0)
	v_mul_f64 v[38:39], v[8:9], v[16:17]
	v_fma_f64 v[38:39], v[6:7], v[14:15], -v[38:39]
	v_mul_f64 v[6:7], v[6:7], v[16:17]
	v_add_f64 v[28:29], v[28:29], v[38:39]
	v_fma_f64 v[6:7], v[8:9], v[14:15], v[6:7]
	v_add_f64 v[26:27], v[6:7], v[26:27]
	ds_read_b128 v[6:9], v25 offset:2128
	s_waitcnt lgkmcnt(0)
	v_mul_f64 v[38:39], v[8:9], v[12:13]
	v_mul_f64 v[12:13], v[6:7], v[12:13]
	v_fma_f64 v[38:39], v[6:7], v[10:11], -v[38:39]
	v_fma_f64 v[10:11], v[8:9], v[10:11], v[12:13]
	v_add_f64 v[20:21], v[20:21], v[38:39]
	v_add_f64 v[18:19], v[10:11], v[18:19]
	v_mul_f64 v[10:11], v[8:9], v[16:17]
	v_fma_f64 v[10:11], v[6:7], v[14:15], -v[10:11]
	v_mul_f64 v[6:7], v[6:7], v[16:17]
	v_add_f64 v[30:31], v[30:31], v[10:11]
	v_fma_f64 v[6:7], v[8:9], v[14:15], v[6:7]
	;; [unrolled: 31-line block ×3, first 2 shown]
	v_add_f64 v[44:45], v[6:7], v[32:33]
	ds_read_b128 v[6:9], v25 offset:112
	ds_read_b128 v[10:13], v24 offset:3584
	;; [unrolled: 1-line block ×3, first 2 shown]
	s_waitcnt lgkmcnt(1)
	v_mul_f64 v[14:15], v[8:9], v[12:13]
	s_waitcnt lgkmcnt(0)
	v_mul_f64 v[30:31], v[8:9], v[28:29]
	v_mul_f64 v[16:17], v[6:7], v[12:13]
	v_fma_f64 v[14:15], v[6:7], v[10:11], -v[14:15]
	v_fma_f64 v[30:31], v[6:7], v[26:27], -v[30:31]
	v_mul_f64 v[6:7], v[6:7], v[28:29]
	v_fma_f64 v[16:17], v[8:9], v[10:11], v[16:17]
	v_add_f64 v[14:15], v[34:35], v[14:15]
	v_fma_f64 v[6:7], v[8:9], v[26:27], v[6:7]
	v_add_f64 v[8:9], v[38:39], v[30:31]
	ds_read_b128 v[30:33], v25 offset:2160
	v_add_f64 v[16:17], v[16:17], v[36:37]
	s_waitcnt lgkmcnt(0)
	s_barrier
	v_mul_f64 v[34:35], v[32:33], v[12:13]
	v_mul_f64 v[12:13], v[30:31], v[12:13]
	v_add_f64 v[6:7], v[6:7], v[40:41]
	v_fma_f64 v[34:35], v[30:31], v[10:11], -v[34:35]
	v_fma_f64 v[10:11], v[32:33], v[10:11], v[12:13]
	v_mul_f64 v[12:13], v[30:31], v[28:29]
	v_add_f64 v[20:21], v[20:21], v[34:35]
	v_add_f64 v[18:19], v[10:11], v[18:19]
	v_mul_f64 v[10:11], v[32:33], v[28:29]
	v_fma_f64 v[10:11], v[30:31], v[26:27], -v[10:11]
	v_fma_f64 v[26:27], v[32:33], v[26:27], v[12:13]
	v_add_f64 v[12:13], v[42:43], v[10:11]
	v_add_f64 v[10:11], v[26:27], v[44:45]
	v_mov_b32_e32 v27, s1
	v_mov_b32_e32 v26, s0
	v_cmp_le_u64_e32 vcc, s[12:13], v[26:27]
	s_cbranch_vccz .LBB1164_2
	s_branch .LBB1164_4
.LBB1164_3:
	v_mov_b32_e32 v14, 0
	v_mov_b32_e32 v16, 0
	;; [unrolled: 1-line block ×16, first 2 shown]
.LBB1164_4:
	s_load_dwordx4 s[12:15], s[4:5], 0x48
	s_load_dword s9, s[4:5], 0x0
	v_add_u32_e32 v4, s3, v1
	v_ashrrev_i32_e32 v1, 31, v4
	v_add_u32_e32 v0, s2, v0
	s_waitcnt lgkmcnt(0)
	v_mul_lo_u32 v3, s12, v1
	v_mul_lo_u32 v5, s13, v4
	v_mad_u64_u32 v[1:2], s[4:5], s12, v4, 0
	s_mul_i32 s1, s15, s8
	s_mul_hi_u32 s3, s14, s8
	s_mul_i32 s0, s14, s8
	s_add_i32 s1, s3, s1
	s_lshl_b64 s[0:1], s[0:1], 4
	v_add3_u32 v2, v2, v3, v5
	s_add_u32 s6, s26, s0
	v_lshlrev_b64 v[1:2], 4, v[1:2]
	s_addc_u32 s7, s27, s1
	v_mov_b32_e32 v3, s7
	v_add_co_u32_e32 v5, vcc, s6, v1
	v_addc_co_u32_e32 v22, vcc, v3, v2, vcc
	v_cmp_le_i32_e64 s[0:1], v4, v0
	v_cmp_gt_i32_e32 vcc, s9, v0
	s_and_b64 s[0:1], s[0:1], vcc
	s_and_saveexec_b64 s[2:3], s[0:1]
	s_cbranch_execz .LBB1164_6
; %bb.5:
	v_ashrrev_i32_e32 v1, 31, v0
	v_lshlrev_b64 v[1:2], 4, v[0:1]
	v_add_co_u32_e64 v1, s[0:1], v5, v1
	v_addc_co_u32_e64 v2, s[0:1], v22, v2, s[0:1]
	global_load_dwordx4 v[23:26], v[1:2], off
	s_waitcnt vmcnt(0)
	v_add_f64 v[14:15], v[14:15], -v[23:24]
	v_add_f64 v[16:17], v[16:17], -v[25:26]
	global_store_dwordx4 v[1:2], v[14:17], off
.LBB1164_6:
	s_or_b64 exec, exec, s[2:3]
	v_add_u32_e32 v2, 16, v0
	v_cmp_le_i32_e64 s[2:3], v4, v2
	v_cmp_gt_i32_e64 s[0:1], s9, v2
	s_and_b64 s[2:3], s[2:3], s[0:1]
	s_and_saveexec_b64 s[4:5], s[2:3]
	s_cbranch_execz .LBB1164_8
; %bb.7:
	v_ashrrev_i32_e32 v3, 31, v2
	v_lshlrev_b64 v[14:15], 4, v[2:3]
	v_add_co_u32_e64 v23, s[2:3], v5, v14
	v_addc_co_u32_e64 v24, s[2:3], v22, v15, s[2:3]
	global_load_dwordx4 v[14:17], v[23:24], off
	s_waitcnt vmcnt(0)
	v_add_f64 v[14:15], v[8:9], -v[14:15]
	v_add_f64 v[16:17], v[6:7], -v[16:17]
	global_store_dwordx4 v[23:24], v[14:17], off
.LBB1164_8:
	s_or_b64 exec, exec, s[4:5]
	v_add_u32_e32 v3, 16, v4
	v_ashrrev_i32_e32 v1, 31, v3
	v_mul_lo_u32 v6, s13, v3
	v_mad_u64_u32 v[4:5], s[2:3], s12, v3, 0
	v_mul_lo_u32 v1, s12, v1
	v_add3_u32 v5, v5, v1, v6
	v_lshlrev_b64 v[4:5], 4, v[4:5]
	v_mov_b32_e32 v1, s7
	v_add_co_u32_e64 v4, s[2:3], s6, v4
	v_addc_co_u32_e64 v5, s[2:3], v1, v5, s[2:3]
	v_cmp_le_i32_e64 s[2:3], v3, v0
	s_and_b64 s[4:5], s[2:3], vcc
	s_and_saveexec_b64 s[2:3], s[4:5]
	s_cbranch_execz .LBB1164_10
; %bb.9:
	v_ashrrev_i32_e32 v1, 31, v0
	v_lshlrev_b64 v[0:1], 4, v[0:1]
	v_add_co_u32_e32 v0, vcc, v4, v0
	v_addc_co_u32_e32 v1, vcc, v5, v1, vcc
	global_load_dwordx4 v[6:9], v[0:1], off
	s_waitcnt vmcnt(0)
	v_add_f64 v[6:7], v[20:21], -v[6:7]
	v_add_f64 v[8:9], v[18:19], -v[8:9]
	global_store_dwordx4 v[0:1], v[6:9], off
.LBB1164_10:
	s_or_b64 exec, exec, s[2:3]
	v_cmp_le_i32_e32 vcc, v3, v2
	s_and_b64 s[0:1], vcc, s[0:1]
	s_and_saveexec_b64 s[2:3], s[0:1]
	s_cbranch_execz .LBB1164_12
; %bb.11:
	v_ashrrev_i32_e32 v3, 31, v2
	v_lshlrev_b64 v[0:1], 4, v[2:3]
	v_add_co_u32_e32 v4, vcc, v4, v0
	v_addc_co_u32_e32 v5, vcc, v5, v1, vcc
	global_load_dwordx4 v[0:3], v[4:5], off
	s_waitcnt vmcnt(0)
	v_add_f64 v[0:1], v[12:13], -v[0:1]
	v_add_f64 v[2:3], v[10:11], -v[2:3]
	global_store_dwordx4 v[4:5], v[0:3], off
.LBB1164_12:
	s_endpgm
	.section	.rodata,"a",@progbits
	.p2align	6, 0x0
	.amdhsa_kernel _ZL37rocblas_syrkx_herkx_restricted_kernelIl19rocblas_complex_numIdELi16ELi32ELi8ELi1ELin1ELb0ELc67ELc76EKS1_S1_EviT_PT9_S3_lS5_S3_lPT10_S3_li
		.amdhsa_group_segment_fixed_size 8192
		.amdhsa_private_segment_fixed_size 0
		.amdhsa_kernarg_size 92
		.amdhsa_user_sgpr_count 6
		.amdhsa_user_sgpr_private_segment_buffer 1
		.amdhsa_user_sgpr_dispatch_ptr 0
		.amdhsa_user_sgpr_queue_ptr 0
		.amdhsa_user_sgpr_kernarg_segment_ptr 1
		.amdhsa_user_sgpr_dispatch_id 0
		.amdhsa_user_sgpr_flat_scratch_init 0
		.amdhsa_user_sgpr_private_segment_size 0
		.amdhsa_uses_dynamic_stack 0
		.amdhsa_system_sgpr_private_segment_wavefront_offset 0
		.amdhsa_system_sgpr_workgroup_id_x 1
		.amdhsa_system_sgpr_workgroup_id_y 1
		.amdhsa_system_sgpr_workgroup_id_z 1
		.amdhsa_system_sgpr_workgroup_info 0
		.amdhsa_system_vgpr_workitem_id 1
		.amdhsa_next_free_vgpr 52
		.amdhsa_next_free_sgpr 61
		.amdhsa_reserve_vcc 1
		.amdhsa_reserve_flat_scratch 0
		.amdhsa_float_round_mode_32 0
		.amdhsa_float_round_mode_16_64 0
		.amdhsa_float_denorm_mode_32 3
		.amdhsa_float_denorm_mode_16_64 3
		.amdhsa_dx10_clamp 1
		.amdhsa_ieee_mode 1
		.amdhsa_fp16_overflow 0
		.amdhsa_exception_fp_ieee_invalid_op 0
		.amdhsa_exception_fp_denorm_src 0
		.amdhsa_exception_fp_ieee_div_zero 0
		.amdhsa_exception_fp_ieee_overflow 0
		.amdhsa_exception_fp_ieee_underflow 0
		.amdhsa_exception_fp_ieee_inexact 0
		.amdhsa_exception_int_div_zero 0
	.end_amdhsa_kernel
	.section	.text._ZL37rocblas_syrkx_herkx_restricted_kernelIl19rocblas_complex_numIdELi16ELi32ELi8ELi1ELin1ELb0ELc67ELc76EKS1_S1_EviT_PT9_S3_lS5_S3_lPT10_S3_li,"axG",@progbits,_ZL37rocblas_syrkx_herkx_restricted_kernelIl19rocblas_complex_numIdELi16ELi32ELi8ELi1ELin1ELb0ELc67ELc76EKS1_S1_EviT_PT9_S3_lS5_S3_lPT10_S3_li,comdat
.Lfunc_end1164:
	.size	_ZL37rocblas_syrkx_herkx_restricted_kernelIl19rocblas_complex_numIdELi16ELi32ELi8ELi1ELin1ELb0ELc67ELc76EKS1_S1_EviT_PT9_S3_lS5_S3_lPT10_S3_li, .Lfunc_end1164-_ZL37rocblas_syrkx_herkx_restricted_kernelIl19rocblas_complex_numIdELi16ELi32ELi8ELi1ELin1ELb0ELc67ELc76EKS1_S1_EviT_PT9_S3_lS5_S3_lPT10_S3_li
                                        ; -- End function
	.set _ZL37rocblas_syrkx_herkx_restricted_kernelIl19rocblas_complex_numIdELi16ELi32ELi8ELi1ELin1ELb0ELc67ELc76EKS1_S1_EviT_PT9_S3_lS5_S3_lPT10_S3_li.num_vgpr, 52
	.set _ZL37rocblas_syrkx_herkx_restricted_kernelIl19rocblas_complex_numIdELi16ELi32ELi8ELi1ELin1ELb0ELc67ELc76EKS1_S1_EviT_PT9_S3_lS5_S3_lPT10_S3_li.num_agpr, 0
	.set _ZL37rocblas_syrkx_herkx_restricted_kernelIl19rocblas_complex_numIdELi16ELi32ELi8ELi1ELin1ELb0ELc67ELc76EKS1_S1_EviT_PT9_S3_lS5_S3_lPT10_S3_li.numbered_sgpr, 28
	.set _ZL37rocblas_syrkx_herkx_restricted_kernelIl19rocblas_complex_numIdELi16ELi32ELi8ELi1ELin1ELb0ELc67ELc76EKS1_S1_EviT_PT9_S3_lS5_S3_lPT10_S3_li.num_named_barrier, 0
	.set _ZL37rocblas_syrkx_herkx_restricted_kernelIl19rocblas_complex_numIdELi16ELi32ELi8ELi1ELin1ELb0ELc67ELc76EKS1_S1_EviT_PT9_S3_lS5_S3_lPT10_S3_li.private_seg_size, 0
	.set _ZL37rocblas_syrkx_herkx_restricted_kernelIl19rocblas_complex_numIdELi16ELi32ELi8ELi1ELin1ELb0ELc67ELc76EKS1_S1_EviT_PT9_S3_lS5_S3_lPT10_S3_li.uses_vcc, 1
	.set _ZL37rocblas_syrkx_herkx_restricted_kernelIl19rocblas_complex_numIdELi16ELi32ELi8ELi1ELin1ELb0ELc67ELc76EKS1_S1_EviT_PT9_S3_lS5_S3_lPT10_S3_li.uses_flat_scratch, 0
	.set _ZL37rocblas_syrkx_herkx_restricted_kernelIl19rocblas_complex_numIdELi16ELi32ELi8ELi1ELin1ELb0ELc67ELc76EKS1_S1_EviT_PT9_S3_lS5_S3_lPT10_S3_li.has_dyn_sized_stack, 0
	.set _ZL37rocblas_syrkx_herkx_restricted_kernelIl19rocblas_complex_numIdELi16ELi32ELi8ELi1ELin1ELb0ELc67ELc76EKS1_S1_EviT_PT9_S3_lS5_S3_lPT10_S3_li.has_recursion, 0
	.set _ZL37rocblas_syrkx_herkx_restricted_kernelIl19rocblas_complex_numIdELi16ELi32ELi8ELi1ELin1ELb0ELc67ELc76EKS1_S1_EviT_PT9_S3_lS5_S3_lPT10_S3_li.has_indirect_call, 0
	.section	.AMDGPU.csdata,"",@progbits
; Kernel info:
; codeLenInByte = 2964
; TotalNumSgprs: 32
; NumVgprs: 52
; ScratchSize: 0
; MemoryBound: 0
; FloatMode: 240
; IeeeMode: 1
; LDSByteSize: 8192 bytes/workgroup (compile time only)
; SGPRBlocks: 8
; VGPRBlocks: 12
; NumSGPRsForWavesPerEU: 65
; NumVGPRsForWavesPerEU: 52
; Occupancy: 4
; WaveLimiterHint : 1
; COMPUTE_PGM_RSRC2:SCRATCH_EN: 0
; COMPUTE_PGM_RSRC2:USER_SGPR: 6
; COMPUTE_PGM_RSRC2:TRAP_HANDLER: 0
; COMPUTE_PGM_RSRC2:TGID_X_EN: 1
; COMPUTE_PGM_RSRC2:TGID_Y_EN: 1
; COMPUTE_PGM_RSRC2:TGID_Z_EN: 1
; COMPUTE_PGM_RSRC2:TIDIG_COMP_CNT: 1
	.section	.text._ZL37rocblas_syrkx_herkx_restricted_kernelIl19rocblas_complex_numIdELi16ELi32ELi8ELi1ELin1ELb0ELc78ELc76EKS1_S1_EviT_PT9_S3_lS5_S3_lPT10_S3_li,"axG",@progbits,_ZL37rocblas_syrkx_herkx_restricted_kernelIl19rocblas_complex_numIdELi16ELi32ELi8ELi1ELin1ELb0ELc78ELc76EKS1_S1_EviT_PT9_S3_lS5_S3_lPT10_S3_li,comdat
	.globl	_ZL37rocblas_syrkx_herkx_restricted_kernelIl19rocblas_complex_numIdELi16ELi32ELi8ELi1ELin1ELb0ELc78ELc76EKS1_S1_EviT_PT9_S3_lS5_S3_lPT10_S3_li ; -- Begin function _ZL37rocblas_syrkx_herkx_restricted_kernelIl19rocblas_complex_numIdELi16ELi32ELi8ELi1ELin1ELb0ELc78ELc76EKS1_S1_EviT_PT9_S3_lS5_S3_lPT10_S3_li
	.p2align	8
	.type	_ZL37rocblas_syrkx_herkx_restricted_kernelIl19rocblas_complex_numIdELi16ELi32ELi8ELi1ELin1ELb0ELc78ELc76EKS1_S1_EviT_PT9_S3_lS5_S3_lPT10_S3_li,@function
_ZL37rocblas_syrkx_herkx_restricted_kernelIl19rocblas_complex_numIdELi16ELi32ELi8ELi1ELin1ELb0ELc78ELc76EKS1_S1_EviT_PT9_S3_lS5_S3_lPT10_S3_li: ; @_ZL37rocblas_syrkx_herkx_restricted_kernelIl19rocblas_complex_numIdELi16ELi32ELi8ELi1ELin1ELb0ELc78ELc76EKS1_S1_EviT_PT9_S3_lS5_S3_lPT10_S3_li
; %bb.0:
	s_load_dwordx16 s[12:27], s[4:5], 0x8
	s_lshl_b32 s9, s6, 5
	s_lshl_b32 s10, s7, 5
	s_waitcnt lgkmcnt(0)
	v_cmp_lt_i64_e64 s[0:1], s[12:13], 1
	s_and_b64 vcc, exec, s[0:1]
	s_cbranch_vccnz .LBB1165_3
; %bb.1:
	v_lshl_add_u32 v7, v1, 4, v0
	v_lshrrev_b32_e32 v8, 3, v7
	v_add_u32_e32 v2, s10, v8
	v_and_b32_e32 v6, 7, v0
	v_ashrrev_i32_e32 v3, 31, v2
	v_mad_u64_u32 v[4:5], s[0:1], s22, v6, v[2:3]
	v_lshrrev_b32_e32 v9, 5, v7
	s_mul_i32 s2, s19, s8
	v_mov_b32_e32 v2, v5
	v_mad_u64_u32 v[2:3], s[0:1], s23, v6, v[2:3]
	v_and_b32_e32 v3, 31, v7
	v_lshlrev_b32_e32 v7, 4, v3
	v_mov_b32_e32 v5, v2
	v_lshlrev_b32_e32 v2, 4, v6
	v_lshl_or_b32 v2, v8, 7, v2
	v_add_u32_e32 v23, 0x1000, v2
	v_add_u32_e32 v2, s9, v3
	v_ashrrev_i32_e32 v3, 31, v2
	v_mad_u64_u32 v[2:3], s[0:1], s16, v9, v[2:3]
	v_mov_b32_e32 v6, 0x1000
	v_lshl_or_b32 v22, v9, 9, v7
	v_lshl_add_u32 v25, v1, 7, v6
	v_mad_u64_u32 v[6:7], s[0:1], s17, v9, v[3:4]
	s_mul_hi_u32 s3, s18, s8
	s_add_i32 s1, s3, s2
	s_mul_i32 s0, s18, s8
	s_lshl_b64 s[0:1], s[0:1], 4
	v_mov_b32_e32 v3, v6
	v_lshlrev_b64 v[2:3], 4, v[2:3]
	s_add_u32 s0, s14, s0
	s_addc_u32 s1, s15, s1
	s_mul_i32 s2, s25, s8
	s_mul_hi_u32 s3, s24, s8
	v_mov_b32_e32 v6, s1
	v_add_co_u32_e32 v2, vcc, s0, v2
	s_add_i32 s3, s3, s2
	s_mul_i32 s2, s24, s8
	v_addc_co_u32_e32 v3, vcc, v6, v3, vcc
	s_lshl_b64 s[0:1], s[16:17], 7
	s_lshl_b64 s[2:3], s[2:3], 4
	v_add_co_u32_e32 v2, vcc, 8, v2
	v_lshlrev_b64 v[4:5], 4, v[4:5]
	s_add_u32 s2, s20, s2
	v_addc_co_u32_e32 v3, vcc, 0, v3, vcc
	s_addc_u32 s3, s21, s3
	v_mov_b32_e32 v6, s3
	v_add_co_u32_e32 v4, vcc, s2, v4
	v_addc_co_u32_e32 v5, vcc, v6, v5, vcc
	v_add_co_u32_e32 v4, vcc, 8, v4
	s_lshl_b64 s[2:3], s[22:23], 7
	v_mov_b32_e32 v10, 0
	v_mov_b32_e32 v12, 0
	;; [unrolled: 1-line block ×8, first 2 shown]
	v_lshlrev_b32_e32 v24, 4, v0
	v_addc_co_u32_e32 v5, vcc, 0, v5, vcc
	v_mov_b32_e32 v11, 0
	s_mov_b64 s[6:7], 0
	v_mov_b32_e32 v26, s1
	v_mov_b32_e32 v13, 0
	;; [unrolled: 1-line block ×9, first 2 shown]
.LBB1165_2:                             ; =>This Inner Loop Header: Depth=1
	global_load_dwordx4 v[28:31], v[2:3], off offset:-8
	s_add_u32 s6, s6, 8
	v_add_co_u32_e32 v2, vcc, s0, v2
	s_addc_u32 s7, s7, 0
	v_addc_co_u32_e32 v3, vcc, v3, v26, vcc
	s_waitcnt vmcnt(0)
	ds_write_b128 v22, v[28:31]
	global_load_dwordx4 v[28:31], v[4:5], off offset:-8
	v_add_co_u32_e32 v4, vcc, s2, v4
	v_addc_co_u32_e32 v5, vcc, v5, v27, vcc
	s_waitcnt vmcnt(0)
	ds_write_b128 v23, v[28:31]
	s_waitcnt lgkmcnt(0)
	s_barrier
	ds_read_b128 v[28:31], v25
	ds_read_b128 v[32:35], v25 offset:16
	ds_read_b128 v[36:39], v25 offset:32
	ds_read_b128 v[40:43], v25 offset:48
	ds_read_b128 v[44:47], v24
	s_waitcnt lgkmcnt(0)
	v_mul_f64 v[48:49], v[30:31], v[46:47]
	v_mul_f64 v[50:51], v[28:29], v[46:47]
	v_fma_f64 v[48:49], v[28:29], v[44:45], -v[48:49]
	v_fma_f64 v[50:51], v[30:31], v[44:45], v[50:51]
	v_add_f64 v[48:49], v[18:19], v[48:49]
	v_add_f64 v[50:51], v[50:51], v[20:21]
	ds_read_b128 v[18:21], v24 offset:256
	s_waitcnt lgkmcnt(0)
	v_mul_f64 v[52:53], v[30:31], v[20:21]
	v_fma_f64 v[52:53], v[28:29], v[18:19], -v[52:53]
	v_mul_f64 v[28:29], v[28:29], v[20:21]
	v_fma_f64 v[28:29], v[30:31], v[18:19], v[28:29]
	v_add_f64 v[30:31], v[8:9], v[52:53]
	v_add_f64 v[28:29], v[28:29], v[6:7]
	ds_read_b128 v[6:9], v25 offset:2048
	s_waitcnt lgkmcnt(0)
	v_mul_f64 v[52:53], v[8:9], v[46:47]
	v_mul_f64 v[46:47], v[6:7], v[46:47]
	v_fma_f64 v[52:53], v[6:7], v[44:45], -v[52:53]
	v_fma_f64 v[44:45], v[8:9], v[44:45], v[46:47]
	v_add_f64 v[46:47], v[16:17], v[52:53]
	v_add_f64 v[44:45], v[44:45], v[14:15]
	v_mul_f64 v[14:15], v[8:9], v[20:21]
	v_fma_f64 v[14:15], v[6:7], v[18:19], -v[14:15]
	v_mul_f64 v[6:7], v[6:7], v[20:21]
	v_fma_f64 v[6:7], v[8:9], v[18:19], v[6:7]
	v_add_f64 v[18:19], v[12:13], v[14:15]
	v_add_f64 v[20:21], v[6:7], v[10:11]
	ds_read_b128 v[6:9], v24 offset:512
	s_waitcnt lgkmcnt(0)
	v_mul_f64 v[10:11], v[34:35], v[8:9]
	v_mul_f64 v[12:13], v[32:33], v[8:9]
	v_fma_f64 v[10:11], v[32:33], v[6:7], -v[10:11]
	v_fma_f64 v[12:13], v[34:35], v[6:7], v[12:13]
	v_add_f64 v[48:49], v[48:49], v[10:11]
	v_add_f64 v[50:51], v[12:13], v[50:51]
	ds_read_b128 v[10:13], v24 offset:768
	s_waitcnt lgkmcnt(0)
	v_mul_f64 v[14:15], v[34:35], v[12:13]
	v_mul_f64 v[16:17], v[32:33], v[12:13]
	v_fma_f64 v[14:15], v[32:33], v[10:11], -v[14:15]
	;; [unrolled: 8-line block ×3, first 2 shown]
	v_fma_f64 v[6:7], v[16:17], v[6:7], v[8:9]
	v_mul_f64 v[8:9], v[14:15], v[12:13]
	v_add_f64 v[32:33], v[46:47], v[32:33]
	v_add_f64 v[34:35], v[6:7], v[44:45]
	v_mul_f64 v[6:7], v[16:17], v[12:13]
	v_fma_f64 v[8:9], v[16:17], v[10:11], v[8:9]
	v_fma_f64 v[6:7], v[14:15], v[10:11], -v[6:7]
	v_add_f64 v[20:21], v[8:9], v[20:21]
	v_add_f64 v[18:19], v[18:19], v[6:7]
	ds_read_b128 v[6:9], v24 offset:1024
	s_waitcnt lgkmcnt(0)
	v_mul_f64 v[10:11], v[38:39], v[8:9]
	v_mul_f64 v[12:13], v[36:37], v[8:9]
	v_fma_f64 v[10:11], v[36:37], v[6:7], -v[10:11]
	v_fma_f64 v[12:13], v[38:39], v[6:7], v[12:13]
	v_add_f64 v[44:45], v[48:49], v[10:11]
	v_add_f64 v[46:47], v[12:13], v[50:51]
	ds_read_b128 v[10:13], v24 offset:1280
	s_waitcnt lgkmcnt(0)
	v_mul_f64 v[14:15], v[38:39], v[12:13]
	v_mul_f64 v[16:17], v[36:37], v[12:13]
	v_fma_f64 v[14:15], v[36:37], v[10:11], -v[14:15]
	v_fma_f64 v[16:17], v[38:39], v[10:11], v[16:17]
	;; [unrolled: 8-line block ×3, first 2 shown]
	v_mul_f64 v[8:9], v[14:15], v[12:13]
	v_add_f64 v[32:33], v[32:33], v[36:37]
	v_add_f64 v[34:35], v[6:7], v[34:35]
	v_mul_f64 v[6:7], v[16:17], v[12:13]
	v_fma_f64 v[8:9], v[16:17], v[10:11], v[8:9]
	v_fma_f64 v[6:7], v[14:15], v[10:11], -v[6:7]
	v_add_f64 v[20:21], v[8:9], v[20:21]
	v_add_f64 v[18:19], v[18:19], v[6:7]
	ds_read_b128 v[6:9], v24 offset:1536
	s_waitcnt lgkmcnt(0)
	v_mul_f64 v[10:11], v[42:43], v[8:9]
	v_mul_f64 v[12:13], v[40:41], v[8:9]
	v_fma_f64 v[10:11], v[40:41], v[6:7], -v[10:11]
	v_fma_f64 v[12:13], v[42:43], v[6:7], v[12:13]
	v_add_f64 v[36:37], v[44:45], v[10:11]
	v_add_f64 v[38:39], v[12:13], v[46:47]
	ds_read_b128 v[10:13], v24 offset:1792
	s_waitcnt lgkmcnt(0)
	v_mul_f64 v[14:15], v[42:43], v[12:13]
	v_mul_f64 v[16:17], v[40:41], v[12:13]
	v_fma_f64 v[14:15], v[40:41], v[10:11], -v[14:15]
	v_fma_f64 v[16:17], v[42:43], v[10:11], v[16:17]
	v_add_f64 v[30:31], v[30:31], v[14:15]
	v_add_f64 v[28:29], v[16:17], v[28:29]
	ds_read_b128 v[14:17], v25 offset:2096
	s_waitcnt lgkmcnt(0)
	v_mul_f64 v[40:41], v[16:17], v[8:9]
	v_mul_f64 v[8:9], v[14:15], v[8:9]
	v_fma_f64 v[40:41], v[14:15], v[6:7], -v[40:41]
	v_fma_f64 v[6:7], v[16:17], v[6:7], v[8:9]
	v_mul_f64 v[8:9], v[14:15], v[12:13]
	v_add_f64 v[32:33], v[32:33], v[40:41]
	v_add_f64 v[34:35], v[6:7], v[34:35]
	v_mul_f64 v[6:7], v[16:17], v[12:13]
	v_fma_f64 v[8:9], v[16:17], v[10:11], v[8:9]
	v_fma_f64 v[6:7], v[14:15], v[10:11], -v[6:7]
	v_add_f64 v[20:21], v[8:9], v[20:21]
	v_add_f64 v[18:19], v[18:19], v[6:7]
	ds_read_b128 v[6:9], v25 offset:64
	ds_read_b128 v[10:13], v24 offset:2048
	s_waitcnt lgkmcnt(0)
	v_mul_f64 v[14:15], v[8:9], v[12:13]
	v_mul_f64 v[16:17], v[6:7], v[12:13]
	v_fma_f64 v[14:15], v[6:7], v[10:11], -v[14:15]
	v_fma_f64 v[16:17], v[8:9], v[10:11], v[16:17]
	v_add_f64 v[36:37], v[36:37], v[14:15]
	v_add_f64 v[38:39], v[16:17], v[38:39]
	ds_read_b128 v[14:17], v24 offset:2304
	s_waitcnt lgkmcnt(0)
	v_mul_f64 v[40:41], v[8:9], v[16:17]
	v_fma_f64 v[40:41], v[6:7], v[14:15], -v[40:41]
	v_mul_f64 v[6:7], v[6:7], v[16:17]
	v_add_f64 v[30:31], v[30:31], v[40:41]
	v_fma_f64 v[6:7], v[8:9], v[14:15], v[6:7]
	v_add_f64 v[28:29], v[6:7], v[28:29]
	ds_read_b128 v[6:9], v25 offset:2112
	s_waitcnt lgkmcnt(0)
	v_mul_f64 v[40:41], v[8:9], v[12:13]
	v_mul_f64 v[12:13], v[6:7], v[12:13]
	v_fma_f64 v[40:41], v[6:7], v[10:11], -v[40:41]
	v_fma_f64 v[10:11], v[8:9], v[10:11], v[12:13]
	v_add_f64 v[32:33], v[32:33], v[40:41]
	v_add_f64 v[34:35], v[10:11], v[34:35]
	v_mul_f64 v[10:11], v[8:9], v[16:17]
	v_fma_f64 v[10:11], v[6:7], v[14:15], -v[10:11]
	v_mul_f64 v[6:7], v[6:7], v[16:17]
	v_add_f64 v[18:19], v[18:19], v[10:11]
	v_fma_f64 v[6:7], v[8:9], v[14:15], v[6:7]
	v_add_f64 v[20:21], v[6:7], v[20:21]
	ds_read_b128 v[6:9], v25 offset:80
	ds_read_b128 v[10:13], v24 offset:2560
	s_waitcnt lgkmcnt(0)
	v_mul_f64 v[14:15], v[8:9], v[12:13]
	v_mul_f64 v[16:17], v[6:7], v[12:13]
	v_fma_f64 v[14:15], v[6:7], v[10:11], -v[14:15]
	v_fma_f64 v[16:17], v[8:9], v[10:11], v[16:17]
	v_add_f64 v[36:37], v[36:37], v[14:15]
	v_add_f64 v[38:39], v[16:17], v[38:39]
	ds_read_b128 v[14:17], v24 offset:2816
	s_waitcnt lgkmcnt(0)
	v_mul_f64 v[40:41], v[8:9], v[16:17]
	v_fma_f64 v[40:41], v[6:7], v[14:15], -v[40:41]
	v_mul_f64 v[6:7], v[6:7], v[16:17]
	v_add_f64 v[30:31], v[30:31], v[40:41]
	v_fma_f64 v[6:7], v[8:9], v[14:15], v[6:7]
	v_add_f64 v[28:29], v[6:7], v[28:29]
	ds_read_b128 v[6:9], v25 offset:2128
	s_waitcnt lgkmcnt(0)
	v_mul_f64 v[40:41], v[8:9], v[12:13]
	v_mul_f64 v[12:13], v[6:7], v[12:13]
	v_fma_f64 v[40:41], v[6:7], v[10:11], -v[40:41]
	v_fma_f64 v[10:11], v[8:9], v[10:11], v[12:13]
	v_add_f64 v[32:33], v[32:33], v[40:41]
	v_add_f64 v[34:35], v[10:11], v[34:35]
	v_mul_f64 v[10:11], v[8:9], v[16:17]
	v_fma_f64 v[10:11], v[6:7], v[14:15], -v[10:11]
	v_mul_f64 v[6:7], v[6:7], v[16:17]
	v_add_f64 v[18:19], v[18:19], v[10:11]
	v_fma_f64 v[6:7], v[8:9], v[14:15], v[6:7]
	;; [unrolled: 31-line block ×3, first 2 shown]
	v_add_f64 v[50:51], v[6:7], v[20:21]
	ds_read_b128 v[6:9], v25 offset:112
	ds_read_b128 v[10:13], v24 offset:3584
	;; [unrolled: 1-line block ×4, first 2 shown]
	s_waitcnt lgkmcnt(0)
	s_barrier
	v_mul_f64 v[14:15], v[8:9], v[12:13]
	v_mul_f64 v[16:17], v[6:7], v[12:13]
	v_fma_f64 v[14:15], v[6:7], v[10:11], -v[14:15]
	v_fma_f64 v[16:17], v[8:9], v[10:11], v[16:17]
	v_add_f64 v[18:19], v[36:37], v[14:15]
	v_mul_f64 v[14:15], v[8:9], v[30:31]
	v_add_f64 v[20:21], v[16:17], v[38:39]
	v_fma_f64 v[14:15], v[6:7], v[28:29], -v[14:15]
	v_mul_f64 v[6:7], v[6:7], v[30:31]
	v_fma_f64 v[6:7], v[8:9], v[28:29], v[6:7]
	v_add_f64 v[8:9], v[40:41], v[14:15]
	v_mul_f64 v[14:15], v[34:35], v[12:13]
	v_mul_f64 v[12:13], v[32:33], v[12:13]
	v_add_f64 v[6:7], v[6:7], v[42:43]
	v_fma_f64 v[14:15], v[32:33], v[10:11], -v[14:15]
	v_fma_f64 v[10:11], v[34:35], v[10:11], v[12:13]
	v_mul_f64 v[12:13], v[32:33], v[30:31]
	v_add_f64 v[16:17], v[44:45], v[14:15]
	v_add_f64 v[14:15], v[10:11], v[46:47]
	v_mul_f64 v[10:11], v[34:35], v[30:31]
	v_fma_f64 v[10:11], v[32:33], v[28:29], -v[10:11]
	v_fma_f64 v[28:29], v[34:35], v[28:29], v[12:13]
	v_add_f64 v[12:13], v[48:49], v[10:11]
	v_add_f64 v[10:11], v[28:29], v[50:51]
	v_mov_b32_e32 v29, s7
	v_mov_b32_e32 v28, s6
	v_cmp_le_u64_e32 vcc, s[12:13], v[28:29]
	s_cbranch_vccz .LBB1165_2
	s_branch .LBB1165_4
.LBB1165_3:
	v_mov_b32_e32 v18, 0
	v_mov_b32_e32 v20, 0
	;; [unrolled: 1-line block ×16, first 2 shown]
.LBB1165_4:
	s_load_dwordx4 s[12:15], s[4:5], 0x48
	s_load_dword s11, s[4:5], 0x0
	v_add_u32_e32 v4, s10, v1
	v_ashrrev_i32_e32 v1, 31, v4
	v_add_u32_e32 v0, s9, v0
	s_waitcnt lgkmcnt(0)
	s_mul_i32 s1, s15, s8
	s_mul_hi_u32 s2, s14, s8
	s_add_i32 s1, s2, s1
	v_mul_lo_u32 v3, s12, v1
	v_mul_lo_u32 v5, s13, v4
	v_mad_u64_u32 v[1:2], s[2:3], s12, v4, 0
	s_mul_i32 s0, s14, s8
	s_lshl_b64 s[0:1], s[0:1], 4
	v_add3_u32 v2, v2, v3, v5
	s_add_u32 s6, s26, s0
	v_lshlrev_b64 v[1:2], 4, v[1:2]
	s_addc_u32 s7, s27, s1
	v_mov_b32_e32 v3, s7
	v_add_co_u32_e32 v5, vcc, s6, v1
	v_addc_co_u32_e32 v22, vcc, v3, v2, vcc
	v_cmp_le_i32_e64 s[0:1], v4, v0
	v_cmp_gt_i32_e32 vcc, s11, v0
	s_and_b64 s[0:1], s[0:1], vcc
	s_and_saveexec_b64 s[2:3], s[0:1]
	s_cbranch_execz .LBB1165_6
; %bb.5:
	v_ashrrev_i32_e32 v1, 31, v0
	v_lshlrev_b64 v[1:2], 4, v[0:1]
	v_add_co_u32_e64 v1, s[0:1], v5, v1
	v_addc_co_u32_e64 v2, s[0:1], v22, v2, s[0:1]
	global_load_dwordx4 v[23:26], v[1:2], off
	s_waitcnt vmcnt(0)
	v_add_f64 v[18:19], v[18:19], -v[23:24]
	v_add_f64 v[20:21], v[20:21], -v[25:26]
	global_store_dwordx4 v[1:2], v[18:21], off
.LBB1165_6:
	s_or_b64 exec, exec, s[2:3]
	v_add_u32_e32 v2, 16, v0
	v_cmp_le_i32_e64 s[2:3], v4, v2
	v_cmp_gt_i32_e64 s[0:1], s11, v2
	s_and_b64 s[2:3], s[2:3], s[0:1]
	s_and_saveexec_b64 s[4:5], s[2:3]
	s_cbranch_execz .LBB1165_8
; %bb.7:
	v_ashrrev_i32_e32 v3, 31, v2
	v_lshlrev_b64 v[18:19], 4, v[2:3]
	v_add_co_u32_e64 v23, s[2:3], v5, v18
	v_addc_co_u32_e64 v24, s[2:3], v22, v19, s[2:3]
	global_load_dwordx4 v[18:21], v[23:24], off
	s_waitcnt vmcnt(0)
	v_add_f64 v[18:19], v[8:9], -v[18:19]
	v_add_f64 v[20:21], v[6:7], -v[20:21]
	global_store_dwordx4 v[23:24], v[18:21], off
.LBB1165_8:
	s_or_b64 exec, exec, s[4:5]
	v_add_u32_e32 v3, 16, v4
	v_ashrrev_i32_e32 v1, 31, v3
	v_mul_lo_u32 v6, s13, v3
	v_mad_u64_u32 v[4:5], s[2:3], s12, v3, 0
	v_mul_lo_u32 v1, s12, v1
	v_add3_u32 v5, v5, v1, v6
	v_lshlrev_b64 v[4:5], 4, v[4:5]
	v_mov_b32_e32 v1, s7
	v_add_co_u32_e64 v4, s[2:3], s6, v4
	v_addc_co_u32_e64 v5, s[2:3], v1, v5, s[2:3]
	v_cmp_le_i32_e64 s[2:3], v3, v0
	s_and_b64 s[4:5], s[2:3], vcc
	s_and_saveexec_b64 s[2:3], s[4:5]
	s_cbranch_execz .LBB1165_10
; %bb.9:
	v_ashrrev_i32_e32 v1, 31, v0
	v_lshlrev_b64 v[0:1], 4, v[0:1]
	v_add_co_u32_e32 v0, vcc, v4, v0
	v_addc_co_u32_e32 v1, vcc, v5, v1, vcc
	global_load_dwordx4 v[6:9], v[0:1], off
	s_waitcnt vmcnt(0)
	v_add_f64 v[6:7], v[16:17], -v[6:7]
	v_add_f64 v[8:9], v[14:15], -v[8:9]
	global_store_dwordx4 v[0:1], v[6:9], off
.LBB1165_10:
	s_or_b64 exec, exec, s[2:3]
	v_cmp_le_i32_e32 vcc, v3, v2
	s_and_b64 s[0:1], vcc, s[0:1]
	s_and_saveexec_b64 s[2:3], s[0:1]
	s_cbranch_execz .LBB1165_12
; %bb.11:
	v_ashrrev_i32_e32 v3, 31, v2
	v_lshlrev_b64 v[0:1], 4, v[2:3]
	v_add_co_u32_e32 v4, vcc, v4, v0
	v_addc_co_u32_e32 v5, vcc, v5, v1, vcc
	global_load_dwordx4 v[0:3], v[4:5], off
	s_waitcnt vmcnt(0)
	v_add_f64 v[0:1], v[12:13], -v[0:1]
	v_add_f64 v[2:3], v[10:11], -v[2:3]
	global_store_dwordx4 v[4:5], v[0:3], off
.LBB1165_12:
	s_endpgm
	.section	.rodata,"a",@progbits
	.p2align	6, 0x0
	.amdhsa_kernel _ZL37rocblas_syrkx_herkx_restricted_kernelIl19rocblas_complex_numIdELi16ELi32ELi8ELi1ELin1ELb0ELc78ELc76EKS1_S1_EviT_PT9_S3_lS5_S3_lPT10_S3_li
		.amdhsa_group_segment_fixed_size 8192
		.amdhsa_private_segment_fixed_size 0
		.amdhsa_kernarg_size 92
		.amdhsa_user_sgpr_count 6
		.amdhsa_user_sgpr_private_segment_buffer 1
		.amdhsa_user_sgpr_dispatch_ptr 0
		.amdhsa_user_sgpr_queue_ptr 0
		.amdhsa_user_sgpr_kernarg_segment_ptr 1
		.amdhsa_user_sgpr_dispatch_id 0
		.amdhsa_user_sgpr_flat_scratch_init 0
		.amdhsa_user_sgpr_private_segment_size 0
		.amdhsa_uses_dynamic_stack 0
		.amdhsa_system_sgpr_private_segment_wavefront_offset 0
		.amdhsa_system_sgpr_workgroup_id_x 1
		.amdhsa_system_sgpr_workgroup_id_y 1
		.amdhsa_system_sgpr_workgroup_id_z 1
		.amdhsa_system_sgpr_workgroup_info 0
		.amdhsa_system_vgpr_workitem_id 1
		.amdhsa_next_free_vgpr 54
		.amdhsa_next_free_sgpr 61
		.amdhsa_reserve_vcc 1
		.amdhsa_reserve_flat_scratch 0
		.amdhsa_float_round_mode_32 0
		.amdhsa_float_round_mode_16_64 0
		.amdhsa_float_denorm_mode_32 3
		.amdhsa_float_denorm_mode_16_64 3
		.amdhsa_dx10_clamp 1
		.amdhsa_ieee_mode 1
		.amdhsa_fp16_overflow 0
		.amdhsa_exception_fp_ieee_invalid_op 0
		.amdhsa_exception_fp_denorm_src 0
		.amdhsa_exception_fp_ieee_div_zero 0
		.amdhsa_exception_fp_ieee_overflow 0
		.amdhsa_exception_fp_ieee_underflow 0
		.amdhsa_exception_fp_ieee_inexact 0
		.amdhsa_exception_int_div_zero 0
	.end_amdhsa_kernel
	.section	.text._ZL37rocblas_syrkx_herkx_restricted_kernelIl19rocblas_complex_numIdELi16ELi32ELi8ELi1ELin1ELb0ELc78ELc76EKS1_S1_EviT_PT9_S3_lS5_S3_lPT10_S3_li,"axG",@progbits,_ZL37rocblas_syrkx_herkx_restricted_kernelIl19rocblas_complex_numIdELi16ELi32ELi8ELi1ELin1ELb0ELc78ELc76EKS1_S1_EviT_PT9_S3_lS5_S3_lPT10_S3_li,comdat
.Lfunc_end1165:
	.size	_ZL37rocblas_syrkx_herkx_restricted_kernelIl19rocblas_complex_numIdELi16ELi32ELi8ELi1ELin1ELb0ELc78ELc76EKS1_S1_EviT_PT9_S3_lS5_S3_lPT10_S3_li, .Lfunc_end1165-_ZL37rocblas_syrkx_herkx_restricted_kernelIl19rocblas_complex_numIdELi16ELi32ELi8ELi1ELin1ELb0ELc78ELc76EKS1_S1_EviT_PT9_S3_lS5_S3_lPT10_S3_li
                                        ; -- End function
	.set _ZL37rocblas_syrkx_herkx_restricted_kernelIl19rocblas_complex_numIdELi16ELi32ELi8ELi1ELin1ELb0ELc78ELc76EKS1_S1_EviT_PT9_S3_lS5_S3_lPT10_S3_li.num_vgpr, 54
	.set _ZL37rocblas_syrkx_herkx_restricted_kernelIl19rocblas_complex_numIdELi16ELi32ELi8ELi1ELin1ELb0ELc78ELc76EKS1_S1_EviT_PT9_S3_lS5_S3_lPT10_S3_li.num_agpr, 0
	.set _ZL37rocblas_syrkx_herkx_restricted_kernelIl19rocblas_complex_numIdELi16ELi32ELi8ELi1ELin1ELb0ELc78ELc76EKS1_S1_EviT_PT9_S3_lS5_S3_lPT10_S3_li.numbered_sgpr, 28
	.set _ZL37rocblas_syrkx_herkx_restricted_kernelIl19rocblas_complex_numIdELi16ELi32ELi8ELi1ELin1ELb0ELc78ELc76EKS1_S1_EviT_PT9_S3_lS5_S3_lPT10_S3_li.num_named_barrier, 0
	.set _ZL37rocblas_syrkx_herkx_restricted_kernelIl19rocblas_complex_numIdELi16ELi32ELi8ELi1ELin1ELb0ELc78ELc76EKS1_S1_EviT_PT9_S3_lS5_S3_lPT10_S3_li.private_seg_size, 0
	.set _ZL37rocblas_syrkx_herkx_restricted_kernelIl19rocblas_complex_numIdELi16ELi32ELi8ELi1ELin1ELb0ELc78ELc76EKS1_S1_EviT_PT9_S3_lS5_S3_lPT10_S3_li.uses_vcc, 1
	.set _ZL37rocblas_syrkx_herkx_restricted_kernelIl19rocblas_complex_numIdELi16ELi32ELi8ELi1ELin1ELb0ELc78ELc76EKS1_S1_EviT_PT9_S3_lS5_S3_lPT10_S3_li.uses_flat_scratch, 0
	.set _ZL37rocblas_syrkx_herkx_restricted_kernelIl19rocblas_complex_numIdELi16ELi32ELi8ELi1ELin1ELb0ELc78ELc76EKS1_S1_EviT_PT9_S3_lS5_S3_lPT10_S3_li.has_dyn_sized_stack, 0
	.set _ZL37rocblas_syrkx_herkx_restricted_kernelIl19rocblas_complex_numIdELi16ELi32ELi8ELi1ELin1ELb0ELc78ELc76EKS1_S1_EviT_PT9_S3_lS5_S3_lPT10_S3_li.has_recursion, 0
	.set _ZL37rocblas_syrkx_herkx_restricted_kernelIl19rocblas_complex_numIdELi16ELi32ELi8ELi1ELin1ELb0ELc78ELc76EKS1_S1_EviT_PT9_S3_lS5_S3_lPT10_S3_li.has_indirect_call, 0
	.section	.AMDGPU.csdata,"",@progbits
; Kernel info:
; codeLenInByte = 2936
; TotalNumSgprs: 32
; NumVgprs: 54
; ScratchSize: 0
; MemoryBound: 0
; FloatMode: 240
; IeeeMode: 1
; LDSByteSize: 8192 bytes/workgroup (compile time only)
; SGPRBlocks: 8
; VGPRBlocks: 13
; NumSGPRsForWavesPerEU: 65
; NumVGPRsForWavesPerEU: 54
; Occupancy: 4
; WaveLimiterHint : 1
; COMPUTE_PGM_RSRC2:SCRATCH_EN: 0
; COMPUTE_PGM_RSRC2:USER_SGPR: 6
; COMPUTE_PGM_RSRC2:TRAP_HANDLER: 0
; COMPUTE_PGM_RSRC2:TGID_X_EN: 1
; COMPUTE_PGM_RSRC2:TGID_Y_EN: 1
; COMPUTE_PGM_RSRC2:TGID_Z_EN: 1
; COMPUTE_PGM_RSRC2:TIDIG_COMP_CNT: 1
	.section	.text._ZL37rocblas_syrkx_herkx_restricted_kernelIl19rocblas_complex_numIdELi16ELi32ELi8ELi1ELin1ELb0ELc84ELc85EKS1_S1_EviT_PT9_S3_lS5_S3_lPT10_S3_li,"axG",@progbits,_ZL37rocblas_syrkx_herkx_restricted_kernelIl19rocblas_complex_numIdELi16ELi32ELi8ELi1ELin1ELb0ELc84ELc85EKS1_S1_EviT_PT9_S3_lS5_S3_lPT10_S3_li,comdat
	.globl	_ZL37rocblas_syrkx_herkx_restricted_kernelIl19rocblas_complex_numIdELi16ELi32ELi8ELi1ELin1ELb0ELc84ELc85EKS1_S1_EviT_PT9_S3_lS5_S3_lPT10_S3_li ; -- Begin function _ZL37rocblas_syrkx_herkx_restricted_kernelIl19rocblas_complex_numIdELi16ELi32ELi8ELi1ELin1ELb0ELc84ELc85EKS1_S1_EviT_PT9_S3_lS5_S3_lPT10_S3_li
	.p2align	8
	.type	_ZL37rocblas_syrkx_herkx_restricted_kernelIl19rocblas_complex_numIdELi16ELi32ELi8ELi1ELin1ELb0ELc84ELc85EKS1_S1_EviT_PT9_S3_lS5_S3_lPT10_S3_li,@function
_ZL37rocblas_syrkx_herkx_restricted_kernelIl19rocblas_complex_numIdELi16ELi32ELi8ELi1ELin1ELb0ELc84ELc85EKS1_S1_EviT_PT9_S3_lS5_S3_lPT10_S3_li: ; @_ZL37rocblas_syrkx_herkx_restricted_kernelIl19rocblas_complex_numIdELi16ELi32ELi8ELi1ELin1ELb0ELc84ELc85EKS1_S1_EviT_PT9_S3_lS5_S3_lPT10_S3_li
; %bb.0:
	s_load_dwordx16 s[12:27], s[4:5], 0x8
	s_lshl_b32 s2, s6, 5
	s_lshl_b32 s3, s7, 5
	s_waitcnt lgkmcnt(0)
	v_cmp_lt_i64_e64 s[0:1], s[12:13], 1
	s_and_b64 vcc, exec, s[0:1]
	s_cbranch_vccnz .LBB1166_3
; %bb.1:
	v_lshl_add_u32 v6, v1, 4, v0
	v_lshrrev_b32_e32 v8, 3, v6
	v_add_u32_e32 v4, s3, v8
	v_ashrrev_i32_e32 v5, 31, v4
	v_and_b32_e32 v2, 7, v0
	v_mov_b32_e32 v3, 0
	v_mul_lo_u32 v7, s22, v5
	v_mul_lo_u32 v9, s23, v4
	v_mad_u64_u32 v[4:5], s[0:1], s22, v4, v[2:3]
	v_lshlrev_b32_e32 v2, 4, v2
	v_lshl_or_b32 v2, v8, 7, v2
	v_add3_u32 v5, v9, v5, v7
	v_and_b32_e32 v9, 31, v6
	v_add_u32_e32 v23, 0x1000, v2
	v_mov_b32_e32 v2, 0x1000
	v_add_u32_e32 v8, s2, v9
	v_lshrrev_b32_e32 v6, 5, v6
	v_mov_b32_e32 v7, v3
	v_lshlrev_b32_e32 v3, 4, v9
	v_lshl_add_u32 v25, v1, 7, v2
	v_ashrrev_i32_e32 v2, 31, v8
	v_lshl_or_b32 v22, v6, 9, v3
	v_mul_lo_u32 v9, s16, v2
	v_mad_u64_u32 v[2:3], s[0:1], s16, v8, v[6:7]
	v_mul_lo_u32 v6, s17, v8
	s_mul_i32 s6, s19, s8
	s_mul_hi_u32 s7, s18, s8
	s_add_i32 s1, s7, s6
	s_mul_i32 s0, s18, s8
	s_lshl_b64 s[0:1], s[0:1], 4
	v_add3_u32 v3, v6, v3, v9
	v_lshlrev_b64 v[2:3], 4, v[2:3]
	s_add_u32 s0, s14, s0
	s_addc_u32 s1, s15, s1
	v_mov_b32_e32 v6, s1
	v_add_co_u32_e32 v2, vcc, s0, v2
	s_mul_i32 s0, s25, s8
	s_mul_hi_u32 s1, s24, s8
	s_add_i32 s1, s1, s0
	s_mul_i32 s0, s24, s8
	v_addc_co_u32_e32 v3, vcc, v6, v3, vcc
	s_lshl_b64 s[0:1], s[0:1], 4
	v_add_co_u32_e32 v2, vcc, 8, v2
	v_lshlrev_b64 v[4:5], 4, v[4:5]
	s_add_u32 s0, s20, s0
	v_addc_co_u32_e32 v3, vcc, 0, v3, vcc
	s_addc_u32 s1, s21, s1
	v_mov_b32_e32 v6, s1
	v_add_co_u32_e32 v4, vcc, s0, v4
	v_addc_co_u32_e32 v5, vcc, v6, v5, vcc
	v_add_co_u32_e32 v4, vcc, 8, v4
	v_mov_b32_e32 v10, 0
	v_mov_b32_e32 v12, 0
	;; [unrolled: 1-line block ×8, first 2 shown]
	v_lshlrev_b32_e32 v24, 4, v0
	v_addc_co_u32_e32 v5, vcc, 0, v5, vcc
	v_mov_b32_e32 v11, 0
	v_mov_b32_e32 v13, 0
	;; [unrolled: 1-line block ×8, first 2 shown]
	s_mov_b64 s[0:1], 0
.LBB1166_2:                             ; =>This Inner Loop Header: Depth=1
	global_load_dwordx4 v[26:29], v[2:3], off offset:-8
	s_add_u32 s0, s0, 8
	v_add_co_u32_e32 v2, vcc, 0x80, v2
	s_addc_u32 s1, s1, 0
	v_addc_co_u32_e32 v3, vcc, 0, v3, vcc
	s_waitcnt vmcnt(0)
	ds_write_b128 v22, v[26:29]
	global_load_dwordx4 v[26:29], v[4:5], off offset:-8
	v_add_co_u32_e32 v4, vcc, 0x80, v4
	v_addc_co_u32_e32 v5, vcc, 0, v5, vcc
	s_waitcnt vmcnt(0)
	ds_write_b128 v23, v[26:29]
	s_waitcnt lgkmcnt(0)
	s_barrier
	ds_read_b128 v[26:29], v25
	ds_read_b128 v[30:33], v25 offset:16
	ds_read_b128 v[34:37], v25 offset:32
	ds_read_b128 v[38:41], v25 offset:48
	ds_read_b128 v[42:45], v24
	s_waitcnt lgkmcnt(0)
	v_mul_f64 v[46:47], v[28:29], v[44:45]
	v_mul_f64 v[48:49], v[26:27], v[44:45]
	v_fma_f64 v[46:47], v[26:27], v[42:43], -v[46:47]
	v_fma_f64 v[48:49], v[28:29], v[42:43], v[48:49]
	v_add_f64 v[46:47], v[14:15], v[46:47]
	v_add_f64 v[48:49], v[48:49], v[16:17]
	ds_read_b128 v[14:17], v24 offset:256
	s_waitcnt lgkmcnt(0)
	v_mul_f64 v[50:51], v[28:29], v[16:17]
	v_fma_f64 v[50:51], v[26:27], v[14:15], -v[50:51]
	v_mul_f64 v[26:27], v[26:27], v[16:17]
	v_fma_f64 v[26:27], v[28:29], v[14:15], v[26:27]
	v_add_f64 v[28:29], v[8:9], v[50:51]
	v_add_f64 v[26:27], v[26:27], v[6:7]
	ds_read_b128 v[6:9], v25 offset:2048
	s_waitcnt lgkmcnt(0)
	v_mul_f64 v[50:51], v[8:9], v[44:45]
	v_mul_f64 v[44:45], v[6:7], v[44:45]
	v_fma_f64 v[50:51], v[6:7], v[42:43], -v[50:51]
	v_fma_f64 v[42:43], v[8:9], v[42:43], v[44:45]
	v_add_f64 v[20:21], v[20:21], v[50:51]
	v_add_f64 v[18:19], v[42:43], v[18:19]
	v_mul_f64 v[42:43], v[8:9], v[16:17]
	v_fma_f64 v[42:43], v[6:7], v[14:15], -v[42:43]
	v_mul_f64 v[6:7], v[6:7], v[16:17]
	v_add_f64 v[42:43], v[12:13], v[42:43]
	v_fma_f64 v[6:7], v[8:9], v[14:15], v[6:7]
	v_add_f64 v[44:45], v[6:7], v[10:11]
	ds_read_b128 v[6:9], v24 offset:512
	s_waitcnt lgkmcnt(0)
	v_mul_f64 v[10:11], v[32:33], v[8:9]
	v_mul_f64 v[12:13], v[30:31], v[8:9]
	v_fma_f64 v[10:11], v[30:31], v[6:7], -v[10:11]
	v_fma_f64 v[12:13], v[32:33], v[6:7], v[12:13]
	v_add_f64 v[46:47], v[46:47], v[10:11]
	v_add_f64 v[48:49], v[12:13], v[48:49]
	ds_read_b128 v[10:13], v24 offset:768
	s_waitcnt lgkmcnt(0)
	v_mul_f64 v[14:15], v[32:33], v[12:13]
	v_mul_f64 v[16:17], v[30:31], v[12:13]
	v_fma_f64 v[14:15], v[30:31], v[10:11], -v[14:15]
	v_fma_f64 v[16:17], v[32:33], v[10:11], v[16:17]
	v_add_f64 v[28:29], v[28:29], v[14:15]
	v_add_f64 v[26:27], v[16:17], v[26:27]
	ds_read_b128 v[14:17], v25 offset:2064
	s_waitcnt lgkmcnt(0)
	v_mul_f64 v[30:31], v[16:17], v[8:9]
	v_mul_f64 v[8:9], v[14:15], v[8:9]
	v_fma_f64 v[30:31], v[14:15], v[6:7], -v[30:31]
	v_fma_f64 v[6:7], v[16:17], v[6:7], v[8:9]
	v_mul_f64 v[8:9], v[14:15], v[12:13]
	v_add_f64 v[20:21], v[20:21], v[30:31]
	v_add_f64 v[18:19], v[6:7], v[18:19]
	v_mul_f64 v[6:7], v[16:17], v[12:13]
	v_fma_f64 v[8:9], v[16:17], v[10:11], v[8:9]
	v_fma_f64 v[6:7], v[14:15], v[10:11], -v[6:7]
	v_add_f64 v[32:33], v[8:9], v[44:45]
	v_add_f64 v[30:31], v[42:43], v[6:7]
	ds_read_b128 v[6:9], v24 offset:1024
	s_waitcnt lgkmcnt(0)
	v_mul_f64 v[10:11], v[36:37], v[8:9]
	v_mul_f64 v[12:13], v[34:35], v[8:9]
	v_fma_f64 v[10:11], v[34:35], v[6:7], -v[10:11]
	v_fma_f64 v[12:13], v[36:37], v[6:7], v[12:13]
	v_add_f64 v[42:43], v[46:47], v[10:11]
	v_add_f64 v[44:45], v[12:13], v[48:49]
	ds_read_b128 v[10:13], v24 offset:1280
	s_waitcnt lgkmcnt(0)
	v_mul_f64 v[14:15], v[36:37], v[12:13]
	v_mul_f64 v[16:17], v[34:35], v[12:13]
	v_fma_f64 v[14:15], v[34:35], v[10:11], -v[14:15]
	v_fma_f64 v[16:17], v[36:37], v[10:11], v[16:17]
	v_add_f64 v[28:29], v[28:29], v[14:15]
	v_add_f64 v[26:27], v[16:17], v[26:27]
	ds_read_b128 v[14:17], v25 offset:2080
	s_waitcnt lgkmcnt(0)
	v_mul_f64 v[34:35], v[16:17], v[8:9]
	v_mul_f64 v[8:9], v[14:15], v[8:9]
	v_fma_f64 v[34:35], v[14:15], v[6:7], -v[34:35]
	v_fma_f64 v[6:7], v[16:17], v[6:7], v[8:9]
	v_mul_f64 v[8:9], v[14:15], v[12:13]
	v_add_f64 v[20:21], v[20:21], v[34:35]
	v_add_f64 v[18:19], v[6:7], v[18:19]
	v_mul_f64 v[6:7], v[16:17], v[12:13]
	v_fma_f64 v[8:9], v[16:17], v[10:11], v[8:9]
	v_fma_f64 v[6:7], v[14:15], v[10:11], -v[6:7]
	v_add_f64 v[32:33], v[8:9], v[32:33]
	v_add_f64 v[30:31], v[30:31], v[6:7]
	ds_read_b128 v[6:9], v24 offset:1536
	s_waitcnt lgkmcnt(0)
	v_mul_f64 v[10:11], v[40:41], v[8:9]
	v_mul_f64 v[12:13], v[38:39], v[8:9]
	v_fma_f64 v[10:11], v[38:39], v[6:7], -v[10:11]
	v_fma_f64 v[12:13], v[40:41], v[6:7], v[12:13]
	v_add_f64 v[34:35], v[42:43], v[10:11]
	v_add_f64 v[36:37], v[12:13], v[44:45]
	ds_read_b128 v[10:13], v24 offset:1792
	s_waitcnt lgkmcnt(0)
	v_mul_f64 v[14:15], v[40:41], v[12:13]
	v_mul_f64 v[16:17], v[38:39], v[12:13]
	v_fma_f64 v[14:15], v[38:39], v[10:11], -v[14:15]
	v_fma_f64 v[16:17], v[40:41], v[10:11], v[16:17]
	v_add_f64 v[28:29], v[28:29], v[14:15]
	v_add_f64 v[26:27], v[16:17], v[26:27]
	ds_read_b128 v[14:17], v25 offset:2096
	s_waitcnt lgkmcnt(0)
	v_mul_f64 v[38:39], v[16:17], v[8:9]
	v_mul_f64 v[8:9], v[14:15], v[8:9]
	v_fma_f64 v[38:39], v[14:15], v[6:7], -v[38:39]
	v_fma_f64 v[6:7], v[16:17], v[6:7], v[8:9]
	v_mul_f64 v[8:9], v[14:15], v[12:13]
	v_add_f64 v[20:21], v[20:21], v[38:39]
	v_add_f64 v[18:19], v[6:7], v[18:19]
	v_mul_f64 v[6:7], v[16:17], v[12:13]
	v_fma_f64 v[8:9], v[16:17], v[10:11], v[8:9]
	v_fma_f64 v[6:7], v[14:15], v[10:11], -v[6:7]
	v_add_f64 v[32:33], v[8:9], v[32:33]
	v_add_f64 v[30:31], v[30:31], v[6:7]
	ds_read_b128 v[6:9], v25 offset:64
	ds_read_b128 v[10:13], v24 offset:2048
	s_waitcnt lgkmcnt(0)
	v_mul_f64 v[14:15], v[8:9], v[12:13]
	v_mul_f64 v[16:17], v[6:7], v[12:13]
	v_fma_f64 v[14:15], v[6:7], v[10:11], -v[14:15]
	v_fma_f64 v[16:17], v[8:9], v[10:11], v[16:17]
	v_add_f64 v[34:35], v[34:35], v[14:15]
	v_add_f64 v[36:37], v[16:17], v[36:37]
	ds_read_b128 v[14:17], v24 offset:2304
	s_waitcnt lgkmcnt(0)
	v_mul_f64 v[38:39], v[8:9], v[16:17]
	v_fma_f64 v[38:39], v[6:7], v[14:15], -v[38:39]
	v_mul_f64 v[6:7], v[6:7], v[16:17]
	v_add_f64 v[28:29], v[28:29], v[38:39]
	v_fma_f64 v[6:7], v[8:9], v[14:15], v[6:7]
	v_add_f64 v[26:27], v[6:7], v[26:27]
	ds_read_b128 v[6:9], v25 offset:2112
	s_waitcnt lgkmcnt(0)
	v_mul_f64 v[38:39], v[8:9], v[12:13]
	v_mul_f64 v[12:13], v[6:7], v[12:13]
	v_fma_f64 v[38:39], v[6:7], v[10:11], -v[38:39]
	v_fma_f64 v[10:11], v[8:9], v[10:11], v[12:13]
	v_add_f64 v[20:21], v[20:21], v[38:39]
	v_add_f64 v[18:19], v[10:11], v[18:19]
	v_mul_f64 v[10:11], v[8:9], v[16:17]
	v_fma_f64 v[10:11], v[6:7], v[14:15], -v[10:11]
	v_mul_f64 v[6:7], v[6:7], v[16:17]
	v_add_f64 v[30:31], v[30:31], v[10:11]
	v_fma_f64 v[6:7], v[8:9], v[14:15], v[6:7]
	v_add_f64 v[32:33], v[6:7], v[32:33]
	ds_read_b128 v[6:9], v25 offset:80
	ds_read_b128 v[10:13], v24 offset:2560
	s_waitcnt lgkmcnt(0)
	v_mul_f64 v[14:15], v[8:9], v[12:13]
	v_mul_f64 v[16:17], v[6:7], v[12:13]
	v_fma_f64 v[14:15], v[6:7], v[10:11], -v[14:15]
	v_fma_f64 v[16:17], v[8:9], v[10:11], v[16:17]
	v_add_f64 v[34:35], v[34:35], v[14:15]
	v_add_f64 v[36:37], v[16:17], v[36:37]
	ds_read_b128 v[14:17], v24 offset:2816
	s_waitcnt lgkmcnt(0)
	v_mul_f64 v[38:39], v[8:9], v[16:17]
	v_fma_f64 v[38:39], v[6:7], v[14:15], -v[38:39]
	v_mul_f64 v[6:7], v[6:7], v[16:17]
	v_add_f64 v[28:29], v[28:29], v[38:39]
	v_fma_f64 v[6:7], v[8:9], v[14:15], v[6:7]
	v_add_f64 v[26:27], v[6:7], v[26:27]
	ds_read_b128 v[6:9], v25 offset:2128
	s_waitcnt lgkmcnt(0)
	v_mul_f64 v[38:39], v[8:9], v[12:13]
	v_mul_f64 v[12:13], v[6:7], v[12:13]
	v_fma_f64 v[38:39], v[6:7], v[10:11], -v[38:39]
	v_fma_f64 v[10:11], v[8:9], v[10:11], v[12:13]
	v_add_f64 v[20:21], v[20:21], v[38:39]
	v_add_f64 v[18:19], v[10:11], v[18:19]
	v_mul_f64 v[10:11], v[8:9], v[16:17]
	v_fma_f64 v[10:11], v[6:7], v[14:15], -v[10:11]
	v_mul_f64 v[6:7], v[6:7], v[16:17]
	v_add_f64 v[30:31], v[30:31], v[10:11]
	v_fma_f64 v[6:7], v[8:9], v[14:15], v[6:7]
	;; [unrolled: 31-line block ×3, first 2 shown]
	v_add_f64 v[44:45], v[6:7], v[32:33]
	ds_read_b128 v[6:9], v25 offset:112
	ds_read_b128 v[10:13], v24 offset:3584
	;; [unrolled: 1-line block ×3, first 2 shown]
	s_waitcnt lgkmcnt(1)
	v_mul_f64 v[14:15], v[8:9], v[12:13]
	s_waitcnt lgkmcnt(0)
	v_mul_f64 v[30:31], v[8:9], v[28:29]
	v_mul_f64 v[16:17], v[6:7], v[12:13]
	v_fma_f64 v[14:15], v[6:7], v[10:11], -v[14:15]
	v_fma_f64 v[30:31], v[6:7], v[26:27], -v[30:31]
	v_mul_f64 v[6:7], v[6:7], v[28:29]
	v_fma_f64 v[16:17], v[8:9], v[10:11], v[16:17]
	v_add_f64 v[14:15], v[34:35], v[14:15]
	v_fma_f64 v[6:7], v[8:9], v[26:27], v[6:7]
	v_add_f64 v[8:9], v[38:39], v[30:31]
	ds_read_b128 v[30:33], v25 offset:2160
	v_add_f64 v[16:17], v[16:17], v[36:37]
	s_waitcnt lgkmcnt(0)
	s_barrier
	v_mul_f64 v[34:35], v[32:33], v[12:13]
	v_mul_f64 v[12:13], v[30:31], v[12:13]
	v_add_f64 v[6:7], v[6:7], v[40:41]
	v_fma_f64 v[34:35], v[30:31], v[10:11], -v[34:35]
	v_fma_f64 v[10:11], v[32:33], v[10:11], v[12:13]
	v_mul_f64 v[12:13], v[30:31], v[28:29]
	v_add_f64 v[20:21], v[20:21], v[34:35]
	v_add_f64 v[18:19], v[10:11], v[18:19]
	v_mul_f64 v[10:11], v[32:33], v[28:29]
	v_fma_f64 v[10:11], v[30:31], v[26:27], -v[10:11]
	v_fma_f64 v[26:27], v[32:33], v[26:27], v[12:13]
	v_add_f64 v[12:13], v[42:43], v[10:11]
	v_add_f64 v[10:11], v[26:27], v[44:45]
	v_mov_b32_e32 v27, s1
	v_mov_b32_e32 v26, s0
	v_cmp_le_u64_e32 vcc, s[12:13], v[26:27]
	s_cbranch_vccz .LBB1166_2
	s_branch .LBB1166_4
.LBB1166_3:
	v_mov_b32_e32 v14, 0
	v_mov_b32_e32 v16, 0
	;; [unrolled: 1-line block ×16, first 2 shown]
.LBB1166_4:
	s_load_dwordx4 s[12:15], s[4:5], 0x48
	s_load_dword s6, s[4:5], 0x0
	v_add_u32_e32 v4, s3, v1
	v_ashrrev_i32_e32 v1, 31, v4
	v_add_u32_e32 v0, s2, v0
	s_waitcnt lgkmcnt(0)
	s_mul_i32 s1, s15, s8
	s_mul_hi_u32 s3, s14, s8
	s_mul_i32 s0, s14, s8
	v_mul_lo_u32 v3, s12, v1
	v_mul_lo_u32 v5, s13, v4
	v_mad_u64_u32 v[1:2], s[8:9], s12, v4, 0
	s_add_i32 s1, s3, s1
	s_lshl_b64 s[0:1], s[0:1], 4
	v_add3_u32 v2, v2, v3, v5
	s_add_u32 s4, s26, s0
	v_lshlrev_b64 v[1:2], 4, v[1:2]
	s_addc_u32 s5, s27, s1
	v_mov_b32_e32 v3, s5
	v_add_co_u32_e64 v5, s[0:1], s4, v1
	v_addc_co_u32_e64 v22, s[0:1], v3, v2, s[0:1]
	v_cmp_gt_i32_e32 vcc, s6, v4
	v_cmp_le_i32_e64 s[0:1], v0, v4
	s_and_b64 s[0:1], vcc, s[0:1]
	s_and_saveexec_b64 s[2:3], s[0:1]
	s_cbranch_execz .LBB1166_6
; %bb.5:
	v_ashrrev_i32_e32 v1, 31, v0
	v_lshlrev_b64 v[1:2], 4, v[0:1]
	v_add_co_u32_e64 v1, s[0:1], v5, v1
	v_addc_co_u32_e64 v2, s[0:1], v22, v2, s[0:1]
	global_load_dwordx4 v[23:26], v[1:2], off
	s_waitcnt vmcnt(0)
	v_add_f64 v[14:15], v[14:15], -v[23:24]
	v_add_f64 v[16:17], v[16:17], -v[25:26]
	global_store_dwordx4 v[1:2], v[14:17], off
.LBB1166_6:
	s_or_b64 exec, exec, s[2:3]
	v_add_u32_e32 v2, 16, v0
	v_cmp_le_i32_e64 s[0:1], v2, v4
	s_and_b64 s[2:3], vcc, s[0:1]
	s_and_saveexec_b64 s[0:1], s[2:3]
	s_cbranch_execz .LBB1166_8
; %bb.7:
	v_ashrrev_i32_e32 v3, 31, v2
	v_lshlrev_b64 v[14:15], 4, v[2:3]
	v_add_co_u32_e32 v23, vcc, v5, v14
	v_addc_co_u32_e32 v24, vcc, v22, v15, vcc
	global_load_dwordx4 v[14:17], v[23:24], off
	s_waitcnt vmcnt(0)
	v_add_f64 v[14:15], v[8:9], -v[14:15]
	v_add_f64 v[16:17], v[6:7], -v[16:17]
	global_store_dwordx4 v[23:24], v[14:17], off
.LBB1166_8:
	s_or_b64 exec, exec, s[0:1]
	v_add_u32_e32 v3, 16, v4
	v_ashrrev_i32_e32 v1, 31, v3
	v_mul_lo_u32 v1, s12, v1
	v_mul_lo_u32 v6, s13, v3
	v_mad_u64_u32 v[4:5], s[0:1], s12, v3, 0
	v_cmp_gt_i32_e32 vcc, s6, v3
	v_add3_u32 v5, v5, v1, v6
	v_lshlrev_b64 v[4:5], 4, v[4:5]
	v_mov_b32_e32 v1, s5
	v_add_co_u32_e64 v4, s[0:1], s4, v4
	v_addc_co_u32_e64 v5, s[0:1], v1, v5, s[0:1]
	v_cmp_le_i32_e64 s[0:1], v0, v3
	s_and_b64 s[0:1], vcc, s[0:1]
	s_and_saveexec_b64 s[2:3], s[0:1]
	s_cbranch_execz .LBB1166_10
; %bb.9:
	v_ashrrev_i32_e32 v1, 31, v0
	v_lshlrev_b64 v[0:1], 4, v[0:1]
	v_add_co_u32_e64 v0, s[0:1], v4, v0
	v_addc_co_u32_e64 v1, s[0:1], v5, v1, s[0:1]
	global_load_dwordx4 v[6:9], v[0:1], off
	s_waitcnt vmcnt(0)
	v_add_f64 v[6:7], v[20:21], -v[6:7]
	v_add_f64 v[8:9], v[18:19], -v[8:9]
	global_store_dwordx4 v[0:1], v[6:9], off
.LBB1166_10:
	s_or_b64 exec, exec, s[2:3]
	v_cmp_le_i32_e64 s[0:1], v2, v3
	s_and_b64 s[0:1], vcc, s[0:1]
	s_and_saveexec_b64 s[2:3], s[0:1]
	s_cbranch_execz .LBB1166_12
; %bb.11:
	v_ashrrev_i32_e32 v3, 31, v2
	v_lshlrev_b64 v[0:1], 4, v[2:3]
	v_add_co_u32_e32 v4, vcc, v4, v0
	v_addc_co_u32_e32 v5, vcc, v5, v1, vcc
	global_load_dwordx4 v[0:3], v[4:5], off
	s_waitcnt vmcnt(0)
	v_add_f64 v[0:1], v[12:13], -v[0:1]
	v_add_f64 v[2:3], v[10:11], -v[2:3]
	global_store_dwordx4 v[4:5], v[0:3], off
.LBB1166_12:
	s_endpgm
	.section	.rodata,"a",@progbits
	.p2align	6, 0x0
	.amdhsa_kernel _ZL37rocblas_syrkx_herkx_restricted_kernelIl19rocblas_complex_numIdELi16ELi32ELi8ELi1ELin1ELb0ELc84ELc85EKS1_S1_EviT_PT9_S3_lS5_S3_lPT10_S3_li
		.amdhsa_group_segment_fixed_size 8192
		.amdhsa_private_segment_fixed_size 0
		.amdhsa_kernarg_size 92
		.amdhsa_user_sgpr_count 6
		.amdhsa_user_sgpr_private_segment_buffer 1
		.amdhsa_user_sgpr_dispatch_ptr 0
		.amdhsa_user_sgpr_queue_ptr 0
		.amdhsa_user_sgpr_kernarg_segment_ptr 1
		.amdhsa_user_sgpr_dispatch_id 0
		.amdhsa_user_sgpr_flat_scratch_init 0
		.amdhsa_user_sgpr_private_segment_size 0
		.amdhsa_uses_dynamic_stack 0
		.amdhsa_system_sgpr_private_segment_wavefront_offset 0
		.amdhsa_system_sgpr_workgroup_id_x 1
		.amdhsa_system_sgpr_workgroup_id_y 1
		.amdhsa_system_sgpr_workgroup_id_z 1
		.amdhsa_system_sgpr_workgroup_info 0
		.amdhsa_system_vgpr_workitem_id 1
		.amdhsa_next_free_vgpr 52
		.amdhsa_next_free_sgpr 61
		.amdhsa_reserve_vcc 1
		.amdhsa_reserve_flat_scratch 0
		.amdhsa_float_round_mode_32 0
		.amdhsa_float_round_mode_16_64 0
		.amdhsa_float_denorm_mode_32 3
		.amdhsa_float_denorm_mode_16_64 3
		.amdhsa_dx10_clamp 1
		.amdhsa_ieee_mode 1
		.amdhsa_fp16_overflow 0
		.amdhsa_exception_fp_ieee_invalid_op 0
		.amdhsa_exception_fp_denorm_src 0
		.amdhsa_exception_fp_ieee_div_zero 0
		.amdhsa_exception_fp_ieee_overflow 0
		.amdhsa_exception_fp_ieee_underflow 0
		.amdhsa_exception_fp_ieee_inexact 0
		.amdhsa_exception_int_div_zero 0
	.end_amdhsa_kernel
	.section	.text._ZL37rocblas_syrkx_herkx_restricted_kernelIl19rocblas_complex_numIdELi16ELi32ELi8ELi1ELin1ELb0ELc84ELc85EKS1_S1_EviT_PT9_S3_lS5_S3_lPT10_S3_li,"axG",@progbits,_ZL37rocblas_syrkx_herkx_restricted_kernelIl19rocblas_complex_numIdELi16ELi32ELi8ELi1ELin1ELb0ELc84ELc85EKS1_S1_EviT_PT9_S3_lS5_S3_lPT10_S3_li,comdat
.Lfunc_end1166:
	.size	_ZL37rocblas_syrkx_herkx_restricted_kernelIl19rocblas_complex_numIdELi16ELi32ELi8ELi1ELin1ELb0ELc84ELc85EKS1_S1_EviT_PT9_S3_lS5_S3_lPT10_S3_li, .Lfunc_end1166-_ZL37rocblas_syrkx_herkx_restricted_kernelIl19rocblas_complex_numIdELi16ELi32ELi8ELi1ELin1ELb0ELc84ELc85EKS1_S1_EviT_PT9_S3_lS5_S3_lPT10_S3_li
                                        ; -- End function
	.set _ZL37rocblas_syrkx_herkx_restricted_kernelIl19rocblas_complex_numIdELi16ELi32ELi8ELi1ELin1ELb0ELc84ELc85EKS1_S1_EviT_PT9_S3_lS5_S3_lPT10_S3_li.num_vgpr, 52
	.set _ZL37rocblas_syrkx_herkx_restricted_kernelIl19rocblas_complex_numIdELi16ELi32ELi8ELi1ELin1ELb0ELc84ELc85EKS1_S1_EviT_PT9_S3_lS5_S3_lPT10_S3_li.num_agpr, 0
	.set _ZL37rocblas_syrkx_herkx_restricted_kernelIl19rocblas_complex_numIdELi16ELi32ELi8ELi1ELin1ELb0ELc84ELc85EKS1_S1_EviT_PT9_S3_lS5_S3_lPT10_S3_li.numbered_sgpr, 28
	.set _ZL37rocblas_syrkx_herkx_restricted_kernelIl19rocblas_complex_numIdELi16ELi32ELi8ELi1ELin1ELb0ELc84ELc85EKS1_S1_EviT_PT9_S3_lS5_S3_lPT10_S3_li.num_named_barrier, 0
	.set _ZL37rocblas_syrkx_herkx_restricted_kernelIl19rocblas_complex_numIdELi16ELi32ELi8ELi1ELin1ELb0ELc84ELc85EKS1_S1_EviT_PT9_S3_lS5_S3_lPT10_S3_li.private_seg_size, 0
	.set _ZL37rocblas_syrkx_herkx_restricted_kernelIl19rocblas_complex_numIdELi16ELi32ELi8ELi1ELin1ELb0ELc84ELc85EKS1_S1_EviT_PT9_S3_lS5_S3_lPT10_S3_li.uses_vcc, 1
	.set _ZL37rocblas_syrkx_herkx_restricted_kernelIl19rocblas_complex_numIdELi16ELi32ELi8ELi1ELin1ELb0ELc84ELc85EKS1_S1_EviT_PT9_S3_lS5_S3_lPT10_S3_li.uses_flat_scratch, 0
	.set _ZL37rocblas_syrkx_herkx_restricted_kernelIl19rocblas_complex_numIdELi16ELi32ELi8ELi1ELin1ELb0ELc84ELc85EKS1_S1_EviT_PT9_S3_lS5_S3_lPT10_S3_li.has_dyn_sized_stack, 0
	.set _ZL37rocblas_syrkx_herkx_restricted_kernelIl19rocblas_complex_numIdELi16ELi32ELi8ELi1ELin1ELb0ELc84ELc85EKS1_S1_EviT_PT9_S3_lS5_S3_lPT10_S3_li.has_recursion, 0
	.set _ZL37rocblas_syrkx_herkx_restricted_kernelIl19rocblas_complex_numIdELi16ELi32ELi8ELi1ELin1ELb0ELc84ELc85EKS1_S1_EviT_PT9_S3_lS5_S3_lPT10_S3_li.has_indirect_call, 0
	.section	.AMDGPU.csdata,"",@progbits
; Kernel info:
; codeLenInByte = 2972
; TotalNumSgprs: 32
; NumVgprs: 52
; ScratchSize: 0
; MemoryBound: 0
; FloatMode: 240
; IeeeMode: 1
; LDSByteSize: 8192 bytes/workgroup (compile time only)
; SGPRBlocks: 8
; VGPRBlocks: 12
; NumSGPRsForWavesPerEU: 65
; NumVGPRsForWavesPerEU: 52
; Occupancy: 4
; WaveLimiterHint : 1
; COMPUTE_PGM_RSRC2:SCRATCH_EN: 0
; COMPUTE_PGM_RSRC2:USER_SGPR: 6
; COMPUTE_PGM_RSRC2:TRAP_HANDLER: 0
; COMPUTE_PGM_RSRC2:TGID_X_EN: 1
; COMPUTE_PGM_RSRC2:TGID_Y_EN: 1
; COMPUTE_PGM_RSRC2:TGID_Z_EN: 1
; COMPUTE_PGM_RSRC2:TIDIG_COMP_CNT: 1
	.section	.text._ZL37rocblas_syrkx_herkx_restricted_kernelIl19rocblas_complex_numIdELi16ELi32ELi8ELi1ELin1ELb0ELc67ELc85EKS1_S1_EviT_PT9_S3_lS5_S3_lPT10_S3_li,"axG",@progbits,_ZL37rocblas_syrkx_herkx_restricted_kernelIl19rocblas_complex_numIdELi16ELi32ELi8ELi1ELin1ELb0ELc67ELc85EKS1_S1_EviT_PT9_S3_lS5_S3_lPT10_S3_li,comdat
	.globl	_ZL37rocblas_syrkx_herkx_restricted_kernelIl19rocblas_complex_numIdELi16ELi32ELi8ELi1ELin1ELb0ELc67ELc85EKS1_S1_EviT_PT9_S3_lS5_S3_lPT10_S3_li ; -- Begin function _ZL37rocblas_syrkx_herkx_restricted_kernelIl19rocblas_complex_numIdELi16ELi32ELi8ELi1ELin1ELb0ELc67ELc85EKS1_S1_EviT_PT9_S3_lS5_S3_lPT10_S3_li
	.p2align	8
	.type	_ZL37rocblas_syrkx_herkx_restricted_kernelIl19rocblas_complex_numIdELi16ELi32ELi8ELi1ELin1ELb0ELc67ELc85EKS1_S1_EviT_PT9_S3_lS5_S3_lPT10_S3_li,@function
_ZL37rocblas_syrkx_herkx_restricted_kernelIl19rocblas_complex_numIdELi16ELi32ELi8ELi1ELin1ELb0ELc67ELc85EKS1_S1_EviT_PT9_S3_lS5_S3_lPT10_S3_li: ; @_ZL37rocblas_syrkx_herkx_restricted_kernelIl19rocblas_complex_numIdELi16ELi32ELi8ELi1ELin1ELb0ELc67ELc85EKS1_S1_EviT_PT9_S3_lS5_S3_lPT10_S3_li
; %bb.0:
	s_load_dwordx16 s[12:27], s[4:5], 0x8
	s_lshl_b32 s2, s6, 5
	s_lshl_b32 s3, s7, 5
	s_waitcnt lgkmcnt(0)
	v_cmp_lt_i64_e64 s[0:1], s[12:13], 1
	s_and_b64 vcc, exec, s[0:1]
	s_cbranch_vccnz .LBB1167_3
; %bb.1:
	v_lshl_add_u32 v6, v1, 4, v0
	v_lshrrev_b32_e32 v8, 3, v6
	v_add_u32_e32 v4, s3, v8
	v_ashrrev_i32_e32 v5, 31, v4
	v_and_b32_e32 v2, 7, v0
	v_mov_b32_e32 v3, 0
	v_mul_lo_u32 v7, s22, v5
	v_mul_lo_u32 v9, s23, v4
	v_mad_u64_u32 v[4:5], s[0:1], s22, v4, v[2:3]
	v_lshlrev_b32_e32 v2, 4, v2
	v_lshl_or_b32 v2, v8, 7, v2
	v_add3_u32 v5, v9, v5, v7
	v_and_b32_e32 v9, 31, v6
	v_add_u32_e32 v23, 0x1000, v2
	v_mov_b32_e32 v2, 0x1000
	v_add_u32_e32 v8, s2, v9
	v_lshrrev_b32_e32 v6, 5, v6
	v_mov_b32_e32 v7, v3
	v_lshlrev_b32_e32 v3, 4, v9
	v_lshl_add_u32 v25, v1, 7, v2
	v_ashrrev_i32_e32 v2, 31, v8
	v_lshl_or_b32 v22, v6, 9, v3
	v_mul_lo_u32 v9, s16, v2
	v_mad_u64_u32 v[2:3], s[0:1], s16, v8, v[6:7]
	v_mul_lo_u32 v6, s17, v8
	s_mul_i32 s6, s19, s8
	s_mul_hi_u32 s7, s18, s8
	s_add_i32 s1, s7, s6
	s_mul_i32 s0, s18, s8
	s_lshl_b64 s[0:1], s[0:1], 4
	v_add3_u32 v3, v6, v3, v9
	v_lshlrev_b64 v[2:3], 4, v[2:3]
	s_add_u32 s0, s14, s0
	s_addc_u32 s1, s15, s1
	v_mov_b32_e32 v6, s1
	v_add_co_u32_e32 v2, vcc, s0, v2
	s_mul_i32 s0, s25, s8
	s_mul_hi_u32 s1, s24, s8
	s_add_i32 s1, s1, s0
	s_mul_i32 s0, s24, s8
	v_addc_co_u32_e32 v3, vcc, v6, v3, vcc
	s_lshl_b64 s[0:1], s[0:1], 4
	v_add_co_u32_e32 v2, vcc, 8, v2
	v_lshlrev_b64 v[4:5], 4, v[4:5]
	s_add_u32 s0, s20, s0
	v_addc_co_u32_e32 v3, vcc, 0, v3, vcc
	s_addc_u32 s1, s21, s1
	v_mov_b32_e32 v6, s1
	v_add_co_u32_e32 v4, vcc, s0, v4
	v_addc_co_u32_e32 v5, vcc, v6, v5, vcc
	v_add_co_u32_e32 v4, vcc, 8, v4
	v_mov_b32_e32 v10, 0
	v_mov_b32_e32 v12, 0
	;; [unrolled: 1-line block ×8, first 2 shown]
	v_lshlrev_b32_e32 v24, 4, v0
	v_addc_co_u32_e32 v5, vcc, 0, v5, vcc
	v_mov_b32_e32 v11, 0
	v_mov_b32_e32 v13, 0
	;; [unrolled: 1-line block ×8, first 2 shown]
	s_mov_b64 s[0:1], 0
.LBB1167_2:                             ; =>This Inner Loop Header: Depth=1
	global_load_dwordx4 v[26:29], v[2:3], off offset:-8
	s_add_u32 s0, s0, 8
	v_add_co_u32_e32 v2, vcc, 0x80, v2
	s_addc_u32 s1, s1, 0
	v_addc_co_u32_e32 v3, vcc, 0, v3, vcc
	s_waitcnt vmcnt(0)
	ds_write_b128 v22, v[26:29]
	global_load_dwordx4 v[26:29], v[4:5], off offset:-8
	v_add_co_u32_e32 v4, vcc, 0x80, v4
	v_addc_co_u32_e32 v5, vcc, 0, v5, vcc
	s_waitcnt vmcnt(0)
	ds_write_b128 v23, v[26:29]
	s_waitcnt lgkmcnt(0)
	s_barrier
	ds_read_b128 v[26:29], v25
	ds_read_b128 v[30:33], v25 offset:16
	ds_read_b128 v[34:37], v25 offset:32
	;; [unrolled: 1-line block ×3, first 2 shown]
	ds_read_b128 v[42:45], v24
	s_waitcnt lgkmcnt(0)
	v_mul_f64 v[46:47], v[28:29], v[44:45]
	v_mul_f64 v[48:49], v[26:27], v[44:45]
	v_fma_f64 v[46:47], v[26:27], v[42:43], -v[46:47]
	v_fma_f64 v[48:49], v[28:29], v[42:43], v[48:49]
	v_add_f64 v[46:47], v[14:15], v[46:47]
	v_add_f64 v[48:49], v[48:49], v[16:17]
	ds_read_b128 v[14:17], v24 offset:256
	s_waitcnt lgkmcnt(0)
	v_mul_f64 v[50:51], v[28:29], v[16:17]
	v_fma_f64 v[50:51], v[26:27], v[14:15], -v[50:51]
	v_mul_f64 v[26:27], v[26:27], v[16:17]
	v_fma_f64 v[26:27], v[28:29], v[14:15], v[26:27]
	v_add_f64 v[28:29], v[8:9], v[50:51]
	v_add_f64 v[26:27], v[26:27], v[6:7]
	ds_read_b128 v[6:9], v25 offset:2048
	s_waitcnt lgkmcnt(0)
	v_mul_f64 v[50:51], v[8:9], v[44:45]
	v_mul_f64 v[44:45], v[6:7], v[44:45]
	v_fma_f64 v[50:51], v[6:7], v[42:43], -v[50:51]
	v_fma_f64 v[42:43], v[8:9], v[42:43], v[44:45]
	v_add_f64 v[20:21], v[20:21], v[50:51]
	v_add_f64 v[18:19], v[42:43], v[18:19]
	v_mul_f64 v[42:43], v[8:9], v[16:17]
	v_fma_f64 v[42:43], v[6:7], v[14:15], -v[42:43]
	v_mul_f64 v[6:7], v[6:7], v[16:17]
	v_add_f64 v[42:43], v[12:13], v[42:43]
	v_fma_f64 v[6:7], v[8:9], v[14:15], v[6:7]
	v_add_f64 v[44:45], v[6:7], v[10:11]
	ds_read_b128 v[6:9], v24 offset:512
	s_waitcnt lgkmcnt(0)
	v_mul_f64 v[10:11], v[32:33], v[8:9]
	v_mul_f64 v[12:13], v[30:31], v[8:9]
	v_fma_f64 v[10:11], v[30:31], v[6:7], -v[10:11]
	v_fma_f64 v[12:13], v[32:33], v[6:7], v[12:13]
	v_add_f64 v[46:47], v[46:47], v[10:11]
	v_add_f64 v[48:49], v[12:13], v[48:49]
	ds_read_b128 v[10:13], v24 offset:768
	s_waitcnt lgkmcnt(0)
	v_mul_f64 v[14:15], v[32:33], v[12:13]
	v_mul_f64 v[16:17], v[30:31], v[12:13]
	v_fma_f64 v[14:15], v[30:31], v[10:11], -v[14:15]
	v_fma_f64 v[16:17], v[32:33], v[10:11], v[16:17]
	v_add_f64 v[28:29], v[28:29], v[14:15]
	v_add_f64 v[26:27], v[16:17], v[26:27]
	ds_read_b128 v[14:17], v25 offset:2064
	s_waitcnt lgkmcnt(0)
	v_mul_f64 v[30:31], v[16:17], v[8:9]
	v_mul_f64 v[8:9], v[14:15], v[8:9]
	v_fma_f64 v[30:31], v[14:15], v[6:7], -v[30:31]
	v_fma_f64 v[6:7], v[16:17], v[6:7], v[8:9]
	v_mul_f64 v[8:9], v[14:15], v[12:13]
	v_add_f64 v[20:21], v[20:21], v[30:31]
	v_add_f64 v[18:19], v[6:7], v[18:19]
	v_mul_f64 v[6:7], v[16:17], v[12:13]
	v_fma_f64 v[8:9], v[16:17], v[10:11], v[8:9]
	v_fma_f64 v[6:7], v[14:15], v[10:11], -v[6:7]
	v_add_f64 v[32:33], v[8:9], v[44:45]
	v_add_f64 v[30:31], v[42:43], v[6:7]
	ds_read_b128 v[6:9], v24 offset:1024
	s_waitcnt lgkmcnt(0)
	v_mul_f64 v[10:11], v[36:37], v[8:9]
	v_mul_f64 v[12:13], v[34:35], v[8:9]
	v_fma_f64 v[10:11], v[34:35], v[6:7], -v[10:11]
	v_fma_f64 v[12:13], v[36:37], v[6:7], v[12:13]
	v_add_f64 v[42:43], v[46:47], v[10:11]
	v_add_f64 v[44:45], v[12:13], v[48:49]
	ds_read_b128 v[10:13], v24 offset:1280
	s_waitcnt lgkmcnt(0)
	v_mul_f64 v[14:15], v[36:37], v[12:13]
	v_mul_f64 v[16:17], v[34:35], v[12:13]
	v_fma_f64 v[14:15], v[34:35], v[10:11], -v[14:15]
	v_fma_f64 v[16:17], v[36:37], v[10:11], v[16:17]
	v_add_f64 v[28:29], v[28:29], v[14:15]
	v_add_f64 v[26:27], v[16:17], v[26:27]
	ds_read_b128 v[14:17], v25 offset:2080
	s_waitcnt lgkmcnt(0)
	v_mul_f64 v[34:35], v[16:17], v[8:9]
	v_mul_f64 v[8:9], v[14:15], v[8:9]
	v_fma_f64 v[34:35], v[14:15], v[6:7], -v[34:35]
	v_fma_f64 v[6:7], v[16:17], v[6:7], v[8:9]
	v_mul_f64 v[8:9], v[14:15], v[12:13]
	v_add_f64 v[20:21], v[20:21], v[34:35]
	v_add_f64 v[18:19], v[6:7], v[18:19]
	v_mul_f64 v[6:7], v[16:17], v[12:13]
	v_fma_f64 v[8:9], v[16:17], v[10:11], v[8:9]
	v_fma_f64 v[6:7], v[14:15], v[10:11], -v[6:7]
	v_add_f64 v[32:33], v[8:9], v[32:33]
	;; [unrolled: 30-line block ×3, first 2 shown]
	v_add_f64 v[30:31], v[30:31], v[6:7]
	ds_read_b128 v[6:9], v25 offset:64
	ds_read_b128 v[10:13], v24 offset:2048
	s_waitcnt lgkmcnt(0)
	v_mul_f64 v[14:15], v[8:9], v[12:13]
	v_mul_f64 v[16:17], v[6:7], v[12:13]
	v_fma_f64 v[14:15], v[6:7], v[10:11], -v[14:15]
	v_fma_f64 v[16:17], v[8:9], v[10:11], v[16:17]
	v_add_f64 v[34:35], v[34:35], v[14:15]
	v_add_f64 v[36:37], v[16:17], v[36:37]
	ds_read_b128 v[14:17], v24 offset:2304
	s_waitcnt lgkmcnt(0)
	v_mul_f64 v[38:39], v[8:9], v[16:17]
	v_fma_f64 v[38:39], v[6:7], v[14:15], -v[38:39]
	v_mul_f64 v[6:7], v[6:7], v[16:17]
	v_add_f64 v[28:29], v[28:29], v[38:39]
	v_fma_f64 v[6:7], v[8:9], v[14:15], v[6:7]
	v_add_f64 v[26:27], v[6:7], v[26:27]
	ds_read_b128 v[6:9], v25 offset:2112
	s_waitcnt lgkmcnt(0)
	v_mul_f64 v[38:39], v[8:9], v[12:13]
	v_mul_f64 v[12:13], v[6:7], v[12:13]
	v_fma_f64 v[38:39], v[6:7], v[10:11], -v[38:39]
	v_fma_f64 v[10:11], v[8:9], v[10:11], v[12:13]
	v_add_f64 v[20:21], v[20:21], v[38:39]
	v_add_f64 v[18:19], v[10:11], v[18:19]
	v_mul_f64 v[10:11], v[8:9], v[16:17]
	v_fma_f64 v[10:11], v[6:7], v[14:15], -v[10:11]
	v_mul_f64 v[6:7], v[6:7], v[16:17]
	v_add_f64 v[30:31], v[30:31], v[10:11]
	v_fma_f64 v[6:7], v[8:9], v[14:15], v[6:7]
	v_add_f64 v[32:33], v[6:7], v[32:33]
	ds_read_b128 v[6:9], v25 offset:80
	ds_read_b128 v[10:13], v24 offset:2560
	s_waitcnt lgkmcnt(0)
	v_mul_f64 v[14:15], v[8:9], v[12:13]
	v_mul_f64 v[16:17], v[6:7], v[12:13]
	v_fma_f64 v[14:15], v[6:7], v[10:11], -v[14:15]
	v_fma_f64 v[16:17], v[8:9], v[10:11], v[16:17]
	v_add_f64 v[34:35], v[34:35], v[14:15]
	v_add_f64 v[36:37], v[16:17], v[36:37]
	ds_read_b128 v[14:17], v24 offset:2816
	s_waitcnt lgkmcnt(0)
	v_mul_f64 v[38:39], v[8:9], v[16:17]
	v_fma_f64 v[38:39], v[6:7], v[14:15], -v[38:39]
	v_mul_f64 v[6:7], v[6:7], v[16:17]
	v_add_f64 v[28:29], v[28:29], v[38:39]
	v_fma_f64 v[6:7], v[8:9], v[14:15], v[6:7]
	v_add_f64 v[26:27], v[6:7], v[26:27]
	ds_read_b128 v[6:9], v25 offset:2128
	s_waitcnt lgkmcnt(0)
	v_mul_f64 v[38:39], v[8:9], v[12:13]
	v_mul_f64 v[12:13], v[6:7], v[12:13]
	v_fma_f64 v[38:39], v[6:7], v[10:11], -v[38:39]
	v_fma_f64 v[10:11], v[8:9], v[10:11], v[12:13]
	v_add_f64 v[20:21], v[20:21], v[38:39]
	v_add_f64 v[18:19], v[10:11], v[18:19]
	v_mul_f64 v[10:11], v[8:9], v[16:17]
	v_fma_f64 v[10:11], v[6:7], v[14:15], -v[10:11]
	v_mul_f64 v[6:7], v[6:7], v[16:17]
	v_add_f64 v[30:31], v[30:31], v[10:11]
	v_fma_f64 v[6:7], v[8:9], v[14:15], v[6:7]
	;; [unrolled: 31-line block ×3, first 2 shown]
	v_add_f64 v[44:45], v[6:7], v[32:33]
	ds_read_b128 v[6:9], v25 offset:112
	ds_read_b128 v[10:13], v24 offset:3584
	;; [unrolled: 1-line block ×3, first 2 shown]
	s_waitcnt lgkmcnt(1)
	v_mul_f64 v[14:15], v[8:9], v[12:13]
	s_waitcnt lgkmcnt(0)
	v_mul_f64 v[30:31], v[8:9], v[28:29]
	v_mul_f64 v[16:17], v[6:7], v[12:13]
	v_fma_f64 v[14:15], v[6:7], v[10:11], -v[14:15]
	v_fma_f64 v[30:31], v[6:7], v[26:27], -v[30:31]
	v_mul_f64 v[6:7], v[6:7], v[28:29]
	v_fma_f64 v[16:17], v[8:9], v[10:11], v[16:17]
	v_add_f64 v[14:15], v[34:35], v[14:15]
	v_fma_f64 v[6:7], v[8:9], v[26:27], v[6:7]
	v_add_f64 v[8:9], v[38:39], v[30:31]
	ds_read_b128 v[30:33], v25 offset:2160
	v_add_f64 v[16:17], v[16:17], v[36:37]
	s_waitcnt lgkmcnt(0)
	s_barrier
	v_mul_f64 v[34:35], v[32:33], v[12:13]
	v_mul_f64 v[12:13], v[30:31], v[12:13]
	v_add_f64 v[6:7], v[6:7], v[40:41]
	v_fma_f64 v[34:35], v[30:31], v[10:11], -v[34:35]
	v_fma_f64 v[10:11], v[32:33], v[10:11], v[12:13]
	v_mul_f64 v[12:13], v[30:31], v[28:29]
	v_add_f64 v[20:21], v[20:21], v[34:35]
	v_add_f64 v[18:19], v[10:11], v[18:19]
	v_mul_f64 v[10:11], v[32:33], v[28:29]
	v_fma_f64 v[10:11], v[30:31], v[26:27], -v[10:11]
	v_fma_f64 v[26:27], v[32:33], v[26:27], v[12:13]
	v_add_f64 v[12:13], v[42:43], v[10:11]
	v_add_f64 v[10:11], v[26:27], v[44:45]
	v_mov_b32_e32 v27, s1
	v_mov_b32_e32 v26, s0
	v_cmp_le_u64_e32 vcc, s[12:13], v[26:27]
	s_cbranch_vccz .LBB1167_2
	s_branch .LBB1167_4
.LBB1167_3:
	v_mov_b32_e32 v14, 0
	v_mov_b32_e32 v16, 0
	;; [unrolled: 1-line block ×16, first 2 shown]
.LBB1167_4:
	s_load_dwordx4 s[12:15], s[4:5], 0x48
	s_load_dword s6, s[4:5], 0x0
	v_add_u32_e32 v4, s3, v1
	v_ashrrev_i32_e32 v1, 31, v4
	v_add_u32_e32 v0, s2, v0
	s_waitcnt lgkmcnt(0)
	s_mul_i32 s1, s15, s8
	s_mul_hi_u32 s3, s14, s8
	s_mul_i32 s0, s14, s8
	v_mul_lo_u32 v3, s12, v1
	v_mul_lo_u32 v5, s13, v4
	v_mad_u64_u32 v[1:2], s[8:9], s12, v4, 0
	s_add_i32 s1, s3, s1
	s_lshl_b64 s[0:1], s[0:1], 4
	v_add3_u32 v2, v2, v3, v5
	s_add_u32 s4, s26, s0
	v_lshlrev_b64 v[1:2], 4, v[1:2]
	s_addc_u32 s5, s27, s1
	v_mov_b32_e32 v3, s5
	v_add_co_u32_e64 v5, s[0:1], s4, v1
	v_addc_co_u32_e64 v22, s[0:1], v3, v2, s[0:1]
	v_cmp_gt_i32_e32 vcc, s6, v4
	v_cmp_le_i32_e64 s[0:1], v0, v4
	s_and_b64 s[0:1], vcc, s[0:1]
	s_and_saveexec_b64 s[2:3], s[0:1]
	s_cbranch_execz .LBB1167_6
; %bb.5:
	v_ashrrev_i32_e32 v1, 31, v0
	v_lshlrev_b64 v[1:2], 4, v[0:1]
	v_add_co_u32_e64 v1, s[0:1], v5, v1
	v_addc_co_u32_e64 v2, s[0:1], v22, v2, s[0:1]
	global_load_dwordx4 v[23:26], v[1:2], off
	s_waitcnt vmcnt(0)
	v_add_f64 v[14:15], v[14:15], -v[23:24]
	v_add_f64 v[16:17], v[16:17], -v[25:26]
	global_store_dwordx4 v[1:2], v[14:17], off
.LBB1167_6:
	s_or_b64 exec, exec, s[2:3]
	v_add_u32_e32 v2, 16, v0
	v_cmp_le_i32_e64 s[0:1], v2, v4
	s_and_b64 s[2:3], vcc, s[0:1]
	s_and_saveexec_b64 s[0:1], s[2:3]
	s_cbranch_execz .LBB1167_8
; %bb.7:
	v_ashrrev_i32_e32 v3, 31, v2
	v_lshlrev_b64 v[14:15], 4, v[2:3]
	v_add_co_u32_e32 v23, vcc, v5, v14
	v_addc_co_u32_e32 v24, vcc, v22, v15, vcc
	global_load_dwordx4 v[14:17], v[23:24], off
	s_waitcnt vmcnt(0)
	v_add_f64 v[14:15], v[8:9], -v[14:15]
	v_add_f64 v[16:17], v[6:7], -v[16:17]
	global_store_dwordx4 v[23:24], v[14:17], off
.LBB1167_8:
	s_or_b64 exec, exec, s[0:1]
	v_add_u32_e32 v3, 16, v4
	v_ashrrev_i32_e32 v1, 31, v3
	v_mul_lo_u32 v1, s12, v1
	v_mul_lo_u32 v6, s13, v3
	v_mad_u64_u32 v[4:5], s[0:1], s12, v3, 0
	v_cmp_gt_i32_e32 vcc, s6, v3
	v_add3_u32 v5, v5, v1, v6
	v_lshlrev_b64 v[4:5], 4, v[4:5]
	v_mov_b32_e32 v1, s5
	v_add_co_u32_e64 v4, s[0:1], s4, v4
	v_addc_co_u32_e64 v5, s[0:1], v1, v5, s[0:1]
	v_cmp_le_i32_e64 s[0:1], v0, v3
	s_and_b64 s[0:1], vcc, s[0:1]
	s_and_saveexec_b64 s[2:3], s[0:1]
	s_cbranch_execz .LBB1167_10
; %bb.9:
	v_ashrrev_i32_e32 v1, 31, v0
	v_lshlrev_b64 v[0:1], 4, v[0:1]
	v_add_co_u32_e64 v0, s[0:1], v4, v0
	v_addc_co_u32_e64 v1, s[0:1], v5, v1, s[0:1]
	global_load_dwordx4 v[6:9], v[0:1], off
	s_waitcnt vmcnt(0)
	v_add_f64 v[6:7], v[20:21], -v[6:7]
	v_add_f64 v[8:9], v[18:19], -v[8:9]
	global_store_dwordx4 v[0:1], v[6:9], off
.LBB1167_10:
	s_or_b64 exec, exec, s[2:3]
	v_cmp_le_i32_e64 s[0:1], v2, v3
	s_and_b64 s[0:1], vcc, s[0:1]
	s_and_saveexec_b64 s[2:3], s[0:1]
	s_cbranch_execz .LBB1167_12
; %bb.11:
	v_ashrrev_i32_e32 v3, 31, v2
	v_lshlrev_b64 v[0:1], 4, v[2:3]
	v_add_co_u32_e32 v4, vcc, v4, v0
	v_addc_co_u32_e32 v5, vcc, v5, v1, vcc
	global_load_dwordx4 v[0:3], v[4:5], off
	s_waitcnt vmcnt(0)
	v_add_f64 v[0:1], v[12:13], -v[0:1]
	v_add_f64 v[2:3], v[10:11], -v[2:3]
	global_store_dwordx4 v[4:5], v[0:3], off
.LBB1167_12:
	s_endpgm
	.section	.rodata,"a",@progbits
	.p2align	6, 0x0
	.amdhsa_kernel _ZL37rocblas_syrkx_herkx_restricted_kernelIl19rocblas_complex_numIdELi16ELi32ELi8ELi1ELin1ELb0ELc67ELc85EKS1_S1_EviT_PT9_S3_lS5_S3_lPT10_S3_li
		.amdhsa_group_segment_fixed_size 8192
		.amdhsa_private_segment_fixed_size 0
		.amdhsa_kernarg_size 92
		.amdhsa_user_sgpr_count 6
		.amdhsa_user_sgpr_private_segment_buffer 1
		.amdhsa_user_sgpr_dispatch_ptr 0
		.amdhsa_user_sgpr_queue_ptr 0
		.amdhsa_user_sgpr_kernarg_segment_ptr 1
		.amdhsa_user_sgpr_dispatch_id 0
		.amdhsa_user_sgpr_flat_scratch_init 0
		.amdhsa_user_sgpr_private_segment_size 0
		.amdhsa_uses_dynamic_stack 0
		.amdhsa_system_sgpr_private_segment_wavefront_offset 0
		.amdhsa_system_sgpr_workgroup_id_x 1
		.amdhsa_system_sgpr_workgroup_id_y 1
		.amdhsa_system_sgpr_workgroup_id_z 1
		.amdhsa_system_sgpr_workgroup_info 0
		.amdhsa_system_vgpr_workitem_id 1
		.amdhsa_next_free_vgpr 52
		.amdhsa_next_free_sgpr 61
		.amdhsa_reserve_vcc 1
		.amdhsa_reserve_flat_scratch 0
		.amdhsa_float_round_mode_32 0
		.amdhsa_float_round_mode_16_64 0
		.amdhsa_float_denorm_mode_32 3
		.amdhsa_float_denorm_mode_16_64 3
		.amdhsa_dx10_clamp 1
		.amdhsa_ieee_mode 1
		.amdhsa_fp16_overflow 0
		.amdhsa_exception_fp_ieee_invalid_op 0
		.amdhsa_exception_fp_denorm_src 0
		.amdhsa_exception_fp_ieee_div_zero 0
		.amdhsa_exception_fp_ieee_overflow 0
		.amdhsa_exception_fp_ieee_underflow 0
		.amdhsa_exception_fp_ieee_inexact 0
		.amdhsa_exception_int_div_zero 0
	.end_amdhsa_kernel
	.section	.text._ZL37rocblas_syrkx_herkx_restricted_kernelIl19rocblas_complex_numIdELi16ELi32ELi8ELi1ELin1ELb0ELc67ELc85EKS1_S1_EviT_PT9_S3_lS5_S3_lPT10_S3_li,"axG",@progbits,_ZL37rocblas_syrkx_herkx_restricted_kernelIl19rocblas_complex_numIdELi16ELi32ELi8ELi1ELin1ELb0ELc67ELc85EKS1_S1_EviT_PT9_S3_lS5_S3_lPT10_S3_li,comdat
.Lfunc_end1167:
	.size	_ZL37rocblas_syrkx_herkx_restricted_kernelIl19rocblas_complex_numIdELi16ELi32ELi8ELi1ELin1ELb0ELc67ELc85EKS1_S1_EviT_PT9_S3_lS5_S3_lPT10_S3_li, .Lfunc_end1167-_ZL37rocblas_syrkx_herkx_restricted_kernelIl19rocblas_complex_numIdELi16ELi32ELi8ELi1ELin1ELb0ELc67ELc85EKS1_S1_EviT_PT9_S3_lS5_S3_lPT10_S3_li
                                        ; -- End function
	.set _ZL37rocblas_syrkx_herkx_restricted_kernelIl19rocblas_complex_numIdELi16ELi32ELi8ELi1ELin1ELb0ELc67ELc85EKS1_S1_EviT_PT9_S3_lS5_S3_lPT10_S3_li.num_vgpr, 52
	.set _ZL37rocblas_syrkx_herkx_restricted_kernelIl19rocblas_complex_numIdELi16ELi32ELi8ELi1ELin1ELb0ELc67ELc85EKS1_S1_EviT_PT9_S3_lS5_S3_lPT10_S3_li.num_agpr, 0
	.set _ZL37rocblas_syrkx_herkx_restricted_kernelIl19rocblas_complex_numIdELi16ELi32ELi8ELi1ELin1ELb0ELc67ELc85EKS1_S1_EviT_PT9_S3_lS5_S3_lPT10_S3_li.numbered_sgpr, 28
	.set _ZL37rocblas_syrkx_herkx_restricted_kernelIl19rocblas_complex_numIdELi16ELi32ELi8ELi1ELin1ELb0ELc67ELc85EKS1_S1_EviT_PT9_S3_lS5_S3_lPT10_S3_li.num_named_barrier, 0
	.set _ZL37rocblas_syrkx_herkx_restricted_kernelIl19rocblas_complex_numIdELi16ELi32ELi8ELi1ELin1ELb0ELc67ELc85EKS1_S1_EviT_PT9_S3_lS5_S3_lPT10_S3_li.private_seg_size, 0
	.set _ZL37rocblas_syrkx_herkx_restricted_kernelIl19rocblas_complex_numIdELi16ELi32ELi8ELi1ELin1ELb0ELc67ELc85EKS1_S1_EviT_PT9_S3_lS5_S3_lPT10_S3_li.uses_vcc, 1
	.set _ZL37rocblas_syrkx_herkx_restricted_kernelIl19rocblas_complex_numIdELi16ELi32ELi8ELi1ELin1ELb0ELc67ELc85EKS1_S1_EviT_PT9_S3_lS5_S3_lPT10_S3_li.uses_flat_scratch, 0
	.set _ZL37rocblas_syrkx_herkx_restricted_kernelIl19rocblas_complex_numIdELi16ELi32ELi8ELi1ELin1ELb0ELc67ELc85EKS1_S1_EviT_PT9_S3_lS5_S3_lPT10_S3_li.has_dyn_sized_stack, 0
	.set _ZL37rocblas_syrkx_herkx_restricted_kernelIl19rocblas_complex_numIdELi16ELi32ELi8ELi1ELin1ELb0ELc67ELc85EKS1_S1_EviT_PT9_S3_lS5_S3_lPT10_S3_li.has_recursion, 0
	.set _ZL37rocblas_syrkx_herkx_restricted_kernelIl19rocblas_complex_numIdELi16ELi32ELi8ELi1ELin1ELb0ELc67ELc85EKS1_S1_EviT_PT9_S3_lS5_S3_lPT10_S3_li.has_indirect_call, 0
	.section	.AMDGPU.csdata,"",@progbits
; Kernel info:
; codeLenInByte = 2972
; TotalNumSgprs: 32
; NumVgprs: 52
; ScratchSize: 0
; MemoryBound: 0
; FloatMode: 240
; IeeeMode: 1
; LDSByteSize: 8192 bytes/workgroup (compile time only)
; SGPRBlocks: 8
; VGPRBlocks: 12
; NumSGPRsForWavesPerEU: 65
; NumVGPRsForWavesPerEU: 52
; Occupancy: 4
; WaveLimiterHint : 1
; COMPUTE_PGM_RSRC2:SCRATCH_EN: 0
; COMPUTE_PGM_RSRC2:USER_SGPR: 6
; COMPUTE_PGM_RSRC2:TRAP_HANDLER: 0
; COMPUTE_PGM_RSRC2:TGID_X_EN: 1
; COMPUTE_PGM_RSRC2:TGID_Y_EN: 1
; COMPUTE_PGM_RSRC2:TGID_Z_EN: 1
; COMPUTE_PGM_RSRC2:TIDIG_COMP_CNT: 1
	.section	.text._ZL37rocblas_syrkx_herkx_restricted_kernelIl19rocblas_complex_numIdELi16ELi32ELi8ELi1ELin1ELb0ELc78ELc85EKS1_S1_EviT_PT9_S3_lS5_S3_lPT10_S3_li,"axG",@progbits,_ZL37rocblas_syrkx_herkx_restricted_kernelIl19rocblas_complex_numIdELi16ELi32ELi8ELi1ELin1ELb0ELc78ELc85EKS1_S1_EviT_PT9_S3_lS5_S3_lPT10_S3_li,comdat
	.globl	_ZL37rocblas_syrkx_herkx_restricted_kernelIl19rocblas_complex_numIdELi16ELi32ELi8ELi1ELin1ELb0ELc78ELc85EKS1_S1_EviT_PT9_S3_lS5_S3_lPT10_S3_li ; -- Begin function _ZL37rocblas_syrkx_herkx_restricted_kernelIl19rocblas_complex_numIdELi16ELi32ELi8ELi1ELin1ELb0ELc78ELc85EKS1_S1_EviT_PT9_S3_lS5_S3_lPT10_S3_li
	.p2align	8
	.type	_ZL37rocblas_syrkx_herkx_restricted_kernelIl19rocblas_complex_numIdELi16ELi32ELi8ELi1ELin1ELb0ELc78ELc85EKS1_S1_EviT_PT9_S3_lS5_S3_lPT10_S3_li,@function
_ZL37rocblas_syrkx_herkx_restricted_kernelIl19rocblas_complex_numIdELi16ELi32ELi8ELi1ELin1ELb0ELc78ELc85EKS1_S1_EviT_PT9_S3_lS5_S3_lPT10_S3_li: ; @_ZL37rocblas_syrkx_herkx_restricted_kernelIl19rocblas_complex_numIdELi16ELi32ELi8ELi1ELin1ELb0ELc78ELc85EKS1_S1_EviT_PT9_S3_lS5_S3_lPT10_S3_li
; %bb.0:
	s_load_dwordx16 s[12:27], s[4:5], 0x8
	s_lshl_b32 s9, s6, 5
	s_lshl_b32 s10, s7, 5
	s_waitcnt lgkmcnt(0)
	v_cmp_lt_i64_e64 s[0:1], s[12:13], 1
	s_and_b64 vcc, exec, s[0:1]
	s_cbranch_vccnz .LBB1168_3
; %bb.1:
	v_lshl_add_u32 v7, v1, 4, v0
	v_lshrrev_b32_e32 v8, 3, v7
	v_add_u32_e32 v2, s10, v8
	v_and_b32_e32 v6, 7, v0
	v_ashrrev_i32_e32 v3, 31, v2
	v_mad_u64_u32 v[4:5], s[0:1], s22, v6, v[2:3]
	v_lshrrev_b32_e32 v9, 5, v7
	s_mul_i32 s2, s19, s8
	v_mov_b32_e32 v2, v5
	v_mad_u64_u32 v[2:3], s[0:1], s23, v6, v[2:3]
	v_and_b32_e32 v3, 31, v7
	v_lshlrev_b32_e32 v7, 4, v3
	v_mov_b32_e32 v5, v2
	v_lshlrev_b32_e32 v2, 4, v6
	v_lshl_or_b32 v2, v8, 7, v2
	v_add_u32_e32 v23, 0x1000, v2
	v_add_u32_e32 v2, s9, v3
	v_ashrrev_i32_e32 v3, 31, v2
	v_mad_u64_u32 v[2:3], s[0:1], s16, v9, v[2:3]
	v_mov_b32_e32 v6, 0x1000
	v_lshl_or_b32 v22, v9, 9, v7
	v_lshl_add_u32 v25, v1, 7, v6
	v_mad_u64_u32 v[6:7], s[0:1], s17, v9, v[3:4]
	s_mul_hi_u32 s3, s18, s8
	s_add_i32 s1, s3, s2
	s_mul_i32 s0, s18, s8
	s_lshl_b64 s[0:1], s[0:1], 4
	v_mov_b32_e32 v3, v6
	v_lshlrev_b64 v[2:3], 4, v[2:3]
	s_add_u32 s0, s14, s0
	s_addc_u32 s1, s15, s1
	s_mul_i32 s2, s25, s8
	s_mul_hi_u32 s3, s24, s8
	v_mov_b32_e32 v6, s1
	v_add_co_u32_e32 v2, vcc, s0, v2
	s_add_i32 s3, s3, s2
	s_mul_i32 s2, s24, s8
	v_addc_co_u32_e32 v3, vcc, v6, v3, vcc
	s_lshl_b64 s[0:1], s[16:17], 7
	s_lshl_b64 s[2:3], s[2:3], 4
	v_add_co_u32_e32 v2, vcc, 8, v2
	v_lshlrev_b64 v[4:5], 4, v[4:5]
	s_add_u32 s2, s20, s2
	v_addc_co_u32_e32 v3, vcc, 0, v3, vcc
	s_addc_u32 s3, s21, s3
	v_mov_b32_e32 v6, s3
	v_add_co_u32_e32 v4, vcc, s2, v4
	v_addc_co_u32_e32 v5, vcc, v6, v5, vcc
	v_add_co_u32_e32 v4, vcc, 8, v4
	s_lshl_b64 s[2:3], s[22:23], 7
	v_mov_b32_e32 v10, 0
	v_mov_b32_e32 v12, 0
	v_mov_b32_e32 v14, 0
	v_mov_b32_e32 v16, 0
	v_mov_b32_e32 v6, 0
	v_mov_b32_e32 v8, 0
	v_mov_b32_e32 v20, 0
	v_mov_b32_e32 v18, 0
	v_lshlrev_b32_e32 v24, 4, v0
	v_addc_co_u32_e32 v5, vcc, 0, v5, vcc
	v_mov_b32_e32 v11, 0
	s_mov_b64 s[6:7], 0
	v_mov_b32_e32 v26, s1
	v_mov_b32_e32 v13, 0
	;; [unrolled: 1-line block ×9, first 2 shown]
.LBB1168_2:                             ; =>This Inner Loop Header: Depth=1
	global_load_dwordx4 v[28:31], v[2:3], off offset:-8
	s_add_u32 s6, s6, 8
	v_add_co_u32_e32 v2, vcc, s0, v2
	s_addc_u32 s7, s7, 0
	v_addc_co_u32_e32 v3, vcc, v3, v26, vcc
	s_waitcnt vmcnt(0)
	ds_write_b128 v22, v[28:31]
	global_load_dwordx4 v[28:31], v[4:5], off offset:-8
	v_add_co_u32_e32 v4, vcc, s2, v4
	v_addc_co_u32_e32 v5, vcc, v5, v27, vcc
	s_waitcnt vmcnt(0)
	ds_write_b128 v23, v[28:31]
	s_waitcnt lgkmcnt(0)
	s_barrier
	ds_read_b128 v[28:31], v25
	ds_read_b128 v[32:35], v25 offset:16
	ds_read_b128 v[36:39], v25 offset:32
	;; [unrolled: 1-line block ×3, first 2 shown]
	ds_read_b128 v[44:47], v24
	s_waitcnt lgkmcnt(0)
	v_mul_f64 v[48:49], v[30:31], v[46:47]
	v_mul_f64 v[50:51], v[28:29], v[46:47]
	v_fma_f64 v[48:49], v[28:29], v[44:45], -v[48:49]
	v_fma_f64 v[50:51], v[30:31], v[44:45], v[50:51]
	v_add_f64 v[48:49], v[18:19], v[48:49]
	v_add_f64 v[50:51], v[50:51], v[20:21]
	ds_read_b128 v[18:21], v24 offset:256
	s_waitcnt lgkmcnt(0)
	v_mul_f64 v[52:53], v[30:31], v[20:21]
	v_fma_f64 v[52:53], v[28:29], v[18:19], -v[52:53]
	v_mul_f64 v[28:29], v[28:29], v[20:21]
	v_fma_f64 v[28:29], v[30:31], v[18:19], v[28:29]
	v_add_f64 v[30:31], v[8:9], v[52:53]
	v_add_f64 v[28:29], v[28:29], v[6:7]
	ds_read_b128 v[6:9], v25 offset:2048
	s_waitcnt lgkmcnt(0)
	v_mul_f64 v[52:53], v[8:9], v[46:47]
	v_mul_f64 v[46:47], v[6:7], v[46:47]
	v_fma_f64 v[52:53], v[6:7], v[44:45], -v[52:53]
	v_fma_f64 v[44:45], v[8:9], v[44:45], v[46:47]
	v_add_f64 v[46:47], v[16:17], v[52:53]
	v_add_f64 v[44:45], v[44:45], v[14:15]
	v_mul_f64 v[14:15], v[8:9], v[20:21]
	v_fma_f64 v[14:15], v[6:7], v[18:19], -v[14:15]
	v_mul_f64 v[6:7], v[6:7], v[20:21]
	v_fma_f64 v[6:7], v[8:9], v[18:19], v[6:7]
	v_add_f64 v[18:19], v[12:13], v[14:15]
	v_add_f64 v[20:21], v[6:7], v[10:11]
	ds_read_b128 v[6:9], v24 offset:512
	s_waitcnt lgkmcnt(0)
	v_mul_f64 v[10:11], v[34:35], v[8:9]
	v_mul_f64 v[12:13], v[32:33], v[8:9]
	v_fma_f64 v[10:11], v[32:33], v[6:7], -v[10:11]
	v_fma_f64 v[12:13], v[34:35], v[6:7], v[12:13]
	v_add_f64 v[48:49], v[48:49], v[10:11]
	v_add_f64 v[50:51], v[12:13], v[50:51]
	ds_read_b128 v[10:13], v24 offset:768
	s_waitcnt lgkmcnt(0)
	v_mul_f64 v[14:15], v[34:35], v[12:13]
	v_mul_f64 v[16:17], v[32:33], v[12:13]
	v_fma_f64 v[14:15], v[32:33], v[10:11], -v[14:15]
	;; [unrolled: 8-line block ×3, first 2 shown]
	v_fma_f64 v[6:7], v[16:17], v[6:7], v[8:9]
	v_mul_f64 v[8:9], v[14:15], v[12:13]
	v_add_f64 v[32:33], v[46:47], v[32:33]
	v_add_f64 v[34:35], v[6:7], v[44:45]
	v_mul_f64 v[6:7], v[16:17], v[12:13]
	v_fma_f64 v[8:9], v[16:17], v[10:11], v[8:9]
	v_fma_f64 v[6:7], v[14:15], v[10:11], -v[6:7]
	v_add_f64 v[20:21], v[8:9], v[20:21]
	v_add_f64 v[18:19], v[18:19], v[6:7]
	ds_read_b128 v[6:9], v24 offset:1024
	s_waitcnt lgkmcnt(0)
	v_mul_f64 v[10:11], v[38:39], v[8:9]
	v_mul_f64 v[12:13], v[36:37], v[8:9]
	v_fma_f64 v[10:11], v[36:37], v[6:7], -v[10:11]
	v_fma_f64 v[12:13], v[38:39], v[6:7], v[12:13]
	v_add_f64 v[44:45], v[48:49], v[10:11]
	v_add_f64 v[46:47], v[12:13], v[50:51]
	ds_read_b128 v[10:13], v24 offset:1280
	s_waitcnt lgkmcnt(0)
	v_mul_f64 v[14:15], v[38:39], v[12:13]
	v_mul_f64 v[16:17], v[36:37], v[12:13]
	v_fma_f64 v[14:15], v[36:37], v[10:11], -v[14:15]
	v_fma_f64 v[16:17], v[38:39], v[10:11], v[16:17]
	v_add_f64 v[30:31], v[30:31], v[14:15]
	v_add_f64 v[28:29], v[16:17], v[28:29]
	ds_read_b128 v[14:17], v25 offset:2080
	s_waitcnt lgkmcnt(0)
	v_mul_f64 v[36:37], v[16:17], v[8:9]
	v_mul_f64 v[8:9], v[14:15], v[8:9]
	v_fma_f64 v[36:37], v[14:15], v[6:7], -v[36:37]
	v_fma_f64 v[6:7], v[16:17], v[6:7], v[8:9]
	v_mul_f64 v[8:9], v[14:15], v[12:13]
	v_add_f64 v[32:33], v[32:33], v[36:37]
	v_add_f64 v[34:35], v[6:7], v[34:35]
	v_mul_f64 v[6:7], v[16:17], v[12:13]
	v_fma_f64 v[8:9], v[16:17], v[10:11], v[8:9]
	v_fma_f64 v[6:7], v[14:15], v[10:11], -v[6:7]
	v_add_f64 v[20:21], v[8:9], v[20:21]
	v_add_f64 v[18:19], v[18:19], v[6:7]
	ds_read_b128 v[6:9], v24 offset:1536
	s_waitcnt lgkmcnt(0)
	v_mul_f64 v[10:11], v[42:43], v[8:9]
	v_mul_f64 v[12:13], v[40:41], v[8:9]
	v_fma_f64 v[10:11], v[40:41], v[6:7], -v[10:11]
	v_fma_f64 v[12:13], v[42:43], v[6:7], v[12:13]
	v_add_f64 v[36:37], v[44:45], v[10:11]
	v_add_f64 v[38:39], v[12:13], v[46:47]
	ds_read_b128 v[10:13], v24 offset:1792
	s_waitcnt lgkmcnt(0)
	v_mul_f64 v[14:15], v[42:43], v[12:13]
	v_mul_f64 v[16:17], v[40:41], v[12:13]
	v_fma_f64 v[14:15], v[40:41], v[10:11], -v[14:15]
	v_fma_f64 v[16:17], v[42:43], v[10:11], v[16:17]
	;; [unrolled: 8-line block ×3, first 2 shown]
	v_mul_f64 v[8:9], v[14:15], v[12:13]
	v_add_f64 v[32:33], v[32:33], v[40:41]
	v_add_f64 v[34:35], v[6:7], v[34:35]
	v_mul_f64 v[6:7], v[16:17], v[12:13]
	v_fma_f64 v[8:9], v[16:17], v[10:11], v[8:9]
	v_fma_f64 v[6:7], v[14:15], v[10:11], -v[6:7]
	v_add_f64 v[20:21], v[8:9], v[20:21]
	v_add_f64 v[18:19], v[18:19], v[6:7]
	ds_read_b128 v[6:9], v25 offset:64
	ds_read_b128 v[10:13], v24 offset:2048
	s_waitcnt lgkmcnt(0)
	v_mul_f64 v[14:15], v[8:9], v[12:13]
	v_mul_f64 v[16:17], v[6:7], v[12:13]
	v_fma_f64 v[14:15], v[6:7], v[10:11], -v[14:15]
	v_fma_f64 v[16:17], v[8:9], v[10:11], v[16:17]
	v_add_f64 v[36:37], v[36:37], v[14:15]
	v_add_f64 v[38:39], v[16:17], v[38:39]
	ds_read_b128 v[14:17], v24 offset:2304
	s_waitcnt lgkmcnt(0)
	v_mul_f64 v[40:41], v[8:9], v[16:17]
	v_fma_f64 v[40:41], v[6:7], v[14:15], -v[40:41]
	v_mul_f64 v[6:7], v[6:7], v[16:17]
	v_add_f64 v[30:31], v[30:31], v[40:41]
	v_fma_f64 v[6:7], v[8:9], v[14:15], v[6:7]
	v_add_f64 v[28:29], v[6:7], v[28:29]
	ds_read_b128 v[6:9], v25 offset:2112
	s_waitcnt lgkmcnt(0)
	v_mul_f64 v[40:41], v[8:9], v[12:13]
	v_mul_f64 v[12:13], v[6:7], v[12:13]
	v_fma_f64 v[40:41], v[6:7], v[10:11], -v[40:41]
	v_fma_f64 v[10:11], v[8:9], v[10:11], v[12:13]
	v_add_f64 v[32:33], v[32:33], v[40:41]
	v_add_f64 v[34:35], v[10:11], v[34:35]
	v_mul_f64 v[10:11], v[8:9], v[16:17]
	v_fma_f64 v[10:11], v[6:7], v[14:15], -v[10:11]
	v_mul_f64 v[6:7], v[6:7], v[16:17]
	v_add_f64 v[18:19], v[18:19], v[10:11]
	v_fma_f64 v[6:7], v[8:9], v[14:15], v[6:7]
	v_add_f64 v[20:21], v[6:7], v[20:21]
	ds_read_b128 v[6:9], v25 offset:80
	ds_read_b128 v[10:13], v24 offset:2560
	s_waitcnt lgkmcnt(0)
	v_mul_f64 v[14:15], v[8:9], v[12:13]
	v_mul_f64 v[16:17], v[6:7], v[12:13]
	v_fma_f64 v[14:15], v[6:7], v[10:11], -v[14:15]
	v_fma_f64 v[16:17], v[8:9], v[10:11], v[16:17]
	v_add_f64 v[36:37], v[36:37], v[14:15]
	v_add_f64 v[38:39], v[16:17], v[38:39]
	ds_read_b128 v[14:17], v24 offset:2816
	s_waitcnt lgkmcnt(0)
	v_mul_f64 v[40:41], v[8:9], v[16:17]
	v_fma_f64 v[40:41], v[6:7], v[14:15], -v[40:41]
	v_mul_f64 v[6:7], v[6:7], v[16:17]
	v_add_f64 v[30:31], v[30:31], v[40:41]
	v_fma_f64 v[6:7], v[8:9], v[14:15], v[6:7]
	v_add_f64 v[28:29], v[6:7], v[28:29]
	ds_read_b128 v[6:9], v25 offset:2128
	s_waitcnt lgkmcnt(0)
	v_mul_f64 v[40:41], v[8:9], v[12:13]
	v_mul_f64 v[12:13], v[6:7], v[12:13]
	v_fma_f64 v[40:41], v[6:7], v[10:11], -v[40:41]
	v_fma_f64 v[10:11], v[8:9], v[10:11], v[12:13]
	v_add_f64 v[32:33], v[32:33], v[40:41]
	v_add_f64 v[34:35], v[10:11], v[34:35]
	v_mul_f64 v[10:11], v[8:9], v[16:17]
	v_fma_f64 v[10:11], v[6:7], v[14:15], -v[10:11]
	v_mul_f64 v[6:7], v[6:7], v[16:17]
	v_add_f64 v[18:19], v[18:19], v[10:11]
	v_fma_f64 v[6:7], v[8:9], v[14:15], v[6:7]
	;; [unrolled: 31-line block ×3, first 2 shown]
	v_add_f64 v[50:51], v[6:7], v[20:21]
	ds_read_b128 v[6:9], v25 offset:112
	ds_read_b128 v[10:13], v24 offset:3584
	;; [unrolled: 1-line block ×4, first 2 shown]
	s_waitcnt lgkmcnt(0)
	s_barrier
	v_mul_f64 v[14:15], v[8:9], v[12:13]
	v_mul_f64 v[16:17], v[6:7], v[12:13]
	v_fma_f64 v[14:15], v[6:7], v[10:11], -v[14:15]
	v_fma_f64 v[16:17], v[8:9], v[10:11], v[16:17]
	v_add_f64 v[18:19], v[36:37], v[14:15]
	v_mul_f64 v[14:15], v[8:9], v[30:31]
	v_add_f64 v[20:21], v[16:17], v[38:39]
	v_fma_f64 v[14:15], v[6:7], v[28:29], -v[14:15]
	v_mul_f64 v[6:7], v[6:7], v[30:31]
	v_fma_f64 v[6:7], v[8:9], v[28:29], v[6:7]
	v_add_f64 v[8:9], v[40:41], v[14:15]
	v_mul_f64 v[14:15], v[34:35], v[12:13]
	v_mul_f64 v[12:13], v[32:33], v[12:13]
	v_add_f64 v[6:7], v[6:7], v[42:43]
	v_fma_f64 v[14:15], v[32:33], v[10:11], -v[14:15]
	v_fma_f64 v[10:11], v[34:35], v[10:11], v[12:13]
	v_mul_f64 v[12:13], v[32:33], v[30:31]
	v_add_f64 v[16:17], v[44:45], v[14:15]
	v_add_f64 v[14:15], v[10:11], v[46:47]
	v_mul_f64 v[10:11], v[34:35], v[30:31]
	v_fma_f64 v[10:11], v[32:33], v[28:29], -v[10:11]
	v_fma_f64 v[28:29], v[34:35], v[28:29], v[12:13]
	v_add_f64 v[12:13], v[48:49], v[10:11]
	v_add_f64 v[10:11], v[28:29], v[50:51]
	v_mov_b32_e32 v29, s7
	v_mov_b32_e32 v28, s6
	v_cmp_le_u64_e32 vcc, s[12:13], v[28:29]
	s_cbranch_vccz .LBB1168_2
	s_branch .LBB1168_4
.LBB1168_3:
	v_mov_b32_e32 v18, 0
	v_mov_b32_e32 v20, 0
	v_mov_b32_e32 v8, 0
	v_mov_b32_e32 v6, 0
	v_mov_b32_e32 v16, 0
	v_mov_b32_e32 v14, 0
	v_mov_b32_e32 v12, 0
	v_mov_b32_e32 v10, 0
	v_mov_b32_e32 v19, 0
	v_mov_b32_e32 v21, 0
	v_mov_b32_e32 v9, 0
	v_mov_b32_e32 v7, 0
	v_mov_b32_e32 v17, 0
	v_mov_b32_e32 v15, 0
	v_mov_b32_e32 v13, 0
	v_mov_b32_e32 v11, 0
.LBB1168_4:
	s_load_dwordx4 s[12:15], s[4:5], 0x48
	s_load_dword s6, s[4:5], 0x0
	v_add_u32_e32 v4, s10, v1
	v_ashrrev_i32_e32 v1, 31, v4
	v_add_u32_e32 v0, s9, v0
	s_waitcnt lgkmcnt(0)
	s_mul_i32 s1, s15, s8
	s_mul_hi_u32 s2, s14, s8
	s_add_i32 s1, s2, s1
	v_mul_lo_u32 v3, s12, v1
	v_mul_lo_u32 v5, s13, v4
	v_mad_u64_u32 v[1:2], s[2:3], s12, v4, 0
	s_mul_i32 s0, s14, s8
	s_lshl_b64 s[0:1], s[0:1], 4
	v_add3_u32 v2, v2, v3, v5
	s_add_u32 s4, s26, s0
	v_lshlrev_b64 v[1:2], 4, v[1:2]
	s_addc_u32 s5, s27, s1
	v_mov_b32_e32 v3, s5
	v_add_co_u32_e64 v5, s[0:1], s4, v1
	v_addc_co_u32_e64 v22, s[0:1], v3, v2, s[0:1]
	v_cmp_gt_i32_e32 vcc, s6, v4
	v_cmp_le_i32_e64 s[0:1], v0, v4
	s_and_b64 s[0:1], vcc, s[0:1]
	s_and_saveexec_b64 s[2:3], s[0:1]
	s_cbranch_execz .LBB1168_6
; %bb.5:
	v_ashrrev_i32_e32 v1, 31, v0
	v_lshlrev_b64 v[1:2], 4, v[0:1]
	v_add_co_u32_e64 v1, s[0:1], v5, v1
	v_addc_co_u32_e64 v2, s[0:1], v22, v2, s[0:1]
	global_load_dwordx4 v[23:26], v[1:2], off
	s_waitcnt vmcnt(0)
	v_add_f64 v[18:19], v[18:19], -v[23:24]
	v_add_f64 v[20:21], v[20:21], -v[25:26]
	global_store_dwordx4 v[1:2], v[18:21], off
.LBB1168_6:
	s_or_b64 exec, exec, s[2:3]
	v_add_u32_e32 v2, 16, v0
	v_cmp_le_i32_e64 s[0:1], v2, v4
	s_and_b64 s[2:3], vcc, s[0:1]
	s_and_saveexec_b64 s[0:1], s[2:3]
	s_cbranch_execz .LBB1168_8
; %bb.7:
	v_ashrrev_i32_e32 v3, 31, v2
	v_lshlrev_b64 v[18:19], 4, v[2:3]
	v_add_co_u32_e32 v23, vcc, v5, v18
	v_addc_co_u32_e32 v24, vcc, v22, v19, vcc
	global_load_dwordx4 v[18:21], v[23:24], off
	s_waitcnt vmcnt(0)
	v_add_f64 v[18:19], v[8:9], -v[18:19]
	v_add_f64 v[20:21], v[6:7], -v[20:21]
	global_store_dwordx4 v[23:24], v[18:21], off
.LBB1168_8:
	s_or_b64 exec, exec, s[0:1]
	v_add_u32_e32 v3, 16, v4
	v_ashrrev_i32_e32 v1, 31, v3
	v_mul_lo_u32 v1, s12, v1
	v_mul_lo_u32 v6, s13, v3
	v_mad_u64_u32 v[4:5], s[0:1], s12, v3, 0
	v_cmp_gt_i32_e32 vcc, s6, v3
	v_add3_u32 v5, v5, v1, v6
	v_lshlrev_b64 v[4:5], 4, v[4:5]
	v_mov_b32_e32 v1, s5
	v_add_co_u32_e64 v4, s[0:1], s4, v4
	v_addc_co_u32_e64 v5, s[0:1], v1, v5, s[0:1]
	v_cmp_le_i32_e64 s[0:1], v0, v3
	s_and_b64 s[0:1], vcc, s[0:1]
	s_and_saveexec_b64 s[2:3], s[0:1]
	s_cbranch_execz .LBB1168_10
; %bb.9:
	v_ashrrev_i32_e32 v1, 31, v0
	v_lshlrev_b64 v[0:1], 4, v[0:1]
	v_add_co_u32_e64 v0, s[0:1], v4, v0
	v_addc_co_u32_e64 v1, s[0:1], v5, v1, s[0:1]
	global_load_dwordx4 v[6:9], v[0:1], off
	s_waitcnt vmcnt(0)
	v_add_f64 v[6:7], v[16:17], -v[6:7]
	v_add_f64 v[8:9], v[14:15], -v[8:9]
	global_store_dwordx4 v[0:1], v[6:9], off
.LBB1168_10:
	s_or_b64 exec, exec, s[2:3]
	v_cmp_le_i32_e64 s[0:1], v2, v3
	s_and_b64 s[0:1], vcc, s[0:1]
	s_and_saveexec_b64 s[2:3], s[0:1]
	s_cbranch_execz .LBB1168_12
; %bb.11:
	v_ashrrev_i32_e32 v3, 31, v2
	v_lshlrev_b64 v[0:1], 4, v[2:3]
	v_add_co_u32_e32 v4, vcc, v4, v0
	v_addc_co_u32_e32 v5, vcc, v5, v1, vcc
	global_load_dwordx4 v[0:3], v[4:5], off
	s_waitcnt vmcnt(0)
	v_add_f64 v[0:1], v[12:13], -v[0:1]
	v_add_f64 v[2:3], v[10:11], -v[2:3]
	global_store_dwordx4 v[4:5], v[0:3], off
.LBB1168_12:
	s_endpgm
	.section	.rodata,"a",@progbits
	.p2align	6, 0x0
	.amdhsa_kernel _ZL37rocblas_syrkx_herkx_restricted_kernelIl19rocblas_complex_numIdELi16ELi32ELi8ELi1ELin1ELb0ELc78ELc85EKS1_S1_EviT_PT9_S3_lS5_S3_lPT10_S3_li
		.amdhsa_group_segment_fixed_size 8192
		.amdhsa_private_segment_fixed_size 0
		.amdhsa_kernarg_size 92
		.amdhsa_user_sgpr_count 6
		.amdhsa_user_sgpr_private_segment_buffer 1
		.amdhsa_user_sgpr_dispatch_ptr 0
		.amdhsa_user_sgpr_queue_ptr 0
		.amdhsa_user_sgpr_kernarg_segment_ptr 1
		.amdhsa_user_sgpr_dispatch_id 0
		.amdhsa_user_sgpr_flat_scratch_init 0
		.amdhsa_user_sgpr_private_segment_size 0
		.amdhsa_uses_dynamic_stack 0
		.amdhsa_system_sgpr_private_segment_wavefront_offset 0
		.amdhsa_system_sgpr_workgroup_id_x 1
		.amdhsa_system_sgpr_workgroup_id_y 1
		.amdhsa_system_sgpr_workgroup_id_z 1
		.amdhsa_system_sgpr_workgroup_info 0
		.amdhsa_system_vgpr_workitem_id 1
		.amdhsa_next_free_vgpr 54
		.amdhsa_next_free_sgpr 61
		.amdhsa_reserve_vcc 1
		.amdhsa_reserve_flat_scratch 0
		.amdhsa_float_round_mode_32 0
		.amdhsa_float_round_mode_16_64 0
		.amdhsa_float_denorm_mode_32 3
		.amdhsa_float_denorm_mode_16_64 3
		.amdhsa_dx10_clamp 1
		.amdhsa_ieee_mode 1
		.amdhsa_fp16_overflow 0
		.amdhsa_exception_fp_ieee_invalid_op 0
		.amdhsa_exception_fp_denorm_src 0
		.amdhsa_exception_fp_ieee_div_zero 0
		.amdhsa_exception_fp_ieee_overflow 0
		.amdhsa_exception_fp_ieee_underflow 0
		.amdhsa_exception_fp_ieee_inexact 0
		.amdhsa_exception_int_div_zero 0
	.end_amdhsa_kernel
	.section	.text._ZL37rocblas_syrkx_herkx_restricted_kernelIl19rocblas_complex_numIdELi16ELi32ELi8ELi1ELin1ELb0ELc78ELc85EKS1_S1_EviT_PT9_S3_lS5_S3_lPT10_S3_li,"axG",@progbits,_ZL37rocblas_syrkx_herkx_restricted_kernelIl19rocblas_complex_numIdELi16ELi32ELi8ELi1ELin1ELb0ELc78ELc85EKS1_S1_EviT_PT9_S3_lS5_S3_lPT10_S3_li,comdat
.Lfunc_end1168:
	.size	_ZL37rocblas_syrkx_herkx_restricted_kernelIl19rocblas_complex_numIdELi16ELi32ELi8ELi1ELin1ELb0ELc78ELc85EKS1_S1_EviT_PT9_S3_lS5_S3_lPT10_S3_li, .Lfunc_end1168-_ZL37rocblas_syrkx_herkx_restricted_kernelIl19rocblas_complex_numIdELi16ELi32ELi8ELi1ELin1ELb0ELc78ELc85EKS1_S1_EviT_PT9_S3_lS5_S3_lPT10_S3_li
                                        ; -- End function
	.set _ZL37rocblas_syrkx_herkx_restricted_kernelIl19rocblas_complex_numIdELi16ELi32ELi8ELi1ELin1ELb0ELc78ELc85EKS1_S1_EviT_PT9_S3_lS5_S3_lPT10_S3_li.num_vgpr, 54
	.set _ZL37rocblas_syrkx_herkx_restricted_kernelIl19rocblas_complex_numIdELi16ELi32ELi8ELi1ELin1ELb0ELc78ELc85EKS1_S1_EviT_PT9_S3_lS5_S3_lPT10_S3_li.num_agpr, 0
	.set _ZL37rocblas_syrkx_herkx_restricted_kernelIl19rocblas_complex_numIdELi16ELi32ELi8ELi1ELin1ELb0ELc78ELc85EKS1_S1_EviT_PT9_S3_lS5_S3_lPT10_S3_li.numbered_sgpr, 28
	.set _ZL37rocblas_syrkx_herkx_restricted_kernelIl19rocblas_complex_numIdELi16ELi32ELi8ELi1ELin1ELb0ELc78ELc85EKS1_S1_EviT_PT9_S3_lS5_S3_lPT10_S3_li.num_named_barrier, 0
	.set _ZL37rocblas_syrkx_herkx_restricted_kernelIl19rocblas_complex_numIdELi16ELi32ELi8ELi1ELin1ELb0ELc78ELc85EKS1_S1_EviT_PT9_S3_lS5_S3_lPT10_S3_li.private_seg_size, 0
	.set _ZL37rocblas_syrkx_herkx_restricted_kernelIl19rocblas_complex_numIdELi16ELi32ELi8ELi1ELin1ELb0ELc78ELc85EKS1_S1_EviT_PT9_S3_lS5_S3_lPT10_S3_li.uses_vcc, 1
	.set _ZL37rocblas_syrkx_herkx_restricted_kernelIl19rocblas_complex_numIdELi16ELi32ELi8ELi1ELin1ELb0ELc78ELc85EKS1_S1_EviT_PT9_S3_lS5_S3_lPT10_S3_li.uses_flat_scratch, 0
	.set _ZL37rocblas_syrkx_herkx_restricted_kernelIl19rocblas_complex_numIdELi16ELi32ELi8ELi1ELin1ELb0ELc78ELc85EKS1_S1_EviT_PT9_S3_lS5_S3_lPT10_S3_li.has_dyn_sized_stack, 0
	.set _ZL37rocblas_syrkx_herkx_restricted_kernelIl19rocblas_complex_numIdELi16ELi32ELi8ELi1ELin1ELb0ELc78ELc85EKS1_S1_EviT_PT9_S3_lS5_S3_lPT10_S3_li.has_recursion, 0
	.set _ZL37rocblas_syrkx_herkx_restricted_kernelIl19rocblas_complex_numIdELi16ELi32ELi8ELi1ELin1ELb0ELc78ELc85EKS1_S1_EviT_PT9_S3_lS5_S3_lPT10_S3_li.has_indirect_call, 0
	.section	.AMDGPU.csdata,"",@progbits
; Kernel info:
; codeLenInByte = 2944
; TotalNumSgprs: 32
; NumVgprs: 54
; ScratchSize: 0
; MemoryBound: 0
; FloatMode: 240
; IeeeMode: 1
; LDSByteSize: 8192 bytes/workgroup (compile time only)
; SGPRBlocks: 8
; VGPRBlocks: 13
; NumSGPRsForWavesPerEU: 65
; NumVGPRsForWavesPerEU: 54
; Occupancy: 4
; WaveLimiterHint : 1
; COMPUTE_PGM_RSRC2:SCRATCH_EN: 0
; COMPUTE_PGM_RSRC2:USER_SGPR: 6
; COMPUTE_PGM_RSRC2:TRAP_HANDLER: 0
; COMPUTE_PGM_RSRC2:TGID_X_EN: 1
; COMPUTE_PGM_RSRC2:TGID_Y_EN: 1
; COMPUTE_PGM_RSRC2:TGID_Z_EN: 1
; COMPUTE_PGM_RSRC2:TIDIG_COMP_CNT: 1
	.section	.text._ZL37rocblas_syrkx_herkx_restricted_kernelIl19rocblas_complex_numIdELi16ELi32ELi8ELi1ELi0ELb0ELc84ELc76EKS1_S1_EviT_PT9_S3_lS5_S3_lPT10_S3_li,"axG",@progbits,_ZL37rocblas_syrkx_herkx_restricted_kernelIl19rocblas_complex_numIdELi16ELi32ELi8ELi1ELi0ELb0ELc84ELc76EKS1_S1_EviT_PT9_S3_lS5_S3_lPT10_S3_li,comdat
	.globl	_ZL37rocblas_syrkx_herkx_restricted_kernelIl19rocblas_complex_numIdELi16ELi32ELi8ELi1ELi0ELb0ELc84ELc76EKS1_S1_EviT_PT9_S3_lS5_S3_lPT10_S3_li ; -- Begin function _ZL37rocblas_syrkx_herkx_restricted_kernelIl19rocblas_complex_numIdELi16ELi32ELi8ELi1ELi0ELb0ELc84ELc76EKS1_S1_EviT_PT9_S3_lS5_S3_lPT10_S3_li
	.p2align	8
	.type	_ZL37rocblas_syrkx_herkx_restricted_kernelIl19rocblas_complex_numIdELi16ELi32ELi8ELi1ELi0ELb0ELc84ELc76EKS1_S1_EviT_PT9_S3_lS5_S3_lPT10_S3_li,@function
_ZL37rocblas_syrkx_herkx_restricted_kernelIl19rocblas_complex_numIdELi16ELi32ELi8ELi1ELi0ELb0ELc84ELc76EKS1_S1_EviT_PT9_S3_lS5_S3_lPT10_S3_li: ; @_ZL37rocblas_syrkx_herkx_restricted_kernelIl19rocblas_complex_numIdELi16ELi32ELi8ELi1ELi0ELb0ELc84ELc76EKS1_S1_EviT_PT9_S3_lS5_S3_lPT10_S3_li
; %bb.0:
	s_load_dwordx16 s[12:27], s[4:5], 0x8
	s_lshl_b32 s2, s6, 5
	s_lshl_b32 s3, s7, 5
	s_waitcnt lgkmcnt(0)
	v_cmp_lt_i64_e64 s[0:1], s[12:13], 1
	s_and_b64 vcc, exec, s[0:1]
	s_cbranch_vccnz .LBB1169_3
; %bb.1:
	v_lshl_add_u32 v6, v1, 4, v0
	v_lshrrev_b32_e32 v8, 3, v6
	v_add_u32_e32 v4, s3, v8
	v_ashrrev_i32_e32 v5, 31, v4
	v_and_b32_e32 v2, 7, v0
	v_mov_b32_e32 v3, 0
	v_mul_lo_u32 v7, s22, v5
	v_mul_lo_u32 v9, s23, v4
	v_mad_u64_u32 v[4:5], s[0:1], s22, v4, v[2:3]
	v_lshlrev_b32_e32 v2, 4, v2
	v_lshl_or_b32 v2, v8, 7, v2
	v_add3_u32 v5, v9, v5, v7
	v_and_b32_e32 v9, 31, v6
	v_add_u32_e32 v23, 0x1000, v2
	v_mov_b32_e32 v2, 0x1000
	v_add_u32_e32 v8, s2, v9
	v_lshrrev_b32_e32 v6, 5, v6
	v_mov_b32_e32 v7, v3
	v_lshlrev_b32_e32 v3, 4, v9
	v_lshl_add_u32 v25, v1, 7, v2
	v_ashrrev_i32_e32 v2, 31, v8
	v_lshl_or_b32 v22, v6, 9, v3
	v_mul_lo_u32 v9, s16, v2
	v_mad_u64_u32 v[2:3], s[0:1], s16, v8, v[6:7]
	v_mul_lo_u32 v6, s17, v8
	s_mul_i32 s6, s19, s8
	s_mul_hi_u32 s7, s18, s8
	s_add_i32 s1, s7, s6
	s_mul_i32 s0, s18, s8
	s_lshl_b64 s[0:1], s[0:1], 4
	v_add3_u32 v3, v6, v3, v9
	v_lshlrev_b64 v[2:3], 4, v[2:3]
	s_add_u32 s0, s14, s0
	s_addc_u32 s1, s15, s1
	v_mov_b32_e32 v6, s1
	v_add_co_u32_e32 v2, vcc, s0, v2
	s_mul_i32 s0, s25, s8
	s_mul_hi_u32 s1, s24, s8
	v_addc_co_u32_e32 v3, vcc, v6, v3, vcc
	s_add_i32 s1, s1, s0
	s_mul_i32 s0, s24, s8
	v_add_co_u32_e32 v18, vcc, 8, v2
	s_lshl_b64 s[0:1], s[0:1], 4
	v_addc_co_u32_e32 v19, vcc, 0, v3, vcc
	v_lshlrev_b64 v[2:3], 4, v[4:5]
	s_add_u32 s0, s20, s0
	s_addc_u32 s1, s21, s1
	v_mov_b32_e32 v4, s1
	v_add_co_u32_e32 v2, vcc, s0, v2
	v_addc_co_u32_e32 v3, vcc, v4, v3, vcc
	v_add_co_u32_e32 v20, vcc, 8, v2
	v_addc_co_u32_e32 v21, vcc, 0, v3, vcc
	v_mov_b32_e32 v8, 0
	v_mov_b32_e32 v6, 0
	;; [unrolled: 1-line block ×8, first 2 shown]
	v_lshlrev_b32_e32 v24, 4, v0
	v_mov_b32_e32 v9, 0
	v_mov_b32_e32 v7, 0
	;; [unrolled: 1-line block ×8, first 2 shown]
	s_mov_b64 s[0:1], 0
.LBB1169_2:                             ; =>This Inner Loop Header: Depth=1
	global_load_dwordx4 v[26:29], v[18:19], off offset:-8
	s_add_u32 s0, s0, 8
	v_add_co_u32_e32 v18, vcc, 0x80, v18
	s_addc_u32 s1, s1, 0
	v_addc_co_u32_e32 v19, vcc, 0, v19, vcc
	s_waitcnt vmcnt(0)
	ds_write_b128 v22, v[26:29]
	global_load_dwordx4 v[26:29], v[20:21], off offset:-8
	v_add_co_u32_e32 v20, vcc, 0x80, v20
	v_addc_co_u32_e32 v21, vcc, 0, v21, vcc
	s_waitcnt vmcnt(0)
	ds_write_b128 v23, v[26:29]
	s_waitcnt lgkmcnt(0)
	s_barrier
	ds_read_b128 v[26:29], v25
	ds_read_b128 v[30:33], v25 offset:16
	ds_read_b128 v[34:37], v25 offset:32
	;; [unrolled: 1-line block ×3, first 2 shown]
	ds_read_b128 v[42:45], v24
	s_waitcnt lgkmcnt(0)
	v_mul_f64 v[46:47], v[28:29], v[44:45]
	v_mul_f64 v[48:49], v[26:27], v[44:45]
	v_fma_f64 v[46:47], v[26:27], v[42:43], -v[46:47]
	v_fma_f64 v[48:49], v[28:29], v[42:43], v[48:49]
	v_add_f64 v[46:47], v[10:11], v[46:47]
	v_add_f64 v[48:49], v[48:49], v[12:13]
	ds_read_b128 v[10:13], v24 offset:256
	s_waitcnt lgkmcnt(0)
	v_mul_f64 v[50:51], v[28:29], v[12:13]
	v_fma_f64 v[50:51], v[26:27], v[10:11], -v[50:51]
	v_mul_f64 v[26:27], v[26:27], v[12:13]
	v_fma_f64 v[26:27], v[28:29], v[10:11], v[26:27]
	v_add_f64 v[28:29], v[2:3], v[50:51]
	v_add_f64 v[26:27], v[26:27], v[4:5]
	ds_read_b128 v[2:5], v25 offset:2048
	s_waitcnt lgkmcnt(0)
	v_mul_f64 v[50:51], v[4:5], v[44:45]
	v_mul_f64 v[44:45], v[2:3], v[44:45]
	v_fma_f64 v[50:51], v[2:3], v[42:43], -v[50:51]
	v_fma_f64 v[42:43], v[4:5], v[42:43], v[44:45]
	v_add_f64 v[14:15], v[14:15], v[50:51]
	v_add_f64 v[16:17], v[42:43], v[16:17]
	v_mul_f64 v[42:43], v[4:5], v[12:13]
	v_fma_f64 v[42:43], v[2:3], v[10:11], -v[42:43]
	v_mul_f64 v[2:3], v[2:3], v[12:13]
	v_add_f64 v[42:43], v[6:7], v[42:43]
	v_fma_f64 v[2:3], v[4:5], v[10:11], v[2:3]
	v_add_f64 v[44:45], v[2:3], v[8:9]
	ds_read_b128 v[2:5], v24 offset:512
	s_waitcnt lgkmcnt(0)
	v_mul_f64 v[6:7], v[32:33], v[4:5]
	v_mul_f64 v[8:9], v[30:31], v[4:5]
	v_fma_f64 v[6:7], v[30:31], v[2:3], -v[6:7]
	v_fma_f64 v[8:9], v[32:33], v[2:3], v[8:9]
	v_add_f64 v[46:47], v[46:47], v[6:7]
	v_add_f64 v[48:49], v[8:9], v[48:49]
	ds_read_b128 v[6:9], v24 offset:768
	s_waitcnt lgkmcnt(0)
	v_mul_f64 v[10:11], v[32:33], v[8:9]
	v_mul_f64 v[12:13], v[30:31], v[8:9]
	v_fma_f64 v[10:11], v[30:31], v[6:7], -v[10:11]
	v_fma_f64 v[12:13], v[32:33], v[6:7], v[12:13]
	v_add_f64 v[28:29], v[28:29], v[10:11]
	v_add_f64 v[26:27], v[12:13], v[26:27]
	ds_read_b128 v[10:13], v25 offset:2064
	s_waitcnt lgkmcnt(0)
	v_mul_f64 v[30:31], v[12:13], v[4:5]
	v_mul_f64 v[4:5], v[10:11], v[4:5]
	v_fma_f64 v[30:31], v[10:11], v[2:3], -v[30:31]
	v_fma_f64 v[2:3], v[12:13], v[2:3], v[4:5]
	v_mul_f64 v[4:5], v[10:11], v[8:9]
	v_add_f64 v[14:15], v[14:15], v[30:31]
	v_add_f64 v[16:17], v[2:3], v[16:17]
	v_mul_f64 v[2:3], v[12:13], v[8:9]
	v_fma_f64 v[4:5], v[12:13], v[6:7], v[4:5]
	v_fma_f64 v[2:3], v[10:11], v[6:7], -v[2:3]
	v_add_f64 v[32:33], v[4:5], v[44:45]
	v_add_f64 v[30:31], v[42:43], v[2:3]
	ds_read_b128 v[2:5], v24 offset:1024
	s_waitcnt lgkmcnt(0)
	v_mul_f64 v[6:7], v[36:37], v[4:5]
	v_mul_f64 v[8:9], v[34:35], v[4:5]
	v_fma_f64 v[6:7], v[34:35], v[2:3], -v[6:7]
	v_fma_f64 v[8:9], v[36:37], v[2:3], v[8:9]
	v_add_f64 v[42:43], v[46:47], v[6:7]
	v_add_f64 v[44:45], v[8:9], v[48:49]
	ds_read_b128 v[6:9], v24 offset:1280
	s_waitcnt lgkmcnt(0)
	v_mul_f64 v[10:11], v[36:37], v[8:9]
	v_mul_f64 v[12:13], v[34:35], v[8:9]
	v_fma_f64 v[10:11], v[34:35], v[6:7], -v[10:11]
	v_fma_f64 v[12:13], v[36:37], v[6:7], v[12:13]
	v_add_f64 v[28:29], v[28:29], v[10:11]
	v_add_f64 v[26:27], v[12:13], v[26:27]
	ds_read_b128 v[10:13], v25 offset:2080
	s_waitcnt lgkmcnt(0)
	v_mul_f64 v[34:35], v[12:13], v[4:5]
	v_mul_f64 v[4:5], v[10:11], v[4:5]
	v_fma_f64 v[34:35], v[10:11], v[2:3], -v[34:35]
	v_fma_f64 v[2:3], v[12:13], v[2:3], v[4:5]
	v_mul_f64 v[4:5], v[10:11], v[8:9]
	v_add_f64 v[14:15], v[14:15], v[34:35]
	v_add_f64 v[16:17], v[2:3], v[16:17]
	v_mul_f64 v[2:3], v[12:13], v[8:9]
	v_fma_f64 v[4:5], v[12:13], v[6:7], v[4:5]
	v_fma_f64 v[2:3], v[10:11], v[6:7], -v[2:3]
	v_add_f64 v[32:33], v[4:5], v[32:33]
	;; [unrolled: 30-line block ×3, first 2 shown]
	v_add_f64 v[30:31], v[30:31], v[2:3]
	ds_read_b128 v[2:5], v25 offset:64
	ds_read_b128 v[6:9], v24 offset:2048
	s_waitcnt lgkmcnt(0)
	v_mul_f64 v[10:11], v[4:5], v[8:9]
	v_mul_f64 v[12:13], v[2:3], v[8:9]
	v_fma_f64 v[10:11], v[2:3], v[6:7], -v[10:11]
	v_fma_f64 v[12:13], v[4:5], v[6:7], v[12:13]
	v_add_f64 v[34:35], v[34:35], v[10:11]
	v_add_f64 v[36:37], v[12:13], v[36:37]
	ds_read_b128 v[10:13], v24 offset:2304
	s_waitcnt lgkmcnt(0)
	v_mul_f64 v[38:39], v[4:5], v[12:13]
	v_fma_f64 v[38:39], v[2:3], v[10:11], -v[38:39]
	v_mul_f64 v[2:3], v[2:3], v[12:13]
	v_add_f64 v[28:29], v[28:29], v[38:39]
	v_fma_f64 v[2:3], v[4:5], v[10:11], v[2:3]
	v_add_f64 v[26:27], v[2:3], v[26:27]
	ds_read_b128 v[2:5], v25 offset:2112
	s_waitcnt lgkmcnt(0)
	v_mul_f64 v[38:39], v[4:5], v[8:9]
	v_mul_f64 v[8:9], v[2:3], v[8:9]
	v_fma_f64 v[38:39], v[2:3], v[6:7], -v[38:39]
	v_fma_f64 v[6:7], v[4:5], v[6:7], v[8:9]
	v_add_f64 v[14:15], v[14:15], v[38:39]
	v_add_f64 v[16:17], v[6:7], v[16:17]
	v_mul_f64 v[6:7], v[4:5], v[12:13]
	v_fma_f64 v[6:7], v[2:3], v[10:11], -v[6:7]
	v_mul_f64 v[2:3], v[2:3], v[12:13]
	v_add_f64 v[30:31], v[30:31], v[6:7]
	v_fma_f64 v[2:3], v[4:5], v[10:11], v[2:3]
	v_add_f64 v[32:33], v[2:3], v[32:33]
	ds_read_b128 v[2:5], v25 offset:80
	ds_read_b128 v[6:9], v24 offset:2560
	s_waitcnt lgkmcnt(0)
	v_mul_f64 v[10:11], v[4:5], v[8:9]
	v_mul_f64 v[12:13], v[2:3], v[8:9]
	v_fma_f64 v[10:11], v[2:3], v[6:7], -v[10:11]
	v_fma_f64 v[12:13], v[4:5], v[6:7], v[12:13]
	v_add_f64 v[34:35], v[34:35], v[10:11]
	v_add_f64 v[36:37], v[12:13], v[36:37]
	ds_read_b128 v[10:13], v24 offset:2816
	s_waitcnt lgkmcnt(0)
	v_mul_f64 v[38:39], v[4:5], v[12:13]
	v_fma_f64 v[38:39], v[2:3], v[10:11], -v[38:39]
	v_mul_f64 v[2:3], v[2:3], v[12:13]
	v_add_f64 v[28:29], v[28:29], v[38:39]
	v_fma_f64 v[2:3], v[4:5], v[10:11], v[2:3]
	v_add_f64 v[26:27], v[2:3], v[26:27]
	ds_read_b128 v[2:5], v25 offset:2128
	s_waitcnt lgkmcnt(0)
	v_mul_f64 v[38:39], v[4:5], v[8:9]
	v_mul_f64 v[8:9], v[2:3], v[8:9]
	v_fma_f64 v[38:39], v[2:3], v[6:7], -v[38:39]
	v_fma_f64 v[6:7], v[4:5], v[6:7], v[8:9]
	v_add_f64 v[14:15], v[14:15], v[38:39]
	v_add_f64 v[16:17], v[6:7], v[16:17]
	v_mul_f64 v[6:7], v[4:5], v[12:13]
	v_fma_f64 v[6:7], v[2:3], v[10:11], -v[6:7]
	v_mul_f64 v[2:3], v[2:3], v[12:13]
	v_add_f64 v[30:31], v[30:31], v[6:7]
	v_fma_f64 v[2:3], v[4:5], v[10:11], v[2:3]
	;; [unrolled: 31-line block ×3, first 2 shown]
	v_add_f64 v[44:45], v[2:3], v[32:33]
	ds_read_b128 v[2:5], v25 offset:112
	ds_read_b128 v[6:9], v24 offset:3584
	;; [unrolled: 1-line block ×3, first 2 shown]
	s_waitcnt lgkmcnt(1)
	v_mul_f64 v[10:11], v[4:5], v[8:9]
	s_waitcnt lgkmcnt(0)
	v_mul_f64 v[30:31], v[4:5], v[28:29]
	v_mul_f64 v[12:13], v[2:3], v[8:9]
	v_fma_f64 v[10:11], v[2:3], v[6:7], -v[10:11]
	v_fma_f64 v[30:31], v[2:3], v[26:27], -v[30:31]
	v_mul_f64 v[2:3], v[2:3], v[28:29]
	v_fma_f64 v[12:13], v[4:5], v[6:7], v[12:13]
	v_add_f64 v[10:11], v[34:35], v[10:11]
	v_fma_f64 v[4:5], v[4:5], v[26:27], v[2:3]
	v_add_f64 v[2:3], v[38:39], v[30:31]
	ds_read_b128 v[30:33], v25 offset:2160
	v_add_f64 v[12:13], v[12:13], v[36:37]
	s_waitcnt lgkmcnt(0)
	s_barrier
	v_mul_f64 v[34:35], v[32:33], v[8:9]
	v_mul_f64 v[8:9], v[30:31], v[8:9]
	v_add_f64 v[4:5], v[4:5], v[40:41]
	v_fma_f64 v[34:35], v[30:31], v[6:7], -v[34:35]
	v_fma_f64 v[6:7], v[32:33], v[6:7], v[8:9]
	v_mul_f64 v[8:9], v[30:31], v[28:29]
	v_add_f64 v[14:15], v[14:15], v[34:35]
	v_add_f64 v[16:17], v[6:7], v[16:17]
	v_mul_f64 v[6:7], v[32:33], v[28:29]
	v_fma_f64 v[8:9], v[32:33], v[26:27], v[8:9]
	v_fma_f64 v[6:7], v[30:31], v[26:27], -v[6:7]
	v_add_f64 v[8:9], v[8:9], v[44:45]
	v_mov_b32_e32 v27, s1
	v_mov_b32_e32 v26, s0
	v_cmp_le_u64_e32 vcc, s[12:13], v[26:27]
	v_add_f64 v[6:7], v[42:43], v[6:7]
	s_cbranch_vccz .LBB1169_2
	s_branch .LBB1169_4
.LBB1169_3:
	v_mov_b32_e32 v10, 0
	v_mov_b32_e32 v12, 0
	v_mov_b32_e32 v2, 0
	v_mov_b32_e32 v4, 0
	v_mov_b32_e32 v14, 0
	v_mov_b32_e32 v16, 0
	v_mov_b32_e32 v6, 0
	v_mov_b32_e32 v8, 0
	v_mov_b32_e32 v11, 0
	v_mov_b32_e32 v13, 0
	v_mov_b32_e32 v3, 0
	v_mov_b32_e32 v5, 0
	v_mov_b32_e32 v15, 0
	v_mov_b32_e32 v17, 0
	v_mov_b32_e32 v7, 0
	v_mov_b32_e32 v9, 0
.LBB1169_4:
	s_load_dwordx4 s[12:15], s[4:5], 0x48
	s_load_dword s9, s[4:5], 0x0
	v_add_u32_e32 v18, s3, v1
	v_ashrrev_i32_e32 v1, 31, v18
	v_add_u32_e32 v0, s2, v0
	s_waitcnt lgkmcnt(0)
	v_mul_lo_u32 v1, s12, v1
	v_mul_lo_u32 v21, s13, v18
	v_mad_u64_u32 v[19:20], s[4:5], s12, v18, 0
	s_mul_i32 s1, s15, s8
	s_mul_hi_u32 s3, s14, s8
	s_mul_i32 s0, s14, s8
	s_add_i32 s1, s3, s1
	s_lshl_b64 s[0:1], s[0:1], 4
	v_add3_u32 v20, v20, v1, v21
	s_add_u32 s6, s26, s0
	v_lshlrev_b64 v[19:20], 4, v[19:20]
	s_addc_u32 s7, s27, s1
	v_mov_b32_e32 v1, s7
	v_add_co_u32_e32 v19, vcc, s6, v19
	v_addc_co_u32_e32 v20, vcc, v1, v20, vcc
	v_cmp_le_i32_e64 s[0:1], v18, v0
	v_cmp_gt_i32_e32 vcc, s9, v0
	s_and_b64 s[0:1], s[0:1], vcc
	s_and_saveexec_b64 s[2:3], s[0:1]
	s_cbranch_execz .LBB1169_6
; %bb.5:
	v_ashrrev_i32_e32 v1, 31, v0
	v_lshlrev_b64 v[21:22], 4, v[0:1]
	v_add_co_u32_e64 v21, s[0:1], v19, v21
	v_addc_co_u32_e64 v22, s[0:1], v20, v22, s[0:1]
	global_store_dwordx4 v[21:22], v[10:13], off
.LBB1169_6:
	s_or_b64 exec, exec, s[2:3]
	v_add_u32_e32 v10, 16, v0
	v_cmp_le_i32_e64 s[2:3], v18, v10
	v_cmp_gt_i32_e64 s[0:1], s9, v10
	s_and_b64 s[2:3], s[2:3], s[0:1]
	s_and_saveexec_b64 s[4:5], s[2:3]
	s_cbranch_execz .LBB1169_8
; %bb.7:
	v_ashrrev_i32_e32 v11, 31, v10
	v_lshlrev_b64 v[11:12], 4, v[10:11]
	v_add_co_u32_e64 v11, s[2:3], v19, v11
	v_addc_co_u32_e64 v12, s[2:3], v20, v12, s[2:3]
	global_store_dwordx4 v[11:12], v[2:5], off
.LBB1169_8:
	s_or_b64 exec, exec, s[4:5]
	v_add_u32_e32 v2, 16, v18
	v_ashrrev_i32_e32 v1, 31, v2
	v_mul_lo_u32 v5, s13, v2
	v_mad_u64_u32 v[3:4], s[2:3], s12, v2, 0
	v_mul_lo_u32 v1, s12, v1
	v_add3_u32 v4, v4, v1, v5
	v_lshlrev_b64 v[3:4], 4, v[3:4]
	v_mov_b32_e32 v1, s7
	v_add_co_u32_e64 v3, s[2:3], s6, v3
	v_addc_co_u32_e64 v4, s[2:3], v1, v4, s[2:3]
	v_cmp_le_i32_e64 s[2:3], v2, v0
	s_and_b64 s[4:5], s[2:3], vcc
	s_and_saveexec_b64 s[2:3], s[4:5]
	s_cbranch_execz .LBB1169_10
; %bb.9:
	v_ashrrev_i32_e32 v1, 31, v0
	v_lshlrev_b64 v[0:1], 4, v[0:1]
	v_add_co_u32_e32 v0, vcc, v3, v0
	v_addc_co_u32_e32 v1, vcc, v4, v1, vcc
	global_store_dwordx4 v[0:1], v[14:17], off
.LBB1169_10:
	s_or_b64 exec, exec, s[2:3]
	v_cmp_le_i32_e32 vcc, v2, v10
	s_and_b64 s[0:1], vcc, s[0:1]
	s_and_saveexec_b64 s[2:3], s[0:1]
	s_cbranch_execz .LBB1169_12
; %bb.11:
	v_ashrrev_i32_e32 v11, 31, v10
	v_lshlrev_b64 v[0:1], 4, v[10:11]
	v_add_co_u32_e32 v0, vcc, v3, v0
	v_addc_co_u32_e32 v1, vcc, v4, v1, vcc
	global_store_dwordx4 v[0:1], v[6:9], off
.LBB1169_12:
	s_endpgm
	.section	.rodata,"a",@progbits
	.p2align	6, 0x0
	.amdhsa_kernel _ZL37rocblas_syrkx_herkx_restricted_kernelIl19rocblas_complex_numIdELi16ELi32ELi8ELi1ELi0ELb0ELc84ELc76EKS1_S1_EviT_PT9_S3_lS5_S3_lPT10_S3_li
		.amdhsa_group_segment_fixed_size 8192
		.amdhsa_private_segment_fixed_size 0
		.amdhsa_kernarg_size 92
		.amdhsa_user_sgpr_count 6
		.amdhsa_user_sgpr_private_segment_buffer 1
		.amdhsa_user_sgpr_dispatch_ptr 0
		.amdhsa_user_sgpr_queue_ptr 0
		.amdhsa_user_sgpr_kernarg_segment_ptr 1
		.amdhsa_user_sgpr_dispatch_id 0
		.amdhsa_user_sgpr_flat_scratch_init 0
		.amdhsa_user_sgpr_private_segment_size 0
		.amdhsa_uses_dynamic_stack 0
		.amdhsa_system_sgpr_private_segment_wavefront_offset 0
		.amdhsa_system_sgpr_workgroup_id_x 1
		.amdhsa_system_sgpr_workgroup_id_y 1
		.amdhsa_system_sgpr_workgroup_id_z 1
		.amdhsa_system_sgpr_workgroup_info 0
		.amdhsa_system_vgpr_workitem_id 1
		.amdhsa_next_free_vgpr 52
		.amdhsa_next_free_sgpr 61
		.amdhsa_reserve_vcc 1
		.amdhsa_reserve_flat_scratch 0
		.amdhsa_float_round_mode_32 0
		.amdhsa_float_round_mode_16_64 0
		.amdhsa_float_denorm_mode_32 3
		.amdhsa_float_denorm_mode_16_64 3
		.amdhsa_dx10_clamp 1
		.amdhsa_ieee_mode 1
		.amdhsa_fp16_overflow 0
		.amdhsa_exception_fp_ieee_invalid_op 0
		.amdhsa_exception_fp_denorm_src 0
		.amdhsa_exception_fp_ieee_div_zero 0
		.amdhsa_exception_fp_ieee_overflow 0
		.amdhsa_exception_fp_ieee_underflow 0
		.amdhsa_exception_fp_ieee_inexact 0
		.amdhsa_exception_int_div_zero 0
	.end_amdhsa_kernel
	.section	.text._ZL37rocblas_syrkx_herkx_restricted_kernelIl19rocblas_complex_numIdELi16ELi32ELi8ELi1ELi0ELb0ELc84ELc76EKS1_S1_EviT_PT9_S3_lS5_S3_lPT10_S3_li,"axG",@progbits,_ZL37rocblas_syrkx_herkx_restricted_kernelIl19rocblas_complex_numIdELi16ELi32ELi8ELi1ELi0ELb0ELc84ELc76EKS1_S1_EviT_PT9_S3_lS5_S3_lPT10_S3_li,comdat
.Lfunc_end1169:
	.size	_ZL37rocblas_syrkx_herkx_restricted_kernelIl19rocblas_complex_numIdELi16ELi32ELi8ELi1ELi0ELb0ELc84ELc76EKS1_S1_EviT_PT9_S3_lS5_S3_lPT10_S3_li, .Lfunc_end1169-_ZL37rocblas_syrkx_herkx_restricted_kernelIl19rocblas_complex_numIdELi16ELi32ELi8ELi1ELi0ELb0ELc84ELc76EKS1_S1_EviT_PT9_S3_lS5_S3_lPT10_S3_li
                                        ; -- End function
	.set _ZL37rocblas_syrkx_herkx_restricted_kernelIl19rocblas_complex_numIdELi16ELi32ELi8ELi1ELi0ELb0ELc84ELc76EKS1_S1_EviT_PT9_S3_lS5_S3_lPT10_S3_li.num_vgpr, 52
	.set _ZL37rocblas_syrkx_herkx_restricted_kernelIl19rocblas_complex_numIdELi16ELi32ELi8ELi1ELi0ELb0ELc84ELc76EKS1_S1_EviT_PT9_S3_lS5_S3_lPT10_S3_li.num_agpr, 0
	.set _ZL37rocblas_syrkx_herkx_restricted_kernelIl19rocblas_complex_numIdELi16ELi32ELi8ELi1ELi0ELb0ELc84ELc76EKS1_S1_EviT_PT9_S3_lS5_S3_lPT10_S3_li.numbered_sgpr, 28
	.set _ZL37rocblas_syrkx_herkx_restricted_kernelIl19rocblas_complex_numIdELi16ELi32ELi8ELi1ELi0ELb0ELc84ELc76EKS1_S1_EviT_PT9_S3_lS5_S3_lPT10_S3_li.num_named_barrier, 0
	.set _ZL37rocblas_syrkx_herkx_restricted_kernelIl19rocblas_complex_numIdELi16ELi32ELi8ELi1ELi0ELb0ELc84ELc76EKS1_S1_EviT_PT9_S3_lS5_S3_lPT10_S3_li.private_seg_size, 0
	.set _ZL37rocblas_syrkx_herkx_restricted_kernelIl19rocblas_complex_numIdELi16ELi32ELi8ELi1ELi0ELb0ELc84ELc76EKS1_S1_EviT_PT9_S3_lS5_S3_lPT10_S3_li.uses_vcc, 1
	.set _ZL37rocblas_syrkx_herkx_restricted_kernelIl19rocblas_complex_numIdELi16ELi32ELi8ELi1ELi0ELb0ELc84ELc76EKS1_S1_EviT_PT9_S3_lS5_S3_lPT10_S3_li.uses_flat_scratch, 0
	.set _ZL37rocblas_syrkx_herkx_restricted_kernelIl19rocblas_complex_numIdELi16ELi32ELi8ELi1ELi0ELb0ELc84ELc76EKS1_S1_EviT_PT9_S3_lS5_S3_lPT10_S3_li.has_dyn_sized_stack, 0
	.set _ZL37rocblas_syrkx_herkx_restricted_kernelIl19rocblas_complex_numIdELi16ELi32ELi8ELi1ELi0ELb0ELc84ELc76EKS1_S1_EviT_PT9_S3_lS5_S3_lPT10_S3_li.has_recursion, 0
	.set _ZL37rocblas_syrkx_herkx_restricted_kernelIl19rocblas_complex_numIdELi16ELi32ELi8ELi1ELi0ELb0ELc84ELc76EKS1_S1_EviT_PT9_S3_lS5_S3_lPT10_S3_li.has_indirect_call, 0
	.section	.AMDGPU.csdata,"",@progbits
; Kernel info:
; codeLenInByte = 2852
; TotalNumSgprs: 32
; NumVgprs: 52
; ScratchSize: 0
; MemoryBound: 0
; FloatMode: 240
; IeeeMode: 1
; LDSByteSize: 8192 bytes/workgroup (compile time only)
; SGPRBlocks: 8
; VGPRBlocks: 12
; NumSGPRsForWavesPerEU: 65
; NumVGPRsForWavesPerEU: 52
; Occupancy: 4
; WaveLimiterHint : 1
; COMPUTE_PGM_RSRC2:SCRATCH_EN: 0
; COMPUTE_PGM_RSRC2:USER_SGPR: 6
; COMPUTE_PGM_RSRC2:TRAP_HANDLER: 0
; COMPUTE_PGM_RSRC2:TGID_X_EN: 1
; COMPUTE_PGM_RSRC2:TGID_Y_EN: 1
; COMPUTE_PGM_RSRC2:TGID_Z_EN: 1
; COMPUTE_PGM_RSRC2:TIDIG_COMP_CNT: 1
	.section	.text._ZL37rocblas_syrkx_herkx_restricted_kernelIl19rocblas_complex_numIdELi16ELi32ELi8ELi1ELi0ELb0ELc67ELc76EKS1_S1_EviT_PT9_S3_lS5_S3_lPT10_S3_li,"axG",@progbits,_ZL37rocblas_syrkx_herkx_restricted_kernelIl19rocblas_complex_numIdELi16ELi32ELi8ELi1ELi0ELb0ELc67ELc76EKS1_S1_EviT_PT9_S3_lS5_S3_lPT10_S3_li,comdat
	.globl	_ZL37rocblas_syrkx_herkx_restricted_kernelIl19rocblas_complex_numIdELi16ELi32ELi8ELi1ELi0ELb0ELc67ELc76EKS1_S1_EviT_PT9_S3_lS5_S3_lPT10_S3_li ; -- Begin function _ZL37rocblas_syrkx_herkx_restricted_kernelIl19rocblas_complex_numIdELi16ELi32ELi8ELi1ELi0ELb0ELc67ELc76EKS1_S1_EviT_PT9_S3_lS5_S3_lPT10_S3_li
	.p2align	8
	.type	_ZL37rocblas_syrkx_herkx_restricted_kernelIl19rocblas_complex_numIdELi16ELi32ELi8ELi1ELi0ELb0ELc67ELc76EKS1_S1_EviT_PT9_S3_lS5_S3_lPT10_S3_li,@function
_ZL37rocblas_syrkx_herkx_restricted_kernelIl19rocblas_complex_numIdELi16ELi32ELi8ELi1ELi0ELb0ELc67ELc76EKS1_S1_EviT_PT9_S3_lS5_S3_lPT10_S3_li: ; @_ZL37rocblas_syrkx_herkx_restricted_kernelIl19rocblas_complex_numIdELi16ELi32ELi8ELi1ELi0ELb0ELc67ELc76EKS1_S1_EviT_PT9_S3_lS5_S3_lPT10_S3_li
; %bb.0:
	s_load_dwordx16 s[12:27], s[4:5], 0x8
	s_lshl_b32 s2, s6, 5
	s_lshl_b32 s3, s7, 5
	s_waitcnt lgkmcnt(0)
	v_cmp_lt_i64_e64 s[0:1], s[12:13], 1
	s_and_b64 vcc, exec, s[0:1]
	s_cbranch_vccnz .LBB1170_3
; %bb.1:
	v_lshl_add_u32 v6, v1, 4, v0
	v_lshrrev_b32_e32 v8, 3, v6
	v_add_u32_e32 v4, s3, v8
	v_ashrrev_i32_e32 v5, 31, v4
	v_and_b32_e32 v2, 7, v0
	v_mov_b32_e32 v3, 0
	v_mul_lo_u32 v7, s22, v5
	v_mul_lo_u32 v9, s23, v4
	v_mad_u64_u32 v[4:5], s[0:1], s22, v4, v[2:3]
	v_lshlrev_b32_e32 v2, 4, v2
	v_lshl_or_b32 v2, v8, 7, v2
	v_add3_u32 v5, v9, v5, v7
	v_and_b32_e32 v9, 31, v6
	v_add_u32_e32 v23, 0x1000, v2
	v_mov_b32_e32 v2, 0x1000
	v_add_u32_e32 v8, s2, v9
	v_lshrrev_b32_e32 v6, 5, v6
	v_mov_b32_e32 v7, v3
	v_lshlrev_b32_e32 v3, 4, v9
	v_lshl_add_u32 v25, v1, 7, v2
	v_ashrrev_i32_e32 v2, 31, v8
	v_lshl_or_b32 v22, v6, 9, v3
	v_mul_lo_u32 v9, s16, v2
	v_mad_u64_u32 v[2:3], s[0:1], s16, v8, v[6:7]
	v_mul_lo_u32 v6, s17, v8
	s_mul_i32 s6, s19, s8
	s_mul_hi_u32 s7, s18, s8
	s_add_i32 s1, s7, s6
	s_mul_i32 s0, s18, s8
	s_lshl_b64 s[0:1], s[0:1], 4
	v_add3_u32 v3, v6, v3, v9
	v_lshlrev_b64 v[2:3], 4, v[2:3]
	s_add_u32 s0, s14, s0
	s_addc_u32 s1, s15, s1
	v_mov_b32_e32 v6, s1
	v_add_co_u32_e32 v2, vcc, s0, v2
	s_mul_i32 s0, s25, s8
	s_mul_hi_u32 s1, s24, s8
	v_addc_co_u32_e32 v3, vcc, v6, v3, vcc
	s_add_i32 s1, s1, s0
	s_mul_i32 s0, s24, s8
	v_add_co_u32_e32 v18, vcc, 8, v2
	s_lshl_b64 s[0:1], s[0:1], 4
	v_addc_co_u32_e32 v19, vcc, 0, v3, vcc
	v_lshlrev_b64 v[2:3], 4, v[4:5]
	s_add_u32 s0, s20, s0
	s_addc_u32 s1, s21, s1
	v_mov_b32_e32 v4, s1
	v_add_co_u32_e32 v2, vcc, s0, v2
	v_addc_co_u32_e32 v3, vcc, v4, v3, vcc
	v_add_co_u32_e32 v20, vcc, 8, v2
	v_addc_co_u32_e32 v21, vcc, 0, v3, vcc
	v_mov_b32_e32 v8, 0
	v_mov_b32_e32 v6, 0
	;; [unrolled: 1-line block ×8, first 2 shown]
	v_lshlrev_b32_e32 v24, 4, v0
	v_mov_b32_e32 v9, 0
	v_mov_b32_e32 v7, 0
	;; [unrolled: 1-line block ×8, first 2 shown]
	s_mov_b64 s[0:1], 0
.LBB1170_2:                             ; =>This Inner Loop Header: Depth=1
	global_load_dwordx4 v[26:29], v[18:19], off offset:-8
	s_add_u32 s0, s0, 8
	v_add_co_u32_e32 v18, vcc, 0x80, v18
	s_addc_u32 s1, s1, 0
	v_addc_co_u32_e32 v19, vcc, 0, v19, vcc
	s_waitcnt vmcnt(0)
	ds_write_b128 v22, v[26:29]
	global_load_dwordx4 v[26:29], v[20:21], off offset:-8
	v_add_co_u32_e32 v20, vcc, 0x80, v20
	v_addc_co_u32_e32 v21, vcc, 0, v21, vcc
	s_waitcnt vmcnt(0)
	ds_write_b128 v23, v[26:29]
	s_waitcnt lgkmcnt(0)
	s_barrier
	ds_read_b128 v[26:29], v25
	ds_read_b128 v[30:33], v25 offset:16
	ds_read_b128 v[34:37], v25 offset:32
	;; [unrolled: 1-line block ×3, first 2 shown]
	ds_read_b128 v[42:45], v24
	s_waitcnt lgkmcnt(0)
	v_mul_f64 v[46:47], v[28:29], v[44:45]
	v_mul_f64 v[48:49], v[26:27], v[44:45]
	v_fma_f64 v[46:47], v[26:27], v[42:43], -v[46:47]
	v_fma_f64 v[48:49], v[28:29], v[42:43], v[48:49]
	v_add_f64 v[46:47], v[10:11], v[46:47]
	v_add_f64 v[48:49], v[48:49], v[12:13]
	ds_read_b128 v[10:13], v24 offset:256
	s_waitcnt lgkmcnt(0)
	v_mul_f64 v[50:51], v[28:29], v[12:13]
	v_fma_f64 v[50:51], v[26:27], v[10:11], -v[50:51]
	v_mul_f64 v[26:27], v[26:27], v[12:13]
	v_fma_f64 v[26:27], v[28:29], v[10:11], v[26:27]
	v_add_f64 v[28:29], v[2:3], v[50:51]
	v_add_f64 v[26:27], v[26:27], v[4:5]
	ds_read_b128 v[2:5], v25 offset:2048
	s_waitcnt lgkmcnt(0)
	v_mul_f64 v[50:51], v[4:5], v[44:45]
	v_mul_f64 v[44:45], v[2:3], v[44:45]
	v_fma_f64 v[50:51], v[2:3], v[42:43], -v[50:51]
	v_fma_f64 v[42:43], v[4:5], v[42:43], v[44:45]
	v_add_f64 v[14:15], v[14:15], v[50:51]
	v_add_f64 v[16:17], v[42:43], v[16:17]
	v_mul_f64 v[42:43], v[4:5], v[12:13]
	v_fma_f64 v[42:43], v[2:3], v[10:11], -v[42:43]
	v_mul_f64 v[2:3], v[2:3], v[12:13]
	v_add_f64 v[42:43], v[6:7], v[42:43]
	v_fma_f64 v[2:3], v[4:5], v[10:11], v[2:3]
	v_add_f64 v[44:45], v[2:3], v[8:9]
	ds_read_b128 v[2:5], v24 offset:512
	s_waitcnt lgkmcnt(0)
	v_mul_f64 v[6:7], v[32:33], v[4:5]
	v_mul_f64 v[8:9], v[30:31], v[4:5]
	v_fma_f64 v[6:7], v[30:31], v[2:3], -v[6:7]
	v_fma_f64 v[8:9], v[32:33], v[2:3], v[8:9]
	v_add_f64 v[46:47], v[46:47], v[6:7]
	v_add_f64 v[48:49], v[8:9], v[48:49]
	ds_read_b128 v[6:9], v24 offset:768
	s_waitcnt lgkmcnt(0)
	v_mul_f64 v[10:11], v[32:33], v[8:9]
	v_mul_f64 v[12:13], v[30:31], v[8:9]
	v_fma_f64 v[10:11], v[30:31], v[6:7], -v[10:11]
	v_fma_f64 v[12:13], v[32:33], v[6:7], v[12:13]
	v_add_f64 v[28:29], v[28:29], v[10:11]
	v_add_f64 v[26:27], v[12:13], v[26:27]
	ds_read_b128 v[10:13], v25 offset:2064
	s_waitcnt lgkmcnt(0)
	v_mul_f64 v[30:31], v[12:13], v[4:5]
	v_mul_f64 v[4:5], v[10:11], v[4:5]
	v_fma_f64 v[30:31], v[10:11], v[2:3], -v[30:31]
	v_fma_f64 v[2:3], v[12:13], v[2:3], v[4:5]
	v_mul_f64 v[4:5], v[10:11], v[8:9]
	v_add_f64 v[14:15], v[14:15], v[30:31]
	v_add_f64 v[16:17], v[2:3], v[16:17]
	v_mul_f64 v[2:3], v[12:13], v[8:9]
	v_fma_f64 v[4:5], v[12:13], v[6:7], v[4:5]
	v_fma_f64 v[2:3], v[10:11], v[6:7], -v[2:3]
	v_add_f64 v[32:33], v[4:5], v[44:45]
	v_add_f64 v[30:31], v[42:43], v[2:3]
	ds_read_b128 v[2:5], v24 offset:1024
	s_waitcnt lgkmcnt(0)
	v_mul_f64 v[6:7], v[36:37], v[4:5]
	v_mul_f64 v[8:9], v[34:35], v[4:5]
	v_fma_f64 v[6:7], v[34:35], v[2:3], -v[6:7]
	v_fma_f64 v[8:9], v[36:37], v[2:3], v[8:9]
	v_add_f64 v[42:43], v[46:47], v[6:7]
	v_add_f64 v[44:45], v[8:9], v[48:49]
	ds_read_b128 v[6:9], v24 offset:1280
	s_waitcnt lgkmcnt(0)
	v_mul_f64 v[10:11], v[36:37], v[8:9]
	v_mul_f64 v[12:13], v[34:35], v[8:9]
	v_fma_f64 v[10:11], v[34:35], v[6:7], -v[10:11]
	v_fma_f64 v[12:13], v[36:37], v[6:7], v[12:13]
	v_add_f64 v[28:29], v[28:29], v[10:11]
	v_add_f64 v[26:27], v[12:13], v[26:27]
	ds_read_b128 v[10:13], v25 offset:2080
	s_waitcnt lgkmcnt(0)
	v_mul_f64 v[34:35], v[12:13], v[4:5]
	v_mul_f64 v[4:5], v[10:11], v[4:5]
	v_fma_f64 v[34:35], v[10:11], v[2:3], -v[34:35]
	v_fma_f64 v[2:3], v[12:13], v[2:3], v[4:5]
	v_mul_f64 v[4:5], v[10:11], v[8:9]
	v_add_f64 v[14:15], v[14:15], v[34:35]
	v_add_f64 v[16:17], v[2:3], v[16:17]
	v_mul_f64 v[2:3], v[12:13], v[8:9]
	v_fma_f64 v[4:5], v[12:13], v[6:7], v[4:5]
	v_fma_f64 v[2:3], v[10:11], v[6:7], -v[2:3]
	v_add_f64 v[32:33], v[4:5], v[32:33]
	;; [unrolled: 30-line block ×3, first 2 shown]
	v_add_f64 v[30:31], v[30:31], v[2:3]
	ds_read_b128 v[2:5], v25 offset:64
	ds_read_b128 v[6:9], v24 offset:2048
	s_waitcnt lgkmcnt(0)
	v_mul_f64 v[10:11], v[4:5], v[8:9]
	v_mul_f64 v[12:13], v[2:3], v[8:9]
	v_fma_f64 v[10:11], v[2:3], v[6:7], -v[10:11]
	v_fma_f64 v[12:13], v[4:5], v[6:7], v[12:13]
	v_add_f64 v[34:35], v[34:35], v[10:11]
	v_add_f64 v[36:37], v[12:13], v[36:37]
	ds_read_b128 v[10:13], v24 offset:2304
	s_waitcnt lgkmcnt(0)
	v_mul_f64 v[38:39], v[4:5], v[12:13]
	v_fma_f64 v[38:39], v[2:3], v[10:11], -v[38:39]
	v_mul_f64 v[2:3], v[2:3], v[12:13]
	v_add_f64 v[28:29], v[28:29], v[38:39]
	v_fma_f64 v[2:3], v[4:5], v[10:11], v[2:3]
	v_add_f64 v[26:27], v[2:3], v[26:27]
	ds_read_b128 v[2:5], v25 offset:2112
	s_waitcnt lgkmcnt(0)
	v_mul_f64 v[38:39], v[4:5], v[8:9]
	v_mul_f64 v[8:9], v[2:3], v[8:9]
	v_fma_f64 v[38:39], v[2:3], v[6:7], -v[38:39]
	v_fma_f64 v[6:7], v[4:5], v[6:7], v[8:9]
	v_add_f64 v[14:15], v[14:15], v[38:39]
	v_add_f64 v[16:17], v[6:7], v[16:17]
	v_mul_f64 v[6:7], v[4:5], v[12:13]
	v_fma_f64 v[6:7], v[2:3], v[10:11], -v[6:7]
	v_mul_f64 v[2:3], v[2:3], v[12:13]
	v_add_f64 v[30:31], v[30:31], v[6:7]
	v_fma_f64 v[2:3], v[4:5], v[10:11], v[2:3]
	v_add_f64 v[32:33], v[2:3], v[32:33]
	ds_read_b128 v[2:5], v25 offset:80
	ds_read_b128 v[6:9], v24 offset:2560
	s_waitcnt lgkmcnt(0)
	v_mul_f64 v[10:11], v[4:5], v[8:9]
	v_mul_f64 v[12:13], v[2:3], v[8:9]
	v_fma_f64 v[10:11], v[2:3], v[6:7], -v[10:11]
	v_fma_f64 v[12:13], v[4:5], v[6:7], v[12:13]
	v_add_f64 v[34:35], v[34:35], v[10:11]
	v_add_f64 v[36:37], v[12:13], v[36:37]
	ds_read_b128 v[10:13], v24 offset:2816
	s_waitcnt lgkmcnt(0)
	v_mul_f64 v[38:39], v[4:5], v[12:13]
	v_fma_f64 v[38:39], v[2:3], v[10:11], -v[38:39]
	v_mul_f64 v[2:3], v[2:3], v[12:13]
	v_add_f64 v[28:29], v[28:29], v[38:39]
	v_fma_f64 v[2:3], v[4:5], v[10:11], v[2:3]
	v_add_f64 v[26:27], v[2:3], v[26:27]
	ds_read_b128 v[2:5], v25 offset:2128
	s_waitcnt lgkmcnt(0)
	v_mul_f64 v[38:39], v[4:5], v[8:9]
	v_mul_f64 v[8:9], v[2:3], v[8:9]
	v_fma_f64 v[38:39], v[2:3], v[6:7], -v[38:39]
	v_fma_f64 v[6:7], v[4:5], v[6:7], v[8:9]
	v_add_f64 v[14:15], v[14:15], v[38:39]
	v_add_f64 v[16:17], v[6:7], v[16:17]
	v_mul_f64 v[6:7], v[4:5], v[12:13]
	v_fma_f64 v[6:7], v[2:3], v[10:11], -v[6:7]
	v_mul_f64 v[2:3], v[2:3], v[12:13]
	v_add_f64 v[30:31], v[30:31], v[6:7]
	v_fma_f64 v[2:3], v[4:5], v[10:11], v[2:3]
	;; [unrolled: 31-line block ×3, first 2 shown]
	v_add_f64 v[44:45], v[2:3], v[32:33]
	ds_read_b128 v[2:5], v25 offset:112
	ds_read_b128 v[6:9], v24 offset:3584
	ds_read_b128 v[26:29], v24 offset:3840
	s_waitcnt lgkmcnt(1)
	v_mul_f64 v[10:11], v[4:5], v[8:9]
	s_waitcnt lgkmcnt(0)
	v_mul_f64 v[30:31], v[4:5], v[28:29]
	v_mul_f64 v[12:13], v[2:3], v[8:9]
	v_fma_f64 v[10:11], v[2:3], v[6:7], -v[10:11]
	v_fma_f64 v[30:31], v[2:3], v[26:27], -v[30:31]
	v_mul_f64 v[2:3], v[2:3], v[28:29]
	v_fma_f64 v[12:13], v[4:5], v[6:7], v[12:13]
	v_add_f64 v[10:11], v[34:35], v[10:11]
	v_fma_f64 v[4:5], v[4:5], v[26:27], v[2:3]
	v_add_f64 v[2:3], v[38:39], v[30:31]
	ds_read_b128 v[30:33], v25 offset:2160
	v_add_f64 v[12:13], v[12:13], v[36:37]
	s_waitcnt lgkmcnt(0)
	s_barrier
	v_mul_f64 v[34:35], v[32:33], v[8:9]
	v_mul_f64 v[8:9], v[30:31], v[8:9]
	v_add_f64 v[4:5], v[4:5], v[40:41]
	v_fma_f64 v[34:35], v[30:31], v[6:7], -v[34:35]
	v_fma_f64 v[6:7], v[32:33], v[6:7], v[8:9]
	v_mul_f64 v[8:9], v[30:31], v[28:29]
	v_add_f64 v[14:15], v[14:15], v[34:35]
	v_add_f64 v[16:17], v[6:7], v[16:17]
	v_mul_f64 v[6:7], v[32:33], v[28:29]
	v_fma_f64 v[8:9], v[32:33], v[26:27], v[8:9]
	v_fma_f64 v[6:7], v[30:31], v[26:27], -v[6:7]
	v_add_f64 v[8:9], v[8:9], v[44:45]
	v_mov_b32_e32 v27, s1
	v_mov_b32_e32 v26, s0
	v_cmp_le_u64_e32 vcc, s[12:13], v[26:27]
	v_add_f64 v[6:7], v[42:43], v[6:7]
	s_cbranch_vccz .LBB1170_2
	s_branch .LBB1170_4
.LBB1170_3:
	v_mov_b32_e32 v10, 0
	v_mov_b32_e32 v12, 0
	;; [unrolled: 1-line block ×16, first 2 shown]
.LBB1170_4:
	s_load_dwordx4 s[12:15], s[4:5], 0x48
	s_load_dword s9, s[4:5], 0x0
	v_add_u32_e32 v18, s3, v1
	v_ashrrev_i32_e32 v1, 31, v18
	v_add_u32_e32 v0, s2, v0
	s_waitcnt lgkmcnt(0)
	v_mul_lo_u32 v1, s12, v1
	v_mul_lo_u32 v21, s13, v18
	v_mad_u64_u32 v[19:20], s[4:5], s12, v18, 0
	s_mul_i32 s1, s15, s8
	s_mul_hi_u32 s3, s14, s8
	s_mul_i32 s0, s14, s8
	s_add_i32 s1, s3, s1
	s_lshl_b64 s[0:1], s[0:1], 4
	v_add3_u32 v20, v20, v1, v21
	s_add_u32 s6, s26, s0
	v_lshlrev_b64 v[19:20], 4, v[19:20]
	s_addc_u32 s7, s27, s1
	v_mov_b32_e32 v1, s7
	v_add_co_u32_e32 v19, vcc, s6, v19
	v_addc_co_u32_e32 v20, vcc, v1, v20, vcc
	v_cmp_le_i32_e64 s[0:1], v18, v0
	v_cmp_gt_i32_e32 vcc, s9, v0
	s_and_b64 s[0:1], s[0:1], vcc
	s_and_saveexec_b64 s[2:3], s[0:1]
	s_cbranch_execz .LBB1170_6
; %bb.5:
	v_ashrrev_i32_e32 v1, 31, v0
	v_lshlrev_b64 v[21:22], 4, v[0:1]
	v_add_co_u32_e64 v21, s[0:1], v19, v21
	v_addc_co_u32_e64 v22, s[0:1], v20, v22, s[0:1]
	global_store_dwordx4 v[21:22], v[10:13], off
.LBB1170_6:
	s_or_b64 exec, exec, s[2:3]
	v_add_u32_e32 v10, 16, v0
	v_cmp_le_i32_e64 s[2:3], v18, v10
	v_cmp_gt_i32_e64 s[0:1], s9, v10
	s_and_b64 s[2:3], s[2:3], s[0:1]
	s_and_saveexec_b64 s[4:5], s[2:3]
	s_cbranch_execz .LBB1170_8
; %bb.7:
	v_ashrrev_i32_e32 v11, 31, v10
	v_lshlrev_b64 v[11:12], 4, v[10:11]
	v_add_co_u32_e64 v11, s[2:3], v19, v11
	v_addc_co_u32_e64 v12, s[2:3], v20, v12, s[2:3]
	global_store_dwordx4 v[11:12], v[2:5], off
.LBB1170_8:
	s_or_b64 exec, exec, s[4:5]
	v_add_u32_e32 v2, 16, v18
	v_ashrrev_i32_e32 v1, 31, v2
	v_mul_lo_u32 v5, s13, v2
	v_mad_u64_u32 v[3:4], s[2:3], s12, v2, 0
	v_mul_lo_u32 v1, s12, v1
	v_add3_u32 v4, v4, v1, v5
	v_lshlrev_b64 v[3:4], 4, v[3:4]
	v_mov_b32_e32 v1, s7
	v_add_co_u32_e64 v3, s[2:3], s6, v3
	v_addc_co_u32_e64 v4, s[2:3], v1, v4, s[2:3]
	v_cmp_le_i32_e64 s[2:3], v2, v0
	s_and_b64 s[4:5], s[2:3], vcc
	s_and_saveexec_b64 s[2:3], s[4:5]
	s_cbranch_execz .LBB1170_10
; %bb.9:
	v_ashrrev_i32_e32 v1, 31, v0
	v_lshlrev_b64 v[0:1], 4, v[0:1]
	v_add_co_u32_e32 v0, vcc, v3, v0
	v_addc_co_u32_e32 v1, vcc, v4, v1, vcc
	global_store_dwordx4 v[0:1], v[14:17], off
.LBB1170_10:
	s_or_b64 exec, exec, s[2:3]
	v_cmp_le_i32_e32 vcc, v2, v10
	s_and_b64 s[0:1], vcc, s[0:1]
	s_and_saveexec_b64 s[2:3], s[0:1]
	s_cbranch_execz .LBB1170_12
; %bb.11:
	v_ashrrev_i32_e32 v11, 31, v10
	v_lshlrev_b64 v[0:1], 4, v[10:11]
	v_add_co_u32_e32 v0, vcc, v3, v0
	v_addc_co_u32_e32 v1, vcc, v4, v1, vcc
	global_store_dwordx4 v[0:1], v[6:9], off
.LBB1170_12:
	s_endpgm
	.section	.rodata,"a",@progbits
	.p2align	6, 0x0
	.amdhsa_kernel _ZL37rocblas_syrkx_herkx_restricted_kernelIl19rocblas_complex_numIdELi16ELi32ELi8ELi1ELi0ELb0ELc67ELc76EKS1_S1_EviT_PT9_S3_lS5_S3_lPT10_S3_li
		.amdhsa_group_segment_fixed_size 8192
		.amdhsa_private_segment_fixed_size 0
		.amdhsa_kernarg_size 92
		.amdhsa_user_sgpr_count 6
		.amdhsa_user_sgpr_private_segment_buffer 1
		.amdhsa_user_sgpr_dispatch_ptr 0
		.amdhsa_user_sgpr_queue_ptr 0
		.amdhsa_user_sgpr_kernarg_segment_ptr 1
		.amdhsa_user_sgpr_dispatch_id 0
		.amdhsa_user_sgpr_flat_scratch_init 0
		.amdhsa_user_sgpr_private_segment_size 0
		.amdhsa_uses_dynamic_stack 0
		.amdhsa_system_sgpr_private_segment_wavefront_offset 0
		.amdhsa_system_sgpr_workgroup_id_x 1
		.amdhsa_system_sgpr_workgroup_id_y 1
		.amdhsa_system_sgpr_workgroup_id_z 1
		.amdhsa_system_sgpr_workgroup_info 0
		.amdhsa_system_vgpr_workitem_id 1
		.amdhsa_next_free_vgpr 52
		.amdhsa_next_free_sgpr 61
		.amdhsa_reserve_vcc 1
		.amdhsa_reserve_flat_scratch 0
		.amdhsa_float_round_mode_32 0
		.amdhsa_float_round_mode_16_64 0
		.amdhsa_float_denorm_mode_32 3
		.amdhsa_float_denorm_mode_16_64 3
		.amdhsa_dx10_clamp 1
		.amdhsa_ieee_mode 1
		.amdhsa_fp16_overflow 0
		.amdhsa_exception_fp_ieee_invalid_op 0
		.amdhsa_exception_fp_denorm_src 0
		.amdhsa_exception_fp_ieee_div_zero 0
		.amdhsa_exception_fp_ieee_overflow 0
		.amdhsa_exception_fp_ieee_underflow 0
		.amdhsa_exception_fp_ieee_inexact 0
		.amdhsa_exception_int_div_zero 0
	.end_amdhsa_kernel
	.section	.text._ZL37rocblas_syrkx_herkx_restricted_kernelIl19rocblas_complex_numIdELi16ELi32ELi8ELi1ELi0ELb0ELc67ELc76EKS1_S1_EviT_PT9_S3_lS5_S3_lPT10_S3_li,"axG",@progbits,_ZL37rocblas_syrkx_herkx_restricted_kernelIl19rocblas_complex_numIdELi16ELi32ELi8ELi1ELi0ELb0ELc67ELc76EKS1_S1_EviT_PT9_S3_lS5_S3_lPT10_S3_li,comdat
.Lfunc_end1170:
	.size	_ZL37rocblas_syrkx_herkx_restricted_kernelIl19rocblas_complex_numIdELi16ELi32ELi8ELi1ELi0ELb0ELc67ELc76EKS1_S1_EviT_PT9_S3_lS5_S3_lPT10_S3_li, .Lfunc_end1170-_ZL37rocblas_syrkx_herkx_restricted_kernelIl19rocblas_complex_numIdELi16ELi32ELi8ELi1ELi0ELb0ELc67ELc76EKS1_S1_EviT_PT9_S3_lS5_S3_lPT10_S3_li
                                        ; -- End function
	.set _ZL37rocblas_syrkx_herkx_restricted_kernelIl19rocblas_complex_numIdELi16ELi32ELi8ELi1ELi0ELb0ELc67ELc76EKS1_S1_EviT_PT9_S3_lS5_S3_lPT10_S3_li.num_vgpr, 52
	.set _ZL37rocblas_syrkx_herkx_restricted_kernelIl19rocblas_complex_numIdELi16ELi32ELi8ELi1ELi0ELb0ELc67ELc76EKS1_S1_EviT_PT9_S3_lS5_S3_lPT10_S3_li.num_agpr, 0
	.set _ZL37rocblas_syrkx_herkx_restricted_kernelIl19rocblas_complex_numIdELi16ELi32ELi8ELi1ELi0ELb0ELc67ELc76EKS1_S1_EviT_PT9_S3_lS5_S3_lPT10_S3_li.numbered_sgpr, 28
	.set _ZL37rocblas_syrkx_herkx_restricted_kernelIl19rocblas_complex_numIdELi16ELi32ELi8ELi1ELi0ELb0ELc67ELc76EKS1_S1_EviT_PT9_S3_lS5_S3_lPT10_S3_li.num_named_barrier, 0
	.set _ZL37rocblas_syrkx_herkx_restricted_kernelIl19rocblas_complex_numIdELi16ELi32ELi8ELi1ELi0ELb0ELc67ELc76EKS1_S1_EviT_PT9_S3_lS5_S3_lPT10_S3_li.private_seg_size, 0
	.set _ZL37rocblas_syrkx_herkx_restricted_kernelIl19rocblas_complex_numIdELi16ELi32ELi8ELi1ELi0ELb0ELc67ELc76EKS1_S1_EviT_PT9_S3_lS5_S3_lPT10_S3_li.uses_vcc, 1
	.set _ZL37rocblas_syrkx_herkx_restricted_kernelIl19rocblas_complex_numIdELi16ELi32ELi8ELi1ELi0ELb0ELc67ELc76EKS1_S1_EviT_PT9_S3_lS5_S3_lPT10_S3_li.uses_flat_scratch, 0
	.set _ZL37rocblas_syrkx_herkx_restricted_kernelIl19rocblas_complex_numIdELi16ELi32ELi8ELi1ELi0ELb0ELc67ELc76EKS1_S1_EviT_PT9_S3_lS5_S3_lPT10_S3_li.has_dyn_sized_stack, 0
	.set _ZL37rocblas_syrkx_herkx_restricted_kernelIl19rocblas_complex_numIdELi16ELi32ELi8ELi1ELi0ELb0ELc67ELc76EKS1_S1_EviT_PT9_S3_lS5_S3_lPT10_S3_li.has_recursion, 0
	.set _ZL37rocblas_syrkx_herkx_restricted_kernelIl19rocblas_complex_numIdELi16ELi32ELi8ELi1ELi0ELb0ELc67ELc76EKS1_S1_EviT_PT9_S3_lS5_S3_lPT10_S3_li.has_indirect_call, 0
	.section	.AMDGPU.csdata,"",@progbits
; Kernel info:
; codeLenInByte = 2852
; TotalNumSgprs: 32
; NumVgprs: 52
; ScratchSize: 0
; MemoryBound: 0
; FloatMode: 240
; IeeeMode: 1
; LDSByteSize: 8192 bytes/workgroup (compile time only)
; SGPRBlocks: 8
; VGPRBlocks: 12
; NumSGPRsForWavesPerEU: 65
; NumVGPRsForWavesPerEU: 52
; Occupancy: 4
; WaveLimiterHint : 1
; COMPUTE_PGM_RSRC2:SCRATCH_EN: 0
; COMPUTE_PGM_RSRC2:USER_SGPR: 6
; COMPUTE_PGM_RSRC2:TRAP_HANDLER: 0
; COMPUTE_PGM_RSRC2:TGID_X_EN: 1
; COMPUTE_PGM_RSRC2:TGID_Y_EN: 1
; COMPUTE_PGM_RSRC2:TGID_Z_EN: 1
; COMPUTE_PGM_RSRC2:TIDIG_COMP_CNT: 1
	.section	.text._ZL37rocblas_syrkx_herkx_restricted_kernelIl19rocblas_complex_numIdELi16ELi32ELi8ELi1ELi0ELb0ELc78ELc76EKS1_S1_EviT_PT9_S3_lS5_S3_lPT10_S3_li,"axG",@progbits,_ZL37rocblas_syrkx_herkx_restricted_kernelIl19rocblas_complex_numIdELi16ELi32ELi8ELi1ELi0ELb0ELc78ELc76EKS1_S1_EviT_PT9_S3_lS5_S3_lPT10_S3_li,comdat
	.globl	_ZL37rocblas_syrkx_herkx_restricted_kernelIl19rocblas_complex_numIdELi16ELi32ELi8ELi1ELi0ELb0ELc78ELc76EKS1_S1_EviT_PT9_S3_lS5_S3_lPT10_S3_li ; -- Begin function _ZL37rocblas_syrkx_herkx_restricted_kernelIl19rocblas_complex_numIdELi16ELi32ELi8ELi1ELi0ELb0ELc78ELc76EKS1_S1_EviT_PT9_S3_lS5_S3_lPT10_S3_li
	.p2align	8
	.type	_ZL37rocblas_syrkx_herkx_restricted_kernelIl19rocblas_complex_numIdELi16ELi32ELi8ELi1ELi0ELb0ELc78ELc76EKS1_S1_EviT_PT9_S3_lS5_S3_lPT10_S3_li,@function
_ZL37rocblas_syrkx_herkx_restricted_kernelIl19rocblas_complex_numIdELi16ELi32ELi8ELi1ELi0ELb0ELc78ELc76EKS1_S1_EviT_PT9_S3_lS5_S3_lPT10_S3_li: ; @_ZL37rocblas_syrkx_herkx_restricted_kernelIl19rocblas_complex_numIdELi16ELi32ELi8ELi1ELi0ELb0ELc78ELc76EKS1_S1_EviT_PT9_S3_lS5_S3_lPT10_S3_li
; %bb.0:
	s_load_dwordx16 s[12:27], s[4:5], 0x8
	s_lshl_b32 s9, s6, 5
	s_lshl_b32 s10, s7, 5
	s_waitcnt lgkmcnt(0)
	v_cmp_lt_i64_e64 s[0:1], s[12:13], 1
	s_and_b64 vcc, exec, s[0:1]
	s_cbranch_vccnz .LBB1171_3
; %bb.1:
	v_lshl_add_u32 v6, v1, 4, v0
	v_lshrrev_b32_e32 v7, 3, v6
	v_add_u32_e32 v2, s10, v7
	v_and_b32_e32 v5, 7, v0
	v_ashrrev_i32_e32 v3, 31, v2
	v_mad_u64_u32 v[2:3], s[0:1], s22, v5, v[2:3]
	v_lshrrev_b32_e32 v8, 5, v6
	s_mul_i32 s2, s19, s8
	v_mad_u64_u32 v[3:4], s[0:1], s23, v5, v[3:4]
	v_and_b32_e32 v4, 31, v6
	v_lshlrev_b32_e32 v5, 4, v5
	v_lshlrev_b32_e32 v6, 4, v4
	v_lshl_or_b32 v5, v7, 7, v5
	v_add_u32_e32 v4, s9, v4
	v_add_u32_e32 v23, 0x1000, v5
	v_ashrrev_i32_e32 v5, 31, v4
	v_mad_u64_u32 v[4:5], s[0:1], s16, v8, v[4:5]
	v_lshl_or_b32 v22, v8, 9, v6
	v_mov_b32_e32 v6, 0x1000
	v_lshl_add_u32 v25, v1, 7, v6
	v_mad_u64_u32 v[5:6], s[0:1], s17, v8, v[5:6]
	s_mul_hi_u32 s3, s18, s8
	s_add_i32 s1, s3, s2
	s_mul_i32 s0, s18, s8
	s_lshl_b64 s[0:1], s[0:1], 4
	v_lshlrev_b64 v[4:5], 4, v[4:5]
	s_add_u32 s0, s14, s0
	s_addc_u32 s1, s15, s1
	s_mul_i32 s2, s25, s8
	s_mul_hi_u32 s3, s24, s8
	v_mov_b32_e32 v6, s1
	v_add_co_u32_e32 v4, vcc, s0, v4
	s_add_i32 s3, s3, s2
	s_mul_i32 s2, s24, s8
	v_addc_co_u32_e32 v5, vcc, v6, v5, vcc
	s_lshl_b64 s[0:1], s[16:17], 7
	s_lshl_b64 s[2:3], s[2:3], 4
	v_add_co_u32_e32 v18, vcc, 8, v4
	v_lshlrev_b64 v[2:3], 4, v[2:3]
	s_add_u32 s2, s20, s2
	v_addc_co_u32_e32 v19, vcc, 0, v5, vcc
	s_addc_u32 s3, s21, s3
	v_mov_b32_e32 v4, s3
	v_add_co_u32_e32 v2, vcc, s2, v2
	v_addc_co_u32_e32 v3, vcc, v4, v3, vcc
	v_add_co_u32_e32 v20, vcc, 8, v2
	v_addc_co_u32_e32 v21, vcc, 0, v3, vcc
	s_lshl_b64 s[2:3], s[22:23], 7
	v_mov_b32_e32 v8, 0
	v_mov_b32_e32 v6, 0
	v_mov_b32_e32 v12, 0
	v_mov_b32_e32 v10, 0
	v_mov_b32_e32 v4, 0
	v_mov_b32_e32 v2, 0
	v_mov_b32_e32 v16, 0
	v_mov_b32_e32 v14, 0
	v_lshlrev_b32_e32 v24, 4, v0
	v_mov_b32_e32 v9, 0
	s_mov_b64 s[6:7], 0
	v_mov_b32_e32 v26, s1
	v_mov_b32_e32 v7, 0
	v_mov_b32_e32 v13, 0
	v_mov_b32_e32 v11, 0
	v_mov_b32_e32 v5, 0
	v_mov_b32_e32 v3, 0
	v_mov_b32_e32 v17, 0
	v_mov_b32_e32 v15, 0
	v_mov_b32_e32 v27, s3
.LBB1171_2:                             ; =>This Inner Loop Header: Depth=1
	global_load_dwordx4 v[28:31], v[18:19], off offset:-8
	s_add_u32 s6, s6, 8
	v_add_co_u32_e32 v18, vcc, s0, v18
	s_addc_u32 s7, s7, 0
	v_addc_co_u32_e32 v19, vcc, v19, v26, vcc
	s_waitcnt vmcnt(0)
	ds_write_b128 v22, v[28:31]
	global_load_dwordx4 v[28:31], v[20:21], off offset:-8
	v_add_co_u32_e32 v20, vcc, s2, v20
	v_addc_co_u32_e32 v21, vcc, v21, v27, vcc
	s_waitcnt vmcnt(0)
	ds_write_b128 v23, v[28:31]
	s_waitcnt lgkmcnt(0)
	s_barrier
	ds_read_b128 v[28:31], v25
	ds_read_b128 v[32:35], v25 offset:16
	ds_read_b128 v[36:39], v25 offset:32
	;; [unrolled: 1-line block ×3, first 2 shown]
	ds_read_b128 v[44:47], v24
	s_waitcnt lgkmcnt(0)
	v_mul_f64 v[48:49], v[30:31], v[46:47]
	v_mul_f64 v[50:51], v[28:29], v[46:47]
	v_fma_f64 v[48:49], v[28:29], v[44:45], -v[48:49]
	v_fma_f64 v[50:51], v[30:31], v[44:45], v[50:51]
	v_add_f64 v[48:49], v[14:15], v[48:49]
	v_add_f64 v[50:51], v[50:51], v[16:17]
	ds_read_b128 v[14:17], v24 offset:256
	s_waitcnt lgkmcnt(0)
	v_mul_f64 v[52:53], v[30:31], v[16:17]
	v_fma_f64 v[52:53], v[28:29], v[14:15], -v[52:53]
	v_mul_f64 v[28:29], v[28:29], v[16:17]
	v_fma_f64 v[28:29], v[30:31], v[14:15], v[28:29]
	v_add_f64 v[30:31], v[2:3], v[52:53]
	v_add_f64 v[28:29], v[28:29], v[4:5]
	ds_read_b128 v[2:5], v25 offset:2048
	s_waitcnt lgkmcnt(0)
	v_mul_f64 v[52:53], v[4:5], v[46:47]
	v_mul_f64 v[46:47], v[2:3], v[46:47]
	v_fma_f64 v[52:53], v[2:3], v[44:45], -v[52:53]
	v_fma_f64 v[44:45], v[4:5], v[44:45], v[46:47]
	v_add_f64 v[46:47], v[10:11], v[52:53]
	v_mul_f64 v[10:11], v[4:5], v[16:17]
	v_add_f64 v[44:45], v[44:45], v[12:13]
	v_fma_f64 v[10:11], v[2:3], v[14:15], -v[10:11]
	v_mul_f64 v[2:3], v[2:3], v[16:17]
	v_fma_f64 v[2:3], v[4:5], v[14:15], v[2:3]
	v_add_f64 v[14:15], v[6:7], v[10:11]
	v_add_f64 v[16:17], v[2:3], v[8:9]
	ds_read_b128 v[2:5], v24 offset:512
	s_waitcnt lgkmcnt(0)
	v_mul_f64 v[6:7], v[34:35], v[4:5]
	v_mul_f64 v[8:9], v[32:33], v[4:5]
	v_fma_f64 v[6:7], v[32:33], v[2:3], -v[6:7]
	v_fma_f64 v[8:9], v[34:35], v[2:3], v[8:9]
	v_add_f64 v[48:49], v[48:49], v[6:7]
	v_add_f64 v[50:51], v[8:9], v[50:51]
	ds_read_b128 v[6:9], v24 offset:768
	s_waitcnt lgkmcnt(0)
	v_mul_f64 v[10:11], v[34:35], v[8:9]
	v_mul_f64 v[12:13], v[32:33], v[8:9]
	v_fma_f64 v[10:11], v[32:33], v[6:7], -v[10:11]
	;; [unrolled: 8-line block ×3, first 2 shown]
	v_fma_f64 v[2:3], v[12:13], v[2:3], v[4:5]
	v_mul_f64 v[4:5], v[10:11], v[8:9]
	v_add_f64 v[32:33], v[46:47], v[32:33]
	v_add_f64 v[34:35], v[2:3], v[44:45]
	v_mul_f64 v[2:3], v[12:13], v[8:9]
	v_fma_f64 v[4:5], v[12:13], v[6:7], v[4:5]
	v_fma_f64 v[2:3], v[10:11], v[6:7], -v[2:3]
	v_add_f64 v[16:17], v[4:5], v[16:17]
	v_add_f64 v[14:15], v[14:15], v[2:3]
	ds_read_b128 v[2:5], v24 offset:1024
	s_waitcnt lgkmcnt(0)
	v_mul_f64 v[6:7], v[38:39], v[4:5]
	v_mul_f64 v[8:9], v[36:37], v[4:5]
	v_fma_f64 v[6:7], v[36:37], v[2:3], -v[6:7]
	v_fma_f64 v[8:9], v[38:39], v[2:3], v[8:9]
	v_add_f64 v[44:45], v[48:49], v[6:7]
	v_add_f64 v[46:47], v[8:9], v[50:51]
	ds_read_b128 v[6:9], v24 offset:1280
	s_waitcnt lgkmcnt(0)
	v_mul_f64 v[10:11], v[38:39], v[8:9]
	v_mul_f64 v[12:13], v[36:37], v[8:9]
	v_fma_f64 v[10:11], v[36:37], v[6:7], -v[10:11]
	v_fma_f64 v[12:13], v[38:39], v[6:7], v[12:13]
	;; [unrolled: 8-line block ×3, first 2 shown]
	v_mul_f64 v[4:5], v[10:11], v[8:9]
	v_add_f64 v[32:33], v[32:33], v[36:37]
	v_add_f64 v[34:35], v[2:3], v[34:35]
	v_mul_f64 v[2:3], v[12:13], v[8:9]
	v_fma_f64 v[4:5], v[12:13], v[6:7], v[4:5]
	v_fma_f64 v[2:3], v[10:11], v[6:7], -v[2:3]
	v_add_f64 v[16:17], v[4:5], v[16:17]
	v_add_f64 v[14:15], v[14:15], v[2:3]
	ds_read_b128 v[2:5], v24 offset:1536
	s_waitcnt lgkmcnt(0)
	v_mul_f64 v[6:7], v[42:43], v[4:5]
	v_mul_f64 v[8:9], v[40:41], v[4:5]
	v_fma_f64 v[6:7], v[40:41], v[2:3], -v[6:7]
	v_fma_f64 v[8:9], v[42:43], v[2:3], v[8:9]
	v_add_f64 v[36:37], v[44:45], v[6:7]
	v_add_f64 v[38:39], v[8:9], v[46:47]
	ds_read_b128 v[6:9], v24 offset:1792
	s_waitcnt lgkmcnt(0)
	v_mul_f64 v[10:11], v[42:43], v[8:9]
	v_mul_f64 v[12:13], v[40:41], v[8:9]
	v_fma_f64 v[10:11], v[40:41], v[6:7], -v[10:11]
	v_fma_f64 v[12:13], v[42:43], v[6:7], v[12:13]
	v_add_f64 v[30:31], v[30:31], v[10:11]
	v_add_f64 v[28:29], v[12:13], v[28:29]
	ds_read_b128 v[10:13], v25 offset:2096
	s_waitcnt lgkmcnt(0)
	v_mul_f64 v[40:41], v[12:13], v[4:5]
	v_mul_f64 v[4:5], v[10:11], v[4:5]
	v_fma_f64 v[40:41], v[10:11], v[2:3], -v[40:41]
	v_fma_f64 v[2:3], v[12:13], v[2:3], v[4:5]
	v_mul_f64 v[4:5], v[10:11], v[8:9]
	v_add_f64 v[32:33], v[32:33], v[40:41]
	v_add_f64 v[34:35], v[2:3], v[34:35]
	v_mul_f64 v[2:3], v[12:13], v[8:9]
	v_fma_f64 v[4:5], v[12:13], v[6:7], v[4:5]
	v_fma_f64 v[2:3], v[10:11], v[6:7], -v[2:3]
	v_add_f64 v[16:17], v[4:5], v[16:17]
	v_add_f64 v[14:15], v[14:15], v[2:3]
	ds_read_b128 v[2:5], v25 offset:64
	ds_read_b128 v[6:9], v24 offset:2048
	s_waitcnt lgkmcnt(0)
	v_mul_f64 v[10:11], v[4:5], v[8:9]
	v_mul_f64 v[12:13], v[2:3], v[8:9]
	v_fma_f64 v[10:11], v[2:3], v[6:7], -v[10:11]
	v_fma_f64 v[12:13], v[4:5], v[6:7], v[12:13]
	v_add_f64 v[36:37], v[36:37], v[10:11]
	v_add_f64 v[38:39], v[12:13], v[38:39]
	ds_read_b128 v[10:13], v24 offset:2304
	s_waitcnt lgkmcnt(0)
	v_mul_f64 v[40:41], v[4:5], v[12:13]
	v_fma_f64 v[40:41], v[2:3], v[10:11], -v[40:41]
	v_mul_f64 v[2:3], v[2:3], v[12:13]
	v_add_f64 v[30:31], v[30:31], v[40:41]
	v_fma_f64 v[2:3], v[4:5], v[10:11], v[2:3]
	v_add_f64 v[28:29], v[2:3], v[28:29]
	ds_read_b128 v[2:5], v25 offset:2112
	s_waitcnt lgkmcnt(0)
	v_mul_f64 v[40:41], v[4:5], v[8:9]
	v_mul_f64 v[8:9], v[2:3], v[8:9]
	v_fma_f64 v[40:41], v[2:3], v[6:7], -v[40:41]
	v_fma_f64 v[6:7], v[4:5], v[6:7], v[8:9]
	v_add_f64 v[32:33], v[32:33], v[40:41]
	v_add_f64 v[34:35], v[6:7], v[34:35]
	v_mul_f64 v[6:7], v[4:5], v[12:13]
	v_fma_f64 v[6:7], v[2:3], v[10:11], -v[6:7]
	v_mul_f64 v[2:3], v[2:3], v[12:13]
	v_add_f64 v[14:15], v[14:15], v[6:7]
	v_fma_f64 v[2:3], v[4:5], v[10:11], v[2:3]
	v_add_f64 v[16:17], v[2:3], v[16:17]
	ds_read_b128 v[2:5], v25 offset:80
	ds_read_b128 v[6:9], v24 offset:2560
	s_waitcnt lgkmcnt(0)
	v_mul_f64 v[10:11], v[4:5], v[8:9]
	v_mul_f64 v[12:13], v[2:3], v[8:9]
	v_fma_f64 v[10:11], v[2:3], v[6:7], -v[10:11]
	v_fma_f64 v[12:13], v[4:5], v[6:7], v[12:13]
	v_add_f64 v[36:37], v[36:37], v[10:11]
	v_add_f64 v[38:39], v[12:13], v[38:39]
	ds_read_b128 v[10:13], v24 offset:2816
	s_waitcnt lgkmcnt(0)
	v_mul_f64 v[40:41], v[4:5], v[12:13]
	v_fma_f64 v[40:41], v[2:3], v[10:11], -v[40:41]
	v_mul_f64 v[2:3], v[2:3], v[12:13]
	v_add_f64 v[30:31], v[30:31], v[40:41]
	v_fma_f64 v[2:3], v[4:5], v[10:11], v[2:3]
	v_add_f64 v[28:29], v[2:3], v[28:29]
	ds_read_b128 v[2:5], v25 offset:2128
	s_waitcnt lgkmcnt(0)
	v_mul_f64 v[40:41], v[4:5], v[8:9]
	v_mul_f64 v[8:9], v[2:3], v[8:9]
	v_fma_f64 v[40:41], v[2:3], v[6:7], -v[40:41]
	v_fma_f64 v[6:7], v[4:5], v[6:7], v[8:9]
	v_add_f64 v[32:33], v[32:33], v[40:41]
	v_add_f64 v[34:35], v[6:7], v[34:35]
	v_mul_f64 v[6:7], v[4:5], v[12:13]
	v_fma_f64 v[6:7], v[2:3], v[10:11], -v[6:7]
	v_mul_f64 v[2:3], v[2:3], v[12:13]
	v_add_f64 v[14:15], v[14:15], v[6:7]
	v_fma_f64 v[2:3], v[4:5], v[10:11], v[2:3]
	;; [unrolled: 31-line block ×3, first 2 shown]
	v_add_f64 v[50:51], v[2:3], v[16:17]
	ds_read_b128 v[2:5], v25 offset:112
	ds_read_b128 v[6:9], v24 offset:3584
	;; [unrolled: 1-line block ×4, first 2 shown]
	s_waitcnt lgkmcnt(0)
	s_barrier
	v_mul_f64 v[10:11], v[4:5], v[8:9]
	v_mul_f64 v[12:13], v[2:3], v[8:9]
	v_fma_f64 v[10:11], v[2:3], v[6:7], -v[10:11]
	v_fma_f64 v[12:13], v[4:5], v[6:7], v[12:13]
	v_add_f64 v[14:15], v[36:37], v[10:11]
	v_mul_f64 v[10:11], v[4:5], v[30:31]
	v_add_f64 v[16:17], v[12:13], v[38:39]
	v_fma_f64 v[10:11], v[2:3], v[28:29], -v[10:11]
	v_mul_f64 v[2:3], v[2:3], v[30:31]
	v_fma_f64 v[4:5], v[4:5], v[28:29], v[2:3]
	v_add_f64 v[2:3], v[40:41], v[10:11]
	v_mul_f64 v[10:11], v[34:35], v[8:9]
	v_mul_f64 v[8:9], v[32:33], v[8:9]
	v_add_f64 v[4:5], v[4:5], v[42:43]
	v_fma_f64 v[10:11], v[32:33], v[6:7], -v[10:11]
	v_fma_f64 v[6:7], v[34:35], v[6:7], v[8:9]
	v_mul_f64 v[8:9], v[32:33], v[30:31]
	v_add_f64 v[10:11], v[44:45], v[10:11]
	v_add_f64 v[12:13], v[6:7], v[46:47]
	v_mul_f64 v[6:7], v[34:35], v[30:31]
	v_fma_f64 v[8:9], v[34:35], v[28:29], v[8:9]
	v_fma_f64 v[6:7], v[32:33], v[28:29], -v[6:7]
	v_add_f64 v[8:9], v[8:9], v[50:51]
	v_mov_b32_e32 v29, s7
	v_mov_b32_e32 v28, s6
	v_cmp_le_u64_e32 vcc, s[12:13], v[28:29]
	v_add_f64 v[6:7], v[48:49], v[6:7]
	s_cbranch_vccz .LBB1171_2
	s_branch .LBB1171_4
.LBB1171_3:
	v_mov_b32_e32 v14, 0
	v_mov_b32_e32 v16, 0
	;; [unrolled: 1-line block ×16, first 2 shown]
.LBB1171_4:
	s_load_dwordx4 s[12:15], s[4:5], 0x48
	s_load_dword s11, s[4:5], 0x0
	v_add_u32_e32 v18, s10, v1
	v_ashrrev_i32_e32 v1, 31, v18
	v_add_u32_e32 v0, s9, v0
	s_waitcnt lgkmcnt(0)
	s_mul_i32 s1, s15, s8
	s_mul_hi_u32 s2, s14, s8
	s_add_i32 s1, s2, s1
	v_mul_lo_u32 v1, s12, v1
	v_mul_lo_u32 v21, s13, v18
	v_mad_u64_u32 v[19:20], s[2:3], s12, v18, 0
	s_mul_i32 s0, s14, s8
	s_lshl_b64 s[0:1], s[0:1], 4
	v_add3_u32 v20, v20, v1, v21
	s_add_u32 s6, s26, s0
	v_lshlrev_b64 v[19:20], 4, v[19:20]
	s_addc_u32 s7, s27, s1
	v_mov_b32_e32 v1, s7
	v_add_co_u32_e32 v19, vcc, s6, v19
	v_addc_co_u32_e32 v20, vcc, v1, v20, vcc
	v_cmp_le_i32_e64 s[0:1], v18, v0
	v_cmp_gt_i32_e32 vcc, s11, v0
	s_and_b64 s[0:1], s[0:1], vcc
	s_and_saveexec_b64 s[2:3], s[0:1]
	s_cbranch_execz .LBB1171_6
; %bb.5:
	v_ashrrev_i32_e32 v1, 31, v0
	v_lshlrev_b64 v[21:22], 4, v[0:1]
	v_add_co_u32_e64 v21, s[0:1], v19, v21
	v_addc_co_u32_e64 v22, s[0:1], v20, v22, s[0:1]
	global_store_dwordx4 v[21:22], v[14:17], off
.LBB1171_6:
	s_or_b64 exec, exec, s[2:3]
	v_add_u32_e32 v14, 16, v0
	v_cmp_le_i32_e64 s[2:3], v18, v14
	v_cmp_gt_i32_e64 s[0:1], s11, v14
	s_and_b64 s[2:3], s[2:3], s[0:1]
	s_and_saveexec_b64 s[4:5], s[2:3]
	s_cbranch_execz .LBB1171_8
; %bb.7:
	v_ashrrev_i32_e32 v15, 31, v14
	v_lshlrev_b64 v[15:16], 4, v[14:15]
	v_add_co_u32_e64 v15, s[2:3], v19, v15
	v_addc_co_u32_e64 v16, s[2:3], v20, v16, s[2:3]
	global_store_dwordx4 v[15:16], v[2:5], off
.LBB1171_8:
	s_or_b64 exec, exec, s[4:5]
	v_add_u32_e32 v2, 16, v18
	v_ashrrev_i32_e32 v1, 31, v2
	v_mul_lo_u32 v5, s13, v2
	v_mad_u64_u32 v[3:4], s[2:3], s12, v2, 0
	v_mul_lo_u32 v1, s12, v1
	v_add3_u32 v4, v4, v1, v5
	v_lshlrev_b64 v[3:4], 4, v[3:4]
	v_mov_b32_e32 v1, s7
	v_add_co_u32_e64 v3, s[2:3], s6, v3
	v_addc_co_u32_e64 v4, s[2:3], v1, v4, s[2:3]
	v_cmp_le_i32_e64 s[2:3], v2, v0
	s_and_b64 s[4:5], s[2:3], vcc
	s_and_saveexec_b64 s[2:3], s[4:5]
	s_cbranch_execz .LBB1171_10
; %bb.9:
	v_ashrrev_i32_e32 v1, 31, v0
	v_lshlrev_b64 v[0:1], 4, v[0:1]
	v_add_co_u32_e32 v0, vcc, v3, v0
	v_addc_co_u32_e32 v1, vcc, v4, v1, vcc
	global_store_dwordx4 v[0:1], v[10:13], off
.LBB1171_10:
	s_or_b64 exec, exec, s[2:3]
	v_cmp_le_i32_e32 vcc, v2, v14
	s_and_b64 s[0:1], vcc, s[0:1]
	s_and_saveexec_b64 s[2:3], s[0:1]
	s_cbranch_execz .LBB1171_12
; %bb.11:
	v_ashrrev_i32_e32 v15, 31, v14
	v_lshlrev_b64 v[0:1], 4, v[14:15]
	v_add_co_u32_e32 v0, vcc, v3, v0
	v_addc_co_u32_e32 v1, vcc, v4, v1, vcc
	global_store_dwordx4 v[0:1], v[6:9], off
.LBB1171_12:
	s_endpgm
	.section	.rodata,"a",@progbits
	.p2align	6, 0x0
	.amdhsa_kernel _ZL37rocblas_syrkx_herkx_restricted_kernelIl19rocblas_complex_numIdELi16ELi32ELi8ELi1ELi0ELb0ELc78ELc76EKS1_S1_EviT_PT9_S3_lS5_S3_lPT10_S3_li
		.amdhsa_group_segment_fixed_size 8192
		.amdhsa_private_segment_fixed_size 0
		.amdhsa_kernarg_size 92
		.amdhsa_user_sgpr_count 6
		.amdhsa_user_sgpr_private_segment_buffer 1
		.amdhsa_user_sgpr_dispatch_ptr 0
		.amdhsa_user_sgpr_queue_ptr 0
		.amdhsa_user_sgpr_kernarg_segment_ptr 1
		.amdhsa_user_sgpr_dispatch_id 0
		.amdhsa_user_sgpr_flat_scratch_init 0
		.amdhsa_user_sgpr_private_segment_size 0
		.amdhsa_uses_dynamic_stack 0
		.amdhsa_system_sgpr_private_segment_wavefront_offset 0
		.amdhsa_system_sgpr_workgroup_id_x 1
		.amdhsa_system_sgpr_workgroup_id_y 1
		.amdhsa_system_sgpr_workgroup_id_z 1
		.amdhsa_system_sgpr_workgroup_info 0
		.amdhsa_system_vgpr_workitem_id 1
		.amdhsa_next_free_vgpr 54
		.amdhsa_next_free_sgpr 61
		.amdhsa_reserve_vcc 1
		.amdhsa_reserve_flat_scratch 0
		.amdhsa_float_round_mode_32 0
		.amdhsa_float_round_mode_16_64 0
		.amdhsa_float_denorm_mode_32 3
		.amdhsa_float_denorm_mode_16_64 3
		.amdhsa_dx10_clamp 1
		.amdhsa_ieee_mode 1
		.amdhsa_fp16_overflow 0
		.amdhsa_exception_fp_ieee_invalid_op 0
		.amdhsa_exception_fp_denorm_src 0
		.amdhsa_exception_fp_ieee_div_zero 0
		.amdhsa_exception_fp_ieee_overflow 0
		.amdhsa_exception_fp_ieee_underflow 0
		.amdhsa_exception_fp_ieee_inexact 0
		.amdhsa_exception_int_div_zero 0
	.end_amdhsa_kernel
	.section	.text._ZL37rocblas_syrkx_herkx_restricted_kernelIl19rocblas_complex_numIdELi16ELi32ELi8ELi1ELi0ELb0ELc78ELc76EKS1_S1_EviT_PT9_S3_lS5_S3_lPT10_S3_li,"axG",@progbits,_ZL37rocblas_syrkx_herkx_restricted_kernelIl19rocblas_complex_numIdELi16ELi32ELi8ELi1ELi0ELb0ELc78ELc76EKS1_S1_EviT_PT9_S3_lS5_S3_lPT10_S3_li,comdat
.Lfunc_end1171:
	.size	_ZL37rocblas_syrkx_herkx_restricted_kernelIl19rocblas_complex_numIdELi16ELi32ELi8ELi1ELi0ELb0ELc78ELc76EKS1_S1_EviT_PT9_S3_lS5_S3_lPT10_S3_li, .Lfunc_end1171-_ZL37rocblas_syrkx_herkx_restricted_kernelIl19rocblas_complex_numIdELi16ELi32ELi8ELi1ELi0ELb0ELc78ELc76EKS1_S1_EviT_PT9_S3_lS5_S3_lPT10_S3_li
                                        ; -- End function
	.set _ZL37rocblas_syrkx_herkx_restricted_kernelIl19rocblas_complex_numIdELi16ELi32ELi8ELi1ELi0ELb0ELc78ELc76EKS1_S1_EviT_PT9_S3_lS5_S3_lPT10_S3_li.num_vgpr, 54
	.set _ZL37rocblas_syrkx_herkx_restricted_kernelIl19rocblas_complex_numIdELi16ELi32ELi8ELi1ELi0ELb0ELc78ELc76EKS1_S1_EviT_PT9_S3_lS5_S3_lPT10_S3_li.num_agpr, 0
	.set _ZL37rocblas_syrkx_herkx_restricted_kernelIl19rocblas_complex_numIdELi16ELi32ELi8ELi1ELi0ELb0ELc78ELc76EKS1_S1_EviT_PT9_S3_lS5_S3_lPT10_S3_li.numbered_sgpr, 28
	.set _ZL37rocblas_syrkx_herkx_restricted_kernelIl19rocblas_complex_numIdELi16ELi32ELi8ELi1ELi0ELb0ELc78ELc76EKS1_S1_EviT_PT9_S3_lS5_S3_lPT10_S3_li.num_named_barrier, 0
	.set _ZL37rocblas_syrkx_herkx_restricted_kernelIl19rocblas_complex_numIdELi16ELi32ELi8ELi1ELi0ELb0ELc78ELc76EKS1_S1_EviT_PT9_S3_lS5_S3_lPT10_S3_li.private_seg_size, 0
	.set _ZL37rocblas_syrkx_herkx_restricted_kernelIl19rocblas_complex_numIdELi16ELi32ELi8ELi1ELi0ELb0ELc78ELc76EKS1_S1_EviT_PT9_S3_lS5_S3_lPT10_S3_li.uses_vcc, 1
	.set _ZL37rocblas_syrkx_herkx_restricted_kernelIl19rocblas_complex_numIdELi16ELi32ELi8ELi1ELi0ELb0ELc78ELc76EKS1_S1_EviT_PT9_S3_lS5_S3_lPT10_S3_li.uses_flat_scratch, 0
	.set _ZL37rocblas_syrkx_herkx_restricted_kernelIl19rocblas_complex_numIdELi16ELi32ELi8ELi1ELi0ELb0ELc78ELc76EKS1_S1_EviT_PT9_S3_lS5_S3_lPT10_S3_li.has_dyn_sized_stack, 0
	.set _ZL37rocblas_syrkx_herkx_restricted_kernelIl19rocblas_complex_numIdELi16ELi32ELi8ELi1ELi0ELb0ELc78ELc76EKS1_S1_EviT_PT9_S3_lS5_S3_lPT10_S3_li.has_recursion, 0
	.set _ZL37rocblas_syrkx_herkx_restricted_kernelIl19rocblas_complex_numIdELi16ELi32ELi8ELi1ELi0ELb0ELc78ELc76EKS1_S1_EviT_PT9_S3_lS5_S3_lPT10_S3_li.has_indirect_call, 0
	.section	.AMDGPU.csdata,"",@progbits
; Kernel info:
; codeLenInByte = 2812
; TotalNumSgprs: 32
; NumVgprs: 54
; ScratchSize: 0
; MemoryBound: 0
; FloatMode: 240
; IeeeMode: 1
; LDSByteSize: 8192 bytes/workgroup (compile time only)
; SGPRBlocks: 8
; VGPRBlocks: 13
; NumSGPRsForWavesPerEU: 65
; NumVGPRsForWavesPerEU: 54
; Occupancy: 4
; WaveLimiterHint : 1
; COMPUTE_PGM_RSRC2:SCRATCH_EN: 0
; COMPUTE_PGM_RSRC2:USER_SGPR: 6
; COMPUTE_PGM_RSRC2:TRAP_HANDLER: 0
; COMPUTE_PGM_RSRC2:TGID_X_EN: 1
; COMPUTE_PGM_RSRC2:TGID_Y_EN: 1
; COMPUTE_PGM_RSRC2:TGID_Z_EN: 1
; COMPUTE_PGM_RSRC2:TIDIG_COMP_CNT: 1
	.section	.text._ZL37rocblas_syrkx_herkx_restricted_kernelIl19rocblas_complex_numIdELi16ELi32ELi8ELi1ELi0ELb0ELc84ELc85EKS1_S1_EviT_PT9_S3_lS5_S3_lPT10_S3_li,"axG",@progbits,_ZL37rocblas_syrkx_herkx_restricted_kernelIl19rocblas_complex_numIdELi16ELi32ELi8ELi1ELi0ELb0ELc84ELc85EKS1_S1_EviT_PT9_S3_lS5_S3_lPT10_S3_li,comdat
	.globl	_ZL37rocblas_syrkx_herkx_restricted_kernelIl19rocblas_complex_numIdELi16ELi32ELi8ELi1ELi0ELb0ELc84ELc85EKS1_S1_EviT_PT9_S3_lS5_S3_lPT10_S3_li ; -- Begin function _ZL37rocblas_syrkx_herkx_restricted_kernelIl19rocblas_complex_numIdELi16ELi32ELi8ELi1ELi0ELb0ELc84ELc85EKS1_S1_EviT_PT9_S3_lS5_S3_lPT10_S3_li
	.p2align	8
	.type	_ZL37rocblas_syrkx_herkx_restricted_kernelIl19rocblas_complex_numIdELi16ELi32ELi8ELi1ELi0ELb0ELc84ELc85EKS1_S1_EviT_PT9_S3_lS5_S3_lPT10_S3_li,@function
_ZL37rocblas_syrkx_herkx_restricted_kernelIl19rocblas_complex_numIdELi16ELi32ELi8ELi1ELi0ELb0ELc84ELc85EKS1_S1_EviT_PT9_S3_lS5_S3_lPT10_S3_li: ; @_ZL37rocblas_syrkx_herkx_restricted_kernelIl19rocblas_complex_numIdELi16ELi32ELi8ELi1ELi0ELb0ELc84ELc85EKS1_S1_EviT_PT9_S3_lS5_S3_lPT10_S3_li
; %bb.0:
	s_load_dwordx16 s[12:27], s[4:5], 0x8
	s_lshl_b32 s2, s6, 5
	s_lshl_b32 s3, s7, 5
	s_waitcnt lgkmcnt(0)
	v_cmp_lt_i64_e64 s[0:1], s[12:13], 1
	s_and_b64 vcc, exec, s[0:1]
	s_cbranch_vccnz .LBB1172_3
; %bb.1:
	v_lshl_add_u32 v6, v1, 4, v0
	v_lshrrev_b32_e32 v8, 3, v6
	v_add_u32_e32 v4, s3, v8
	v_ashrrev_i32_e32 v5, 31, v4
	v_and_b32_e32 v2, 7, v0
	v_mov_b32_e32 v3, 0
	v_mul_lo_u32 v7, s22, v5
	v_mul_lo_u32 v9, s23, v4
	v_mad_u64_u32 v[4:5], s[0:1], s22, v4, v[2:3]
	v_lshlrev_b32_e32 v2, 4, v2
	v_lshl_or_b32 v2, v8, 7, v2
	v_add3_u32 v5, v9, v5, v7
	v_and_b32_e32 v9, 31, v6
	v_add_u32_e32 v23, 0x1000, v2
	v_mov_b32_e32 v2, 0x1000
	v_add_u32_e32 v8, s2, v9
	v_lshrrev_b32_e32 v6, 5, v6
	v_mov_b32_e32 v7, v3
	v_lshlrev_b32_e32 v3, 4, v9
	v_lshl_add_u32 v25, v1, 7, v2
	v_ashrrev_i32_e32 v2, 31, v8
	v_lshl_or_b32 v22, v6, 9, v3
	v_mul_lo_u32 v9, s16, v2
	v_mad_u64_u32 v[2:3], s[0:1], s16, v8, v[6:7]
	v_mul_lo_u32 v6, s17, v8
	s_mul_i32 s6, s19, s8
	s_mul_hi_u32 s7, s18, s8
	s_add_i32 s1, s7, s6
	s_mul_i32 s0, s18, s8
	s_lshl_b64 s[0:1], s[0:1], 4
	v_add3_u32 v3, v6, v3, v9
	v_lshlrev_b64 v[2:3], 4, v[2:3]
	s_add_u32 s0, s14, s0
	s_addc_u32 s1, s15, s1
	v_mov_b32_e32 v6, s1
	v_add_co_u32_e32 v2, vcc, s0, v2
	s_mul_i32 s0, s25, s8
	s_mul_hi_u32 s1, s24, s8
	v_addc_co_u32_e32 v3, vcc, v6, v3, vcc
	s_add_i32 s1, s1, s0
	s_mul_i32 s0, s24, s8
	v_add_co_u32_e32 v18, vcc, 8, v2
	s_lshl_b64 s[0:1], s[0:1], 4
	v_addc_co_u32_e32 v19, vcc, 0, v3, vcc
	v_lshlrev_b64 v[2:3], 4, v[4:5]
	s_add_u32 s0, s20, s0
	s_addc_u32 s1, s21, s1
	v_mov_b32_e32 v4, s1
	v_add_co_u32_e32 v2, vcc, s0, v2
	v_addc_co_u32_e32 v3, vcc, v4, v3, vcc
	v_add_co_u32_e32 v20, vcc, 8, v2
	v_addc_co_u32_e32 v21, vcc, 0, v3, vcc
	v_mov_b32_e32 v8, 0
	v_mov_b32_e32 v6, 0
	;; [unrolled: 1-line block ×8, first 2 shown]
	v_lshlrev_b32_e32 v24, 4, v0
	v_mov_b32_e32 v9, 0
	v_mov_b32_e32 v7, 0
	;; [unrolled: 1-line block ×8, first 2 shown]
	s_mov_b64 s[0:1], 0
.LBB1172_2:                             ; =>This Inner Loop Header: Depth=1
	global_load_dwordx4 v[26:29], v[18:19], off offset:-8
	s_add_u32 s0, s0, 8
	v_add_co_u32_e32 v18, vcc, 0x80, v18
	s_addc_u32 s1, s1, 0
	v_addc_co_u32_e32 v19, vcc, 0, v19, vcc
	s_waitcnt vmcnt(0)
	ds_write_b128 v22, v[26:29]
	global_load_dwordx4 v[26:29], v[20:21], off offset:-8
	v_add_co_u32_e32 v20, vcc, 0x80, v20
	v_addc_co_u32_e32 v21, vcc, 0, v21, vcc
	s_waitcnt vmcnt(0)
	ds_write_b128 v23, v[26:29]
	s_waitcnt lgkmcnt(0)
	s_barrier
	ds_read_b128 v[26:29], v25
	ds_read_b128 v[30:33], v25 offset:16
	ds_read_b128 v[34:37], v25 offset:32
	;; [unrolled: 1-line block ×3, first 2 shown]
	ds_read_b128 v[42:45], v24
	s_waitcnt lgkmcnt(0)
	v_mul_f64 v[46:47], v[28:29], v[44:45]
	v_mul_f64 v[48:49], v[26:27], v[44:45]
	v_fma_f64 v[46:47], v[26:27], v[42:43], -v[46:47]
	v_fma_f64 v[48:49], v[28:29], v[42:43], v[48:49]
	v_add_f64 v[46:47], v[10:11], v[46:47]
	v_add_f64 v[48:49], v[48:49], v[12:13]
	ds_read_b128 v[10:13], v24 offset:256
	s_waitcnt lgkmcnt(0)
	v_mul_f64 v[50:51], v[28:29], v[12:13]
	v_fma_f64 v[50:51], v[26:27], v[10:11], -v[50:51]
	v_mul_f64 v[26:27], v[26:27], v[12:13]
	v_fma_f64 v[26:27], v[28:29], v[10:11], v[26:27]
	v_add_f64 v[28:29], v[2:3], v[50:51]
	v_add_f64 v[26:27], v[26:27], v[4:5]
	ds_read_b128 v[2:5], v25 offset:2048
	s_waitcnt lgkmcnt(0)
	v_mul_f64 v[50:51], v[4:5], v[44:45]
	v_mul_f64 v[44:45], v[2:3], v[44:45]
	v_fma_f64 v[50:51], v[2:3], v[42:43], -v[50:51]
	v_fma_f64 v[42:43], v[4:5], v[42:43], v[44:45]
	v_add_f64 v[14:15], v[14:15], v[50:51]
	v_add_f64 v[16:17], v[42:43], v[16:17]
	v_mul_f64 v[42:43], v[4:5], v[12:13]
	v_fma_f64 v[42:43], v[2:3], v[10:11], -v[42:43]
	v_mul_f64 v[2:3], v[2:3], v[12:13]
	v_add_f64 v[42:43], v[6:7], v[42:43]
	v_fma_f64 v[2:3], v[4:5], v[10:11], v[2:3]
	v_add_f64 v[44:45], v[2:3], v[8:9]
	ds_read_b128 v[2:5], v24 offset:512
	s_waitcnt lgkmcnt(0)
	v_mul_f64 v[6:7], v[32:33], v[4:5]
	v_mul_f64 v[8:9], v[30:31], v[4:5]
	v_fma_f64 v[6:7], v[30:31], v[2:3], -v[6:7]
	v_fma_f64 v[8:9], v[32:33], v[2:3], v[8:9]
	v_add_f64 v[46:47], v[46:47], v[6:7]
	v_add_f64 v[48:49], v[8:9], v[48:49]
	ds_read_b128 v[6:9], v24 offset:768
	s_waitcnt lgkmcnt(0)
	v_mul_f64 v[10:11], v[32:33], v[8:9]
	v_mul_f64 v[12:13], v[30:31], v[8:9]
	v_fma_f64 v[10:11], v[30:31], v[6:7], -v[10:11]
	v_fma_f64 v[12:13], v[32:33], v[6:7], v[12:13]
	v_add_f64 v[28:29], v[28:29], v[10:11]
	v_add_f64 v[26:27], v[12:13], v[26:27]
	ds_read_b128 v[10:13], v25 offset:2064
	s_waitcnt lgkmcnt(0)
	v_mul_f64 v[30:31], v[12:13], v[4:5]
	v_mul_f64 v[4:5], v[10:11], v[4:5]
	v_fma_f64 v[30:31], v[10:11], v[2:3], -v[30:31]
	v_fma_f64 v[2:3], v[12:13], v[2:3], v[4:5]
	v_mul_f64 v[4:5], v[10:11], v[8:9]
	v_add_f64 v[14:15], v[14:15], v[30:31]
	v_add_f64 v[16:17], v[2:3], v[16:17]
	v_mul_f64 v[2:3], v[12:13], v[8:9]
	v_fma_f64 v[4:5], v[12:13], v[6:7], v[4:5]
	v_fma_f64 v[2:3], v[10:11], v[6:7], -v[2:3]
	v_add_f64 v[32:33], v[4:5], v[44:45]
	v_add_f64 v[30:31], v[42:43], v[2:3]
	ds_read_b128 v[2:5], v24 offset:1024
	s_waitcnt lgkmcnt(0)
	v_mul_f64 v[6:7], v[36:37], v[4:5]
	v_mul_f64 v[8:9], v[34:35], v[4:5]
	v_fma_f64 v[6:7], v[34:35], v[2:3], -v[6:7]
	v_fma_f64 v[8:9], v[36:37], v[2:3], v[8:9]
	v_add_f64 v[42:43], v[46:47], v[6:7]
	v_add_f64 v[44:45], v[8:9], v[48:49]
	ds_read_b128 v[6:9], v24 offset:1280
	s_waitcnt lgkmcnt(0)
	v_mul_f64 v[10:11], v[36:37], v[8:9]
	v_mul_f64 v[12:13], v[34:35], v[8:9]
	v_fma_f64 v[10:11], v[34:35], v[6:7], -v[10:11]
	v_fma_f64 v[12:13], v[36:37], v[6:7], v[12:13]
	v_add_f64 v[28:29], v[28:29], v[10:11]
	v_add_f64 v[26:27], v[12:13], v[26:27]
	ds_read_b128 v[10:13], v25 offset:2080
	s_waitcnt lgkmcnt(0)
	v_mul_f64 v[34:35], v[12:13], v[4:5]
	v_mul_f64 v[4:5], v[10:11], v[4:5]
	v_fma_f64 v[34:35], v[10:11], v[2:3], -v[34:35]
	v_fma_f64 v[2:3], v[12:13], v[2:3], v[4:5]
	v_mul_f64 v[4:5], v[10:11], v[8:9]
	v_add_f64 v[14:15], v[14:15], v[34:35]
	v_add_f64 v[16:17], v[2:3], v[16:17]
	v_mul_f64 v[2:3], v[12:13], v[8:9]
	v_fma_f64 v[4:5], v[12:13], v[6:7], v[4:5]
	v_fma_f64 v[2:3], v[10:11], v[6:7], -v[2:3]
	v_add_f64 v[32:33], v[4:5], v[32:33]
	;; [unrolled: 30-line block ×3, first 2 shown]
	v_add_f64 v[30:31], v[30:31], v[2:3]
	ds_read_b128 v[2:5], v25 offset:64
	ds_read_b128 v[6:9], v24 offset:2048
	s_waitcnt lgkmcnt(0)
	v_mul_f64 v[10:11], v[4:5], v[8:9]
	v_mul_f64 v[12:13], v[2:3], v[8:9]
	v_fma_f64 v[10:11], v[2:3], v[6:7], -v[10:11]
	v_fma_f64 v[12:13], v[4:5], v[6:7], v[12:13]
	v_add_f64 v[34:35], v[34:35], v[10:11]
	v_add_f64 v[36:37], v[12:13], v[36:37]
	ds_read_b128 v[10:13], v24 offset:2304
	s_waitcnt lgkmcnt(0)
	v_mul_f64 v[38:39], v[4:5], v[12:13]
	v_fma_f64 v[38:39], v[2:3], v[10:11], -v[38:39]
	v_mul_f64 v[2:3], v[2:3], v[12:13]
	v_add_f64 v[28:29], v[28:29], v[38:39]
	v_fma_f64 v[2:3], v[4:5], v[10:11], v[2:3]
	v_add_f64 v[26:27], v[2:3], v[26:27]
	ds_read_b128 v[2:5], v25 offset:2112
	s_waitcnt lgkmcnt(0)
	v_mul_f64 v[38:39], v[4:5], v[8:9]
	v_mul_f64 v[8:9], v[2:3], v[8:9]
	v_fma_f64 v[38:39], v[2:3], v[6:7], -v[38:39]
	v_fma_f64 v[6:7], v[4:5], v[6:7], v[8:9]
	v_add_f64 v[14:15], v[14:15], v[38:39]
	v_add_f64 v[16:17], v[6:7], v[16:17]
	v_mul_f64 v[6:7], v[4:5], v[12:13]
	v_fma_f64 v[6:7], v[2:3], v[10:11], -v[6:7]
	v_mul_f64 v[2:3], v[2:3], v[12:13]
	v_add_f64 v[30:31], v[30:31], v[6:7]
	v_fma_f64 v[2:3], v[4:5], v[10:11], v[2:3]
	v_add_f64 v[32:33], v[2:3], v[32:33]
	ds_read_b128 v[2:5], v25 offset:80
	ds_read_b128 v[6:9], v24 offset:2560
	s_waitcnt lgkmcnt(0)
	v_mul_f64 v[10:11], v[4:5], v[8:9]
	v_mul_f64 v[12:13], v[2:3], v[8:9]
	v_fma_f64 v[10:11], v[2:3], v[6:7], -v[10:11]
	v_fma_f64 v[12:13], v[4:5], v[6:7], v[12:13]
	v_add_f64 v[34:35], v[34:35], v[10:11]
	v_add_f64 v[36:37], v[12:13], v[36:37]
	ds_read_b128 v[10:13], v24 offset:2816
	s_waitcnt lgkmcnt(0)
	v_mul_f64 v[38:39], v[4:5], v[12:13]
	v_fma_f64 v[38:39], v[2:3], v[10:11], -v[38:39]
	v_mul_f64 v[2:3], v[2:3], v[12:13]
	v_add_f64 v[28:29], v[28:29], v[38:39]
	v_fma_f64 v[2:3], v[4:5], v[10:11], v[2:3]
	v_add_f64 v[26:27], v[2:3], v[26:27]
	ds_read_b128 v[2:5], v25 offset:2128
	s_waitcnt lgkmcnt(0)
	v_mul_f64 v[38:39], v[4:5], v[8:9]
	v_mul_f64 v[8:9], v[2:3], v[8:9]
	v_fma_f64 v[38:39], v[2:3], v[6:7], -v[38:39]
	v_fma_f64 v[6:7], v[4:5], v[6:7], v[8:9]
	v_add_f64 v[14:15], v[14:15], v[38:39]
	v_add_f64 v[16:17], v[6:7], v[16:17]
	v_mul_f64 v[6:7], v[4:5], v[12:13]
	v_fma_f64 v[6:7], v[2:3], v[10:11], -v[6:7]
	v_mul_f64 v[2:3], v[2:3], v[12:13]
	v_add_f64 v[30:31], v[30:31], v[6:7]
	v_fma_f64 v[2:3], v[4:5], v[10:11], v[2:3]
	;; [unrolled: 31-line block ×3, first 2 shown]
	v_add_f64 v[44:45], v[2:3], v[32:33]
	ds_read_b128 v[2:5], v25 offset:112
	ds_read_b128 v[6:9], v24 offset:3584
	;; [unrolled: 1-line block ×3, first 2 shown]
	s_waitcnt lgkmcnt(1)
	v_mul_f64 v[10:11], v[4:5], v[8:9]
	s_waitcnt lgkmcnt(0)
	v_mul_f64 v[30:31], v[4:5], v[28:29]
	v_mul_f64 v[12:13], v[2:3], v[8:9]
	v_fma_f64 v[10:11], v[2:3], v[6:7], -v[10:11]
	v_fma_f64 v[30:31], v[2:3], v[26:27], -v[30:31]
	v_mul_f64 v[2:3], v[2:3], v[28:29]
	v_fma_f64 v[12:13], v[4:5], v[6:7], v[12:13]
	v_add_f64 v[10:11], v[34:35], v[10:11]
	v_fma_f64 v[4:5], v[4:5], v[26:27], v[2:3]
	v_add_f64 v[2:3], v[38:39], v[30:31]
	ds_read_b128 v[30:33], v25 offset:2160
	v_add_f64 v[12:13], v[12:13], v[36:37]
	s_waitcnt lgkmcnt(0)
	s_barrier
	v_mul_f64 v[34:35], v[32:33], v[8:9]
	v_mul_f64 v[8:9], v[30:31], v[8:9]
	v_add_f64 v[4:5], v[4:5], v[40:41]
	v_fma_f64 v[34:35], v[30:31], v[6:7], -v[34:35]
	v_fma_f64 v[6:7], v[32:33], v[6:7], v[8:9]
	v_mul_f64 v[8:9], v[30:31], v[28:29]
	v_add_f64 v[14:15], v[14:15], v[34:35]
	v_add_f64 v[16:17], v[6:7], v[16:17]
	v_mul_f64 v[6:7], v[32:33], v[28:29]
	v_fma_f64 v[8:9], v[32:33], v[26:27], v[8:9]
	v_fma_f64 v[6:7], v[30:31], v[26:27], -v[6:7]
	v_add_f64 v[8:9], v[8:9], v[44:45]
	v_mov_b32_e32 v27, s1
	v_mov_b32_e32 v26, s0
	v_cmp_le_u64_e32 vcc, s[12:13], v[26:27]
	v_add_f64 v[6:7], v[42:43], v[6:7]
	s_cbranch_vccz .LBB1172_2
	s_branch .LBB1172_4
.LBB1172_3:
	v_mov_b32_e32 v10, 0
	v_mov_b32_e32 v12, 0
	;; [unrolled: 1-line block ×16, first 2 shown]
.LBB1172_4:
	s_load_dwordx4 s[12:15], s[4:5], 0x48
	s_load_dword s6, s[4:5], 0x0
	v_add_u32_e32 v18, s3, v1
	v_ashrrev_i32_e32 v1, 31, v18
	v_add_u32_e32 v0, s2, v0
	s_waitcnt lgkmcnt(0)
	s_mul_i32 s1, s15, s8
	s_mul_hi_u32 s3, s14, s8
	s_mul_i32 s0, s14, s8
	v_mul_lo_u32 v1, s12, v1
	v_mul_lo_u32 v21, s13, v18
	v_mad_u64_u32 v[19:20], s[8:9], s12, v18, 0
	s_add_i32 s1, s3, s1
	s_lshl_b64 s[0:1], s[0:1], 4
	v_add3_u32 v20, v20, v1, v21
	s_add_u32 s4, s26, s0
	v_lshlrev_b64 v[19:20], 4, v[19:20]
	s_addc_u32 s5, s27, s1
	v_mov_b32_e32 v1, s5
	v_add_co_u32_e64 v19, s[0:1], s4, v19
	v_addc_co_u32_e64 v20, s[0:1], v1, v20, s[0:1]
	v_cmp_gt_i32_e32 vcc, s6, v18
	v_cmp_le_i32_e64 s[0:1], v0, v18
	s_and_b64 s[0:1], vcc, s[0:1]
	s_and_saveexec_b64 s[2:3], s[0:1]
	s_cbranch_execz .LBB1172_6
; %bb.5:
	v_ashrrev_i32_e32 v1, 31, v0
	v_lshlrev_b64 v[21:22], 4, v[0:1]
	v_add_co_u32_e64 v21, s[0:1], v19, v21
	v_addc_co_u32_e64 v22, s[0:1], v20, v22, s[0:1]
	global_store_dwordx4 v[21:22], v[10:13], off
.LBB1172_6:
	s_or_b64 exec, exec, s[2:3]
	v_add_u32_e32 v10, 16, v0
	v_cmp_le_i32_e64 s[0:1], v10, v18
	s_and_b64 s[2:3], vcc, s[0:1]
	s_and_saveexec_b64 s[0:1], s[2:3]
	s_cbranch_execz .LBB1172_8
; %bb.7:
	v_ashrrev_i32_e32 v11, 31, v10
	v_lshlrev_b64 v[11:12], 4, v[10:11]
	v_add_co_u32_e32 v11, vcc, v19, v11
	v_addc_co_u32_e32 v12, vcc, v20, v12, vcc
	global_store_dwordx4 v[11:12], v[2:5], off
.LBB1172_8:
	s_or_b64 exec, exec, s[0:1]
	v_add_u32_e32 v2, 16, v18
	v_ashrrev_i32_e32 v1, 31, v2
	v_mul_lo_u32 v1, s12, v1
	v_mul_lo_u32 v5, s13, v2
	v_mad_u64_u32 v[3:4], s[0:1], s12, v2, 0
	v_cmp_gt_i32_e32 vcc, s6, v2
	v_add3_u32 v4, v4, v1, v5
	v_lshlrev_b64 v[3:4], 4, v[3:4]
	v_mov_b32_e32 v1, s5
	v_add_co_u32_e64 v3, s[0:1], s4, v3
	v_addc_co_u32_e64 v4, s[0:1], v1, v4, s[0:1]
	v_cmp_le_i32_e64 s[0:1], v0, v2
	s_and_b64 s[0:1], vcc, s[0:1]
	s_and_saveexec_b64 s[2:3], s[0:1]
	s_cbranch_execz .LBB1172_10
; %bb.9:
	v_ashrrev_i32_e32 v1, 31, v0
	v_lshlrev_b64 v[0:1], 4, v[0:1]
	v_add_co_u32_e64 v0, s[0:1], v3, v0
	v_addc_co_u32_e64 v1, s[0:1], v4, v1, s[0:1]
	global_store_dwordx4 v[0:1], v[14:17], off
.LBB1172_10:
	s_or_b64 exec, exec, s[2:3]
	v_cmp_le_i32_e64 s[0:1], v10, v2
	s_and_b64 s[0:1], vcc, s[0:1]
	s_and_saveexec_b64 s[2:3], s[0:1]
	s_cbranch_execz .LBB1172_12
; %bb.11:
	v_ashrrev_i32_e32 v11, 31, v10
	v_lshlrev_b64 v[0:1], 4, v[10:11]
	v_add_co_u32_e32 v0, vcc, v3, v0
	v_addc_co_u32_e32 v1, vcc, v4, v1, vcc
	global_store_dwordx4 v[0:1], v[6:9], off
.LBB1172_12:
	s_endpgm
	.section	.rodata,"a",@progbits
	.p2align	6, 0x0
	.amdhsa_kernel _ZL37rocblas_syrkx_herkx_restricted_kernelIl19rocblas_complex_numIdELi16ELi32ELi8ELi1ELi0ELb0ELc84ELc85EKS1_S1_EviT_PT9_S3_lS5_S3_lPT10_S3_li
		.amdhsa_group_segment_fixed_size 8192
		.amdhsa_private_segment_fixed_size 0
		.amdhsa_kernarg_size 92
		.amdhsa_user_sgpr_count 6
		.amdhsa_user_sgpr_private_segment_buffer 1
		.amdhsa_user_sgpr_dispatch_ptr 0
		.amdhsa_user_sgpr_queue_ptr 0
		.amdhsa_user_sgpr_kernarg_segment_ptr 1
		.amdhsa_user_sgpr_dispatch_id 0
		.amdhsa_user_sgpr_flat_scratch_init 0
		.amdhsa_user_sgpr_private_segment_size 0
		.amdhsa_uses_dynamic_stack 0
		.amdhsa_system_sgpr_private_segment_wavefront_offset 0
		.amdhsa_system_sgpr_workgroup_id_x 1
		.amdhsa_system_sgpr_workgroup_id_y 1
		.amdhsa_system_sgpr_workgroup_id_z 1
		.amdhsa_system_sgpr_workgroup_info 0
		.amdhsa_system_vgpr_workitem_id 1
		.amdhsa_next_free_vgpr 52
		.amdhsa_next_free_sgpr 61
		.amdhsa_reserve_vcc 1
		.amdhsa_reserve_flat_scratch 0
		.amdhsa_float_round_mode_32 0
		.amdhsa_float_round_mode_16_64 0
		.amdhsa_float_denorm_mode_32 3
		.amdhsa_float_denorm_mode_16_64 3
		.amdhsa_dx10_clamp 1
		.amdhsa_ieee_mode 1
		.amdhsa_fp16_overflow 0
		.amdhsa_exception_fp_ieee_invalid_op 0
		.amdhsa_exception_fp_denorm_src 0
		.amdhsa_exception_fp_ieee_div_zero 0
		.amdhsa_exception_fp_ieee_overflow 0
		.amdhsa_exception_fp_ieee_underflow 0
		.amdhsa_exception_fp_ieee_inexact 0
		.amdhsa_exception_int_div_zero 0
	.end_amdhsa_kernel
	.section	.text._ZL37rocblas_syrkx_herkx_restricted_kernelIl19rocblas_complex_numIdELi16ELi32ELi8ELi1ELi0ELb0ELc84ELc85EKS1_S1_EviT_PT9_S3_lS5_S3_lPT10_S3_li,"axG",@progbits,_ZL37rocblas_syrkx_herkx_restricted_kernelIl19rocblas_complex_numIdELi16ELi32ELi8ELi1ELi0ELb0ELc84ELc85EKS1_S1_EviT_PT9_S3_lS5_S3_lPT10_S3_li,comdat
.Lfunc_end1172:
	.size	_ZL37rocblas_syrkx_herkx_restricted_kernelIl19rocblas_complex_numIdELi16ELi32ELi8ELi1ELi0ELb0ELc84ELc85EKS1_S1_EviT_PT9_S3_lS5_S3_lPT10_S3_li, .Lfunc_end1172-_ZL37rocblas_syrkx_herkx_restricted_kernelIl19rocblas_complex_numIdELi16ELi32ELi8ELi1ELi0ELb0ELc84ELc85EKS1_S1_EviT_PT9_S3_lS5_S3_lPT10_S3_li
                                        ; -- End function
	.set _ZL37rocblas_syrkx_herkx_restricted_kernelIl19rocblas_complex_numIdELi16ELi32ELi8ELi1ELi0ELb0ELc84ELc85EKS1_S1_EviT_PT9_S3_lS5_S3_lPT10_S3_li.num_vgpr, 52
	.set _ZL37rocblas_syrkx_herkx_restricted_kernelIl19rocblas_complex_numIdELi16ELi32ELi8ELi1ELi0ELb0ELc84ELc85EKS1_S1_EviT_PT9_S3_lS5_S3_lPT10_S3_li.num_agpr, 0
	.set _ZL37rocblas_syrkx_herkx_restricted_kernelIl19rocblas_complex_numIdELi16ELi32ELi8ELi1ELi0ELb0ELc84ELc85EKS1_S1_EviT_PT9_S3_lS5_S3_lPT10_S3_li.numbered_sgpr, 28
	.set _ZL37rocblas_syrkx_herkx_restricted_kernelIl19rocblas_complex_numIdELi16ELi32ELi8ELi1ELi0ELb0ELc84ELc85EKS1_S1_EviT_PT9_S3_lS5_S3_lPT10_S3_li.num_named_barrier, 0
	.set _ZL37rocblas_syrkx_herkx_restricted_kernelIl19rocblas_complex_numIdELi16ELi32ELi8ELi1ELi0ELb0ELc84ELc85EKS1_S1_EviT_PT9_S3_lS5_S3_lPT10_S3_li.private_seg_size, 0
	.set _ZL37rocblas_syrkx_herkx_restricted_kernelIl19rocblas_complex_numIdELi16ELi32ELi8ELi1ELi0ELb0ELc84ELc85EKS1_S1_EviT_PT9_S3_lS5_S3_lPT10_S3_li.uses_vcc, 1
	.set _ZL37rocblas_syrkx_herkx_restricted_kernelIl19rocblas_complex_numIdELi16ELi32ELi8ELi1ELi0ELb0ELc84ELc85EKS1_S1_EviT_PT9_S3_lS5_S3_lPT10_S3_li.uses_flat_scratch, 0
	.set _ZL37rocblas_syrkx_herkx_restricted_kernelIl19rocblas_complex_numIdELi16ELi32ELi8ELi1ELi0ELb0ELc84ELc85EKS1_S1_EviT_PT9_S3_lS5_S3_lPT10_S3_li.has_dyn_sized_stack, 0
	.set _ZL37rocblas_syrkx_herkx_restricted_kernelIl19rocblas_complex_numIdELi16ELi32ELi8ELi1ELi0ELb0ELc84ELc85EKS1_S1_EviT_PT9_S3_lS5_S3_lPT10_S3_li.has_recursion, 0
	.set _ZL37rocblas_syrkx_herkx_restricted_kernelIl19rocblas_complex_numIdELi16ELi32ELi8ELi1ELi0ELb0ELc84ELc85EKS1_S1_EviT_PT9_S3_lS5_S3_lPT10_S3_li.has_indirect_call, 0
	.section	.AMDGPU.csdata,"",@progbits
; Kernel info:
; codeLenInByte = 2860
; TotalNumSgprs: 32
; NumVgprs: 52
; ScratchSize: 0
; MemoryBound: 0
; FloatMode: 240
; IeeeMode: 1
; LDSByteSize: 8192 bytes/workgroup (compile time only)
; SGPRBlocks: 8
; VGPRBlocks: 12
; NumSGPRsForWavesPerEU: 65
; NumVGPRsForWavesPerEU: 52
; Occupancy: 4
; WaveLimiterHint : 1
; COMPUTE_PGM_RSRC2:SCRATCH_EN: 0
; COMPUTE_PGM_RSRC2:USER_SGPR: 6
; COMPUTE_PGM_RSRC2:TRAP_HANDLER: 0
; COMPUTE_PGM_RSRC2:TGID_X_EN: 1
; COMPUTE_PGM_RSRC2:TGID_Y_EN: 1
; COMPUTE_PGM_RSRC2:TGID_Z_EN: 1
; COMPUTE_PGM_RSRC2:TIDIG_COMP_CNT: 1
	.section	.text._ZL37rocblas_syrkx_herkx_restricted_kernelIl19rocblas_complex_numIdELi16ELi32ELi8ELi1ELi0ELb0ELc67ELc85EKS1_S1_EviT_PT9_S3_lS5_S3_lPT10_S3_li,"axG",@progbits,_ZL37rocblas_syrkx_herkx_restricted_kernelIl19rocblas_complex_numIdELi16ELi32ELi8ELi1ELi0ELb0ELc67ELc85EKS1_S1_EviT_PT9_S3_lS5_S3_lPT10_S3_li,comdat
	.globl	_ZL37rocblas_syrkx_herkx_restricted_kernelIl19rocblas_complex_numIdELi16ELi32ELi8ELi1ELi0ELb0ELc67ELc85EKS1_S1_EviT_PT9_S3_lS5_S3_lPT10_S3_li ; -- Begin function _ZL37rocblas_syrkx_herkx_restricted_kernelIl19rocblas_complex_numIdELi16ELi32ELi8ELi1ELi0ELb0ELc67ELc85EKS1_S1_EviT_PT9_S3_lS5_S3_lPT10_S3_li
	.p2align	8
	.type	_ZL37rocblas_syrkx_herkx_restricted_kernelIl19rocblas_complex_numIdELi16ELi32ELi8ELi1ELi0ELb0ELc67ELc85EKS1_S1_EviT_PT9_S3_lS5_S3_lPT10_S3_li,@function
_ZL37rocblas_syrkx_herkx_restricted_kernelIl19rocblas_complex_numIdELi16ELi32ELi8ELi1ELi0ELb0ELc67ELc85EKS1_S1_EviT_PT9_S3_lS5_S3_lPT10_S3_li: ; @_ZL37rocblas_syrkx_herkx_restricted_kernelIl19rocblas_complex_numIdELi16ELi32ELi8ELi1ELi0ELb0ELc67ELc85EKS1_S1_EviT_PT9_S3_lS5_S3_lPT10_S3_li
; %bb.0:
	s_load_dwordx16 s[12:27], s[4:5], 0x8
	s_lshl_b32 s2, s6, 5
	s_lshl_b32 s3, s7, 5
	s_waitcnt lgkmcnt(0)
	v_cmp_lt_i64_e64 s[0:1], s[12:13], 1
	s_and_b64 vcc, exec, s[0:1]
	s_cbranch_vccnz .LBB1173_3
; %bb.1:
	v_lshl_add_u32 v6, v1, 4, v0
	v_lshrrev_b32_e32 v8, 3, v6
	v_add_u32_e32 v4, s3, v8
	v_ashrrev_i32_e32 v5, 31, v4
	v_and_b32_e32 v2, 7, v0
	v_mov_b32_e32 v3, 0
	v_mul_lo_u32 v7, s22, v5
	v_mul_lo_u32 v9, s23, v4
	v_mad_u64_u32 v[4:5], s[0:1], s22, v4, v[2:3]
	v_lshlrev_b32_e32 v2, 4, v2
	v_lshl_or_b32 v2, v8, 7, v2
	v_add3_u32 v5, v9, v5, v7
	v_and_b32_e32 v9, 31, v6
	v_add_u32_e32 v23, 0x1000, v2
	v_mov_b32_e32 v2, 0x1000
	v_add_u32_e32 v8, s2, v9
	v_lshrrev_b32_e32 v6, 5, v6
	v_mov_b32_e32 v7, v3
	v_lshlrev_b32_e32 v3, 4, v9
	v_lshl_add_u32 v25, v1, 7, v2
	v_ashrrev_i32_e32 v2, 31, v8
	v_lshl_or_b32 v22, v6, 9, v3
	v_mul_lo_u32 v9, s16, v2
	v_mad_u64_u32 v[2:3], s[0:1], s16, v8, v[6:7]
	v_mul_lo_u32 v6, s17, v8
	s_mul_i32 s6, s19, s8
	s_mul_hi_u32 s7, s18, s8
	s_add_i32 s1, s7, s6
	s_mul_i32 s0, s18, s8
	s_lshl_b64 s[0:1], s[0:1], 4
	v_add3_u32 v3, v6, v3, v9
	v_lshlrev_b64 v[2:3], 4, v[2:3]
	s_add_u32 s0, s14, s0
	s_addc_u32 s1, s15, s1
	v_mov_b32_e32 v6, s1
	v_add_co_u32_e32 v2, vcc, s0, v2
	s_mul_i32 s0, s25, s8
	s_mul_hi_u32 s1, s24, s8
	v_addc_co_u32_e32 v3, vcc, v6, v3, vcc
	s_add_i32 s1, s1, s0
	s_mul_i32 s0, s24, s8
	v_add_co_u32_e32 v18, vcc, 8, v2
	s_lshl_b64 s[0:1], s[0:1], 4
	v_addc_co_u32_e32 v19, vcc, 0, v3, vcc
	v_lshlrev_b64 v[2:3], 4, v[4:5]
	s_add_u32 s0, s20, s0
	s_addc_u32 s1, s21, s1
	v_mov_b32_e32 v4, s1
	v_add_co_u32_e32 v2, vcc, s0, v2
	v_addc_co_u32_e32 v3, vcc, v4, v3, vcc
	v_add_co_u32_e32 v20, vcc, 8, v2
	v_addc_co_u32_e32 v21, vcc, 0, v3, vcc
	v_mov_b32_e32 v8, 0
	v_mov_b32_e32 v6, 0
	v_mov_b32_e32 v16, 0
	v_mov_b32_e32 v14, 0
	v_mov_b32_e32 v4, 0
	v_mov_b32_e32 v2, 0
	v_mov_b32_e32 v12, 0
	v_mov_b32_e32 v10, 0
	v_lshlrev_b32_e32 v24, 4, v0
	v_mov_b32_e32 v9, 0
	v_mov_b32_e32 v7, 0
	;; [unrolled: 1-line block ×8, first 2 shown]
	s_mov_b64 s[0:1], 0
.LBB1173_2:                             ; =>This Inner Loop Header: Depth=1
	global_load_dwordx4 v[26:29], v[18:19], off offset:-8
	s_add_u32 s0, s0, 8
	v_add_co_u32_e32 v18, vcc, 0x80, v18
	s_addc_u32 s1, s1, 0
	v_addc_co_u32_e32 v19, vcc, 0, v19, vcc
	s_waitcnt vmcnt(0)
	ds_write_b128 v22, v[26:29]
	global_load_dwordx4 v[26:29], v[20:21], off offset:-8
	v_add_co_u32_e32 v20, vcc, 0x80, v20
	v_addc_co_u32_e32 v21, vcc, 0, v21, vcc
	s_waitcnt vmcnt(0)
	ds_write_b128 v23, v[26:29]
	s_waitcnt lgkmcnt(0)
	s_barrier
	ds_read_b128 v[26:29], v25
	ds_read_b128 v[30:33], v25 offset:16
	ds_read_b128 v[34:37], v25 offset:32
	;; [unrolled: 1-line block ×3, first 2 shown]
	ds_read_b128 v[42:45], v24
	s_waitcnt lgkmcnt(0)
	v_mul_f64 v[46:47], v[28:29], v[44:45]
	v_mul_f64 v[48:49], v[26:27], v[44:45]
	v_fma_f64 v[46:47], v[26:27], v[42:43], -v[46:47]
	v_fma_f64 v[48:49], v[28:29], v[42:43], v[48:49]
	v_add_f64 v[46:47], v[10:11], v[46:47]
	v_add_f64 v[48:49], v[48:49], v[12:13]
	ds_read_b128 v[10:13], v24 offset:256
	s_waitcnt lgkmcnt(0)
	v_mul_f64 v[50:51], v[28:29], v[12:13]
	v_fma_f64 v[50:51], v[26:27], v[10:11], -v[50:51]
	v_mul_f64 v[26:27], v[26:27], v[12:13]
	v_fma_f64 v[26:27], v[28:29], v[10:11], v[26:27]
	v_add_f64 v[28:29], v[2:3], v[50:51]
	v_add_f64 v[26:27], v[26:27], v[4:5]
	ds_read_b128 v[2:5], v25 offset:2048
	s_waitcnt lgkmcnt(0)
	v_mul_f64 v[50:51], v[4:5], v[44:45]
	v_mul_f64 v[44:45], v[2:3], v[44:45]
	v_fma_f64 v[50:51], v[2:3], v[42:43], -v[50:51]
	v_fma_f64 v[42:43], v[4:5], v[42:43], v[44:45]
	v_add_f64 v[14:15], v[14:15], v[50:51]
	v_add_f64 v[16:17], v[42:43], v[16:17]
	v_mul_f64 v[42:43], v[4:5], v[12:13]
	v_fma_f64 v[42:43], v[2:3], v[10:11], -v[42:43]
	v_mul_f64 v[2:3], v[2:3], v[12:13]
	v_add_f64 v[42:43], v[6:7], v[42:43]
	v_fma_f64 v[2:3], v[4:5], v[10:11], v[2:3]
	v_add_f64 v[44:45], v[2:3], v[8:9]
	ds_read_b128 v[2:5], v24 offset:512
	s_waitcnt lgkmcnt(0)
	v_mul_f64 v[6:7], v[32:33], v[4:5]
	v_mul_f64 v[8:9], v[30:31], v[4:5]
	v_fma_f64 v[6:7], v[30:31], v[2:3], -v[6:7]
	v_fma_f64 v[8:9], v[32:33], v[2:3], v[8:9]
	v_add_f64 v[46:47], v[46:47], v[6:7]
	v_add_f64 v[48:49], v[8:9], v[48:49]
	ds_read_b128 v[6:9], v24 offset:768
	s_waitcnt lgkmcnt(0)
	v_mul_f64 v[10:11], v[32:33], v[8:9]
	v_mul_f64 v[12:13], v[30:31], v[8:9]
	v_fma_f64 v[10:11], v[30:31], v[6:7], -v[10:11]
	v_fma_f64 v[12:13], v[32:33], v[6:7], v[12:13]
	v_add_f64 v[28:29], v[28:29], v[10:11]
	v_add_f64 v[26:27], v[12:13], v[26:27]
	ds_read_b128 v[10:13], v25 offset:2064
	s_waitcnt lgkmcnt(0)
	v_mul_f64 v[30:31], v[12:13], v[4:5]
	v_mul_f64 v[4:5], v[10:11], v[4:5]
	v_fma_f64 v[30:31], v[10:11], v[2:3], -v[30:31]
	v_fma_f64 v[2:3], v[12:13], v[2:3], v[4:5]
	v_mul_f64 v[4:5], v[10:11], v[8:9]
	v_add_f64 v[14:15], v[14:15], v[30:31]
	v_add_f64 v[16:17], v[2:3], v[16:17]
	v_mul_f64 v[2:3], v[12:13], v[8:9]
	v_fma_f64 v[4:5], v[12:13], v[6:7], v[4:5]
	v_fma_f64 v[2:3], v[10:11], v[6:7], -v[2:3]
	v_add_f64 v[32:33], v[4:5], v[44:45]
	v_add_f64 v[30:31], v[42:43], v[2:3]
	ds_read_b128 v[2:5], v24 offset:1024
	s_waitcnt lgkmcnt(0)
	v_mul_f64 v[6:7], v[36:37], v[4:5]
	v_mul_f64 v[8:9], v[34:35], v[4:5]
	v_fma_f64 v[6:7], v[34:35], v[2:3], -v[6:7]
	v_fma_f64 v[8:9], v[36:37], v[2:3], v[8:9]
	v_add_f64 v[42:43], v[46:47], v[6:7]
	v_add_f64 v[44:45], v[8:9], v[48:49]
	ds_read_b128 v[6:9], v24 offset:1280
	s_waitcnt lgkmcnt(0)
	v_mul_f64 v[10:11], v[36:37], v[8:9]
	v_mul_f64 v[12:13], v[34:35], v[8:9]
	v_fma_f64 v[10:11], v[34:35], v[6:7], -v[10:11]
	v_fma_f64 v[12:13], v[36:37], v[6:7], v[12:13]
	v_add_f64 v[28:29], v[28:29], v[10:11]
	v_add_f64 v[26:27], v[12:13], v[26:27]
	ds_read_b128 v[10:13], v25 offset:2080
	s_waitcnt lgkmcnt(0)
	v_mul_f64 v[34:35], v[12:13], v[4:5]
	v_mul_f64 v[4:5], v[10:11], v[4:5]
	v_fma_f64 v[34:35], v[10:11], v[2:3], -v[34:35]
	v_fma_f64 v[2:3], v[12:13], v[2:3], v[4:5]
	v_mul_f64 v[4:5], v[10:11], v[8:9]
	v_add_f64 v[14:15], v[14:15], v[34:35]
	v_add_f64 v[16:17], v[2:3], v[16:17]
	v_mul_f64 v[2:3], v[12:13], v[8:9]
	v_fma_f64 v[4:5], v[12:13], v[6:7], v[4:5]
	v_fma_f64 v[2:3], v[10:11], v[6:7], -v[2:3]
	v_add_f64 v[32:33], v[4:5], v[32:33]
	;; [unrolled: 30-line block ×3, first 2 shown]
	v_add_f64 v[30:31], v[30:31], v[2:3]
	ds_read_b128 v[2:5], v25 offset:64
	ds_read_b128 v[6:9], v24 offset:2048
	s_waitcnt lgkmcnt(0)
	v_mul_f64 v[10:11], v[4:5], v[8:9]
	v_mul_f64 v[12:13], v[2:3], v[8:9]
	v_fma_f64 v[10:11], v[2:3], v[6:7], -v[10:11]
	v_fma_f64 v[12:13], v[4:5], v[6:7], v[12:13]
	v_add_f64 v[34:35], v[34:35], v[10:11]
	v_add_f64 v[36:37], v[12:13], v[36:37]
	ds_read_b128 v[10:13], v24 offset:2304
	s_waitcnt lgkmcnt(0)
	v_mul_f64 v[38:39], v[4:5], v[12:13]
	v_fma_f64 v[38:39], v[2:3], v[10:11], -v[38:39]
	v_mul_f64 v[2:3], v[2:3], v[12:13]
	v_add_f64 v[28:29], v[28:29], v[38:39]
	v_fma_f64 v[2:3], v[4:5], v[10:11], v[2:3]
	v_add_f64 v[26:27], v[2:3], v[26:27]
	ds_read_b128 v[2:5], v25 offset:2112
	s_waitcnt lgkmcnt(0)
	v_mul_f64 v[38:39], v[4:5], v[8:9]
	v_mul_f64 v[8:9], v[2:3], v[8:9]
	v_fma_f64 v[38:39], v[2:3], v[6:7], -v[38:39]
	v_fma_f64 v[6:7], v[4:5], v[6:7], v[8:9]
	v_add_f64 v[14:15], v[14:15], v[38:39]
	v_add_f64 v[16:17], v[6:7], v[16:17]
	v_mul_f64 v[6:7], v[4:5], v[12:13]
	v_fma_f64 v[6:7], v[2:3], v[10:11], -v[6:7]
	v_mul_f64 v[2:3], v[2:3], v[12:13]
	v_add_f64 v[30:31], v[30:31], v[6:7]
	v_fma_f64 v[2:3], v[4:5], v[10:11], v[2:3]
	v_add_f64 v[32:33], v[2:3], v[32:33]
	ds_read_b128 v[2:5], v25 offset:80
	ds_read_b128 v[6:9], v24 offset:2560
	s_waitcnt lgkmcnt(0)
	v_mul_f64 v[10:11], v[4:5], v[8:9]
	v_mul_f64 v[12:13], v[2:3], v[8:9]
	v_fma_f64 v[10:11], v[2:3], v[6:7], -v[10:11]
	v_fma_f64 v[12:13], v[4:5], v[6:7], v[12:13]
	v_add_f64 v[34:35], v[34:35], v[10:11]
	v_add_f64 v[36:37], v[12:13], v[36:37]
	ds_read_b128 v[10:13], v24 offset:2816
	s_waitcnt lgkmcnt(0)
	v_mul_f64 v[38:39], v[4:5], v[12:13]
	v_fma_f64 v[38:39], v[2:3], v[10:11], -v[38:39]
	v_mul_f64 v[2:3], v[2:3], v[12:13]
	v_add_f64 v[28:29], v[28:29], v[38:39]
	v_fma_f64 v[2:3], v[4:5], v[10:11], v[2:3]
	v_add_f64 v[26:27], v[2:3], v[26:27]
	ds_read_b128 v[2:5], v25 offset:2128
	s_waitcnt lgkmcnt(0)
	v_mul_f64 v[38:39], v[4:5], v[8:9]
	v_mul_f64 v[8:9], v[2:3], v[8:9]
	v_fma_f64 v[38:39], v[2:3], v[6:7], -v[38:39]
	v_fma_f64 v[6:7], v[4:5], v[6:7], v[8:9]
	v_add_f64 v[14:15], v[14:15], v[38:39]
	v_add_f64 v[16:17], v[6:7], v[16:17]
	v_mul_f64 v[6:7], v[4:5], v[12:13]
	v_fma_f64 v[6:7], v[2:3], v[10:11], -v[6:7]
	v_mul_f64 v[2:3], v[2:3], v[12:13]
	v_add_f64 v[30:31], v[30:31], v[6:7]
	v_fma_f64 v[2:3], v[4:5], v[10:11], v[2:3]
	;; [unrolled: 31-line block ×3, first 2 shown]
	v_add_f64 v[44:45], v[2:3], v[32:33]
	ds_read_b128 v[2:5], v25 offset:112
	ds_read_b128 v[6:9], v24 offset:3584
	;; [unrolled: 1-line block ×3, first 2 shown]
	s_waitcnt lgkmcnt(1)
	v_mul_f64 v[10:11], v[4:5], v[8:9]
	s_waitcnt lgkmcnt(0)
	v_mul_f64 v[30:31], v[4:5], v[28:29]
	v_mul_f64 v[12:13], v[2:3], v[8:9]
	v_fma_f64 v[10:11], v[2:3], v[6:7], -v[10:11]
	v_fma_f64 v[30:31], v[2:3], v[26:27], -v[30:31]
	v_mul_f64 v[2:3], v[2:3], v[28:29]
	v_fma_f64 v[12:13], v[4:5], v[6:7], v[12:13]
	v_add_f64 v[10:11], v[34:35], v[10:11]
	v_fma_f64 v[4:5], v[4:5], v[26:27], v[2:3]
	v_add_f64 v[2:3], v[38:39], v[30:31]
	ds_read_b128 v[30:33], v25 offset:2160
	v_add_f64 v[12:13], v[12:13], v[36:37]
	s_waitcnt lgkmcnt(0)
	s_barrier
	v_mul_f64 v[34:35], v[32:33], v[8:9]
	v_mul_f64 v[8:9], v[30:31], v[8:9]
	v_add_f64 v[4:5], v[4:5], v[40:41]
	v_fma_f64 v[34:35], v[30:31], v[6:7], -v[34:35]
	v_fma_f64 v[6:7], v[32:33], v[6:7], v[8:9]
	v_mul_f64 v[8:9], v[30:31], v[28:29]
	v_add_f64 v[14:15], v[14:15], v[34:35]
	v_add_f64 v[16:17], v[6:7], v[16:17]
	v_mul_f64 v[6:7], v[32:33], v[28:29]
	v_fma_f64 v[8:9], v[32:33], v[26:27], v[8:9]
	v_fma_f64 v[6:7], v[30:31], v[26:27], -v[6:7]
	v_add_f64 v[8:9], v[8:9], v[44:45]
	v_mov_b32_e32 v27, s1
	v_mov_b32_e32 v26, s0
	v_cmp_le_u64_e32 vcc, s[12:13], v[26:27]
	v_add_f64 v[6:7], v[42:43], v[6:7]
	s_cbranch_vccz .LBB1173_2
	s_branch .LBB1173_4
.LBB1173_3:
	v_mov_b32_e32 v10, 0
	v_mov_b32_e32 v12, 0
	;; [unrolled: 1-line block ×16, first 2 shown]
.LBB1173_4:
	s_load_dwordx4 s[12:15], s[4:5], 0x48
	s_load_dword s6, s[4:5], 0x0
	v_add_u32_e32 v18, s3, v1
	v_ashrrev_i32_e32 v1, 31, v18
	v_add_u32_e32 v0, s2, v0
	s_waitcnt lgkmcnt(0)
	s_mul_i32 s1, s15, s8
	s_mul_hi_u32 s3, s14, s8
	s_mul_i32 s0, s14, s8
	v_mul_lo_u32 v1, s12, v1
	v_mul_lo_u32 v21, s13, v18
	v_mad_u64_u32 v[19:20], s[8:9], s12, v18, 0
	s_add_i32 s1, s3, s1
	s_lshl_b64 s[0:1], s[0:1], 4
	v_add3_u32 v20, v20, v1, v21
	s_add_u32 s4, s26, s0
	v_lshlrev_b64 v[19:20], 4, v[19:20]
	s_addc_u32 s5, s27, s1
	v_mov_b32_e32 v1, s5
	v_add_co_u32_e64 v19, s[0:1], s4, v19
	v_addc_co_u32_e64 v20, s[0:1], v1, v20, s[0:1]
	v_cmp_gt_i32_e32 vcc, s6, v18
	v_cmp_le_i32_e64 s[0:1], v0, v18
	s_and_b64 s[0:1], vcc, s[0:1]
	s_and_saveexec_b64 s[2:3], s[0:1]
	s_cbranch_execz .LBB1173_6
; %bb.5:
	v_ashrrev_i32_e32 v1, 31, v0
	v_lshlrev_b64 v[21:22], 4, v[0:1]
	v_add_co_u32_e64 v21, s[0:1], v19, v21
	v_addc_co_u32_e64 v22, s[0:1], v20, v22, s[0:1]
	global_store_dwordx4 v[21:22], v[10:13], off
.LBB1173_6:
	s_or_b64 exec, exec, s[2:3]
	v_add_u32_e32 v10, 16, v0
	v_cmp_le_i32_e64 s[0:1], v10, v18
	s_and_b64 s[2:3], vcc, s[0:1]
	s_and_saveexec_b64 s[0:1], s[2:3]
	s_cbranch_execz .LBB1173_8
; %bb.7:
	v_ashrrev_i32_e32 v11, 31, v10
	v_lshlrev_b64 v[11:12], 4, v[10:11]
	v_add_co_u32_e32 v11, vcc, v19, v11
	v_addc_co_u32_e32 v12, vcc, v20, v12, vcc
	global_store_dwordx4 v[11:12], v[2:5], off
.LBB1173_8:
	s_or_b64 exec, exec, s[0:1]
	v_add_u32_e32 v2, 16, v18
	v_ashrrev_i32_e32 v1, 31, v2
	v_mul_lo_u32 v1, s12, v1
	v_mul_lo_u32 v5, s13, v2
	v_mad_u64_u32 v[3:4], s[0:1], s12, v2, 0
	v_cmp_gt_i32_e32 vcc, s6, v2
	v_add3_u32 v4, v4, v1, v5
	v_lshlrev_b64 v[3:4], 4, v[3:4]
	v_mov_b32_e32 v1, s5
	v_add_co_u32_e64 v3, s[0:1], s4, v3
	v_addc_co_u32_e64 v4, s[0:1], v1, v4, s[0:1]
	v_cmp_le_i32_e64 s[0:1], v0, v2
	s_and_b64 s[0:1], vcc, s[0:1]
	s_and_saveexec_b64 s[2:3], s[0:1]
	s_cbranch_execz .LBB1173_10
; %bb.9:
	v_ashrrev_i32_e32 v1, 31, v0
	v_lshlrev_b64 v[0:1], 4, v[0:1]
	v_add_co_u32_e64 v0, s[0:1], v3, v0
	v_addc_co_u32_e64 v1, s[0:1], v4, v1, s[0:1]
	global_store_dwordx4 v[0:1], v[14:17], off
.LBB1173_10:
	s_or_b64 exec, exec, s[2:3]
	v_cmp_le_i32_e64 s[0:1], v10, v2
	s_and_b64 s[0:1], vcc, s[0:1]
	s_and_saveexec_b64 s[2:3], s[0:1]
	s_cbranch_execz .LBB1173_12
; %bb.11:
	v_ashrrev_i32_e32 v11, 31, v10
	v_lshlrev_b64 v[0:1], 4, v[10:11]
	v_add_co_u32_e32 v0, vcc, v3, v0
	v_addc_co_u32_e32 v1, vcc, v4, v1, vcc
	global_store_dwordx4 v[0:1], v[6:9], off
.LBB1173_12:
	s_endpgm
	.section	.rodata,"a",@progbits
	.p2align	6, 0x0
	.amdhsa_kernel _ZL37rocblas_syrkx_herkx_restricted_kernelIl19rocblas_complex_numIdELi16ELi32ELi8ELi1ELi0ELb0ELc67ELc85EKS1_S1_EviT_PT9_S3_lS5_S3_lPT10_S3_li
		.amdhsa_group_segment_fixed_size 8192
		.amdhsa_private_segment_fixed_size 0
		.amdhsa_kernarg_size 92
		.amdhsa_user_sgpr_count 6
		.amdhsa_user_sgpr_private_segment_buffer 1
		.amdhsa_user_sgpr_dispatch_ptr 0
		.amdhsa_user_sgpr_queue_ptr 0
		.amdhsa_user_sgpr_kernarg_segment_ptr 1
		.amdhsa_user_sgpr_dispatch_id 0
		.amdhsa_user_sgpr_flat_scratch_init 0
		.amdhsa_user_sgpr_private_segment_size 0
		.amdhsa_uses_dynamic_stack 0
		.amdhsa_system_sgpr_private_segment_wavefront_offset 0
		.amdhsa_system_sgpr_workgroup_id_x 1
		.amdhsa_system_sgpr_workgroup_id_y 1
		.amdhsa_system_sgpr_workgroup_id_z 1
		.amdhsa_system_sgpr_workgroup_info 0
		.amdhsa_system_vgpr_workitem_id 1
		.amdhsa_next_free_vgpr 52
		.amdhsa_next_free_sgpr 61
		.amdhsa_reserve_vcc 1
		.amdhsa_reserve_flat_scratch 0
		.amdhsa_float_round_mode_32 0
		.amdhsa_float_round_mode_16_64 0
		.amdhsa_float_denorm_mode_32 3
		.amdhsa_float_denorm_mode_16_64 3
		.amdhsa_dx10_clamp 1
		.amdhsa_ieee_mode 1
		.amdhsa_fp16_overflow 0
		.amdhsa_exception_fp_ieee_invalid_op 0
		.amdhsa_exception_fp_denorm_src 0
		.amdhsa_exception_fp_ieee_div_zero 0
		.amdhsa_exception_fp_ieee_overflow 0
		.amdhsa_exception_fp_ieee_underflow 0
		.amdhsa_exception_fp_ieee_inexact 0
		.amdhsa_exception_int_div_zero 0
	.end_amdhsa_kernel
	.section	.text._ZL37rocblas_syrkx_herkx_restricted_kernelIl19rocblas_complex_numIdELi16ELi32ELi8ELi1ELi0ELb0ELc67ELc85EKS1_S1_EviT_PT9_S3_lS5_S3_lPT10_S3_li,"axG",@progbits,_ZL37rocblas_syrkx_herkx_restricted_kernelIl19rocblas_complex_numIdELi16ELi32ELi8ELi1ELi0ELb0ELc67ELc85EKS1_S1_EviT_PT9_S3_lS5_S3_lPT10_S3_li,comdat
.Lfunc_end1173:
	.size	_ZL37rocblas_syrkx_herkx_restricted_kernelIl19rocblas_complex_numIdELi16ELi32ELi8ELi1ELi0ELb0ELc67ELc85EKS1_S1_EviT_PT9_S3_lS5_S3_lPT10_S3_li, .Lfunc_end1173-_ZL37rocblas_syrkx_herkx_restricted_kernelIl19rocblas_complex_numIdELi16ELi32ELi8ELi1ELi0ELb0ELc67ELc85EKS1_S1_EviT_PT9_S3_lS5_S3_lPT10_S3_li
                                        ; -- End function
	.set _ZL37rocblas_syrkx_herkx_restricted_kernelIl19rocblas_complex_numIdELi16ELi32ELi8ELi1ELi0ELb0ELc67ELc85EKS1_S1_EviT_PT9_S3_lS5_S3_lPT10_S3_li.num_vgpr, 52
	.set _ZL37rocblas_syrkx_herkx_restricted_kernelIl19rocblas_complex_numIdELi16ELi32ELi8ELi1ELi0ELb0ELc67ELc85EKS1_S1_EviT_PT9_S3_lS5_S3_lPT10_S3_li.num_agpr, 0
	.set _ZL37rocblas_syrkx_herkx_restricted_kernelIl19rocblas_complex_numIdELi16ELi32ELi8ELi1ELi0ELb0ELc67ELc85EKS1_S1_EviT_PT9_S3_lS5_S3_lPT10_S3_li.numbered_sgpr, 28
	.set _ZL37rocblas_syrkx_herkx_restricted_kernelIl19rocblas_complex_numIdELi16ELi32ELi8ELi1ELi0ELb0ELc67ELc85EKS1_S1_EviT_PT9_S3_lS5_S3_lPT10_S3_li.num_named_barrier, 0
	.set _ZL37rocblas_syrkx_herkx_restricted_kernelIl19rocblas_complex_numIdELi16ELi32ELi8ELi1ELi0ELb0ELc67ELc85EKS1_S1_EviT_PT9_S3_lS5_S3_lPT10_S3_li.private_seg_size, 0
	.set _ZL37rocblas_syrkx_herkx_restricted_kernelIl19rocblas_complex_numIdELi16ELi32ELi8ELi1ELi0ELb0ELc67ELc85EKS1_S1_EviT_PT9_S3_lS5_S3_lPT10_S3_li.uses_vcc, 1
	.set _ZL37rocblas_syrkx_herkx_restricted_kernelIl19rocblas_complex_numIdELi16ELi32ELi8ELi1ELi0ELb0ELc67ELc85EKS1_S1_EviT_PT9_S3_lS5_S3_lPT10_S3_li.uses_flat_scratch, 0
	.set _ZL37rocblas_syrkx_herkx_restricted_kernelIl19rocblas_complex_numIdELi16ELi32ELi8ELi1ELi0ELb0ELc67ELc85EKS1_S1_EviT_PT9_S3_lS5_S3_lPT10_S3_li.has_dyn_sized_stack, 0
	.set _ZL37rocblas_syrkx_herkx_restricted_kernelIl19rocblas_complex_numIdELi16ELi32ELi8ELi1ELi0ELb0ELc67ELc85EKS1_S1_EviT_PT9_S3_lS5_S3_lPT10_S3_li.has_recursion, 0
	.set _ZL37rocblas_syrkx_herkx_restricted_kernelIl19rocblas_complex_numIdELi16ELi32ELi8ELi1ELi0ELb0ELc67ELc85EKS1_S1_EviT_PT9_S3_lS5_S3_lPT10_S3_li.has_indirect_call, 0
	.section	.AMDGPU.csdata,"",@progbits
; Kernel info:
; codeLenInByte = 2860
; TotalNumSgprs: 32
; NumVgprs: 52
; ScratchSize: 0
; MemoryBound: 0
; FloatMode: 240
; IeeeMode: 1
; LDSByteSize: 8192 bytes/workgroup (compile time only)
; SGPRBlocks: 8
; VGPRBlocks: 12
; NumSGPRsForWavesPerEU: 65
; NumVGPRsForWavesPerEU: 52
; Occupancy: 4
; WaveLimiterHint : 1
; COMPUTE_PGM_RSRC2:SCRATCH_EN: 0
; COMPUTE_PGM_RSRC2:USER_SGPR: 6
; COMPUTE_PGM_RSRC2:TRAP_HANDLER: 0
; COMPUTE_PGM_RSRC2:TGID_X_EN: 1
; COMPUTE_PGM_RSRC2:TGID_Y_EN: 1
; COMPUTE_PGM_RSRC2:TGID_Z_EN: 1
; COMPUTE_PGM_RSRC2:TIDIG_COMP_CNT: 1
	.section	.text._ZL37rocblas_syrkx_herkx_restricted_kernelIl19rocblas_complex_numIdELi16ELi32ELi8ELi1ELi0ELb0ELc78ELc85EKS1_S1_EviT_PT9_S3_lS5_S3_lPT10_S3_li,"axG",@progbits,_ZL37rocblas_syrkx_herkx_restricted_kernelIl19rocblas_complex_numIdELi16ELi32ELi8ELi1ELi0ELb0ELc78ELc85EKS1_S1_EviT_PT9_S3_lS5_S3_lPT10_S3_li,comdat
	.globl	_ZL37rocblas_syrkx_herkx_restricted_kernelIl19rocblas_complex_numIdELi16ELi32ELi8ELi1ELi0ELb0ELc78ELc85EKS1_S1_EviT_PT9_S3_lS5_S3_lPT10_S3_li ; -- Begin function _ZL37rocblas_syrkx_herkx_restricted_kernelIl19rocblas_complex_numIdELi16ELi32ELi8ELi1ELi0ELb0ELc78ELc85EKS1_S1_EviT_PT9_S3_lS5_S3_lPT10_S3_li
	.p2align	8
	.type	_ZL37rocblas_syrkx_herkx_restricted_kernelIl19rocblas_complex_numIdELi16ELi32ELi8ELi1ELi0ELb0ELc78ELc85EKS1_S1_EviT_PT9_S3_lS5_S3_lPT10_S3_li,@function
_ZL37rocblas_syrkx_herkx_restricted_kernelIl19rocblas_complex_numIdELi16ELi32ELi8ELi1ELi0ELb0ELc78ELc85EKS1_S1_EviT_PT9_S3_lS5_S3_lPT10_S3_li: ; @_ZL37rocblas_syrkx_herkx_restricted_kernelIl19rocblas_complex_numIdELi16ELi32ELi8ELi1ELi0ELb0ELc78ELc85EKS1_S1_EviT_PT9_S3_lS5_S3_lPT10_S3_li
; %bb.0:
	s_load_dwordx16 s[12:27], s[4:5], 0x8
	s_lshl_b32 s9, s6, 5
	s_lshl_b32 s10, s7, 5
	s_waitcnt lgkmcnt(0)
	v_cmp_lt_i64_e64 s[0:1], s[12:13], 1
	s_and_b64 vcc, exec, s[0:1]
	s_cbranch_vccnz .LBB1174_3
; %bb.1:
	v_lshl_add_u32 v6, v1, 4, v0
	v_lshrrev_b32_e32 v7, 3, v6
	v_add_u32_e32 v2, s10, v7
	v_and_b32_e32 v5, 7, v0
	v_ashrrev_i32_e32 v3, 31, v2
	v_mad_u64_u32 v[2:3], s[0:1], s22, v5, v[2:3]
	v_lshrrev_b32_e32 v8, 5, v6
	s_mul_i32 s2, s19, s8
	v_mad_u64_u32 v[3:4], s[0:1], s23, v5, v[3:4]
	v_and_b32_e32 v4, 31, v6
	v_lshlrev_b32_e32 v5, 4, v5
	v_lshlrev_b32_e32 v6, 4, v4
	v_lshl_or_b32 v5, v7, 7, v5
	v_add_u32_e32 v4, s9, v4
	v_add_u32_e32 v23, 0x1000, v5
	v_ashrrev_i32_e32 v5, 31, v4
	v_mad_u64_u32 v[4:5], s[0:1], s16, v8, v[4:5]
	v_lshl_or_b32 v22, v8, 9, v6
	v_mov_b32_e32 v6, 0x1000
	v_lshl_add_u32 v25, v1, 7, v6
	v_mad_u64_u32 v[5:6], s[0:1], s17, v8, v[5:6]
	s_mul_hi_u32 s3, s18, s8
	s_add_i32 s1, s3, s2
	s_mul_i32 s0, s18, s8
	s_lshl_b64 s[0:1], s[0:1], 4
	v_lshlrev_b64 v[4:5], 4, v[4:5]
	s_add_u32 s0, s14, s0
	s_addc_u32 s1, s15, s1
	s_mul_i32 s2, s25, s8
	s_mul_hi_u32 s3, s24, s8
	v_mov_b32_e32 v6, s1
	v_add_co_u32_e32 v4, vcc, s0, v4
	s_add_i32 s3, s3, s2
	s_mul_i32 s2, s24, s8
	v_addc_co_u32_e32 v5, vcc, v6, v5, vcc
	s_lshl_b64 s[0:1], s[16:17], 7
	s_lshl_b64 s[2:3], s[2:3], 4
	v_add_co_u32_e32 v18, vcc, 8, v4
	v_lshlrev_b64 v[2:3], 4, v[2:3]
	s_add_u32 s2, s20, s2
	v_addc_co_u32_e32 v19, vcc, 0, v5, vcc
	s_addc_u32 s3, s21, s3
	v_mov_b32_e32 v4, s3
	v_add_co_u32_e32 v2, vcc, s2, v2
	v_addc_co_u32_e32 v3, vcc, v4, v3, vcc
	v_add_co_u32_e32 v20, vcc, 8, v2
	v_addc_co_u32_e32 v21, vcc, 0, v3, vcc
	s_lshl_b64 s[2:3], s[22:23], 7
	v_mov_b32_e32 v8, 0
	v_mov_b32_e32 v6, 0
	;; [unrolled: 1-line block ×8, first 2 shown]
	v_lshlrev_b32_e32 v24, 4, v0
	v_mov_b32_e32 v9, 0
	s_mov_b64 s[6:7], 0
	v_mov_b32_e32 v26, s1
	v_mov_b32_e32 v7, 0
	;; [unrolled: 1-line block ×9, first 2 shown]
.LBB1174_2:                             ; =>This Inner Loop Header: Depth=1
	global_load_dwordx4 v[28:31], v[18:19], off offset:-8
	s_add_u32 s6, s6, 8
	v_add_co_u32_e32 v18, vcc, s0, v18
	s_addc_u32 s7, s7, 0
	v_addc_co_u32_e32 v19, vcc, v19, v26, vcc
	s_waitcnt vmcnt(0)
	ds_write_b128 v22, v[28:31]
	global_load_dwordx4 v[28:31], v[20:21], off offset:-8
	v_add_co_u32_e32 v20, vcc, s2, v20
	v_addc_co_u32_e32 v21, vcc, v21, v27, vcc
	s_waitcnt vmcnt(0)
	ds_write_b128 v23, v[28:31]
	s_waitcnt lgkmcnt(0)
	s_barrier
	ds_read_b128 v[28:31], v25
	ds_read_b128 v[32:35], v25 offset:16
	ds_read_b128 v[36:39], v25 offset:32
	;; [unrolled: 1-line block ×3, first 2 shown]
	ds_read_b128 v[44:47], v24
	s_waitcnt lgkmcnt(0)
	v_mul_f64 v[48:49], v[30:31], v[46:47]
	v_mul_f64 v[50:51], v[28:29], v[46:47]
	v_fma_f64 v[48:49], v[28:29], v[44:45], -v[48:49]
	v_fma_f64 v[50:51], v[30:31], v[44:45], v[50:51]
	v_add_f64 v[48:49], v[14:15], v[48:49]
	v_add_f64 v[50:51], v[50:51], v[16:17]
	ds_read_b128 v[14:17], v24 offset:256
	s_waitcnt lgkmcnt(0)
	v_mul_f64 v[52:53], v[30:31], v[16:17]
	v_fma_f64 v[52:53], v[28:29], v[14:15], -v[52:53]
	v_mul_f64 v[28:29], v[28:29], v[16:17]
	v_fma_f64 v[28:29], v[30:31], v[14:15], v[28:29]
	v_add_f64 v[30:31], v[2:3], v[52:53]
	v_add_f64 v[28:29], v[28:29], v[4:5]
	ds_read_b128 v[2:5], v25 offset:2048
	s_waitcnt lgkmcnt(0)
	v_mul_f64 v[52:53], v[4:5], v[46:47]
	v_mul_f64 v[46:47], v[2:3], v[46:47]
	v_fma_f64 v[52:53], v[2:3], v[44:45], -v[52:53]
	v_fma_f64 v[44:45], v[4:5], v[44:45], v[46:47]
	v_add_f64 v[46:47], v[10:11], v[52:53]
	v_mul_f64 v[10:11], v[4:5], v[16:17]
	v_add_f64 v[44:45], v[44:45], v[12:13]
	v_fma_f64 v[10:11], v[2:3], v[14:15], -v[10:11]
	v_mul_f64 v[2:3], v[2:3], v[16:17]
	v_fma_f64 v[2:3], v[4:5], v[14:15], v[2:3]
	v_add_f64 v[14:15], v[6:7], v[10:11]
	v_add_f64 v[16:17], v[2:3], v[8:9]
	ds_read_b128 v[2:5], v24 offset:512
	s_waitcnt lgkmcnt(0)
	v_mul_f64 v[6:7], v[34:35], v[4:5]
	v_mul_f64 v[8:9], v[32:33], v[4:5]
	v_fma_f64 v[6:7], v[32:33], v[2:3], -v[6:7]
	v_fma_f64 v[8:9], v[34:35], v[2:3], v[8:9]
	v_add_f64 v[48:49], v[48:49], v[6:7]
	v_add_f64 v[50:51], v[8:9], v[50:51]
	ds_read_b128 v[6:9], v24 offset:768
	s_waitcnt lgkmcnt(0)
	v_mul_f64 v[10:11], v[34:35], v[8:9]
	v_mul_f64 v[12:13], v[32:33], v[8:9]
	v_fma_f64 v[10:11], v[32:33], v[6:7], -v[10:11]
	;; [unrolled: 8-line block ×3, first 2 shown]
	v_fma_f64 v[2:3], v[12:13], v[2:3], v[4:5]
	v_mul_f64 v[4:5], v[10:11], v[8:9]
	v_add_f64 v[32:33], v[46:47], v[32:33]
	v_add_f64 v[34:35], v[2:3], v[44:45]
	v_mul_f64 v[2:3], v[12:13], v[8:9]
	v_fma_f64 v[4:5], v[12:13], v[6:7], v[4:5]
	v_fma_f64 v[2:3], v[10:11], v[6:7], -v[2:3]
	v_add_f64 v[16:17], v[4:5], v[16:17]
	v_add_f64 v[14:15], v[14:15], v[2:3]
	ds_read_b128 v[2:5], v24 offset:1024
	s_waitcnt lgkmcnt(0)
	v_mul_f64 v[6:7], v[38:39], v[4:5]
	v_mul_f64 v[8:9], v[36:37], v[4:5]
	v_fma_f64 v[6:7], v[36:37], v[2:3], -v[6:7]
	v_fma_f64 v[8:9], v[38:39], v[2:3], v[8:9]
	v_add_f64 v[44:45], v[48:49], v[6:7]
	v_add_f64 v[46:47], v[8:9], v[50:51]
	ds_read_b128 v[6:9], v24 offset:1280
	s_waitcnt lgkmcnt(0)
	v_mul_f64 v[10:11], v[38:39], v[8:9]
	v_mul_f64 v[12:13], v[36:37], v[8:9]
	v_fma_f64 v[10:11], v[36:37], v[6:7], -v[10:11]
	v_fma_f64 v[12:13], v[38:39], v[6:7], v[12:13]
	;; [unrolled: 8-line block ×3, first 2 shown]
	v_mul_f64 v[4:5], v[10:11], v[8:9]
	v_add_f64 v[32:33], v[32:33], v[36:37]
	v_add_f64 v[34:35], v[2:3], v[34:35]
	v_mul_f64 v[2:3], v[12:13], v[8:9]
	v_fma_f64 v[4:5], v[12:13], v[6:7], v[4:5]
	v_fma_f64 v[2:3], v[10:11], v[6:7], -v[2:3]
	v_add_f64 v[16:17], v[4:5], v[16:17]
	v_add_f64 v[14:15], v[14:15], v[2:3]
	ds_read_b128 v[2:5], v24 offset:1536
	s_waitcnt lgkmcnt(0)
	v_mul_f64 v[6:7], v[42:43], v[4:5]
	v_mul_f64 v[8:9], v[40:41], v[4:5]
	v_fma_f64 v[6:7], v[40:41], v[2:3], -v[6:7]
	v_fma_f64 v[8:9], v[42:43], v[2:3], v[8:9]
	v_add_f64 v[36:37], v[44:45], v[6:7]
	v_add_f64 v[38:39], v[8:9], v[46:47]
	ds_read_b128 v[6:9], v24 offset:1792
	s_waitcnt lgkmcnt(0)
	v_mul_f64 v[10:11], v[42:43], v[8:9]
	v_mul_f64 v[12:13], v[40:41], v[8:9]
	v_fma_f64 v[10:11], v[40:41], v[6:7], -v[10:11]
	v_fma_f64 v[12:13], v[42:43], v[6:7], v[12:13]
	;; [unrolled: 8-line block ×3, first 2 shown]
	v_mul_f64 v[4:5], v[10:11], v[8:9]
	v_add_f64 v[32:33], v[32:33], v[40:41]
	v_add_f64 v[34:35], v[2:3], v[34:35]
	v_mul_f64 v[2:3], v[12:13], v[8:9]
	v_fma_f64 v[4:5], v[12:13], v[6:7], v[4:5]
	v_fma_f64 v[2:3], v[10:11], v[6:7], -v[2:3]
	v_add_f64 v[16:17], v[4:5], v[16:17]
	v_add_f64 v[14:15], v[14:15], v[2:3]
	ds_read_b128 v[2:5], v25 offset:64
	ds_read_b128 v[6:9], v24 offset:2048
	s_waitcnt lgkmcnt(0)
	v_mul_f64 v[10:11], v[4:5], v[8:9]
	v_mul_f64 v[12:13], v[2:3], v[8:9]
	v_fma_f64 v[10:11], v[2:3], v[6:7], -v[10:11]
	v_fma_f64 v[12:13], v[4:5], v[6:7], v[12:13]
	v_add_f64 v[36:37], v[36:37], v[10:11]
	v_add_f64 v[38:39], v[12:13], v[38:39]
	ds_read_b128 v[10:13], v24 offset:2304
	s_waitcnt lgkmcnt(0)
	v_mul_f64 v[40:41], v[4:5], v[12:13]
	v_fma_f64 v[40:41], v[2:3], v[10:11], -v[40:41]
	v_mul_f64 v[2:3], v[2:3], v[12:13]
	v_add_f64 v[30:31], v[30:31], v[40:41]
	v_fma_f64 v[2:3], v[4:5], v[10:11], v[2:3]
	v_add_f64 v[28:29], v[2:3], v[28:29]
	ds_read_b128 v[2:5], v25 offset:2112
	s_waitcnt lgkmcnt(0)
	v_mul_f64 v[40:41], v[4:5], v[8:9]
	v_mul_f64 v[8:9], v[2:3], v[8:9]
	v_fma_f64 v[40:41], v[2:3], v[6:7], -v[40:41]
	v_fma_f64 v[6:7], v[4:5], v[6:7], v[8:9]
	v_add_f64 v[32:33], v[32:33], v[40:41]
	v_add_f64 v[34:35], v[6:7], v[34:35]
	v_mul_f64 v[6:7], v[4:5], v[12:13]
	v_fma_f64 v[6:7], v[2:3], v[10:11], -v[6:7]
	v_mul_f64 v[2:3], v[2:3], v[12:13]
	v_add_f64 v[14:15], v[14:15], v[6:7]
	v_fma_f64 v[2:3], v[4:5], v[10:11], v[2:3]
	v_add_f64 v[16:17], v[2:3], v[16:17]
	ds_read_b128 v[2:5], v25 offset:80
	ds_read_b128 v[6:9], v24 offset:2560
	s_waitcnt lgkmcnt(0)
	v_mul_f64 v[10:11], v[4:5], v[8:9]
	v_mul_f64 v[12:13], v[2:3], v[8:9]
	v_fma_f64 v[10:11], v[2:3], v[6:7], -v[10:11]
	v_fma_f64 v[12:13], v[4:5], v[6:7], v[12:13]
	v_add_f64 v[36:37], v[36:37], v[10:11]
	v_add_f64 v[38:39], v[12:13], v[38:39]
	ds_read_b128 v[10:13], v24 offset:2816
	s_waitcnt lgkmcnt(0)
	v_mul_f64 v[40:41], v[4:5], v[12:13]
	v_fma_f64 v[40:41], v[2:3], v[10:11], -v[40:41]
	v_mul_f64 v[2:3], v[2:3], v[12:13]
	v_add_f64 v[30:31], v[30:31], v[40:41]
	v_fma_f64 v[2:3], v[4:5], v[10:11], v[2:3]
	v_add_f64 v[28:29], v[2:3], v[28:29]
	ds_read_b128 v[2:5], v25 offset:2128
	s_waitcnt lgkmcnt(0)
	v_mul_f64 v[40:41], v[4:5], v[8:9]
	v_mul_f64 v[8:9], v[2:3], v[8:9]
	v_fma_f64 v[40:41], v[2:3], v[6:7], -v[40:41]
	v_fma_f64 v[6:7], v[4:5], v[6:7], v[8:9]
	v_add_f64 v[32:33], v[32:33], v[40:41]
	v_add_f64 v[34:35], v[6:7], v[34:35]
	v_mul_f64 v[6:7], v[4:5], v[12:13]
	v_fma_f64 v[6:7], v[2:3], v[10:11], -v[6:7]
	v_mul_f64 v[2:3], v[2:3], v[12:13]
	v_add_f64 v[14:15], v[14:15], v[6:7]
	v_fma_f64 v[2:3], v[4:5], v[10:11], v[2:3]
	;; [unrolled: 31-line block ×3, first 2 shown]
	v_add_f64 v[50:51], v[2:3], v[16:17]
	ds_read_b128 v[2:5], v25 offset:112
	ds_read_b128 v[6:9], v24 offset:3584
	;; [unrolled: 1-line block ×4, first 2 shown]
	s_waitcnt lgkmcnt(0)
	s_barrier
	v_mul_f64 v[10:11], v[4:5], v[8:9]
	v_mul_f64 v[12:13], v[2:3], v[8:9]
	v_fma_f64 v[10:11], v[2:3], v[6:7], -v[10:11]
	v_fma_f64 v[12:13], v[4:5], v[6:7], v[12:13]
	v_add_f64 v[14:15], v[36:37], v[10:11]
	v_mul_f64 v[10:11], v[4:5], v[30:31]
	v_add_f64 v[16:17], v[12:13], v[38:39]
	v_fma_f64 v[10:11], v[2:3], v[28:29], -v[10:11]
	v_mul_f64 v[2:3], v[2:3], v[30:31]
	v_fma_f64 v[4:5], v[4:5], v[28:29], v[2:3]
	v_add_f64 v[2:3], v[40:41], v[10:11]
	v_mul_f64 v[10:11], v[34:35], v[8:9]
	v_mul_f64 v[8:9], v[32:33], v[8:9]
	v_add_f64 v[4:5], v[4:5], v[42:43]
	v_fma_f64 v[10:11], v[32:33], v[6:7], -v[10:11]
	v_fma_f64 v[6:7], v[34:35], v[6:7], v[8:9]
	v_mul_f64 v[8:9], v[32:33], v[30:31]
	v_add_f64 v[10:11], v[44:45], v[10:11]
	v_add_f64 v[12:13], v[6:7], v[46:47]
	v_mul_f64 v[6:7], v[34:35], v[30:31]
	v_fma_f64 v[8:9], v[34:35], v[28:29], v[8:9]
	v_fma_f64 v[6:7], v[32:33], v[28:29], -v[6:7]
	v_add_f64 v[8:9], v[8:9], v[50:51]
	v_mov_b32_e32 v29, s7
	v_mov_b32_e32 v28, s6
	v_cmp_le_u64_e32 vcc, s[12:13], v[28:29]
	v_add_f64 v[6:7], v[48:49], v[6:7]
	s_cbranch_vccz .LBB1174_2
	s_branch .LBB1174_4
.LBB1174_3:
	v_mov_b32_e32 v14, 0
	v_mov_b32_e32 v16, 0
	;; [unrolled: 1-line block ×16, first 2 shown]
.LBB1174_4:
	s_load_dwordx4 s[12:15], s[4:5], 0x48
	s_load_dword s6, s[4:5], 0x0
	v_add_u32_e32 v18, s10, v1
	v_ashrrev_i32_e32 v1, 31, v18
	v_add_u32_e32 v0, s9, v0
	s_waitcnt lgkmcnt(0)
	s_mul_i32 s1, s15, s8
	s_mul_hi_u32 s2, s14, s8
	s_add_i32 s1, s2, s1
	v_mul_lo_u32 v1, s12, v1
	v_mul_lo_u32 v21, s13, v18
	v_mad_u64_u32 v[19:20], s[2:3], s12, v18, 0
	s_mul_i32 s0, s14, s8
	s_lshl_b64 s[0:1], s[0:1], 4
	v_add3_u32 v20, v20, v1, v21
	s_add_u32 s4, s26, s0
	v_lshlrev_b64 v[19:20], 4, v[19:20]
	s_addc_u32 s5, s27, s1
	v_mov_b32_e32 v1, s5
	v_add_co_u32_e64 v19, s[0:1], s4, v19
	v_addc_co_u32_e64 v20, s[0:1], v1, v20, s[0:1]
	v_cmp_gt_i32_e32 vcc, s6, v18
	v_cmp_le_i32_e64 s[0:1], v0, v18
	s_and_b64 s[0:1], vcc, s[0:1]
	s_and_saveexec_b64 s[2:3], s[0:1]
	s_cbranch_execz .LBB1174_6
; %bb.5:
	v_ashrrev_i32_e32 v1, 31, v0
	v_lshlrev_b64 v[21:22], 4, v[0:1]
	v_add_co_u32_e64 v21, s[0:1], v19, v21
	v_addc_co_u32_e64 v22, s[0:1], v20, v22, s[0:1]
	global_store_dwordx4 v[21:22], v[14:17], off
.LBB1174_6:
	s_or_b64 exec, exec, s[2:3]
	v_add_u32_e32 v14, 16, v0
	v_cmp_le_i32_e64 s[0:1], v14, v18
	s_and_b64 s[2:3], vcc, s[0:1]
	s_and_saveexec_b64 s[0:1], s[2:3]
	s_cbranch_execz .LBB1174_8
; %bb.7:
	v_ashrrev_i32_e32 v15, 31, v14
	v_lshlrev_b64 v[15:16], 4, v[14:15]
	v_add_co_u32_e32 v15, vcc, v19, v15
	v_addc_co_u32_e32 v16, vcc, v20, v16, vcc
	global_store_dwordx4 v[15:16], v[2:5], off
.LBB1174_8:
	s_or_b64 exec, exec, s[0:1]
	v_add_u32_e32 v2, 16, v18
	v_ashrrev_i32_e32 v1, 31, v2
	v_mul_lo_u32 v1, s12, v1
	v_mul_lo_u32 v5, s13, v2
	v_mad_u64_u32 v[3:4], s[0:1], s12, v2, 0
	v_cmp_gt_i32_e32 vcc, s6, v2
	v_add3_u32 v4, v4, v1, v5
	v_lshlrev_b64 v[3:4], 4, v[3:4]
	v_mov_b32_e32 v1, s5
	v_add_co_u32_e64 v3, s[0:1], s4, v3
	v_addc_co_u32_e64 v4, s[0:1], v1, v4, s[0:1]
	v_cmp_le_i32_e64 s[0:1], v0, v2
	s_and_b64 s[0:1], vcc, s[0:1]
	s_and_saveexec_b64 s[2:3], s[0:1]
	s_cbranch_execz .LBB1174_10
; %bb.9:
	v_ashrrev_i32_e32 v1, 31, v0
	v_lshlrev_b64 v[0:1], 4, v[0:1]
	v_add_co_u32_e64 v0, s[0:1], v3, v0
	v_addc_co_u32_e64 v1, s[0:1], v4, v1, s[0:1]
	global_store_dwordx4 v[0:1], v[10:13], off
.LBB1174_10:
	s_or_b64 exec, exec, s[2:3]
	v_cmp_le_i32_e64 s[0:1], v14, v2
	s_and_b64 s[0:1], vcc, s[0:1]
	s_and_saveexec_b64 s[2:3], s[0:1]
	s_cbranch_execz .LBB1174_12
; %bb.11:
	v_ashrrev_i32_e32 v15, 31, v14
	v_lshlrev_b64 v[0:1], 4, v[14:15]
	v_add_co_u32_e32 v0, vcc, v3, v0
	v_addc_co_u32_e32 v1, vcc, v4, v1, vcc
	global_store_dwordx4 v[0:1], v[6:9], off
.LBB1174_12:
	s_endpgm
	.section	.rodata,"a",@progbits
	.p2align	6, 0x0
	.amdhsa_kernel _ZL37rocblas_syrkx_herkx_restricted_kernelIl19rocblas_complex_numIdELi16ELi32ELi8ELi1ELi0ELb0ELc78ELc85EKS1_S1_EviT_PT9_S3_lS5_S3_lPT10_S3_li
		.amdhsa_group_segment_fixed_size 8192
		.amdhsa_private_segment_fixed_size 0
		.amdhsa_kernarg_size 92
		.amdhsa_user_sgpr_count 6
		.amdhsa_user_sgpr_private_segment_buffer 1
		.amdhsa_user_sgpr_dispatch_ptr 0
		.amdhsa_user_sgpr_queue_ptr 0
		.amdhsa_user_sgpr_kernarg_segment_ptr 1
		.amdhsa_user_sgpr_dispatch_id 0
		.amdhsa_user_sgpr_flat_scratch_init 0
		.amdhsa_user_sgpr_private_segment_size 0
		.amdhsa_uses_dynamic_stack 0
		.amdhsa_system_sgpr_private_segment_wavefront_offset 0
		.amdhsa_system_sgpr_workgroup_id_x 1
		.amdhsa_system_sgpr_workgroup_id_y 1
		.amdhsa_system_sgpr_workgroup_id_z 1
		.amdhsa_system_sgpr_workgroup_info 0
		.amdhsa_system_vgpr_workitem_id 1
		.amdhsa_next_free_vgpr 54
		.amdhsa_next_free_sgpr 61
		.amdhsa_reserve_vcc 1
		.amdhsa_reserve_flat_scratch 0
		.amdhsa_float_round_mode_32 0
		.amdhsa_float_round_mode_16_64 0
		.amdhsa_float_denorm_mode_32 3
		.amdhsa_float_denorm_mode_16_64 3
		.amdhsa_dx10_clamp 1
		.amdhsa_ieee_mode 1
		.amdhsa_fp16_overflow 0
		.amdhsa_exception_fp_ieee_invalid_op 0
		.amdhsa_exception_fp_denorm_src 0
		.amdhsa_exception_fp_ieee_div_zero 0
		.amdhsa_exception_fp_ieee_overflow 0
		.amdhsa_exception_fp_ieee_underflow 0
		.amdhsa_exception_fp_ieee_inexact 0
		.amdhsa_exception_int_div_zero 0
	.end_amdhsa_kernel
	.section	.text._ZL37rocblas_syrkx_herkx_restricted_kernelIl19rocblas_complex_numIdELi16ELi32ELi8ELi1ELi0ELb0ELc78ELc85EKS1_S1_EviT_PT9_S3_lS5_S3_lPT10_S3_li,"axG",@progbits,_ZL37rocblas_syrkx_herkx_restricted_kernelIl19rocblas_complex_numIdELi16ELi32ELi8ELi1ELi0ELb0ELc78ELc85EKS1_S1_EviT_PT9_S3_lS5_S3_lPT10_S3_li,comdat
.Lfunc_end1174:
	.size	_ZL37rocblas_syrkx_herkx_restricted_kernelIl19rocblas_complex_numIdELi16ELi32ELi8ELi1ELi0ELb0ELc78ELc85EKS1_S1_EviT_PT9_S3_lS5_S3_lPT10_S3_li, .Lfunc_end1174-_ZL37rocblas_syrkx_herkx_restricted_kernelIl19rocblas_complex_numIdELi16ELi32ELi8ELi1ELi0ELb0ELc78ELc85EKS1_S1_EviT_PT9_S3_lS5_S3_lPT10_S3_li
                                        ; -- End function
	.set _ZL37rocblas_syrkx_herkx_restricted_kernelIl19rocblas_complex_numIdELi16ELi32ELi8ELi1ELi0ELb0ELc78ELc85EKS1_S1_EviT_PT9_S3_lS5_S3_lPT10_S3_li.num_vgpr, 54
	.set _ZL37rocblas_syrkx_herkx_restricted_kernelIl19rocblas_complex_numIdELi16ELi32ELi8ELi1ELi0ELb0ELc78ELc85EKS1_S1_EviT_PT9_S3_lS5_S3_lPT10_S3_li.num_agpr, 0
	.set _ZL37rocblas_syrkx_herkx_restricted_kernelIl19rocblas_complex_numIdELi16ELi32ELi8ELi1ELi0ELb0ELc78ELc85EKS1_S1_EviT_PT9_S3_lS5_S3_lPT10_S3_li.numbered_sgpr, 28
	.set _ZL37rocblas_syrkx_herkx_restricted_kernelIl19rocblas_complex_numIdELi16ELi32ELi8ELi1ELi0ELb0ELc78ELc85EKS1_S1_EviT_PT9_S3_lS5_S3_lPT10_S3_li.num_named_barrier, 0
	.set _ZL37rocblas_syrkx_herkx_restricted_kernelIl19rocblas_complex_numIdELi16ELi32ELi8ELi1ELi0ELb0ELc78ELc85EKS1_S1_EviT_PT9_S3_lS5_S3_lPT10_S3_li.private_seg_size, 0
	.set _ZL37rocblas_syrkx_herkx_restricted_kernelIl19rocblas_complex_numIdELi16ELi32ELi8ELi1ELi0ELb0ELc78ELc85EKS1_S1_EviT_PT9_S3_lS5_S3_lPT10_S3_li.uses_vcc, 1
	.set _ZL37rocblas_syrkx_herkx_restricted_kernelIl19rocblas_complex_numIdELi16ELi32ELi8ELi1ELi0ELb0ELc78ELc85EKS1_S1_EviT_PT9_S3_lS5_S3_lPT10_S3_li.uses_flat_scratch, 0
	.set _ZL37rocblas_syrkx_herkx_restricted_kernelIl19rocblas_complex_numIdELi16ELi32ELi8ELi1ELi0ELb0ELc78ELc85EKS1_S1_EviT_PT9_S3_lS5_S3_lPT10_S3_li.has_dyn_sized_stack, 0
	.set _ZL37rocblas_syrkx_herkx_restricted_kernelIl19rocblas_complex_numIdELi16ELi32ELi8ELi1ELi0ELb0ELc78ELc85EKS1_S1_EviT_PT9_S3_lS5_S3_lPT10_S3_li.has_recursion, 0
	.set _ZL37rocblas_syrkx_herkx_restricted_kernelIl19rocblas_complex_numIdELi16ELi32ELi8ELi1ELi0ELb0ELc78ELc85EKS1_S1_EviT_PT9_S3_lS5_S3_lPT10_S3_li.has_indirect_call, 0
	.section	.AMDGPU.csdata,"",@progbits
; Kernel info:
; codeLenInByte = 2820
; TotalNumSgprs: 32
; NumVgprs: 54
; ScratchSize: 0
; MemoryBound: 0
; FloatMode: 240
; IeeeMode: 1
; LDSByteSize: 8192 bytes/workgroup (compile time only)
; SGPRBlocks: 8
; VGPRBlocks: 13
; NumSGPRsForWavesPerEU: 65
; NumVGPRsForWavesPerEU: 54
; Occupancy: 4
; WaveLimiterHint : 1
; COMPUTE_PGM_RSRC2:SCRATCH_EN: 0
; COMPUTE_PGM_RSRC2:USER_SGPR: 6
; COMPUTE_PGM_RSRC2:TRAP_HANDLER: 0
; COMPUTE_PGM_RSRC2:TGID_X_EN: 1
; COMPUTE_PGM_RSRC2:TGID_Y_EN: 1
; COMPUTE_PGM_RSRC2:TGID_Z_EN: 1
; COMPUTE_PGM_RSRC2:TIDIG_COMP_CNT: 1
	.section	.text._ZL37rocblas_syrkx_herkx_restricted_kernelIl19rocblas_complex_numIdELi16ELi32ELi8ELin1ELi0ELb0ELc84ELc76EKS1_S1_EviT_PT9_S3_lS5_S3_lPT10_S3_li,"axG",@progbits,_ZL37rocblas_syrkx_herkx_restricted_kernelIl19rocblas_complex_numIdELi16ELi32ELi8ELin1ELi0ELb0ELc84ELc76EKS1_S1_EviT_PT9_S3_lS5_S3_lPT10_S3_li,comdat
	.globl	_ZL37rocblas_syrkx_herkx_restricted_kernelIl19rocblas_complex_numIdELi16ELi32ELi8ELin1ELi0ELb0ELc84ELc76EKS1_S1_EviT_PT9_S3_lS5_S3_lPT10_S3_li ; -- Begin function _ZL37rocblas_syrkx_herkx_restricted_kernelIl19rocblas_complex_numIdELi16ELi32ELi8ELin1ELi0ELb0ELc84ELc76EKS1_S1_EviT_PT9_S3_lS5_S3_lPT10_S3_li
	.p2align	8
	.type	_ZL37rocblas_syrkx_herkx_restricted_kernelIl19rocblas_complex_numIdELi16ELi32ELi8ELin1ELi0ELb0ELc84ELc76EKS1_S1_EviT_PT9_S3_lS5_S3_lPT10_S3_li,@function
_ZL37rocblas_syrkx_herkx_restricted_kernelIl19rocblas_complex_numIdELi16ELi32ELi8ELin1ELi0ELb0ELc84ELc76EKS1_S1_EviT_PT9_S3_lS5_S3_lPT10_S3_li: ; @_ZL37rocblas_syrkx_herkx_restricted_kernelIl19rocblas_complex_numIdELi16ELi32ELi8ELin1ELi0ELb0ELc84ELc76EKS1_S1_EviT_PT9_S3_lS5_S3_lPT10_S3_li
; %bb.0:
	s_load_dwordx16 s[12:27], s[4:5], 0x8
	s_lshl_b32 s2, s6, 5
	s_lshl_b32 s3, s7, 5
	s_waitcnt lgkmcnt(0)
	v_cmp_lt_i64_e64 s[0:1], s[12:13], 1
	s_and_b64 vcc, exec, s[0:1]
	s_cbranch_vccnz .LBB1175_3
; %bb.1:
	v_lshl_add_u32 v6, v1, 4, v0
	v_lshrrev_b32_e32 v8, 3, v6
	v_add_u32_e32 v4, s3, v8
	v_ashrrev_i32_e32 v5, 31, v4
	v_and_b32_e32 v2, 7, v0
	v_mov_b32_e32 v3, 0
	v_mul_lo_u32 v7, s22, v5
	v_mul_lo_u32 v9, s23, v4
	v_mad_u64_u32 v[4:5], s[0:1], s22, v4, v[2:3]
	v_lshlrev_b32_e32 v2, 4, v2
	v_lshl_or_b32 v2, v8, 7, v2
	v_add3_u32 v5, v9, v5, v7
	v_and_b32_e32 v9, 31, v6
	v_add_u32_e32 v23, 0x1000, v2
	v_mov_b32_e32 v2, 0x1000
	v_add_u32_e32 v8, s2, v9
	v_lshrrev_b32_e32 v6, 5, v6
	v_mov_b32_e32 v7, v3
	v_lshlrev_b32_e32 v3, 4, v9
	v_lshl_add_u32 v25, v1, 7, v2
	v_ashrrev_i32_e32 v2, 31, v8
	v_lshl_or_b32 v22, v6, 9, v3
	v_mul_lo_u32 v9, s16, v2
	v_mad_u64_u32 v[2:3], s[0:1], s16, v8, v[6:7]
	v_mul_lo_u32 v6, s17, v8
	s_mul_i32 s6, s19, s8
	s_mul_hi_u32 s7, s18, s8
	s_add_i32 s1, s7, s6
	s_mul_i32 s0, s18, s8
	s_lshl_b64 s[0:1], s[0:1], 4
	v_add3_u32 v3, v6, v3, v9
	v_lshlrev_b64 v[2:3], 4, v[2:3]
	s_add_u32 s0, s14, s0
	s_addc_u32 s1, s15, s1
	v_mov_b32_e32 v6, s1
	v_add_co_u32_e32 v2, vcc, s0, v2
	s_mul_i32 s0, s25, s8
	s_mul_hi_u32 s1, s24, s8
	v_addc_co_u32_e32 v3, vcc, v6, v3, vcc
	s_add_i32 s1, s1, s0
	s_mul_i32 s0, s24, s8
	v_add_co_u32_e32 v18, vcc, 8, v2
	s_lshl_b64 s[0:1], s[0:1], 4
	v_addc_co_u32_e32 v19, vcc, 0, v3, vcc
	v_lshlrev_b64 v[2:3], 4, v[4:5]
	s_add_u32 s0, s20, s0
	s_addc_u32 s1, s21, s1
	v_mov_b32_e32 v4, s1
	v_add_co_u32_e32 v2, vcc, s0, v2
	v_addc_co_u32_e32 v3, vcc, v4, v3, vcc
	v_add_co_u32_e32 v20, vcc, 8, v2
	v_addc_co_u32_e32 v21, vcc, 0, v3, vcc
	v_mov_b32_e32 v8, 0
	v_mov_b32_e32 v6, 0
	;; [unrolled: 1-line block ×8, first 2 shown]
	v_lshlrev_b32_e32 v24, 4, v0
	v_mov_b32_e32 v9, 0
	v_mov_b32_e32 v7, 0
	;; [unrolled: 1-line block ×8, first 2 shown]
	s_mov_b64 s[0:1], 0
.LBB1175_2:                             ; =>This Inner Loop Header: Depth=1
	global_load_dwordx4 v[26:29], v[18:19], off offset:-8
	s_add_u32 s0, s0, 8
	v_add_co_u32_e32 v18, vcc, 0x80, v18
	s_addc_u32 s1, s1, 0
	v_addc_co_u32_e32 v19, vcc, 0, v19, vcc
	s_waitcnt vmcnt(0)
	ds_write_b128 v22, v[26:29]
	global_load_dwordx4 v[26:29], v[20:21], off offset:-8
	v_add_co_u32_e32 v20, vcc, 0x80, v20
	v_addc_co_u32_e32 v21, vcc, 0, v21, vcc
	s_waitcnt vmcnt(0)
	ds_write_b128 v23, v[26:29]
	s_waitcnt lgkmcnt(0)
	s_barrier
	ds_read_b128 v[26:29], v25
	ds_read_b128 v[30:33], v25 offset:16
	ds_read_b128 v[34:37], v25 offset:32
	;; [unrolled: 1-line block ×3, first 2 shown]
	ds_read_b128 v[42:45], v24
	s_waitcnt lgkmcnt(0)
	v_mul_f64 v[46:47], v[28:29], v[44:45]
	v_mul_f64 v[48:49], v[26:27], v[44:45]
	v_fma_f64 v[46:47], v[26:27], v[42:43], -v[46:47]
	v_fma_f64 v[48:49], v[28:29], v[42:43], v[48:49]
	v_add_f64 v[46:47], v[10:11], v[46:47]
	v_add_f64 v[48:49], v[48:49], v[12:13]
	ds_read_b128 v[10:13], v24 offset:256
	s_waitcnt lgkmcnt(0)
	v_mul_f64 v[50:51], v[28:29], v[12:13]
	v_fma_f64 v[50:51], v[26:27], v[10:11], -v[50:51]
	v_mul_f64 v[26:27], v[26:27], v[12:13]
	v_fma_f64 v[26:27], v[28:29], v[10:11], v[26:27]
	v_add_f64 v[28:29], v[2:3], v[50:51]
	v_add_f64 v[26:27], v[26:27], v[4:5]
	ds_read_b128 v[2:5], v25 offset:2048
	s_waitcnt lgkmcnt(0)
	v_mul_f64 v[50:51], v[4:5], v[44:45]
	v_mul_f64 v[44:45], v[2:3], v[44:45]
	v_fma_f64 v[50:51], v[2:3], v[42:43], -v[50:51]
	v_fma_f64 v[42:43], v[4:5], v[42:43], v[44:45]
	v_add_f64 v[14:15], v[14:15], v[50:51]
	v_add_f64 v[16:17], v[42:43], v[16:17]
	v_mul_f64 v[42:43], v[4:5], v[12:13]
	v_fma_f64 v[42:43], v[2:3], v[10:11], -v[42:43]
	v_mul_f64 v[2:3], v[2:3], v[12:13]
	v_add_f64 v[42:43], v[6:7], v[42:43]
	v_fma_f64 v[2:3], v[4:5], v[10:11], v[2:3]
	v_add_f64 v[44:45], v[2:3], v[8:9]
	ds_read_b128 v[2:5], v24 offset:512
	s_waitcnt lgkmcnt(0)
	v_mul_f64 v[6:7], v[32:33], v[4:5]
	v_mul_f64 v[8:9], v[30:31], v[4:5]
	v_fma_f64 v[6:7], v[30:31], v[2:3], -v[6:7]
	v_fma_f64 v[8:9], v[32:33], v[2:3], v[8:9]
	v_add_f64 v[46:47], v[46:47], v[6:7]
	v_add_f64 v[48:49], v[8:9], v[48:49]
	ds_read_b128 v[6:9], v24 offset:768
	s_waitcnt lgkmcnt(0)
	v_mul_f64 v[10:11], v[32:33], v[8:9]
	v_mul_f64 v[12:13], v[30:31], v[8:9]
	v_fma_f64 v[10:11], v[30:31], v[6:7], -v[10:11]
	v_fma_f64 v[12:13], v[32:33], v[6:7], v[12:13]
	v_add_f64 v[28:29], v[28:29], v[10:11]
	v_add_f64 v[26:27], v[12:13], v[26:27]
	ds_read_b128 v[10:13], v25 offset:2064
	s_waitcnt lgkmcnt(0)
	v_mul_f64 v[30:31], v[12:13], v[4:5]
	v_mul_f64 v[4:5], v[10:11], v[4:5]
	v_fma_f64 v[30:31], v[10:11], v[2:3], -v[30:31]
	v_fma_f64 v[2:3], v[12:13], v[2:3], v[4:5]
	v_mul_f64 v[4:5], v[10:11], v[8:9]
	v_add_f64 v[14:15], v[14:15], v[30:31]
	v_add_f64 v[16:17], v[2:3], v[16:17]
	v_mul_f64 v[2:3], v[12:13], v[8:9]
	v_fma_f64 v[4:5], v[12:13], v[6:7], v[4:5]
	v_fma_f64 v[2:3], v[10:11], v[6:7], -v[2:3]
	v_add_f64 v[32:33], v[4:5], v[44:45]
	v_add_f64 v[30:31], v[42:43], v[2:3]
	ds_read_b128 v[2:5], v24 offset:1024
	s_waitcnt lgkmcnt(0)
	v_mul_f64 v[6:7], v[36:37], v[4:5]
	v_mul_f64 v[8:9], v[34:35], v[4:5]
	v_fma_f64 v[6:7], v[34:35], v[2:3], -v[6:7]
	v_fma_f64 v[8:9], v[36:37], v[2:3], v[8:9]
	v_add_f64 v[42:43], v[46:47], v[6:7]
	v_add_f64 v[44:45], v[8:9], v[48:49]
	ds_read_b128 v[6:9], v24 offset:1280
	s_waitcnt lgkmcnt(0)
	v_mul_f64 v[10:11], v[36:37], v[8:9]
	v_mul_f64 v[12:13], v[34:35], v[8:9]
	v_fma_f64 v[10:11], v[34:35], v[6:7], -v[10:11]
	v_fma_f64 v[12:13], v[36:37], v[6:7], v[12:13]
	v_add_f64 v[28:29], v[28:29], v[10:11]
	v_add_f64 v[26:27], v[12:13], v[26:27]
	ds_read_b128 v[10:13], v25 offset:2080
	s_waitcnt lgkmcnt(0)
	v_mul_f64 v[34:35], v[12:13], v[4:5]
	v_mul_f64 v[4:5], v[10:11], v[4:5]
	v_fma_f64 v[34:35], v[10:11], v[2:3], -v[34:35]
	v_fma_f64 v[2:3], v[12:13], v[2:3], v[4:5]
	v_mul_f64 v[4:5], v[10:11], v[8:9]
	v_add_f64 v[14:15], v[14:15], v[34:35]
	v_add_f64 v[16:17], v[2:3], v[16:17]
	v_mul_f64 v[2:3], v[12:13], v[8:9]
	v_fma_f64 v[4:5], v[12:13], v[6:7], v[4:5]
	v_fma_f64 v[2:3], v[10:11], v[6:7], -v[2:3]
	v_add_f64 v[32:33], v[4:5], v[32:33]
	;; [unrolled: 30-line block ×3, first 2 shown]
	v_add_f64 v[30:31], v[30:31], v[2:3]
	ds_read_b128 v[2:5], v25 offset:64
	ds_read_b128 v[6:9], v24 offset:2048
	s_waitcnt lgkmcnt(0)
	v_mul_f64 v[10:11], v[4:5], v[8:9]
	v_mul_f64 v[12:13], v[2:3], v[8:9]
	v_fma_f64 v[10:11], v[2:3], v[6:7], -v[10:11]
	v_fma_f64 v[12:13], v[4:5], v[6:7], v[12:13]
	v_add_f64 v[34:35], v[34:35], v[10:11]
	v_add_f64 v[36:37], v[12:13], v[36:37]
	ds_read_b128 v[10:13], v24 offset:2304
	s_waitcnt lgkmcnt(0)
	v_mul_f64 v[38:39], v[4:5], v[12:13]
	v_fma_f64 v[38:39], v[2:3], v[10:11], -v[38:39]
	v_mul_f64 v[2:3], v[2:3], v[12:13]
	v_add_f64 v[28:29], v[28:29], v[38:39]
	v_fma_f64 v[2:3], v[4:5], v[10:11], v[2:3]
	v_add_f64 v[26:27], v[2:3], v[26:27]
	ds_read_b128 v[2:5], v25 offset:2112
	s_waitcnt lgkmcnt(0)
	v_mul_f64 v[38:39], v[4:5], v[8:9]
	v_mul_f64 v[8:9], v[2:3], v[8:9]
	v_fma_f64 v[38:39], v[2:3], v[6:7], -v[38:39]
	v_fma_f64 v[6:7], v[4:5], v[6:7], v[8:9]
	v_add_f64 v[14:15], v[14:15], v[38:39]
	v_add_f64 v[16:17], v[6:7], v[16:17]
	v_mul_f64 v[6:7], v[4:5], v[12:13]
	v_fma_f64 v[6:7], v[2:3], v[10:11], -v[6:7]
	v_mul_f64 v[2:3], v[2:3], v[12:13]
	v_add_f64 v[30:31], v[30:31], v[6:7]
	v_fma_f64 v[2:3], v[4:5], v[10:11], v[2:3]
	v_add_f64 v[32:33], v[2:3], v[32:33]
	ds_read_b128 v[2:5], v25 offset:80
	ds_read_b128 v[6:9], v24 offset:2560
	s_waitcnt lgkmcnt(0)
	v_mul_f64 v[10:11], v[4:5], v[8:9]
	v_mul_f64 v[12:13], v[2:3], v[8:9]
	v_fma_f64 v[10:11], v[2:3], v[6:7], -v[10:11]
	v_fma_f64 v[12:13], v[4:5], v[6:7], v[12:13]
	v_add_f64 v[34:35], v[34:35], v[10:11]
	v_add_f64 v[36:37], v[12:13], v[36:37]
	ds_read_b128 v[10:13], v24 offset:2816
	s_waitcnt lgkmcnt(0)
	v_mul_f64 v[38:39], v[4:5], v[12:13]
	v_fma_f64 v[38:39], v[2:3], v[10:11], -v[38:39]
	v_mul_f64 v[2:3], v[2:3], v[12:13]
	v_add_f64 v[28:29], v[28:29], v[38:39]
	v_fma_f64 v[2:3], v[4:5], v[10:11], v[2:3]
	v_add_f64 v[26:27], v[2:3], v[26:27]
	ds_read_b128 v[2:5], v25 offset:2128
	s_waitcnt lgkmcnt(0)
	v_mul_f64 v[38:39], v[4:5], v[8:9]
	v_mul_f64 v[8:9], v[2:3], v[8:9]
	v_fma_f64 v[38:39], v[2:3], v[6:7], -v[38:39]
	v_fma_f64 v[6:7], v[4:5], v[6:7], v[8:9]
	v_add_f64 v[14:15], v[14:15], v[38:39]
	v_add_f64 v[16:17], v[6:7], v[16:17]
	v_mul_f64 v[6:7], v[4:5], v[12:13]
	v_fma_f64 v[6:7], v[2:3], v[10:11], -v[6:7]
	v_mul_f64 v[2:3], v[2:3], v[12:13]
	v_add_f64 v[30:31], v[30:31], v[6:7]
	v_fma_f64 v[2:3], v[4:5], v[10:11], v[2:3]
	;; [unrolled: 31-line block ×3, first 2 shown]
	v_add_f64 v[44:45], v[2:3], v[32:33]
	ds_read_b128 v[2:5], v25 offset:112
	ds_read_b128 v[6:9], v24 offset:3584
	;; [unrolled: 1-line block ×3, first 2 shown]
	s_waitcnt lgkmcnt(1)
	v_mul_f64 v[10:11], v[4:5], v[8:9]
	s_waitcnt lgkmcnt(0)
	v_mul_f64 v[30:31], v[4:5], v[28:29]
	v_mul_f64 v[12:13], v[2:3], v[8:9]
	v_fma_f64 v[10:11], v[2:3], v[6:7], -v[10:11]
	v_fma_f64 v[30:31], v[2:3], v[26:27], -v[30:31]
	v_mul_f64 v[2:3], v[2:3], v[28:29]
	v_fma_f64 v[12:13], v[4:5], v[6:7], v[12:13]
	v_add_f64 v[10:11], v[34:35], v[10:11]
	v_fma_f64 v[4:5], v[4:5], v[26:27], v[2:3]
	v_add_f64 v[2:3], v[38:39], v[30:31]
	ds_read_b128 v[30:33], v25 offset:2160
	v_add_f64 v[12:13], v[12:13], v[36:37]
	s_waitcnt lgkmcnt(0)
	s_barrier
	v_mul_f64 v[34:35], v[32:33], v[8:9]
	v_mul_f64 v[8:9], v[30:31], v[8:9]
	v_add_f64 v[4:5], v[4:5], v[40:41]
	v_fma_f64 v[34:35], v[30:31], v[6:7], -v[34:35]
	v_fma_f64 v[6:7], v[32:33], v[6:7], v[8:9]
	v_mul_f64 v[8:9], v[30:31], v[28:29]
	v_add_f64 v[14:15], v[14:15], v[34:35]
	v_add_f64 v[16:17], v[6:7], v[16:17]
	v_mul_f64 v[6:7], v[32:33], v[28:29]
	v_fma_f64 v[8:9], v[32:33], v[26:27], v[8:9]
	v_fma_f64 v[6:7], v[30:31], v[26:27], -v[6:7]
	v_add_f64 v[8:9], v[8:9], v[44:45]
	v_mov_b32_e32 v27, s1
	v_mov_b32_e32 v26, s0
	v_cmp_le_u64_e32 vcc, s[12:13], v[26:27]
	v_add_f64 v[6:7], v[42:43], v[6:7]
	s_cbranch_vccz .LBB1175_2
	s_branch .LBB1175_4
.LBB1175_3:
	v_mov_b32_e32 v10, 0
	v_mov_b32_e32 v12, 0
	v_mov_b32_e32 v2, 0
	v_mov_b32_e32 v4, 0
	v_mov_b32_e32 v14, 0
	v_mov_b32_e32 v16, 0
	v_mov_b32_e32 v6, 0
	v_mov_b32_e32 v8, 0
	v_mov_b32_e32 v11, 0
	v_mov_b32_e32 v13, 0
	v_mov_b32_e32 v3, 0
	v_mov_b32_e32 v5, 0
	v_mov_b32_e32 v15, 0
	v_mov_b32_e32 v17, 0
	v_mov_b32_e32 v7, 0
	v_mov_b32_e32 v9, 0
.LBB1175_4:
	s_load_dwordx4 s[12:15], s[4:5], 0x48
	s_load_dword s9, s[4:5], 0x0
	v_add_u32_e32 v18, s3, v1
	v_ashrrev_i32_e32 v1, 31, v18
	v_add_u32_e32 v0, s2, v0
	s_waitcnt lgkmcnt(0)
	v_mul_lo_u32 v1, s12, v1
	v_mul_lo_u32 v21, s13, v18
	v_mad_u64_u32 v[19:20], s[4:5], s12, v18, 0
	s_mul_i32 s1, s15, s8
	s_mul_hi_u32 s3, s14, s8
	s_mul_i32 s0, s14, s8
	s_add_i32 s1, s3, s1
	s_lshl_b64 s[0:1], s[0:1], 4
	v_add3_u32 v20, v20, v1, v21
	s_add_u32 s6, s26, s0
	v_lshlrev_b64 v[19:20], 4, v[19:20]
	s_addc_u32 s7, s27, s1
	v_mov_b32_e32 v1, s7
	v_add_co_u32_e32 v19, vcc, s6, v19
	v_addc_co_u32_e32 v20, vcc, v1, v20, vcc
	v_cmp_le_i32_e64 s[0:1], v18, v0
	v_cmp_gt_i32_e32 vcc, s9, v0
	s_and_b64 s[0:1], s[0:1], vcc
	s_and_saveexec_b64 s[2:3], s[0:1]
	s_cbranch_execz .LBB1175_6
; %bb.5:
	v_ashrrev_i32_e32 v1, 31, v0
	v_lshlrev_b64 v[21:22], 4, v[0:1]
	v_xor_b32_e32 v11, 0x80000000, v11
	v_add_co_u32_e64 v21, s[0:1], v19, v21
	v_xor_b32_e32 v13, 0x80000000, v13
	v_addc_co_u32_e64 v22, s[0:1], v20, v22, s[0:1]
	global_store_dwordx4 v[21:22], v[10:13], off
.LBB1175_6:
	s_or_b64 exec, exec, s[2:3]
	v_add_u32_e32 v10, 16, v0
	v_cmp_le_i32_e64 s[2:3], v18, v10
	v_cmp_gt_i32_e64 s[0:1], s9, v10
	s_and_b64 s[2:3], s[2:3], s[0:1]
	s_and_saveexec_b64 s[4:5], s[2:3]
	s_cbranch_execz .LBB1175_8
; %bb.7:
	v_ashrrev_i32_e32 v11, 31, v10
	v_lshlrev_b64 v[11:12], 4, v[10:11]
	v_xor_b32_e32 v3, 0x80000000, v3
	v_add_co_u32_e64 v11, s[2:3], v19, v11
	v_xor_b32_e32 v5, 0x80000000, v5
	v_addc_co_u32_e64 v12, s[2:3], v20, v12, s[2:3]
	global_store_dwordx4 v[11:12], v[2:5], off
.LBB1175_8:
	s_or_b64 exec, exec, s[4:5]
	v_add_u32_e32 v4, 16, v18
	v_ashrrev_i32_e32 v3, 31, v4
	v_mul_lo_u32 v5, s13, v4
	v_mad_u64_u32 v[1:2], s[2:3], s12, v4, 0
	v_mul_lo_u32 v3, s12, v3
	v_add3_u32 v2, v2, v3, v5
	v_lshlrev_b64 v[2:3], 4, v[1:2]
	v_mov_b32_e32 v1, s7
	v_add_co_u32_e64 v2, s[2:3], s6, v2
	v_addc_co_u32_e64 v3, s[2:3], v1, v3, s[2:3]
	v_cmp_le_i32_e64 s[2:3], v4, v0
	s_and_b64 s[4:5], s[2:3], vcc
	s_and_saveexec_b64 s[2:3], s[4:5]
	s_cbranch_execz .LBB1175_10
; %bb.9:
	v_ashrrev_i32_e32 v1, 31, v0
	v_lshlrev_b64 v[0:1], 4, v[0:1]
	v_xor_b32_e32 v15, 0x80000000, v15
	v_add_co_u32_e32 v0, vcc, v2, v0
	v_xor_b32_e32 v17, 0x80000000, v17
	v_addc_co_u32_e32 v1, vcc, v3, v1, vcc
	global_store_dwordx4 v[0:1], v[14:17], off
.LBB1175_10:
	s_or_b64 exec, exec, s[2:3]
	v_cmp_le_i32_e32 vcc, v4, v10
	s_and_b64 s[0:1], vcc, s[0:1]
	s_and_saveexec_b64 s[2:3], s[0:1]
	s_cbranch_execz .LBB1175_12
; %bb.11:
	v_ashrrev_i32_e32 v11, 31, v10
	v_lshlrev_b64 v[0:1], 4, v[10:11]
	v_xor_b32_e32 v7, 0x80000000, v7
	v_add_co_u32_e32 v0, vcc, v2, v0
	v_xor_b32_e32 v9, 0x80000000, v9
	v_addc_co_u32_e32 v1, vcc, v3, v1, vcc
	global_store_dwordx4 v[0:1], v[6:9], off
.LBB1175_12:
	s_endpgm
	.section	.rodata,"a",@progbits
	.p2align	6, 0x0
	.amdhsa_kernel _ZL37rocblas_syrkx_herkx_restricted_kernelIl19rocblas_complex_numIdELi16ELi32ELi8ELin1ELi0ELb0ELc84ELc76EKS1_S1_EviT_PT9_S3_lS5_S3_lPT10_S3_li
		.amdhsa_group_segment_fixed_size 8192
		.amdhsa_private_segment_fixed_size 0
		.amdhsa_kernarg_size 92
		.amdhsa_user_sgpr_count 6
		.amdhsa_user_sgpr_private_segment_buffer 1
		.amdhsa_user_sgpr_dispatch_ptr 0
		.amdhsa_user_sgpr_queue_ptr 0
		.amdhsa_user_sgpr_kernarg_segment_ptr 1
		.amdhsa_user_sgpr_dispatch_id 0
		.amdhsa_user_sgpr_flat_scratch_init 0
		.amdhsa_user_sgpr_private_segment_size 0
		.amdhsa_uses_dynamic_stack 0
		.amdhsa_system_sgpr_private_segment_wavefront_offset 0
		.amdhsa_system_sgpr_workgroup_id_x 1
		.amdhsa_system_sgpr_workgroup_id_y 1
		.amdhsa_system_sgpr_workgroup_id_z 1
		.amdhsa_system_sgpr_workgroup_info 0
		.amdhsa_system_vgpr_workitem_id 1
		.amdhsa_next_free_vgpr 52
		.amdhsa_next_free_sgpr 61
		.amdhsa_reserve_vcc 1
		.amdhsa_reserve_flat_scratch 0
		.amdhsa_float_round_mode_32 0
		.amdhsa_float_round_mode_16_64 0
		.amdhsa_float_denorm_mode_32 3
		.amdhsa_float_denorm_mode_16_64 3
		.amdhsa_dx10_clamp 1
		.amdhsa_ieee_mode 1
		.amdhsa_fp16_overflow 0
		.amdhsa_exception_fp_ieee_invalid_op 0
		.amdhsa_exception_fp_denorm_src 0
		.amdhsa_exception_fp_ieee_div_zero 0
		.amdhsa_exception_fp_ieee_overflow 0
		.amdhsa_exception_fp_ieee_underflow 0
		.amdhsa_exception_fp_ieee_inexact 0
		.amdhsa_exception_int_div_zero 0
	.end_amdhsa_kernel
	.section	.text._ZL37rocblas_syrkx_herkx_restricted_kernelIl19rocblas_complex_numIdELi16ELi32ELi8ELin1ELi0ELb0ELc84ELc76EKS1_S1_EviT_PT9_S3_lS5_S3_lPT10_S3_li,"axG",@progbits,_ZL37rocblas_syrkx_herkx_restricted_kernelIl19rocblas_complex_numIdELi16ELi32ELi8ELin1ELi0ELb0ELc84ELc76EKS1_S1_EviT_PT9_S3_lS5_S3_lPT10_S3_li,comdat
.Lfunc_end1175:
	.size	_ZL37rocblas_syrkx_herkx_restricted_kernelIl19rocblas_complex_numIdELi16ELi32ELi8ELin1ELi0ELb0ELc84ELc76EKS1_S1_EviT_PT9_S3_lS5_S3_lPT10_S3_li, .Lfunc_end1175-_ZL37rocblas_syrkx_herkx_restricted_kernelIl19rocblas_complex_numIdELi16ELi32ELi8ELin1ELi0ELb0ELc84ELc76EKS1_S1_EviT_PT9_S3_lS5_S3_lPT10_S3_li
                                        ; -- End function
	.set _ZL37rocblas_syrkx_herkx_restricted_kernelIl19rocblas_complex_numIdELi16ELi32ELi8ELin1ELi0ELb0ELc84ELc76EKS1_S1_EviT_PT9_S3_lS5_S3_lPT10_S3_li.num_vgpr, 52
	.set _ZL37rocblas_syrkx_herkx_restricted_kernelIl19rocblas_complex_numIdELi16ELi32ELi8ELin1ELi0ELb0ELc84ELc76EKS1_S1_EviT_PT9_S3_lS5_S3_lPT10_S3_li.num_agpr, 0
	.set _ZL37rocblas_syrkx_herkx_restricted_kernelIl19rocblas_complex_numIdELi16ELi32ELi8ELin1ELi0ELb0ELc84ELc76EKS1_S1_EviT_PT9_S3_lS5_S3_lPT10_S3_li.numbered_sgpr, 28
	.set _ZL37rocblas_syrkx_herkx_restricted_kernelIl19rocblas_complex_numIdELi16ELi32ELi8ELin1ELi0ELb0ELc84ELc76EKS1_S1_EviT_PT9_S3_lS5_S3_lPT10_S3_li.num_named_barrier, 0
	.set _ZL37rocblas_syrkx_herkx_restricted_kernelIl19rocblas_complex_numIdELi16ELi32ELi8ELin1ELi0ELb0ELc84ELc76EKS1_S1_EviT_PT9_S3_lS5_S3_lPT10_S3_li.private_seg_size, 0
	.set _ZL37rocblas_syrkx_herkx_restricted_kernelIl19rocblas_complex_numIdELi16ELi32ELi8ELin1ELi0ELb0ELc84ELc76EKS1_S1_EviT_PT9_S3_lS5_S3_lPT10_S3_li.uses_vcc, 1
	.set _ZL37rocblas_syrkx_herkx_restricted_kernelIl19rocblas_complex_numIdELi16ELi32ELi8ELin1ELi0ELb0ELc84ELc76EKS1_S1_EviT_PT9_S3_lS5_S3_lPT10_S3_li.uses_flat_scratch, 0
	.set _ZL37rocblas_syrkx_herkx_restricted_kernelIl19rocblas_complex_numIdELi16ELi32ELi8ELin1ELi0ELb0ELc84ELc76EKS1_S1_EviT_PT9_S3_lS5_S3_lPT10_S3_li.has_dyn_sized_stack, 0
	.set _ZL37rocblas_syrkx_herkx_restricted_kernelIl19rocblas_complex_numIdELi16ELi32ELi8ELin1ELi0ELb0ELc84ELc76EKS1_S1_EviT_PT9_S3_lS5_S3_lPT10_S3_li.has_recursion, 0
	.set _ZL37rocblas_syrkx_herkx_restricted_kernelIl19rocblas_complex_numIdELi16ELi32ELi8ELin1ELi0ELb0ELc84ELc76EKS1_S1_EviT_PT9_S3_lS5_S3_lPT10_S3_li.has_indirect_call, 0
	.section	.AMDGPU.csdata,"",@progbits
; Kernel info:
; codeLenInByte = 2916
; TotalNumSgprs: 32
; NumVgprs: 52
; ScratchSize: 0
; MemoryBound: 0
; FloatMode: 240
; IeeeMode: 1
; LDSByteSize: 8192 bytes/workgroup (compile time only)
; SGPRBlocks: 8
; VGPRBlocks: 12
; NumSGPRsForWavesPerEU: 65
; NumVGPRsForWavesPerEU: 52
; Occupancy: 4
; WaveLimiterHint : 1
; COMPUTE_PGM_RSRC2:SCRATCH_EN: 0
; COMPUTE_PGM_RSRC2:USER_SGPR: 6
; COMPUTE_PGM_RSRC2:TRAP_HANDLER: 0
; COMPUTE_PGM_RSRC2:TGID_X_EN: 1
; COMPUTE_PGM_RSRC2:TGID_Y_EN: 1
; COMPUTE_PGM_RSRC2:TGID_Z_EN: 1
; COMPUTE_PGM_RSRC2:TIDIG_COMP_CNT: 1
	.section	.text._ZL37rocblas_syrkx_herkx_restricted_kernelIl19rocblas_complex_numIdELi16ELi32ELi8ELin1ELi0ELb0ELc67ELc76EKS1_S1_EviT_PT9_S3_lS5_S3_lPT10_S3_li,"axG",@progbits,_ZL37rocblas_syrkx_herkx_restricted_kernelIl19rocblas_complex_numIdELi16ELi32ELi8ELin1ELi0ELb0ELc67ELc76EKS1_S1_EviT_PT9_S3_lS5_S3_lPT10_S3_li,comdat
	.globl	_ZL37rocblas_syrkx_herkx_restricted_kernelIl19rocblas_complex_numIdELi16ELi32ELi8ELin1ELi0ELb0ELc67ELc76EKS1_S1_EviT_PT9_S3_lS5_S3_lPT10_S3_li ; -- Begin function _ZL37rocblas_syrkx_herkx_restricted_kernelIl19rocblas_complex_numIdELi16ELi32ELi8ELin1ELi0ELb0ELc67ELc76EKS1_S1_EviT_PT9_S3_lS5_S3_lPT10_S3_li
	.p2align	8
	.type	_ZL37rocblas_syrkx_herkx_restricted_kernelIl19rocblas_complex_numIdELi16ELi32ELi8ELin1ELi0ELb0ELc67ELc76EKS1_S1_EviT_PT9_S3_lS5_S3_lPT10_S3_li,@function
_ZL37rocblas_syrkx_herkx_restricted_kernelIl19rocblas_complex_numIdELi16ELi32ELi8ELin1ELi0ELb0ELc67ELc76EKS1_S1_EviT_PT9_S3_lS5_S3_lPT10_S3_li: ; @_ZL37rocblas_syrkx_herkx_restricted_kernelIl19rocblas_complex_numIdELi16ELi32ELi8ELin1ELi0ELb0ELc67ELc76EKS1_S1_EviT_PT9_S3_lS5_S3_lPT10_S3_li
; %bb.0:
	s_load_dwordx16 s[12:27], s[4:5], 0x8
	s_lshl_b32 s2, s6, 5
	s_lshl_b32 s3, s7, 5
	s_waitcnt lgkmcnt(0)
	v_cmp_lt_i64_e64 s[0:1], s[12:13], 1
	s_and_b64 vcc, exec, s[0:1]
	s_cbranch_vccnz .LBB1176_3
; %bb.1:
	v_lshl_add_u32 v6, v1, 4, v0
	v_lshrrev_b32_e32 v8, 3, v6
	v_add_u32_e32 v4, s3, v8
	v_ashrrev_i32_e32 v5, 31, v4
	v_and_b32_e32 v2, 7, v0
	v_mov_b32_e32 v3, 0
	v_mul_lo_u32 v7, s22, v5
	v_mul_lo_u32 v9, s23, v4
	v_mad_u64_u32 v[4:5], s[0:1], s22, v4, v[2:3]
	v_lshlrev_b32_e32 v2, 4, v2
	v_lshl_or_b32 v2, v8, 7, v2
	v_add3_u32 v5, v9, v5, v7
	v_and_b32_e32 v9, 31, v6
	v_add_u32_e32 v23, 0x1000, v2
	v_mov_b32_e32 v2, 0x1000
	v_add_u32_e32 v8, s2, v9
	v_lshrrev_b32_e32 v6, 5, v6
	v_mov_b32_e32 v7, v3
	v_lshlrev_b32_e32 v3, 4, v9
	v_lshl_add_u32 v25, v1, 7, v2
	v_ashrrev_i32_e32 v2, 31, v8
	v_lshl_or_b32 v22, v6, 9, v3
	v_mul_lo_u32 v9, s16, v2
	v_mad_u64_u32 v[2:3], s[0:1], s16, v8, v[6:7]
	v_mul_lo_u32 v6, s17, v8
	s_mul_i32 s6, s19, s8
	s_mul_hi_u32 s7, s18, s8
	s_add_i32 s1, s7, s6
	s_mul_i32 s0, s18, s8
	s_lshl_b64 s[0:1], s[0:1], 4
	v_add3_u32 v3, v6, v3, v9
	v_lshlrev_b64 v[2:3], 4, v[2:3]
	s_add_u32 s0, s14, s0
	s_addc_u32 s1, s15, s1
	v_mov_b32_e32 v6, s1
	v_add_co_u32_e32 v2, vcc, s0, v2
	s_mul_i32 s0, s25, s8
	s_mul_hi_u32 s1, s24, s8
	v_addc_co_u32_e32 v3, vcc, v6, v3, vcc
	s_add_i32 s1, s1, s0
	s_mul_i32 s0, s24, s8
	v_add_co_u32_e32 v18, vcc, 8, v2
	s_lshl_b64 s[0:1], s[0:1], 4
	v_addc_co_u32_e32 v19, vcc, 0, v3, vcc
	v_lshlrev_b64 v[2:3], 4, v[4:5]
	s_add_u32 s0, s20, s0
	s_addc_u32 s1, s21, s1
	v_mov_b32_e32 v4, s1
	v_add_co_u32_e32 v2, vcc, s0, v2
	v_addc_co_u32_e32 v3, vcc, v4, v3, vcc
	v_add_co_u32_e32 v20, vcc, 8, v2
	v_addc_co_u32_e32 v21, vcc, 0, v3, vcc
	v_mov_b32_e32 v8, 0
	v_mov_b32_e32 v6, 0
	;; [unrolled: 1-line block ×8, first 2 shown]
	v_lshlrev_b32_e32 v24, 4, v0
	v_mov_b32_e32 v9, 0
	v_mov_b32_e32 v7, 0
	;; [unrolled: 1-line block ×8, first 2 shown]
	s_mov_b64 s[0:1], 0
.LBB1176_2:                             ; =>This Inner Loop Header: Depth=1
	global_load_dwordx4 v[26:29], v[18:19], off offset:-8
	s_add_u32 s0, s0, 8
	v_add_co_u32_e32 v18, vcc, 0x80, v18
	s_addc_u32 s1, s1, 0
	v_addc_co_u32_e32 v19, vcc, 0, v19, vcc
	s_waitcnt vmcnt(0)
	ds_write_b128 v22, v[26:29]
	global_load_dwordx4 v[26:29], v[20:21], off offset:-8
	v_add_co_u32_e32 v20, vcc, 0x80, v20
	v_addc_co_u32_e32 v21, vcc, 0, v21, vcc
	s_waitcnt vmcnt(0)
	ds_write_b128 v23, v[26:29]
	s_waitcnt lgkmcnt(0)
	s_barrier
	ds_read_b128 v[26:29], v25
	ds_read_b128 v[30:33], v25 offset:16
	ds_read_b128 v[34:37], v25 offset:32
	;; [unrolled: 1-line block ×3, first 2 shown]
	ds_read_b128 v[42:45], v24
	s_waitcnt lgkmcnt(0)
	v_mul_f64 v[46:47], v[28:29], v[44:45]
	v_mul_f64 v[48:49], v[26:27], v[44:45]
	v_fma_f64 v[46:47], v[26:27], v[42:43], -v[46:47]
	v_fma_f64 v[48:49], v[28:29], v[42:43], v[48:49]
	v_add_f64 v[46:47], v[10:11], v[46:47]
	v_add_f64 v[48:49], v[48:49], v[12:13]
	ds_read_b128 v[10:13], v24 offset:256
	s_waitcnt lgkmcnt(0)
	v_mul_f64 v[50:51], v[28:29], v[12:13]
	v_fma_f64 v[50:51], v[26:27], v[10:11], -v[50:51]
	v_mul_f64 v[26:27], v[26:27], v[12:13]
	v_fma_f64 v[26:27], v[28:29], v[10:11], v[26:27]
	v_add_f64 v[28:29], v[2:3], v[50:51]
	v_add_f64 v[26:27], v[26:27], v[4:5]
	ds_read_b128 v[2:5], v25 offset:2048
	s_waitcnt lgkmcnt(0)
	v_mul_f64 v[50:51], v[4:5], v[44:45]
	v_mul_f64 v[44:45], v[2:3], v[44:45]
	v_fma_f64 v[50:51], v[2:3], v[42:43], -v[50:51]
	v_fma_f64 v[42:43], v[4:5], v[42:43], v[44:45]
	v_add_f64 v[14:15], v[14:15], v[50:51]
	v_add_f64 v[16:17], v[42:43], v[16:17]
	v_mul_f64 v[42:43], v[4:5], v[12:13]
	v_fma_f64 v[42:43], v[2:3], v[10:11], -v[42:43]
	v_mul_f64 v[2:3], v[2:3], v[12:13]
	v_add_f64 v[42:43], v[6:7], v[42:43]
	v_fma_f64 v[2:3], v[4:5], v[10:11], v[2:3]
	v_add_f64 v[44:45], v[2:3], v[8:9]
	ds_read_b128 v[2:5], v24 offset:512
	s_waitcnt lgkmcnt(0)
	v_mul_f64 v[6:7], v[32:33], v[4:5]
	v_mul_f64 v[8:9], v[30:31], v[4:5]
	v_fma_f64 v[6:7], v[30:31], v[2:3], -v[6:7]
	v_fma_f64 v[8:9], v[32:33], v[2:3], v[8:9]
	v_add_f64 v[46:47], v[46:47], v[6:7]
	v_add_f64 v[48:49], v[8:9], v[48:49]
	ds_read_b128 v[6:9], v24 offset:768
	s_waitcnt lgkmcnt(0)
	v_mul_f64 v[10:11], v[32:33], v[8:9]
	v_mul_f64 v[12:13], v[30:31], v[8:9]
	v_fma_f64 v[10:11], v[30:31], v[6:7], -v[10:11]
	v_fma_f64 v[12:13], v[32:33], v[6:7], v[12:13]
	v_add_f64 v[28:29], v[28:29], v[10:11]
	v_add_f64 v[26:27], v[12:13], v[26:27]
	ds_read_b128 v[10:13], v25 offset:2064
	s_waitcnt lgkmcnt(0)
	v_mul_f64 v[30:31], v[12:13], v[4:5]
	v_mul_f64 v[4:5], v[10:11], v[4:5]
	v_fma_f64 v[30:31], v[10:11], v[2:3], -v[30:31]
	v_fma_f64 v[2:3], v[12:13], v[2:3], v[4:5]
	v_mul_f64 v[4:5], v[10:11], v[8:9]
	v_add_f64 v[14:15], v[14:15], v[30:31]
	v_add_f64 v[16:17], v[2:3], v[16:17]
	v_mul_f64 v[2:3], v[12:13], v[8:9]
	v_fma_f64 v[4:5], v[12:13], v[6:7], v[4:5]
	v_fma_f64 v[2:3], v[10:11], v[6:7], -v[2:3]
	v_add_f64 v[32:33], v[4:5], v[44:45]
	v_add_f64 v[30:31], v[42:43], v[2:3]
	ds_read_b128 v[2:5], v24 offset:1024
	s_waitcnt lgkmcnt(0)
	v_mul_f64 v[6:7], v[36:37], v[4:5]
	v_mul_f64 v[8:9], v[34:35], v[4:5]
	v_fma_f64 v[6:7], v[34:35], v[2:3], -v[6:7]
	v_fma_f64 v[8:9], v[36:37], v[2:3], v[8:9]
	v_add_f64 v[42:43], v[46:47], v[6:7]
	v_add_f64 v[44:45], v[8:9], v[48:49]
	ds_read_b128 v[6:9], v24 offset:1280
	s_waitcnt lgkmcnt(0)
	v_mul_f64 v[10:11], v[36:37], v[8:9]
	v_mul_f64 v[12:13], v[34:35], v[8:9]
	v_fma_f64 v[10:11], v[34:35], v[6:7], -v[10:11]
	v_fma_f64 v[12:13], v[36:37], v[6:7], v[12:13]
	v_add_f64 v[28:29], v[28:29], v[10:11]
	v_add_f64 v[26:27], v[12:13], v[26:27]
	ds_read_b128 v[10:13], v25 offset:2080
	s_waitcnt lgkmcnt(0)
	v_mul_f64 v[34:35], v[12:13], v[4:5]
	v_mul_f64 v[4:5], v[10:11], v[4:5]
	v_fma_f64 v[34:35], v[10:11], v[2:3], -v[34:35]
	v_fma_f64 v[2:3], v[12:13], v[2:3], v[4:5]
	v_mul_f64 v[4:5], v[10:11], v[8:9]
	v_add_f64 v[14:15], v[14:15], v[34:35]
	v_add_f64 v[16:17], v[2:3], v[16:17]
	v_mul_f64 v[2:3], v[12:13], v[8:9]
	v_fma_f64 v[4:5], v[12:13], v[6:7], v[4:5]
	v_fma_f64 v[2:3], v[10:11], v[6:7], -v[2:3]
	v_add_f64 v[32:33], v[4:5], v[32:33]
	;; [unrolled: 30-line block ×3, first 2 shown]
	v_add_f64 v[30:31], v[30:31], v[2:3]
	ds_read_b128 v[2:5], v25 offset:64
	ds_read_b128 v[6:9], v24 offset:2048
	s_waitcnt lgkmcnt(0)
	v_mul_f64 v[10:11], v[4:5], v[8:9]
	v_mul_f64 v[12:13], v[2:3], v[8:9]
	v_fma_f64 v[10:11], v[2:3], v[6:7], -v[10:11]
	v_fma_f64 v[12:13], v[4:5], v[6:7], v[12:13]
	v_add_f64 v[34:35], v[34:35], v[10:11]
	v_add_f64 v[36:37], v[12:13], v[36:37]
	ds_read_b128 v[10:13], v24 offset:2304
	s_waitcnt lgkmcnt(0)
	v_mul_f64 v[38:39], v[4:5], v[12:13]
	v_fma_f64 v[38:39], v[2:3], v[10:11], -v[38:39]
	v_mul_f64 v[2:3], v[2:3], v[12:13]
	v_add_f64 v[28:29], v[28:29], v[38:39]
	v_fma_f64 v[2:3], v[4:5], v[10:11], v[2:3]
	v_add_f64 v[26:27], v[2:3], v[26:27]
	ds_read_b128 v[2:5], v25 offset:2112
	s_waitcnt lgkmcnt(0)
	v_mul_f64 v[38:39], v[4:5], v[8:9]
	v_mul_f64 v[8:9], v[2:3], v[8:9]
	v_fma_f64 v[38:39], v[2:3], v[6:7], -v[38:39]
	v_fma_f64 v[6:7], v[4:5], v[6:7], v[8:9]
	v_add_f64 v[14:15], v[14:15], v[38:39]
	v_add_f64 v[16:17], v[6:7], v[16:17]
	v_mul_f64 v[6:7], v[4:5], v[12:13]
	v_fma_f64 v[6:7], v[2:3], v[10:11], -v[6:7]
	v_mul_f64 v[2:3], v[2:3], v[12:13]
	v_add_f64 v[30:31], v[30:31], v[6:7]
	v_fma_f64 v[2:3], v[4:5], v[10:11], v[2:3]
	v_add_f64 v[32:33], v[2:3], v[32:33]
	ds_read_b128 v[2:5], v25 offset:80
	ds_read_b128 v[6:9], v24 offset:2560
	s_waitcnt lgkmcnt(0)
	v_mul_f64 v[10:11], v[4:5], v[8:9]
	v_mul_f64 v[12:13], v[2:3], v[8:9]
	v_fma_f64 v[10:11], v[2:3], v[6:7], -v[10:11]
	v_fma_f64 v[12:13], v[4:5], v[6:7], v[12:13]
	v_add_f64 v[34:35], v[34:35], v[10:11]
	v_add_f64 v[36:37], v[12:13], v[36:37]
	ds_read_b128 v[10:13], v24 offset:2816
	s_waitcnt lgkmcnt(0)
	v_mul_f64 v[38:39], v[4:5], v[12:13]
	v_fma_f64 v[38:39], v[2:3], v[10:11], -v[38:39]
	v_mul_f64 v[2:3], v[2:3], v[12:13]
	v_add_f64 v[28:29], v[28:29], v[38:39]
	v_fma_f64 v[2:3], v[4:5], v[10:11], v[2:3]
	v_add_f64 v[26:27], v[2:3], v[26:27]
	ds_read_b128 v[2:5], v25 offset:2128
	s_waitcnt lgkmcnt(0)
	v_mul_f64 v[38:39], v[4:5], v[8:9]
	v_mul_f64 v[8:9], v[2:3], v[8:9]
	v_fma_f64 v[38:39], v[2:3], v[6:7], -v[38:39]
	v_fma_f64 v[6:7], v[4:5], v[6:7], v[8:9]
	v_add_f64 v[14:15], v[14:15], v[38:39]
	v_add_f64 v[16:17], v[6:7], v[16:17]
	v_mul_f64 v[6:7], v[4:5], v[12:13]
	v_fma_f64 v[6:7], v[2:3], v[10:11], -v[6:7]
	v_mul_f64 v[2:3], v[2:3], v[12:13]
	v_add_f64 v[30:31], v[30:31], v[6:7]
	v_fma_f64 v[2:3], v[4:5], v[10:11], v[2:3]
	;; [unrolled: 31-line block ×3, first 2 shown]
	v_add_f64 v[44:45], v[2:3], v[32:33]
	ds_read_b128 v[2:5], v25 offset:112
	ds_read_b128 v[6:9], v24 offset:3584
	;; [unrolled: 1-line block ×3, first 2 shown]
	s_waitcnt lgkmcnt(1)
	v_mul_f64 v[10:11], v[4:5], v[8:9]
	s_waitcnt lgkmcnt(0)
	v_mul_f64 v[30:31], v[4:5], v[28:29]
	v_mul_f64 v[12:13], v[2:3], v[8:9]
	v_fma_f64 v[10:11], v[2:3], v[6:7], -v[10:11]
	v_fma_f64 v[30:31], v[2:3], v[26:27], -v[30:31]
	v_mul_f64 v[2:3], v[2:3], v[28:29]
	v_fma_f64 v[12:13], v[4:5], v[6:7], v[12:13]
	v_add_f64 v[10:11], v[34:35], v[10:11]
	v_fma_f64 v[4:5], v[4:5], v[26:27], v[2:3]
	v_add_f64 v[2:3], v[38:39], v[30:31]
	ds_read_b128 v[30:33], v25 offset:2160
	v_add_f64 v[12:13], v[12:13], v[36:37]
	s_waitcnt lgkmcnt(0)
	s_barrier
	v_mul_f64 v[34:35], v[32:33], v[8:9]
	v_mul_f64 v[8:9], v[30:31], v[8:9]
	v_add_f64 v[4:5], v[4:5], v[40:41]
	v_fma_f64 v[34:35], v[30:31], v[6:7], -v[34:35]
	v_fma_f64 v[6:7], v[32:33], v[6:7], v[8:9]
	v_mul_f64 v[8:9], v[30:31], v[28:29]
	v_add_f64 v[14:15], v[14:15], v[34:35]
	v_add_f64 v[16:17], v[6:7], v[16:17]
	v_mul_f64 v[6:7], v[32:33], v[28:29]
	v_fma_f64 v[8:9], v[32:33], v[26:27], v[8:9]
	v_fma_f64 v[6:7], v[30:31], v[26:27], -v[6:7]
	v_add_f64 v[8:9], v[8:9], v[44:45]
	v_mov_b32_e32 v27, s1
	v_mov_b32_e32 v26, s0
	v_cmp_le_u64_e32 vcc, s[12:13], v[26:27]
	v_add_f64 v[6:7], v[42:43], v[6:7]
	s_cbranch_vccz .LBB1176_2
	s_branch .LBB1176_4
.LBB1176_3:
	v_mov_b32_e32 v10, 0
	v_mov_b32_e32 v12, 0
	;; [unrolled: 1-line block ×16, first 2 shown]
.LBB1176_4:
	s_load_dwordx4 s[12:15], s[4:5], 0x48
	s_load_dword s9, s[4:5], 0x0
	v_add_u32_e32 v18, s3, v1
	v_ashrrev_i32_e32 v1, 31, v18
	v_add_u32_e32 v0, s2, v0
	s_waitcnt lgkmcnt(0)
	v_mul_lo_u32 v1, s12, v1
	v_mul_lo_u32 v21, s13, v18
	v_mad_u64_u32 v[19:20], s[4:5], s12, v18, 0
	s_mul_i32 s1, s15, s8
	s_mul_hi_u32 s3, s14, s8
	s_mul_i32 s0, s14, s8
	s_add_i32 s1, s3, s1
	s_lshl_b64 s[0:1], s[0:1], 4
	v_add3_u32 v20, v20, v1, v21
	s_add_u32 s6, s26, s0
	v_lshlrev_b64 v[19:20], 4, v[19:20]
	s_addc_u32 s7, s27, s1
	v_mov_b32_e32 v1, s7
	v_add_co_u32_e32 v19, vcc, s6, v19
	v_addc_co_u32_e32 v20, vcc, v1, v20, vcc
	v_cmp_le_i32_e64 s[0:1], v18, v0
	v_cmp_gt_i32_e32 vcc, s9, v0
	s_and_b64 s[0:1], s[0:1], vcc
	s_and_saveexec_b64 s[2:3], s[0:1]
	s_cbranch_execz .LBB1176_6
; %bb.5:
	v_ashrrev_i32_e32 v1, 31, v0
	v_lshlrev_b64 v[21:22], 4, v[0:1]
	v_xor_b32_e32 v11, 0x80000000, v11
	v_add_co_u32_e64 v21, s[0:1], v19, v21
	v_xor_b32_e32 v13, 0x80000000, v13
	v_addc_co_u32_e64 v22, s[0:1], v20, v22, s[0:1]
	global_store_dwordx4 v[21:22], v[10:13], off
.LBB1176_6:
	s_or_b64 exec, exec, s[2:3]
	v_add_u32_e32 v10, 16, v0
	v_cmp_le_i32_e64 s[2:3], v18, v10
	v_cmp_gt_i32_e64 s[0:1], s9, v10
	s_and_b64 s[2:3], s[2:3], s[0:1]
	s_and_saveexec_b64 s[4:5], s[2:3]
	s_cbranch_execz .LBB1176_8
; %bb.7:
	v_ashrrev_i32_e32 v11, 31, v10
	v_lshlrev_b64 v[11:12], 4, v[10:11]
	v_xor_b32_e32 v3, 0x80000000, v3
	v_add_co_u32_e64 v11, s[2:3], v19, v11
	v_xor_b32_e32 v5, 0x80000000, v5
	v_addc_co_u32_e64 v12, s[2:3], v20, v12, s[2:3]
	global_store_dwordx4 v[11:12], v[2:5], off
.LBB1176_8:
	s_or_b64 exec, exec, s[4:5]
	v_add_u32_e32 v4, 16, v18
	v_ashrrev_i32_e32 v3, 31, v4
	v_mul_lo_u32 v5, s13, v4
	v_mad_u64_u32 v[1:2], s[2:3], s12, v4, 0
	v_mul_lo_u32 v3, s12, v3
	v_add3_u32 v2, v2, v3, v5
	v_lshlrev_b64 v[2:3], 4, v[1:2]
	v_mov_b32_e32 v1, s7
	v_add_co_u32_e64 v2, s[2:3], s6, v2
	v_addc_co_u32_e64 v3, s[2:3], v1, v3, s[2:3]
	v_cmp_le_i32_e64 s[2:3], v4, v0
	s_and_b64 s[4:5], s[2:3], vcc
	s_and_saveexec_b64 s[2:3], s[4:5]
	s_cbranch_execz .LBB1176_10
; %bb.9:
	v_ashrrev_i32_e32 v1, 31, v0
	v_lshlrev_b64 v[0:1], 4, v[0:1]
	v_xor_b32_e32 v15, 0x80000000, v15
	v_add_co_u32_e32 v0, vcc, v2, v0
	v_xor_b32_e32 v17, 0x80000000, v17
	v_addc_co_u32_e32 v1, vcc, v3, v1, vcc
	global_store_dwordx4 v[0:1], v[14:17], off
.LBB1176_10:
	s_or_b64 exec, exec, s[2:3]
	v_cmp_le_i32_e32 vcc, v4, v10
	s_and_b64 s[0:1], vcc, s[0:1]
	s_and_saveexec_b64 s[2:3], s[0:1]
	s_cbranch_execz .LBB1176_12
; %bb.11:
	v_ashrrev_i32_e32 v11, 31, v10
	v_lshlrev_b64 v[0:1], 4, v[10:11]
	v_xor_b32_e32 v7, 0x80000000, v7
	v_add_co_u32_e32 v0, vcc, v2, v0
	v_xor_b32_e32 v9, 0x80000000, v9
	v_addc_co_u32_e32 v1, vcc, v3, v1, vcc
	global_store_dwordx4 v[0:1], v[6:9], off
.LBB1176_12:
	s_endpgm
	.section	.rodata,"a",@progbits
	.p2align	6, 0x0
	.amdhsa_kernel _ZL37rocblas_syrkx_herkx_restricted_kernelIl19rocblas_complex_numIdELi16ELi32ELi8ELin1ELi0ELb0ELc67ELc76EKS1_S1_EviT_PT9_S3_lS5_S3_lPT10_S3_li
		.amdhsa_group_segment_fixed_size 8192
		.amdhsa_private_segment_fixed_size 0
		.amdhsa_kernarg_size 92
		.amdhsa_user_sgpr_count 6
		.amdhsa_user_sgpr_private_segment_buffer 1
		.amdhsa_user_sgpr_dispatch_ptr 0
		.amdhsa_user_sgpr_queue_ptr 0
		.amdhsa_user_sgpr_kernarg_segment_ptr 1
		.amdhsa_user_sgpr_dispatch_id 0
		.amdhsa_user_sgpr_flat_scratch_init 0
		.amdhsa_user_sgpr_private_segment_size 0
		.amdhsa_uses_dynamic_stack 0
		.amdhsa_system_sgpr_private_segment_wavefront_offset 0
		.amdhsa_system_sgpr_workgroup_id_x 1
		.amdhsa_system_sgpr_workgroup_id_y 1
		.amdhsa_system_sgpr_workgroup_id_z 1
		.amdhsa_system_sgpr_workgroup_info 0
		.amdhsa_system_vgpr_workitem_id 1
		.amdhsa_next_free_vgpr 52
		.amdhsa_next_free_sgpr 61
		.amdhsa_reserve_vcc 1
		.amdhsa_reserve_flat_scratch 0
		.amdhsa_float_round_mode_32 0
		.amdhsa_float_round_mode_16_64 0
		.amdhsa_float_denorm_mode_32 3
		.amdhsa_float_denorm_mode_16_64 3
		.amdhsa_dx10_clamp 1
		.amdhsa_ieee_mode 1
		.amdhsa_fp16_overflow 0
		.amdhsa_exception_fp_ieee_invalid_op 0
		.amdhsa_exception_fp_denorm_src 0
		.amdhsa_exception_fp_ieee_div_zero 0
		.amdhsa_exception_fp_ieee_overflow 0
		.amdhsa_exception_fp_ieee_underflow 0
		.amdhsa_exception_fp_ieee_inexact 0
		.amdhsa_exception_int_div_zero 0
	.end_amdhsa_kernel
	.section	.text._ZL37rocblas_syrkx_herkx_restricted_kernelIl19rocblas_complex_numIdELi16ELi32ELi8ELin1ELi0ELb0ELc67ELc76EKS1_S1_EviT_PT9_S3_lS5_S3_lPT10_S3_li,"axG",@progbits,_ZL37rocblas_syrkx_herkx_restricted_kernelIl19rocblas_complex_numIdELi16ELi32ELi8ELin1ELi0ELb0ELc67ELc76EKS1_S1_EviT_PT9_S3_lS5_S3_lPT10_S3_li,comdat
.Lfunc_end1176:
	.size	_ZL37rocblas_syrkx_herkx_restricted_kernelIl19rocblas_complex_numIdELi16ELi32ELi8ELin1ELi0ELb0ELc67ELc76EKS1_S1_EviT_PT9_S3_lS5_S3_lPT10_S3_li, .Lfunc_end1176-_ZL37rocblas_syrkx_herkx_restricted_kernelIl19rocblas_complex_numIdELi16ELi32ELi8ELin1ELi0ELb0ELc67ELc76EKS1_S1_EviT_PT9_S3_lS5_S3_lPT10_S3_li
                                        ; -- End function
	.set _ZL37rocblas_syrkx_herkx_restricted_kernelIl19rocblas_complex_numIdELi16ELi32ELi8ELin1ELi0ELb0ELc67ELc76EKS1_S1_EviT_PT9_S3_lS5_S3_lPT10_S3_li.num_vgpr, 52
	.set _ZL37rocblas_syrkx_herkx_restricted_kernelIl19rocblas_complex_numIdELi16ELi32ELi8ELin1ELi0ELb0ELc67ELc76EKS1_S1_EviT_PT9_S3_lS5_S3_lPT10_S3_li.num_agpr, 0
	.set _ZL37rocblas_syrkx_herkx_restricted_kernelIl19rocblas_complex_numIdELi16ELi32ELi8ELin1ELi0ELb0ELc67ELc76EKS1_S1_EviT_PT9_S3_lS5_S3_lPT10_S3_li.numbered_sgpr, 28
	.set _ZL37rocblas_syrkx_herkx_restricted_kernelIl19rocblas_complex_numIdELi16ELi32ELi8ELin1ELi0ELb0ELc67ELc76EKS1_S1_EviT_PT9_S3_lS5_S3_lPT10_S3_li.num_named_barrier, 0
	.set _ZL37rocblas_syrkx_herkx_restricted_kernelIl19rocblas_complex_numIdELi16ELi32ELi8ELin1ELi0ELb0ELc67ELc76EKS1_S1_EviT_PT9_S3_lS5_S3_lPT10_S3_li.private_seg_size, 0
	.set _ZL37rocblas_syrkx_herkx_restricted_kernelIl19rocblas_complex_numIdELi16ELi32ELi8ELin1ELi0ELb0ELc67ELc76EKS1_S1_EviT_PT9_S3_lS5_S3_lPT10_S3_li.uses_vcc, 1
	.set _ZL37rocblas_syrkx_herkx_restricted_kernelIl19rocblas_complex_numIdELi16ELi32ELi8ELin1ELi0ELb0ELc67ELc76EKS1_S1_EviT_PT9_S3_lS5_S3_lPT10_S3_li.uses_flat_scratch, 0
	.set _ZL37rocblas_syrkx_herkx_restricted_kernelIl19rocblas_complex_numIdELi16ELi32ELi8ELin1ELi0ELb0ELc67ELc76EKS1_S1_EviT_PT9_S3_lS5_S3_lPT10_S3_li.has_dyn_sized_stack, 0
	.set _ZL37rocblas_syrkx_herkx_restricted_kernelIl19rocblas_complex_numIdELi16ELi32ELi8ELin1ELi0ELb0ELc67ELc76EKS1_S1_EviT_PT9_S3_lS5_S3_lPT10_S3_li.has_recursion, 0
	.set _ZL37rocblas_syrkx_herkx_restricted_kernelIl19rocblas_complex_numIdELi16ELi32ELi8ELin1ELi0ELb0ELc67ELc76EKS1_S1_EviT_PT9_S3_lS5_S3_lPT10_S3_li.has_indirect_call, 0
	.section	.AMDGPU.csdata,"",@progbits
; Kernel info:
; codeLenInByte = 2916
; TotalNumSgprs: 32
; NumVgprs: 52
; ScratchSize: 0
; MemoryBound: 0
; FloatMode: 240
; IeeeMode: 1
; LDSByteSize: 8192 bytes/workgroup (compile time only)
; SGPRBlocks: 8
; VGPRBlocks: 12
; NumSGPRsForWavesPerEU: 65
; NumVGPRsForWavesPerEU: 52
; Occupancy: 4
; WaveLimiterHint : 1
; COMPUTE_PGM_RSRC2:SCRATCH_EN: 0
; COMPUTE_PGM_RSRC2:USER_SGPR: 6
; COMPUTE_PGM_RSRC2:TRAP_HANDLER: 0
; COMPUTE_PGM_RSRC2:TGID_X_EN: 1
; COMPUTE_PGM_RSRC2:TGID_Y_EN: 1
; COMPUTE_PGM_RSRC2:TGID_Z_EN: 1
; COMPUTE_PGM_RSRC2:TIDIG_COMP_CNT: 1
	.section	.text._ZL37rocblas_syrkx_herkx_restricted_kernelIl19rocblas_complex_numIdELi16ELi32ELi8ELin1ELi0ELb0ELc78ELc76EKS1_S1_EviT_PT9_S3_lS5_S3_lPT10_S3_li,"axG",@progbits,_ZL37rocblas_syrkx_herkx_restricted_kernelIl19rocblas_complex_numIdELi16ELi32ELi8ELin1ELi0ELb0ELc78ELc76EKS1_S1_EviT_PT9_S3_lS5_S3_lPT10_S3_li,comdat
	.globl	_ZL37rocblas_syrkx_herkx_restricted_kernelIl19rocblas_complex_numIdELi16ELi32ELi8ELin1ELi0ELb0ELc78ELc76EKS1_S1_EviT_PT9_S3_lS5_S3_lPT10_S3_li ; -- Begin function _ZL37rocblas_syrkx_herkx_restricted_kernelIl19rocblas_complex_numIdELi16ELi32ELi8ELin1ELi0ELb0ELc78ELc76EKS1_S1_EviT_PT9_S3_lS5_S3_lPT10_S3_li
	.p2align	8
	.type	_ZL37rocblas_syrkx_herkx_restricted_kernelIl19rocblas_complex_numIdELi16ELi32ELi8ELin1ELi0ELb0ELc78ELc76EKS1_S1_EviT_PT9_S3_lS5_S3_lPT10_S3_li,@function
_ZL37rocblas_syrkx_herkx_restricted_kernelIl19rocblas_complex_numIdELi16ELi32ELi8ELin1ELi0ELb0ELc78ELc76EKS1_S1_EviT_PT9_S3_lS5_S3_lPT10_S3_li: ; @_ZL37rocblas_syrkx_herkx_restricted_kernelIl19rocblas_complex_numIdELi16ELi32ELi8ELin1ELi0ELb0ELc78ELc76EKS1_S1_EviT_PT9_S3_lS5_S3_lPT10_S3_li
; %bb.0:
	s_load_dwordx16 s[12:27], s[4:5], 0x8
	s_lshl_b32 s9, s6, 5
	s_lshl_b32 s10, s7, 5
	s_waitcnt lgkmcnt(0)
	v_cmp_lt_i64_e64 s[0:1], s[12:13], 1
	s_and_b64 vcc, exec, s[0:1]
	s_cbranch_vccnz .LBB1177_3
; %bb.1:
	v_lshl_add_u32 v6, v1, 4, v0
	v_lshrrev_b32_e32 v7, 3, v6
	v_add_u32_e32 v2, s10, v7
	v_and_b32_e32 v5, 7, v0
	v_ashrrev_i32_e32 v3, 31, v2
	v_mad_u64_u32 v[2:3], s[0:1], s22, v5, v[2:3]
	v_lshrrev_b32_e32 v8, 5, v6
	s_mul_i32 s2, s19, s8
	v_mad_u64_u32 v[3:4], s[0:1], s23, v5, v[3:4]
	v_and_b32_e32 v4, 31, v6
	v_lshlrev_b32_e32 v5, 4, v5
	v_lshlrev_b32_e32 v6, 4, v4
	v_lshl_or_b32 v5, v7, 7, v5
	v_add_u32_e32 v4, s9, v4
	v_add_u32_e32 v23, 0x1000, v5
	v_ashrrev_i32_e32 v5, 31, v4
	v_mad_u64_u32 v[4:5], s[0:1], s16, v8, v[4:5]
	v_lshl_or_b32 v22, v8, 9, v6
	v_mov_b32_e32 v6, 0x1000
	v_lshl_add_u32 v25, v1, 7, v6
	v_mad_u64_u32 v[5:6], s[0:1], s17, v8, v[5:6]
	s_mul_hi_u32 s3, s18, s8
	s_add_i32 s1, s3, s2
	s_mul_i32 s0, s18, s8
	s_lshl_b64 s[0:1], s[0:1], 4
	v_lshlrev_b64 v[4:5], 4, v[4:5]
	s_add_u32 s0, s14, s0
	s_addc_u32 s1, s15, s1
	s_mul_i32 s2, s25, s8
	s_mul_hi_u32 s3, s24, s8
	v_mov_b32_e32 v6, s1
	v_add_co_u32_e32 v4, vcc, s0, v4
	s_add_i32 s3, s3, s2
	s_mul_i32 s2, s24, s8
	v_addc_co_u32_e32 v5, vcc, v6, v5, vcc
	s_lshl_b64 s[0:1], s[16:17], 7
	s_lshl_b64 s[2:3], s[2:3], 4
	v_add_co_u32_e32 v18, vcc, 8, v4
	v_lshlrev_b64 v[2:3], 4, v[2:3]
	s_add_u32 s2, s20, s2
	v_addc_co_u32_e32 v19, vcc, 0, v5, vcc
	s_addc_u32 s3, s21, s3
	v_mov_b32_e32 v4, s3
	v_add_co_u32_e32 v2, vcc, s2, v2
	v_addc_co_u32_e32 v3, vcc, v4, v3, vcc
	v_add_co_u32_e32 v20, vcc, 8, v2
	v_addc_co_u32_e32 v21, vcc, 0, v3, vcc
	s_lshl_b64 s[2:3], s[22:23], 7
	v_mov_b32_e32 v8, 0
	v_mov_b32_e32 v6, 0
	;; [unrolled: 1-line block ×8, first 2 shown]
	v_lshlrev_b32_e32 v24, 4, v0
	v_mov_b32_e32 v9, 0
	s_mov_b64 s[6:7], 0
	v_mov_b32_e32 v26, s1
	v_mov_b32_e32 v7, 0
	;; [unrolled: 1-line block ×9, first 2 shown]
.LBB1177_2:                             ; =>This Inner Loop Header: Depth=1
	global_load_dwordx4 v[28:31], v[18:19], off offset:-8
	s_add_u32 s6, s6, 8
	v_add_co_u32_e32 v18, vcc, s0, v18
	s_addc_u32 s7, s7, 0
	v_addc_co_u32_e32 v19, vcc, v19, v26, vcc
	s_waitcnt vmcnt(0)
	ds_write_b128 v22, v[28:31]
	global_load_dwordx4 v[28:31], v[20:21], off offset:-8
	v_add_co_u32_e32 v20, vcc, s2, v20
	v_addc_co_u32_e32 v21, vcc, v21, v27, vcc
	s_waitcnt vmcnt(0)
	ds_write_b128 v23, v[28:31]
	s_waitcnt lgkmcnt(0)
	s_barrier
	ds_read_b128 v[28:31], v25
	ds_read_b128 v[32:35], v25 offset:16
	ds_read_b128 v[36:39], v25 offset:32
	ds_read_b128 v[40:43], v25 offset:48
	ds_read_b128 v[44:47], v24
	s_waitcnt lgkmcnt(0)
	v_mul_f64 v[48:49], v[30:31], v[46:47]
	v_mul_f64 v[50:51], v[28:29], v[46:47]
	v_fma_f64 v[48:49], v[28:29], v[44:45], -v[48:49]
	v_fma_f64 v[50:51], v[30:31], v[44:45], v[50:51]
	v_add_f64 v[48:49], v[14:15], v[48:49]
	v_add_f64 v[50:51], v[50:51], v[16:17]
	ds_read_b128 v[14:17], v24 offset:256
	s_waitcnt lgkmcnt(0)
	v_mul_f64 v[52:53], v[30:31], v[16:17]
	v_fma_f64 v[52:53], v[28:29], v[14:15], -v[52:53]
	v_mul_f64 v[28:29], v[28:29], v[16:17]
	v_fma_f64 v[28:29], v[30:31], v[14:15], v[28:29]
	v_add_f64 v[30:31], v[2:3], v[52:53]
	v_add_f64 v[28:29], v[28:29], v[4:5]
	ds_read_b128 v[2:5], v25 offset:2048
	s_waitcnt lgkmcnt(0)
	v_mul_f64 v[52:53], v[4:5], v[46:47]
	v_mul_f64 v[46:47], v[2:3], v[46:47]
	v_fma_f64 v[52:53], v[2:3], v[44:45], -v[52:53]
	v_fma_f64 v[44:45], v[4:5], v[44:45], v[46:47]
	v_add_f64 v[46:47], v[10:11], v[52:53]
	v_mul_f64 v[10:11], v[4:5], v[16:17]
	v_add_f64 v[44:45], v[44:45], v[12:13]
	v_fma_f64 v[10:11], v[2:3], v[14:15], -v[10:11]
	v_mul_f64 v[2:3], v[2:3], v[16:17]
	v_fma_f64 v[2:3], v[4:5], v[14:15], v[2:3]
	v_add_f64 v[14:15], v[6:7], v[10:11]
	v_add_f64 v[16:17], v[2:3], v[8:9]
	ds_read_b128 v[2:5], v24 offset:512
	s_waitcnt lgkmcnt(0)
	v_mul_f64 v[6:7], v[34:35], v[4:5]
	v_mul_f64 v[8:9], v[32:33], v[4:5]
	v_fma_f64 v[6:7], v[32:33], v[2:3], -v[6:7]
	v_fma_f64 v[8:9], v[34:35], v[2:3], v[8:9]
	v_add_f64 v[48:49], v[48:49], v[6:7]
	v_add_f64 v[50:51], v[8:9], v[50:51]
	ds_read_b128 v[6:9], v24 offset:768
	s_waitcnt lgkmcnt(0)
	v_mul_f64 v[10:11], v[34:35], v[8:9]
	v_mul_f64 v[12:13], v[32:33], v[8:9]
	v_fma_f64 v[10:11], v[32:33], v[6:7], -v[10:11]
	;; [unrolled: 8-line block ×3, first 2 shown]
	v_fma_f64 v[2:3], v[12:13], v[2:3], v[4:5]
	v_mul_f64 v[4:5], v[10:11], v[8:9]
	v_add_f64 v[32:33], v[46:47], v[32:33]
	v_add_f64 v[34:35], v[2:3], v[44:45]
	v_mul_f64 v[2:3], v[12:13], v[8:9]
	v_fma_f64 v[4:5], v[12:13], v[6:7], v[4:5]
	v_fma_f64 v[2:3], v[10:11], v[6:7], -v[2:3]
	v_add_f64 v[16:17], v[4:5], v[16:17]
	v_add_f64 v[14:15], v[14:15], v[2:3]
	ds_read_b128 v[2:5], v24 offset:1024
	s_waitcnt lgkmcnt(0)
	v_mul_f64 v[6:7], v[38:39], v[4:5]
	v_mul_f64 v[8:9], v[36:37], v[4:5]
	v_fma_f64 v[6:7], v[36:37], v[2:3], -v[6:7]
	v_fma_f64 v[8:9], v[38:39], v[2:3], v[8:9]
	v_add_f64 v[44:45], v[48:49], v[6:7]
	v_add_f64 v[46:47], v[8:9], v[50:51]
	ds_read_b128 v[6:9], v24 offset:1280
	s_waitcnt lgkmcnt(0)
	v_mul_f64 v[10:11], v[38:39], v[8:9]
	v_mul_f64 v[12:13], v[36:37], v[8:9]
	v_fma_f64 v[10:11], v[36:37], v[6:7], -v[10:11]
	v_fma_f64 v[12:13], v[38:39], v[6:7], v[12:13]
	;; [unrolled: 8-line block ×3, first 2 shown]
	v_mul_f64 v[4:5], v[10:11], v[8:9]
	v_add_f64 v[32:33], v[32:33], v[36:37]
	v_add_f64 v[34:35], v[2:3], v[34:35]
	v_mul_f64 v[2:3], v[12:13], v[8:9]
	v_fma_f64 v[4:5], v[12:13], v[6:7], v[4:5]
	v_fma_f64 v[2:3], v[10:11], v[6:7], -v[2:3]
	v_add_f64 v[16:17], v[4:5], v[16:17]
	v_add_f64 v[14:15], v[14:15], v[2:3]
	ds_read_b128 v[2:5], v24 offset:1536
	s_waitcnt lgkmcnt(0)
	v_mul_f64 v[6:7], v[42:43], v[4:5]
	v_mul_f64 v[8:9], v[40:41], v[4:5]
	v_fma_f64 v[6:7], v[40:41], v[2:3], -v[6:7]
	v_fma_f64 v[8:9], v[42:43], v[2:3], v[8:9]
	v_add_f64 v[36:37], v[44:45], v[6:7]
	v_add_f64 v[38:39], v[8:9], v[46:47]
	ds_read_b128 v[6:9], v24 offset:1792
	s_waitcnt lgkmcnt(0)
	v_mul_f64 v[10:11], v[42:43], v[8:9]
	v_mul_f64 v[12:13], v[40:41], v[8:9]
	v_fma_f64 v[10:11], v[40:41], v[6:7], -v[10:11]
	v_fma_f64 v[12:13], v[42:43], v[6:7], v[12:13]
	;; [unrolled: 8-line block ×3, first 2 shown]
	v_mul_f64 v[4:5], v[10:11], v[8:9]
	v_add_f64 v[32:33], v[32:33], v[40:41]
	v_add_f64 v[34:35], v[2:3], v[34:35]
	v_mul_f64 v[2:3], v[12:13], v[8:9]
	v_fma_f64 v[4:5], v[12:13], v[6:7], v[4:5]
	v_fma_f64 v[2:3], v[10:11], v[6:7], -v[2:3]
	v_add_f64 v[16:17], v[4:5], v[16:17]
	v_add_f64 v[14:15], v[14:15], v[2:3]
	ds_read_b128 v[2:5], v25 offset:64
	ds_read_b128 v[6:9], v24 offset:2048
	s_waitcnt lgkmcnt(0)
	v_mul_f64 v[10:11], v[4:5], v[8:9]
	v_mul_f64 v[12:13], v[2:3], v[8:9]
	v_fma_f64 v[10:11], v[2:3], v[6:7], -v[10:11]
	v_fma_f64 v[12:13], v[4:5], v[6:7], v[12:13]
	v_add_f64 v[36:37], v[36:37], v[10:11]
	v_add_f64 v[38:39], v[12:13], v[38:39]
	ds_read_b128 v[10:13], v24 offset:2304
	s_waitcnt lgkmcnt(0)
	v_mul_f64 v[40:41], v[4:5], v[12:13]
	v_fma_f64 v[40:41], v[2:3], v[10:11], -v[40:41]
	v_mul_f64 v[2:3], v[2:3], v[12:13]
	v_add_f64 v[30:31], v[30:31], v[40:41]
	v_fma_f64 v[2:3], v[4:5], v[10:11], v[2:3]
	v_add_f64 v[28:29], v[2:3], v[28:29]
	ds_read_b128 v[2:5], v25 offset:2112
	s_waitcnt lgkmcnt(0)
	v_mul_f64 v[40:41], v[4:5], v[8:9]
	v_mul_f64 v[8:9], v[2:3], v[8:9]
	v_fma_f64 v[40:41], v[2:3], v[6:7], -v[40:41]
	v_fma_f64 v[6:7], v[4:5], v[6:7], v[8:9]
	v_add_f64 v[32:33], v[32:33], v[40:41]
	v_add_f64 v[34:35], v[6:7], v[34:35]
	v_mul_f64 v[6:7], v[4:5], v[12:13]
	v_fma_f64 v[6:7], v[2:3], v[10:11], -v[6:7]
	v_mul_f64 v[2:3], v[2:3], v[12:13]
	v_add_f64 v[14:15], v[14:15], v[6:7]
	v_fma_f64 v[2:3], v[4:5], v[10:11], v[2:3]
	v_add_f64 v[16:17], v[2:3], v[16:17]
	ds_read_b128 v[2:5], v25 offset:80
	ds_read_b128 v[6:9], v24 offset:2560
	s_waitcnt lgkmcnt(0)
	v_mul_f64 v[10:11], v[4:5], v[8:9]
	v_mul_f64 v[12:13], v[2:3], v[8:9]
	v_fma_f64 v[10:11], v[2:3], v[6:7], -v[10:11]
	v_fma_f64 v[12:13], v[4:5], v[6:7], v[12:13]
	v_add_f64 v[36:37], v[36:37], v[10:11]
	v_add_f64 v[38:39], v[12:13], v[38:39]
	ds_read_b128 v[10:13], v24 offset:2816
	s_waitcnt lgkmcnt(0)
	v_mul_f64 v[40:41], v[4:5], v[12:13]
	v_fma_f64 v[40:41], v[2:3], v[10:11], -v[40:41]
	v_mul_f64 v[2:3], v[2:3], v[12:13]
	v_add_f64 v[30:31], v[30:31], v[40:41]
	v_fma_f64 v[2:3], v[4:5], v[10:11], v[2:3]
	v_add_f64 v[28:29], v[2:3], v[28:29]
	ds_read_b128 v[2:5], v25 offset:2128
	s_waitcnt lgkmcnt(0)
	v_mul_f64 v[40:41], v[4:5], v[8:9]
	v_mul_f64 v[8:9], v[2:3], v[8:9]
	v_fma_f64 v[40:41], v[2:3], v[6:7], -v[40:41]
	v_fma_f64 v[6:7], v[4:5], v[6:7], v[8:9]
	v_add_f64 v[32:33], v[32:33], v[40:41]
	v_add_f64 v[34:35], v[6:7], v[34:35]
	v_mul_f64 v[6:7], v[4:5], v[12:13]
	v_fma_f64 v[6:7], v[2:3], v[10:11], -v[6:7]
	v_mul_f64 v[2:3], v[2:3], v[12:13]
	v_add_f64 v[14:15], v[14:15], v[6:7]
	v_fma_f64 v[2:3], v[4:5], v[10:11], v[2:3]
	;; [unrolled: 31-line block ×3, first 2 shown]
	v_add_f64 v[50:51], v[2:3], v[16:17]
	ds_read_b128 v[2:5], v25 offset:112
	ds_read_b128 v[6:9], v24 offset:3584
	;; [unrolled: 1-line block ×4, first 2 shown]
	s_waitcnt lgkmcnt(0)
	s_barrier
	v_mul_f64 v[10:11], v[4:5], v[8:9]
	v_mul_f64 v[12:13], v[2:3], v[8:9]
	v_fma_f64 v[10:11], v[2:3], v[6:7], -v[10:11]
	v_fma_f64 v[12:13], v[4:5], v[6:7], v[12:13]
	v_add_f64 v[14:15], v[36:37], v[10:11]
	v_mul_f64 v[10:11], v[4:5], v[30:31]
	v_add_f64 v[16:17], v[12:13], v[38:39]
	v_fma_f64 v[10:11], v[2:3], v[28:29], -v[10:11]
	v_mul_f64 v[2:3], v[2:3], v[30:31]
	v_fma_f64 v[4:5], v[4:5], v[28:29], v[2:3]
	v_add_f64 v[2:3], v[40:41], v[10:11]
	v_mul_f64 v[10:11], v[34:35], v[8:9]
	v_mul_f64 v[8:9], v[32:33], v[8:9]
	v_add_f64 v[4:5], v[4:5], v[42:43]
	v_fma_f64 v[10:11], v[32:33], v[6:7], -v[10:11]
	v_fma_f64 v[6:7], v[34:35], v[6:7], v[8:9]
	v_mul_f64 v[8:9], v[32:33], v[30:31]
	v_add_f64 v[10:11], v[44:45], v[10:11]
	v_add_f64 v[12:13], v[6:7], v[46:47]
	v_mul_f64 v[6:7], v[34:35], v[30:31]
	v_fma_f64 v[8:9], v[34:35], v[28:29], v[8:9]
	v_fma_f64 v[6:7], v[32:33], v[28:29], -v[6:7]
	v_add_f64 v[8:9], v[8:9], v[50:51]
	v_mov_b32_e32 v29, s7
	v_mov_b32_e32 v28, s6
	v_cmp_le_u64_e32 vcc, s[12:13], v[28:29]
	v_add_f64 v[6:7], v[48:49], v[6:7]
	s_cbranch_vccz .LBB1177_2
	s_branch .LBB1177_4
.LBB1177_3:
	v_mov_b32_e32 v14, 0
	v_mov_b32_e32 v16, 0
	;; [unrolled: 1-line block ×16, first 2 shown]
.LBB1177_4:
	s_load_dwordx4 s[12:15], s[4:5], 0x48
	s_load_dword s11, s[4:5], 0x0
	v_add_u32_e32 v18, s10, v1
	v_ashrrev_i32_e32 v1, 31, v18
	v_add_u32_e32 v0, s9, v0
	s_waitcnt lgkmcnt(0)
	s_mul_i32 s1, s15, s8
	s_mul_hi_u32 s2, s14, s8
	s_add_i32 s1, s2, s1
	v_mul_lo_u32 v1, s12, v1
	v_mul_lo_u32 v21, s13, v18
	v_mad_u64_u32 v[19:20], s[2:3], s12, v18, 0
	s_mul_i32 s0, s14, s8
	s_lshl_b64 s[0:1], s[0:1], 4
	v_add3_u32 v20, v20, v1, v21
	s_add_u32 s6, s26, s0
	v_lshlrev_b64 v[19:20], 4, v[19:20]
	s_addc_u32 s7, s27, s1
	v_mov_b32_e32 v1, s7
	v_add_co_u32_e32 v19, vcc, s6, v19
	v_addc_co_u32_e32 v20, vcc, v1, v20, vcc
	v_cmp_le_i32_e64 s[0:1], v18, v0
	v_cmp_gt_i32_e32 vcc, s11, v0
	s_and_b64 s[0:1], s[0:1], vcc
	s_and_saveexec_b64 s[2:3], s[0:1]
	s_cbranch_execz .LBB1177_6
; %bb.5:
	v_ashrrev_i32_e32 v1, 31, v0
	v_lshlrev_b64 v[21:22], 4, v[0:1]
	v_xor_b32_e32 v15, 0x80000000, v15
	v_add_co_u32_e64 v21, s[0:1], v19, v21
	v_xor_b32_e32 v17, 0x80000000, v17
	v_addc_co_u32_e64 v22, s[0:1], v20, v22, s[0:1]
	global_store_dwordx4 v[21:22], v[14:17], off
.LBB1177_6:
	s_or_b64 exec, exec, s[2:3]
	v_add_u32_e32 v14, 16, v0
	v_cmp_le_i32_e64 s[2:3], v18, v14
	v_cmp_gt_i32_e64 s[0:1], s11, v14
	s_and_b64 s[2:3], s[2:3], s[0:1]
	s_and_saveexec_b64 s[4:5], s[2:3]
	s_cbranch_execz .LBB1177_8
; %bb.7:
	v_ashrrev_i32_e32 v15, 31, v14
	v_lshlrev_b64 v[15:16], 4, v[14:15]
	v_xor_b32_e32 v3, 0x80000000, v3
	v_add_co_u32_e64 v15, s[2:3], v19, v15
	v_xor_b32_e32 v5, 0x80000000, v5
	v_addc_co_u32_e64 v16, s[2:3], v20, v16, s[2:3]
	global_store_dwordx4 v[15:16], v[2:5], off
.LBB1177_8:
	s_or_b64 exec, exec, s[4:5]
	v_add_u32_e32 v4, 16, v18
	v_ashrrev_i32_e32 v3, 31, v4
	v_mul_lo_u32 v5, s13, v4
	v_mad_u64_u32 v[1:2], s[2:3], s12, v4, 0
	v_mul_lo_u32 v3, s12, v3
	v_add3_u32 v2, v2, v3, v5
	v_lshlrev_b64 v[2:3], 4, v[1:2]
	v_mov_b32_e32 v1, s7
	v_add_co_u32_e64 v2, s[2:3], s6, v2
	v_addc_co_u32_e64 v3, s[2:3], v1, v3, s[2:3]
	v_cmp_le_i32_e64 s[2:3], v4, v0
	s_and_b64 s[4:5], s[2:3], vcc
	s_and_saveexec_b64 s[2:3], s[4:5]
	s_cbranch_execz .LBB1177_10
; %bb.9:
	v_ashrrev_i32_e32 v1, 31, v0
	v_lshlrev_b64 v[0:1], 4, v[0:1]
	v_xor_b32_e32 v11, 0x80000000, v11
	v_add_co_u32_e32 v0, vcc, v2, v0
	v_xor_b32_e32 v13, 0x80000000, v13
	v_addc_co_u32_e32 v1, vcc, v3, v1, vcc
	global_store_dwordx4 v[0:1], v[10:13], off
.LBB1177_10:
	s_or_b64 exec, exec, s[2:3]
	v_cmp_le_i32_e32 vcc, v4, v14
	s_and_b64 s[0:1], vcc, s[0:1]
	s_and_saveexec_b64 s[2:3], s[0:1]
	s_cbranch_execz .LBB1177_12
; %bb.11:
	v_ashrrev_i32_e32 v15, 31, v14
	v_lshlrev_b64 v[0:1], 4, v[14:15]
	v_xor_b32_e32 v7, 0x80000000, v7
	v_add_co_u32_e32 v0, vcc, v2, v0
	v_xor_b32_e32 v9, 0x80000000, v9
	v_addc_co_u32_e32 v1, vcc, v3, v1, vcc
	global_store_dwordx4 v[0:1], v[6:9], off
.LBB1177_12:
	s_endpgm
	.section	.rodata,"a",@progbits
	.p2align	6, 0x0
	.amdhsa_kernel _ZL37rocblas_syrkx_herkx_restricted_kernelIl19rocblas_complex_numIdELi16ELi32ELi8ELin1ELi0ELb0ELc78ELc76EKS1_S1_EviT_PT9_S3_lS5_S3_lPT10_S3_li
		.amdhsa_group_segment_fixed_size 8192
		.amdhsa_private_segment_fixed_size 0
		.amdhsa_kernarg_size 92
		.amdhsa_user_sgpr_count 6
		.amdhsa_user_sgpr_private_segment_buffer 1
		.amdhsa_user_sgpr_dispatch_ptr 0
		.amdhsa_user_sgpr_queue_ptr 0
		.amdhsa_user_sgpr_kernarg_segment_ptr 1
		.amdhsa_user_sgpr_dispatch_id 0
		.amdhsa_user_sgpr_flat_scratch_init 0
		.amdhsa_user_sgpr_private_segment_size 0
		.amdhsa_uses_dynamic_stack 0
		.amdhsa_system_sgpr_private_segment_wavefront_offset 0
		.amdhsa_system_sgpr_workgroup_id_x 1
		.amdhsa_system_sgpr_workgroup_id_y 1
		.amdhsa_system_sgpr_workgroup_id_z 1
		.amdhsa_system_sgpr_workgroup_info 0
		.amdhsa_system_vgpr_workitem_id 1
		.amdhsa_next_free_vgpr 54
		.amdhsa_next_free_sgpr 61
		.amdhsa_reserve_vcc 1
		.amdhsa_reserve_flat_scratch 0
		.amdhsa_float_round_mode_32 0
		.amdhsa_float_round_mode_16_64 0
		.amdhsa_float_denorm_mode_32 3
		.amdhsa_float_denorm_mode_16_64 3
		.amdhsa_dx10_clamp 1
		.amdhsa_ieee_mode 1
		.amdhsa_fp16_overflow 0
		.amdhsa_exception_fp_ieee_invalid_op 0
		.amdhsa_exception_fp_denorm_src 0
		.amdhsa_exception_fp_ieee_div_zero 0
		.amdhsa_exception_fp_ieee_overflow 0
		.amdhsa_exception_fp_ieee_underflow 0
		.amdhsa_exception_fp_ieee_inexact 0
		.amdhsa_exception_int_div_zero 0
	.end_amdhsa_kernel
	.section	.text._ZL37rocblas_syrkx_herkx_restricted_kernelIl19rocblas_complex_numIdELi16ELi32ELi8ELin1ELi0ELb0ELc78ELc76EKS1_S1_EviT_PT9_S3_lS5_S3_lPT10_S3_li,"axG",@progbits,_ZL37rocblas_syrkx_herkx_restricted_kernelIl19rocblas_complex_numIdELi16ELi32ELi8ELin1ELi0ELb0ELc78ELc76EKS1_S1_EviT_PT9_S3_lS5_S3_lPT10_S3_li,comdat
.Lfunc_end1177:
	.size	_ZL37rocblas_syrkx_herkx_restricted_kernelIl19rocblas_complex_numIdELi16ELi32ELi8ELin1ELi0ELb0ELc78ELc76EKS1_S1_EviT_PT9_S3_lS5_S3_lPT10_S3_li, .Lfunc_end1177-_ZL37rocblas_syrkx_herkx_restricted_kernelIl19rocblas_complex_numIdELi16ELi32ELi8ELin1ELi0ELb0ELc78ELc76EKS1_S1_EviT_PT9_S3_lS5_S3_lPT10_S3_li
                                        ; -- End function
	.set _ZL37rocblas_syrkx_herkx_restricted_kernelIl19rocblas_complex_numIdELi16ELi32ELi8ELin1ELi0ELb0ELc78ELc76EKS1_S1_EviT_PT9_S3_lS5_S3_lPT10_S3_li.num_vgpr, 54
	.set _ZL37rocblas_syrkx_herkx_restricted_kernelIl19rocblas_complex_numIdELi16ELi32ELi8ELin1ELi0ELb0ELc78ELc76EKS1_S1_EviT_PT9_S3_lS5_S3_lPT10_S3_li.num_agpr, 0
	.set _ZL37rocblas_syrkx_herkx_restricted_kernelIl19rocblas_complex_numIdELi16ELi32ELi8ELin1ELi0ELb0ELc78ELc76EKS1_S1_EviT_PT9_S3_lS5_S3_lPT10_S3_li.numbered_sgpr, 28
	.set _ZL37rocblas_syrkx_herkx_restricted_kernelIl19rocblas_complex_numIdELi16ELi32ELi8ELin1ELi0ELb0ELc78ELc76EKS1_S1_EviT_PT9_S3_lS5_S3_lPT10_S3_li.num_named_barrier, 0
	.set _ZL37rocblas_syrkx_herkx_restricted_kernelIl19rocblas_complex_numIdELi16ELi32ELi8ELin1ELi0ELb0ELc78ELc76EKS1_S1_EviT_PT9_S3_lS5_S3_lPT10_S3_li.private_seg_size, 0
	.set _ZL37rocblas_syrkx_herkx_restricted_kernelIl19rocblas_complex_numIdELi16ELi32ELi8ELin1ELi0ELb0ELc78ELc76EKS1_S1_EviT_PT9_S3_lS5_S3_lPT10_S3_li.uses_vcc, 1
	.set _ZL37rocblas_syrkx_herkx_restricted_kernelIl19rocblas_complex_numIdELi16ELi32ELi8ELin1ELi0ELb0ELc78ELc76EKS1_S1_EviT_PT9_S3_lS5_S3_lPT10_S3_li.uses_flat_scratch, 0
	.set _ZL37rocblas_syrkx_herkx_restricted_kernelIl19rocblas_complex_numIdELi16ELi32ELi8ELin1ELi0ELb0ELc78ELc76EKS1_S1_EviT_PT9_S3_lS5_S3_lPT10_S3_li.has_dyn_sized_stack, 0
	.set _ZL37rocblas_syrkx_herkx_restricted_kernelIl19rocblas_complex_numIdELi16ELi32ELi8ELin1ELi0ELb0ELc78ELc76EKS1_S1_EviT_PT9_S3_lS5_S3_lPT10_S3_li.has_recursion, 0
	.set _ZL37rocblas_syrkx_herkx_restricted_kernelIl19rocblas_complex_numIdELi16ELi32ELi8ELin1ELi0ELb0ELc78ELc76EKS1_S1_EviT_PT9_S3_lS5_S3_lPT10_S3_li.has_indirect_call, 0
	.section	.AMDGPU.csdata,"",@progbits
; Kernel info:
; codeLenInByte = 2876
; TotalNumSgprs: 32
; NumVgprs: 54
; ScratchSize: 0
; MemoryBound: 0
; FloatMode: 240
; IeeeMode: 1
; LDSByteSize: 8192 bytes/workgroup (compile time only)
; SGPRBlocks: 8
; VGPRBlocks: 13
; NumSGPRsForWavesPerEU: 65
; NumVGPRsForWavesPerEU: 54
; Occupancy: 4
; WaveLimiterHint : 1
; COMPUTE_PGM_RSRC2:SCRATCH_EN: 0
; COMPUTE_PGM_RSRC2:USER_SGPR: 6
; COMPUTE_PGM_RSRC2:TRAP_HANDLER: 0
; COMPUTE_PGM_RSRC2:TGID_X_EN: 1
; COMPUTE_PGM_RSRC2:TGID_Y_EN: 1
; COMPUTE_PGM_RSRC2:TGID_Z_EN: 1
; COMPUTE_PGM_RSRC2:TIDIG_COMP_CNT: 1
	.section	.text._ZL37rocblas_syrkx_herkx_restricted_kernelIl19rocblas_complex_numIdELi16ELi32ELi8ELin1ELi0ELb0ELc84ELc85EKS1_S1_EviT_PT9_S3_lS5_S3_lPT10_S3_li,"axG",@progbits,_ZL37rocblas_syrkx_herkx_restricted_kernelIl19rocblas_complex_numIdELi16ELi32ELi8ELin1ELi0ELb0ELc84ELc85EKS1_S1_EviT_PT9_S3_lS5_S3_lPT10_S3_li,comdat
	.globl	_ZL37rocblas_syrkx_herkx_restricted_kernelIl19rocblas_complex_numIdELi16ELi32ELi8ELin1ELi0ELb0ELc84ELc85EKS1_S1_EviT_PT9_S3_lS5_S3_lPT10_S3_li ; -- Begin function _ZL37rocblas_syrkx_herkx_restricted_kernelIl19rocblas_complex_numIdELi16ELi32ELi8ELin1ELi0ELb0ELc84ELc85EKS1_S1_EviT_PT9_S3_lS5_S3_lPT10_S3_li
	.p2align	8
	.type	_ZL37rocblas_syrkx_herkx_restricted_kernelIl19rocblas_complex_numIdELi16ELi32ELi8ELin1ELi0ELb0ELc84ELc85EKS1_S1_EviT_PT9_S3_lS5_S3_lPT10_S3_li,@function
_ZL37rocblas_syrkx_herkx_restricted_kernelIl19rocblas_complex_numIdELi16ELi32ELi8ELin1ELi0ELb0ELc84ELc85EKS1_S1_EviT_PT9_S3_lS5_S3_lPT10_S3_li: ; @_ZL37rocblas_syrkx_herkx_restricted_kernelIl19rocblas_complex_numIdELi16ELi32ELi8ELin1ELi0ELb0ELc84ELc85EKS1_S1_EviT_PT9_S3_lS5_S3_lPT10_S3_li
; %bb.0:
	s_load_dwordx16 s[12:27], s[4:5], 0x8
	s_lshl_b32 s2, s6, 5
	s_lshl_b32 s3, s7, 5
	s_waitcnt lgkmcnt(0)
	v_cmp_lt_i64_e64 s[0:1], s[12:13], 1
	s_and_b64 vcc, exec, s[0:1]
	s_cbranch_vccnz .LBB1178_3
; %bb.1:
	v_lshl_add_u32 v6, v1, 4, v0
	v_lshrrev_b32_e32 v8, 3, v6
	v_add_u32_e32 v4, s3, v8
	v_ashrrev_i32_e32 v5, 31, v4
	v_and_b32_e32 v2, 7, v0
	v_mov_b32_e32 v3, 0
	v_mul_lo_u32 v7, s22, v5
	v_mul_lo_u32 v9, s23, v4
	v_mad_u64_u32 v[4:5], s[0:1], s22, v4, v[2:3]
	v_lshlrev_b32_e32 v2, 4, v2
	v_lshl_or_b32 v2, v8, 7, v2
	v_add3_u32 v5, v9, v5, v7
	v_and_b32_e32 v9, 31, v6
	v_add_u32_e32 v23, 0x1000, v2
	v_mov_b32_e32 v2, 0x1000
	v_add_u32_e32 v8, s2, v9
	v_lshrrev_b32_e32 v6, 5, v6
	v_mov_b32_e32 v7, v3
	v_lshlrev_b32_e32 v3, 4, v9
	v_lshl_add_u32 v25, v1, 7, v2
	v_ashrrev_i32_e32 v2, 31, v8
	v_lshl_or_b32 v22, v6, 9, v3
	v_mul_lo_u32 v9, s16, v2
	v_mad_u64_u32 v[2:3], s[0:1], s16, v8, v[6:7]
	v_mul_lo_u32 v6, s17, v8
	s_mul_i32 s6, s19, s8
	s_mul_hi_u32 s7, s18, s8
	s_add_i32 s1, s7, s6
	s_mul_i32 s0, s18, s8
	s_lshl_b64 s[0:1], s[0:1], 4
	v_add3_u32 v3, v6, v3, v9
	v_lshlrev_b64 v[2:3], 4, v[2:3]
	s_add_u32 s0, s14, s0
	s_addc_u32 s1, s15, s1
	v_mov_b32_e32 v6, s1
	v_add_co_u32_e32 v2, vcc, s0, v2
	s_mul_i32 s0, s25, s8
	s_mul_hi_u32 s1, s24, s8
	v_addc_co_u32_e32 v3, vcc, v6, v3, vcc
	s_add_i32 s1, s1, s0
	s_mul_i32 s0, s24, s8
	v_add_co_u32_e32 v18, vcc, 8, v2
	s_lshl_b64 s[0:1], s[0:1], 4
	v_addc_co_u32_e32 v19, vcc, 0, v3, vcc
	v_lshlrev_b64 v[2:3], 4, v[4:5]
	s_add_u32 s0, s20, s0
	s_addc_u32 s1, s21, s1
	v_mov_b32_e32 v4, s1
	v_add_co_u32_e32 v2, vcc, s0, v2
	v_addc_co_u32_e32 v3, vcc, v4, v3, vcc
	v_add_co_u32_e32 v20, vcc, 8, v2
	v_addc_co_u32_e32 v21, vcc, 0, v3, vcc
	v_mov_b32_e32 v8, 0
	v_mov_b32_e32 v6, 0
	;; [unrolled: 1-line block ×8, first 2 shown]
	v_lshlrev_b32_e32 v24, 4, v0
	v_mov_b32_e32 v9, 0
	v_mov_b32_e32 v7, 0
	;; [unrolled: 1-line block ×8, first 2 shown]
	s_mov_b64 s[0:1], 0
.LBB1178_2:                             ; =>This Inner Loop Header: Depth=1
	global_load_dwordx4 v[26:29], v[18:19], off offset:-8
	s_add_u32 s0, s0, 8
	v_add_co_u32_e32 v18, vcc, 0x80, v18
	s_addc_u32 s1, s1, 0
	v_addc_co_u32_e32 v19, vcc, 0, v19, vcc
	s_waitcnt vmcnt(0)
	ds_write_b128 v22, v[26:29]
	global_load_dwordx4 v[26:29], v[20:21], off offset:-8
	v_add_co_u32_e32 v20, vcc, 0x80, v20
	v_addc_co_u32_e32 v21, vcc, 0, v21, vcc
	s_waitcnt vmcnt(0)
	ds_write_b128 v23, v[26:29]
	s_waitcnt lgkmcnt(0)
	s_barrier
	ds_read_b128 v[26:29], v25
	ds_read_b128 v[30:33], v25 offset:16
	ds_read_b128 v[34:37], v25 offset:32
	;; [unrolled: 1-line block ×3, first 2 shown]
	ds_read_b128 v[42:45], v24
	s_waitcnt lgkmcnt(0)
	v_mul_f64 v[46:47], v[28:29], v[44:45]
	v_mul_f64 v[48:49], v[26:27], v[44:45]
	v_fma_f64 v[46:47], v[26:27], v[42:43], -v[46:47]
	v_fma_f64 v[48:49], v[28:29], v[42:43], v[48:49]
	v_add_f64 v[46:47], v[10:11], v[46:47]
	v_add_f64 v[48:49], v[48:49], v[12:13]
	ds_read_b128 v[10:13], v24 offset:256
	s_waitcnt lgkmcnt(0)
	v_mul_f64 v[50:51], v[28:29], v[12:13]
	v_fma_f64 v[50:51], v[26:27], v[10:11], -v[50:51]
	v_mul_f64 v[26:27], v[26:27], v[12:13]
	v_fma_f64 v[26:27], v[28:29], v[10:11], v[26:27]
	v_add_f64 v[28:29], v[2:3], v[50:51]
	v_add_f64 v[26:27], v[26:27], v[4:5]
	ds_read_b128 v[2:5], v25 offset:2048
	s_waitcnt lgkmcnt(0)
	v_mul_f64 v[50:51], v[4:5], v[44:45]
	v_mul_f64 v[44:45], v[2:3], v[44:45]
	v_fma_f64 v[50:51], v[2:3], v[42:43], -v[50:51]
	v_fma_f64 v[42:43], v[4:5], v[42:43], v[44:45]
	v_add_f64 v[14:15], v[14:15], v[50:51]
	v_add_f64 v[16:17], v[42:43], v[16:17]
	v_mul_f64 v[42:43], v[4:5], v[12:13]
	v_fma_f64 v[42:43], v[2:3], v[10:11], -v[42:43]
	v_mul_f64 v[2:3], v[2:3], v[12:13]
	v_add_f64 v[42:43], v[6:7], v[42:43]
	v_fma_f64 v[2:3], v[4:5], v[10:11], v[2:3]
	v_add_f64 v[44:45], v[2:3], v[8:9]
	ds_read_b128 v[2:5], v24 offset:512
	s_waitcnt lgkmcnt(0)
	v_mul_f64 v[6:7], v[32:33], v[4:5]
	v_mul_f64 v[8:9], v[30:31], v[4:5]
	v_fma_f64 v[6:7], v[30:31], v[2:3], -v[6:7]
	v_fma_f64 v[8:9], v[32:33], v[2:3], v[8:9]
	v_add_f64 v[46:47], v[46:47], v[6:7]
	v_add_f64 v[48:49], v[8:9], v[48:49]
	ds_read_b128 v[6:9], v24 offset:768
	s_waitcnt lgkmcnt(0)
	v_mul_f64 v[10:11], v[32:33], v[8:9]
	v_mul_f64 v[12:13], v[30:31], v[8:9]
	v_fma_f64 v[10:11], v[30:31], v[6:7], -v[10:11]
	v_fma_f64 v[12:13], v[32:33], v[6:7], v[12:13]
	v_add_f64 v[28:29], v[28:29], v[10:11]
	v_add_f64 v[26:27], v[12:13], v[26:27]
	ds_read_b128 v[10:13], v25 offset:2064
	s_waitcnt lgkmcnt(0)
	v_mul_f64 v[30:31], v[12:13], v[4:5]
	v_mul_f64 v[4:5], v[10:11], v[4:5]
	v_fma_f64 v[30:31], v[10:11], v[2:3], -v[30:31]
	v_fma_f64 v[2:3], v[12:13], v[2:3], v[4:5]
	v_mul_f64 v[4:5], v[10:11], v[8:9]
	v_add_f64 v[14:15], v[14:15], v[30:31]
	v_add_f64 v[16:17], v[2:3], v[16:17]
	v_mul_f64 v[2:3], v[12:13], v[8:9]
	v_fma_f64 v[4:5], v[12:13], v[6:7], v[4:5]
	v_fma_f64 v[2:3], v[10:11], v[6:7], -v[2:3]
	v_add_f64 v[32:33], v[4:5], v[44:45]
	v_add_f64 v[30:31], v[42:43], v[2:3]
	ds_read_b128 v[2:5], v24 offset:1024
	s_waitcnt lgkmcnt(0)
	v_mul_f64 v[6:7], v[36:37], v[4:5]
	v_mul_f64 v[8:9], v[34:35], v[4:5]
	v_fma_f64 v[6:7], v[34:35], v[2:3], -v[6:7]
	v_fma_f64 v[8:9], v[36:37], v[2:3], v[8:9]
	v_add_f64 v[42:43], v[46:47], v[6:7]
	v_add_f64 v[44:45], v[8:9], v[48:49]
	ds_read_b128 v[6:9], v24 offset:1280
	s_waitcnt lgkmcnt(0)
	v_mul_f64 v[10:11], v[36:37], v[8:9]
	v_mul_f64 v[12:13], v[34:35], v[8:9]
	v_fma_f64 v[10:11], v[34:35], v[6:7], -v[10:11]
	v_fma_f64 v[12:13], v[36:37], v[6:7], v[12:13]
	v_add_f64 v[28:29], v[28:29], v[10:11]
	v_add_f64 v[26:27], v[12:13], v[26:27]
	ds_read_b128 v[10:13], v25 offset:2080
	s_waitcnt lgkmcnt(0)
	v_mul_f64 v[34:35], v[12:13], v[4:5]
	v_mul_f64 v[4:5], v[10:11], v[4:5]
	v_fma_f64 v[34:35], v[10:11], v[2:3], -v[34:35]
	v_fma_f64 v[2:3], v[12:13], v[2:3], v[4:5]
	v_mul_f64 v[4:5], v[10:11], v[8:9]
	v_add_f64 v[14:15], v[14:15], v[34:35]
	v_add_f64 v[16:17], v[2:3], v[16:17]
	v_mul_f64 v[2:3], v[12:13], v[8:9]
	v_fma_f64 v[4:5], v[12:13], v[6:7], v[4:5]
	v_fma_f64 v[2:3], v[10:11], v[6:7], -v[2:3]
	v_add_f64 v[32:33], v[4:5], v[32:33]
	;; [unrolled: 30-line block ×3, first 2 shown]
	v_add_f64 v[30:31], v[30:31], v[2:3]
	ds_read_b128 v[2:5], v25 offset:64
	ds_read_b128 v[6:9], v24 offset:2048
	s_waitcnt lgkmcnt(0)
	v_mul_f64 v[10:11], v[4:5], v[8:9]
	v_mul_f64 v[12:13], v[2:3], v[8:9]
	v_fma_f64 v[10:11], v[2:3], v[6:7], -v[10:11]
	v_fma_f64 v[12:13], v[4:5], v[6:7], v[12:13]
	v_add_f64 v[34:35], v[34:35], v[10:11]
	v_add_f64 v[36:37], v[12:13], v[36:37]
	ds_read_b128 v[10:13], v24 offset:2304
	s_waitcnt lgkmcnt(0)
	v_mul_f64 v[38:39], v[4:5], v[12:13]
	v_fma_f64 v[38:39], v[2:3], v[10:11], -v[38:39]
	v_mul_f64 v[2:3], v[2:3], v[12:13]
	v_add_f64 v[28:29], v[28:29], v[38:39]
	v_fma_f64 v[2:3], v[4:5], v[10:11], v[2:3]
	v_add_f64 v[26:27], v[2:3], v[26:27]
	ds_read_b128 v[2:5], v25 offset:2112
	s_waitcnt lgkmcnt(0)
	v_mul_f64 v[38:39], v[4:5], v[8:9]
	v_mul_f64 v[8:9], v[2:3], v[8:9]
	v_fma_f64 v[38:39], v[2:3], v[6:7], -v[38:39]
	v_fma_f64 v[6:7], v[4:5], v[6:7], v[8:9]
	v_add_f64 v[14:15], v[14:15], v[38:39]
	v_add_f64 v[16:17], v[6:7], v[16:17]
	v_mul_f64 v[6:7], v[4:5], v[12:13]
	v_fma_f64 v[6:7], v[2:3], v[10:11], -v[6:7]
	v_mul_f64 v[2:3], v[2:3], v[12:13]
	v_add_f64 v[30:31], v[30:31], v[6:7]
	v_fma_f64 v[2:3], v[4:5], v[10:11], v[2:3]
	v_add_f64 v[32:33], v[2:3], v[32:33]
	ds_read_b128 v[2:5], v25 offset:80
	ds_read_b128 v[6:9], v24 offset:2560
	s_waitcnt lgkmcnt(0)
	v_mul_f64 v[10:11], v[4:5], v[8:9]
	v_mul_f64 v[12:13], v[2:3], v[8:9]
	v_fma_f64 v[10:11], v[2:3], v[6:7], -v[10:11]
	v_fma_f64 v[12:13], v[4:5], v[6:7], v[12:13]
	v_add_f64 v[34:35], v[34:35], v[10:11]
	v_add_f64 v[36:37], v[12:13], v[36:37]
	ds_read_b128 v[10:13], v24 offset:2816
	s_waitcnt lgkmcnt(0)
	v_mul_f64 v[38:39], v[4:5], v[12:13]
	v_fma_f64 v[38:39], v[2:3], v[10:11], -v[38:39]
	v_mul_f64 v[2:3], v[2:3], v[12:13]
	v_add_f64 v[28:29], v[28:29], v[38:39]
	v_fma_f64 v[2:3], v[4:5], v[10:11], v[2:3]
	v_add_f64 v[26:27], v[2:3], v[26:27]
	ds_read_b128 v[2:5], v25 offset:2128
	s_waitcnt lgkmcnt(0)
	v_mul_f64 v[38:39], v[4:5], v[8:9]
	v_mul_f64 v[8:9], v[2:3], v[8:9]
	v_fma_f64 v[38:39], v[2:3], v[6:7], -v[38:39]
	v_fma_f64 v[6:7], v[4:5], v[6:7], v[8:9]
	v_add_f64 v[14:15], v[14:15], v[38:39]
	v_add_f64 v[16:17], v[6:7], v[16:17]
	v_mul_f64 v[6:7], v[4:5], v[12:13]
	v_fma_f64 v[6:7], v[2:3], v[10:11], -v[6:7]
	v_mul_f64 v[2:3], v[2:3], v[12:13]
	v_add_f64 v[30:31], v[30:31], v[6:7]
	v_fma_f64 v[2:3], v[4:5], v[10:11], v[2:3]
	;; [unrolled: 31-line block ×3, first 2 shown]
	v_add_f64 v[44:45], v[2:3], v[32:33]
	ds_read_b128 v[2:5], v25 offset:112
	ds_read_b128 v[6:9], v24 offset:3584
	;; [unrolled: 1-line block ×3, first 2 shown]
	s_waitcnt lgkmcnt(1)
	v_mul_f64 v[10:11], v[4:5], v[8:9]
	s_waitcnt lgkmcnt(0)
	v_mul_f64 v[30:31], v[4:5], v[28:29]
	v_mul_f64 v[12:13], v[2:3], v[8:9]
	v_fma_f64 v[10:11], v[2:3], v[6:7], -v[10:11]
	v_fma_f64 v[30:31], v[2:3], v[26:27], -v[30:31]
	v_mul_f64 v[2:3], v[2:3], v[28:29]
	v_fma_f64 v[12:13], v[4:5], v[6:7], v[12:13]
	v_add_f64 v[10:11], v[34:35], v[10:11]
	v_fma_f64 v[4:5], v[4:5], v[26:27], v[2:3]
	v_add_f64 v[2:3], v[38:39], v[30:31]
	ds_read_b128 v[30:33], v25 offset:2160
	v_add_f64 v[12:13], v[12:13], v[36:37]
	s_waitcnt lgkmcnt(0)
	s_barrier
	v_mul_f64 v[34:35], v[32:33], v[8:9]
	v_mul_f64 v[8:9], v[30:31], v[8:9]
	v_add_f64 v[4:5], v[4:5], v[40:41]
	v_fma_f64 v[34:35], v[30:31], v[6:7], -v[34:35]
	v_fma_f64 v[6:7], v[32:33], v[6:7], v[8:9]
	v_mul_f64 v[8:9], v[30:31], v[28:29]
	v_add_f64 v[14:15], v[14:15], v[34:35]
	v_add_f64 v[16:17], v[6:7], v[16:17]
	v_mul_f64 v[6:7], v[32:33], v[28:29]
	v_fma_f64 v[8:9], v[32:33], v[26:27], v[8:9]
	v_fma_f64 v[6:7], v[30:31], v[26:27], -v[6:7]
	v_add_f64 v[8:9], v[8:9], v[44:45]
	v_mov_b32_e32 v27, s1
	v_mov_b32_e32 v26, s0
	v_cmp_le_u64_e32 vcc, s[12:13], v[26:27]
	v_add_f64 v[6:7], v[42:43], v[6:7]
	s_cbranch_vccz .LBB1178_2
	s_branch .LBB1178_4
.LBB1178_3:
	v_mov_b32_e32 v10, 0
	v_mov_b32_e32 v12, 0
	;; [unrolled: 1-line block ×16, first 2 shown]
.LBB1178_4:
	s_load_dwordx4 s[12:15], s[4:5], 0x48
	s_load_dword s6, s[4:5], 0x0
	v_add_u32_e32 v18, s3, v1
	v_ashrrev_i32_e32 v1, 31, v18
	v_add_u32_e32 v0, s2, v0
	s_waitcnt lgkmcnt(0)
	s_mul_i32 s1, s15, s8
	s_mul_hi_u32 s3, s14, s8
	s_mul_i32 s0, s14, s8
	v_mul_lo_u32 v1, s12, v1
	v_mul_lo_u32 v21, s13, v18
	v_mad_u64_u32 v[19:20], s[8:9], s12, v18, 0
	s_add_i32 s1, s3, s1
	s_lshl_b64 s[0:1], s[0:1], 4
	v_add3_u32 v20, v20, v1, v21
	s_add_u32 s4, s26, s0
	v_lshlrev_b64 v[19:20], 4, v[19:20]
	s_addc_u32 s5, s27, s1
	v_mov_b32_e32 v1, s5
	v_add_co_u32_e64 v19, s[0:1], s4, v19
	v_addc_co_u32_e64 v20, s[0:1], v1, v20, s[0:1]
	v_cmp_gt_i32_e32 vcc, s6, v18
	v_cmp_le_i32_e64 s[0:1], v0, v18
	s_and_b64 s[0:1], vcc, s[0:1]
	s_and_saveexec_b64 s[2:3], s[0:1]
	s_cbranch_execz .LBB1178_6
; %bb.5:
	v_ashrrev_i32_e32 v1, 31, v0
	v_lshlrev_b64 v[21:22], 4, v[0:1]
	v_xor_b32_e32 v11, 0x80000000, v11
	v_add_co_u32_e64 v21, s[0:1], v19, v21
	v_xor_b32_e32 v13, 0x80000000, v13
	v_addc_co_u32_e64 v22, s[0:1], v20, v22, s[0:1]
	global_store_dwordx4 v[21:22], v[10:13], off
.LBB1178_6:
	s_or_b64 exec, exec, s[2:3]
	v_add_u32_e32 v10, 16, v0
	v_cmp_le_i32_e64 s[0:1], v10, v18
	s_and_b64 s[2:3], vcc, s[0:1]
	s_and_saveexec_b64 s[0:1], s[2:3]
	s_cbranch_execz .LBB1178_8
; %bb.7:
	v_ashrrev_i32_e32 v11, 31, v10
	v_lshlrev_b64 v[11:12], 4, v[10:11]
	v_xor_b32_e32 v3, 0x80000000, v3
	v_add_co_u32_e32 v11, vcc, v19, v11
	v_xor_b32_e32 v5, 0x80000000, v5
	v_addc_co_u32_e32 v12, vcc, v20, v12, vcc
	global_store_dwordx4 v[11:12], v[2:5], off
.LBB1178_8:
	s_or_b64 exec, exec, s[0:1]
	v_add_u32_e32 v4, 16, v18
	v_ashrrev_i32_e32 v1, 31, v4
	v_mul_lo_u32 v3, s12, v1
	v_mul_lo_u32 v5, s13, v4
	v_mad_u64_u32 v[1:2], s[0:1], s12, v4, 0
	v_cmp_gt_i32_e32 vcc, s6, v4
	v_add3_u32 v2, v2, v3, v5
	v_lshlrev_b64 v[2:3], 4, v[1:2]
	v_mov_b32_e32 v1, s5
	v_add_co_u32_e64 v2, s[0:1], s4, v2
	v_addc_co_u32_e64 v3, s[0:1], v1, v3, s[0:1]
	v_cmp_le_i32_e64 s[0:1], v0, v4
	s_and_b64 s[0:1], vcc, s[0:1]
	s_and_saveexec_b64 s[2:3], s[0:1]
	s_cbranch_execz .LBB1178_10
; %bb.9:
	v_ashrrev_i32_e32 v1, 31, v0
	v_lshlrev_b64 v[0:1], 4, v[0:1]
	v_xor_b32_e32 v15, 0x80000000, v15
	v_add_co_u32_e64 v0, s[0:1], v2, v0
	v_xor_b32_e32 v17, 0x80000000, v17
	v_addc_co_u32_e64 v1, s[0:1], v3, v1, s[0:1]
	global_store_dwordx4 v[0:1], v[14:17], off
.LBB1178_10:
	s_or_b64 exec, exec, s[2:3]
	v_cmp_le_i32_e64 s[0:1], v10, v4
	s_and_b64 s[0:1], vcc, s[0:1]
	s_and_saveexec_b64 s[2:3], s[0:1]
	s_cbranch_execz .LBB1178_12
; %bb.11:
	v_ashrrev_i32_e32 v11, 31, v10
	v_lshlrev_b64 v[0:1], 4, v[10:11]
	v_xor_b32_e32 v7, 0x80000000, v7
	v_add_co_u32_e32 v0, vcc, v2, v0
	v_xor_b32_e32 v9, 0x80000000, v9
	v_addc_co_u32_e32 v1, vcc, v3, v1, vcc
	global_store_dwordx4 v[0:1], v[6:9], off
.LBB1178_12:
	s_endpgm
	.section	.rodata,"a",@progbits
	.p2align	6, 0x0
	.amdhsa_kernel _ZL37rocblas_syrkx_herkx_restricted_kernelIl19rocblas_complex_numIdELi16ELi32ELi8ELin1ELi0ELb0ELc84ELc85EKS1_S1_EviT_PT9_S3_lS5_S3_lPT10_S3_li
		.amdhsa_group_segment_fixed_size 8192
		.amdhsa_private_segment_fixed_size 0
		.amdhsa_kernarg_size 92
		.amdhsa_user_sgpr_count 6
		.amdhsa_user_sgpr_private_segment_buffer 1
		.amdhsa_user_sgpr_dispatch_ptr 0
		.amdhsa_user_sgpr_queue_ptr 0
		.amdhsa_user_sgpr_kernarg_segment_ptr 1
		.amdhsa_user_sgpr_dispatch_id 0
		.amdhsa_user_sgpr_flat_scratch_init 0
		.amdhsa_user_sgpr_private_segment_size 0
		.amdhsa_uses_dynamic_stack 0
		.amdhsa_system_sgpr_private_segment_wavefront_offset 0
		.amdhsa_system_sgpr_workgroup_id_x 1
		.amdhsa_system_sgpr_workgroup_id_y 1
		.amdhsa_system_sgpr_workgroup_id_z 1
		.amdhsa_system_sgpr_workgroup_info 0
		.amdhsa_system_vgpr_workitem_id 1
		.amdhsa_next_free_vgpr 52
		.amdhsa_next_free_sgpr 61
		.amdhsa_reserve_vcc 1
		.amdhsa_reserve_flat_scratch 0
		.amdhsa_float_round_mode_32 0
		.amdhsa_float_round_mode_16_64 0
		.amdhsa_float_denorm_mode_32 3
		.amdhsa_float_denorm_mode_16_64 3
		.amdhsa_dx10_clamp 1
		.amdhsa_ieee_mode 1
		.amdhsa_fp16_overflow 0
		.amdhsa_exception_fp_ieee_invalid_op 0
		.amdhsa_exception_fp_denorm_src 0
		.amdhsa_exception_fp_ieee_div_zero 0
		.amdhsa_exception_fp_ieee_overflow 0
		.amdhsa_exception_fp_ieee_underflow 0
		.amdhsa_exception_fp_ieee_inexact 0
		.amdhsa_exception_int_div_zero 0
	.end_amdhsa_kernel
	.section	.text._ZL37rocblas_syrkx_herkx_restricted_kernelIl19rocblas_complex_numIdELi16ELi32ELi8ELin1ELi0ELb0ELc84ELc85EKS1_S1_EviT_PT9_S3_lS5_S3_lPT10_S3_li,"axG",@progbits,_ZL37rocblas_syrkx_herkx_restricted_kernelIl19rocblas_complex_numIdELi16ELi32ELi8ELin1ELi0ELb0ELc84ELc85EKS1_S1_EviT_PT9_S3_lS5_S3_lPT10_S3_li,comdat
.Lfunc_end1178:
	.size	_ZL37rocblas_syrkx_herkx_restricted_kernelIl19rocblas_complex_numIdELi16ELi32ELi8ELin1ELi0ELb0ELc84ELc85EKS1_S1_EviT_PT9_S3_lS5_S3_lPT10_S3_li, .Lfunc_end1178-_ZL37rocblas_syrkx_herkx_restricted_kernelIl19rocblas_complex_numIdELi16ELi32ELi8ELin1ELi0ELb0ELc84ELc85EKS1_S1_EviT_PT9_S3_lS5_S3_lPT10_S3_li
                                        ; -- End function
	.set _ZL37rocblas_syrkx_herkx_restricted_kernelIl19rocblas_complex_numIdELi16ELi32ELi8ELin1ELi0ELb0ELc84ELc85EKS1_S1_EviT_PT9_S3_lS5_S3_lPT10_S3_li.num_vgpr, 52
	.set _ZL37rocblas_syrkx_herkx_restricted_kernelIl19rocblas_complex_numIdELi16ELi32ELi8ELin1ELi0ELb0ELc84ELc85EKS1_S1_EviT_PT9_S3_lS5_S3_lPT10_S3_li.num_agpr, 0
	.set _ZL37rocblas_syrkx_herkx_restricted_kernelIl19rocblas_complex_numIdELi16ELi32ELi8ELin1ELi0ELb0ELc84ELc85EKS1_S1_EviT_PT9_S3_lS5_S3_lPT10_S3_li.numbered_sgpr, 28
	.set _ZL37rocblas_syrkx_herkx_restricted_kernelIl19rocblas_complex_numIdELi16ELi32ELi8ELin1ELi0ELb0ELc84ELc85EKS1_S1_EviT_PT9_S3_lS5_S3_lPT10_S3_li.num_named_barrier, 0
	.set _ZL37rocblas_syrkx_herkx_restricted_kernelIl19rocblas_complex_numIdELi16ELi32ELi8ELin1ELi0ELb0ELc84ELc85EKS1_S1_EviT_PT9_S3_lS5_S3_lPT10_S3_li.private_seg_size, 0
	.set _ZL37rocblas_syrkx_herkx_restricted_kernelIl19rocblas_complex_numIdELi16ELi32ELi8ELin1ELi0ELb0ELc84ELc85EKS1_S1_EviT_PT9_S3_lS5_S3_lPT10_S3_li.uses_vcc, 1
	.set _ZL37rocblas_syrkx_herkx_restricted_kernelIl19rocblas_complex_numIdELi16ELi32ELi8ELin1ELi0ELb0ELc84ELc85EKS1_S1_EviT_PT9_S3_lS5_S3_lPT10_S3_li.uses_flat_scratch, 0
	.set _ZL37rocblas_syrkx_herkx_restricted_kernelIl19rocblas_complex_numIdELi16ELi32ELi8ELin1ELi0ELb0ELc84ELc85EKS1_S1_EviT_PT9_S3_lS5_S3_lPT10_S3_li.has_dyn_sized_stack, 0
	.set _ZL37rocblas_syrkx_herkx_restricted_kernelIl19rocblas_complex_numIdELi16ELi32ELi8ELin1ELi0ELb0ELc84ELc85EKS1_S1_EviT_PT9_S3_lS5_S3_lPT10_S3_li.has_recursion, 0
	.set _ZL37rocblas_syrkx_herkx_restricted_kernelIl19rocblas_complex_numIdELi16ELi32ELi8ELin1ELi0ELb0ELc84ELc85EKS1_S1_EviT_PT9_S3_lS5_S3_lPT10_S3_li.has_indirect_call, 0
	.section	.AMDGPU.csdata,"",@progbits
; Kernel info:
; codeLenInByte = 2924
; TotalNumSgprs: 32
; NumVgprs: 52
; ScratchSize: 0
; MemoryBound: 0
; FloatMode: 240
; IeeeMode: 1
; LDSByteSize: 8192 bytes/workgroup (compile time only)
; SGPRBlocks: 8
; VGPRBlocks: 12
; NumSGPRsForWavesPerEU: 65
; NumVGPRsForWavesPerEU: 52
; Occupancy: 4
; WaveLimiterHint : 1
; COMPUTE_PGM_RSRC2:SCRATCH_EN: 0
; COMPUTE_PGM_RSRC2:USER_SGPR: 6
; COMPUTE_PGM_RSRC2:TRAP_HANDLER: 0
; COMPUTE_PGM_RSRC2:TGID_X_EN: 1
; COMPUTE_PGM_RSRC2:TGID_Y_EN: 1
; COMPUTE_PGM_RSRC2:TGID_Z_EN: 1
; COMPUTE_PGM_RSRC2:TIDIG_COMP_CNT: 1
	.section	.text._ZL37rocblas_syrkx_herkx_restricted_kernelIl19rocblas_complex_numIdELi16ELi32ELi8ELin1ELi0ELb0ELc67ELc85EKS1_S1_EviT_PT9_S3_lS5_S3_lPT10_S3_li,"axG",@progbits,_ZL37rocblas_syrkx_herkx_restricted_kernelIl19rocblas_complex_numIdELi16ELi32ELi8ELin1ELi0ELb0ELc67ELc85EKS1_S1_EviT_PT9_S3_lS5_S3_lPT10_S3_li,comdat
	.globl	_ZL37rocblas_syrkx_herkx_restricted_kernelIl19rocblas_complex_numIdELi16ELi32ELi8ELin1ELi0ELb0ELc67ELc85EKS1_S1_EviT_PT9_S3_lS5_S3_lPT10_S3_li ; -- Begin function _ZL37rocblas_syrkx_herkx_restricted_kernelIl19rocblas_complex_numIdELi16ELi32ELi8ELin1ELi0ELb0ELc67ELc85EKS1_S1_EviT_PT9_S3_lS5_S3_lPT10_S3_li
	.p2align	8
	.type	_ZL37rocblas_syrkx_herkx_restricted_kernelIl19rocblas_complex_numIdELi16ELi32ELi8ELin1ELi0ELb0ELc67ELc85EKS1_S1_EviT_PT9_S3_lS5_S3_lPT10_S3_li,@function
_ZL37rocblas_syrkx_herkx_restricted_kernelIl19rocblas_complex_numIdELi16ELi32ELi8ELin1ELi0ELb0ELc67ELc85EKS1_S1_EviT_PT9_S3_lS5_S3_lPT10_S3_li: ; @_ZL37rocblas_syrkx_herkx_restricted_kernelIl19rocblas_complex_numIdELi16ELi32ELi8ELin1ELi0ELb0ELc67ELc85EKS1_S1_EviT_PT9_S3_lS5_S3_lPT10_S3_li
; %bb.0:
	s_load_dwordx16 s[12:27], s[4:5], 0x8
	s_lshl_b32 s2, s6, 5
	s_lshl_b32 s3, s7, 5
	s_waitcnt lgkmcnt(0)
	v_cmp_lt_i64_e64 s[0:1], s[12:13], 1
	s_and_b64 vcc, exec, s[0:1]
	s_cbranch_vccnz .LBB1179_3
; %bb.1:
	v_lshl_add_u32 v6, v1, 4, v0
	v_lshrrev_b32_e32 v8, 3, v6
	v_add_u32_e32 v4, s3, v8
	v_ashrrev_i32_e32 v5, 31, v4
	v_and_b32_e32 v2, 7, v0
	v_mov_b32_e32 v3, 0
	v_mul_lo_u32 v7, s22, v5
	v_mul_lo_u32 v9, s23, v4
	v_mad_u64_u32 v[4:5], s[0:1], s22, v4, v[2:3]
	v_lshlrev_b32_e32 v2, 4, v2
	v_lshl_or_b32 v2, v8, 7, v2
	v_add3_u32 v5, v9, v5, v7
	v_and_b32_e32 v9, 31, v6
	v_add_u32_e32 v23, 0x1000, v2
	v_mov_b32_e32 v2, 0x1000
	v_add_u32_e32 v8, s2, v9
	v_lshrrev_b32_e32 v6, 5, v6
	v_mov_b32_e32 v7, v3
	v_lshlrev_b32_e32 v3, 4, v9
	v_lshl_add_u32 v25, v1, 7, v2
	v_ashrrev_i32_e32 v2, 31, v8
	v_lshl_or_b32 v22, v6, 9, v3
	v_mul_lo_u32 v9, s16, v2
	v_mad_u64_u32 v[2:3], s[0:1], s16, v8, v[6:7]
	v_mul_lo_u32 v6, s17, v8
	s_mul_i32 s6, s19, s8
	s_mul_hi_u32 s7, s18, s8
	s_add_i32 s1, s7, s6
	s_mul_i32 s0, s18, s8
	s_lshl_b64 s[0:1], s[0:1], 4
	v_add3_u32 v3, v6, v3, v9
	v_lshlrev_b64 v[2:3], 4, v[2:3]
	s_add_u32 s0, s14, s0
	s_addc_u32 s1, s15, s1
	v_mov_b32_e32 v6, s1
	v_add_co_u32_e32 v2, vcc, s0, v2
	s_mul_i32 s0, s25, s8
	s_mul_hi_u32 s1, s24, s8
	v_addc_co_u32_e32 v3, vcc, v6, v3, vcc
	s_add_i32 s1, s1, s0
	s_mul_i32 s0, s24, s8
	v_add_co_u32_e32 v18, vcc, 8, v2
	s_lshl_b64 s[0:1], s[0:1], 4
	v_addc_co_u32_e32 v19, vcc, 0, v3, vcc
	v_lshlrev_b64 v[2:3], 4, v[4:5]
	s_add_u32 s0, s20, s0
	s_addc_u32 s1, s21, s1
	v_mov_b32_e32 v4, s1
	v_add_co_u32_e32 v2, vcc, s0, v2
	v_addc_co_u32_e32 v3, vcc, v4, v3, vcc
	v_add_co_u32_e32 v20, vcc, 8, v2
	v_addc_co_u32_e32 v21, vcc, 0, v3, vcc
	v_mov_b32_e32 v8, 0
	v_mov_b32_e32 v6, 0
	v_mov_b32_e32 v16, 0
	v_mov_b32_e32 v14, 0
	v_mov_b32_e32 v4, 0
	v_mov_b32_e32 v2, 0
	v_mov_b32_e32 v12, 0
	v_mov_b32_e32 v10, 0
	v_lshlrev_b32_e32 v24, 4, v0
	v_mov_b32_e32 v9, 0
	v_mov_b32_e32 v7, 0
	;; [unrolled: 1-line block ×8, first 2 shown]
	s_mov_b64 s[0:1], 0
.LBB1179_2:                             ; =>This Inner Loop Header: Depth=1
	global_load_dwordx4 v[26:29], v[18:19], off offset:-8
	s_add_u32 s0, s0, 8
	v_add_co_u32_e32 v18, vcc, 0x80, v18
	s_addc_u32 s1, s1, 0
	v_addc_co_u32_e32 v19, vcc, 0, v19, vcc
	s_waitcnt vmcnt(0)
	ds_write_b128 v22, v[26:29]
	global_load_dwordx4 v[26:29], v[20:21], off offset:-8
	v_add_co_u32_e32 v20, vcc, 0x80, v20
	v_addc_co_u32_e32 v21, vcc, 0, v21, vcc
	s_waitcnt vmcnt(0)
	ds_write_b128 v23, v[26:29]
	s_waitcnt lgkmcnt(0)
	s_barrier
	ds_read_b128 v[26:29], v25
	ds_read_b128 v[30:33], v25 offset:16
	ds_read_b128 v[34:37], v25 offset:32
	;; [unrolled: 1-line block ×3, first 2 shown]
	ds_read_b128 v[42:45], v24
	s_waitcnt lgkmcnt(0)
	v_mul_f64 v[46:47], v[28:29], v[44:45]
	v_mul_f64 v[48:49], v[26:27], v[44:45]
	v_fma_f64 v[46:47], v[26:27], v[42:43], -v[46:47]
	v_fma_f64 v[48:49], v[28:29], v[42:43], v[48:49]
	v_add_f64 v[46:47], v[10:11], v[46:47]
	v_add_f64 v[48:49], v[48:49], v[12:13]
	ds_read_b128 v[10:13], v24 offset:256
	s_waitcnt lgkmcnt(0)
	v_mul_f64 v[50:51], v[28:29], v[12:13]
	v_fma_f64 v[50:51], v[26:27], v[10:11], -v[50:51]
	v_mul_f64 v[26:27], v[26:27], v[12:13]
	v_fma_f64 v[26:27], v[28:29], v[10:11], v[26:27]
	v_add_f64 v[28:29], v[2:3], v[50:51]
	v_add_f64 v[26:27], v[26:27], v[4:5]
	ds_read_b128 v[2:5], v25 offset:2048
	s_waitcnt lgkmcnt(0)
	v_mul_f64 v[50:51], v[4:5], v[44:45]
	v_mul_f64 v[44:45], v[2:3], v[44:45]
	v_fma_f64 v[50:51], v[2:3], v[42:43], -v[50:51]
	v_fma_f64 v[42:43], v[4:5], v[42:43], v[44:45]
	v_add_f64 v[14:15], v[14:15], v[50:51]
	v_add_f64 v[16:17], v[42:43], v[16:17]
	v_mul_f64 v[42:43], v[4:5], v[12:13]
	v_fma_f64 v[42:43], v[2:3], v[10:11], -v[42:43]
	v_mul_f64 v[2:3], v[2:3], v[12:13]
	v_add_f64 v[42:43], v[6:7], v[42:43]
	v_fma_f64 v[2:3], v[4:5], v[10:11], v[2:3]
	v_add_f64 v[44:45], v[2:3], v[8:9]
	ds_read_b128 v[2:5], v24 offset:512
	s_waitcnt lgkmcnt(0)
	v_mul_f64 v[6:7], v[32:33], v[4:5]
	v_mul_f64 v[8:9], v[30:31], v[4:5]
	v_fma_f64 v[6:7], v[30:31], v[2:3], -v[6:7]
	v_fma_f64 v[8:9], v[32:33], v[2:3], v[8:9]
	v_add_f64 v[46:47], v[46:47], v[6:7]
	v_add_f64 v[48:49], v[8:9], v[48:49]
	ds_read_b128 v[6:9], v24 offset:768
	s_waitcnt lgkmcnt(0)
	v_mul_f64 v[10:11], v[32:33], v[8:9]
	v_mul_f64 v[12:13], v[30:31], v[8:9]
	v_fma_f64 v[10:11], v[30:31], v[6:7], -v[10:11]
	v_fma_f64 v[12:13], v[32:33], v[6:7], v[12:13]
	v_add_f64 v[28:29], v[28:29], v[10:11]
	v_add_f64 v[26:27], v[12:13], v[26:27]
	ds_read_b128 v[10:13], v25 offset:2064
	s_waitcnt lgkmcnt(0)
	v_mul_f64 v[30:31], v[12:13], v[4:5]
	v_mul_f64 v[4:5], v[10:11], v[4:5]
	v_fma_f64 v[30:31], v[10:11], v[2:3], -v[30:31]
	v_fma_f64 v[2:3], v[12:13], v[2:3], v[4:5]
	v_mul_f64 v[4:5], v[10:11], v[8:9]
	v_add_f64 v[14:15], v[14:15], v[30:31]
	v_add_f64 v[16:17], v[2:3], v[16:17]
	v_mul_f64 v[2:3], v[12:13], v[8:9]
	v_fma_f64 v[4:5], v[12:13], v[6:7], v[4:5]
	v_fma_f64 v[2:3], v[10:11], v[6:7], -v[2:3]
	v_add_f64 v[32:33], v[4:5], v[44:45]
	v_add_f64 v[30:31], v[42:43], v[2:3]
	ds_read_b128 v[2:5], v24 offset:1024
	s_waitcnt lgkmcnt(0)
	v_mul_f64 v[6:7], v[36:37], v[4:5]
	v_mul_f64 v[8:9], v[34:35], v[4:5]
	v_fma_f64 v[6:7], v[34:35], v[2:3], -v[6:7]
	v_fma_f64 v[8:9], v[36:37], v[2:3], v[8:9]
	v_add_f64 v[42:43], v[46:47], v[6:7]
	v_add_f64 v[44:45], v[8:9], v[48:49]
	ds_read_b128 v[6:9], v24 offset:1280
	s_waitcnt lgkmcnt(0)
	v_mul_f64 v[10:11], v[36:37], v[8:9]
	v_mul_f64 v[12:13], v[34:35], v[8:9]
	v_fma_f64 v[10:11], v[34:35], v[6:7], -v[10:11]
	v_fma_f64 v[12:13], v[36:37], v[6:7], v[12:13]
	v_add_f64 v[28:29], v[28:29], v[10:11]
	v_add_f64 v[26:27], v[12:13], v[26:27]
	ds_read_b128 v[10:13], v25 offset:2080
	s_waitcnt lgkmcnt(0)
	v_mul_f64 v[34:35], v[12:13], v[4:5]
	v_mul_f64 v[4:5], v[10:11], v[4:5]
	v_fma_f64 v[34:35], v[10:11], v[2:3], -v[34:35]
	v_fma_f64 v[2:3], v[12:13], v[2:3], v[4:5]
	v_mul_f64 v[4:5], v[10:11], v[8:9]
	v_add_f64 v[14:15], v[14:15], v[34:35]
	v_add_f64 v[16:17], v[2:3], v[16:17]
	v_mul_f64 v[2:3], v[12:13], v[8:9]
	v_fma_f64 v[4:5], v[12:13], v[6:7], v[4:5]
	v_fma_f64 v[2:3], v[10:11], v[6:7], -v[2:3]
	v_add_f64 v[32:33], v[4:5], v[32:33]
	;; [unrolled: 30-line block ×3, first 2 shown]
	v_add_f64 v[30:31], v[30:31], v[2:3]
	ds_read_b128 v[2:5], v25 offset:64
	ds_read_b128 v[6:9], v24 offset:2048
	s_waitcnt lgkmcnt(0)
	v_mul_f64 v[10:11], v[4:5], v[8:9]
	v_mul_f64 v[12:13], v[2:3], v[8:9]
	v_fma_f64 v[10:11], v[2:3], v[6:7], -v[10:11]
	v_fma_f64 v[12:13], v[4:5], v[6:7], v[12:13]
	v_add_f64 v[34:35], v[34:35], v[10:11]
	v_add_f64 v[36:37], v[12:13], v[36:37]
	ds_read_b128 v[10:13], v24 offset:2304
	s_waitcnt lgkmcnt(0)
	v_mul_f64 v[38:39], v[4:5], v[12:13]
	v_fma_f64 v[38:39], v[2:3], v[10:11], -v[38:39]
	v_mul_f64 v[2:3], v[2:3], v[12:13]
	v_add_f64 v[28:29], v[28:29], v[38:39]
	v_fma_f64 v[2:3], v[4:5], v[10:11], v[2:3]
	v_add_f64 v[26:27], v[2:3], v[26:27]
	ds_read_b128 v[2:5], v25 offset:2112
	s_waitcnt lgkmcnt(0)
	v_mul_f64 v[38:39], v[4:5], v[8:9]
	v_mul_f64 v[8:9], v[2:3], v[8:9]
	v_fma_f64 v[38:39], v[2:3], v[6:7], -v[38:39]
	v_fma_f64 v[6:7], v[4:5], v[6:7], v[8:9]
	v_add_f64 v[14:15], v[14:15], v[38:39]
	v_add_f64 v[16:17], v[6:7], v[16:17]
	v_mul_f64 v[6:7], v[4:5], v[12:13]
	v_fma_f64 v[6:7], v[2:3], v[10:11], -v[6:7]
	v_mul_f64 v[2:3], v[2:3], v[12:13]
	v_add_f64 v[30:31], v[30:31], v[6:7]
	v_fma_f64 v[2:3], v[4:5], v[10:11], v[2:3]
	v_add_f64 v[32:33], v[2:3], v[32:33]
	ds_read_b128 v[2:5], v25 offset:80
	ds_read_b128 v[6:9], v24 offset:2560
	s_waitcnt lgkmcnt(0)
	v_mul_f64 v[10:11], v[4:5], v[8:9]
	v_mul_f64 v[12:13], v[2:3], v[8:9]
	v_fma_f64 v[10:11], v[2:3], v[6:7], -v[10:11]
	v_fma_f64 v[12:13], v[4:5], v[6:7], v[12:13]
	v_add_f64 v[34:35], v[34:35], v[10:11]
	v_add_f64 v[36:37], v[12:13], v[36:37]
	ds_read_b128 v[10:13], v24 offset:2816
	s_waitcnt lgkmcnt(0)
	v_mul_f64 v[38:39], v[4:5], v[12:13]
	v_fma_f64 v[38:39], v[2:3], v[10:11], -v[38:39]
	v_mul_f64 v[2:3], v[2:3], v[12:13]
	v_add_f64 v[28:29], v[28:29], v[38:39]
	v_fma_f64 v[2:3], v[4:5], v[10:11], v[2:3]
	v_add_f64 v[26:27], v[2:3], v[26:27]
	ds_read_b128 v[2:5], v25 offset:2128
	s_waitcnt lgkmcnt(0)
	v_mul_f64 v[38:39], v[4:5], v[8:9]
	v_mul_f64 v[8:9], v[2:3], v[8:9]
	v_fma_f64 v[38:39], v[2:3], v[6:7], -v[38:39]
	v_fma_f64 v[6:7], v[4:5], v[6:7], v[8:9]
	v_add_f64 v[14:15], v[14:15], v[38:39]
	v_add_f64 v[16:17], v[6:7], v[16:17]
	v_mul_f64 v[6:7], v[4:5], v[12:13]
	v_fma_f64 v[6:7], v[2:3], v[10:11], -v[6:7]
	v_mul_f64 v[2:3], v[2:3], v[12:13]
	v_add_f64 v[30:31], v[30:31], v[6:7]
	v_fma_f64 v[2:3], v[4:5], v[10:11], v[2:3]
	;; [unrolled: 31-line block ×3, first 2 shown]
	v_add_f64 v[44:45], v[2:3], v[32:33]
	ds_read_b128 v[2:5], v25 offset:112
	ds_read_b128 v[6:9], v24 offset:3584
	;; [unrolled: 1-line block ×3, first 2 shown]
	s_waitcnt lgkmcnt(1)
	v_mul_f64 v[10:11], v[4:5], v[8:9]
	s_waitcnt lgkmcnt(0)
	v_mul_f64 v[30:31], v[4:5], v[28:29]
	v_mul_f64 v[12:13], v[2:3], v[8:9]
	v_fma_f64 v[10:11], v[2:3], v[6:7], -v[10:11]
	v_fma_f64 v[30:31], v[2:3], v[26:27], -v[30:31]
	v_mul_f64 v[2:3], v[2:3], v[28:29]
	v_fma_f64 v[12:13], v[4:5], v[6:7], v[12:13]
	v_add_f64 v[10:11], v[34:35], v[10:11]
	v_fma_f64 v[4:5], v[4:5], v[26:27], v[2:3]
	v_add_f64 v[2:3], v[38:39], v[30:31]
	ds_read_b128 v[30:33], v25 offset:2160
	v_add_f64 v[12:13], v[12:13], v[36:37]
	s_waitcnt lgkmcnt(0)
	s_barrier
	v_mul_f64 v[34:35], v[32:33], v[8:9]
	v_mul_f64 v[8:9], v[30:31], v[8:9]
	v_add_f64 v[4:5], v[4:5], v[40:41]
	v_fma_f64 v[34:35], v[30:31], v[6:7], -v[34:35]
	v_fma_f64 v[6:7], v[32:33], v[6:7], v[8:9]
	v_mul_f64 v[8:9], v[30:31], v[28:29]
	v_add_f64 v[14:15], v[14:15], v[34:35]
	v_add_f64 v[16:17], v[6:7], v[16:17]
	v_mul_f64 v[6:7], v[32:33], v[28:29]
	v_fma_f64 v[8:9], v[32:33], v[26:27], v[8:9]
	v_fma_f64 v[6:7], v[30:31], v[26:27], -v[6:7]
	v_add_f64 v[8:9], v[8:9], v[44:45]
	v_mov_b32_e32 v27, s1
	v_mov_b32_e32 v26, s0
	v_cmp_le_u64_e32 vcc, s[12:13], v[26:27]
	v_add_f64 v[6:7], v[42:43], v[6:7]
	s_cbranch_vccz .LBB1179_2
	s_branch .LBB1179_4
.LBB1179_3:
	v_mov_b32_e32 v10, 0
	v_mov_b32_e32 v12, 0
	;; [unrolled: 1-line block ×16, first 2 shown]
.LBB1179_4:
	s_load_dwordx4 s[12:15], s[4:5], 0x48
	s_load_dword s6, s[4:5], 0x0
	v_add_u32_e32 v18, s3, v1
	v_ashrrev_i32_e32 v1, 31, v18
	v_add_u32_e32 v0, s2, v0
	s_waitcnt lgkmcnt(0)
	s_mul_i32 s1, s15, s8
	s_mul_hi_u32 s3, s14, s8
	s_mul_i32 s0, s14, s8
	v_mul_lo_u32 v1, s12, v1
	v_mul_lo_u32 v21, s13, v18
	v_mad_u64_u32 v[19:20], s[8:9], s12, v18, 0
	s_add_i32 s1, s3, s1
	s_lshl_b64 s[0:1], s[0:1], 4
	v_add3_u32 v20, v20, v1, v21
	s_add_u32 s4, s26, s0
	v_lshlrev_b64 v[19:20], 4, v[19:20]
	s_addc_u32 s5, s27, s1
	v_mov_b32_e32 v1, s5
	v_add_co_u32_e64 v19, s[0:1], s4, v19
	v_addc_co_u32_e64 v20, s[0:1], v1, v20, s[0:1]
	v_cmp_gt_i32_e32 vcc, s6, v18
	v_cmp_le_i32_e64 s[0:1], v0, v18
	s_and_b64 s[0:1], vcc, s[0:1]
	s_and_saveexec_b64 s[2:3], s[0:1]
	s_cbranch_execz .LBB1179_6
; %bb.5:
	v_ashrrev_i32_e32 v1, 31, v0
	v_lshlrev_b64 v[21:22], 4, v[0:1]
	v_xor_b32_e32 v11, 0x80000000, v11
	v_add_co_u32_e64 v21, s[0:1], v19, v21
	v_xor_b32_e32 v13, 0x80000000, v13
	v_addc_co_u32_e64 v22, s[0:1], v20, v22, s[0:1]
	global_store_dwordx4 v[21:22], v[10:13], off
.LBB1179_6:
	s_or_b64 exec, exec, s[2:3]
	v_add_u32_e32 v10, 16, v0
	v_cmp_le_i32_e64 s[0:1], v10, v18
	s_and_b64 s[2:3], vcc, s[0:1]
	s_and_saveexec_b64 s[0:1], s[2:3]
	s_cbranch_execz .LBB1179_8
; %bb.7:
	v_ashrrev_i32_e32 v11, 31, v10
	v_lshlrev_b64 v[11:12], 4, v[10:11]
	v_xor_b32_e32 v3, 0x80000000, v3
	v_add_co_u32_e32 v11, vcc, v19, v11
	v_xor_b32_e32 v5, 0x80000000, v5
	v_addc_co_u32_e32 v12, vcc, v20, v12, vcc
	global_store_dwordx4 v[11:12], v[2:5], off
.LBB1179_8:
	s_or_b64 exec, exec, s[0:1]
	v_add_u32_e32 v4, 16, v18
	v_ashrrev_i32_e32 v1, 31, v4
	v_mul_lo_u32 v3, s12, v1
	v_mul_lo_u32 v5, s13, v4
	v_mad_u64_u32 v[1:2], s[0:1], s12, v4, 0
	v_cmp_gt_i32_e32 vcc, s6, v4
	v_add3_u32 v2, v2, v3, v5
	v_lshlrev_b64 v[2:3], 4, v[1:2]
	v_mov_b32_e32 v1, s5
	v_add_co_u32_e64 v2, s[0:1], s4, v2
	v_addc_co_u32_e64 v3, s[0:1], v1, v3, s[0:1]
	v_cmp_le_i32_e64 s[0:1], v0, v4
	s_and_b64 s[0:1], vcc, s[0:1]
	s_and_saveexec_b64 s[2:3], s[0:1]
	s_cbranch_execz .LBB1179_10
; %bb.9:
	v_ashrrev_i32_e32 v1, 31, v0
	v_lshlrev_b64 v[0:1], 4, v[0:1]
	v_xor_b32_e32 v15, 0x80000000, v15
	v_add_co_u32_e64 v0, s[0:1], v2, v0
	v_xor_b32_e32 v17, 0x80000000, v17
	v_addc_co_u32_e64 v1, s[0:1], v3, v1, s[0:1]
	global_store_dwordx4 v[0:1], v[14:17], off
.LBB1179_10:
	s_or_b64 exec, exec, s[2:3]
	v_cmp_le_i32_e64 s[0:1], v10, v4
	s_and_b64 s[0:1], vcc, s[0:1]
	s_and_saveexec_b64 s[2:3], s[0:1]
	s_cbranch_execz .LBB1179_12
; %bb.11:
	v_ashrrev_i32_e32 v11, 31, v10
	v_lshlrev_b64 v[0:1], 4, v[10:11]
	v_xor_b32_e32 v7, 0x80000000, v7
	v_add_co_u32_e32 v0, vcc, v2, v0
	v_xor_b32_e32 v9, 0x80000000, v9
	v_addc_co_u32_e32 v1, vcc, v3, v1, vcc
	global_store_dwordx4 v[0:1], v[6:9], off
.LBB1179_12:
	s_endpgm
	.section	.rodata,"a",@progbits
	.p2align	6, 0x0
	.amdhsa_kernel _ZL37rocblas_syrkx_herkx_restricted_kernelIl19rocblas_complex_numIdELi16ELi32ELi8ELin1ELi0ELb0ELc67ELc85EKS1_S1_EviT_PT9_S3_lS5_S3_lPT10_S3_li
		.amdhsa_group_segment_fixed_size 8192
		.amdhsa_private_segment_fixed_size 0
		.amdhsa_kernarg_size 92
		.amdhsa_user_sgpr_count 6
		.amdhsa_user_sgpr_private_segment_buffer 1
		.amdhsa_user_sgpr_dispatch_ptr 0
		.amdhsa_user_sgpr_queue_ptr 0
		.amdhsa_user_sgpr_kernarg_segment_ptr 1
		.amdhsa_user_sgpr_dispatch_id 0
		.amdhsa_user_sgpr_flat_scratch_init 0
		.amdhsa_user_sgpr_private_segment_size 0
		.amdhsa_uses_dynamic_stack 0
		.amdhsa_system_sgpr_private_segment_wavefront_offset 0
		.amdhsa_system_sgpr_workgroup_id_x 1
		.amdhsa_system_sgpr_workgroup_id_y 1
		.amdhsa_system_sgpr_workgroup_id_z 1
		.amdhsa_system_sgpr_workgroup_info 0
		.amdhsa_system_vgpr_workitem_id 1
		.amdhsa_next_free_vgpr 52
		.amdhsa_next_free_sgpr 61
		.amdhsa_reserve_vcc 1
		.amdhsa_reserve_flat_scratch 0
		.amdhsa_float_round_mode_32 0
		.amdhsa_float_round_mode_16_64 0
		.amdhsa_float_denorm_mode_32 3
		.amdhsa_float_denorm_mode_16_64 3
		.amdhsa_dx10_clamp 1
		.amdhsa_ieee_mode 1
		.amdhsa_fp16_overflow 0
		.amdhsa_exception_fp_ieee_invalid_op 0
		.amdhsa_exception_fp_denorm_src 0
		.amdhsa_exception_fp_ieee_div_zero 0
		.amdhsa_exception_fp_ieee_overflow 0
		.amdhsa_exception_fp_ieee_underflow 0
		.amdhsa_exception_fp_ieee_inexact 0
		.amdhsa_exception_int_div_zero 0
	.end_amdhsa_kernel
	.section	.text._ZL37rocblas_syrkx_herkx_restricted_kernelIl19rocblas_complex_numIdELi16ELi32ELi8ELin1ELi0ELb0ELc67ELc85EKS1_S1_EviT_PT9_S3_lS5_S3_lPT10_S3_li,"axG",@progbits,_ZL37rocblas_syrkx_herkx_restricted_kernelIl19rocblas_complex_numIdELi16ELi32ELi8ELin1ELi0ELb0ELc67ELc85EKS1_S1_EviT_PT9_S3_lS5_S3_lPT10_S3_li,comdat
.Lfunc_end1179:
	.size	_ZL37rocblas_syrkx_herkx_restricted_kernelIl19rocblas_complex_numIdELi16ELi32ELi8ELin1ELi0ELb0ELc67ELc85EKS1_S1_EviT_PT9_S3_lS5_S3_lPT10_S3_li, .Lfunc_end1179-_ZL37rocblas_syrkx_herkx_restricted_kernelIl19rocblas_complex_numIdELi16ELi32ELi8ELin1ELi0ELb0ELc67ELc85EKS1_S1_EviT_PT9_S3_lS5_S3_lPT10_S3_li
                                        ; -- End function
	.set _ZL37rocblas_syrkx_herkx_restricted_kernelIl19rocblas_complex_numIdELi16ELi32ELi8ELin1ELi0ELb0ELc67ELc85EKS1_S1_EviT_PT9_S3_lS5_S3_lPT10_S3_li.num_vgpr, 52
	.set _ZL37rocblas_syrkx_herkx_restricted_kernelIl19rocblas_complex_numIdELi16ELi32ELi8ELin1ELi0ELb0ELc67ELc85EKS1_S1_EviT_PT9_S3_lS5_S3_lPT10_S3_li.num_agpr, 0
	.set _ZL37rocblas_syrkx_herkx_restricted_kernelIl19rocblas_complex_numIdELi16ELi32ELi8ELin1ELi0ELb0ELc67ELc85EKS1_S1_EviT_PT9_S3_lS5_S3_lPT10_S3_li.numbered_sgpr, 28
	.set _ZL37rocblas_syrkx_herkx_restricted_kernelIl19rocblas_complex_numIdELi16ELi32ELi8ELin1ELi0ELb0ELc67ELc85EKS1_S1_EviT_PT9_S3_lS5_S3_lPT10_S3_li.num_named_barrier, 0
	.set _ZL37rocblas_syrkx_herkx_restricted_kernelIl19rocblas_complex_numIdELi16ELi32ELi8ELin1ELi0ELb0ELc67ELc85EKS1_S1_EviT_PT9_S3_lS5_S3_lPT10_S3_li.private_seg_size, 0
	.set _ZL37rocblas_syrkx_herkx_restricted_kernelIl19rocblas_complex_numIdELi16ELi32ELi8ELin1ELi0ELb0ELc67ELc85EKS1_S1_EviT_PT9_S3_lS5_S3_lPT10_S3_li.uses_vcc, 1
	.set _ZL37rocblas_syrkx_herkx_restricted_kernelIl19rocblas_complex_numIdELi16ELi32ELi8ELin1ELi0ELb0ELc67ELc85EKS1_S1_EviT_PT9_S3_lS5_S3_lPT10_S3_li.uses_flat_scratch, 0
	.set _ZL37rocblas_syrkx_herkx_restricted_kernelIl19rocblas_complex_numIdELi16ELi32ELi8ELin1ELi0ELb0ELc67ELc85EKS1_S1_EviT_PT9_S3_lS5_S3_lPT10_S3_li.has_dyn_sized_stack, 0
	.set _ZL37rocblas_syrkx_herkx_restricted_kernelIl19rocblas_complex_numIdELi16ELi32ELi8ELin1ELi0ELb0ELc67ELc85EKS1_S1_EviT_PT9_S3_lS5_S3_lPT10_S3_li.has_recursion, 0
	.set _ZL37rocblas_syrkx_herkx_restricted_kernelIl19rocblas_complex_numIdELi16ELi32ELi8ELin1ELi0ELb0ELc67ELc85EKS1_S1_EviT_PT9_S3_lS5_S3_lPT10_S3_li.has_indirect_call, 0
	.section	.AMDGPU.csdata,"",@progbits
; Kernel info:
; codeLenInByte = 2924
; TotalNumSgprs: 32
; NumVgprs: 52
; ScratchSize: 0
; MemoryBound: 0
; FloatMode: 240
; IeeeMode: 1
; LDSByteSize: 8192 bytes/workgroup (compile time only)
; SGPRBlocks: 8
; VGPRBlocks: 12
; NumSGPRsForWavesPerEU: 65
; NumVGPRsForWavesPerEU: 52
; Occupancy: 4
; WaveLimiterHint : 1
; COMPUTE_PGM_RSRC2:SCRATCH_EN: 0
; COMPUTE_PGM_RSRC2:USER_SGPR: 6
; COMPUTE_PGM_RSRC2:TRAP_HANDLER: 0
; COMPUTE_PGM_RSRC2:TGID_X_EN: 1
; COMPUTE_PGM_RSRC2:TGID_Y_EN: 1
; COMPUTE_PGM_RSRC2:TGID_Z_EN: 1
; COMPUTE_PGM_RSRC2:TIDIG_COMP_CNT: 1
	.section	.text._ZL37rocblas_syrkx_herkx_restricted_kernelIl19rocblas_complex_numIdELi16ELi32ELi8ELin1ELi0ELb0ELc78ELc85EKS1_S1_EviT_PT9_S3_lS5_S3_lPT10_S3_li,"axG",@progbits,_ZL37rocblas_syrkx_herkx_restricted_kernelIl19rocblas_complex_numIdELi16ELi32ELi8ELin1ELi0ELb0ELc78ELc85EKS1_S1_EviT_PT9_S3_lS5_S3_lPT10_S3_li,comdat
	.globl	_ZL37rocblas_syrkx_herkx_restricted_kernelIl19rocblas_complex_numIdELi16ELi32ELi8ELin1ELi0ELb0ELc78ELc85EKS1_S1_EviT_PT9_S3_lS5_S3_lPT10_S3_li ; -- Begin function _ZL37rocblas_syrkx_herkx_restricted_kernelIl19rocblas_complex_numIdELi16ELi32ELi8ELin1ELi0ELb0ELc78ELc85EKS1_S1_EviT_PT9_S3_lS5_S3_lPT10_S3_li
	.p2align	8
	.type	_ZL37rocblas_syrkx_herkx_restricted_kernelIl19rocblas_complex_numIdELi16ELi32ELi8ELin1ELi0ELb0ELc78ELc85EKS1_S1_EviT_PT9_S3_lS5_S3_lPT10_S3_li,@function
_ZL37rocblas_syrkx_herkx_restricted_kernelIl19rocblas_complex_numIdELi16ELi32ELi8ELin1ELi0ELb0ELc78ELc85EKS1_S1_EviT_PT9_S3_lS5_S3_lPT10_S3_li: ; @_ZL37rocblas_syrkx_herkx_restricted_kernelIl19rocblas_complex_numIdELi16ELi32ELi8ELin1ELi0ELb0ELc78ELc85EKS1_S1_EviT_PT9_S3_lS5_S3_lPT10_S3_li
; %bb.0:
	s_load_dwordx16 s[12:27], s[4:5], 0x8
	s_lshl_b32 s9, s6, 5
	s_lshl_b32 s10, s7, 5
	s_waitcnt lgkmcnt(0)
	v_cmp_lt_i64_e64 s[0:1], s[12:13], 1
	s_and_b64 vcc, exec, s[0:1]
	s_cbranch_vccnz .LBB1180_3
; %bb.1:
	v_lshl_add_u32 v6, v1, 4, v0
	v_lshrrev_b32_e32 v7, 3, v6
	v_add_u32_e32 v2, s10, v7
	v_and_b32_e32 v5, 7, v0
	v_ashrrev_i32_e32 v3, 31, v2
	v_mad_u64_u32 v[2:3], s[0:1], s22, v5, v[2:3]
	v_lshrrev_b32_e32 v8, 5, v6
	s_mul_i32 s2, s19, s8
	v_mad_u64_u32 v[3:4], s[0:1], s23, v5, v[3:4]
	v_and_b32_e32 v4, 31, v6
	v_lshlrev_b32_e32 v5, 4, v5
	v_lshlrev_b32_e32 v6, 4, v4
	v_lshl_or_b32 v5, v7, 7, v5
	v_add_u32_e32 v4, s9, v4
	v_add_u32_e32 v23, 0x1000, v5
	v_ashrrev_i32_e32 v5, 31, v4
	v_mad_u64_u32 v[4:5], s[0:1], s16, v8, v[4:5]
	v_lshl_or_b32 v22, v8, 9, v6
	v_mov_b32_e32 v6, 0x1000
	v_lshl_add_u32 v25, v1, 7, v6
	v_mad_u64_u32 v[5:6], s[0:1], s17, v8, v[5:6]
	s_mul_hi_u32 s3, s18, s8
	s_add_i32 s1, s3, s2
	s_mul_i32 s0, s18, s8
	s_lshl_b64 s[0:1], s[0:1], 4
	v_lshlrev_b64 v[4:5], 4, v[4:5]
	s_add_u32 s0, s14, s0
	s_addc_u32 s1, s15, s1
	s_mul_i32 s2, s25, s8
	s_mul_hi_u32 s3, s24, s8
	v_mov_b32_e32 v6, s1
	v_add_co_u32_e32 v4, vcc, s0, v4
	s_add_i32 s3, s3, s2
	s_mul_i32 s2, s24, s8
	v_addc_co_u32_e32 v5, vcc, v6, v5, vcc
	s_lshl_b64 s[0:1], s[16:17], 7
	s_lshl_b64 s[2:3], s[2:3], 4
	v_add_co_u32_e32 v18, vcc, 8, v4
	v_lshlrev_b64 v[2:3], 4, v[2:3]
	s_add_u32 s2, s20, s2
	v_addc_co_u32_e32 v19, vcc, 0, v5, vcc
	s_addc_u32 s3, s21, s3
	v_mov_b32_e32 v4, s3
	v_add_co_u32_e32 v2, vcc, s2, v2
	v_addc_co_u32_e32 v3, vcc, v4, v3, vcc
	v_add_co_u32_e32 v20, vcc, 8, v2
	v_addc_co_u32_e32 v21, vcc, 0, v3, vcc
	s_lshl_b64 s[2:3], s[22:23], 7
	v_mov_b32_e32 v8, 0
	v_mov_b32_e32 v6, 0
	;; [unrolled: 1-line block ×8, first 2 shown]
	v_lshlrev_b32_e32 v24, 4, v0
	v_mov_b32_e32 v9, 0
	s_mov_b64 s[6:7], 0
	v_mov_b32_e32 v26, s1
	v_mov_b32_e32 v7, 0
	;; [unrolled: 1-line block ×9, first 2 shown]
.LBB1180_2:                             ; =>This Inner Loop Header: Depth=1
	global_load_dwordx4 v[28:31], v[18:19], off offset:-8
	s_add_u32 s6, s6, 8
	v_add_co_u32_e32 v18, vcc, s0, v18
	s_addc_u32 s7, s7, 0
	v_addc_co_u32_e32 v19, vcc, v19, v26, vcc
	s_waitcnt vmcnt(0)
	ds_write_b128 v22, v[28:31]
	global_load_dwordx4 v[28:31], v[20:21], off offset:-8
	v_add_co_u32_e32 v20, vcc, s2, v20
	v_addc_co_u32_e32 v21, vcc, v21, v27, vcc
	s_waitcnt vmcnt(0)
	ds_write_b128 v23, v[28:31]
	s_waitcnt lgkmcnt(0)
	s_barrier
	ds_read_b128 v[28:31], v25
	ds_read_b128 v[32:35], v25 offset:16
	ds_read_b128 v[36:39], v25 offset:32
	;; [unrolled: 1-line block ×3, first 2 shown]
	ds_read_b128 v[44:47], v24
	s_waitcnt lgkmcnt(0)
	v_mul_f64 v[48:49], v[30:31], v[46:47]
	v_mul_f64 v[50:51], v[28:29], v[46:47]
	v_fma_f64 v[48:49], v[28:29], v[44:45], -v[48:49]
	v_fma_f64 v[50:51], v[30:31], v[44:45], v[50:51]
	v_add_f64 v[48:49], v[14:15], v[48:49]
	v_add_f64 v[50:51], v[50:51], v[16:17]
	ds_read_b128 v[14:17], v24 offset:256
	s_waitcnt lgkmcnt(0)
	v_mul_f64 v[52:53], v[30:31], v[16:17]
	v_fma_f64 v[52:53], v[28:29], v[14:15], -v[52:53]
	v_mul_f64 v[28:29], v[28:29], v[16:17]
	v_fma_f64 v[28:29], v[30:31], v[14:15], v[28:29]
	v_add_f64 v[30:31], v[2:3], v[52:53]
	v_add_f64 v[28:29], v[28:29], v[4:5]
	ds_read_b128 v[2:5], v25 offset:2048
	s_waitcnt lgkmcnt(0)
	v_mul_f64 v[52:53], v[4:5], v[46:47]
	v_mul_f64 v[46:47], v[2:3], v[46:47]
	v_fma_f64 v[52:53], v[2:3], v[44:45], -v[52:53]
	v_fma_f64 v[44:45], v[4:5], v[44:45], v[46:47]
	v_add_f64 v[46:47], v[10:11], v[52:53]
	v_mul_f64 v[10:11], v[4:5], v[16:17]
	v_add_f64 v[44:45], v[44:45], v[12:13]
	v_fma_f64 v[10:11], v[2:3], v[14:15], -v[10:11]
	v_mul_f64 v[2:3], v[2:3], v[16:17]
	v_fma_f64 v[2:3], v[4:5], v[14:15], v[2:3]
	v_add_f64 v[14:15], v[6:7], v[10:11]
	v_add_f64 v[16:17], v[2:3], v[8:9]
	ds_read_b128 v[2:5], v24 offset:512
	s_waitcnt lgkmcnt(0)
	v_mul_f64 v[6:7], v[34:35], v[4:5]
	v_mul_f64 v[8:9], v[32:33], v[4:5]
	v_fma_f64 v[6:7], v[32:33], v[2:3], -v[6:7]
	v_fma_f64 v[8:9], v[34:35], v[2:3], v[8:9]
	v_add_f64 v[48:49], v[48:49], v[6:7]
	v_add_f64 v[50:51], v[8:9], v[50:51]
	ds_read_b128 v[6:9], v24 offset:768
	s_waitcnt lgkmcnt(0)
	v_mul_f64 v[10:11], v[34:35], v[8:9]
	v_mul_f64 v[12:13], v[32:33], v[8:9]
	v_fma_f64 v[10:11], v[32:33], v[6:7], -v[10:11]
	;; [unrolled: 8-line block ×3, first 2 shown]
	v_fma_f64 v[2:3], v[12:13], v[2:3], v[4:5]
	v_mul_f64 v[4:5], v[10:11], v[8:9]
	v_add_f64 v[32:33], v[46:47], v[32:33]
	v_add_f64 v[34:35], v[2:3], v[44:45]
	v_mul_f64 v[2:3], v[12:13], v[8:9]
	v_fma_f64 v[4:5], v[12:13], v[6:7], v[4:5]
	v_fma_f64 v[2:3], v[10:11], v[6:7], -v[2:3]
	v_add_f64 v[16:17], v[4:5], v[16:17]
	v_add_f64 v[14:15], v[14:15], v[2:3]
	ds_read_b128 v[2:5], v24 offset:1024
	s_waitcnt lgkmcnt(0)
	v_mul_f64 v[6:7], v[38:39], v[4:5]
	v_mul_f64 v[8:9], v[36:37], v[4:5]
	v_fma_f64 v[6:7], v[36:37], v[2:3], -v[6:7]
	v_fma_f64 v[8:9], v[38:39], v[2:3], v[8:9]
	v_add_f64 v[44:45], v[48:49], v[6:7]
	v_add_f64 v[46:47], v[8:9], v[50:51]
	ds_read_b128 v[6:9], v24 offset:1280
	s_waitcnt lgkmcnt(0)
	v_mul_f64 v[10:11], v[38:39], v[8:9]
	v_mul_f64 v[12:13], v[36:37], v[8:9]
	v_fma_f64 v[10:11], v[36:37], v[6:7], -v[10:11]
	v_fma_f64 v[12:13], v[38:39], v[6:7], v[12:13]
	;; [unrolled: 8-line block ×3, first 2 shown]
	v_mul_f64 v[4:5], v[10:11], v[8:9]
	v_add_f64 v[32:33], v[32:33], v[36:37]
	v_add_f64 v[34:35], v[2:3], v[34:35]
	v_mul_f64 v[2:3], v[12:13], v[8:9]
	v_fma_f64 v[4:5], v[12:13], v[6:7], v[4:5]
	v_fma_f64 v[2:3], v[10:11], v[6:7], -v[2:3]
	v_add_f64 v[16:17], v[4:5], v[16:17]
	v_add_f64 v[14:15], v[14:15], v[2:3]
	ds_read_b128 v[2:5], v24 offset:1536
	s_waitcnt lgkmcnt(0)
	v_mul_f64 v[6:7], v[42:43], v[4:5]
	v_mul_f64 v[8:9], v[40:41], v[4:5]
	v_fma_f64 v[6:7], v[40:41], v[2:3], -v[6:7]
	v_fma_f64 v[8:9], v[42:43], v[2:3], v[8:9]
	v_add_f64 v[36:37], v[44:45], v[6:7]
	v_add_f64 v[38:39], v[8:9], v[46:47]
	ds_read_b128 v[6:9], v24 offset:1792
	s_waitcnt lgkmcnt(0)
	v_mul_f64 v[10:11], v[42:43], v[8:9]
	v_mul_f64 v[12:13], v[40:41], v[8:9]
	v_fma_f64 v[10:11], v[40:41], v[6:7], -v[10:11]
	v_fma_f64 v[12:13], v[42:43], v[6:7], v[12:13]
	;; [unrolled: 8-line block ×3, first 2 shown]
	v_mul_f64 v[4:5], v[10:11], v[8:9]
	v_add_f64 v[32:33], v[32:33], v[40:41]
	v_add_f64 v[34:35], v[2:3], v[34:35]
	v_mul_f64 v[2:3], v[12:13], v[8:9]
	v_fma_f64 v[4:5], v[12:13], v[6:7], v[4:5]
	v_fma_f64 v[2:3], v[10:11], v[6:7], -v[2:3]
	v_add_f64 v[16:17], v[4:5], v[16:17]
	v_add_f64 v[14:15], v[14:15], v[2:3]
	ds_read_b128 v[2:5], v25 offset:64
	ds_read_b128 v[6:9], v24 offset:2048
	s_waitcnt lgkmcnt(0)
	v_mul_f64 v[10:11], v[4:5], v[8:9]
	v_mul_f64 v[12:13], v[2:3], v[8:9]
	v_fma_f64 v[10:11], v[2:3], v[6:7], -v[10:11]
	v_fma_f64 v[12:13], v[4:5], v[6:7], v[12:13]
	v_add_f64 v[36:37], v[36:37], v[10:11]
	v_add_f64 v[38:39], v[12:13], v[38:39]
	ds_read_b128 v[10:13], v24 offset:2304
	s_waitcnt lgkmcnt(0)
	v_mul_f64 v[40:41], v[4:5], v[12:13]
	v_fma_f64 v[40:41], v[2:3], v[10:11], -v[40:41]
	v_mul_f64 v[2:3], v[2:3], v[12:13]
	v_add_f64 v[30:31], v[30:31], v[40:41]
	v_fma_f64 v[2:3], v[4:5], v[10:11], v[2:3]
	v_add_f64 v[28:29], v[2:3], v[28:29]
	ds_read_b128 v[2:5], v25 offset:2112
	s_waitcnt lgkmcnt(0)
	v_mul_f64 v[40:41], v[4:5], v[8:9]
	v_mul_f64 v[8:9], v[2:3], v[8:9]
	v_fma_f64 v[40:41], v[2:3], v[6:7], -v[40:41]
	v_fma_f64 v[6:7], v[4:5], v[6:7], v[8:9]
	v_add_f64 v[32:33], v[32:33], v[40:41]
	v_add_f64 v[34:35], v[6:7], v[34:35]
	v_mul_f64 v[6:7], v[4:5], v[12:13]
	v_fma_f64 v[6:7], v[2:3], v[10:11], -v[6:7]
	v_mul_f64 v[2:3], v[2:3], v[12:13]
	v_add_f64 v[14:15], v[14:15], v[6:7]
	v_fma_f64 v[2:3], v[4:5], v[10:11], v[2:3]
	v_add_f64 v[16:17], v[2:3], v[16:17]
	ds_read_b128 v[2:5], v25 offset:80
	ds_read_b128 v[6:9], v24 offset:2560
	s_waitcnt lgkmcnt(0)
	v_mul_f64 v[10:11], v[4:5], v[8:9]
	v_mul_f64 v[12:13], v[2:3], v[8:9]
	v_fma_f64 v[10:11], v[2:3], v[6:7], -v[10:11]
	v_fma_f64 v[12:13], v[4:5], v[6:7], v[12:13]
	v_add_f64 v[36:37], v[36:37], v[10:11]
	v_add_f64 v[38:39], v[12:13], v[38:39]
	ds_read_b128 v[10:13], v24 offset:2816
	s_waitcnt lgkmcnt(0)
	v_mul_f64 v[40:41], v[4:5], v[12:13]
	v_fma_f64 v[40:41], v[2:3], v[10:11], -v[40:41]
	v_mul_f64 v[2:3], v[2:3], v[12:13]
	v_add_f64 v[30:31], v[30:31], v[40:41]
	v_fma_f64 v[2:3], v[4:5], v[10:11], v[2:3]
	v_add_f64 v[28:29], v[2:3], v[28:29]
	ds_read_b128 v[2:5], v25 offset:2128
	s_waitcnt lgkmcnt(0)
	v_mul_f64 v[40:41], v[4:5], v[8:9]
	v_mul_f64 v[8:9], v[2:3], v[8:9]
	v_fma_f64 v[40:41], v[2:3], v[6:7], -v[40:41]
	v_fma_f64 v[6:7], v[4:5], v[6:7], v[8:9]
	v_add_f64 v[32:33], v[32:33], v[40:41]
	v_add_f64 v[34:35], v[6:7], v[34:35]
	v_mul_f64 v[6:7], v[4:5], v[12:13]
	v_fma_f64 v[6:7], v[2:3], v[10:11], -v[6:7]
	v_mul_f64 v[2:3], v[2:3], v[12:13]
	v_add_f64 v[14:15], v[14:15], v[6:7]
	v_fma_f64 v[2:3], v[4:5], v[10:11], v[2:3]
	;; [unrolled: 31-line block ×3, first 2 shown]
	v_add_f64 v[50:51], v[2:3], v[16:17]
	ds_read_b128 v[2:5], v25 offset:112
	ds_read_b128 v[6:9], v24 offset:3584
	;; [unrolled: 1-line block ×4, first 2 shown]
	s_waitcnt lgkmcnt(0)
	s_barrier
	v_mul_f64 v[10:11], v[4:5], v[8:9]
	v_mul_f64 v[12:13], v[2:3], v[8:9]
	v_fma_f64 v[10:11], v[2:3], v[6:7], -v[10:11]
	v_fma_f64 v[12:13], v[4:5], v[6:7], v[12:13]
	v_add_f64 v[14:15], v[36:37], v[10:11]
	v_mul_f64 v[10:11], v[4:5], v[30:31]
	v_add_f64 v[16:17], v[12:13], v[38:39]
	v_fma_f64 v[10:11], v[2:3], v[28:29], -v[10:11]
	v_mul_f64 v[2:3], v[2:3], v[30:31]
	v_fma_f64 v[4:5], v[4:5], v[28:29], v[2:3]
	v_add_f64 v[2:3], v[40:41], v[10:11]
	v_mul_f64 v[10:11], v[34:35], v[8:9]
	v_mul_f64 v[8:9], v[32:33], v[8:9]
	v_add_f64 v[4:5], v[4:5], v[42:43]
	v_fma_f64 v[10:11], v[32:33], v[6:7], -v[10:11]
	v_fma_f64 v[6:7], v[34:35], v[6:7], v[8:9]
	v_mul_f64 v[8:9], v[32:33], v[30:31]
	v_add_f64 v[10:11], v[44:45], v[10:11]
	v_add_f64 v[12:13], v[6:7], v[46:47]
	v_mul_f64 v[6:7], v[34:35], v[30:31]
	v_fma_f64 v[8:9], v[34:35], v[28:29], v[8:9]
	v_fma_f64 v[6:7], v[32:33], v[28:29], -v[6:7]
	v_add_f64 v[8:9], v[8:9], v[50:51]
	v_mov_b32_e32 v29, s7
	v_mov_b32_e32 v28, s6
	v_cmp_le_u64_e32 vcc, s[12:13], v[28:29]
	v_add_f64 v[6:7], v[48:49], v[6:7]
	s_cbranch_vccz .LBB1180_2
	s_branch .LBB1180_4
.LBB1180_3:
	v_mov_b32_e32 v14, 0
	v_mov_b32_e32 v16, 0
	;; [unrolled: 1-line block ×16, first 2 shown]
.LBB1180_4:
	s_load_dwordx4 s[12:15], s[4:5], 0x48
	s_load_dword s6, s[4:5], 0x0
	v_add_u32_e32 v18, s10, v1
	v_ashrrev_i32_e32 v1, 31, v18
	v_add_u32_e32 v0, s9, v0
	s_waitcnt lgkmcnt(0)
	s_mul_i32 s1, s15, s8
	s_mul_hi_u32 s2, s14, s8
	s_add_i32 s1, s2, s1
	v_mul_lo_u32 v1, s12, v1
	v_mul_lo_u32 v21, s13, v18
	v_mad_u64_u32 v[19:20], s[2:3], s12, v18, 0
	s_mul_i32 s0, s14, s8
	s_lshl_b64 s[0:1], s[0:1], 4
	v_add3_u32 v20, v20, v1, v21
	s_add_u32 s4, s26, s0
	v_lshlrev_b64 v[19:20], 4, v[19:20]
	s_addc_u32 s5, s27, s1
	v_mov_b32_e32 v1, s5
	v_add_co_u32_e64 v19, s[0:1], s4, v19
	v_addc_co_u32_e64 v20, s[0:1], v1, v20, s[0:1]
	v_cmp_gt_i32_e32 vcc, s6, v18
	v_cmp_le_i32_e64 s[0:1], v0, v18
	s_and_b64 s[0:1], vcc, s[0:1]
	s_and_saveexec_b64 s[2:3], s[0:1]
	s_cbranch_execz .LBB1180_6
; %bb.5:
	v_ashrrev_i32_e32 v1, 31, v0
	v_lshlrev_b64 v[21:22], 4, v[0:1]
	v_xor_b32_e32 v15, 0x80000000, v15
	v_add_co_u32_e64 v21, s[0:1], v19, v21
	v_xor_b32_e32 v17, 0x80000000, v17
	v_addc_co_u32_e64 v22, s[0:1], v20, v22, s[0:1]
	global_store_dwordx4 v[21:22], v[14:17], off
.LBB1180_6:
	s_or_b64 exec, exec, s[2:3]
	v_add_u32_e32 v14, 16, v0
	v_cmp_le_i32_e64 s[0:1], v14, v18
	s_and_b64 s[2:3], vcc, s[0:1]
	s_and_saveexec_b64 s[0:1], s[2:3]
	s_cbranch_execz .LBB1180_8
; %bb.7:
	v_ashrrev_i32_e32 v15, 31, v14
	v_lshlrev_b64 v[15:16], 4, v[14:15]
	v_xor_b32_e32 v3, 0x80000000, v3
	v_add_co_u32_e32 v15, vcc, v19, v15
	v_xor_b32_e32 v5, 0x80000000, v5
	v_addc_co_u32_e32 v16, vcc, v20, v16, vcc
	global_store_dwordx4 v[15:16], v[2:5], off
.LBB1180_8:
	s_or_b64 exec, exec, s[0:1]
	v_add_u32_e32 v4, 16, v18
	v_ashrrev_i32_e32 v1, 31, v4
	v_mul_lo_u32 v3, s12, v1
	v_mul_lo_u32 v5, s13, v4
	v_mad_u64_u32 v[1:2], s[0:1], s12, v4, 0
	v_cmp_gt_i32_e32 vcc, s6, v4
	v_add3_u32 v2, v2, v3, v5
	v_lshlrev_b64 v[2:3], 4, v[1:2]
	v_mov_b32_e32 v1, s5
	v_add_co_u32_e64 v2, s[0:1], s4, v2
	v_addc_co_u32_e64 v3, s[0:1], v1, v3, s[0:1]
	v_cmp_le_i32_e64 s[0:1], v0, v4
	s_and_b64 s[0:1], vcc, s[0:1]
	s_and_saveexec_b64 s[2:3], s[0:1]
	s_cbranch_execz .LBB1180_10
; %bb.9:
	v_ashrrev_i32_e32 v1, 31, v0
	v_lshlrev_b64 v[0:1], 4, v[0:1]
	v_xor_b32_e32 v11, 0x80000000, v11
	v_add_co_u32_e64 v0, s[0:1], v2, v0
	v_xor_b32_e32 v13, 0x80000000, v13
	v_addc_co_u32_e64 v1, s[0:1], v3, v1, s[0:1]
	global_store_dwordx4 v[0:1], v[10:13], off
.LBB1180_10:
	s_or_b64 exec, exec, s[2:3]
	v_cmp_le_i32_e64 s[0:1], v14, v4
	s_and_b64 s[0:1], vcc, s[0:1]
	s_and_saveexec_b64 s[2:3], s[0:1]
	s_cbranch_execz .LBB1180_12
; %bb.11:
	v_ashrrev_i32_e32 v15, 31, v14
	v_lshlrev_b64 v[0:1], 4, v[14:15]
	v_xor_b32_e32 v7, 0x80000000, v7
	v_add_co_u32_e32 v0, vcc, v2, v0
	v_xor_b32_e32 v9, 0x80000000, v9
	v_addc_co_u32_e32 v1, vcc, v3, v1, vcc
	global_store_dwordx4 v[0:1], v[6:9], off
.LBB1180_12:
	s_endpgm
	.section	.rodata,"a",@progbits
	.p2align	6, 0x0
	.amdhsa_kernel _ZL37rocblas_syrkx_herkx_restricted_kernelIl19rocblas_complex_numIdELi16ELi32ELi8ELin1ELi0ELb0ELc78ELc85EKS1_S1_EviT_PT9_S3_lS5_S3_lPT10_S3_li
		.amdhsa_group_segment_fixed_size 8192
		.amdhsa_private_segment_fixed_size 0
		.amdhsa_kernarg_size 92
		.amdhsa_user_sgpr_count 6
		.amdhsa_user_sgpr_private_segment_buffer 1
		.amdhsa_user_sgpr_dispatch_ptr 0
		.amdhsa_user_sgpr_queue_ptr 0
		.amdhsa_user_sgpr_kernarg_segment_ptr 1
		.amdhsa_user_sgpr_dispatch_id 0
		.amdhsa_user_sgpr_flat_scratch_init 0
		.amdhsa_user_sgpr_private_segment_size 0
		.amdhsa_uses_dynamic_stack 0
		.amdhsa_system_sgpr_private_segment_wavefront_offset 0
		.amdhsa_system_sgpr_workgroup_id_x 1
		.amdhsa_system_sgpr_workgroup_id_y 1
		.amdhsa_system_sgpr_workgroup_id_z 1
		.amdhsa_system_sgpr_workgroup_info 0
		.amdhsa_system_vgpr_workitem_id 1
		.amdhsa_next_free_vgpr 54
		.amdhsa_next_free_sgpr 61
		.amdhsa_reserve_vcc 1
		.amdhsa_reserve_flat_scratch 0
		.amdhsa_float_round_mode_32 0
		.amdhsa_float_round_mode_16_64 0
		.amdhsa_float_denorm_mode_32 3
		.amdhsa_float_denorm_mode_16_64 3
		.amdhsa_dx10_clamp 1
		.amdhsa_ieee_mode 1
		.amdhsa_fp16_overflow 0
		.amdhsa_exception_fp_ieee_invalid_op 0
		.amdhsa_exception_fp_denorm_src 0
		.amdhsa_exception_fp_ieee_div_zero 0
		.amdhsa_exception_fp_ieee_overflow 0
		.amdhsa_exception_fp_ieee_underflow 0
		.amdhsa_exception_fp_ieee_inexact 0
		.amdhsa_exception_int_div_zero 0
	.end_amdhsa_kernel
	.section	.text._ZL37rocblas_syrkx_herkx_restricted_kernelIl19rocblas_complex_numIdELi16ELi32ELi8ELin1ELi0ELb0ELc78ELc85EKS1_S1_EviT_PT9_S3_lS5_S3_lPT10_S3_li,"axG",@progbits,_ZL37rocblas_syrkx_herkx_restricted_kernelIl19rocblas_complex_numIdELi16ELi32ELi8ELin1ELi0ELb0ELc78ELc85EKS1_S1_EviT_PT9_S3_lS5_S3_lPT10_S3_li,comdat
.Lfunc_end1180:
	.size	_ZL37rocblas_syrkx_herkx_restricted_kernelIl19rocblas_complex_numIdELi16ELi32ELi8ELin1ELi0ELb0ELc78ELc85EKS1_S1_EviT_PT9_S3_lS5_S3_lPT10_S3_li, .Lfunc_end1180-_ZL37rocblas_syrkx_herkx_restricted_kernelIl19rocblas_complex_numIdELi16ELi32ELi8ELin1ELi0ELb0ELc78ELc85EKS1_S1_EviT_PT9_S3_lS5_S3_lPT10_S3_li
                                        ; -- End function
	.set _ZL37rocblas_syrkx_herkx_restricted_kernelIl19rocblas_complex_numIdELi16ELi32ELi8ELin1ELi0ELb0ELc78ELc85EKS1_S1_EviT_PT9_S3_lS5_S3_lPT10_S3_li.num_vgpr, 54
	.set _ZL37rocblas_syrkx_herkx_restricted_kernelIl19rocblas_complex_numIdELi16ELi32ELi8ELin1ELi0ELb0ELc78ELc85EKS1_S1_EviT_PT9_S3_lS5_S3_lPT10_S3_li.num_agpr, 0
	.set _ZL37rocblas_syrkx_herkx_restricted_kernelIl19rocblas_complex_numIdELi16ELi32ELi8ELin1ELi0ELb0ELc78ELc85EKS1_S1_EviT_PT9_S3_lS5_S3_lPT10_S3_li.numbered_sgpr, 28
	.set _ZL37rocblas_syrkx_herkx_restricted_kernelIl19rocblas_complex_numIdELi16ELi32ELi8ELin1ELi0ELb0ELc78ELc85EKS1_S1_EviT_PT9_S3_lS5_S3_lPT10_S3_li.num_named_barrier, 0
	.set _ZL37rocblas_syrkx_herkx_restricted_kernelIl19rocblas_complex_numIdELi16ELi32ELi8ELin1ELi0ELb0ELc78ELc85EKS1_S1_EviT_PT9_S3_lS5_S3_lPT10_S3_li.private_seg_size, 0
	.set _ZL37rocblas_syrkx_herkx_restricted_kernelIl19rocblas_complex_numIdELi16ELi32ELi8ELin1ELi0ELb0ELc78ELc85EKS1_S1_EviT_PT9_S3_lS5_S3_lPT10_S3_li.uses_vcc, 1
	.set _ZL37rocblas_syrkx_herkx_restricted_kernelIl19rocblas_complex_numIdELi16ELi32ELi8ELin1ELi0ELb0ELc78ELc85EKS1_S1_EviT_PT9_S3_lS5_S3_lPT10_S3_li.uses_flat_scratch, 0
	.set _ZL37rocblas_syrkx_herkx_restricted_kernelIl19rocblas_complex_numIdELi16ELi32ELi8ELin1ELi0ELb0ELc78ELc85EKS1_S1_EviT_PT9_S3_lS5_S3_lPT10_S3_li.has_dyn_sized_stack, 0
	.set _ZL37rocblas_syrkx_herkx_restricted_kernelIl19rocblas_complex_numIdELi16ELi32ELi8ELin1ELi0ELb0ELc78ELc85EKS1_S1_EviT_PT9_S3_lS5_S3_lPT10_S3_li.has_recursion, 0
	.set _ZL37rocblas_syrkx_herkx_restricted_kernelIl19rocblas_complex_numIdELi16ELi32ELi8ELin1ELi0ELb0ELc78ELc85EKS1_S1_EviT_PT9_S3_lS5_S3_lPT10_S3_li.has_indirect_call, 0
	.section	.AMDGPU.csdata,"",@progbits
; Kernel info:
; codeLenInByte = 2884
; TotalNumSgprs: 32
; NumVgprs: 54
; ScratchSize: 0
; MemoryBound: 0
; FloatMode: 240
; IeeeMode: 1
; LDSByteSize: 8192 bytes/workgroup (compile time only)
; SGPRBlocks: 8
; VGPRBlocks: 13
; NumSGPRsForWavesPerEU: 65
; NumVGPRsForWavesPerEU: 54
; Occupancy: 4
; WaveLimiterHint : 1
; COMPUTE_PGM_RSRC2:SCRATCH_EN: 0
; COMPUTE_PGM_RSRC2:USER_SGPR: 6
; COMPUTE_PGM_RSRC2:TRAP_HANDLER: 0
; COMPUTE_PGM_RSRC2:TGID_X_EN: 1
; COMPUTE_PGM_RSRC2:TGID_Y_EN: 1
; COMPUTE_PGM_RSRC2:TGID_Z_EN: 1
; COMPUTE_PGM_RSRC2:TIDIG_COMP_CNT: 1
	.section	.text._ZL37rocblas_syrkx_herkx_restricted_kernelIl19rocblas_complex_numIdELi16ELi32ELi8ELb1ELb0ELc84ELc76EKS1_S1_EviT_T0_PT8_S3_lS6_S3_lS4_PT9_S3_li,"axG",@progbits,_ZL37rocblas_syrkx_herkx_restricted_kernelIl19rocblas_complex_numIdELi16ELi32ELi8ELb1ELb0ELc84ELc76EKS1_S1_EviT_T0_PT8_S3_lS6_S3_lS4_PT9_S3_li,comdat
	.globl	_ZL37rocblas_syrkx_herkx_restricted_kernelIl19rocblas_complex_numIdELi16ELi32ELi8ELb1ELb0ELc84ELc76EKS1_S1_EviT_T0_PT8_S3_lS6_S3_lS4_PT9_S3_li ; -- Begin function _ZL37rocblas_syrkx_herkx_restricted_kernelIl19rocblas_complex_numIdELi16ELi32ELi8ELb1ELb0ELc84ELc76EKS1_S1_EviT_T0_PT8_S3_lS6_S3_lS4_PT9_S3_li
	.p2align	8
	.type	_ZL37rocblas_syrkx_herkx_restricted_kernelIl19rocblas_complex_numIdELi16ELi32ELi8ELb1ELb0ELc84ELc76EKS1_S1_EviT_T0_PT8_S3_lS6_S3_lS4_PT9_S3_li,@function
_ZL37rocblas_syrkx_herkx_restricted_kernelIl19rocblas_complex_numIdELi16ELi32ELi8ELb1ELb0ELc84ELc76EKS1_S1_EviT_T0_PT8_S3_lS6_S3_lS4_PT9_S3_li: ; @_ZL37rocblas_syrkx_herkx_restricted_kernelIl19rocblas_complex_numIdELi16ELi32ELi8ELb1ELb0ELc84ELc76EKS1_S1_EviT_T0_PT8_S3_lS6_S3_lS4_PT9_S3_li
; %bb.0:
	s_load_dwordx16 s[12:27], s[4:5], 0x8
	s_lshl_b32 s2, s6, 5
	s_lshl_b32 s3, s7, 5
	s_waitcnt lgkmcnt(0)
	v_cmp_lt_i64_e64 s[0:1], s[12:13], 1
	s_and_b64 vcc, exec, s[0:1]
	s_cbranch_vccnz .LBB1181_3
; %bb.1:
	v_lshl_add_u32 v7, v1, 4, v0
	v_lshrrev_b32_e32 v8, 3, v7
	v_add_u32_e32 v4, s3, v8
	v_and_b32_e32 v2, 7, v0
	v_ashrrev_i32_e32 v5, 31, v4
	v_mov_b32_e32 v3, 0
	v_mul_lo_u32 v9, s26, v5
	v_mul_lo_u32 v10, s27, v4
	v_mad_u64_u32 v[4:5], s[0:1], s26, v4, v[2:3]
	v_lshlrev_b32_e32 v2, 4, v2
	v_and_b32_e32 v11, 31, v7
	v_lshl_or_b32 v2, v8, 7, v2
	v_add_u32_e32 v23, 0x1000, v2
	v_mov_b32_e32 v2, 0x1000
	v_add_u32_e32 v8, s2, v11
	v_lshrrev_b32_e32 v6, 5, v7
	v_mov_b32_e32 v7, v3
	v_lshlrev_b32_e32 v3, 4, v11
	v_lshl_add_u32 v25, v1, 7, v2
	v_ashrrev_i32_e32 v2, 31, v8
	v_add3_u32 v5, v10, v5, v9
	v_lshl_or_b32 v22, v6, 9, v3
	v_mul_lo_u32 v9, s20, v2
	v_mad_u64_u32 v[2:3], s[6:7], s20, v8, v[6:7]
	v_mul_lo_u32 v6, s21, v8
	s_load_dwordx2 s[0:1], s[4:5], 0x48
	s_mul_i32 s9, s23, s8
	s_mul_hi_u32 s10, s22, s8
	s_add_i32 s7, s10, s9
	s_mul_i32 s6, s22, s8
	v_add3_u32 v3, v6, v3, v9
	s_lshl_b64 s[6:7], s[6:7], 4
	v_lshlrev_b64 v[2:3], 4, v[2:3]
	s_add_u32 s6, s18, s6
	s_addc_u32 s7, s19, s7
	v_add_co_u32_e32 v2, vcc, s6, v2
	s_waitcnt lgkmcnt(0)
	s_mul_i32 s1, s1, s8
	s_mul_hi_u32 s6, s0, s8
	v_mov_b32_e32 v6, s7
	s_add_i32 s1, s6, s1
	s_mul_i32 s0, s0, s8
	v_addc_co_u32_e32 v3, vcc, v6, v3, vcc
	s_lshl_b64 s[0:1], s[0:1], 4
	v_add_co_u32_e32 v2, vcc, 8, v2
	v_lshlrev_b64 v[4:5], 4, v[4:5]
	s_add_u32 s0, s24, s0
	v_addc_co_u32_e32 v3, vcc, 0, v3, vcc
	s_addc_u32 s1, s25, s1
	v_mov_b32_e32 v6, s1
	v_add_co_u32_e32 v4, vcc, s0, v4
	v_addc_co_u32_e32 v5, vcc, v6, v5, vcc
	v_add_co_u32_e32 v4, vcc, 8, v4
	v_mov_b32_e32 v10, 0
	v_mov_b32_e32 v12, 0
	;; [unrolled: 1-line block ×8, first 2 shown]
	v_lshlrev_b32_e32 v24, 4, v0
	v_addc_co_u32_e32 v5, vcc, 0, v5, vcc
	v_mov_b32_e32 v11, 0
	v_mov_b32_e32 v13, 0
	;; [unrolled: 1-line block ×8, first 2 shown]
	s_mov_b64 s[0:1], 0
.LBB1181_2:                             ; =>This Inner Loop Header: Depth=1
	global_load_dwordx4 v[26:29], v[2:3], off offset:-8
	s_add_u32 s0, s0, 8
	v_add_co_u32_e32 v2, vcc, 0x80, v2
	s_addc_u32 s1, s1, 0
	v_addc_co_u32_e32 v3, vcc, 0, v3, vcc
	s_waitcnt vmcnt(0)
	ds_write_b128 v22, v[26:29]
	global_load_dwordx4 v[26:29], v[4:5], off offset:-8
	v_add_co_u32_e32 v4, vcc, 0x80, v4
	v_addc_co_u32_e32 v5, vcc, 0, v5, vcc
	s_waitcnt vmcnt(0)
	ds_write_b128 v23, v[26:29]
	s_waitcnt lgkmcnt(0)
	s_barrier
	ds_read_b128 v[26:29], v25
	ds_read_b128 v[30:33], v25 offset:16
	ds_read_b128 v[34:37], v25 offset:32
	;; [unrolled: 1-line block ×3, first 2 shown]
	ds_read_b128 v[42:45], v24
	s_waitcnt lgkmcnt(0)
	v_mul_f64 v[46:47], v[28:29], v[44:45]
	v_mul_f64 v[48:49], v[26:27], v[44:45]
	v_fma_f64 v[46:47], v[26:27], v[42:43], -v[46:47]
	v_fma_f64 v[48:49], v[28:29], v[42:43], v[48:49]
	v_add_f64 v[46:47], v[14:15], v[46:47]
	v_add_f64 v[48:49], v[48:49], v[16:17]
	ds_read_b128 v[14:17], v24 offset:256
	s_waitcnt lgkmcnt(0)
	v_mul_f64 v[50:51], v[28:29], v[16:17]
	v_fma_f64 v[50:51], v[26:27], v[14:15], -v[50:51]
	v_mul_f64 v[26:27], v[26:27], v[16:17]
	v_fma_f64 v[26:27], v[28:29], v[14:15], v[26:27]
	v_add_f64 v[28:29], v[6:7], v[50:51]
	v_add_f64 v[26:27], v[26:27], v[8:9]
	ds_read_b128 v[6:9], v25 offset:2048
	s_waitcnt lgkmcnt(0)
	v_mul_f64 v[50:51], v[8:9], v[44:45]
	v_mul_f64 v[44:45], v[6:7], v[44:45]
	v_fma_f64 v[50:51], v[6:7], v[42:43], -v[50:51]
	v_fma_f64 v[42:43], v[8:9], v[42:43], v[44:45]
	v_add_f64 v[18:19], v[18:19], v[50:51]
	v_add_f64 v[20:21], v[42:43], v[20:21]
	v_mul_f64 v[42:43], v[8:9], v[16:17]
	v_fma_f64 v[42:43], v[6:7], v[14:15], -v[42:43]
	v_mul_f64 v[6:7], v[6:7], v[16:17]
	v_add_f64 v[42:43], v[12:13], v[42:43]
	v_fma_f64 v[6:7], v[8:9], v[14:15], v[6:7]
	v_add_f64 v[44:45], v[6:7], v[10:11]
	ds_read_b128 v[6:9], v24 offset:512
	s_waitcnt lgkmcnt(0)
	v_mul_f64 v[10:11], v[32:33], v[8:9]
	v_mul_f64 v[12:13], v[30:31], v[8:9]
	v_fma_f64 v[10:11], v[30:31], v[6:7], -v[10:11]
	v_fma_f64 v[12:13], v[32:33], v[6:7], v[12:13]
	v_add_f64 v[46:47], v[46:47], v[10:11]
	v_add_f64 v[48:49], v[12:13], v[48:49]
	ds_read_b128 v[10:13], v24 offset:768
	s_waitcnt lgkmcnt(0)
	v_mul_f64 v[14:15], v[32:33], v[12:13]
	v_mul_f64 v[16:17], v[30:31], v[12:13]
	v_fma_f64 v[14:15], v[30:31], v[10:11], -v[14:15]
	v_fma_f64 v[16:17], v[32:33], v[10:11], v[16:17]
	v_add_f64 v[28:29], v[28:29], v[14:15]
	v_add_f64 v[26:27], v[16:17], v[26:27]
	ds_read_b128 v[14:17], v25 offset:2064
	s_waitcnt lgkmcnt(0)
	v_mul_f64 v[30:31], v[16:17], v[8:9]
	v_mul_f64 v[8:9], v[14:15], v[8:9]
	v_fma_f64 v[30:31], v[14:15], v[6:7], -v[30:31]
	v_fma_f64 v[6:7], v[16:17], v[6:7], v[8:9]
	v_mul_f64 v[8:9], v[14:15], v[12:13]
	v_add_f64 v[18:19], v[18:19], v[30:31]
	v_add_f64 v[20:21], v[6:7], v[20:21]
	v_mul_f64 v[6:7], v[16:17], v[12:13]
	v_fma_f64 v[8:9], v[16:17], v[10:11], v[8:9]
	v_fma_f64 v[6:7], v[14:15], v[10:11], -v[6:7]
	v_add_f64 v[32:33], v[8:9], v[44:45]
	v_add_f64 v[30:31], v[42:43], v[6:7]
	ds_read_b128 v[6:9], v24 offset:1024
	s_waitcnt lgkmcnt(0)
	v_mul_f64 v[10:11], v[36:37], v[8:9]
	v_mul_f64 v[12:13], v[34:35], v[8:9]
	v_fma_f64 v[10:11], v[34:35], v[6:7], -v[10:11]
	v_fma_f64 v[12:13], v[36:37], v[6:7], v[12:13]
	v_add_f64 v[42:43], v[46:47], v[10:11]
	v_add_f64 v[44:45], v[12:13], v[48:49]
	ds_read_b128 v[10:13], v24 offset:1280
	s_waitcnt lgkmcnt(0)
	v_mul_f64 v[14:15], v[36:37], v[12:13]
	v_mul_f64 v[16:17], v[34:35], v[12:13]
	v_fma_f64 v[14:15], v[34:35], v[10:11], -v[14:15]
	v_fma_f64 v[16:17], v[36:37], v[10:11], v[16:17]
	v_add_f64 v[28:29], v[28:29], v[14:15]
	v_add_f64 v[26:27], v[16:17], v[26:27]
	ds_read_b128 v[14:17], v25 offset:2080
	s_waitcnt lgkmcnt(0)
	v_mul_f64 v[34:35], v[16:17], v[8:9]
	v_mul_f64 v[8:9], v[14:15], v[8:9]
	v_fma_f64 v[34:35], v[14:15], v[6:7], -v[34:35]
	v_fma_f64 v[6:7], v[16:17], v[6:7], v[8:9]
	v_mul_f64 v[8:9], v[14:15], v[12:13]
	v_add_f64 v[18:19], v[18:19], v[34:35]
	v_add_f64 v[20:21], v[6:7], v[20:21]
	v_mul_f64 v[6:7], v[16:17], v[12:13]
	v_fma_f64 v[8:9], v[16:17], v[10:11], v[8:9]
	v_fma_f64 v[6:7], v[14:15], v[10:11], -v[6:7]
	v_add_f64 v[32:33], v[8:9], v[32:33]
	v_add_f64 v[30:31], v[30:31], v[6:7]
	ds_read_b128 v[6:9], v24 offset:1536
	s_waitcnt lgkmcnt(0)
	v_mul_f64 v[10:11], v[40:41], v[8:9]
	v_mul_f64 v[12:13], v[38:39], v[8:9]
	v_fma_f64 v[10:11], v[38:39], v[6:7], -v[10:11]
	v_fma_f64 v[12:13], v[40:41], v[6:7], v[12:13]
	v_add_f64 v[34:35], v[42:43], v[10:11]
	v_add_f64 v[36:37], v[12:13], v[44:45]
	ds_read_b128 v[10:13], v24 offset:1792
	s_waitcnt lgkmcnt(0)
	v_mul_f64 v[14:15], v[40:41], v[12:13]
	v_mul_f64 v[16:17], v[38:39], v[12:13]
	v_fma_f64 v[14:15], v[38:39], v[10:11], -v[14:15]
	v_fma_f64 v[16:17], v[40:41], v[10:11], v[16:17]
	v_add_f64 v[28:29], v[28:29], v[14:15]
	v_add_f64 v[26:27], v[16:17], v[26:27]
	ds_read_b128 v[14:17], v25 offset:2096
	s_waitcnt lgkmcnt(0)
	v_mul_f64 v[38:39], v[16:17], v[8:9]
	v_mul_f64 v[8:9], v[14:15], v[8:9]
	v_fma_f64 v[38:39], v[14:15], v[6:7], -v[38:39]
	v_fma_f64 v[6:7], v[16:17], v[6:7], v[8:9]
	v_mul_f64 v[8:9], v[14:15], v[12:13]
	v_add_f64 v[18:19], v[18:19], v[38:39]
	v_add_f64 v[20:21], v[6:7], v[20:21]
	v_mul_f64 v[6:7], v[16:17], v[12:13]
	v_fma_f64 v[8:9], v[16:17], v[10:11], v[8:9]
	v_fma_f64 v[6:7], v[14:15], v[10:11], -v[6:7]
	v_add_f64 v[32:33], v[8:9], v[32:33]
	v_add_f64 v[30:31], v[30:31], v[6:7]
	ds_read_b128 v[6:9], v25 offset:64
	ds_read_b128 v[10:13], v24 offset:2048
	s_waitcnt lgkmcnt(0)
	v_mul_f64 v[14:15], v[8:9], v[12:13]
	v_mul_f64 v[16:17], v[6:7], v[12:13]
	v_fma_f64 v[14:15], v[6:7], v[10:11], -v[14:15]
	v_fma_f64 v[16:17], v[8:9], v[10:11], v[16:17]
	v_add_f64 v[34:35], v[34:35], v[14:15]
	v_add_f64 v[36:37], v[16:17], v[36:37]
	ds_read_b128 v[14:17], v24 offset:2304
	s_waitcnt lgkmcnt(0)
	v_mul_f64 v[38:39], v[8:9], v[16:17]
	v_fma_f64 v[38:39], v[6:7], v[14:15], -v[38:39]
	v_mul_f64 v[6:7], v[6:7], v[16:17]
	v_add_f64 v[28:29], v[28:29], v[38:39]
	v_fma_f64 v[6:7], v[8:9], v[14:15], v[6:7]
	v_add_f64 v[26:27], v[6:7], v[26:27]
	ds_read_b128 v[6:9], v25 offset:2112
	s_waitcnt lgkmcnt(0)
	v_mul_f64 v[38:39], v[8:9], v[12:13]
	v_mul_f64 v[12:13], v[6:7], v[12:13]
	v_fma_f64 v[38:39], v[6:7], v[10:11], -v[38:39]
	v_fma_f64 v[10:11], v[8:9], v[10:11], v[12:13]
	v_add_f64 v[18:19], v[18:19], v[38:39]
	v_add_f64 v[20:21], v[10:11], v[20:21]
	v_mul_f64 v[10:11], v[8:9], v[16:17]
	v_fma_f64 v[10:11], v[6:7], v[14:15], -v[10:11]
	v_mul_f64 v[6:7], v[6:7], v[16:17]
	v_add_f64 v[30:31], v[30:31], v[10:11]
	v_fma_f64 v[6:7], v[8:9], v[14:15], v[6:7]
	v_add_f64 v[32:33], v[6:7], v[32:33]
	ds_read_b128 v[6:9], v25 offset:80
	ds_read_b128 v[10:13], v24 offset:2560
	s_waitcnt lgkmcnt(0)
	v_mul_f64 v[14:15], v[8:9], v[12:13]
	v_mul_f64 v[16:17], v[6:7], v[12:13]
	v_fma_f64 v[14:15], v[6:7], v[10:11], -v[14:15]
	v_fma_f64 v[16:17], v[8:9], v[10:11], v[16:17]
	v_add_f64 v[34:35], v[34:35], v[14:15]
	v_add_f64 v[36:37], v[16:17], v[36:37]
	ds_read_b128 v[14:17], v24 offset:2816
	s_waitcnt lgkmcnt(0)
	v_mul_f64 v[38:39], v[8:9], v[16:17]
	v_fma_f64 v[38:39], v[6:7], v[14:15], -v[38:39]
	v_mul_f64 v[6:7], v[6:7], v[16:17]
	v_add_f64 v[28:29], v[28:29], v[38:39]
	v_fma_f64 v[6:7], v[8:9], v[14:15], v[6:7]
	v_add_f64 v[26:27], v[6:7], v[26:27]
	ds_read_b128 v[6:9], v25 offset:2128
	s_waitcnt lgkmcnt(0)
	v_mul_f64 v[38:39], v[8:9], v[12:13]
	v_mul_f64 v[12:13], v[6:7], v[12:13]
	v_fma_f64 v[38:39], v[6:7], v[10:11], -v[38:39]
	v_fma_f64 v[10:11], v[8:9], v[10:11], v[12:13]
	v_add_f64 v[18:19], v[18:19], v[38:39]
	v_add_f64 v[20:21], v[10:11], v[20:21]
	v_mul_f64 v[10:11], v[8:9], v[16:17]
	v_fma_f64 v[10:11], v[6:7], v[14:15], -v[10:11]
	v_mul_f64 v[6:7], v[6:7], v[16:17]
	v_add_f64 v[30:31], v[30:31], v[10:11]
	v_fma_f64 v[6:7], v[8:9], v[14:15], v[6:7]
	v_add_f64 v[32:33], v[6:7], v[32:33]
	ds_read_b128 v[6:9], v25 offset:96
	ds_read_b128 v[10:13], v24 offset:3072
	s_waitcnt lgkmcnt(0)
	v_mul_f64 v[14:15], v[8:9], v[12:13]
	v_mul_f64 v[16:17], v[6:7], v[12:13]
	v_fma_f64 v[14:15], v[6:7], v[10:11], -v[14:15]
	v_fma_f64 v[16:17], v[8:9], v[10:11], v[16:17]
	v_add_f64 v[34:35], v[34:35], v[14:15]
	v_add_f64 v[36:37], v[16:17], v[36:37]
	ds_read_b128 v[14:17], v24 offset:3328
	s_waitcnt lgkmcnt(0)
	v_mul_f64 v[38:39], v[8:9], v[16:17]
	v_fma_f64 v[38:39], v[6:7], v[14:15], -v[38:39]
	v_mul_f64 v[6:7], v[6:7], v[16:17]
	v_add_f64 v[38:39], v[28:29], v[38:39]
	v_fma_f64 v[6:7], v[8:9], v[14:15], v[6:7]
	v_add_f64 v[40:41], v[6:7], v[26:27]
	ds_read_b128 v[6:9], v25 offset:2144
	s_waitcnt lgkmcnt(0)
	v_mul_f64 v[26:27], v[8:9], v[12:13]
	v_mul_f64 v[12:13], v[6:7], v[12:13]
	v_fma_f64 v[26:27], v[6:7], v[10:11], -v[26:27]
	v_fma_f64 v[10:11], v[8:9], v[10:11], v[12:13]
	v_add_f64 v[18:19], v[18:19], v[26:27]
	v_add_f64 v[20:21], v[10:11], v[20:21]
	v_mul_f64 v[10:11], v[8:9], v[16:17]
	v_fma_f64 v[10:11], v[6:7], v[14:15], -v[10:11]
	v_mul_f64 v[6:7], v[6:7], v[16:17]
	v_add_f64 v[42:43], v[30:31], v[10:11]
	v_fma_f64 v[6:7], v[8:9], v[14:15], v[6:7]
	v_add_f64 v[44:45], v[6:7], v[32:33]
	ds_read_b128 v[6:9], v25 offset:112
	ds_read_b128 v[10:13], v24 offset:3584
	;; [unrolled: 1-line block ×3, first 2 shown]
	s_waitcnt lgkmcnt(1)
	v_mul_f64 v[14:15], v[8:9], v[12:13]
	s_waitcnt lgkmcnt(0)
	v_mul_f64 v[30:31], v[8:9], v[28:29]
	v_mul_f64 v[16:17], v[6:7], v[12:13]
	v_fma_f64 v[14:15], v[6:7], v[10:11], -v[14:15]
	v_fma_f64 v[30:31], v[6:7], v[26:27], -v[30:31]
	v_mul_f64 v[6:7], v[6:7], v[28:29]
	v_fma_f64 v[16:17], v[8:9], v[10:11], v[16:17]
	v_add_f64 v[14:15], v[34:35], v[14:15]
	v_fma_f64 v[8:9], v[8:9], v[26:27], v[6:7]
	v_add_f64 v[6:7], v[38:39], v[30:31]
	ds_read_b128 v[30:33], v25 offset:2160
	v_add_f64 v[16:17], v[16:17], v[36:37]
	s_waitcnt lgkmcnt(0)
	s_barrier
	v_mul_f64 v[34:35], v[32:33], v[12:13]
	v_mul_f64 v[12:13], v[30:31], v[12:13]
	v_add_f64 v[8:9], v[8:9], v[40:41]
	v_fma_f64 v[34:35], v[30:31], v[10:11], -v[34:35]
	v_fma_f64 v[10:11], v[32:33], v[10:11], v[12:13]
	v_mul_f64 v[12:13], v[30:31], v[28:29]
	v_add_f64 v[18:19], v[18:19], v[34:35]
	v_add_f64 v[20:21], v[10:11], v[20:21]
	v_mul_f64 v[10:11], v[32:33], v[28:29]
	v_fma_f64 v[10:11], v[30:31], v[26:27], -v[10:11]
	v_fma_f64 v[26:27], v[32:33], v[26:27], v[12:13]
	v_add_f64 v[12:13], v[42:43], v[10:11]
	v_add_f64 v[10:11], v[26:27], v[44:45]
	v_mov_b32_e32 v27, s1
	v_mov_b32_e32 v26, s0
	v_cmp_le_u64_e32 vcc, s[12:13], v[26:27]
	s_cbranch_vccz .LBB1181_2
	s_branch .LBB1181_4
.LBB1181_3:
	v_mov_b32_e32 v14, 0
	v_mov_b32_e32 v16, 0
	;; [unrolled: 1-line block ×16, first 2 shown]
.LBB1181_4:
	s_load_dwordx2 s[0:1], s[4:5], 0x70
	s_load_dword s9, s[4:5], 0x0
	s_load_dwordx4 s[20:23], s[4:5], 0x60
	v_add_u32_e32 v4, s3, v1
	v_ashrrev_i32_e32 v1, 31, v4
	s_waitcnt lgkmcnt(0)
	s_mul_i32 s1, s1, s8
	s_mul_hi_u32 s4, s0, s8
	s_add_i32 s1, s4, s1
	v_mul_lo_u32 v3, s22, v1
	v_mul_lo_u32 v5, s23, v4
	v_mad_u64_u32 v[1:2], s[4:5], s22, v4, 0
	s_mul_i32 s0, s0, s8
	s_lshl_b64 s[0:1], s[0:1], 4
	v_add3_u32 v2, v2, v3, v5
	s_add_u32 s6, s20, s0
	v_lshlrev_b64 v[1:2], 4, v[1:2]
	s_addc_u32 s7, s21, s1
	v_mov_b32_e32 v3, s7
	v_add_co_u32_e32 v5, vcc, s6, v1
	v_add_u32_e32 v0, s2, v0
	v_addc_co_u32_e32 v22, vcc, v3, v2, vcc
	v_cmp_le_i32_e64 s[0:1], v4, v0
	v_cmp_gt_i32_e32 vcc, s9, v0
	s_and_b64 s[0:1], s[0:1], vcc
	s_and_saveexec_b64 s[2:3], s[0:1]
	s_cbranch_execz .LBB1181_6
; %bb.5:
	v_mul_f64 v[1:2], s[16:17], v[16:17]
	v_mul_f64 v[16:17], s[14:15], v[16:17]
	v_fma_f64 v[23:24], s[14:15], v[14:15], -v[1:2]
	v_fma_f64 v[25:26], s[16:17], v[14:15], v[16:17]
	v_ashrrev_i32_e32 v1, 31, v0
	v_lshlrev_b64 v[1:2], 4, v[0:1]
	v_add_co_u32_e64 v1, s[0:1], v5, v1
	v_addc_co_u32_e64 v2, s[0:1], v22, v2, s[0:1]
	global_store_dwordx4 v[1:2], v[23:26], off
.LBB1181_6:
	s_or_b64 exec, exec, s[2:3]
	v_add_u32_e32 v2, 16, v0
	v_cmp_le_i32_e64 s[2:3], v4, v2
	v_cmp_gt_i32_e64 s[0:1], s9, v2
	s_and_b64 s[2:3], s[2:3], s[0:1]
	s_and_saveexec_b64 s[4:5], s[2:3]
	s_cbranch_execz .LBB1181_8
; %bb.7:
	v_mul_f64 v[14:15], s[16:17], v[8:9]
	v_mul_f64 v[8:9], s[14:15], v[8:9]
	v_ashrrev_i32_e32 v3, 31, v2
	v_fma_f64 v[14:15], s[14:15], v[6:7], -v[14:15]
	v_fma_f64 v[16:17], s[16:17], v[6:7], v[8:9]
	v_lshlrev_b64 v[6:7], 4, v[2:3]
	v_add_co_u32_e64 v5, s[2:3], v5, v6
	v_addc_co_u32_e64 v6, s[2:3], v22, v7, s[2:3]
	global_store_dwordx4 v[5:6], v[14:17], off
.LBB1181_8:
	s_or_b64 exec, exec, s[4:5]
	v_add_u32_e32 v3, 16, v4
	v_ashrrev_i32_e32 v1, 31, v3
	v_mul_lo_u32 v6, s23, v3
	v_mad_u64_u32 v[4:5], s[2:3], s22, v3, 0
	v_mul_lo_u32 v1, s22, v1
	v_add3_u32 v5, v5, v1, v6
	v_lshlrev_b64 v[4:5], 4, v[4:5]
	v_mov_b32_e32 v1, s7
	v_add_co_u32_e64 v4, s[2:3], s6, v4
	v_addc_co_u32_e64 v5, s[2:3], v1, v5, s[2:3]
	v_cmp_le_i32_e64 s[2:3], v3, v0
	s_and_b64 s[4:5], s[2:3], vcc
	s_and_saveexec_b64 s[2:3], s[4:5]
	s_cbranch_execz .LBB1181_10
; %bb.9:
	v_mul_f64 v[6:7], s[16:17], v[20:21]
	v_mul_f64 v[8:9], s[14:15], v[20:21]
	v_ashrrev_i32_e32 v1, 31, v0
	v_lshlrev_b64 v[0:1], 4, v[0:1]
	v_add_co_u32_e32 v0, vcc, v4, v0
	v_addc_co_u32_e32 v1, vcc, v5, v1, vcc
	v_fma_f64 v[6:7], s[14:15], v[18:19], -v[6:7]
	v_fma_f64 v[8:9], s[16:17], v[18:19], v[8:9]
	global_store_dwordx4 v[0:1], v[6:9], off
.LBB1181_10:
	s_or_b64 exec, exec, s[2:3]
	v_cmp_le_i32_e32 vcc, v3, v2
	s_and_b64 s[0:1], vcc, s[0:1]
	s_and_saveexec_b64 s[2:3], s[0:1]
	s_cbranch_execz .LBB1181_12
; %bb.11:
	v_mul_f64 v[0:1], s[16:17], v[10:11]
	v_mul_f64 v[8:9], s[14:15], v[10:11]
	v_ashrrev_i32_e32 v3, 31, v2
	v_fma_f64 v[6:7], s[14:15], v[12:13], -v[0:1]
	v_fma_f64 v[8:9], s[16:17], v[12:13], v[8:9]
	v_lshlrev_b64 v[0:1], 4, v[2:3]
	v_add_co_u32_e32 v0, vcc, v4, v0
	v_addc_co_u32_e32 v1, vcc, v5, v1, vcc
	global_store_dwordx4 v[0:1], v[6:9], off
.LBB1181_12:
	s_endpgm
	.section	.rodata,"a",@progbits
	.p2align	6, 0x0
	.amdhsa_kernel _ZL37rocblas_syrkx_herkx_restricted_kernelIl19rocblas_complex_numIdELi16ELi32ELi8ELb1ELb0ELc84ELc76EKS1_S1_EviT_T0_PT8_S3_lS6_S3_lS4_PT9_S3_li
		.amdhsa_group_segment_fixed_size 8192
		.amdhsa_private_segment_fixed_size 0
		.amdhsa_kernarg_size 124
		.amdhsa_user_sgpr_count 6
		.amdhsa_user_sgpr_private_segment_buffer 1
		.amdhsa_user_sgpr_dispatch_ptr 0
		.amdhsa_user_sgpr_queue_ptr 0
		.amdhsa_user_sgpr_kernarg_segment_ptr 1
		.amdhsa_user_sgpr_dispatch_id 0
		.amdhsa_user_sgpr_flat_scratch_init 0
		.amdhsa_user_sgpr_private_segment_size 0
		.amdhsa_uses_dynamic_stack 0
		.amdhsa_system_sgpr_private_segment_wavefront_offset 0
		.amdhsa_system_sgpr_workgroup_id_x 1
		.amdhsa_system_sgpr_workgroup_id_y 1
		.amdhsa_system_sgpr_workgroup_id_z 1
		.amdhsa_system_sgpr_workgroup_info 0
		.amdhsa_system_vgpr_workitem_id 1
		.amdhsa_next_free_vgpr 52
		.amdhsa_next_free_sgpr 61
		.amdhsa_reserve_vcc 1
		.amdhsa_reserve_flat_scratch 0
		.amdhsa_float_round_mode_32 0
		.amdhsa_float_round_mode_16_64 0
		.amdhsa_float_denorm_mode_32 3
		.amdhsa_float_denorm_mode_16_64 3
		.amdhsa_dx10_clamp 1
		.amdhsa_ieee_mode 1
		.amdhsa_fp16_overflow 0
		.amdhsa_exception_fp_ieee_invalid_op 0
		.amdhsa_exception_fp_denorm_src 0
		.amdhsa_exception_fp_ieee_div_zero 0
		.amdhsa_exception_fp_ieee_overflow 0
		.amdhsa_exception_fp_ieee_underflow 0
		.amdhsa_exception_fp_ieee_inexact 0
		.amdhsa_exception_int_div_zero 0
	.end_amdhsa_kernel
	.section	.text._ZL37rocblas_syrkx_herkx_restricted_kernelIl19rocblas_complex_numIdELi16ELi32ELi8ELb1ELb0ELc84ELc76EKS1_S1_EviT_T0_PT8_S3_lS6_S3_lS4_PT9_S3_li,"axG",@progbits,_ZL37rocblas_syrkx_herkx_restricted_kernelIl19rocblas_complex_numIdELi16ELi32ELi8ELb1ELb0ELc84ELc76EKS1_S1_EviT_T0_PT8_S3_lS6_S3_lS4_PT9_S3_li,comdat
.Lfunc_end1181:
	.size	_ZL37rocblas_syrkx_herkx_restricted_kernelIl19rocblas_complex_numIdELi16ELi32ELi8ELb1ELb0ELc84ELc76EKS1_S1_EviT_T0_PT8_S3_lS6_S3_lS4_PT9_S3_li, .Lfunc_end1181-_ZL37rocblas_syrkx_herkx_restricted_kernelIl19rocblas_complex_numIdELi16ELi32ELi8ELb1ELb0ELc84ELc76EKS1_S1_EviT_T0_PT8_S3_lS6_S3_lS4_PT9_S3_li
                                        ; -- End function
	.set _ZL37rocblas_syrkx_herkx_restricted_kernelIl19rocblas_complex_numIdELi16ELi32ELi8ELb1ELb0ELc84ELc76EKS1_S1_EviT_T0_PT8_S3_lS6_S3_lS4_PT9_S3_li.num_vgpr, 52
	.set _ZL37rocblas_syrkx_herkx_restricted_kernelIl19rocblas_complex_numIdELi16ELi32ELi8ELb1ELb0ELc84ELc76EKS1_S1_EviT_T0_PT8_S3_lS6_S3_lS4_PT9_S3_li.num_agpr, 0
	.set _ZL37rocblas_syrkx_herkx_restricted_kernelIl19rocblas_complex_numIdELi16ELi32ELi8ELb1ELb0ELc84ELc76EKS1_S1_EviT_T0_PT8_S3_lS6_S3_lS4_PT9_S3_li.numbered_sgpr, 28
	.set _ZL37rocblas_syrkx_herkx_restricted_kernelIl19rocblas_complex_numIdELi16ELi32ELi8ELb1ELb0ELc84ELc76EKS1_S1_EviT_T0_PT8_S3_lS6_S3_lS4_PT9_S3_li.num_named_barrier, 0
	.set _ZL37rocblas_syrkx_herkx_restricted_kernelIl19rocblas_complex_numIdELi16ELi32ELi8ELb1ELb0ELc84ELc76EKS1_S1_EviT_T0_PT8_S3_lS6_S3_lS4_PT9_S3_li.private_seg_size, 0
	.set _ZL37rocblas_syrkx_herkx_restricted_kernelIl19rocblas_complex_numIdELi16ELi32ELi8ELb1ELb0ELc84ELc76EKS1_S1_EviT_T0_PT8_S3_lS6_S3_lS4_PT9_S3_li.uses_vcc, 1
	.set _ZL37rocblas_syrkx_herkx_restricted_kernelIl19rocblas_complex_numIdELi16ELi32ELi8ELb1ELb0ELc84ELc76EKS1_S1_EviT_T0_PT8_S3_lS6_S3_lS4_PT9_S3_li.uses_flat_scratch, 0
	.set _ZL37rocblas_syrkx_herkx_restricted_kernelIl19rocblas_complex_numIdELi16ELi32ELi8ELb1ELb0ELc84ELc76EKS1_S1_EviT_T0_PT8_S3_lS6_S3_lS4_PT9_S3_li.has_dyn_sized_stack, 0
	.set _ZL37rocblas_syrkx_herkx_restricted_kernelIl19rocblas_complex_numIdELi16ELi32ELi8ELb1ELb0ELc84ELc76EKS1_S1_EviT_T0_PT8_S3_lS6_S3_lS4_PT9_S3_li.has_recursion, 0
	.set _ZL37rocblas_syrkx_herkx_restricted_kernelIl19rocblas_complex_numIdELi16ELi32ELi8ELb1ELb0ELc84ELc76EKS1_S1_EviT_T0_PT8_S3_lS6_S3_lS4_PT9_S3_li.has_indirect_call, 0
	.section	.AMDGPU.csdata,"",@progbits
; Kernel info:
; codeLenInByte = 3000
; TotalNumSgprs: 32
; NumVgprs: 52
; ScratchSize: 0
; MemoryBound: 0
; FloatMode: 240
; IeeeMode: 1
; LDSByteSize: 8192 bytes/workgroup (compile time only)
; SGPRBlocks: 8
; VGPRBlocks: 12
; NumSGPRsForWavesPerEU: 65
; NumVGPRsForWavesPerEU: 52
; Occupancy: 4
; WaveLimiterHint : 1
; COMPUTE_PGM_RSRC2:SCRATCH_EN: 0
; COMPUTE_PGM_RSRC2:USER_SGPR: 6
; COMPUTE_PGM_RSRC2:TRAP_HANDLER: 0
; COMPUTE_PGM_RSRC2:TGID_X_EN: 1
; COMPUTE_PGM_RSRC2:TGID_Y_EN: 1
; COMPUTE_PGM_RSRC2:TGID_Z_EN: 1
; COMPUTE_PGM_RSRC2:TIDIG_COMP_CNT: 1
	.section	.text._ZL37rocblas_syrkx_herkx_restricted_kernelIl19rocblas_complex_numIdELi16ELi32ELi8ELb1ELb0ELc67ELc76EKS1_S1_EviT_T0_PT8_S3_lS6_S3_lS4_PT9_S3_li,"axG",@progbits,_ZL37rocblas_syrkx_herkx_restricted_kernelIl19rocblas_complex_numIdELi16ELi32ELi8ELb1ELb0ELc67ELc76EKS1_S1_EviT_T0_PT8_S3_lS6_S3_lS4_PT9_S3_li,comdat
	.globl	_ZL37rocblas_syrkx_herkx_restricted_kernelIl19rocblas_complex_numIdELi16ELi32ELi8ELb1ELb0ELc67ELc76EKS1_S1_EviT_T0_PT8_S3_lS6_S3_lS4_PT9_S3_li ; -- Begin function _ZL37rocblas_syrkx_herkx_restricted_kernelIl19rocblas_complex_numIdELi16ELi32ELi8ELb1ELb0ELc67ELc76EKS1_S1_EviT_T0_PT8_S3_lS6_S3_lS4_PT9_S3_li
	.p2align	8
	.type	_ZL37rocblas_syrkx_herkx_restricted_kernelIl19rocblas_complex_numIdELi16ELi32ELi8ELb1ELb0ELc67ELc76EKS1_S1_EviT_T0_PT8_S3_lS6_S3_lS4_PT9_S3_li,@function
_ZL37rocblas_syrkx_herkx_restricted_kernelIl19rocblas_complex_numIdELi16ELi32ELi8ELb1ELb0ELc67ELc76EKS1_S1_EviT_T0_PT8_S3_lS6_S3_lS4_PT9_S3_li: ; @_ZL37rocblas_syrkx_herkx_restricted_kernelIl19rocblas_complex_numIdELi16ELi32ELi8ELb1ELb0ELc67ELc76EKS1_S1_EviT_T0_PT8_S3_lS6_S3_lS4_PT9_S3_li
; %bb.0:
	s_load_dwordx16 s[12:27], s[4:5], 0x8
	s_lshl_b32 s2, s6, 5
	s_lshl_b32 s3, s7, 5
	s_waitcnt lgkmcnt(0)
	v_cmp_lt_i64_e64 s[0:1], s[12:13], 1
	s_and_b64 vcc, exec, s[0:1]
	s_cbranch_vccnz .LBB1182_3
; %bb.1:
	v_lshl_add_u32 v7, v1, 4, v0
	v_lshrrev_b32_e32 v8, 3, v7
	v_add_u32_e32 v4, s3, v8
	v_and_b32_e32 v2, 7, v0
	v_ashrrev_i32_e32 v5, 31, v4
	v_mov_b32_e32 v3, 0
	v_mul_lo_u32 v9, s26, v5
	v_mul_lo_u32 v10, s27, v4
	v_mad_u64_u32 v[4:5], s[0:1], s26, v4, v[2:3]
	v_lshlrev_b32_e32 v2, 4, v2
	v_and_b32_e32 v11, 31, v7
	v_lshl_or_b32 v2, v8, 7, v2
	v_add_u32_e32 v23, 0x1000, v2
	v_mov_b32_e32 v2, 0x1000
	v_add_u32_e32 v8, s2, v11
	v_lshrrev_b32_e32 v6, 5, v7
	v_mov_b32_e32 v7, v3
	v_lshlrev_b32_e32 v3, 4, v11
	v_lshl_add_u32 v25, v1, 7, v2
	v_ashrrev_i32_e32 v2, 31, v8
	v_add3_u32 v5, v10, v5, v9
	v_lshl_or_b32 v22, v6, 9, v3
	v_mul_lo_u32 v9, s20, v2
	v_mad_u64_u32 v[2:3], s[6:7], s20, v8, v[6:7]
	v_mul_lo_u32 v6, s21, v8
	s_load_dwordx2 s[0:1], s[4:5], 0x48
	s_mul_i32 s9, s23, s8
	s_mul_hi_u32 s10, s22, s8
	s_add_i32 s7, s10, s9
	s_mul_i32 s6, s22, s8
	v_add3_u32 v3, v6, v3, v9
	s_lshl_b64 s[6:7], s[6:7], 4
	v_lshlrev_b64 v[2:3], 4, v[2:3]
	s_add_u32 s6, s18, s6
	s_addc_u32 s7, s19, s7
	v_add_co_u32_e32 v2, vcc, s6, v2
	s_waitcnt lgkmcnt(0)
	s_mul_i32 s1, s1, s8
	s_mul_hi_u32 s6, s0, s8
	v_mov_b32_e32 v6, s7
	s_add_i32 s1, s6, s1
	s_mul_i32 s0, s0, s8
	v_addc_co_u32_e32 v3, vcc, v6, v3, vcc
	s_lshl_b64 s[0:1], s[0:1], 4
	v_add_co_u32_e32 v2, vcc, 8, v2
	v_lshlrev_b64 v[4:5], 4, v[4:5]
	s_add_u32 s0, s24, s0
	v_addc_co_u32_e32 v3, vcc, 0, v3, vcc
	s_addc_u32 s1, s25, s1
	v_mov_b32_e32 v6, s1
	v_add_co_u32_e32 v4, vcc, s0, v4
	v_addc_co_u32_e32 v5, vcc, v6, v5, vcc
	v_add_co_u32_e32 v4, vcc, 8, v4
	v_mov_b32_e32 v10, 0
	v_mov_b32_e32 v12, 0
	;; [unrolled: 1-line block ×8, first 2 shown]
	v_lshlrev_b32_e32 v24, 4, v0
	v_addc_co_u32_e32 v5, vcc, 0, v5, vcc
	v_mov_b32_e32 v11, 0
	v_mov_b32_e32 v13, 0
	;; [unrolled: 1-line block ×8, first 2 shown]
	s_mov_b64 s[0:1], 0
.LBB1182_2:                             ; =>This Inner Loop Header: Depth=1
	global_load_dwordx4 v[26:29], v[2:3], off offset:-8
	s_add_u32 s0, s0, 8
	v_add_co_u32_e32 v2, vcc, 0x80, v2
	s_addc_u32 s1, s1, 0
	v_addc_co_u32_e32 v3, vcc, 0, v3, vcc
	s_waitcnt vmcnt(0)
	ds_write_b128 v22, v[26:29]
	global_load_dwordx4 v[26:29], v[4:5], off offset:-8
	v_add_co_u32_e32 v4, vcc, 0x80, v4
	v_addc_co_u32_e32 v5, vcc, 0, v5, vcc
	s_waitcnt vmcnt(0)
	ds_write_b128 v23, v[26:29]
	s_waitcnt lgkmcnt(0)
	s_barrier
	ds_read_b128 v[26:29], v25
	ds_read_b128 v[30:33], v25 offset:16
	ds_read_b128 v[34:37], v25 offset:32
	;; [unrolled: 1-line block ×3, first 2 shown]
	ds_read_b128 v[42:45], v24
	s_waitcnt lgkmcnt(0)
	v_mul_f64 v[46:47], v[28:29], v[44:45]
	v_mul_f64 v[48:49], v[26:27], v[44:45]
	v_fma_f64 v[46:47], v[26:27], v[42:43], -v[46:47]
	v_fma_f64 v[48:49], v[28:29], v[42:43], v[48:49]
	v_add_f64 v[46:47], v[14:15], v[46:47]
	v_add_f64 v[48:49], v[48:49], v[16:17]
	ds_read_b128 v[14:17], v24 offset:256
	s_waitcnt lgkmcnt(0)
	v_mul_f64 v[50:51], v[28:29], v[16:17]
	v_fma_f64 v[50:51], v[26:27], v[14:15], -v[50:51]
	v_mul_f64 v[26:27], v[26:27], v[16:17]
	v_fma_f64 v[26:27], v[28:29], v[14:15], v[26:27]
	v_add_f64 v[28:29], v[6:7], v[50:51]
	v_add_f64 v[26:27], v[26:27], v[8:9]
	ds_read_b128 v[6:9], v25 offset:2048
	s_waitcnt lgkmcnt(0)
	v_mul_f64 v[50:51], v[8:9], v[44:45]
	v_mul_f64 v[44:45], v[6:7], v[44:45]
	v_fma_f64 v[50:51], v[6:7], v[42:43], -v[50:51]
	v_fma_f64 v[42:43], v[8:9], v[42:43], v[44:45]
	v_add_f64 v[18:19], v[18:19], v[50:51]
	v_add_f64 v[20:21], v[42:43], v[20:21]
	v_mul_f64 v[42:43], v[8:9], v[16:17]
	v_fma_f64 v[42:43], v[6:7], v[14:15], -v[42:43]
	v_mul_f64 v[6:7], v[6:7], v[16:17]
	v_add_f64 v[42:43], v[12:13], v[42:43]
	v_fma_f64 v[6:7], v[8:9], v[14:15], v[6:7]
	v_add_f64 v[44:45], v[6:7], v[10:11]
	ds_read_b128 v[6:9], v24 offset:512
	s_waitcnt lgkmcnt(0)
	v_mul_f64 v[10:11], v[32:33], v[8:9]
	v_mul_f64 v[12:13], v[30:31], v[8:9]
	v_fma_f64 v[10:11], v[30:31], v[6:7], -v[10:11]
	v_fma_f64 v[12:13], v[32:33], v[6:7], v[12:13]
	v_add_f64 v[46:47], v[46:47], v[10:11]
	v_add_f64 v[48:49], v[12:13], v[48:49]
	ds_read_b128 v[10:13], v24 offset:768
	s_waitcnt lgkmcnt(0)
	v_mul_f64 v[14:15], v[32:33], v[12:13]
	v_mul_f64 v[16:17], v[30:31], v[12:13]
	v_fma_f64 v[14:15], v[30:31], v[10:11], -v[14:15]
	v_fma_f64 v[16:17], v[32:33], v[10:11], v[16:17]
	v_add_f64 v[28:29], v[28:29], v[14:15]
	v_add_f64 v[26:27], v[16:17], v[26:27]
	ds_read_b128 v[14:17], v25 offset:2064
	s_waitcnt lgkmcnt(0)
	v_mul_f64 v[30:31], v[16:17], v[8:9]
	v_mul_f64 v[8:9], v[14:15], v[8:9]
	v_fma_f64 v[30:31], v[14:15], v[6:7], -v[30:31]
	v_fma_f64 v[6:7], v[16:17], v[6:7], v[8:9]
	v_mul_f64 v[8:9], v[14:15], v[12:13]
	v_add_f64 v[18:19], v[18:19], v[30:31]
	v_add_f64 v[20:21], v[6:7], v[20:21]
	v_mul_f64 v[6:7], v[16:17], v[12:13]
	v_fma_f64 v[8:9], v[16:17], v[10:11], v[8:9]
	v_fma_f64 v[6:7], v[14:15], v[10:11], -v[6:7]
	v_add_f64 v[32:33], v[8:9], v[44:45]
	v_add_f64 v[30:31], v[42:43], v[6:7]
	ds_read_b128 v[6:9], v24 offset:1024
	s_waitcnt lgkmcnt(0)
	v_mul_f64 v[10:11], v[36:37], v[8:9]
	v_mul_f64 v[12:13], v[34:35], v[8:9]
	v_fma_f64 v[10:11], v[34:35], v[6:7], -v[10:11]
	v_fma_f64 v[12:13], v[36:37], v[6:7], v[12:13]
	v_add_f64 v[42:43], v[46:47], v[10:11]
	v_add_f64 v[44:45], v[12:13], v[48:49]
	ds_read_b128 v[10:13], v24 offset:1280
	s_waitcnt lgkmcnt(0)
	v_mul_f64 v[14:15], v[36:37], v[12:13]
	v_mul_f64 v[16:17], v[34:35], v[12:13]
	v_fma_f64 v[14:15], v[34:35], v[10:11], -v[14:15]
	v_fma_f64 v[16:17], v[36:37], v[10:11], v[16:17]
	v_add_f64 v[28:29], v[28:29], v[14:15]
	v_add_f64 v[26:27], v[16:17], v[26:27]
	ds_read_b128 v[14:17], v25 offset:2080
	s_waitcnt lgkmcnt(0)
	v_mul_f64 v[34:35], v[16:17], v[8:9]
	v_mul_f64 v[8:9], v[14:15], v[8:9]
	v_fma_f64 v[34:35], v[14:15], v[6:7], -v[34:35]
	v_fma_f64 v[6:7], v[16:17], v[6:7], v[8:9]
	v_mul_f64 v[8:9], v[14:15], v[12:13]
	v_add_f64 v[18:19], v[18:19], v[34:35]
	v_add_f64 v[20:21], v[6:7], v[20:21]
	v_mul_f64 v[6:7], v[16:17], v[12:13]
	v_fma_f64 v[8:9], v[16:17], v[10:11], v[8:9]
	v_fma_f64 v[6:7], v[14:15], v[10:11], -v[6:7]
	v_add_f64 v[32:33], v[8:9], v[32:33]
	;; [unrolled: 30-line block ×3, first 2 shown]
	v_add_f64 v[30:31], v[30:31], v[6:7]
	ds_read_b128 v[6:9], v25 offset:64
	ds_read_b128 v[10:13], v24 offset:2048
	s_waitcnt lgkmcnt(0)
	v_mul_f64 v[14:15], v[8:9], v[12:13]
	v_mul_f64 v[16:17], v[6:7], v[12:13]
	v_fma_f64 v[14:15], v[6:7], v[10:11], -v[14:15]
	v_fma_f64 v[16:17], v[8:9], v[10:11], v[16:17]
	v_add_f64 v[34:35], v[34:35], v[14:15]
	v_add_f64 v[36:37], v[16:17], v[36:37]
	ds_read_b128 v[14:17], v24 offset:2304
	s_waitcnt lgkmcnt(0)
	v_mul_f64 v[38:39], v[8:9], v[16:17]
	v_fma_f64 v[38:39], v[6:7], v[14:15], -v[38:39]
	v_mul_f64 v[6:7], v[6:7], v[16:17]
	v_add_f64 v[28:29], v[28:29], v[38:39]
	v_fma_f64 v[6:7], v[8:9], v[14:15], v[6:7]
	v_add_f64 v[26:27], v[6:7], v[26:27]
	ds_read_b128 v[6:9], v25 offset:2112
	s_waitcnt lgkmcnt(0)
	v_mul_f64 v[38:39], v[8:9], v[12:13]
	v_mul_f64 v[12:13], v[6:7], v[12:13]
	v_fma_f64 v[38:39], v[6:7], v[10:11], -v[38:39]
	v_fma_f64 v[10:11], v[8:9], v[10:11], v[12:13]
	v_add_f64 v[18:19], v[18:19], v[38:39]
	v_add_f64 v[20:21], v[10:11], v[20:21]
	v_mul_f64 v[10:11], v[8:9], v[16:17]
	v_fma_f64 v[10:11], v[6:7], v[14:15], -v[10:11]
	v_mul_f64 v[6:7], v[6:7], v[16:17]
	v_add_f64 v[30:31], v[30:31], v[10:11]
	v_fma_f64 v[6:7], v[8:9], v[14:15], v[6:7]
	v_add_f64 v[32:33], v[6:7], v[32:33]
	ds_read_b128 v[6:9], v25 offset:80
	ds_read_b128 v[10:13], v24 offset:2560
	s_waitcnt lgkmcnt(0)
	v_mul_f64 v[14:15], v[8:9], v[12:13]
	v_mul_f64 v[16:17], v[6:7], v[12:13]
	v_fma_f64 v[14:15], v[6:7], v[10:11], -v[14:15]
	v_fma_f64 v[16:17], v[8:9], v[10:11], v[16:17]
	v_add_f64 v[34:35], v[34:35], v[14:15]
	v_add_f64 v[36:37], v[16:17], v[36:37]
	ds_read_b128 v[14:17], v24 offset:2816
	s_waitcnt lgkmcnt(0)
	v_mul_f64 v[38:39], v[8:9], v[16:17]
	v_fma_f64 v[38:39], v[6:7], v[14:15], -v[38:39]
	v_mul_f64 v[6:7], v[6:7], v[16:17]
	v_add_f64 v[28:29], v[28:29], v[38:39]
	v_fma_f64 v[6:7], v[8:9], v[14:15], v[6:7]
	v_add_f64 v[26:27], v[6:7], v[26:27]
	ds_read_b128 v[6:9], v25 offset:2128
	s_waitcnt lgkmcnt(0)
	v_mul_f64 v[38:39], v[8:9], v[12:13]
	v_mul_f64 v[12:13], v[6:7], v[12:13]
	v_fma_f64 v[38:39], v[6:7], v[10:11], -v[38:39]
	v_fma_f64 v[10:11], v[8:9], v[10:11], v[12:13]
	v_add_f64 v[18:19], v[18:19], v[38:39]
	v_add_f64 v[20:21], v[10:11], v[20:21]
	v_mul_f64 v[10:11], v[8:9], v[16:17]
	v_fma_f64 v[10:11], v[6:7], v[14:15], -v[10:11]
	v_mul_f64 v[6:7], v[6:7], v[16:17]
	v_add_f64 v[30:31], v[30:31], v[10:11]
	v_fma_f64 v[6:7], v[8:9], v[14:15], v[6:7]
	;; [unrolled: 31-line block ×3, first 2 shown]
	v_add_f64 v[44:45], v[6:7], v[32:33]
	ds_read_b128 v[6:9], v25 offset:112
	ds_read_b128 v[10:13], v24 offset:3584
	;; [unrolled: 1-line block ×3, first 2 shown]
	s_waitcnt lgkmcnt(1)
	v_mul_f64 v[14:15], v[8:9], v[12:13]
	s_waitcnt lgkmcnt(0)
	v_mul_f64 v[30:31], v[8:9], v[28:29]
	v_mul_f64 v[16:17], v[6:7], v[12:13]
	v_fma_f64 v[14:15], v[6:7], v[10:11], -v[14:15]
	v_fma_f64 v[30:31], v[6:7], v[26:27], -v[30:31]
	v_mul_f64 v[6:7], v[6:7], v[28:29]
	v_fma_f64 v[16:17], v[8:9], v[10:11], v[16:17]
	v_add_f64 v[14:15], v[34:35], v[14:15]
	v_fma_f64 v[8:9], v[8:9], v[26:27], v[6:7]
	v_add_f64 v[6:7], v[38:39], v[30:31]
	ds_read_b128 v[30:33], v25 offset:2160
	v_add_f64 v[16:17], v[16:17], v[36:37]
	s_waitcnt lgkmcnt(0)
	s_barrier
	v_mul_f64 v[34:35], v[32:33], v[12:13]
	v_mul_f64 v[12:13], v[30:31], v[12:13]
	v_add_f64 v[8:9], v[8:9], v[40:41]
	v_fma_f64 v[34:35], v[30:31], v[10:11], -v[34:35]
	v_fma_f64 v[10:11], v[32:33], v[10:11], v[12:13]
	v_mul_f64 v[12:13], v[30:31], v[28:29]
	v_add_f64 v[18:19], v[18:19], v[34:35]
	v_add_f64 v[20:21], v[10:11], v[20:21]
	v_mul_f64 v[10:11], v[32:33], v[28:29]
	v_fma_f64 v[10:11], v[30:31], v[26:27], -v[10:11]
	v_fma_f64 v[26:27], v[32:33], v[26:27], v[12:13]
	v_add_f64 v[12:13], v[42:43], v[10:11]
	v_add_f64 v[10:11], v[26:27], v[44:45]
	v_mov_b32_e32 v27, s1
	v_mov_b32_e32 v26, s0
	v_cmp_le_u64_e32 vcc, s[12:13], v[26:27]
	s_cbranch_vccz .LBB1182_2
	s_branch .LBB1182_4
.LBB1182_3:
	v_mov_b32_e32 v14, 0
	v_mov_b32_e32 v16, 0
	;; [unrolled: 1-line block ×16, first 2 shown]
.LBB1182_4:
	s_load_dwordx2 s[0:1], s[4:5], 0x70
	s_load_dword s9, s[4:5], 0x0
	s_load_dwordx4 s[20:23], s[4:5], 0x60
	v_add_u32_e32 v4, s3, v1
	v_ashrrev_i32_e32 v1, 31, v4
	s_waitcnt lgkmcnt(0)
	s_mul_i32 s1, s1, s8
	s_mul_hi_u32 s4, s0, s8
	s_add_i32 s1, s4, s1
	v_mul_lo_u32 v3, s22, v1
	v_mul_lo_u32 v5, s23, v4
	v_mad_u64_u32 v[1:2], s[4:5], s22, v4, 0
	s_mul_i32 s0, s0, s8
	s_lshl_b64 s[0:1], s[0:1], 4
	v_add3_u32 v2, v2, v3, v5
	s_add_u32 s6, s20, s0
	v_lshlrev_b64 v[1:2], 4, v[1:2]
	s_addc_u32 s7, s21, s1
	v_mov_b32_e32 v3, s7
	v_add_co_u32_e32 v5, vcc, s6, v1
	v_add_u32_e32 v0, s2, v0
	v_addc_co_u32_e32 v22, vcc, v3, v2, vcc
	v_cmp_le_i32_e64 s[0:1], v4, v0
	v_cmp_gt_i32_e32 vcc, s9, v0
	s_and_b64 s[0:1], s[0:1], vcc
	s_and_saveexec_b64 s[2:3], s[0:1]
	s_cbranch_execz .LBB1182_6
; %bb.5:
	v_mul_f64 v[1:2], s[16:17], v[16:17]
	v_mul_f64 v[16:17], s[14:15], v[16:17]
	v_fma_f64 v[23:24], s[14:15], v[14:15], -v[1:2]
	v_fma_f64 v[25:26], s[16:17], v[14:15], v[16:17]
	v_ashrrev_i32_e32 v1, 31, v0
	v_lshlrev_b64 v[1:2], 4, v[0:1]
	v_add_co_u32_e64 v1, s[0:1], v5, v1
	v_addc_co_u32_e64 v2, s[0:1], v22, v2, s[0:1]
	global_store_dwordx4 v[1:2], v[23:26], off
.LBB1182_6:
	s_or_b64 exec, exec, s[2:3]
	v_add_u32_e32 v2, 16, v0
	v_cmp_le_i32_e64 s[2:3], v4, v2
	v_cmp_gt_i32_e64 s[0:1], s9, v2
	s_and_b64 s[2:3], s[2:3], s[0:1]
	s_and_saveexec_b64 s[4:5], s[2:3]
	s_cbranch_execz .LBB1182_8
; %bb.7:
	v_mul_f64 v[14:15], s[16:17], v[8:9]
	v_mul_f64 v[8:9], s[14:15], v[8:9]
	v_ashrrev_i32_e32 v3, 31, v2
	v_fma_f64 v[14:15], s[14:15], v[6:7], -v[14:15]
	v_fma_f64 v[16:17], s[16:17], v[6:7], v[8:9]
	v_lshlrev_b64 v[6:7], 4, v[2:3]
	v_add_co_u32_e64 v5, s[2:3], v5, v6
	v_addc_co_u32_e64 v6, s[2:3], v22, v7, s[2:3]
	global_store_dwordx4 v[5:6], v[14:17], off
.LBB1182_8:
	s_or_b64 exec, exec, s[4:5]
	v_add_u32_e32 v3, 16, v4
	v_ashrrev_i32_e32 v1, 31, v3
	v_mul_lo_u32 v6, s23, v3
	v_mad_u64_u32 v[4:5], s[2:3], s22, v3, 0
	v_mul_lo_u32 v1, s22, v1
	v_add3_u32 v5, v5, v1, v6
	v_lshlrev_b64 v[4:5], 4, v[4:5]
	v_mov_b32_e32 v1, s7
	v_add_co_u32_e64 v4, s[2:3], s6, v4
	v_addc_co_u32_e64 v5, s[2:3], v1, v5, s[2:3]
	v_cmp_le_i32_e64 s[2:3], v3, v0
	s_and_b64 s[4:5], s[2:3], vcc
	s_and_saveexec_b64 s[2:3], s[4:5]
	s_cbranch_execz .LBB1182_10
; %bb.9:
	v_mul_f64 v[6:7], s[16:17], v[20:21]
	v_mul_f64 v[8:9], s[14:15], v[20:21]
	v_ashrrev_i32_e32 v1, 31, v0
	v_lshlrev_b64 v[0:1], 4, v[0:1]
	v_add_co_u32_e32 v0, vcc, v4, v0
	v_addc_co_u32_e32 v1, vcc, v5, v1, vcc
	v_fma_f64 v[6:7], s[14:15], v[18:19], -v[6:7]
	v_fma_f64 v[8:9], s[16:17], v[18:19], v[8:9]
	global_store_dwordx4 v[0:1], v[6:9], off
.LBB1182_10:
	s_or_b64 exec, exec, s[2:3]
	v_cmp_le_i32_e32 vcc, v3, v2
	s_and_b64 s[0:1], vcc, s[0:1]
	s_and_saveexec_b64 s[2:3], s[0:1]
	s_cbranch_execz .LBB1182_12
; %bb.11:
	v_mul_f64 v[0:1], s[16:17], v[10:11]
	v_mul_f64 v[8:9], s[14:15], v[10:11]
	v_ashrrev_i32_e32 v3, 31, v2
	v_fma_f64 v[6:7], s[14:15], v[12:13], -v[0:1]
	v_fma_f64 v[8:9], s[16:17], v[12:13], v[8:9]
	v_lshlrev_b64 v[0:1], 4, v[2:3]
	v_add_co_u32_e32 v0, vcc, v4, v0
	v_addc_co_u32_e32 v1, vcc, v5, v1, vcc
	global_store_dwordx4 v[0:1], v[6:9], off
.LBB1182_12:
	s_endpgm
	.section	.rodata,"a",@progbits
	.p2align	6, 0x0
	.amdhsa_kernel _ZL37rocblas_syrkx_herkx_restricted_kernelIl19rocblas_complex_numIdELi16ELi32ELi8ELb1ELb0ELc67ELc76EKS1_S1_EviT_T0_PT8_S3_lS6_S3_lS4_PT9_S3_li
		.amdhsa_group_segment_fixed_size 8192
		.amdhsa_private_segment_fixed_size 0
		.amdhsa_kernarg_size 124
		.amdhsa_user_sgpr_count 6
		.amdhsa_user_sgpr_private_segment_buffer 1
		.amdhsa_user_sgpr_dispatch_ptr 0
		.amdhsa_user_sgpr_queue_ptr 0
		.amdhsa_user_sgpr_kernarg_segment_ptr 1
		.amdhsa_user_sgpr_dispatch_id 0
		.amdhsa_user_sgpr_flat_scratch_init 0
		.amdhsa_user_sgpr_private_segment_size 0
		.amdhsa_uses_dynamic_stack 0
		.amdhsa_system_sgpr_private_segment_wavefront_offset 0
		.amdhsa_system_sgpr_workgroup_id_x 1
		.amdhsa_system_sgpr_workgroup_id_y 1
		.amdhsa_system_sgpr_workgroup_id_z 1
		.amdhsa_system_sgpr_workgroup_info 0
		.amdhsa_system_vgpr_workitem_id 1
		.amdhsa_next_free_vgpr 52
		.amdhsa_next_free_sgpr 61
		.amdhsa_reserve_vcc 1
		.amdhsa_reserve_flat_scratch 0
		.amdhsa_float_round_mode_32 0
		.amdhsa_float_round_mode_16_64 0
		.amdhsa_float_denorm_mode_32 3
		.amdhsa_float_denorm_mode_16_64 3
		.amdhsa_dx10_clamp 1
		.amdhsa_ieee_mode 1
		.amdhsa_fp16_overflow 0
		.amdhsa_exception_fp_ieee_invalid_op 0
		.amdhsa_exception_fp_denorm_src 0
		.amdhsa_exception_fp_ieee_div_zero 0
		.amdhsa_exception_fp_ieee_overflow 0
		.amdhsa_exception_fp_ieee_underflow 0
		.amdhsa_exception_fp_ieee_inexact 0
		.amdhsa_exception_int_div_zero 0
	.end_amdhsa_kernel
	.section	.text._ZL37rocblas_syrkx_herkx_restricted_kernelIl19rocblas_complex_numIdELi16ELi32ELi8ELb1ELb0ELc67ELc76EKS1_S1_EviT_T0_PT8_S3_lS6_S3_lS4_PT9_S3_li,"axG",@progbits,_ZL37rocblas_syrkx_herkx_restricted_kernelIl19rocblas_complex_numIdELi16ELi32ELi8ELb1ELb0ELc67ELc76EKS1_S1_EviT_T0_PT8_S3_lS6_S3_lS4_PT9_S3_li,comdat
.Lfunc_end1182:
	.size	_ZL37rocblas_syrkx_herkx_restricted_kernelIl19rocblas_complex_numIdELi16ELi32ELi8ELb1ELb0ELc67ELc76EKS1_S1_EviT_T0_PT8_S3_lS6_S3_lS4_PT9_S3_li, .Lfunc_end1182-_ZL37rocblas_syrkx_herkx_restricted_kernelIl19rocblas_complex_numIdELi16ELi32ELi8ELb1ELb0ELc67ELc76EKS1_S1_EviT_T0_PT8_S3_lS6_S3_lS4_PT9_S3_li
                                        ; -- End function
	.set _ZL37rocblas_syrkx_herkx_restricted_kernelIl19rocblas_complex_numIdELi16ELi32ELi8ELb1ELb0ELc67ELc76EKS1_S1_EviT_T0_PT8_S3_lS6_S3_lS4_PT9_S3_li.num_vgpr, 52
	.set _ZL37rocblas_syrkx_herkx_restricted_kernelIl19rocblas_complex_numIdELi16ELi32ELi8ELb1ELb0ELc67ELc76EKS1_S1_EviT_T0_PT8_S3_lS6_S3_lS4_PT9_S3_li.num_agpr, 0
	.set _ZL37rocblas_syrkx_herkx_restricted_kernelIl19rocblas_complex_numIdELi16ELi32ELi8ELb1ELb0ELc67ELc76EKS1_S1_EviT_T0_PT8_S3_lS6_S3_lS4_PT9_S3_li.numbered_sgpr, 28
	.set _ZL37rocblas_syrkx_herkx_restricted_kernelIl19rocblas_complex_numIdELi16ELi32ELi8ELb1ELb0ELc67ELc76EKS1_S1_EviT_T0_PT8_S3_lS6_S3_lS4_PT9_S3_li.num_named_barrier, 0
	.set _ZL37rocblas_syrkx_herkx_restricted_kernelIl19rocblas_complex_numIdELi16ELi32ELi8ELb1ELb0ELc67ELc76EKS1_S1_EviT_T0_PT8_S3_lS6_S3_lS4_PT9_S3_li.private_seg_size, 0
	.set _ZL37rocblas_syrkx_herkx_restricted_kernelIl19rocblas_complex_numIdELi16ELi32ELi8ELb1ELb0ELc67ELc76EKS1_S1_EviT_T0_PT8_S3_lS6_S3_lS4_PT9_S3_li.uses_vcc, 1
	.set _ZL37rocblas_syrkx_herkx_restricted_kernelIl19rocblas_complex_numIdELi16ELi32ELi8ELb1ELb0ELc67ELc76EKS1_S1_EviT_T0_PT8_S3_lS6_S3_lS4_PT9_S3_li.uses_flat_scratch, 0
	.set _ZL37rocblas_syrkx_herkx_restricted_kernelIl19rocblas_complex_numIdELi16ELi32ELi8ELb1ELb0ELc67ELc76EKS1_S1_EviT_T0_PT8_S3_lS6_S3_lS4_PT9_S3_li.has_dyn_sized_stack, 0
	.set _ZL37rocblas_syrkx_herkx_restricted_kernelIl19rocblas_complex_numIdELi16ELi32ELi8ELb1ELb0ELc67ELc76EKS1_S1_EviT_T0_PT8_S3_lS6_S3_lS4_PT9_S3_li.has_recursion, 0
	.set _ZL37rocblas_syrkx_herkx_restricted_kernelIl19rocblas_complex_numIdELi16ELi32ELi8ELb1ELb0ELc67ELc76EKS1_S1_EviT_T0_PT8_S3_lS6_S3_lS4_PT9_S3_li.has_indirect_call, 0
	.section	.AMDGPU.csdata,"",@progbits
; Kernel info:
; codeLenInByte = 3000
; TotalNumSgprs: 32
; NumVgprs: 52
; ScratchSize: 0
; MemoryBound: 0
; FloatMode: 240
; IeeeMode: 1
; LDSByteSize: 8192 bytes/workgroup (compile time only)
; SGPRBlocks: 8
; VGPRBlocks: 12
; NumSGPRsForWavesPerEU: 65
; NumVGPRsForWavesPerEU: 52
; Occupancy: 4
; WaveLimiterHint : 1
; COMPUTE_PGM_RSRC2:SCRATCH_EN: 0
; COMPUTE_PGM_RSRC2:USER_SGPR: 6
; COMPUTE_PGM_RSRC2:TRAP_HANDLER: 0
; COMPUTE_PGM_RSRC2:TGID_X_EN: 1
; COMPUTE_PGM_RSRC2:TGID_Y_EN: 1
; COMPUTE_PGM_RSRC2:TGID_Z_EN: 1
; COMPUTE_PGM_RSRC2:TIDIG_COMP_CNT: 1
	.section	.text._ZL37rocblas_syrkx_herkx_restricted_kernelIl19rocblas_complex_numIdELi16ELi32ELi8ELb1ELb0ELc78ELc76EKS1_S1_EviT_T0_PT8_S3_lS6_S3_lS4_PT9_S3_li,"axG",@progbits,_ZL37rocblas_syrkx_herkx_restricted_kernelIl19rocblas_complex_numIdELi16ELi32ELi8ELb1ELb0ELc78ELc76EKS1_S1_EviT_T0_PT8_S3_lS6_S3_lS4_PT9_S3_li,comdat
	.globl	_ZL37rocblas_syrkx_herkx_restricted_kernelIl19rocblas_complex_numIdELi16ELi32ELi8ELb1ELb0ELc78ELc76EKS1_S1_EviT_T0_PT8_S3_lS6_S3_lS4_PT9_S3_li ; -- Begin function _ZL37rocblas_syrkx_herkx_restricted_kernelIl19rocblas_complex_numIdELi16ELi32ELi8ELb1ELb0ELc78ELc76EKS1_S1_EviT_T0_PT8_S3_lS6_S3_lS4_PT9_S3_li
	.p2align	8
	.type	_ZL37rocblas_syrkx_herkx_restricted_kernelIl19rocblas_complex_numIdELi16ELi32ELi8ELb1ELb0ELc78ELc76EKS1_S1_EviT_T0_PT8_S3_lS6_S3_lS4_PT9_S3_li,@function
_ZL37rocblas_syrkx_herkx_restricted_kernelIl19rocblas_complex_numIdELi16ELi32ELi8ELb1ELb0ELc78ELc76EKS1_S1_EviT_T0_PT8_S3_lS6_S3_lS4_PT9_S3_li: ; @_ZL37rocblas_syrkx_herkx_restricted_kernelIl19rocblas_complex_numIdELi16ELi32ELi8ELb1ELb0ELc78ELc76EKS1_S1_EviT_T0_PT8_S3_lS6_S3_lS4_PT9_S3_li
; %bb.0:
	s_load_dwordx16 s[12:27], s[4:5], 0x8
	s_lshl_b32 s9, s6, 5
	s_lshl_b32 s10, s7, 5
	s_waitcnt lgkmcnt(0)
	v_cmp_lt_i64_e64 s[0:1], s[12:13], 1
	s_and_b64 vcc, exec, s[0:1]
	s_cbranch_vccnz .LBB1183_3
; %bb.1:
	v_lshl_add_u32 v6, v1, 4, v0
	v_lshrrev_b32_e32 v7, 3, v6
	v_add_u32_e32 v2, s10, v7
	v_and_b32_e32 v8, 7, v0
	v_ashrrev_i32_e32 v3, 31, v2
	v_mad_u64_u32 v[4:5], s[0:1], s26, v8, v[2:3]
	v_lshrrev_b32_e32 v9, 5, v6
	s_load_dwordx2 s[2:3], s[4:5], 0x48
	v_mov_b32_e32 v2, v5
	v_mad_u64_u32 v[2:3], s[0:1], s27, v8, v[2:3]
	v_and_b32_e32 v3, 31, v6
	v_mov_b32_e32 v6, 0x1000
	v_mov_b32_e32 v5, v2
	v_lshlrev_b32_e32 v2, 4, v3
	v_lshl_or_b32 v22, v9, 9, v2
	v_lshlrev_b32_e32 v2, 4, v8
	v_lshl_or_b32 v2, v7, 7, v2
	v_add_u32_e32 v23, 0x1000, v2
	v_add_u32_e32 v2, s9, v3
	v_ashrrev_i32_e32 v3, 31, v2
	v_mad_u64_u32 v[2:3], s[0:1], s20, v9, v[2:3]
	v_lshl_add_u32 v25, v1, 7, v6
	s_mul_i32 s6, s23, s8
	v_mad_u64_u32 v[6:7], s[0:1], s21, v9, v[3:4]
	s_mul_hi_u32 s7, s22, s8
	s_add_i32 s1, s7, s6
	s_mul_i32 s0, s22, s8
	s_lshl_b64 s[0:1], s[0:1], 4
	v_mov_b32_e32 v3, v6
	v_lshlrev_b64 v[2:3], 4, v[2:3]
	s_add_u32 s0, s18, s0
	s_addc_u32 s1, s19, s1
	s_waitcnt lgkmcnt(0)
	s_mul_i32 s3, s3, s8
	s_mul_hi_u32 s6, s2, s8
	v_mov_b32_e32 v6, s1
	v_add_co_u32_e32 v2, vcc, s0, v2
	s_add_i32 s3, s6, s3
	s_mul_i32 s2, s2, s8
	v_addc_co_u32_e32 v3, vcc, v6, v3, vcc
	s_lshl_b64 s[0:1], s[20:21], 7
	s_lshl_b64 s[2:3], s[2:3], 4
	v_add_co_u32_e32 v2, vcc, 8, v2
	v_lshlrev_b64 v[4:5], 4, v[4:5]
	s_add_u32 s2, s24, s2
	v_addc_co_u32_e32 v3, vcc, 0, v3, vcc
	s_addc_u32 s3, s25, s3
	v_mov_b32_e32 v6, s3
	v_add_co_u32_e32 v4, vcc, s2, v4
	v_addc_co_u32_e32 v5, vcc, v6, v5, vcc
	v_add_co_u32_e32 v4, vcc, 8, v4
	s_lshl_b64 s[2:3], s[26:27], 7
	v_mov_b32_e32 v10, 0
	v_mov_b32_e32 v12, 0
	;; [unrolled: 1-line block ×8, first 2 shown]
	v_lshlrev_b32_e32 v24, 4, v0
	v_addc_co_u32_e32 v5, vcc, 0, v5, vcc
	v_mov_b32_e32 v11, 0
	s_mov_b64 s[6:7], 0
	v_mov_b32_e32 v26, s1
	v_mov_b32_e32 v13, 0
	;; [unrolled: 1-line block ×9, first 2 shown]
.LBB1183_2:                             ; =>This Inner Loop Header: Depth=1
	global_load_dwordx4 v[28:31], v[2:3], off offset:-8
	s_add_u32 s6, s6, 8
	v_add_co_u32_e32 v2, vcc, s0, v2
	s_addc_u32 s7, s7, 0
	v_addc_co_u32_e32 v3, vcc, v3, v26, vcc
	s_waitcnt vmcnt(0)
	ds_write_b128 v22, v[28:31]
	global_load_dwordx4 v[28:31], v[4:5], off offset:-8
	v_add_co_u32_e32 v4, vcc, s2, v4
	v_addc_co_u32_e32 v5, vcc, v5, v27, vcc
	s_waitcnt vmcnt(0)
	ds_write_b128 v23, v[28:31]
	s_waitcnt lgkmcnt(0)
	s_barrier
	ds_read_b128 v[28:31], v25
	ds_read_b128 v[32:35], v25 offset:16
	ds_read_b128 v[36:39], v25 offset:32
	;; [unrolled: 1-line block ×3, first 2 shown]
	ds_read_b128 v[44:47], v24
	s_waitcnt lgkmcnt(0)
	v_mul_f64 v[48:49], v[30:31], v[46:47]
	v_mul_f64 v[50:51], v[28:29], v[46:47]
	v_fma_f64 v[48:49], v[28:29], v[44:45], -v[48:49]
	v_fma_f64 v[50:51], v[30:31], v[44:45], v[50:51]
	v_add_f64 v[48:49], v[18:19], v[48:49]
	v_add_f64 v[50:51], v[50:51], v[20:21]
	ds_read_b128 v[18:21], v24 offset:256
	s_waitcnt lgkmcnt(0)
	v_mul_f64 v[52:53], v[30:31], v[20:21]
	v_fma_f64 v[52:53], v[28:29], v[18:19], -v[52:53]
	v_mul_f64 v[28:29], v[28:29], v[20:21]
	v_fma_f64 v[28:29], v[30:31], v[18:19], v[28:29]
	v_add_f64 v[30:31], v[6:7], v[52:53]
	v_add_f64 v[28:29], v[28:29], v[8:9]
	ds_read_b128 v[6:9], v25 offset:2048
	s_waitcnt lgkmcnt(0)
	v_mul_f64 v[52:53], v[8:9], v[46:47]
	v_mul_f64 v[46:47], v[6:7], v[46:47]
	v_fma_f64 v[52:53], v[6:7], v[44:45], -v[52:53]
	v_fma_f64 v[44:45], v[8:9], v[44:45], v[46:47]
	v_add_f64 v[46:47], v[14:15], v[52:53]
	v_mul_f64 v[14:15], v[8:9], v[20:21]
	v_add_f64 v[44:45], v[44:45], v[16:17]
	v_fma_f64 v[14:15], v[6:7], v[18:19], -v[14:15]
	v_mul_f64 v[6:7], v[6:7], v[20:21]
	v_fma_f64 v[6:7], v[8:9], v[18:19], v[6:7]
	v_add_f64 v[18:19], v[12:13], v[14:15]
	v_add_f64 v[20:21], v[6:7], v[10:11]
	ds_read_b128 v[6:9], v24 offset:512
	s_waitcnt lgkmcnt(0)
	v_mul_f64 v[10:11], v[34:35], v[8:9]
	v_mul_f64 v[12:13], v[32:33], v[8:9]
	v_fma_f64 v[10:11], v[32:33], v[6:7], -v[10:11]
	v_fma_f64 v[12:13], v[34:35], v[6:7], v[12:13]
	v_add_f64 v[48:49], v[48:49], v[10:11]
	v_add_f64 v[50:51], v[12:13], v[50:51]
	ds_read_b128 v[10:13], v24 offset:768
	s_waitcnt lgkmcnt(0)
	v_mul_f64 v[14:15], v[34:35], v[12:13]
	v_mul_f64 v[16:17], v[32:33], v[12:13]
	v_fma_f64 v[14:15], v[32:33], v[10:11], -v[14:15]
	;; [unrolled: 8-line block ×3, first 2 shown]
	v_fma_f64 v[6:7], v[16:17], v[6:7], v[8:9]
	v_mul_f64 v[8:9], v[14:15], v[12:13]
	v_add_f64 v[32:33], v[46:47], v[32:33]
	v_add_f64 v[34:35], v[6:7], v[44:45]
	v_mul_f64 v[6:7], v[16:17], v[12:13]
	v_fma_f64 v[8:9], v[16:17], v[10:11], v[8:9]
	v_fma_f64 v[6:7], v[14:15], v[10:11], -v[6:7]
	v_add_f64 v[20:21], v[8:9], v[20:21]
	v_add_f64 v[18:19], v[18:19], v[6:7]
	ds_read_b128 v[6:9], v24 offset:1024
	s_waitcnt lgkmcnt(0)
	v_mul_f64 v[10:11], v[38:39], v[8:9]
	v_mul_f64 v[12:13], v[36:37], v[8:9]
	v_fma_f64 v[10:11], v[36:37], v[6:7], -v[10:11]
	v_fma_f64 v[12:13], v[38:39], v[6:7], v[12:13]
	v_add_f64 v[44:45], v[48:49], v[10:11]
	v_add_f64 v[46:47], v[12:13], v[50:51]
	ds_read_b128 v[10:13], v24 offset:1280
	s_waitcnt lgkmcnt(0)
	v_mul_f64 v[14:15], v[38:39], v[12:13]
	v_mul_f64 v[16:17], v[36:37], v[12:13]
	v_fma_f64 v[14:15], v[36:37], v[10:11], -v[14:15]
	v_fma_f64 v[16:17], v[38:39], v[10:11], v[16:17]
	;; [unrolled: 8-line block ×3, first 2 shown]
	v_mul_f64 v[8:9], v[14:15], v[12:13]
	v_add_f64 v[32:33], v[32:33], v[36:37]
	v_add_f64 v[34:35], v[6:7], v[34:35]
	v_mul_f64 v[6:7], v[16:17], v[12:13]
	v_fma_f64 v[8:9], v[16:17], v[10:11], v[8:9]
	v_fma_f64 v[6:7], v[14:15], v[10:11], -v[6:7]
	v_add_f64 v[20:21], v[8:9], v[20:21]
	v_add_f64 v[18:19], v[18:19], v[6:7]
	ds_read_b128 v[6:9], v24 offset:1536
	s_waitcnt lgkmcnt(0)
	v_mul_f64 v[10:11], v[42:43], v[8:9]
	v_mul_f64 v[12:13], v[40:41], v[8:9]
	v_fma_f64 v[10:11], v[40:41], v[6:7], -v[10:11]
	v_fma_f64 v[12:13], v[42:43], v[6:7], v[12:13]
	v_add_f64 v[36:37], v[44:45], v[10:11]
	v_add_f64 v[38:39], v[12:13], v[46:47]
	ds_read_b128 v[10:13], v24 offset:1792
	s_waitcnt lgkmcnt(0)
	v_mul_f64 v[14:15], v[42:43], v[12:13]
	v_mul_f64 v[16:17], v[40:41], v[12:13]
	v_fma_f64 v[14:15], v[40:41], v[10:11], -v[14:15]
	v_fma_f64 v[16:17], v[42:43], v[10:11], v[16:17]
	;; [unrolled: 8-line block ×3, first 2 shown]
	v_mul_f64 v[8:9], v[14:15], v[12:13]
	v_add_f64 v[32:33], v[32:33], v[40:41]
	v_add_f64 v[34:35], v[6:7], v[34:35]
	v_mul_f64 v[6:7], v[16:17], v[12:13]
	v_fma_f64 v[8:9], v[16:17], v[10:11], v[8:9]
	v_fma_f64 v[6:7], v[14:15], v[10:11], -v[6:7]
	v_add_f64 v[20:21], v[8:9], v[20:21]
	v_add_f64 v[18:19], v[18:19], v[6:7]
	ds_read_b128 v[6:9], v25 offset:64
	ds_read_b128 v[10:13], v24 offset:2048
	s_waitcnt lgkmcnt(0)
	v_mul_f64 v[14:15], v[8:9], v[12:13]
	v_mul_f64 v[16:17], v[6:7], v[12:13]
	v_fma_f64 v[14:15], v[6:7], v[10:11], -v[14:15]
	v_fma_f64 v[16:17], v[8:9], v[10:11], v[16:17]
	v_add_f64 v[36:37], v[36:37], v[14:15]
	v_add_f64 v[38:39], v[16:17], v[38:39]
	ds_read_b128 v[14:17], v24 offset:2304
	s_waitcnt lgkmcnt(0)
	v_mul_f64 v[40:41], v[8:9], v[16:17]
	v_fma_f64 v[40:41], v[6:7], v[14:15], -v[40:41]
	v_mul_f64 v[6:7], v[6:7], v[16:17]
	v_add_f64 v[30:31], v[30:31], v[40:41]
	v_fma_f64 v[6:7], v[8:9], v[14:15], v[6:7]
	v_add_f64 v[28:29], v[6:7], v[28:29]
	ds_read_b128 v[6:9], v25 offset:2112
	s_waitcnt lgkmcnt(0)
	v_mul_f64 v[40:41], v[8:9], v[12:13]
	v_mul_f64 v[12:13], v[6:7], v[12:13]
	v_fma_f64 v[40:41], v[6:7], v[10:11], -v[40:41]
	v_fma_f64 v[10:11], v[8:9], v[10:11], v[12:13]
	v_add_f64 v[32:33], v[32:33], v[40:41]
	v_add_f64 v[34:35], v[10:11], v[34:35]
	v_mul_f64 v[10:11], v[8:9], v[16:17]
	v_fma_f64 v[10:11], v[6:7], v[14:15], -v[10:11]
	v_mul_f64 v[6:7], v[6:7], v[16:17]
	v_add_f64 v[18:19], v[18:19], v[10:11]
	v_fma_f64 v[6:7], v[8:9], v[14:15], v[6:7]
	v_add_f64 v[20:21], v[6:7], v[20:21]
	ds_read_b128 v[6:9], v25 offset:80
	ds_read_b128 v[10:13], v24 offset:2560
	s_waitcnt lgkmcnt(0)
	v_mul_f64 v[14:15], v[8:9], v[12:13]
	v_mul_f64 v[16:17], v[6:7], v[12:13]
	v_fma_f64 v[14:15], v[6:7], v[10:11], -v[14:15]
	v_fma_f64 v[16:17], v[8:9], v[10:11], v[16:17]
	v_add_f64 v[36:37], v[36:37], v[14:15]
	v_add_f64 v[38:39], v[16:17], v[38:39]
	ds_read_b128 v[14:17], v24 offset:2816
	s_waitcnt lgkmcnt(0)
	v_mul_f64 v[40:41], v[8:9], v[16:17]
	v_fma_f64 v[40:41], v[6:7], v[14:15], -v[40:41]
	v_mul_f64 v[6:7], v[6:7], v[16:17]
	v_add_f64 v[30:31], v[30:31], v[40:41]
	v_fma_f64 v[6:7], v[8:9], v[14:15], v[6:7]
	v_add_f64 v[28:29], v[6:7], v[28:29]
	ds_read_b128 v[6:9], v25 offset:2128
	s_waitcnt lgkmcnt(0)
	v_mul_f64 v[40:41], v[8:9], v[12:13]
	v_mul_f64 v[12:13], v[6:7], v[12:13]
	v_fma_f64 v[40:41], v[6:7], v[10:11], -v[40:41]
	v_fma_f64 v[10:11], v[8:9], v[10:11], v[12:13]
	v_add_f64 v[32:33], v[32:33], v[40:41]
	v_add_f64 v[34:35], v[10:11], v[34:35]
	v_mul_f64 v[10:11], v[8:9], v[16:17]
	v_fma_f64 v[10:11], v[6:7], v[14:15], -v[10:11]
	v_mul_f64 v[6:7], v[6:7], v[16:17]
	v_add_f64 v[18:19], v[18:19], v[10:11]
	v_fma_f64 v[6:7], v[8:9], v[14:15], v[6:7]
	;; [unrolled: 31-line block ×3, first 2 shown]
	v_add_f64 v[50:51], v[6:7], v[20:21]
	ds_read_b128 v[6:9], v25 offset:112
	ds_read_b128 v[10:13], v24 offset:3584
	;; [unrolled: 1-line block ×4, first 2 shown]
	s_waitcnt lgkmcnt(0)
	s_barrier
	v_mul_f64 v[14:15], v[8:9], v[12:13]
	v_mul_f64 v[16:17], v[6:7], v[12:13]
	v_fma_f64 v[14:15], v[6:7], v[10:11], -v[14:15]
	v_fma_f64 v[16:17], v[8:9], v[10:11], v[16:17]
	v_add_f64 v[18:19], v[36:37], v[14:15]
	v_mul_f64 v[14:15], v[8:9], v[30:31]
	v_add_f64 v[20:21], v[16:17], v[38:39]
	v_fma_f64 v[14:15], v[6:7], v[28:29], -v[14:15]
	v_mul_f64 v[6:7], v[6:7], v[30:31]
	v_fma_f64 v[8:9], v[8:9], v[28:29], v[6:7]
	v_add_f64 v[6:7], v[40:41], v[14:15]
	v_mul_f64 v[14:15], v[34:35], v[12:13]
	v_mul_f64 v[12:13], v[32:33], v[12:13]
	v_add_f64 v[8:9], v[8:9], v[42:43]
	v_fma_f64 v[14:15], v[32:33], v[10:11], -v[14:15]
	v_fma_f64 v[10:11], v[34:35], v[10:11], v[12:13]
	v_mul_f64 v[12:13], v[32:33], v[30:31]
	v_add_f64 v[14:15], v[44:45], v[14:15]
	v_add_f64 v[16:17], v[10:11], v[46:47]
	v_mul_f64 v[10:11], v[34:35], v[30:31]
	v_fma_f64 v[10:11], v[32:33], v[28:29], -v[10:11]
	v_fma_f64 v[28:29], v[34:35], v[28:29], v[12:13]
	v_add_f64 v[12:13], v[48:49], v[10:11]
	v_add_f64 v[10:11], v[28:29], v[50:51]
	v_mov_b32_e32 v29, s7
	v_mov_b32_e32 v28, s6
	v_cmp_le_u64_e32 vcc, s[12:13], v[28:29]
	s_cbranch_vccz .LBB1183_2
	s_branch .LBB1183_4
.LBB1183_3:
	v_mov_b32_e32 v18, 0
	v_mov_b32_e32 v20, 0
	;; [unrolled: 1-line block ×16, first 2 shown]
.LBB1183_4:
	s_load_dwordx2 s[0:1], s[4:5], 0x70
	s_load_dword s11, s[4:5], 0x0
	s_load_dwordx4 s[20:23], s[4:5], 0x60
	v_add_u32_e32 v4, s10, v1
	v_ashrrev_i32_e32 v1, 31, v4
	s_waitcnt lgkmcnt(0)
	s_mul_i32 s1, s1, s8
	s_mul_hi_u32 s2, s0, s8
	s_add_i32 s1, s2, s1
	v_mul_lo_u32 v3, s22, v1
	v_mul_lo_u32 v5, s23, v4
	v_mad_u64_u32 v[1:2], s[2:3], s22, v4, 0
	s_mul_i32 s0, s0, s8
	s_lshl_b64 s[0:1], s[0:1], 4
	v_add3_u32 v2, v2, v3, v5
	s_add_u32 s6, s20, s0
	v_lshlrev_b64 v[1:2], 4, v[1:2]
	s_addc_u32 s7, s21, s1
	v_mov_b32_e32 v3, s7
	v_add_co_u32_e32 v5, vcc, s6, v1
	v_add_u32_e32 v0, s9, v0
	v_addc_co_u32_e32 v22, vcc, v3, v2, vcc
	v_cmp_le_i32_e64 s[0:1], v4, v0
	v_cmp_gt_i32_e32 vcc, s11, v0
	s_and_b64 s[0:1], s[0:1], vcc
	s_and_saveexec_b64 s[2:3], s[0:1]
	s_cbranch_execz .LBB1183_6
; %bb.5:
	v_mul_f64 v[1:2], s[16:17], v[20:21]
	v_mul_f64 v[20:21], s[14:15], v[20:21]
	v_fma_f64 v[23:24], s[14:15], v[18:19], -v[1:2]
	v_fma_f64 v[25:26], s[16:17], v[18:19], v[20:21]
	v_ashrrev_i32_e32 v1, 31, v0
	v_lshlrev_b64 v[1:2], 4, v[0:1]
	v_add_co_u32_e64 v1, s[0:1], v5, v1
	v_addc_co_u32_e64 v2, s[0:1], v22, v2, s[0:1]
	global_store_dwordx4 v[1:2], v[23:26], off
.LBB1183_6:
	s_or_b64 exec, exec, s[2:3]
	v_add_u32_e32 v2, 16, v0
	v_cmp_le_i32_e64 s[2:3], v4, v2
	v_cmp_gt_i32_e64 s[0:1], s11, v2
	s_and_b64 s[2:3], s[2:3], s[0:1]
	s_and_saveexec_b64 s[4:5], s[2:3]
	s_cbranch_execz .LBB1183_8
; %bb.7:
	v_mul_f64 v[18:19], s[16:17], v[8:9]
	v_mul_f64 v[8:9], s[14:15], v[8:9]
	v_ashrrev_i32_e32 v3, 31, v2
	v_fma_f64 v[18:19], s[14:15], v[6:7], -v[18:19]
	v_fma_f64 v[20:21], s[16:17], v[6:7], v[8:9]
	v_lshlrev_b64 v[6:7], 4, v[2:3]
	v_add_co_u32_e64 v5, s[2:3], v5, v6
	v_addc_co_u32_e64 v6, s[2:3], v22, v7, s[2:3]
	global_store_dwordx4 v[5:6], v[18:21], off
.LBB1183_8:
	s_or_b64 exec, exec, s[4:5]
	v_add_u32_e32 v3, 16, v4
	v_ashrrev_i32_e32 v1, 31, v3
	v_mul_lo_u32 v6, s23, v3
	v_mad_u64_u32 v[4:5], s[2:3], s22, v3, 0
	v_mul_lo_u32 v1, s22, v1
	v_add3_u32 v5, v5, v1, v6
	v_lshlrev_b64 v[4:5], 4, v[4:5]
	v_mov_b32_e32 v1, s7
	v_add_co_u32_e64 v4, s[2:3], s6, v4
	v_addc_co_u32_e64 v5, s[2:3], v1, v5, s[2:3]
	v_cmp_le_i32_e64 s[2:3], v3, v0
	s_and_b64 s[4:5], s[2:3], vcc
	s_and_saveexec_b64 s[2:3], s[4:5]
	s_cbranch_execz .LBB1183_10
; %bb.9:
	v_mul_f64 v[6:7], s[16:17], v[16:17]
	v_mul_f64 v[8:9], s[14:15], v[16:17]
	v_ashrrev_i32_e32 v1, 31, v0
	v_lshlrev_b64 v[0:1], 4, v[0:1]
	v_add_co_u32_e32 v0, vcc, v4, v0
	v_addc_co_u32_e32 v1, vcc, v5, v1, vcc
	v_fma_f64 v[6:7], s[14:15], v[14:15], -v[6:7]
	v_fma_f64 v[8:9], s[16:17], v[14:15], v[8:9]
	global_store_dwordx4 v[0:1], v[6:9], off
.LBB1183_10:
	s_or_b64 exec, exec, s[2:3]
	v_cmp_le_i32_e32 vcc, v3, v2
	s_and_b64 s[0:1], vcc, s[0:1]
	s_and_saveexec_b64 s[2:3], s[0:1]
	s_cbranch_execz .LBB1183_12
; %bb.11:
	v_mul_f64 v[0:1], s[16:17], v[10:11]
	v_mul_f64 v[8:9], s[14:15], v[10:11]
	v_ashrrev_i32_e32 v3, 31, v2
	v_fma_f64 v[6:7], s[14:15], v[12:13], -v[0:1]
	v_fma_f64 v[8:9], s[16:17], v[12:13], v[8:9]
	v_lshlrev_b64 v[0:1], 4, v[2:3]
	v_add_co_u32_e32 v0, vcc, v4, v0
	v_addc_co_u32_e32 v1, vcc, v5, v1, vcc
	global_store_dwordx4 v[0:1], v[6:9], off
.LBB1183_12:
	s_endpgm
	.section	.rodata,"a",@progbits
	.p2align	6, 0x0
	.amdhsa_kernel _ZL37rocblas_syrkx_herkx_restricted_kernelIl19rocblas_complex_numIdELi16ELi32ELi8ELb1ELb0ELc78ELc76EKS1_S1_EviT_T0_PT8_S3_lS6_S3_lS4_PT9_S3_li
		.amdhsa_group_segment_fixed_size 8192
		.amdhsa_private_segment_fixed_size 0
		.amdhsa_kernarg_size 124
		.amdhsa_user_sgpr_count 6
		.amdhsa_user_sgpr_private_segment_buffer 1
		.amdhsa_user_sgpr_dispatch_ptr 0
		.amdhsa_user_sgpr_queue_ptr 0
		.amdhsa_user_sgpr_kernarg_segment_ptr 1
		.amdhsa_user_sgpr_dispatch_id 0
		.amdhsa_user_sgpr_flat_scratch_init 0
		.amdhsa_user_sgpr_private_segment_size 0
		.amdhsa_uses_dynamic_stack 0
		.amdhsa_system_sgpr_private_segment_wavefront_offset 0
		.amdhsa_system_sgpr_workgroup_id_x 1
		.amdhsa_system_sgpr_workgroup_id_y 1
		.amdhsa_system_sgpr_workgroup_id_z 1
		.amdhsa_system_sgpr_workgroup_info 0
		.amdhsa_system_vgpr_workitem_id 1
		.amdhsa_next_free_vgpr 54
		.amdhsa_next_free_sgpr 61
		.amdhsa_reserve_vcc 1
		.amdhsa_reserve_flat_scratch 0
		.amdhsa_float_round_mode_32 0
		.amdhsa_float_round_mode_16_64 0
		.amdhsa_float_denorm_mode_32 3
		.amdhsa_float_denorm_mode_16_64 3
		.amdhsa_dx10_clamp 1
		.amdhsa_ieee_mode 1
		.amdhsa_fp16_overflow 0
		.amdhsa_exception_fp_ieee_invalid_op 0
		.amdhsa_exception_fp_denorm_src 0
		.amdhsa_exception_fp_ieee_div_zero 0
		.amdhsa_exception_fp_ieee_overflow 0
		.amdhsa_exception_fp_ieee_underflow 0
		.amdhsa_exception_fp_ieee_inexact 0
		.amdhsa_exception_int_div_zero 0
	.end_amdhsa_kernel
	.section	.text._ZL37rocblas_syrkx_herkx_restricted_kernelIl19rocblas_complex_numIdELi16ELi32ELi8ELb1ELb0ELc78ELc76EKS1_S1_EviT_T0_PT8_S3_lS6_S3_lS4_PT9_S3_li,"axG",@progbits,_ZL37rocblas_syrkx_herkx_restricted_kernelIl19rocblas_complex_numIdELi16ELi32ELi8ELb1ELb0ELc78ELc76EKS1_S1_EviT_T0_PT8_S3_lS6_S3_lS4_PT9_S3_li,comdat
.Lfunc_end1183:
	.size	_ZL37rocblas_syrkx_herkx_restricted_kernelIl19rocblas_complex_numIdELi16ELi32ELi8ELb1ELb0ELc78ELc76EKS1_S1_EviT_T0_PT8_S3_lS6_S3_lS4_PT9_S3_li, .Lfunc_end1183-_ZL37rocblas_syrkx_herkx_restricted_kernelIl19rocblas_complex_numIdELi16ELi32ELi8ELb1ELb0ELc78ELc76EKS1_S1_EviT_T0_PT8_S3_lS6_S3_lS4_PT9_S3_li
                                        ; -- End function
	.set _ZL37rocblas_syrkx_herkx_restricted_kernelIl19rocblas_complex_numIdELi16ELi32ELi8ELb1ELb0ELc78ELc76EKS1_S1_EviT_T0_PT8_S3_lS6_S3_lS4_PT9_S3_li.num_vgpr, 54
	.set _ZL37rocblas_syrkx_herkx_restricted_kernelIl19rocblas_complex_numIdELi16ELi32ELi8ELb1ELb0ELc78ELc76EKS1_S1_EviT_T0_PT8_S3_lS6_S3_lS4_PT9_S3_li.num_agpr, 0
	.set _ZL37rocblas_syrkx_herkx_restricted_kernelIl19rocblas_complex_numIdELi16ELi32ELi8ELb1ELb0ELc78ELc76EKS1_S1_EviT_T0_PT8_S3_lS6_S3_lS4_PT9_S3_li.numbered_sgpr, 28
	.set _ZL37rocblas_syrkx_herkx_restricted_kernelIl19rocblas_complex_numIdELi16ELi32ELi8ELb1ELb0ELc78ELc76EKS1_S1_EviT_T0_PT8_S3_lS6_S3_lS4_PT9_S3_li.num_named_barrier, 0
	.set _ZL37rocblas_syrkx_herkx_restricted_kernelIl19rocblas_complex_numIdELi16ELi32ELi8ELb1ELb0ELc78ELc76EKS1_S1_EviT_T0_PT8_S3_lS6_S3_lS4_PT9_S3_li.private_seg_size, 0
	.set _ZL37rocblas_syrkx_herkx_restricted_kernelIl19rocblas_complex_numIdELi16ELi32ELi8ELb1ELb0ELc78ELc76EKS1_S1_EviT_T0_PT8_S3_lS6_S3_lS4_PT9_S3_li.uses_vcc, 1
	.set _ZL37rocblas_syrkx_herkx_restricted_kernelIl19rocblas_complex_numIdELi16ELi32ELi8ELb1ELb0ELc78ELc76EKS1_S1_EviT_T0_PT8_S3_lS6_S3_lS4_PT9_S3_li.uses_flat_scratch, 0
	.set _ZL37rocblas_syrkx_herkx_restricted_kernelIl19rocblas_complex_numIdELi16ELi32ELi8ELb1ELb0ELc78ELc76EKS1_S1_EviT_T0_PT8_S3_lS6_S3_lS4_PT9_S3_li.has_dyn_sized_stack, 0
	.set _ZL37rocblas_syrkx_herkx_restricted_kernelIl19rocblas_complex_numIdELi16ELi32ELi8ELb1ELb0ELc78ELc76EKS1_S1_EviT_T0_PT8_S3_lS6_S3_lS4_PT9_S3_li.has_recursion, 0
	.set _ZL37rocblas_syrkx_herkx_restricted_kernelIl19rocblas_complex_numIdELi16ELi32ELi8ELb1ELb0ELc78ELc76EKS1_S1_EviT_T0_PT8_S3_lS6_S3_lS4_PT9_S3_li.has_indirect_call, 0
	.section	.AMDGPU.csdata,"",@progbits
; Kernel info:
; codeLenInByte = 2972
; TotalNumSgprs: 32
; NumVgprs: 54
; ScratchSize: 0
; MemoryBound: 0
; FloatMode: 240
; IeeeMode: 1
; LDSByteSize: 8192 bytes/workgroup (compile time only)
; SGPRBlocks: 8
; VGPRBlocks: 13
; NumSGPRsForWavesPerEU: 65
; NumVGPRsForWavesPerEU: 54
; Occupancy: 4
; WaveLimiterHint : 1
; COMPUTE_PGM_RSRC2:SCRATCH_EN: 0
; COMPUTE_PGM_RSRC2:USER_SGPR: 6
; COMPUTE_PGM_RSRC2:TRAP_HANDLER: 0
; COMPUTE_PGM_RSRC2:TGID_X_EN: 1
; COMPUTE_PGM_RSRC2:TGID_Y_EN: 1
; COMPUTE_PGM_RSRC2:TGID_Z_EN: 1
; COMPUTE_PGM_RSRC2:TIDIG_COMP_CNT: 1
	.section	.text._ZL37rocblas_syrkx_herkx_restricted_kernelIl19rocblas_complex_numIdELi16ELi32ELi8ELb1ELb0ELc84ELc85EKS1_S1_EviT_T0_PT8_S3_lS6_S3_lS4_PT9_S3_li,"axG",@progbits,_ZL37rocblas_syrkx_herkx_restricted_kernelIl19rocblas_complex_numIdELi16ELi32ELi8ELb1ELb0ELc84ELc85EKS1_S1_EviT_T0_PT8_S3_lS6_S3_lS4_PT9_S3_li,comdat
	.globl	_ZL37rocblas_syrkx_herkx_restricted_kernelIl19rocblas_complex_numIdELi16ELi32ELi8ELb1ELb0ELc84ELc85EKS1_S1_EviT_T0_PT8_S3_lS6_S3_lS4_PT9_S3_li ; -- Begin function _ZL37rocblas_syrkx_herkx_restricted_kernelIl19rocblas_complex_numIdELi16ELi32ELi8ELb1ELb0ELc84ELc85EKS1_S1_EviT_T0_PT8_S3_lS6_S3_lS4_PT9_S3_li
	.p2align	8
	.type	_ZL37rocblas_syrkx_herkx_restricted_kernelIl19rocblas_complex_numIdELi16ELi32ELi8ELb1ELb0ELc84ELc85EKS1_S1_EviT_T0_PT8_S3_lS6_S3_lS4_PT9_S3_li,@function
_ZL37rocblas_syrkx_herkx_restricted_kernelIl19rocblas_complex_numIdELi16ELi32ELi8ELb1ELb0ELc84ELc85EKS1_S1_EviT_T0_PT8_S3_lS6_S3_lS4_PT9_S3_li: ; @_ZL37rocblas_syrkx_herkx_restricted_kernelIl19rocblas_complex_numIdELi16ELi32ELi8ELb1ELb0ELc84ELc85EKS1_S1_EviT_T0_PT8_S3_lS6_S3_lS4_PT9_S3_li
; %bb.0:
	s_load_dwordx16 s[12:27], s[4:5], 0x8
	s_lshl_b32 s6, s6, 5
	s_lshl_b32 s7, s7, 5
	s_waitcnt lgkmcnt(0)
	v_cmp_lt_i64_e64 s[0:1], s[12:13], 1
	s_and_b64 vcc, exec, s[0:1]
	s_cbranch_vccnz .LBB1184_3
; %bb.1:
	v_lshl_add_u32 v7, v1, 4, v0
	v_lshrrev_b32_e32 v8, 3, v7
	v_add_u32_e32 v4, s7, v8
	v_and_b32_e32 v2, 7, v0
	v_ashrrev_i32_e32 v5, 31, v4
	v_mov_b32_e32 v3, 0
	v_mul_lo_u32 v9, s26, v5
	v_mul_lo_u32 v10, s27, v4
	v_mad_u64_u32 v[4:5], s[0:1], s26, v4, v[2:3]
	v_lshlrev_b32_e32 v2, 4, v2
	v_and_b32_e32 v11, 31, v7
	v_lshl_or_b32 v2, v8, 7, v2
	v_add_u32_e32 v23, 0x1000, v2
	v_mov_b32_e32 v2, 0x1000
	v_add_u32_e32 v8, s6, v11
	v_lshrrev_b32_e32 v6, 5, v7
	v_mov_b32_e32 v7, v3
	v_lshlrev_b32_e32 v3, 4, v11
	v_lshl_add_u32 v25, v1, 7, v2
	v_ashrrev_i32_e32 v2, 31, v8
	v_add3_u32 v5, v10, v5, v9
	v_lshl_or_b32 v22, v6, 9, v3
	v_mul_lo_u32 v9, s20, v2
	v_mad_u64_u32 v[2:3], s[2:3], s20, v8, v[6:7]
	v_mul_lo_u32 v6, s21, v8
	s_load_dwordx2 s[0:1], s[4:5], 0x48
	s_mul_i32 s9, s23, s8
	s_mul_hi_u32 s10, s22, s8
	s_add_i32 s3, s10, s9
	s_mul_i32 s2, s22, s8
	v_add3_u32 v3, v6, v3, v9
	s_lshl_b64 s[2:3], s[2:3], 4
	v_lshlrev_b64 v[2:3], 4, v[2:3]
	s_add_u32 s2, s18, s2
	s_addc_u32 s3, s19, s3
	v_add_co_u32_e32 v2, vcc, s2, v2
	s_waitcnt lgkmcnt(0)
	s_mul_i32 s1, s1, s8
	s_mul_hi_u32 s2, s0, s8
	v_mov_b32_e32 v6, s3
	s_add_i32 s1, s2, s1
	s_mul_i32 s0, s0, s8
	v_addc_co_u32_e32 v3, vcc, v6, v3, vcc
	s_lshl_b64 s[0:1], s[0:1], 4
	v_add_co_u32_e32 v2, vcc, 8, v2
	v_lshlrev_b64 v[4:5], 4, v[4:5]
	s_add_u32 s0, s24, s0
	v_addc_co_u32_e32 v3, vcc, 0, v3, vcc
	s_addc_u32 s1, s25, s1
	v_mov_b32_e32 v6, s1
	v_add_co_u32_e32 v4, vcc, s0, v4
	v_addc_co_u32_e32 v5, vcc, v6, v5, vcc
	v_add_co_u32_e32 v4, vcc, 8, v4
	v_mov_b32_e32 v10, 0
	v_mov_b32_e32 v12, 0
	;; [unrolled: 1-line block ×8, first 2 shown]
	v_lshlrev_b32_e32 v24, 4, v0
	v_addc_co_u32_e32 v5, vcc, 0, v5, vcc
	v_mov_b32_e32 v11, 0
	v_mov_b32_e32 v13, 0
	;; [unrolled: 1-line block ×8, first 2 shown]
	s_mov_b64 s[0:1], 0
.LBB1184_2:                             ; =>This Inner Loop Header: Depth=1
	global_load_dwordx4 v[26:29], v[2:3], off offset:-8
	s_add_u32 s0, s0, 8
	v_add_co_u32_e32 v2, vcc, 0x80, v2
	s_addc_u32 s1, s1, 0
	v_addc_co_u32_e32 v3, vcc, 0, v3, vcc
	s_waitcnt vmcnt(0)
	ds_write_b128 v22, v[26:29]
	global_load_dwordx4 v[26:29], v[4:5], off offset:-8
	v_add_co_u32_e32 v4, vcc, 0x80, v4
	v_addc_co_u32_e32 v5, vcc, 0, v5, vcc
	s_waitcnt vmcnt(0)
	ds_write_b128 v23, v[26:29]
	s_waitcnt lgkmcnt(0)
	s_barrier
	ds_read_b128 v[26:29], v25
	ds_read_b128 v[30:33], v25 offset:16
	ds_read_b128 v[34:37], v25 offset:32
	;; [unrolled: 1-line block ×3, first 2 shown]
	ds_read_b128 v[42:45], v24
	s_waitcnt lgkmcnt(0)
	v_mul_f64 v[46:47], v[28:29], v[44:45]
	v_mul_f64 v[48:49], v[26:27], v[44:45]
	v_fma_f64 v[46:47], v[26:27], v[42:43], -v[46:47]
	v_fma_f64 v[48:49], v[28:29], v[42:43], v[48:49]
	v_add_f64 v[46:47], v[14:15], v[46:47]
	v_add_f64 v[48:49], v[48:49], v[16:17]
	ds_read_b128 v[14:17], v24 offset:256
	s_waitcnt lgkmcnt(0)
	v_mul_f64 v[50:51], v[28:29], v[16:17]
	v_fma_f64 v[50:51], v[26:27], v[14:15], -v[50:51]
	v_mul_f64 v[26:27], v[26:27], v[16:17]
	v_fma_f64 v[26:27], v[28:29], v[14:15], v[26:27]
	v_add_f64 v[28:29], v[6:7], v[50:51]
	v_add_f64 v[26:27], v[26:27], v[8:9]
	ds_read_b128 v[6:9], v25 offset:2048
	s_waitcnt lgkmcnt(0)
	v_mul_f64 v[50:51], v[8:9], v[44:45]
	v_mul_f64 v[44:45], v[6:7], v[44:45]
	v_fma_f64 v[50:51], v[6:7], v[42:43], -v[50:51]
	v_fma_f64 v[42:43], v[8:9], v[42:43], v[44:45]
	v_add_f64 v[18:19], v[18:19], v[50:51]
	v_add_f64 v[20:21], v[42:43], v[20:21]
	v_mul_f64 v[42:43], v[8:9], v[16:17]
	v_fma_f64 v[42:43], v[6:7], v[14:15], -v[42:43]
	v_mul_f64 v[6:7], v[6:7], v[16:17]
	v_add_f64 v[42:43], v[12:13], v[42:43]
	v_fma_f64 v[6:7], v[8:9], v[14:15], v[6:7]
	v_add_f64 v[44:45], v[6:7], v[10:11]
	ds_read_b128 v[6:9], v24 offset:512
	s_waitcnt lgkmcnt(0)
	v_mul_f64 v[10:11], v[32:33], v[8:9]
	v_mul_f64 v[12:13], v[30:31], v[8:9]
	v_fma_f64 v[10:11], v[30:31], v[6:7], -v[10:11]
	v_fma_f64 v[12:13], v[32:33], v[6:7], v[12:13]
	v_add_f64 v[46:47], v[46:47], v[10:11]
	v_add_f64 v[48:49], v[12:13], v[48:49]
	ds_read_b128 v[10:13], v24 offset:768
	s_waitcnt lgkmcnt(0)
	v_mul_f64 v[14:15], v[32:33], v[12:13]
	v_mul_f64 v[16:17], v[30:31], v[12:13]
	v_fma_f64 v[14:15], v[30:31], v[10:11], -v[14:15]
	v_fma_f64 v[16:17], v[32:33], v[10:11], v[16:17]
	v_add_f64 v[28:29], v[28:29], v[14:15]
	v_add_f64 v[26:27], v[16:17], v[26:27]
	ds_read_b128 v[14:17], v25 offset:2064
	s_waitcnt lgkmcnt(0)
	v_mul_f64 v[30:31], v[16:17], v[8:9]
	v_mul_f64 v[8:9], v[14:15], v[8:9]
	v_fma_f64 v[30:31], v[14:15], v[6:7], -v[30:31]
	v_fma_f64 v[6:7], v[16:17], v[6:7], v[8:9]
	v_mul_f64 v[8:9], v[14:15], v[12:13]
	v_add_f64 v[18:19], v[18:19], v[30:31]
	v_add_f64 v[20:21], v[6:7], v[20:21]
	v_mul_f64 v[6:7], v[16:17], v[12:13]
	v_fma_f64 v[8:9], v[16:17], v[10:11], v[8:9]
	v_fma_f64 v[6:7], v[14:15], v[10:11], -v[6:7]
	v_add_f64 v[32:33], v[8:9], v[44:45]
	v_add_f64 v[30:31], v[42:43], v[6:7]
	ds_read_b128 v[6:9], v24 offset:1024
	s_waitcnt lgkmcnt(0)
	v_mul_f64 v[10:11], v[36:37], v[8:9]
	v_mul_f64 v[12:13], v[34:35], v[8:9]
	v_fma_f64 v[10:11], v[34:35], v[6:7], -v[10:11]
	v_fma_f64 v[12:13], v[36:37], v[6:7], v[12:13]
	v_add_f64 v[42:43], v[46:47], v[10:11]
	v_add_f64 v[44:45], v[12:13], v[48:49]
	ds_read_b128 v[10:13], v24 offset:1280
	s_waitcnt lgkmcnt(0)
	v_mul_f64 v[14:15], v[36:37], v[12:13]
	v_mul_f64 v[16:17], v[34:35], v[12:13]
	v_fma_f64 v[14:15], v[34:35], v[10:11], -v[14:15]
	v_fma_f64 v[16:17], v[36:37], v[10:11], v[16:17]
	v_add_f64 v[28:29], v[28:29], v[14:15]
	v_add_f64 v[26:27], v[16:17], v[26:27]
	ds_read_b128 v[14:17], v25 offset:2080
	s_waitcnt lgkmcnt(0)
	v_mul_f64 v[34:35], v[16:17], v[8:9]
	v_mul_f64 v[8:9], v[14:15], v[8:9]
	v_fma_f64 v[34:35], v[14:15], v[6:7], -v[34:35]
	v_fma_f64 v[6:7], v[16:17], v[6:7], v[8:9]
	v_mul_f64 v[8:9], v[14:15], v[12:13]
	v_add_f64 v[18:19], v[18:19], v[34:35]
	v_add_f64 v[20:21], v[6:7], v[20:21]
	v_mul_f64 v[6:7], v[16:17], v[12:13]
	v_fma_f64 v[8:9], v[16:17], v[10:11], v[8:9]
	v_fma_f64 v[6:7], v[14:15], v[10:11], -v[6:7]
	v_add_f64 v[32:33], v[8:9], v[32:33]
	;; [unrolled: 30-line block ×3, first 2 shown]
	v_add_f64 v[30:31], v[30:31], v[6:7]
	ds_read_b128 v[6:9], v25 offset:64
	ds_read_b128 v[10:13], v24 offset:2048
	s_waitcnt lgkmcnt(0)
	v_mul_f64 v[14:15], v[8:9], v[12:13]
	v_mul_f64 v[16:17], v[6:7], v[12:13]
	v_fma_f64 v[14:15], v[6:7], v[10:11], -v[14:15]
	v_fma_f64 v[16:17], v[8:9], v[10:11], v[16:17]
	v_add_f64 v[34:35], v[34:35], v[14:15]
	v_add_f64 v[36:37], v[16:17], v[36:37]
	ds_read_b128 v[14:17], v24 offset:2304
	s_waitcnt lgkmcnt(0)
	v_mul_f64 v[38:39], v[8:9], v[16:17]
	v_fma_f64 v[38:39], v[6:7], v[14:15], -v[38:39]
	v_mul_f64 v[6:7], v[6:7], v[16:17]
	v_add_f64 v[28:29], v[28:29], v[38:39]
	v_fma_f64 v[6:7], v[8:9], v[14:15], v[6:7]
	v_add_f64 v[26:27], v[6:7], v[26:27]
	ds_read_b128 v[6:9], v25 offset:2112
	s_waitcnt lgkmcnt(0)
	v_mul_f64 v[38:39], v[8:9], v[12:13]
	v_mul_f64 v[12:13], v[6:7], v[12:13]
	v_fma_f64 v[38:39], v[6:7], v[10:11], -v[38:39]
	v_fma_f64 v[10:11], v[8:9], v[10:11], v[12:13]
	v_add_f64 v[18:19], v[18:19], v[38:39]
	v_add_f64 v[20:21], v[10:11], v[20:21]
	v_mul_f64 v[10:11], v[8:9], v[16:17]
	v_fma_f64 v[10:11], v[6:7], v[14:15], -v[10:11]
	v_mul_f64 v[6:7], v[6:7], v[16:17]
	v_add_f64 v[30:31], v[30:31], v[10:11]
	v_fma_f64 v[6:7], v[8:9], v[14:15], v[6:7]
	v_add_f64 v[32:33], v[6:7], v[32:33]
	ds_read_b128 v[6:9], v25 offset:80
	ds_read_b128 v[10:13], v24 offset:2560
	s_waitcnt lgkmcnt(0)
	v_mul_f64 v[14:15], v[8:9], v[12:13]
	v_mul_f64 v[16:17], v[6:7], v[12:13]
	v_fma_f64 v[14:15], v[6:7], v[10:11], -v[14:15]
	v_fma_f64 v[16:17], v[8:9], v[10:11], v[16:17]
	v_add_f64 v[34:35], v[34:35], v[14:15]
	v_add_f64 v[36:37], v[16:17], v[36:37]
	ds_read_b128 v[14:17], v24 offset:2816
	s_waitcnt lgkmcnt(0)
	v_mul_f64 v[38:39], v[8:9], v[16:17]
	v_fma_f64 v[38:39], v[6:7], v[14:15], -v[38:39]
	v_mul_f64 v[6:7], v[6:7], v[16:17]
	v_add_f64 v[28:29], v[28:29], v[38:39]
	v_fma_f64 v[6:7], v[8:9], v[14:15], v[6:7]
	v_add_f64 v[26:27], v[6:7], v[26:27]
	ds_read_b128 v[6:9], v25 offset:2128
	s_waitcnt lgkmcnt(0)
	v_mul_f64 v[38:39], v[8:9], v[12:13]
	v_mul_f64 v[12:13], v[6:7], v[12:13]
	v_fma_f64 v[38:39], v[6:7], v[10:11], -v[38:39]
	v_fma_f64 v[10:11], v[8:9], v[10:11], v[12:13]
	v_add_f64 v[18:19], v[18:19], v[38:39]
	v_add_f64 v[20:21], v[10:11], v[20:21]
	v_mul_f64 v[10:11], v[8:9], v[16:17]
	v_fma_f64 v[10:11], v[6:7], v[14:15], -v[10:11]
	v_mul_f64 v[6:7], v[6:7], v[16:17]
	v_add_f64 v[30:31], v[30:31], v[10:11]
	v_fma_f64 v[6:7], v[8:9], v[14:15], v[6:7]
	;; [unrolled: 31-line block ×3, first 2 shown]
	v_add_f64 v[44:45], v[6:7], v[32:33]
	ds_read_b128 v[6:9], v25 offset:112
	ds_read_b128 v[10:13], v24 offset:3584
	;; [unrolled: 1-line block ×3, first 2 shown]
	s_waitcnt lgkmcnt(1)
	v_mul_f64 v[14:15], v[8:9], v[12:13]
	s_waitcnt lgkmcnt(0)
	v_mul_f64 v[30:31], v[8:9], v[28:29]
	v_mul_f64 v[16:17], v[6:7], v[12:13]
	v_fma_f64 v[14:15], v[6:7], v[10:11], -v[14:15]
	v_fma_f64 v[30:31], v[6:7], v[26:27], -v[30:31]
	v_mul_f64 v[6:7], v[6:7], v[28:29]
	v_fma_f64 v[16:17], v[8:9], v[10:11], v[16:17]
	v_add_f64 v[14:15], v[34:35], v[14:15]
	v_fma_f64 v[8:9], v[8:9], v[26:27], v[6:7]
	v_add_f64 v[6:7], v[38:39], v[30:31]
	ds_read_b128 v[30:33], v25 offset:2160
	v_add_f64 v[16:17], v[16:17], v[36:37]
	s_waitcnt lgkmcnt(0)
	s_barrier
	v_mul_f64 v[34:35], v[32:33], v[12:13]
	v_mul_f64 v[12:13], v[30:31], v[12:13]
	v_add_f64 v[8:9], v[8:9], v[40:41]
	v_fma_f64 v[34:35], v[30:31], v[10:11], -v[34:35]
	v_fma_f64 v[10:11], v[32:33], v[10:11], v[12:13]
	v_mul_f64 v[12:13], v[30:31], v[28:29]
	v_add_f64 v[18:19], v[18:19], v[34:35]
	v_add_f64 v[20:21], v[10:11], v[20:21]
	v_mul_f64 v[10:11], v[32:33], v[28:29]
	v_fma_f64 v[10:11], v[30:31], v[26:27], -v[10:11]
	v_fma_f64 v[26:27], v[32:33], v[26:27], v[12:13]
	v_add_f64 v[12:13], v[42:43], v[10:11]
	v_add_f64 v[10:11], v[26:27], v[44:45]
	v_mov_b32_e32 v27, s1
	v_mov_b32_e32 v26, s0
	v_cmp_le_u64_e32 vcc, s[12:13], v[26:27]
	s_cbranch_vccz .LBB1184_2
	s_branch .LBB1184_4
.LBB1184_3:
	v_mov_b32_e32 v14, 0
	v_mov_b32_e32 v16, 0
	;; [unrolled: 1-line block ×16, first 2 shown]
.LBB1184_4:
	s_load_dwordx2 s[10:11], s[4:5], 0x70
	s_load_dword s9, s[4:5], 0x0
	s_load_dwordx4 s[0:3], s[4:5], 0x60
	v_add_u32_e32 v4, s7, v1
	v_ashrrev_i32_e32 v1, 31, v4
	s_waitcnt lgkmcnt(0)
	s_mul_i32 s5, s11, s8
	s_mul_hi_u32 s11, s10, s8
	s_mul_i32 s4, s10, s8
	s_add_i32 s5, s11, s5
	v_mul_lo_u32 v3, s2, v1
	v_mul_lo_u32 v5, s3, v4
	v_mad_u64_u32 v[1:2], s[10:11], s2, v4, 0
	s_lshl_b64 s[4:5], s[4:5], 4
	s_add_u32 s8, s0, s4
	v_add3_u32 v2, v2, v3, v5
	v_lshlrev_b64 v[1:2], 4, v[1:2]
	s_addc_u32 s7, s1, s5
	v_mov_b32_e32 v3, s7
	v_add_co_u32_e64 v5, s[0:1], s8, v1
	v_add_u32_e32 v0, s6, v0
	v_addc_co_u32_e64 v22, s[0:1], v3, v2, s[0:1]
	v_cmp_gt_i32_e32 vcc, s9, v4
	v_cmp_le_i32_e64 s[0:1], v0, v4
	s_and_b64 s[0:1], vcc, s[0:1]
	s_and_saveexec_b64 s[4:5], s[0:1]
	s_cbranch_execz .LBB1184_6
; %bb.5:
	v_mul_f64 v[1:2], s[16:17], v[16:17]
	v_mul_f64 v[16:17], s[14:15], v[16:17]
	v_fma_f64 v[23:24], s[14:15], v[14:15], -v[1:2]
	v_fma_f64 v[25:26], s[16:17], v[14:15], v[16:17]
	v_ashrrev_i32_e32 v1, 31, v0
	v_lshlrev_b64 v[1:2], 4, v[0:1]
	v_add_co_u32_e64 v1, s[0:1], v5, v1
	v_addc_co_u32_e64 v2, s[0:1], v22, v2, s[0:1]
	global_store_dwordx4 v[1:2], v[23:26], off
.LBB1184_6:
	s_or_b64 exec, exec, s[4:5]
	v_add_u32_e32 v2, 16, v0
	v_cmp_le_i32_e64 s[0:1], v2, v4
	s_and_b64 s[4:5], vcc, s[0:1]
	s_and_saveexec_b64 s[0:1], s[4:5]
	s_cbranch_execz .LBB1184_8
; %bb.7:
	v_mul_f64 v[14:15], s[16:17], v[8:9]
	v_mul_f64 v[8:9], s[14:15], v[8:9]
	v_ashrrev_i32_e32 v3, 31, v2
	v_fma_f64 v[14:15], s[14:15], v[6:7], -v[14:15]
	v_fma_f64 v[16:17], s[16:17], v[6:7], v[8:9]
	v_lshlrev_b64 v[6:7], 4, v[2:3]
	v_add_co_u32_e32 v5, vcc, v5, v6
	v_addc_co_u32_e32 v6, vcc, v22, v7, vcc
	global_store_dwordx4 v[5:6], v[14:17], off
.LBB1184_8:
	s_or_b64 exec, exec, s[0:1]
	v_add_u32_e32 v3, 16, v4
	v_ashrrev_i32_e32 v1, 31, v3
	v_mul_lo_u32 v1, s2, v1
	v_mul_lo_u32 v6, s3, v3
	v_mad_u64_u32 v[4:5], s[0:1], s2, v3, 0
	v_cmp_gt_i32_e32 vcc, s9, v3
	v_add3_u32 v5, v5, v1, v6
	v_lshlrev_b64 v[4:5], 4, v[4:5]
	v_mov_b32_e32 v1, s7
	v_add_co_u32_e64 v4, s[0:1], s8, v4
	v_addc_co_u32_e64 v5, s[0:1], v1, v5, s[0:1]
	v_cmp_le_i32_e64 s[0:1], v0, v3
	s_and_b64 s[0:1], vcc, s[0:1]
	s_and_saveexec_b64 s[2:3], s[0:1]
	s_cbranch_execz .LBB1184_10
; %bb.9:
	v_mul_f64 v[6:7], s[16:17], v[20:21]
	v_mul_f64 v[8:9], s[14:15], v[20:21]
	v_ashrrev_i32_e32 v1, 31, v0
	v_lshlrev_b64 v[0:1], 4, v[0:1]
	v_add_co_u32_e64 v0, s[0:1], v4, v0
	v_addc_co_u32_e64 v1, s[0:1], v5, v1, s[0:1]
	v_fma_f64 v[6:7], s[14:15], v[18:19], -v[6:7]
	v_fma_f64 v[8:9], s[16:17], v[18:19], v[8:9]
	global_store_dwordx4 v[0:1], v[6:9], off
.LBB1184_10:
	s_or_b64 exec, exec, s[2:3]
	v_cmp_le_i32_e64 s[0:1], v2, v3
	s_and_b64 s[0:1], vcc, s[0:1]
	s_and_saveexec_b64 s[2:3], s[0:1]
	s_cbranch_execz .LBB1184_12
; %bb.11:
	v_mul_f64 v[0:1], s[16:17], v[10:11]
	v_mul_f64 v[8:9], s[14:15], v[10:11]
	v_ashrrev_i32_e32 v3, 31, v2
	v_fma_f64 v[6:7], s[14:15], v[12:13], -v[0:1]
	v_fma_f64 v[8:9], s[16:17], v[12:13], v[8:9]
	v_lshlrev_b64 v[0:1], 4, v[2:3]
	v_add_co_u32_e32 v0, vcc, v4, v0
	v_addc_co_u32_e32 v1, vcc, v5, v1, vcc
	global_store_dwordx4 v[0:1], v[6:9], off
.LBB1184_12:
	s_endpgm
	.section	.rodata,"a",@progbits
	.p2align	6, 0x0
	.amdhsa_kernel _ZL37rocblas_syrkx_herkx_restricted_kernelIl19rocblas_complex_numIdELi16ELi32ELi8ELb1ELb0ELc84ELc85EKS1_S1_EviT_T0_PT8_S3_lS6_S3_lS4_PT9_S3_li
		.amdhsa_group_segment_fixed_size 8192
		.amdhsa_private_segment_fixed_size 0
		.amdhsa_kernarg_size 124
		.amdhsa_user_sgpr_count 6
		.amdhsa_user_sgpr_private_segment_buffer 1
		.amdhsa_user_sgpr_dispatch_ptr 0
		.amdhsa_user_sgpr_queue_ptr 0
		.amdhsa_user_sgpr_kernarg_segment_ptr 1
		.amdhsa_user_sgpr_dispatch_id 0
		.amdhsa_user_sgpr_flat_scratch_init 0
		.amdhsa_user_sgpr_private_segment_size 0
		.amdhsa_uses_dynamic_stack 0
		.amdhsa_system_sgpr_private_segment_wavefront_offset 0
		.amdhsa_system_sgpr_workgroup_id_x 1
		.amdhsa_system_sgpr_workgroup_id_y 1
		.amdhsa_system_sgpr_workgroup_id_z 1
		.amdhsa_system_sgpr_workgroup_info 0
		.amdhsa_system_vgpr_workitem_id 1
		.amdhsa_next_free_vgpr 52
		.amdhsa_next_free_sgpr 61
		.amdhsa_reserve_vcc 1
		.amdhsa_reserve_flat_scratch 0
		.amdhsa_float_round_mode_32 0
		.amdhsa_float_round_mode_16_64 0
		.amdhsa_float_denorm_mode_32 3
		.amdhsa_float_denorm_mode_16_64 3
		.amdhsa_dx10_clamp 1
		.amdhsa_ieee_mode 1
		.amdhsa_fp16_overflow 0
		.amdhsa_exception_fp_ieee_invalid_op 0
		.amdhsa_exception_fp_denorm_src 0
		.amdhsa_exception_fp_ieee_div_zero 0
		.amdhsa_exception_fp_ieee_overflow 0
		.amdhsa_exception_fp_ieee_underflow 0
		.amdhsa_exception_fp_ieee_inexact 0
		.amdhsa_exception_int_div_zero 0
	.end_amdhsa_kernel
	.section	.text._ZL37rocblas_syrkx_herkx_restricted_kernelIl19rocblas_complex_numIdELi16ELi32ELi8ELb1ELb0ELc84ELc85EKS1_S1_EviT_T0_PT8_S3_lS6_S3_lS4_PT9_S3_li,"axG",@progbits,_ZL37rocblas_syrkx_herkx_restricted_kernelIl19rocblas_complex_numIdELi16ELi32ELi8ELb1ELb0ELc84ELc85EKS1_S1_EviT_T0_PT8_S3_lS6_S3_lS4_PT9_S3_li,comdat
.Lfunc_end1184:
	.size	_ZL37rocblas_syrkx_herkx_restricted_kernelIl19rocblas_complex_numIdELi16ELi32ELi8ELb1ELb0ELc84ELc85EKS1_S1_EviT_T0_PT8_S3_lS6_S3_lS4_PT9_S3_li, .Lfunc_end1184-_ZL37rocblas_syrkx_herkx_restricted_kernelIl19rocblas_complex_numIdELi16ELi32ELi8ELb1ELb0ELc84ELc85EKS1_S1_EviT_T0_PT8_S3_lS6_S3_lS4_PT9_S3_li
                                        ; -- End function
	.set _ZL37rocblas_syrkx_herkx_restricted_kernelIl19rocblas_complex_numIdELi16ELi32ELi8ELb1ELb0ELc84ELc85EKS1_S1_EviT_T0_PT8_S3_lS6_S3_lS4_PT9_S3_li.num_vgpr, 52
	.set _ZL37rocblas_syrkx_herkx_restricted_kernelIl19rocblas_complex_numIdELi16ELi32ELi8ELb1ELb0ELc84ELc85EKS1_S1_EviT_T0_PT8_S3_lS6_S3_lS4_PT9_S3_li.num_agpr, 0
	.set _ZL37rocblas_syrkx_herkx_restricted_kernelIl19rocblas_complex_numIdELi16ELi32ELi8ELb1ELb0ELc84ELc85EKS1_S1_EviT_T0_PT8_S3_lS6_S3_lS4_PT9_S3_li.numbered_sgpr, 28
	.set _ZL37rocblas_syrkx_herkx_restricted_kernelIl19rocblas_complex_numIdELi16ELi32ELi8ELb1ELb0ELc84ELc85EKS1_S1_EviT_T0_PT8_S3_lS6_S3_lS4_PT9_S3_li.num_named_barrier, 0
	.set _ZL37rocblas_syrkx_herkx_restricted_kernelIl19rocblas_complex_numIdELi16ELi32ELi8ELb1ELb0ELc84ELc85EKS1_S1_EviT_T0_PT8_S3_lS6_S3_lS4_PT9_S3_li.private_seg_size, 0
	.set _ZL37rocblas_syrkx_herkx_restricted_kernelIl19rocblas_complex_numIdELi16ELi32ELi8ELb1ELb0ELc84ELc85EKS1_S1_EviT_T0_PT8_S3_lS6_S3_lS4_PT9_S3_li.uses_vcc, 1
	.set _ZL37rocblas_syrkx_herkx_restricted_kernelIl19rocblas_complex_numIdELi16ELi32ELi8ELb1ELb0ELc84ELc85EKS1_S1_EviT_T0_PT8_S3_lS6_S3_lS4_PT9_S3_li.uses_flat_scratch, 0
	.set _ZL37rocblas_syrkx_herkx_restricted_kernelIl19rocblas_complex_numIdELi16ELi32ELi8ELb1ELb0ELc84ELc85EKS1_S1_EviT_T0_PT8_S3_lS6_S3_lS4_PT9_S3_li.has_dyn_sized_stack, 0
	.set _ZL37rocblas_syrkx_herkx_restricted_kernelIl19rocblas_complex_numIdELi16ELi32ELi8ELb1ELb0ELc84ELc85EKS1_S1_EviT_T0_PT8_S3_lS6_S3_lS4_PT9_S3_li.has_recursion, 0
	.set _ZL37rocblas_syrkx_herkx_restricted_kernelIl19rocblas_complex_numIdELi16ELi32ELi8ELb1ELb0ELc84ELc85EKS1_S1_EviT_T0_PT8_S3_lS6_S3_lS4_PT9_S3_li.has_indirect_call, 0
	.section	.AMDGPU.csdata,"",@progbits
; Kernel info:
; codeLenInByte = 3008
; TotalNumSgprs: 32
; NumVgprs: 52
; ScratchSize: 0
; MemoryBound: 0
; FloatMode: 240
; IeeeMode: 1
; LDSByteSize: 8192 bytes/workgroup (compile time only)
; SGPRBlocks: 8
; VGPRBlocks: 12
; NumSGPRsForWavesPerEU: 65
; NumVGPRsForWavesPerEU: 52
; Occupancy: 4
; WaveLimiterHint : 1
; COMPUTE_PGM_RSRC2:SCRATCH_EN: 0
; COMPUTE_PGM_RSRC2:USER_SGPR: 6
; COMPUTE_PGM_RSRC2:TRAP_HANDLER: 0
; COMPUTE_PGM_RSRC2:TGID_X_EN: 1
; COMPUTE_PGM_RSRC2:TGID_Y_EN: 1
; COMPUTE_PGM_RSRC2:TGID_Z_EN: 1
; COMPUTE_PGM_RSRC2:TIDIG_COMP_CNT: 1
	.section	.text._ZL37rocblas_syrkx_herkx_restricted_kernelIl19rocblas_complex_numIdELi16ELi32ELi8ELb1ELb0ELc67ELc85EKS1_S1_EviT_T0_PT8_S3_lS6_S3_lS4_PT9_S3_li,"axG",@progbits,_ZL37rocblas_syrkx_herkx_restricted_kernelIl19rocblas_complex_numIdELi16ELi32ELi8ELb1ELb0ELc67ELc85EKS1_S1_EviT_T0_PT8_S3_lS6_S3_lS4_PT9_S3_li,comdat
	.globl	_ZL37rocblas_syrkx_herkx_restricted_kernelIl19rocblas_complex_numIdELi16ELi32ELi8ELb1ELb0ELc67ELc85EKS1_S1_EviT_T0_PT8_S3_lS6_S3_lS4_PT9_S3_li ; -- Begin function _ZL37rocblas_syrkx_herkx_restricted_kernelIl19rocblas_complex_numIdELi16ELi32ELi8ELb1ELb0ELc67ELc85EKS1_S1_EviT_T0_PT8_S3_lS6_S3_lS4_PT9_S3_li
	.p2align	8
	.type	_ZL37rocblas_syrkx_herkx_restricted_kernelIl19rocblas_complex_numIdELi16ELi32ELi8ELb1ELb0ELc67ELc85EKS1_S1_EviT_T0_PT8_S3_lS6_S3_lS4_PT9_S3_li,@function
_ZL37rocblas_syrkx_herkx_restricted_kernelIl19rocblas_complex_numIdELi16ELi32ELi8ELb1ELb0ELc67ELc85EKS1_S1_EviT_T0_PT8_S3_lS6_S3_lS4_PT9_S3_li: ; @_ZL37rocblas_syrkx_herkx_restricted_kernelIl19rocblas_complex_numIdELi16ELi32ELi8ELb1ELb0ELc67ELc85EKS1_S1_EviT_T0_PT8_S3_lS6_S3_lS4_PT9_S3_li
; %bb.0:
	s_load_dwordx16 s[12:27], s[4:5], 0x8
	s_lshl_b32 s6, s6, 5
	s_lshl_b32 s7, s7, 5
	s_waitcnt lgkmcnt(0)
	v_cmp_lt_i64_e64 s[0:1], s[12:13], 1
	s_and_b64 vcc, exec, s[0:1]
	s_cbranch_vccnz .LBB1185_3
; %bb.1:
	v_lshl_add_u32 v7, v1, 4, v0
	v_lshrrev_b32_e32 v8, 3, v7
	v_add_u32_e32 v4, s7, v8
	v_and_b32_e32 v2, 7, v0
	v_ashrrev_i32_e32 v5, 31, v4
	v_mov_b32_e32 v3, 0
	v_mul_lo_u32 v9, s26, v5
	v_mul_lo_u32 v10, s27, v4
	v_mad_u64_u32 v[4:5], s[0:1], s26, v4, v[2:3]
	v_lshlrev_b32_e32 v2, 4, v2
	v_and_b32_e32 v11, 31, v7
	v_lshl_or_b32 v2, v8, 7, v2
	v_add_u32_e32 v23, 0x1000, v2
	v_mov_b32_e32 v2, 0x1000
	v_add_u32_e32 v8, s6, v11
	v_lshrrev_b32_e32 v6, 5, v7
	v_mov_b32_e32 v7, v3
	v_lshlrev_b32_e32 v3, 4, v11
	v_lshl_add_u32 v25, v1, 7, v2
	v_ashrrev_i32_e32 v2, 31, v8
	v_add3_u32 v5, v10, v5, v9
	v_lshl_or_b32 v22, v6, 9, v3
	v_mul_lo_u32 v9, s20, v2
	v_mad_u64_u32 v[2:3], s[2:3], s20, v8, v[6:7]
	v_mul_lo_u32 v6, s21, v8
	s_load_dwordx2 s[0:1], s[4:5], 0x48
	s_mul_i32 s9, s23, s8
	s_mul_hi_u32 s10, s22, s8
	s_add_i32 s3, s10, s9
	s_mul_i32 s2, s22, s8
	v_add3_u32 v3, v6, v3, v9
	s_lshl_b64 s[2:3], s[2:3], 4
	v_lshlrev_b64 v[2:3], 4, v[2:3]
	s_add_u32 s2, s18, s2
	s_addc_u32 s3, s19, s3
	v_add_co_u32_e32 v2, vcc, s2, v2
	s_waitcnt lgkmcnt(0)
	s_mul_i32 s1, s1, s8
	s_mul_hi_u32 s2, s0, s8
	v_mov_b32_e32 v6, s3
	s_add_i32 s1, s2, s1
	s_mul_i32 s0, s0, s8
	v_addc_co_u32_e32 v3, vcc, v6, v3, vcc
	s_lshl_b64 s[0:1], s[0:1], 4
	v_add_co_u32_e32 v2, vcc, 8, v2
	v_lshlrev_b64 v[4:5], 4, v[4:5]
	s_add_u32 s0, s24, s0
	v_addc_co_u32_e32 v3, vcc, 0, v3, vcc
	s_addc_u32 s1, s25, s1
	v_mov_b32_e32 v6, s1
	v_add_co_u32_e32 v4, vcc, s0, v4
	v_addc_co_u32_e32 v5, vcc, v6, v5, vcc
	v_add_co_u32_e32 v4, vcc, 8, v4
	v_mov_b32_e32 v10, 0
	v_mov_b32_e32 v12, 0
	;; [unrolled: 1-line block ×8, first 2 shown]
	v_lshlrev_b32_e32 v24, 4, v0
	v_addc_co_u32_e32 v5, vcc, 0, v5, vcc
	v_mov_b32_e32 v11, 0
	v_mov_b32_e32 v13, 0
	v_mov_b32_e32 v21, 0
	v_mov_b32_e32 v19, 0
	v_mov_b32_e32 v9, 0
	v_mov_b32_e32 v7, 0
	v_mov_b32_e32 v17, 0
	v_mov_b32_e32 v15, 0
	s_mov_b64 s[0:1], 0
.LBB1185_2:                             ; =>This Inner Loop Header: Depth=1
	global_load_dwordx4 v[26:29], v[2:3], off offset:-8
	s_add_u32 s0, s0, 8
	v_add_co_u32_e32 v2, vcc, 0x80, v2
	s_addc_u32 s1, s1, 0
	v_addc_co_u32_e32 v3, vcc, 0, v3, vcc
	s_waitcnt vmcnt(0)
	ds_write_b128 v22, v[26:29]
	global_load_dwordx4 v[26:29], v[4:5], off offset:-8
	v_add_co_u32_e32 v4, vcc, 0x80, v4
	v_addc_co_u32_e32 v5, vcc, 0, v5, vcc
	s_waitcnt vmcnt(0)
	ds_write_b128 v23, v[26:29]
	s_waitcnt lgkmcnt(0)
	s_barrier
	ds_read_b128 v[26:29], v25
	ds_read_b128 v[30:33], v25 offset:16
	ds_read_b128 v[34:37], v25 offset:32
	;; [unrolled: 1-line block ×3, first 2 shown]
	ds_read_b128 v[42:45], v24
	s_waitcnt lgkmcnt(0)
	v_mul_f64 v[46:47], v[28:29], v[44:45]
	v_mul_f64 v[48:49], v[26:27], v[44:45]
	v_fma_f64 v[46:47], v[26:27], v[42:43], -v[46:47]
	v_fma_f64 v[48:49], v[28:29], v[42:43], v[48:49]
	v_add_f64 v[46:47], v[14:15], v[46:47]
	v_add_f64 v[48:49], v[48:49], v[16:17]
	ds_read_b128 v[14:17], v24 offset:256
	s_waitcnt lgkmcnt(0)
	v_mul_f64 v[50:51], v[28:29], v[16:17]
	v_fma_f64 v[50:51], v[26:27], v[14:15], -v[50:51]
	v_mul_f64 v[26:27], v[26:27], v[16:17]
	v_fma_f64 v[26:27], v[28:29], v[14:15], v[26:27]
	v_add_f64 v[28:29], v[6:7], v[50:51]
	v_add_f64 v[26:27], v[26:27], v[8:9]
	ds_read_b128 v[6:9], v25 offset:2048
	s_waitcnt lgkmcnt(0)
	v_mul_f64 v[50:51], v[8:9], v[44:45]
	v_mul_f64 v[44:45], v[6:7], v[44:45]
	v_fma_f64 v[50:51], v[6:7], v[42:43], -v[50:51]
	v_fma_f64 v[42:43], v[8:9], v[42:43], v[44:45]
	v_add_f64 v[18:19], v[18:19], v[50:51]
	v_add_f64 v[20:21], v[42:43], v[20:21]
	v_mul_f64 v[42:43], v[8:9], v[16:17]
	v_fma_f64 v[42:43], v[6:7], v[14:15], -v[42:43]
	v_mul_f64 v[6:7], v[6:7], v[16:17]
	v_add_f64 v[42:43], v[12:13], v[42:43]
	v_fma_f64 v[6:7], v[8:9], v[14:15], v[6:7]
	v_add_f64 v[44:45], v[6:7], v[10:11]
	ds_read_b128 v[6:9], v24 offset:512
	s_waitcnt lgkmcnt(0)
	v_mul_f64 v[10:11], v[32:33], v[8:9]
	v_mul_f64 v[12:13], v[30:31], v[8:9]
	v_fma_f64 v[10:11], v[30:31], v[6:7], -v[10:11]
	v_fma_f64 v[12:13], v[32:33], v[6:7], v[12:13]
	v_add_f64 v[46:47], v[46:47], v[10:11]
	v_add_f64 v[48:49], v[12:13], v[48:49]
	ds_read_b128 v[10:13], v24 offset:768
	s_waitcnt lgkmcnt(0)
	v_mul_f64 v[14:15], v[32:33], v[12:13]
	v_mul_f64 v[16:17], v[30:31], v[12:13]
	v_fma_f64 v[14:15], v[30:31], v[10:11], -v[14:15]
	v_fma_f64 v[16:17], v[32:33], v[10:11], v[16:17]
	v_add_f64 v[28:29], v[28:29], v[14:15]
	v_add_f64 v[26:27], v[16:17], v[26:27]
	ds_read_b128 v[14:17], v25 offset:2064
	s_waitcnt lgkmcnt(0)
	v_mul_f64 v[30:31], v[16:17], v[8:9]
	v_mul_f64 v[8:9], v[14:15], v[8:9]
	v_fma_f64 v[30:31], v[14:15], v[6:7], -v[30:31]
	v_fma_f64 v[6:7], v[16:17], v[6:7], v[8:9]
	v_mul_f64 v[8:9], v[14:15], v[12:13]
	v_add_f64 v[18:19], v[18:19], v[30:31]
	v_add_f64 v[20:21], v[6:7], v[20:21]
	v_mul_f64 v[6:7], v[16:17], v[12:13]
	v_fma_f64 v[8:9], v[16:17], v[10:11], v[8:9]
	v_fma_f64 v[6:7], v[14:15], v[10:11], -v[6:7]
	v_add_f64 v[32:33], v[8:9], v[44:45]
	v_add_f64 v[30:31], v[42:43], v[6:7]
	ds_read_b128 v[6:9], v24 offset:1024
	s_waitcnt lgkmcnt(0)
	v_mul_f64 v[10:11], v[36:37], v[8:9]
	v_mul_f64 v[12:13], v[34:35], v[8:9]
	v_fma_f64 v[10:11], v[34:35], v[6:7], -v[10:11]
	v_fma_f64 v[12:13], v[36:37], v[6:7], v[12:13]
	v_add_f64 v[42:43], v[46:47], v[10:11]
	v_add_f64 v[44:45], v[12:13], v[48:49]
	ds_read_b128 v[10:13], v24 offset:1280
	s_waitcnt lgkmcnt(0)
	v_mul_f64 v[14:15], v[36:37], v[12:13]
	v_mul_f64 v[16:17], v[34:35], v[12:13]
	v_fma_f64 v[14:15], v[34:35], v[10:11], -v[14:15]
	v_fma_f64 v[16:17], v[36:37], v[10:11], v[16:17]
	v_add_f64 v[28:29], v[28:29], v[14:15]
	v_add_f64 v[26:27], v[16:17], v[26:27]
	ds_read_b128 v[14:17], v25 offset:2080
	s_waitcnt lgkmcnt(0)
	v_mul_f64 v[34:35], v[16:17], v[8:9]
	v_mul_f64 v[8:9], v[14:15], v[8:9]
	v_fma_f64 v[34:35], v[14:15], v[6:7], -v[34:35]
	v_fma_f64 v[6:7], v[16:17], v[6:7], v[8:9]
	v_mul_f64 v[8:9], v[14:15], v[12:13]
	v_add_f64 v[18:19], v[18:19], v[34:35]
	v_add_f64 v[20:21], v[6:7], v[20:21]
	v_mul_f64 v[6:7], v[16:17], v[12:13]
	v_fma_f64 v[8:9], v[16:17], v[10:11], v[8:9]
	v_fma_f64 v[6:7], v[14:15], v[10:11], -v[6:7]
	v_add_f64 v[32:33], v[8:9], v[32:33]
	;; [unrolled: 30-line block ×3, first 2 shown]
	v_add_f64 v[30:31], v[30:31], v[6:7]
	ds_read_b128 v[6:9], v25 offset:64
	ds_read_b128 v[10:13], v24 offset:2048
	s_waitcnt lgkmcnt(0)
	v_mul_f64 v[14:15], v[8:9], v[12:13]
	v_mul_f64 v[16:17], v[6:7], v[12:13]
	v_fma_f64 v[14:15], v[6:7], v[10:11], -v[14:15]
	v_fma_f64 v[16:17], v[8:9], v[10:11], v[16:17]
	v_add_f64 v[34:35], v[34:35], v[14:15]
	v_add_f64 v[36:37], v[16:17], v[36:37]
	ds_read_b128 v[14:17], v24 offset:2304
	s_waitcnt lgkmcnt(0)
	v_mul_f64 v[38:39], v[8:9], v[16:17]
	v_fma_f64 v[38:39], v[6:7], v[14:15], -v[38:39]
	v_mul_f64 v[6:7], v[6:7], v[16:17]
	v_add_f64 v[28:29], v[28:29], v[38:39]
	v_fma_f64 v[6:7], v[8:9], v[14:15], v[6:7]
	v_add_f64 v[26:27], v[6:7], v[26:27]
	ds_read_b128 v[6:9], v25 offset:2112
	s_waitcnt lgkmcnt(0)
	v_mul_f64 v[38:39], v[8:9], v[12:13]
	v_mul_f64 v[12:13], v[6:7], v[12:13]
	v_fma_f64 v[38:39], v[6:7], v[10:11], -v[38:39]
	v_fma_f64 v[10:11], v[8:9], v[10:11], v[12:13]
	v_add_f64 v[18:19], v[18:19], v[38:39]
	v_add_f64 v[20:21], v[10:11], v[20:21]
	v_mul_f64 v[10:11], v[8:9], v[16:17]
	v_fma_f64 v[10:11], v[6:7], v[14:15], -v[10:11]
	v_mul_f64 v[6:7], v[6:7], v[16:17]
	v_add_f64 v[30:31], v[30:31], v[10:11]
	v_fma_f64 v[6:7], v[8:9], v[14:15], v[6:7]
	v_add_f64 v[32:33], v[6:7], v[32:33]
	ds_read_b128 v[6:9], v25 offset:80
	ds_read_b128 v[10:13], v24 offset:2560
	s_waitcnt lgkmcnt(0)
	v_mul_f64 v[14:15], v[8:9], v[12:13]
	v_mul_f64 v[16:17], v[6:7], v[12:13]
	v_fma_f64 v[14:15], v[6:7], v[10:11], -v[14:15]
	v_fma_f64 v[16:17], v[8:9], v[10:11], v[16:17]
	v_add_f64 v[34:35], v[34:35], v[14:15]
	v_add_f64 v[36:37], v[16:17], v[36:37]
	ds_read_b128 v[14:17], v24 offset:2816
	s_waitcnt lgkmcnt(0)
	v_mul_f64 v[38:39], v[8:9], v[16:17]
	v_fma_f64 v[38:39], v[6:7], v[14:15], -v[38:39]
	v_mul_f64 v[6:7], v[6:7], v[16:17]
	v_add_f64 v[28:29], v[28:29], v[38:39]
	v_fma_f64 v[6:7], v[8:9], v[14:15], v[6:7]
	v_add_f64 v[26:27], v[6:7], v[26:27]
	ds_read_b128 v[6:9], v25 offset:2128
	s_waitcnt lgkmcnt(0)
	v_mul_f64 v[38:39], v[8:9], v[12:13]
	v_mul_f64 v[12:13], v[6:7], v[12:13]
	v_fma_f64 v[38:39], v[6:7], v[10:11], -v[38:39]
	v_fma_f64 v[10:11], v[8:9], v[10:11], v[12:13]
	v_add_f64 v[18:19], v[18:19], v[38:39]
	v_add_f64 v[20:21], v[10:11], v[20:21]
	v_mul_f64 v[10:11], v[8:9], v[16:17]
	v_fma_f64 v[10:11], v[6:7], v[14:15], -v[10:11]
	v_mul_f64 v[6:7], v[6:7], v[16:17]
	v_add_f64 v[30:31], v[30:31], v[10:11]
	v_fma_f64 v[6:7], v[8:9], v[14:15], v[6:7]
	;; [unrolled: 31-line block ×3, first 2 shown]
	v_add_f64 v[44:45], v[6:7], v[32:33]
	ds_read_b128 v[6:9], v25 offset:112
	ds_read_b128 v[10:13], v24 offset:3584
	;; [unrolled: 1-line block ×3, first 2 shown]
	s_waitcnt lgkmcnt(1)
	v_mul_f64 v[14:15], v[8:9], v[12:13]
	s_waitcnt lgkmcnt(0)
	v_mul_f64 v[30:31], v[8:9], v[28:29]
	v_mul_f64 v[16:17], v[6:7], v[12:13]
	v_fma_f64 v[14:15], v[6:7], v[10:11], -v[14:15]
	v_fma_f64 v[30:31], v[6:7], v[26:27], -v[30:31]
	v_mul_f64 v[6:7], v[6:7], v[28:29]
	v_fma_f64 v[16:17], v[8:9], v[10:11], v[16:17]
	v_add_f64 v[14:15], v[34:35], v[14:15]
	v_fma_f64 v[8:9], v[8:9], v[26:27], v[6:7]
	v_add_f64 v[6:7], v[38:39], v[30:31]
	ds_read_b128 v[30:33], v25 offset:2160
	v_add_f64 v[16:17], v[16:17], v[36:37]
	s_waitcnt lgkmcnt(0)
	s_barrier
	v_mul_f64 v[34:35], v[32:33], v[12:13]
	v_mul_f64 v[12:13], v[30:31], v[12:13]
	v_add_f64 v[8:9], v[8:9], v[40:41]
	v_fma_f64 v[34:35], v[30:31], v[10:11], -v[34:35]
	v_fma_f64 v[10:11], v[32:33], v[10:11], v[12:13]
	v_mul_f64 v[12:13], v[30:31], v[28:29]
	v_add_f64 v[18:19], v[18:19], v[34:35]
	v_add_f64 v[20:21], v[10:11], v[20:21]
	v_mul_f64 v[10:11], v[32:33], v[28:29]
	v_fma_f64 v[10:11], v[30:31], v[26:27], -v[10:11]
	v_fma_f64 v[26:27], v[32:33], v[26:27], v[12:13]
	v_add_f64 v[12:13], v[42:43], v[10:11]
	v_add_f64 v[10:11], v[26:27], v[44:45]
	v_mov_b32_e32 v27, s1
	v_mov_b32_e32 v26, s0
	v_cmp_le_u64_e32 vcc, s[12:13], v[26:27]
	s_cbranch_vccz .LBB1185_2
	s_branch .LBB1185_4
.LBB1185_3:
	v_mov_b32_e32 v14, 0
	v_mov_b32_e32 v16, 0
	;; [unrolled: 1-line block ×16, first 2 shown]
.LBB1185_4:
	s_load_dwordx2 s[10:11], s[4:5], 0x70
	s_load_dword s9, s[4:5], 0x0
	s_load_dwordx4 s[0:3], s[4:5], 0x60
	v_add_u32_e32 v4, s7, v1
	v_ashrrev_i32_e32 v1, 31, v4
	s_waitcnt lgkmcnt(0)
	s_mul_i32 s5, s11, s8
	s_mul_hi_u32 s11, s10, s8
	s_mul_i32 s4, s10, s8
	s_add_i32 s5, s11, s5
	v_mul_lo_u32 v3, s2, v1
	v_mul_lo_u32 v5, s3, v4
	v_mad_u64_u32 v[1:2], s[10:11], s2, v4, 0
	s_lshl_b64 s[4:5], s[4:5], 4
	s_add_u32 s8, s0, s4
	v_add3_u32 v2, v2, v3, v5
	v_lshlrev_b64 v[1:2], 4, v[1:2]
	s_addc_u32 s7, s1, s5
	v_mov_b32_e32 v3, s7
	v_add_co_u32_e64 v5, s[0:1], s8, v1
	v_add_u32_e32 v0, s6, v0
	v_addc_co_u32_e64 v22, s[0:1], v3, v2, s[0:1]
	v_cmp_gt_i32_e32 vcc, s9, v4
	v_cmp_le_i32_e64 s[0:1], v0, v4
	s_and_b64 s[0:1], vcc, s[0:1]
	s_and_saveexec_b64 s[4:5], s[0:1]
	s_cbranch_execz .LBB1185_6
; %bb.5:
	v_mul_f64 v[1:2], s[16:17], v[16:17]
	v_mul_f64 v[16:17], s[14:15], v[16:17]
	v_fma_f64 v[23:24], s[14:15], v[14:15], -v[1:2]
	v_fma_f64 v[25:26], s[16:17], v[14:15], v[16:17]
	v_ashrrev_i32_e32 v1, 31, v0
	v_lshlrev_b64 v[1:2], 4, v[0:1]
	v_add_co_u32_e64 v1, s[0:1], v5, v1
	v_addc_co_u32_e64 v2, s[0:1], v22, v2, s[0:1]
	global_store_dwordx4 v[1:2], v[23:26], off
.LBB1185_6:
	s_or_b64 exec, exec, s[4:5]
	v_add_u32_e32 v2, 16, v0
	v_cmp_le_i32_e64 s[0:1], v2, v4
	s_and_b64 s[4:5], vcc, s[0:1]
	s_and_saveexec_b64 s[0:1], s[4:5]
	s_cbranch_execz .LBB1185_8
; %bb.7:
	v_mul_f64 v[14:15], s[16:17], v[8:9]
	v_mul_f64 v[8:9], s[14:15], v[8:9]
	v_ashrrev_i32_e32 v3, 31, v2
	v_fma_f64 v[14:15], s[14:15], v[6:7], -v[14:15]
	v_fma_f64 v[16:17], s[16:17], v[6:7], v[8:9]
	v_lshlrev_b64 v[6:7], 4, v[2:3]
	v_add_co_u32_e32 v5, vcc, v5, v6
	v_addc_co_u32_e32 v6, vcc, v22, v7, vcc
	global_store_dwordx4 v[5:6], v[14:17], off
.LBB1185_8:
	s_or_b64 exec, exec, s[0:1]
	v_add_u32_e32 v3, 16, v4
	v_ashrrev_i32_e32 v1, 31, v3
	v_mul_lo_u32 v1, s2, v1
	v_mul_lo_u32 v6, s3, v3
	v_mad_u64_u32 v[4:5], s[0:1], s2, v3, 0
	v_cmp_gt_i32_e32 vcc, s9, v3
	v_add3_u32 v5, v5, v1, v6
	v_lshlrev_b64 v[4:5], 4, v[4:5]
	v_mov_b32_e32 v1, s7
	v_add_co_u32_e64 v4, s[0:1], s8, v4
	v_addc_co_u32_e64 v5, s[0:1], v1, v5, s[0:1]
	v_cmp_le_i32_e64 s[0:1], v0, v3
	s_and_b64 s[0:1], vcc, s[0:1]
	s_and_saveexec_b64 s[2:3], s[0:1]
	s_cbranch_execz .LBB1185_10
; %bb.9:
	v_mul_f64 v[6:7], s[16:17], v[20:21]
	v_mul_f64 v[8:9], s[14:15], v[20:21]
	v_ashrrev_i32_e32 v1, 31, v0
	v_lshlrev_b64 v[0:1], 4, v[0:1]
	v_add_co_u32_e64 v0, s[0:1], v4, v0
	v_addc_co_u32_e64 v1, s[0:1], v5, v1, s[0:1]
	v_fma_f64 v[6:7], s[14:15], v[18:19], -v[6:7]
	v_fma_f64 v[8:9], s[16:17], v[18:19], v[8:9]
	global_store_dwordx4 v[0:1], v[6:9], off
.LBB1185_10:
	s_or_b64 exec, exec, s[2:3]
	v_cmp_le_i32_e64 s[0:1], v2, v3
	s_and_b64 s[0:1], vcc, s[0:1]
	s_and_saveexec_b64 s[2:3], s[0:1]
	s_cbranch_execz .LBB1185_12
; %bb.11:
	v_mul_f64 v[0:1], s[16:17], v[10:11]
	v_mul_f64 v[8:9], s[14:15], v[10:11]
	v_ashrrev_i32_e32 v3, 31, v2
	v_fma_f64 v[6:7], s[14:15], v[12:13], -v[0:1]
	v_fma_f64 v[8:9], s[16:17], v[12:13], v[8:9]
	v_lshlrev_b64 v[0:1], 4, v[2:3]
	v_add_co_u32_e32 v0, vcc, v4, v0
	v_addc_co_u32_e32 v1, vcc, v5, v1, vcc
	global_store_dwordx4 v[0:1], v[6:9], off
.LBB1185_12:
	s_endpgm
	.section	.rodata,"a",@progbits
	.p2align	6, 0x0
	.amdhsa_kernel _ZL37rocblas_syrkx_herkx_restricted_kernelIl19rocblas_complex_numIdELi16ELi32ELi8ELb1ELb0ELc67ELc85EKS1_S1_EviT_T0_PT8_S3_lS6_S3_lS4_PT9_S3_li
		.amdhsa_group_segment_fixed_size 8192
		.amdhsa_private_segment_fixed_size 0
		.amdhsa_kernarg_size 124
		.amdhsa_user_sgpr_count 6
		.amdhsa_user_sgpr_private_segment_buffer 1
		.amdhsa_user_sgpr_dispatch_ptr 0
		.amdhsa_user_sgpr_queue_ptr 0
		.amdhsa_user_sgpr_kernarg_segment_ptr 1
		.amdhsa_user_sgpr_dispatch_id 0
		.amdhsa_user_sgpr_flat_scratch_init 0
		.amdhsa_user_sgpr_private_segment_size 0
		.amdhsa_uses_dynamic_stack 0
		.amdhsa_system_sgpr_private_segment_wavefront_offset 0
		.amdhsa_system_sgpr_workgroup_id_x 1
		.amdhsa_system_sgpr_workgroup_id_y 1
		.amdhsa_system_sgpr_workgroup_id_z 1
		.amdhsa_system_sgpr_workgroup_info 0
		.amdhsa_system_vgpr_workitem_id 1
		.amdhsa_next_free_vgpr 52
		.amdhsa_next_free_sgpr 61
		.amdhsa_reserve_vcc 1
		.amdhsa_reserve_flat_scratch 0
		.amdhsa_float_round_mode_32 0
		.amdhsa_float_round_mode_16_64 0
		.amdhsa_float_denorm_mode_32 3
		.amdhsa_float_denorm_mode_16_64 3
		.amdhsa_dx10_clamp 1
		.amdhsa_ieee_mode 1
		.amdhsa_fp16_overflow 0
		.amdhsa_exception_fp_ieee_invalid_op 0
		.amdhsa_exception_fp_denorm_src 0
		.amdhsa_exception_fp_ieee_div_zero 0
		.amdhsa_exception_fp_ieee_overflow 0
		.amdhsa_exception_fp_ieee_underflow 0
		.amdhsa_exception_fp_ieee_inexact 0
		.amdhsa_exception_int_div_zero 0
	.end_amdhsa_kernel
	.section	.text._ZL37rocblas_syrkx_herkx_restricted_kernelIl19rocblas_complex_numIdELi16ELi32ELi8ELb1ELb0ELc67ELc85EKS1_S1_EviT_T0_PT8_S3_lS6_S3_lS4_PT9_S3_li,"axG",@progbits,_ZL37rocblas_syrkx_herkx_restricted_kernelIl19rocblas_complex_numIdELi16ELi32ELi8ELb1ELb0ELc67ELc85EKS1_S1_EviT_T0_PT8_S3_lS6_S3_lS4_PT9_S3_li,comdat
.Lfunc_end1185:
	.size	_ZL37rocblas_syrkx_herkx_restricted_kernelIl19rocblas_complex_numIdELi16ELi32ELi8ELb1ELb0ELc67ELc85EKS1_S1_EviT_T0_PT8_S3_lS6_S3_lS4_PT9_S3_li, .Lfunc_end1185-_ZL37rocblas_syrkx_herkx_restricted_kernelIl19rocblas_complex_numIdELi16ELi32ELi8ELb1ELb0ELc67ELc85EKS1_S1_EviT_T0_PT8_S3_lS6_S3_lS4_PT9_S3_li
                                        ; -- End function
	.set _ZL37rocblas_syrkx_herkx_restricted_kernelIl19rocblas_complex_numIdELi16ELi32ELi8ELb1ELb0ELc67ELc85EKS1_S1_EviT_T0_PT8_S3_lS6_S3_lS4_PT9_S3_li.num_vgpr, 52
	.set _ZL37rocblas_syrkx_herkx_restricted_kernelIl19rocblas_complex_numIdELi16ELi32ELi8ELb1ELb0ELc67ELc85EKS1_S1_EviT_T0_PT8_S3_lS6_S3_lS4_PT9_S3_li.num_agpr, 0
	.set _ZL37rocblas_syrkx_herkx_restricted_kernelIl19rocblas_complex_numIdELi16ELi32ELi8ELb1ELb0ELc67ELc85EKS1_S1_EviT_T0_PT8_S3_lS6_S3_lS4_PT9_S3_li.numbered_sgpr, 28
	.set _ZL37rocblas_syrkx_herkx_restricted_kernelIl19rocblas_complex_numIdELi16ELi32ELi8ELb1ELb0ELc67ELc85EKS1_S1_EviT_T0_PT8_S3_lS6_S3_lS4_PT9_S3_li.num_named_barrier, 0
	.set _ZL37rocblas_syrkx_herkx_restricted_kernelIl19rocblas_complex_numIdELi16ELi32ELi8ELb1ELb0ELc67ELc85EKS1_S1_EviT_T0_PT8_S3_lS6_S3_lS4_PT9_S3_li.private_seg_size, 0
	.set _ZL37rocblas_syrkx_herkx_restricted_kernelIl19rocblas_complex_numIdELi16ELi32ELi8ELb1ELb0ELc67ELc85EKS1_S1_EviT_T0_PT8_S3_lS6_S3_lS4_PT9_S3_li.uses_vcc, 1
	.set _ZL37rocblas_syrkx_herkx_restricted_kernelIl19rocblas_complex_numIdELi16ELi32ELi8ELb1ELb0ELc67ELc85EKS1_S1_EviT_T0_PT8_S3_lS6_S3_lS4_PT9_S3_li.uses_flat_scratch, 0
	.set _ZL37rocblas_syrkx_herkx_restricted_kernelIl19rocblas_complex_numIdELi16ELi32ELi8ELb1ELb0ELc67ELc85EKS1_S1_EviT_T0_PT8_S3_lS6_S3_lS4_PT9_S3_li.has_dyn_sized_stack, 0
	.set _ZL37rocblas_syrkx_herkx_restricted_kernelIl19rocblas_complex_numIdELi16ELi32ELi8ELb1ELb0ELc67ELc85EKS1_S1_EviT_T0_PT8_S3_lS6_S3_lS4_PT9_S3_li.has_recursion, 0
	.set _ZL37rocblas_syrkx_herkx_restricted_kernelIl19rocblas_complex_numIdELi16ELi32ELi8ELb1ELb0ELc67ELc85EKS1_S1_EviT_T0_PT8_S3_lS6_S3_lS4_PT9_S3_li.has_indirect_call, 0
	.section	.AMDGPU.csdata,"",@progbits
; Kernel info:
; codeLenInByte = 3008
; TotalNumSgprs: 32
; NumVgprs: 52
; ScratchSize: 0
; MemoryBound: 0
; FloatMode: 240
; IeeeMode: 1
; LDSByteSize: 8192 bytes/workgroup (compile time only)
; SGPRBlocks: 8
; VGPRBlocks: 12
; NumSGPRsForWavesPerEU: 65
; NumVGPRsForWavesPerEU: 52
; Occupancy: 4
; WaveLimiterHint : 1
; COMPUTE_PGM_RSRC2:SCRATCH_EN: 0
; COMPUTE_PGM_RSRC2:USER_SGPR: 6
; COMPUTE_PGM_RSRC2:TRAP_HANDLER: 0
; COMPUTE_PGM_RSRC2:TGID_X_EN: 1
; COMPUTE_PGM_RSRC2:TGID_Y_EN: 1
; COMPUTE_PGM_RSRC2:TGID_Z_EN: 1
; COMPUTE_PGM_RSRC2:TIDIG_COMP_CNT: 1
	.section	.text._ZL37rocblas_syrkx_herkx_restricted_kernelIl19rocblas_complex_numIdELi16ELi32ELi8ELb1ELb0ELc78ELc85EKS1_S1_EviT_T0_PT8_S3_lS6_S3_lS4_PT9_S3_li,"axG",@progbits,_ZL37rocblas_syrkx_herkx_restricted_kernelIl19rocblas_complex_numIdELi16ELi32ELi8ELb1ELb0ELc78ELc85EKS1_S1_EviT_T0_PT8_S3_lS6_S3_lS4_PT9_S3_li,comdat
	.globl	_ZL37rocblas_syrkx_herkx_restricted_kernelIl19rocblas_complex_numIdELi16ELi32ELi8ELb1ELb0ELc78ELc85EKS1_S1_EviT_T0_PT8_S3_lS6_S3_lS4_PT9_S3_li ; -- Begin function _ZL37rocblas_syrkx_herkx_restricted_kernelIl19rocblas_complex_numIdELi16ELi32ELi8ELb1ELb0ELc78ELc85EKS1_S1_EviT_T0_PT8_S3_lS6_S3_lS4_PT9_S3_li
	.p2align	8
	.type	_ZL37rocblas_syrkx_herkx_restricted_kernelIl19rocblas_complex_numIdELi16ELi32ELi8ELb1ELb0ELc78ELc85EKS1_S1_EviT_T0_PT8_S3_lS6_S3_lS4_PT9_S3_li,@function
_ZL37rocblas_syrkx_herkx_restricted_kernelIl19rocblas_complex_numIdELi16ELi32ELi8ELb1ELb0ELc78ELc85EKS1_S1_EviT_T0_PT8_S3_lS6_S3_lS4_PT9_S3_li: ; @_ZL37rocblas_syrkx_herkx_restricted_kernelIl19rocblas_complex_numIdELi16ELi32ELi8ELb1ELb0ELc78ELc85EKS1_S1_EviT_T0_PT8_S3_lS6_S3_lS4_PT9_S3_li
; %bb.0:
	s_load_dwordx16 s[12:27], s[4:5], 0x8
	s_lshl_b32 s9, s6, 5
	s_lshl_b32 s10, s7, 5
	s_waitcnt lgkmcnt(0)
	v_cmp_lt_i64_e64 s[0:1], s[12:13], 1
	s_and_b64 vcc, exec, s[0:1]
	s_cbranch_vccnz .LBB1186_3
; %bb.1:
	v_lshl_add_u32 v6, v1, 4, v0
	v_lshrrev_b32_e32 v7, 3, v6
	v_add_u32_e32 v2, s10, v7
	v_and_b32_e32 v8, 7, v0
	v_ashrrev_i32_e32 v3, 31, v2
	v_mad_u64_u32 v[4:5], s[0:1], s26, v8, v[2:3]
	v_lshrrev_b32_e32 v9, 5, v6
	s_load_dwordx2 s[2:3], s[4:5], 0x48
	v_mov_b32_e32 v2, v5
	v_mad_u64_u32 v[2:3], s[0:1], s27, v8, v[2:3]
	v_and_b32_e32 v3, 31, v6
	v_mov_b32_e32 v6, 0x1000
	v_mov_b32_e32 v5, v2
	v_lshlrev_b32_e32 v2, 4, v3
	v_lshl_or_b32 v22, v9, 9, v2
	v_lshlrev_b32_e32 v2, 4, v8
	v_lshl_or_b32 v2, v7, 7, v2
	v_add_u32_e32 v23, 0x1000, v2
	v_add_u32_e32 v2, s9, v3
	v_ashrrev_i32_e32 v3, 31, v2
	v_mad_u64_u32 v[2:3], s[0:1], s20, v9, v[2:3]
	v_lshl_add_u32 v25, v1, 7, v6
	s_mul_i32 s6, s23, s8
	v_mad_u64_u32 v[6:7], s[0:1], s21, v9, v[3:4]
	s_mul_hi_u32 s7, s22, s8
	s_add_i32 s1, s7, s6
	s_mul_i32 s0, s22, s8
	s_lshl_b64 s[0:1], s[0:1], 4
	v_mov_b32_e32 v3, v6
	v_lshlrev_b64 v[2:3], 4, v[2:3]
	s_add_u32 s0, s18, s0
	s_addc_u32 s1, s19, s1
	s_waitcnt lgkmcnt(0)
	s_mul_i32 s3, s3, s8
	s_mul_hi_u32 s6, s2, s8
	v_mov_b32_e32 v6, s1
	v_add_co_u32_e32 v2, vcc, s0, v2
	s_add_i32 s3, s6, s3
	s_mul_i32 s2, s2, s8
	v_addc_co_u32_e32 v3, vcc, v6, v3, vcc
	s_lshl_b64 s[0:1], s[20:21], 7
	s_lshl_b64 s[2:3], s[2:3], 4
	v_add_co_u32_e32 v2, vcc, 8, v2
	v_lshlrev_b64 v[4:5], 4, v[4:5]
	s_add_u32 s2, s24, s2
	v_addc_co_u32_e32 v3, vcc, 0, v3, vcc
	s_addc_u32 s3, s25, s3
	v_mov_b32_e32 v6, s3
	v_add_co_u32_e32 v4, vcc, s2, v4
	v_addc_co_u32_e32 v5, vcc, v6, v5, vcc
	v_add_co_u32_e32 v4, vcc, 8, v4
	s_lshl_b64 s[2:3], s[26:27], 7
	v_mov_b32_e32 v10, 0
	v_mov_b32_e32 v12, 0
	;; [unrolled: 1-line block ×8, first 2 shown]
	v_lshlrev_b32_e32 v24, 4, v0
	v_addc_co_u32_e32 v5, vcc, 0, v5, vcc
	v_mov_b32_e32 v11, 0
	s_mov_b64 s[6:7], 0
	v_mov_b32_e32 v26, s1
	v_mov_b32_e32 v13, 0
	;; [unrolled: 1-line block ×9, first 2 shown]
.LBB1186_2:                             ; =>This Inner Loop Header: Depth=1
	global_load_dwordx4 v[28:31], v[2:3], off offset:-8
	s_add_u32 s6, s6, 8
	v_add_co_u32_e32 v2, vcc, s0, v2
	s_addc_u32 s7, s7, 0
	v_addc_co_u32_e32 v3, vcc, v3, v26, vcc
	s_waitcnt vmcnt(0)
	ds_write_b128 v22, v[28:31]
	global_load_dwordx4 v[28:31], v[4:5], off offset:-8
	v_add_co_u32_e32 v4, vcc, s2, v4
	v_addc_co_u32_e32 v5, vcc, v5, v27, vcc
	s_waitcnt vmcnt(0)
	ds_write_b128 v23, v[28:31]
	s_waitcnt lgkmcnt(0)
	s_barrier
	ds_read_b128 v[28:31], v25
	ds_read_b128 v[32:35], v25 offset:16
	ds_read_b128 v[36:39], v25 offset:32
	;; [unrolled: 1-line block ×3, first 2 shown]
	ds_read_b128 v[44:47], v24
	s_waitcnt lgkmcnt(0)
	v_mul_f64 v[48:49], v[30:31], v[46:47]
	v_mul_f64 v[50:51], v[28:29], v[46:47]
	v_fma_f64 v[48:49], v[28:29], v[44:45], -v[48:49]
	v_fma_f64 v[50:51], v[30:31], v[44:45], v[50:51]
	v_add_f64 v[48:49], v[18:19], v[48:49]
	v_add_f64 v[50:51], v[50:51], v[20:21]
	ds_read_b128 v[18:21], v24 offset:256
	s_waitcnt lgkmcnt(0)
	v_mul_f64 v[52:53], v[30:31], v[20:21]
	v_fma_f64 v[52:53], v[28:29], v[18:19], -v[52:53]
	v_mul_f64 v[28:29], v[28:29], v[20:21]
	v_fma_f64 v[28:29], v[30:31], v[18:19], v[28:29]
	v_add_f64 v[30:31], v[6:7], v[52:53]
	v_add_f64 v[28:29], v[28:29], v[8:9]
	ds_read_b128 v[6:9], v25 offset:2048
	s_waitcnt lgkmcnt(0)
	v_mul_f64 v[52:53], v[8:9], v[46:47]
	v_mul_f64 v[46:47], v[6:7], v[46:47]
	v_fma_f64 v[52:53], v[6:7], v[44:45], -v[52:53]
	v_fma_f64 v[44:45], v[8:9], v[44:45], v[46:47]
	v_add_f64 v[46:47], v[14:15], v[52:53]
	v_mul_f64 v[14:15], v[8:9], v[20:21]
	v_add_f64 v[44:45], v[44:45], v[16:17]
	v_fma_f64 v[14:15], v[6:7], v[18:19], -v[14:15]
	v_mul_f64 v[6:7], v[6:7], v[20:21]
	v_fma_f64 v[6:7], v[8:9], v[18:19], v[6:7]
	v_add_f64 v[18:19], v[12:13], v[14:15]
	v_add_f64 v[20:21], v[6:7], v[10:11]
	ds_read_b128 v[6:9], v24 offset:512
	s_waitcnt lgkmcnt(0)
	v_mul_f64 v[10:11], v[34:35], v[8:9]
	v_mul_f64 v[12:13], v[32:33], v[8:9]
	v_fma_f64 v[10:11], v[32:33], v[6:7], -v[10:11]
	v_fma_f64 v[12:13], v[34:35], v[6:7], v[12:13]
	v_add_f64 v[48:49], v[48:49], v[10:11]
	v_add_f64 v[50:51], v[12:13], v[50:51]
	ds_read_b128 v[10:13], v24 offset:768
	s_waitcnt lgkmcnt(0)
	v_mul_f64 v[14:15], v[34:35], v[12:13]
	v_mul_f64 v[16:17], v[32:33], v[12:13]
	v_fma_f64 v[14:15], v[32:33], v[10:11], -v[14:15]
	;; [unrolled: 8-line block ×3, first 2 shown]
	v_fma_f64 v[6:7], v[16:17], v[6:7], v[8:9]
	v_mul_f64 v[8:9], v[14:15], v[12:13]
	v_add_f64 v[32:33], v[46:47], v[32:33]
	v_add_f64 v[34:35], v[6:7], v[44:45]
	v_mul_f64 v[6:7], v[16:17], v[12:13]
	v_fma_f64 v[8:9], v[16:17], v[10:11], v[8:9]
	v_fma_f64 v[6:7], v[14:15], v[10:11], -v[6:7]
	v_add_f64 v[20:21], v[8:9], v[20:21]
	v_add_f64 v[18:19], v[18:19], v[6:7]
	ds_read_b128 v[6:9], v24 offset:1024
	s_waitcnt lgkmcnt(0)
	v_mul_f64 v[10:11], v[38:39], v[8:9]
	v_mul_f64 v[12:13], v[36:37], v[8:9]
	v_fma_f64 v[10:11], v[36:37], v[6:7], -v[10:11]
	v_fma_f64 v[12:13], v[38:39], v[6:7], v[12:13]
	v_add_f64 v[44:45], v[48:49], v[10:11]
	v_add_f64 v[46:47], v[12:13], v[50:51]
	ds_read_b128 v[10:13], v24 offset:1280
	s_waitcnt lgkmcnt(0)
	v_mul_f64 v[14:15], v[38:39], v[12:13]
	v_mul_f64 v[16:17], v[36:37], v[12:13]
	v_fma_f64 v[14:15], v[36:37], v[10:11], -v[14:15]
	v_fma_f64 v[16:17], v[38:39], v[10:11], v[16:17]
	;; [unrolled: 8-line block ×3, first 2 shown]
	v_mul_f64 v[8:9], v[14:15], v[12:13]
	v_add_f64 v[32:33], v[32:33], v[36:37]
	v_add_f64 v[34:35], v[6:7], v[34:35]
	v_mul_f64 v[6:7], v[16:17], v[12:13]
	v_fma_f64 v[8:9], v[16:17], v[10:11], v[8:9]
	v_fma_f64 v[6:7], v[14:15], v[10:11], -v[6:7]
	v_add_f64 v[20:21], v[8:9], v[20:21]
	v_add_f64 v[18:19], v[18:19], v[6:7]
	ds_read_b128 v[6:9], v24 offset:1536
	s_waitcnt lgkmcnt(0)
	v_mul_f64 v[10:11], v[42:43], v[8:9]
	v_mul_f64 v[12:13], v[40:41], v[8:9]
	v_fma_f64 v[10:11], v[40:41], v[6:7], -v[10:11]
	v_fma_f64 v[12:13], v[42:43], v[6:7], v[12:13]
	v_add_f64 v[36:37], v[44:45], v[10:11]
	v_add_f64 v[38:39], v[12:13], v[46:47]
	ds_read_b128 v[10:13], v24 offset:1792
	s_waitcnt lgkmcnt(0)
	v_mul_f64 v[14:15], v[42:43], v[12:13]
	v_mul_f64 v[16:17], v[40:41], v[12:13]
	v_fma_f64 v[14:15], v[40:41], v[10:11], -v[14:15]
	v_fma_f64 v[16:17], v[42:43], v[10:11], v[16:17]
	;; [unrolled: 8-line block ×3, first 2 shown]
	v_mul_f64 v[8:9], v[14:15], v[12:13]
	v_add_f64 v[32:33], v[32:33], v[40:41]
	v_add_f64 v[34:35], v[6:7], v[34:35]
	v_mul_f64 v[6:7], v[16:17], v[12:13]
	v_fma_f64 v[8:9], v[16:17], v[10:11], v[8:9]
	v_fma_f64 v[6:7], v[14:15], v[10:11], -v[6:7]
	v_add_f64 v[20:21], v[8:9], v[20:21]
	v_add_f64 v[18:19], v[18:19], v[6:7]
	ds_read_b128 v[6:9], v25 offset:64
	ds_read_b128 v[10:13], v24 offset:2048
	s_waitcnt lgkmcnt(0)
	v_mul_f64 v[14:15], v[8:9], v[12:13]
	v_mul_f64 v[16:17], v[6:7], v[12:13]
	v_fma_f64 v[14:15], v[6:7], v[10:11], -v[14:15]
	v_fma_f64 v[16:17], v[8:9], v[10:11], v[16:17]
	v_add_f64 v[36:37], v[36:37], v[14:15]
	v_add_f64 v[38:39], v[16:17], v[38:39]
	ds_read_b128 v[14:17], v24 offset:2304
	s_waitcnt lgkmcnt(0)
	v_mul_f64 v[40:41], v[8:9], v[16:17]
	v_fma_f64 v[40:41], v[6:7], v[14:15], -v[40:41]
	v_mul_f64 v[6:7], v[6:7], v[16:17]
	v_add_f64 v[30:31], v[30:31], v[40:41]
	v_fma_f64 v[6:7], v[8:9], v[14:15], v[6:7]
	v_add_f64 v[28:29], v[6:7], v[28:29]
	ds_read_b128 v[6:9], v25 offset:2112
	s_waitcnt lgkmcnt(0)
	v_mul_f64 v[40:41], v[8:9], v[12:13]
	v_mul_f64 v[12:13], v[6:7], v[12:13]
	v_fma_f64 v[40:41], v[6:7], v[10:11], -v[40:41]
	v_fma_f64 v[10:11], v[8:9], v[10:11], v[12:13]
	v_add_f64 v[32:33], v[32:33], v[40:41]
	v_add_f64 v[34:35], v[10:11], v[34:35]
	v_mul_f64 v[10:11], v[8:9], v[16:17]
	v_fma_f64 v[10:11], v[6:7], v[14:15], -v[10:11]
	v_mul_f64 v[6:7], v[6:7], v[16:17]
	v_add_f64 v[18:19], v[18:19], v[10:11]
	v_fma_f64 v[6:7], v[8:9], v[14:15], v[6:7]
	v_add_f64 v[20:21], v[6:7], v[20:21]
	ds_read_b128 v[6:9], v25 offset:80
	ds_read_b128 v[10:13], v24 offset:2560
	s_waitcnt lgkmcnt(0)
	v_mul_f64 v[14:15], v[8:9], v[12:13]
	v_mul_f64 v[16:17], v[6:7], v[12:13]
	v_fma_f64 v[14:15], v[6:7], v[10:11], -v[14:15]
	v_fma_f64 v[16:17], v[8:9], v[10:11], v[16:17]
	v_add_f64 v[36:37], v[36:37], v[14:15]
	v_add_f64 v[38:39], v[16:17], v[38:39]
	ds_read_b128 v[14:17], v24 offset:2816
	s_waitcnt lgkmcnt(0)
	v_mul_f64 v[40:41], v[8:9], v[16:17]
	v_fma_f64 v[40:41], v[6:7], v[14:15], -v[40:41]
	v_mul_f64 v[6:7], v[6:7], v[16:17]
	v_add_f64 v[30:31], v[30:31], v[40:41]
	v_fma_f64 v[6:7], v[8:9], v[14:15], v[6:7]
	v_add_f64 v[28:29], v[6:7], v[28:29]
	ds_read_b128 v[6:9], v25 offset:2128
	s_waitcnt lgkmcnt(0)
	v_mul_f64 v[40:41], v[8:9], v[12:13]
	v_mul_f64 v[12:13], v[6:7], v[12:13]
	v_fma_f64 v[40:41], v[6:7], v[10:11], -v[40:41]
	v_fma_f64 v[10:11], v[8:9], v[10:11], v[12:13]
	v_add_f64 v[32:33], v[32:33], v[40:41]
	v_add_f64 v[34:35], v[10:11], v[34:35]
	v_mul_f64 v[10:11], v[8:9], v[16:17]
	v_fma_f64 v[10:11], v[6:7], v[14:15], -v[10:11]
	v_mul_f64 v[6:7], v[6:7], v[16:17]
	v_add_f64 v[18:19], v[18:19], v[10:11]
	v_fma_f64 v[6:7], v[8:9], v[14:15], v[6:7]
	;; [unrolled: 31-line block ×3, first 2 shown]
	v_add_f64 v[50:51], v[6:7], v[20:21]
	ds_read_b128 v[6:9], v25 offset:112
	ds_read_b128 v[10:13], v24 offset:3584
	;; [unrolled: 1-line block ×4, first 2 shown]
	s_waitcnt lgkmcnt(0)
	s_barrier
	v_mul_f64 v[14:15], v[8:9], v[12:13]
	v_mul_f64 v[16:17], v[6:7], v[12:13]
	v_fma_f64 v[14:15], v[6:7], v[10:11], -v[14:15]
	v_fma_f64 v[16:17], v[8:9], v[10:11], v[16:17]
	v_add_f64 v[18:19], v[36:37], v[14:15]
	v_mul_f64 v[14:15], v[8:9], v[30:31]
	v_add_f64 v[20:21], v[16:17], v[38:39]
	v_fma_f64 v[14:15], v[6:7], v[28:29], -v[14:15]
	v_mul_f64 v[6:7], v[6:7], v[30:31]
	v_fma_f64 v[8:9], v[8:9], v[28:29], v[6:7]
	v_add_f64 v[6:7], v[40:41], v[14:15]
	v_mul_f64 v[14:15], v[34:35], v[12:13]
	v_mul_f64 v[12:13], v[32:33], v[12:13]
	v_add_f64 v[8:9], v[8:9], v[42:43]
	v_fma_f64 v[14:15], v[32:33], v[10:11], -v[14:15]
	v_fma_f64 v[10:11], v[34:35], v[10:11], v[12:13]
	v_mul_f64 v[12:13], v[32:33], v[30:31]
	v_add_f64 v[14:15], v[44:45], v[14:15]
	v_add_f64 v[16:17], v[10:11], v[46:47]
	v_mul_f64 v[10:11], v[34:35], v[30:31]
	v_fma_f64 v[10:11], v[32:33], v[28:29], -v[10:11]
	v_fma_f64 v[28:29], v[34:35], v[28:29], v[12:13]
	v_add_f64 v[12:13], v[48:49], v[10:11]
	v_add_f64 v[10:11], v[28:29], v[50:51]
	v_mov_b32_e32 v29, s7
	v_mov_b32_e32 v28, s6
	v_cmp_le_u64_e32 vcc, s[12:13], v[28:29]
	s_cbranch_vccz .LBB1186_2
	s_branch .LBB1186_4
.LBB1186_3:
	v_mov_b32_e32 v18, 0
	v_mov_b32_e32 v20, 0
	;; [unrolled: 1-line block ×16, first 2 shown]
.LBB1186_4:
	s_load_dwordx2 s[12:13], s[4:5], 0x70
	s_load_dword s6, s[4:5], 0x0
	s_load_dwordx4 s[0:3], s[4:5], 0x60
	v_add_u32_e32 v4, s10, v1
	v_ashrrev_i32_e32 v1, 31, v4
	s_waitcnt lgkmcnt(0)
	s_mul_i32 s5, s13, s8
	s_mul_hi_u32 s7, s12, s8
	v_mul_lo_u32 v3, s2, v1
	v_mul_lo_u32 v5, s3, v4
	v_mad_u64_u32 v[1:2], s[10:11], s2, v4, 0
	s_mul_i32 s4, s12, s8
	s_add_i32 s5, s7, s5
	s_lshl_b64 s[4:5], s[4:5], 4
	v_add3_u32 v2, v2, v3, v5
	s_add_u32 s7, s0, s4
	v_lshlrev_b64 v[1:2], 4, v[1:2]
	s_addc_u32 s8, s1, s5
	v_mov_b32_e32 v3, s8
	v_add_co_u32_e64 v5, s[0:1], s7, v1
	v_add_u32_e32 v0, s9, v0
	v_addc_co_u32_e64 v22, s[0:1], v3, v2, s[0:1]
	v_cmp_gt_i32_e32 vcc, s6, v4
	v_cmp_le_i32_e64 s[0:1], v0, v4
	s_and_b64 s[0:1], vcc, s[0:1]
	s_and_saveexec_b64 s[4:5], s[0:1]
	s_cbranch_execz .LBB1186_6
; %bb.5:
	v_mul_f64 v[1:2], s[16:17], v[20:21]
	v_mul_f64 v[20:21], s[14:15], v[20:21]
	v_fma_f64 v[23:24], s[14:15], v[18:19], -v[1:2]
	v_fma_f64 v[25:26], s[16:17], v[18:19], v[20:21]
	v_ashrrev_i32_e32 v1, 31, v0
	v_lshlrev_b64 v[1:2], 4, v[0:1]
	v_add_co_u32_e64 v1, s[0:1], v5, v1
	v_addc_co_u32_e64 v2, s[0:1], v22, v2, s[0:1]
	global_store_dwordx4 v[1:2], v[23:26], off
.LBB1186_6:
	s_or_b64 exec, exec, s[4:5]
	v_add_u32_e32 v2, 16, v0
	v_cmp_le_i32_e64 s[0:1], v2, v4
	s_and_b64 s[4:5], vcc, s[0:1]
	s_and_saveexec_b64 s[0:1], s[4:5]
	s_cbranch_execz .LBB1186_8
; %bb.7:
	v_mul_f64 v[18:19], s[16:17], v[8:9]
	v_mul_f64 v[8:9], s[14:15], v[8:9]
	v_ashrrev_i32_e32 v3, 31, v2
	v_fma_f64 v[18:19], s[14:15], v[6:7], -v[18:19]
	v_fma_f64 v[20:21], s[16:17], v[6:7], v[8:9]
	v_lshlrev_b64 v[6:7], 4, v[2:3]
	v_add_co_u32_e32 v5, vcc, v5, v6
	v_addc_co_u32_e32 v6, vcc, v22, v7, vcc
	global_store_dwordx4 v[5:6], v[18:21], off
.LBB1186_8:
	s_or_b64 exec, exec, s[0:1]
	v_add_u32_e32 v3, 16, v4
	v_ashrrev_i32_e32 v1, 31, v3
	v_mul_lo_u32 v1, s2, v1
	v_mul_lo_u32 v6, s3, v3
	v_mad_u64_u32 v[4:5], s[0:1], s2, v3, 0
	v_cmp_gt_i32_e32 vcc, s6, v3
	v_add3_u32 v5, v5, v1, v6
	v_lshlrev_b64 v[4:5], 4, v[4:5]
	v_mov_b32_e32 v1, s8
	v_add_co_u32_e64 v4, s[0:1], s7, v4
	v_addc_co_u32_e64 v5, s[0:1], v1, v5, s[0:1]
	v_cmp_le_i32_e64 s[0:1], v0, v3
	s_and_b64 s[0:1], vcc, s[0:1]
	s_and_saveexec_b64 s[2:3], s[0:1]
	s_cbranch_execz .LBB1186_10
; %bb.9:
	v_mul_f64 v[6:7], s[16:17], v[16:17]
	v_mul_f64 v[8:9], s[14:15], v[16:17]
	v_ashrrev_i32_e32 v1, 31, v0
	v_lshlrev_b64 v[0:1], 4, v[0:1]
	v_add_co_u32_e64 v0, s[0:1], v4, v0
	v_addc_co_u32_e64 v1, s[0:1], v5, v1, s[0:1]
	v_fma_f64 v[6:7], s[14:15], v[14:15], -v[6:7]
	v_fma_f64 v[8:9], s[16:17], v[14:15], v[8:9]
	global_store_dwordx4 v[0:1], v[6:9], off
.LBB1186_10:
	s_or_b64 exec, exec, s[2:3]
	v_cmp_le_i32_e64 s[0:1], v2, v3
	s_and_b64 s[0:1], vcc, s[0:1]
	s_and_saveexec_b64 s[2:3], s[0:1]
	s_cbranch_execz .LBB1186_12
; %bb.11:
	v_mul_f64 v[0:1], s[16:17], v[10:11]
	v_mul_f64 v[8:9], s[14:15], v[10:11]
	v_ashrrev_i32_e32 v3, 31, v2
	v_fma_f64 v[6:7], s[14:15], v[12:13], -v[0:1]
	v_fma_f64 v[8:9], s[16:17], v[12:13], v[8:9]
	v_lshlrev_b64 v[0:1], 4, v[2:3]
	v_add_co_u32_e32 v0, vcc, v4, v0
	v_addc_co_u32_e32 v1, vcc, v5, v1, vcc
	global_store_dwordx4 v[0:1], v[6:9], off
.LBB1186_12:
	s_endpgm
	.section	.rodata,"a",@progbits
	.p2align	6, 0x0
	.amdhsa_kernel _ZL37rocblas_syrkx_herkx_restricted_kernelIl19rocblas_complex_numIdELi16ELi32ELi8ELb1ELb0ELc78ELc85EKS1_S1_EviT_T0_PT8_S3_lS6_S3_lS4_PT9_S3_li
		.amdhsa_group_segment_fixed_size 8192
		.amdhsa_private_segment_fixed_size 0
		.amdhsa_kernarg_size 124
		.amdhsa_user_sgpr_count 6
		.amdhsa_user_sgpr_private_segment_buffer 1
		.amdhsa_user_sgpr_dispatch_ptr 0
		.amdhsa_user_sgpr_queue_ptr 0
		.amdhsa_user_sgpr_kernarg_segment_ptr 1
		.amdhsa_user_sgpr_dispatch_id 0
		.amdhsa_user_sgpr_flat_scratch_init 0
		.amdhsa_user_sgpr_private_segment_size 0
		.amdhsa_uses_dynamic_stack 0
		.amdhsa_system_sgpr_private_segment_wavefront_offset 0
		.amdhsa_system_sgpr_workgroup_id_x 1
		.amdhsa_system_sgpr_workgroup_id_y 1
		.amdhsa_system_sgpr_workgroup_id_z 1
		.amdhsa_system_sgpr_workgroup_info 0
		.amdhsa_system_vgpr_workitem_id 1
		.amdhsa_next_free_vgpr 54
		.amdhsa_next_free_sgpr 61
		.amdhsa_reserve_vcc 1
		.amdhsa_reserve_flat_scratch 0
		.amdhsa_float_round_mode_32 0
		.amdhsa_float_round_mode_16_64 0
		.amdhsa_float_denorm_mode_32 3
		.amdhsa_float_denorm_mode_16_64 3
		.amdhsa_dx10_clamp 1
		.amdhsa_ieee_mode 1
		.amdhsa_fp16_overflow 0
		.amdhsa_exception_fp_ieee_invalid_op 0
		.amdhsa_exception_fp_denorm_src 0
		.amdhsa_exception_fp_ieee_div_zero 0
		.amdhsa_exception_fp_ieee_overflow 0
		.amdhsa_exception_fp_ieee_underflow 0
		.amdhsa_exception_fp_ieee_inexact 0
		.amdhsa_exception_int_div_zero 0
	.end_amdhsa_kernel
	.section	.text._ZL37rocblas_syrkx_herkx_restricted_kernelIl19rocblas_complex_numIdELi16ELi32ELi8ELb1ELb0ELc78ELc85EKS1_S1_EviT_T0_PT8_S3_lS6_S3_lS4_PT9_S3_li,"axG",@progbits,_ZL37rocblas_syrkx_herkx_restricted_kernelIl19rocblas_complex_numIdELi16ELi32ELi8ELb1ELb0ELc78ELc85EKS1_S1_EviT_T0_PT8_S3_lS6_S3_lS4_PT9_S3_li,comdat
.Lfunc_end1186:
	.size	_ZL37rocblas_syrkx_herkx_restricted_kernelIl19rocblas_complex_numIdELi16ELi32ELi8ELb1ELb0ELc78ELc85EKS1_S1_EviT_T0_PT8_S3_lS6_S3_lS4_PT9_S3_li, .Lfunc_end1186-_ZL37rocblas_syrkx_herkx_restricted_kernelIl19rocblas_complex_numIdELi16ELi32ELi8ELb1ELb0ELc78ELc85EKS1_S1_EviT_T0_PT8_S3_lS6_S3_lS4_PT9_S3_li
                                        ; -- End function
	.set _ZL37rocblas_syrkx_herkx_restricted_kernelIl19rocblas_complex_numIdELi16ELi32ELi8ELb1ELb0ELc78ELc85EKS1_S1_EviT_T0_PT8_S3_lS6_S3_lS4_PT9_S3_li.num_vgpr, 54
	.set _ZL37rocblas_syrkx_herkx_restricted_kernelIl19rocblas_complex_numIdELi16ELi32ELi8ELb1ELb0ELc78ELc85EKS1_S1_EviT_T0_PT8_S3_lS6_S3_lS4_PT9_S3_li.num_agpr, 0
	.set _ZL37rocblas_syrkx_herkx_restricted_kernelIl19rocblas_complex_numIdELi16ELi32ELi8ELb1ELb0ELc78ELc85EKS1_S1_EviT_T0_PT8_S3_lS6_S3_lS4_PT9_S3_li.numbered_sgpr, 28
	.set _ZL37rocblas_syrkx_herkx_restricted_kernelIl19rocblas_complex_numIdELi16ELi32ELi8ELb1ELb0ELc78ELc85EKS1_S1_EviT_T0_PT8_S3_lS6_S3_lS4_PT9_S3_li.num_named_barrier, 0
	.set _ZL37rocblas_syrkx_herkx_restricted_kernelIl19rocblas_complex_numIdELi16ELi32ELi8ELb1ELb0ELc78ELc85EKS1_S1_EviT_T0_PT8_S3_lS6_S3_lS4_PT9_S3_li.private_seg_size, 0
	.set _ZL37rocblas_syrkx_herkx_restricted_kernelIl19rocblas_complex_numIdELi16ELi32ELi8ELb1ELb0ELc78ELc85EKS1_S1_EviT_T0_PT8_S3_lS6_S3_lS4_PT9_S3_li.uses_vcc, 1
	.set _ZL37rocblas_syrkx_herkx_restricted_kernelIl19rocblas_complex_numIdELi16ELi32ELi8ELb1ELb0ELc78ELc85EKS1_S1_EviT_T0_PT8_S3_lS6_S3_lS4_PT9_S3_li.uses_flat_scratch, 0
	.set _ZL37rocblas_syrkx_herkx_restricted_kernelIl19rocblas_complex_numIdELi16ELi32ELi8ELb1ELb0ELc78ELc85EKS1_S1_EviT_T0_PT8_S3_lS6_S3_lS4_PT9_S3_li.has_dyn_sized_stack, 0
	.set _ZL37rocblas_syrkx_herkx_restricted_kernelIl19rocblas_complex_numIdELi16ELi32ELi8ELb1ELb0ELc78ELc85EKS1_S1_EviT_T0_PT8_S3_lS6_S3_lS4_PT9_S3_li.has_recursion, 0
	.set _ZL37rocblas_syrkx_herkx_restricted_kernelIl19rocblas_complex_numIdELi16ELi32ELi8ELb1ELb0ELc78ELc85EKS1_S1_EviT_T0_PT8_S3_lS6_S3_lS4_PT9_S3_li.has_indirect_call, 0
	.section	.AMDGPU.csdata,"",@progbits
; Kernel info:
; codeLenInByte = 2980
; TotalNumSgprs: 32
; NumVgprs: 54
; ScratchSize: 0
; MemoryBound: 0
; FloatMode: 240
; IeeeMode: 1
; LDSByteSize: 8192 bytes/workgroup (compile time only)
; SGPRBlocks: 8
; VGPRBlocks: 13
; NumSGPRsForWavesPerEU: 65
; NumVGPRsForWavesPerEU: 54
; Occupancy: 4
; WaveLimiterHint : 1
; COMPUTE_PGM_RSRC2:SCRATCH_EN: 0
; COMPUTE_PGM_RSRC2:USER_SGPR: 6
; COMPUTE_PGM_RSRC2:TRAP_HANDLER: 0
; COMPUTE_PGM_RSRC2:TGID_X_EN: 1
; COMPUTE_PGM_RSRC2:TGID_Y_EN: 1
; COMPUTE_PGM_RSRC2:TGID_Z_EN: 1
; COMPUTE_PGM_RSRC2:TIDIG_COMP_CNT: 1
	.section	.text._ZL37rocblas_syrkx_herkx_restricted_kernelIl19rocblas_complex_numIdELi16ELi32ELi8ELb0ELb0ELc84ELc76EKS1_S1_EviT_T0_PT8_S3_lS6_S3_lS4_PT9_S3_li,"axG",@progbits,_ZL37rocblas_syrkx_herkx_restricted_kernelIl19rocblas_complex_numIdELi16ELi32ELi8ELb0ELb0ELc84ELc76EKS1_S1_EviT_T0_PT8_S3_lS6_S3_lS4_PT9_S3_li,comdat
	.globl	_ZL37rocblas_syrkx_herkx_restricted_kernelIl19rocblas_complex_numIdELi16ELi32ELi8ELb0ELb0ELc84ELc76EKS1_S1_EviT_T0_PT8_S3_lS6_S3_lS4_PT9_S3_li ; -- Begin function _ZL37rocblas_syrkx_herkx_restricted_kernelIl19rocblas_complex_numIdELi16ELi32ELi8ELb0ELb0ELc84ELc76EKS1_S1_EviT_T0_PT8_S3_lS6_S3_lS4_PT9_S3_li
	.p2align	8
	.type	_ZL37rocblas_syrkx_herkx_restricted_kernelIl19rocblas_complex_numIdELi16ELi32ELi8ELb0ELb0ELc84ELc76EKS1_S1_EviT_T0_PT8_S3_lS6_S3_lS4_PT9_S3_li,@function
_ZL37rocblas_syrkx_herkx_restricted_kernelIl19rocblas_complex_numIdELi16ELi32ELi8ELb0ELb0ELc84ELc76EKS1_S1_EviT_T0_PT8_S3_lS6_S3_lS4_PT9_S3_li: ; @_ZL37rocblas_syrkx_herkx_restricted_kernelIl19rocblas_complex_numIdELi16ELi32ELi8ELb0ELb0ELc84ELc76EKS1_S1_EviT_T0_PT8_S3_lS6_S3_lS4_PT9_S3_li
; %bb.0:
	s_load_dwordx16 s[12:27], s[4:5], 0x8
	s_load_dwordx4 s[28:31], s[4:5], 0x68
	s_load_dwordx8 s[36:43], s[4:5], 0x48
	s_lshl_b32 s2, s6, 5
	s_lshl_b32 s3, s7, 5
	s_waitcnt lgkmcnt(0)
	v_cmp_lt_i64_e64 s[0:1], s[12:13], 1
	s_and_b64 vcc, exec, s[0:1]
	s_cbranch_vccnz .LBB1187_3
; %bb.1:
	v_lshl_add_u32 v7, v1, 4, v0
	v_lshrrev_b32_e32 v8, 3, v7
	v_add_u32_e32 v4, s3, v8
	v_and_b32_e32 v2, 7, v0
	v_ashrrev_i32_e32 v5, 31, v4
	v_mov_b32_e32 v3, 0
	v_mul_lo_u32 v9, s26, v5
	v_mul_lo_u32 v10, s27, v4
	v_mad_u64_u32 v[4:5], s[0:1], s26, v4, v[2:3]
	v_lshlrev_b32_e32 v2, 4, v2
	v_and_b32_e32 v11, 31, v7
	v_lshl_or_b32 v2, v8, 7, v2
	v_add_u32_e32 v23, 0x1000, v2
	v_mov_b32_e32 v2, 0x1000
	v_add_u32_e32 v8, s2, v11
	v_lshrrev_b32_e32 v6, 5, v7
	v_mov_b32_e32 v7, v3
	v_lshlrev_b32_e32 v3, 4, v11
	v_lshl_add_u32 v25, v1, 7, v2
	v_ashrrev_i32_e32 v2, 31, v8
	v_add3_u32 v5, v10, v5, v9
	v_lshl_or_b32 v22, v6, 9, v3
	v_mul_lo_u32 v9, s20, v2
	v_mad_u64_u32 v[2:3], s[0:1], s20, v8, v[6:7]
	v_mul_lo_u32 v6, s21, v8
	s_mul_i32 s6, s23, s8
	s_mul_hi_u32 s7, s22, s8
	s_add_i32 s1, s7, s6
	s_mul_i32 s0, s22, s8
	s_lshl_b64 s[0:1], s[0:1], 4
	v_add3_u32 v3, v6, v3, v9
	v_lshlrev_b64 v[2:3], 4, v[2:3]
	s_add_u32 s0, s18, s0
	s_addc_u32 s1, s19, s1
	v_mov_b32_e32 v6, s1
	v_add_co_u32_e32 v2, vcc, s0, v2
	s_mul_i32 s0, s37, s8
	s_mul_hi_u32 s1, s36, s8
	s_add_i32 s1, s1, s0
	s_mul_i32 s0, s36, s8
	v_addc_co_u32_e32 v3, vcc, v6, v3, vcc
	s_lshl_b64 s[0:1], s[0:1], 4
	v_add_co_u32_e32 v2, vcc, 8, v2
	v_lshlrev_b64 v[4:5], 4, v[4:5]
	s_add_u32 s0, s24, s0
	v_addc_co_u32_e32 v3, vcc, 0, v3, vcc
	s_addc_u32 s1, s25, s1
	v_mov_b32_e32 v6, s1
	v_add_co_u32_e32 v4, vcc, s0, v4
	v_addc_co_u32_e32 v5, vcc, v6, v5, vcc
	v_add_co_u32_e32 v4, vcc, 8, v4
	v_mov_b32_e32 v12, 0
	v_mov_b32_e32 v8, 0
	;; [unrolled: 1-line block ×8, first 2 shown]
	v_lshlrev_b32_e32 v24, 4, v0
	v_addc_co_u32_e32 v5, vcc, 0, v5, vcc
	v_mov_b32_e32 v13, 0
	v_mov_b32_e32 v9, 0
	;; [unrolled: 1-line block ×8, first 2 shown]
	s_mov_b64 s[0:1], 0
.LBB1187_2:                             ; =>This Inner Loop Header: Depth=1
	global_load_dwordx4 v[26:29], v[2:3], off offset:-8
	s_add_u32 s0, s0, 8
	v_add_co_u32_e32 v2, vcc, 0x80, v2
	s_addc_u32 s1, s1, 0
	v_addc_co_u32_e32 v3, vcc, 0, v3, vcc
	s_waitcnt vmcnt(0)
	ds_write_b128 v22, v[26:29]
	global_load_dwordx4 v[26:29], v[4:5], off offset:-8
	v_add_co_u32_e32 v4, vcc, 0x80, v4
	v_addc_co_u32_e32 v5, vcc, 0, v5, vcc
	s_waitcnt vmcnt(0)
	ds_write_b128 v23, v[26:29]
	s_waitcnt lgkmcnt(0)
	s_barrier
	ds_read_b128 v[26:29], v25
	ds_read_b128 v[30:33], v25 offset:16
	ds_read_b128 v[34:37], v25 offset:32
	;; [unrolled: 1-line block ×3, first 2 shown]
	ds_read_b128 v[42:45], v24
	s_waitcnt lgkmcnt(0)
	v_mul_f64 v[46:47], v[28:29], v[44:45]
	v_mul_f64 v[48:49], v[26:27], v[44:45]
	v_fma_f64 v[46:47], v[26:27], v[42:43], -v[46:47]
	v_fma_f64 v[48:49], v[28:29], v[42:43], v[48:49]
	v_add_f64 v[46:47], v[18:19], v[46:47]
	v_add_f64 v[48:49], v[48:49], v[20:21]
	ds_read_b128 v[18:21], v24 offset:256
	s_waitcnt lgkmcnt(0)
	v_mul_f64 v[50:51], v[28:29], v[20:21]
	v_fma_f64 v[50:51], v[26:27], v[18:19], -v[50:51]
	v_mul_f64 v[26:27], v[26:27], v[20:21]
	v_add_f64 v[50:51], v[6:7], v[50:51]
	v_fma_f64 v[26:27], v[28:29], v[18:19], v[26:27]
	v_add_f64 v[52:53], v[26:27], v[10:11]
	ds_read_b128 v[26:29], v25 offset:2048
	s_waitcnt lgkmcnt(0)
	v_mul_f64 v[6:7], v[28:29], v[44:45]
	v_mul_f64 v[10:11], v[26:27], v[44:45]
	v_fma_f64 v[6:7], v[26:27], v[42:43], -v[6:7]
	v_fma_f64 v[10:11], v[28:29], v[42:43], v[10:11]
	v_add_f64 v[42:43], v[14:15], v[6:7]
	v_mul_f64 v[6:7], v[28:29], v[20:21]
	v_add_f64 v[44:45], v[10:11], v[16:17]
	v_mul_f64 v[10:11], v[26:27], v[20:21]
	v_fma_f64 v[6:7], v[26:27], v[18:19], -v[6:7]
	v_fma_f64 v[10:11], v[28:29], v[18:19], v[10:11]
	v_add_f64 v[18:19], v[8:9], v[6:7]
	ds_read_b128 v[6:9], v24 offset:512
	v_add_f64 v[20:21], v[10:11], v[12:13]
	s_waitcnt lgkmcnt(0)
	v_mul_f64 v[10:11], v[32:33], v[8:9]
	v_mul_f64 v[12:13], v[30:31], v[8:9]
	v_fma_f64 v[10:11], v[30:31], v[6:7], -v[10:11]
	v_fma_f64 v[12:13], v[32:33], v[6:7], v[12:13]
	v_add_f64 v[26:27], v[46:47], v[10:11]
	v_add_f64 v[28:29], v[12:13], v[48:49]
	ds_read_b128 v[10:13], v24 offset:768
	s_waitcnt lgkmcnt(0)
	v_mul_f64 v[14:15], v[32:33], v[12:13]
	v_mul_f64 v[16:17], v[30:31], v[12:13]
	v_fma_f64 v[14:15], v[30:31], v[10:11], -v[14:15]
	v_fma_f64 v[16:17], v[32:33], v[10:11], v[16:17]
	v_add_f64 v[30:31], v[50:51], v[14:15]
	v_add_f64 v[32:33], v[16:17], v[52:53]
	ds_read_b128 v[14:17], v25 offset:2064
	s_waitcnt lgkmcnt(0)
	v_mul_f64 v[46:47], v[16:17], v[8:9]
	v_mul_f64 v[8:9], v[14:15], v[8:9]
	v_fma_f64 v[46:47], v[14:15], v[6:7], -v[46:47]
	v_fma_f64 v[6:7], v[16:17], v[6:7], v[8:9]
	v_mul_f64 v[8:9], v[14:15], v[12:13]
	v_add_f64 v[42:43], v[42:43], v[46:47]
	v_add_f64 v[44:45], v[6:7], v[44:45]
	v_mul_f64 v[6:7], v[16:17], v[12:13]
	v_fma_f64 v[8:9], v[16:17], v[10:11], v[8:9]
	v_fma_f64 v[6:7], v[14:15], v[10:11], -v[6:7]
	v_add_f64 v[20:21], v[8:9], v[20:21]
	v_add_f64 v[18:19], v[18:19], v[6:7]
	ds_read_b128 v[6:9], v24 offset:1024
	s_waitcnt lgkmcnt(0)
	v_mul_f64 v[10:11], v[36:37], v[8:9]
	v_mul_f64 v[12:13], v[34:35], v[8:9]
	v_fma_f64 v[10:11], v[34:35], v[6:7], -v[10:11]
	v_fma_f64 v[12:13], v[36:37], v[6:7], v[12:13]
	v_add_f64 v[26:27], v[26:27], v[10:11]
	v_add_f64 v[28:29], v[12:13], v[28:29]
	ds_read_b128 v[10:13], v24 offset:1280
	s_waitcnt lgkmcnt(0)
	v_mul_f64 v[14:15], v[36:37], v[12:13]
	v_mul_f64 v[16:17], v[34:35], v[12:13]
	v_fma_f64 v[14:15], v[34:35], v[10:11], -v[14:15]
	v_fma_f64 v[16:17], v[36:37], v[10:11], v[16:17]
	v_add_f64 v[30:31], v[30:31], v[14:15]
	v_add_f64 v[32:33], v[16:17], v[32:33]
	ds_read_b128 v[14:17], v25 offset:2080
	s_waitcnt lgkmcnt(0)
	v_mul_f64 v[34:35], v[16:17], v[8:9]
	v_mul_f64 v[8:9], v[14:15], v[8:9]
	v_fma_f64 v[34:35], v[14:15], v[6:7], -v[34:35]
	v_fma_f64 v[6:7], v[16:17], v[6:7], v[8:9]
	v_mul_f64 v[8:9], v[14:15], v[12:13]
	v_add_f64 v[34:35], v[42:43], v[34:35]
	v_add_f64 v[36:37], v[6:7], v[44:45]
	v_mul_f64 v[6:7], v[16:17], v[12:13]
	v_fma_f64 v[8:9], v[16:17], v[10:11], v[8:9]
	v_fma_f64 v[6:7], v[14:15], v[10:11], -v[6:7]
	v_add_f64 v[20:21], v[8:9], v[20:21]
	v_add_f64 v[18:19], v[18:19], v[6:7]
	ds_read_b128 v[6:9], v24 offset:1536
	;; [unrolled: 30-line block ×3, first 2 shown]
	ds_read_b128 v[10:13], v24 offset:2048
	s_waitcnt lgkmcnt(0)
	v_mul_f64 v[14:15], v[8:9], v[12:13]
	v_mul_f64 v[16:17], v[6:7], v[12:13]
	v_fma_f64 v[14:15], v[6:7], v[10:11], -v[14:15]
	v_fma_f64 v[16:17], v[8:9], v[10:11], v[16:17]
	v_add_f64 v[26:27], v[26:27], v[14:15]
	v_add_f64 v[28:29], v[16:17], v[28:29]
	ds_read_b128 v[14:17], v24 offset:2304
	s_waitcnt lgkmcnt(0)
	v_mul_f64 v[38:39], v[8:9], v[16:17]
	v_fma_f64 v[38:39], v[6:7], v[14:15], -v[38:39]
	v_mul_f64 v[6:7], v[6:7], v[16:17]
	v_add_f64 v[30:31], v[30:31], v[38:39]
	v_fma_f64 v[6:7], v[8:9], v[14:15], v[6:7]
	v_add_f64 v[32:33], v[6:7], v[32:33]
	ds_read_b128 v[6:9], v25 offset:2112
	s_waitcnt lgkmcnt(0)
	v_mul_f64 v[38:39], v[8:9], v[12:13]
	v_mul_f64 v[12:13], v[6:7], v[12:13]
	v_fma_f64 v[38:39], v[6:7], v[10:11], -v[38:39]
	v_fma_f64 v[10:11], v[8:9], v[10:11], v[12:13]
	v_add_f64 v[34:35], v[34:35], v[38:39]
	v_add_f64 v[36:37], v[10:11], v[36:37]
	v_mul_f64 v[10:11], v[8:9], v[16:17]
	v_fma_f64 v[10:11], v[6:7], v[14:15], -v[10:11]
	v_mul_f64 v[6:7], v[6:7], v[16:17]
	v_add_f64 v[18:19], v[18:19], v[10:11]
	v_fma_f64 v[6:7], v[8:9], v[14:15], v[6:7]
	v_add_f64 v[20:21], v[6:7], v[20:21]
	ds_read_b128 v[6:9], v25 offset:80
	ds_read_b128 v[10:13], v24 offset:2560
	s_waitcnt lgkmcnt(0)
	v_mul_f64 v[14:15], v[8:9], v[12:13]
	v_mul_f64 v[16:17], v[6:7], v[12:13]
	v_fma_f64 v[14:15], v[6:7], v[10:11], -v[14:15]
	v_fma_f64 v[16:17], v[8:9], v[10:11], v[16:17]
	v_add_f64 v[26:27], v[26:27], v[14:15]
	v_add_f64 v[28:29], v[16:17], v[28:29]
	ds_read_b128 v[14:17], v24 offset:2816
	s_waitcnt lgkmcnt(0)
	v_mul_f64 v[38:39], v[8:9], v[16:17]
	v_fma_f64 v[38:39], v[6:7], v[14:15], -v[38:39]
	v_mul_f64 v[6:7], v[6:7], v[16:17]
	v_add_f64 v[30:31], v[30:31], v[38:39]
	v_fma_f64 v[6:7], v[8:9], v[14:15], v[6:7]
	v_add_f64 v[32:33], v[6:7], v[32:33]
	ds_read_b128 v[6:9], v25 offset:2128
	s_waitcnt lgkmcnt(0)
	v_mul_f64 v[38:39], v[8:9], v[12:13]
	v_mul_f64 v[12:13], v[6:7], v[12:13]
	v_fma_f64 v[38:39], v[6:7], v[10:11], -v[38:39]
	v_fma_f64 v[10:11], v[8:9], v[10:11], v[12:13]
	v_add_f64 v[34:35], v[34:35], v[38:39]
	v_add_f64 v[36:37], v[10:11], v[36:37]
	v_mul_f64 v[10:11], v[8:9], v[16:17]
	v_fma_f64 v[10:11], v[6:7], v[14:15], -v[10:11]
	v_mul_f64 v[6:7], v[6:7], v[16:17]
	v_add_f64 v[18:19], v[18:19], v[10:11]
	v_fma_f64 v[6:7], v[8:9], v[14:15], v[6:7]
	v_add_f64 v[20:21], v[6:7], v[20:21]
	ds_read_b128 v[6:9], v25 offset:96
	;; [unrolled: 31-line block ×3, first 2 shown]
	ds_read_b128 v[12:15], v24 offset:3584
	s_waitcnt lgkmcnt(0)
	v_mul_f64 v[10:11], v[8:9], v[14:15]
	v_mul_f64 v[16:17], v[6:7], v[14:15]
	v_fma_f64 v[10:11], v[6:7], v[12:13], -v[10:11]
	v_fma_f64 v[16:17], v[8:9], v[12:13], v[16:17]
	v_add_f64 v[18:19], v[26:27], v[10:11]
	v_add_f64 v[20:21], v[16:17], v[28:29]
	ds_read_b128 v[26:29], v24 offset:3840
	s_waitcnt lgkmcnt(0)
	v_mul_f64 v[10:11], v[8:9], v[28:29]
	v_fma_f64 v[10:11], v[6:7], v[26:27], -v[10:11]
	v_mul_f64 v[6:7], v[6:7], v[28:29]
	v_fma_f64 v[8:9], v[8:9], v[26:27], v[6:7]
	v_add_f64 v[6:7], v[30:31], v[10:11]
	v_add_f64 v[10:11], v[8:9], v[32:33]
	ds_read_b128 v[30:33], v25 offset:2160
	s_waitcnt lgkmcnt(0)
	s_barrier
	v_mul_f64 v[8:9], v[32:33], v[14:15]
	v_mul_f64 v[14:15], v[30:31], v[14:15]
	v_fma_f64 v[8:9], v[30:31], v[12:13], -v[8:9]
	v_fma_f64 v[12:13], v[32:33], v[12:13], v[14:15]
	v_add_f64 v[14:15], v[34:35], v[8:9]
	v_add_f64 v[16:17], v[12:13], v[36:37]
	v_mul_f64 v[8:9], v[32:33], v[28:29]
	v_mul_f64 v[12:13], v[30:31], v[28:29]
	v_fma_f64 v[8:9], v[30:31], v[26:27], -v[8:9]
	v_fma_f64 v[12:13], v[32:33], v[26:27], v[12:13]
	v_mov_b32_e32 v27, s1
	v_mov_b32_e32 v26, s0
	v_cmp_le_u64_e32 vcc, s[12:13], v[26:27]
	v_add_f64 v[8:9], v[38:39], v[8:9]
	v_add_f64 v[12:13], v[12:13], v[40:41]
	s_cbranch_vccz .LBB1187_2
	s_branch .LBB1187_4
.LBB1187_3:
	v_mov_b32_e32 v18, 0
	v_mov_b32_e32 v20, 0
	v_mov_b32_e32 v6, 0
	v_mov_b32_e32 v10, 0
	v_mov_b32_e32 v14, 0
	v_mov_b32_e32 v16, 0
	v_mov_b32_e32 v8, 0
	v_mov_b32_e32 v12, 0
	v_mov_b32_e32 v19, 0
	v_mov_b32_e32 v21, 0
	v_mov_b32_e32 v7, 0
	v_mov_b32_e32 v11, 0
	v_mov_b32_e32 v15, 0
	v_mov_b32_e32 v17, 0
	v_mov_b32_e32 v9, 0
	v_mov_b32_e32 v13, 0
.LBB1187_4:
	v_add_u32_e32 v4, s3, v1
	v_ashrrev_i32_e32 v1, 31, v4
	v_mul_lo_u32 v3, s28, v1
	v_mul_lo_u32 v5, s29, v4
	v_mad_u64_u32 v[1:2], s[6:7], s28, v4, 0
	s_mul_i32 s0, s31, s8
	s_mul_hi_u32 s1, s30, s8
	s_add_i32 s1, s1, s0
	s_mul_i32 s0, s30, s8
	s_load_dword s4, s[4:5], 0x0
	s_lshl_b64 s[0:1], s[0:1], 4
	v_add3_u32 v2, v2, v3, v5
	s_add_u32 s6, s42, s0
	v_lshlrev_b64 v[1:2], 4, v[1:2]
	s_addc_u32 s7, s43, s1
	v_mov_b32_e32 v3, s7
	v_add_co_u32_e32 v5, vcc, s6, v1
	v_add_u32_e32 v0, s2, v0
	v_addc_co_u32_e32 v22, vcc, v3, v2, vcc
	v_cmp_le_i32_e64 s[0:1], v4, v0
	s_waitcnt lgkmcnt(0)
	v_cmp_gt_i32_e32 vcc, s4, v0
	s_and_b64 s[0:1], s[0:1], vcc
	s_and_saveexec_b64 s[2:3], s[0:1]
	s_cbranch_execz .LBB1187_6
; %bb.5:
	v_ashrrev_i32_e32 v1, 31, v0
	v_lshlrev_b64 v[1:2], 4, v[0:1]
	v_mul_f64 v[27:28], s[16:17], v[20:21]
	v_add_co_u32_e64 v1, s[0:1], v5, v1
	v_addc_co_u32_e64 v2, s[0:1], v22, v2, s[0:1]
	global_load_dwordx4 v[23:26], v[1:2], off
	v_mul_f64 v[20:21], s[14:15], v[20:21]
	v_fma_f64 v[27:28], s[14:15], v[18:19], -v[27:28]
	v_fma_f64 v[20:21], s[16:17], v[18:19], v[20:21]
	s_waitcnt vmcnt(0)
	v_mul_f64 v[29:30], s[40:41], v[25:26]
	v_mul_f64 v[25:26], s[38:39], v[25:26]
	v_fma_f64 v[18:19], s[38:39], v[23:24], -v[29:30]
	v_fma_f64 v[23:24], s[40:41], v[23:24], v[25:26]
	v_add_f64 v[18:19], v[27:28], v[18:19]
	v_add_f64 v[20:21], v[20:21], v[23:24]
	global_store_dwordx4 v[1:2], v[18:21], off
.LBB1187_6:
	s_or_b64 exec, exec, s[2:3]
	v_add_u32_e32 v2, 16, v0
	v_cmp_le_i32_e64 s[2:3], v4, v2
	v_cmp_gt_i32_e64 s[0:1], s4, v2
	s_and_b64 s[2:3], s[2:3], s[0:1]
	s_and_saveexec_b64 s[4:5], s[2:3]
	s_cbranch_execz .LBB1187_8
; %bb.7:
	v_ashrrev_i32_e32 v3, 31, v2
	v_lshlrev_b64 v[18:19], 4, v[2:3]
	v_mul_f64 v[25:26], s[16:17], v[10:11]
	v_add_co_u32_e64 v23, s[2:3], v5, v18
	v_addc_co_u32_e64 v24, s[2:3], v22, v19, s[2:3]
	global_load_dwordx4 v[18:21], v[23:24], off
	v_mul_f64 v[10:11], s[14:15], v[10:11]
	v_fma_f64 v[25:26], s[14:15], v[6:7], -v[25:26]
	v_fma_f64 v[5:6], s[16:17], v[6:7], v[10:11]
	s_waitcnt vmcnt(0)
	v_mul_f64 v[27:28], s[40:41], v[20:21]
	v_mul_f64 v[20:21], s[38:39], v[20:21]
	v_fma_f64 v[10:11], s[38:39], v[18:19], -v[27:28]
	v_fma_f64 v[20:21], s[40:41], v[18:19], v[20:21]
	v_add_f64 v[18:19], v[25:26], v[10:11]
	v_add_f64 v[20:21], v[5:6], v[20:21]
	global_store_dwordx4 v[23:24], v[18:21], off
.LBB1187_8:
	s_or_b64 exec, exec, s[4:5]
	v_add_u32_e32 v3, 16, v4
	v_ashrrev_i32_e32 v1, 31, v3
	v_mul_lo_u32 v6, s29, v3
	v_mad_u64_u32 v[4:5], s[2:3], s28, v3, 0
	v_mul_lo_u32 v1, s28, v1
	v_add3_u32 v5, v5, v1, v6
	v_lshlrev_b64 v[4:5], 4, v[4:5]
	v_mov_b32_e32 v1, s7
	v_add_co_u32_e64 v4, s[2:3], s6, v4
	v_addc_co_u32_e64 v5, s[2:3], v1, v5, s[2:3]
	v_cmp_le_i32_e64 s[2:3], v3, v0
	s_and_b64 s[4:5], s[2:3], vcc
	s_and_saveexec_b64 s[2:3], s[4:5]
	s_cbranch_execz .LBB1187_10
; %bb.9:
	v_ashrrev_i32_e32 v1, 31, v0
	v_lshlrev_b64 v[0:1], 4, v[0:1]
	v_mul_f64 v[6:7], s[16:17], v[16:17]
	v_add_co_u32_e32 v0, vcc, v4, v0
	v_addc_co_u32_e32 v1, vcc, v5, v1, vcc
	global_load_dwordx4 v[18:21], v[0:1], off
	v_mul_f64 v[10:11], s[14:15], v[16:17]
	v_fma_f64 v[6:7], s[14:15], v[14:15], -v[6:7]
	v_fma_f64 v[10:11], s[16:17], v[14:15], v[10:11]
	s_waitcnt vmcnt(0)
	v_mul_f64 v[16:17], s[40:41], v[20:21]
	v_mul_f64 v[20:21], s[38:39], v[20:21]
	v_fma_f64 v[14:15], s[38:39], v[18:19], -v[16:17]
	v_fma_f64 v[16:17], s[40:41], v[18:19], v[20:21]
	v_add_f64 v[14:15], v[6:7], v[14:15]
	v_add_f64 v[16:17], v[10:11], v[16:17]
	global_store_dwordx4 v[0:1], v[14:17], off
.LBB1187_10:
	s_or_b64 exec, exec, s[2:3]
	v_cmp_le_i32_e32 vcc, v3, v2
	s_and_b64 s[0:1], vcc, s[0:1]
	s_and_saveexec_b64 s[2:3], s[0:1]
	s_cbranch_execz .LBB1187_12
; %bb.11:
	v_ashrrev_i32_e32 v3, 31, v2
	v_lshlrev_b64 v[0:1], 4, v[2:3]
	v_mul_f64 v[6:7], s[16:17], v[12:13]
	v_add_co_u32_e32 v4, vcc, v4, v0
	v_addc_co_u32_e32 v5, vcc, v5, v1, vcc
	global_load_dwordx4 v[0:3], v[4:5], off
	v_mul_f64 v[10:11], s[14:15], v[12:13]
	v_fma_f64 v[6:7], s[14:15], v[8:9], -v[6:7]
	v_fma_f64 v[8:9], s[16:17], v[8:9], v[10:11]
	s_waitcnt vmcnt(0)
	v_mul_f64 v[12:13], s[40:41], v[2:3]
	v_mul_f64 v[2:3], s[38:39], v[2:3]
	v_fma_f64 v[10:11], s[38:39], v[0:1], -v[12:13]
	v_fma_f64 v[2:3], s[40:41], v[0:1], v[2:3]
	v_add_f64 v[0:1], v[6:7], v[10:11]
	v_add_f64 v[2:3], v[8:9], v[2:3]
	global_store_dwordx4 v[4:5], v[0:3], off
.LBB1187_12:
	s_endpgm
	.section	.rodata,"a",@progbits
	.p2align	6, 0x0
	.amdhsa_kernel _ZL37rocblas_syrkx_herkx_restricted_kernelIl19rocblas_complex_numIdELi16ELi32ELi8ELb0ELb0ELc84ELc76EKS1_S1_EviT_T0_PT8_S3_lS6_S3_lS4_PT9_S3_li
		.amdhsa_group_segment_fixed_size 8192
		.amdhsa_private_segment_fixed_size 0
		.amdhsa_kernarg_size 124
		.amdhsa_user_sgpr_count 6
		.amdhsa_user_sgpr_private_segment_buffer 1
		.amdhsa_user_sgpr_dispatch_ptr 0
		.amdhsa_user_sgpr_queue_ptr 0
		.amdhsa_user_sgpr_kernarg_segment_ptr 1
		.amdhsa_user_sgpr_dispatch_id 0
		.amdhsa_user_sgpr_flat_scratch_init 0
		.amdhsa_user_sgpr_private_segment_size 0
		.amdhsa_uses_dynamic_stack 0
		.amdhsa_system_sgpr_private_segment_wavefront_offset 0
		.amdhsa_system_sgpr_workgroup_id_x 1
		.amdhsa_system_sgpr_workgroup_id_y 1
		.amdhsa_system_sgpr_workgroup_id_z 1
		.amdhsa_system_sgpr_workgroup_info 0
		.amdhsa_system_vgpr_workitem_id 1
		.amdhsa_next_free_vgpr 54
		.amdhsa_next_free_sgpr 61
		.amdhsa_reserve_vcc 1
		.amdhsa_reserve_flat_scratch 0
		.amdhsa_float_round_mode_32 0
		.amdhsa_float_round_mode_16_64 0
		.amdhsa_float_denorm_mode_32 3
		.amdhsa_float_denorm_mode_16_64 3
		.amdhsa_dx10_clamp 1
		.amdhsa_ieee_mode 1
		.amdhsa_fp16_overflow 0
		.amdhsa_exception_fp_ieee_invalid_op 0
		.amdhsa_exception_fp_denorm_src 0
		.amdhsa_exception_fp_ieee_div_zero 0
		.amdhsa_exception_fp_ieee_overflow 0
		.amdhsa_exception_fp_ieee_underflow 0
		.amdhsa_exception_fp_ieee_inexact 0
		.amdhsa_exception_int_div_zero 0
	.end_amdhsa_kernel
	.section	.text._ZL37rocblas_syrkx_herkx_restricted_kernelIl19rocblas_complex_numIdELi16ELi32ELi8ELb0ELb0ELc84ELc76EKS1_S1_EviT_T0_PT8_S3_lS6_S3_lS4_PT9_S3_li,"axG",@progbits,_ZL37rocblas_syrkx_herkx_restricted_kernelIl19rocblas_complex_numIdELi16ELi32ELi8ELb0ELb0ELc84ELc76EKS1_S1_EviT_T0_PT8_S3_lS6_S3_lS4_PT9_S3_li,comdat
.Lfunc_end1187:
	.size	_ZL37rocblas_syrkx_herkx_restricted_kernelIl19rocblas_complex_numIdELi16ELi32ELi8ELb0ELb0ELc84ELc76EKS1_S1_EviT_T0_PT8_S3_lS6_S3_lS4_PT9_S3_li, .Lfunc_end1187-_ZL37rocblas_syrkx_herkx_restricted_kernelIl19rocblas_complex_numIdELi16ELi32ELi8ELb0ELb0ELc84ELc76EKS1_S1_EviT_T0_PT8_S3_lS6_S3_lS4_PT9_S3_li
                                        ; -- End function
	.set _ZL37rocblas_syrkx_herkx_restricted_kernelIl19rocblas_complex_numIdELi16ELi32ELi8ELb0ELb0ELc84ELc76EKS1_S1_EviT_T0_PT8_S3_lS6_S3_lS4_PT9_S3_li.num_vgpr, 54
	.set _ZL37rocblas_syrkx_herkx_restricted_kernelIl19rocblas_complex_numIdELi16ELi32ELi8ELb0ELb0ELc84ELc76EKS1_S1_EviT_T0_PT8_S3_lS6_S3_lS4_PT9_S3_li.num_agpr, 0
	.set _ZL37rocblas_syrkx_herkx_restricted_kernelIl19rocblas_complex_numIdELi16ELi32ELi8ELb0ELb0ELc84ELc76EKS1_S1_EviT_T0_PT8_S3_lS6_S3_lS4_PT9_S3_li.numbered_sgpr, 44
	.set _ZL37rocblas_syrkx_herkx_restricted_kernelIl19rocblas_complex_numIdELi16ELi32ELi8ELb0ELb0ELc84ELc76EKS1_S1_EviT_T0_PT8_S3_lS6_S3_lS4_PT9_S3_li.num_named_barrier, 0
	.set _ZL37rocblas_syrkx_herkx_restricted_kernelIl19rocblas_complex_numIdELi16ELi32ELi8ELb0ELb0ELc84ELc76EKS1_S1_EviT_T0_PT8_S3_lS6_S3_lS4_PT9_S3_li.private_seg_size, 0
	.set _ZL37rocblas_syrkx_herkx_restricted_kernelIl19rocblas_complex_numIdELi16ELi32ELi8ELb0ELb0ELc84ELc76EKS1_S1_EviT_T0_PT8_S3_lS6_S3_lS4_PT9_S3_li.uses_vcc, 1
	.set _ZL37rocblas_syrkx_herkx_restricted_kernelIl19rocblas_complex_numIdELi16ELi32ELi8ELb0ELb0ELc84ELc76EKS1_S1_EviT_T0_PT8_S3_lS6_S3_lS4_PT9_S3_li.uses_flat_scratch, 0
	.set _ZL37rocblas_syrkx_herkx_restricted_kernelIl19rocblas_complex_numIdELi16ELi32ELi8ELb0ELb0ELc84ELc76EKS1_S1_EviT_T0_PT8_S3_lS6_S3_lS4_PT9_S3_li.has_dyn_sized_stack, 0
	.set _ZL37rocblas_syrkx_herkx_restricted_kernelIl19rocblas_complex_numIdELi16ELi32ELi8ELb0ELb0ELc84ELc76EKS1_S1_EviT_T0_PT8_S3_lS6_S3_lS4_PT9_S3_li.has_recursion, 0
	.set _ZL37rocblas_syrkx_herkx_restricted_kernelIl19rocblas_complex_numIdELi16ELi32ELi8ELb0ELb0ELc84ELc76EKS1_S1_EviT_T0_PT8_S3_lS6_S3_lS4_PT9_S3_li.has_indirect_call, 0
	.section	.AMDGPU.csdata,"",@progbits
; Kernel info:
; codeLenInByte = 3228
; TotalNumSgprs: 48
; NumVgprs: 54
; ScratchSize: 0
; MemoryBound: 0
; FloatMode: 240
; IeeeMode: 1
; LDSByteSize: 8192 bytes/workgroup (compile time only)
; SGPRBlocks: 8
; VGPRBlocks: 13
; NumSGPRsForWavesPerEU: 65
; NumVGPRsForWavesPerEU: 54
; Occupancy: 4
; WaveLimiterHint : 0
; COMPUTE_PGM_RSRC2:SCRATCH_EN: 0
; COMPUTE_PGM_RSRC2:USER_SGPR: 6
; COMPUTE_PGM_RSRC2:TRAP_HANDLER: 0
; COMPUTE_PGM_RSRC2:TGID_X_EN: 1
; COMPUTE_PGM_RSRC2:TGID_Y_EN: 1
; COMPUTE_PGM_RSRC2:TGID_Z_EN: 1
; COMPUTE_PGM_RSRC2:TIDIG_COMP_CNT: 1
	.section	.text._ZL37rocblas_syrkx_herkx_restricted_kernelIl19rocblas_complex_numIdELi16ELi32ELi8ELb0ELb0ELc67ELc76EKS1_S1_EviT_T0_PT8_S3_lS6_S3_lS4_PT9_S3_li,"axG",@progbits,_ZL37rocblas_syrkx_herkx_restricted_kernelIl19rocblas_complex_numIdELi16ELi32ELi8ELb0ELb0ELc67ELc76EKS1_S1_EviT_T0_PT8_S3_lS6_S3_lS4_PT9_S3_li,comdat
	.globl	_ZL37rocblas_syrkx_herkx_restricted_kernelIl19rocblas_complex_numIdELi16ELi32ELi8ELb0ELb0ELc67ELc76EKS1_S1_EviT_T0_PT8_S3_lS6_S3_lS4_PT9_S3_li ; -- Begin function _ZL37rocblas_syrkx_herkx_restricted_kernelIl19rocblas_complex_numIdELi16ELi32ELi8ELb0ELb0ELc67ELc76EKS1_S1_EviT_T0_PT8_S3_lS6_S3_lS4_PT9_S3_li
	.p2align	8
	.type	_ZL37rocblas_syrkx_herkx_restricted_kernelIl19rocblas_complex_numIdELi16ELi32ELi8ELb0ELb0ELc67ELc76EKS1_S1_EviT_T0_PT8_S3_lS6_S3_lS4_PT9_S3_li,@function
_ZL37rocblas_syrkx_herkx_restricted_kernelIl19rocblas_complex_numIdELi16ELi32ELi8ELb0ELb0ELc67ELc76EKS1_S1_EviT_T0_PT8_S3_lS6_S3_lS4_PT9_S3_li: ; @_ZL37rocblas_syrkx_herkx_restricted_kernelIl19rocblas_complex_numIdELi16ELi32ELi8ELb0ELb0ELc67ELc76EKS1_S1_EviT_T0_PT8_S3_lS6_S3_lS4_PT9_S3_li
; %bb.0:
	s_load_dwordx16 s[12:27], s[4:5], 0x8
	s_load_dwordx4 s[28:31], s[4:5], 0x68
	s_load_dwordx8 s[36:43], s[4:5], 0x48
	s_lshl_b32 s2, s6, 5
	s_lshl_b32 s3, s7, 5
	s_waitcnt lgkmcnt(0)
	v_cmp_lt_i64_e64 s[0:1], s[12:13], 1
	s_and_b64 vcc, exec, s[0:1]
	s_cbranch_vccnz .LBB1188_3
; %bb.1:
	v_lshl_add_u32 v7, v1, 4, v0
	v_lshrrev_b32_e32 v8, 3, v7
	v_add_u32_e32 v4, s3, v8
	v_and_b32_e32 v2, 7, v0
	v_ashrrev_i32_e32 v5, 31, v4
	v_mov_b32_e32 v3, 0
	v_mul_lo_u32 v9, s26, v5
	v_mul_lo_u32 v10, s27, v4
	v_mad_u64_u32 v[4:5], s[0:1], s26, v4, v[2:3]
	v_lshlrev_b32_e32 v2, 4, v2
	v_and_b32_e32 v11, 31, v7
	v_lshl_or_b32 v2, v8, 7, v2
	v_add_u32_e32 v23, 0x1000, v2
	v_mov_b32_e32 v2, 0x1000
	v_add_u32_e32 v8, s2, v11
	v_lshrrev_b32_e32 v6, 5, v7
	v_mov_b32_e32 v7, v3
	v_lshlrev_b32_e32 v3, 4, v11
	v_lshl_add_u32 v25, v1, 7, v2
	v_ashrrev_i32_e32 v2, 31, v8
	v_add3_u32 v5, v10, v5, v9
	v_lshl_or_b32 v22, v6, 9, v3
	v_mul_lo_u32 v9, s20, v2
	v_mad_u64_u32 v[2:3], s[0:1], s20, v8, v[6:7]
	v_mul_lo_u32 v6, s21, v8
	s_mul_i32 s6, s23, s8
	s_mul_hi_u32 s7, s22, s8
	s_add_i32 s1, s7, s6
	s_mul_i32 s0, s22, s8
	s_lshl_b64 s[0:1], s[0:1], 4
	v_add3_u32 v3, v6, v3, v9
	v_lshlrev_b64 v[2:3], 4, v[2:3]
	s_add_u32 s0, s18, s0
	s_addc_u32 s1, s19, s1
	v_mov_b32_e32 v6, s1
	v_add_co_u32_e32 v2, vcc, s0, v2
	s_mul_i32 s0, s37, s8
	s_mul_hi_u32 s1, s36, s8
	s_add_i32 s1, s1, s0
	s_mul_i32 s0, s36, s8
	v_addc_co_u32_e32 v3, vcc, v6, v3, vcc
	s_lshl_b64 s[0:1], s[0:1], 4
	v_add_co_u32_e32 v2, vcc, 8, v2
	v_lshlrev_b64 v[4:5], 4, v[4:5]
	s_add_u32 s0, s24, s0
	v_addc_co_u32_e32 v3, vcc, 0, v3, vcc
	s_addc_u32 s1, s25, s1
	v_mov_b32_e32 v6, s1
	v_add_co_u32_e32 v4, vcc, s0, v4
	v_addc_co_u32_e32 v5, vcc, v6, v5, vcc
	v_add_co_u32_e32 v4, vcc, 8, v4
	v_mov_b32_e32 v12, 0
	v_mov_b32_e32 v8, 0
	;; [unrolled: 1-line block ×8, first 2 shown]
	v_lshlrev_b32_e32 v24, 4, v0
	v_addc_co_u32_e32 v5, vcc, 0, v5, vcc
	v_mov_b32_e32 v13, 0
	v_mov_b32_e32 v9, 0
	;; [unrolled: 1-line block ×8, first 2 shown]
	s_mov_b64 s[0:1], 0
.LBB1188_2:                             ; =>This Inner Loop Header: Depth=1
	global_load_dwordx4 v[26:29], v[2:3], off offset:-8
	s_add_u32 s0, s0, 8
	v_add_co_u32_e32 v2, vcc, 0x80, v2
	s_addc_u32 s1, s1, 0
	v_addc_co_u32_e32 v3, vcc, 0, v3, vcc
	s_waitcnt vmcnt(0)
	ds_write_b128 v22, v[26:29]
	global_load_dwordx4 v[26:29], v[4:5], off offset:-8
	v_add_co_u32_e32 v4, vcc, 0x80, v4
	v_addc_co_u32_e32 v5, vcc, 0, v5, vcc
	s_waitcnt vmcnt(0)
	ds_write_b128 v23, v[26:29]
	s_waitcnt lgkmcnt(0)
	s_barrier
	ds_read_b128 v[26:29], v25
	ds_read_b128 v[30:33], v25 offset:16
	ds_read_b128 v[34:37], v25 offset:32
	;; [unrolled: 1-line block ×3, first 2 shown]
	ds_read_b128 v[42:45], v24
	s_waitcnt lgkmcnt(0)
	v_mul_f64 v[46:47], v[28:29], v[44:45]
	v_mul_f64 v[48:49], v[26:27], v[44:45]
	v_fma_f64 v[46:47], v[26:27], v[42:43], -v[46:47]
	v_fma_f64 v[48:49], v[28:29], v[42:43], v[48:49]
	v_add_f64 v[46:47], v[18:19], v[46:47]
	v_add_f64 v[48:49], v[48:49], v[20:21]
	ds_read_b128 v[18:21], v24 offset:256
	s_waitcnt lgkmcnt(0)
	v_mul_f64 v[50:51], v[28:29], v[20:21]
	v_fma_f64 v[50:51], v[26:27], v[18:19], -v[50:51]
	v_mul_f64 v[26:27], v[26:27], v[20:21]
	v_add_f64 v[50:51], v[6:7], v[50:51]
	v_fma_f64 v[26:27], v[28:29], v[18:19], v[26:27]
	v_add_f64 v[52:53], v[26:27], v[10:11]
	ds_read_b128 v[26:29], v25 offset:2048
	s_waitcnt lgkmcnt(0)
	v_mul_f64 v[6:7], v[28:29], v[44:45]
	v_mul_f64 v[10:11], v[26:27], v[44:45]
	v_fma_f64 v[6:7], v[26:27], v[42:43], -v[6:7]
	v_fma_f64 v[10:11], v[28:29], v[42:43], v[10:11]
	v_add_f64 v[42:43], v[14:15], v[6:7]
	v_mul_f64 v[6:7], v[28:29], v[20:21]
	v_add_f64 v[44:45], v[10:11], v[16:17]
	v_mul_f64 v[10:11], v[26:27], v[20:21]
	v_fma_f64 v[6:7], v[26:27], v[18:19], -v[6:7]
	v_fma_f64 v[10:11], v[28:29], v[18:19], v[10:11]
	v_add_f64 v[18:19], v[8:9], v[6:7]
	ds_read_b128 v[6:9], v24 offset:512
	v_add_f64 v[20:21], v[10:11], v[12:13]
	s_waitcnt lgkmcnt(0)
	v_mul_f64 v[10:11], v[32:33], v[8:9]
	v_mul_f64 v[12:13], v[30:31], v[8:9]
	v_fma_f64 v[10:11], v[30:31], v[6:7], -v[10:11]
	v_fma_f64 v[12:13], v[32:33], v[6:7], v[12:13]
	v_add_f64 v[26:27], v[46:47], v[10:11]
	v_add_f64 v[28:29], v[12:13], v[48:49]
	ds_read_b128 v[10:13], v24 offset:768
	s_waitcnt lgkmcnt(0)
	v_mul_f64 v[14:15], v[32:33], v[12:13]
	v_mul_f64 v[16:17], v[30:31], v[12:13]
	v_fma_f64 v[14:15], v[30:31], v[10:11], -v[14:15]
	v_fma_f64 v[16:17], v[32:33], v[10:11], v[16:17]
	v_add_f64 v[30:31], v[50:51], v[14:15]
	v_add_f64 v[32:33], v[16:17], v[52:53]
	ds_read_b128 v[14:17], v25 offset:2064
	s_waitcnt lgkmcnt(0)
	v_mul_f64 v[46:47], v[16:17], v[8:9]
	v_mul_f64 v[8:9], v[14:15], v[8:9]
	v_fma_f64 v[46:47], v[14:15], v[6:7], -v[46:47]
	v_fma_f64 v[6:7], v[16:17], v[6:7], v[8:9]
	v_mul_f64 v[8:9], v[14:15], v[12:13]
	v_add_f64 v[42:43], v[42:43], v[46:47]
	v_add_f64 v[44:45], v[6:7], v[44:45]
	v_mul_f64 v[6:7], v[16:17], v[12:13]
	v_fma_f64 v[8:9], v[16:17], v[10:11], v[8:9]
	v_fma_f64 v[6:7], v[14:15], v[10:11], -v[6:7]
	v_add_f64 v[20:21], v[8:9], v[20:21]
	v_add_f64 v[18:19], v[18:19], v[6:7]
	ds_read_b128 v[6:9], v24 offset:1024
	s_waitcnt lgkmcnt(0)
	v_mul_f64 v[10:11], v[36:37], v[8:9]
	v_mul_f64 v[12:13], v[34:35], v[8:9]
	v_fma_f64 v[10:11], v[34:35], v[6:7], -v[10:11]
	v_fma_f64 v[12:13], v[36:37], v[6:7], v[12:13]
	v_add_f64 v[26:27], v[26:27], v[10:11]
	v_add_f64 v[28:29], v[12:13], v[28:29]
	ds_read_b128 v[10:13], v24 offset:1280
	s_waitcnt lgkmcnt(0)
	v_mul_f64 v[14:15], v[36:37], v[12:13]
	v_mul_f64 v[16:17], v[34:35], v[12:13]
	v_fma_f64 v[14:15], v[34:35], v[10:11], -v[14:15]
	v_fma_f64 v[16:17], v[36:37], v[10:11], v[16:17]
	v_add_f64 v[30:31], v[30:31], v[14:15]
	v_add_f64 v[32:33], v[16:17], v[32:33]
	ds_read_b128 v[14:17], v25 offset:2080
	s_waitcnt lgkmcnt(0)
	v_mul_f64 v[34:35], v[16:17], v[8:9]
	v_mul_f64 v[8:9], v[14:15], v[8:9]
	v_fma_f64 v[34:35], v[14:15], v[6:7], -v[34:35]
	v_fma_f64 v[6:7], v[16:17], v[6:7], v[8:9]
	v_mul_f64 v[8:9], v[14:15], v[12:13]
	v_add_f64 v[34:35], v[42:43], v[34:35]
	v_add_f64 v[36:37], v[6:7], v[44:45]
	v_mul_f64 v[6:7], v[16:17], v[12:13]
	v_fma_f64 v[8:9], v[16:17], v[10:11], v[8:9]
	v_fma_f64 v[6:7], v[14:15], v[10:11], -v[6:7]
	v_add_f64 v[20:21], v[8:9], v[20:21]
	v_add_f64 v[18:19], v[18:19], v[6:7]
	ds_read_b128 v[6:9], v24 offset:1536
	;; [unrolled: 30-line block ×3, first 2 shown]
	ds_read_b128 v[10:13], v24 offset:2048
	s_waitcnt lgkmcnt(0)
	v_mul_f64 v[14:15], v[8:9], v[12:13]
	v_mul_f64 v[16:17], v[6:7], v[12:13]
	v_fma_f64 v[14:15], v[6:7], v[10:11], -v[14:15]
	v_fma_f64 v[16:17], v[8:9], v[10:11], v[16:17]
	v_add_f64 v[26:27], v[26:27], v[14:15]
	v_add_f64 v[28:29], v[16:17], v[28:29]
	ds_read_b128 v[14:17], v24 offset:2304
	s_waitcnt lgkmcnt(0)
	v_mul_f64 v[38:39], v[8:9], v[16:17]
	v_fma_f64 v[38:39], v[6:7], v[14:15], -v[38:39]
	v_mul_f64 v[6:7], v[6:7], v[16:17]
	v_add_f64 v[30:31], v[30:31], v[38:39]
	v_fma_f64 v[6:7], v[8:9], v[14:15], v[6:7]
	v_add_f64 v[32:33], v[6:7], v[32:33]
	ds_read_b128 v[6:9], v25 offset:2112
	s_waitcnt lgkmcnt(0)
	v_mul_f64 v[38:39], v[8:9], v[12:13]
	v_mul_f64 v[12:13], v[6:7], v[12:13]
	v_fma_f64 v[38:39], v[6:7], v[10:11], -v[38:39]
	v_fma_f64 v[10:11], v[8:9], v[10:11], v[12:13]
	v_add_f64 v[34:35], v[34:35], v[38:39]
	v_add_f64 v[36:37], v[10:11], v[36:37]
	v_mul_f64 v[10:11], v[8:9], v[16:17]
	v_fma_f64 v[10:11], v[6:7], v[14:15], -v[10:11]
	v_mul_f64 v[6:7], v[6:7], v[16:17]
	v_add_f64 v[18:19], v[18:19], v[10:11]
	v_fma_f64 v[6:7], v[8:9], v[14:15], v[6:7]
	v_add_f64 v[20:21], v[6:7], v[20:21]
	ds_read_b128 v[6:9], v25 offset:80
	ds_read_b128 v[10:13], v24 offset:2560
	s_waitcnt lgkmcnt(0)
	v_mul_f64 v[14:15], v[8:9], v[12:13]
	v_mul_f64 v[16:17], v[6:7], v[12:13]
	v_fma_f64 v[14:15], v[6:7], v[10:11], -v[14:15]
	v_fma_f64 v[16:17], v[8:9], v[10:11], v[16:17]
	v_add_f64 v[26:27], v[26:27], v[14:15]
	v_add_f64 v[28:29], v[16:17], v[28:29]
	ds_read_b128 v[14:17], v24 offset:2816
	s_waitcnt lgkmcnt(0)
	v_mul_f64 v[38:39], v[8:9], v[16:17]
	v_fma_f64 v[38:39], v[6:7], v[14:15], -v[38:39]
	v_mul_f64 v[6:7], v[6:7], v[16:17]
	v_add_f64 v[30:31], v[30:31], v[38:39]
	v_fma_f64 v[6:7], v[8:9], v[14:15], v[6:7]
	v_add_f64 v[32:33], v[6:7], v[32:33]
	ds_read_b128 v[6:9], v25 offset:2128
	s_waitcnt lgkmcnt(0)
	v_mul_f64 v[38:39], v[8:9], v[12:13]
	v_mul_f64 v[12:13], v[6:7], v[12:13]
	v_fma_f64 v[38:39], v[6:7], v[10:11], -v[38:39]
	v_fma_f64 v[10:11], v[8:9], v[10:11], v[12:13]
	v_add_f64 v[34:35], v[34:35], v[38:39]
	v_add_f64 v[36:37], v[10:11], v[36:37]
	v_mul_f64 v[10:11], v[8:9], v[16:17]
	v_fma_f64 v[10:11], v[6:7], v[14:15], -v[10:11]
	v_mul_f64 v[6:7], v[6:7], v[16:17]
	v_add_f64 v[18:19], v[18:19], v[10:11]
	v_fma_f64 v[6:7], v[8:9], v[14:15], v[6:7]
	v_add_f64 v[20:21], v[6:7], v[20:21]
	ds_read_b128 v[6:9], v25 offset:96
	;; [unrolled: 31-line block ×3, first 2 shown]
	ds_read_b128 v[12:15], v24 offset:3584
	s_waitcnt lgkmcnt(0)
	v_mul_f64 v[10:11], v[8:9], v[14:15]
	v_mul_f64 v[16:17], v[6:7], v[14:15]
	v_fma_f64 v[10:11], v[6:7], v[12:13], -v[10:11]
	v_fma_f64 v[16:17], v[8:9], v[12:13], v[16:17]
	v_add_f64 v[18:19], v[26:27], v[10:11]
	v_add_f64 v[20:21], v[16:17], v[28:29]
	ds_read_b128 v[26:29], v24 offset:3840
	s_waitcnt lgkmcnt(0)
	v_mul_f64 v[10:11], v[8:9], v[28:29]
	v_fma_f64 v[10:11], v[6:7], v[26:27], -v[10:11]
	v_mul_f64 v[6:7], v[6:7], v[28:29]
	v_fma_f64 v[8:9], v[8:9], v[26:27], v[6:7]
	v_add_f64 v[6:7], v[30:31], v[10:11]
	v_add_f64 v[10:11], v[8:9], v[32:33]
	ds_read_b128 v[30:33], v25 offset:2160
	s_waitcnt lgkmcnt(0)
	s_barrier
	v_mul_f64 v[8:9], v[32:33], v[14:15]
	v_mul_f64 v[14:15], v[30:31], v[14:15]
	v_fma_f64 v[8:9], v[30:31], v[12:13], -v[8:9]
	v_fma_f64 v[12:13], v[32:33], v[12:13], v[14:15]
	v_add_f64 v[14:15], v[34:35], v[8:9]
	v_add_f64 v[16:17], v[12:13], v[36:37]
	v_mul_f64 v[8:9], v[32:33], v[28:29]
	v_mul_f64 v[12:13], v[30:31], v[28:29]
	v_fma_f64 v[8:9], v[30:31], v[26:27], -v[8:9]
	v_fma_f64 v[12:13], v[32:33], v[26:27], v[12:13]
	v_mov_b32_e32 v27, s1
	v_mov_b32_e32 v26, s0
	v_cmp_le_u64_e32 vcc, s[12:13], v[26:27]
	v_add_f64 v[8:9], v[38:39], v[8:9]
	v_add_f64 v[12:13], v[12:13], v[40:41]
	s_cbranch_vccz .LBB1188_2
	s_branch .LBB1188_4
.LBB1188_3:
	v_mov_b32_e32 v18, 0
	v_mov_b32_e32 v20, 0
	v_mov_b32_e32 v6, 0
	v_mov_b32_e32 v10, 0
	v_mov_b32_e32 v14, 0
	v_mov_b32_e32 v16, 0
	v_mov_b32_e32 v8, 0
	v_mov_b32_e32 v12, 0
	v_mov_b32_e32 v19, 0
	v_mov_b32_e32 v21, 0
	v_mov_b32_e32 v7, 0
	v_mov_b32_e32 v11, 0
	v_mov_b32_e32 v15, 0
	v_mov_b32_e32 v17, 0
	v_mov_b32_e32 v9, 0
	v_mov_b32_e32 v13, 0
.LBB1188_4:
	v_add_u32_e32 v4, s3, v1
	v_ashrrev_i32_e32 v1, 31, v4
	v_mul_lo_u32 v3, s28, v1
	v_mul_lo_u32 v5, s29, v4
	v_mad_u64_u32 v[1:2], s[6:7], s28, v4, 0
	s_mul_i32 s0, s31, s8
	s_mul_hi_u32 s1, s30, s8
	s_add_i32 s1, s1, s0
	s_mul_i32 s0, s30, s8
	s_load_dword s4, s[4:5], 0x0
	s_lshl_b64 s[0:1], s[0:1], 4
	v_add3_u32 v2, v2, v3, v5
	s_add_u32 s6, s42, s0
	v_lshlrev_b64 v[1:2], 4, v[1:2]
	s_addc_u32 s7, s43, s1
	v_mov_b32_e32 v3, s7
	v_add_co_u32_e32 v5, vcc, s6, v1
	v_add_u32_e32 v0, s2, v0
	v_addc_co_u32_e32 v22, vcc, v3, v2, vcc
	v_cmp_le_i32_e64 s[0:1], v4, v0
	s_waitcnt lgkmcnt(0)
	v_cmp_gt_i32_e32 vcc, s4, v0
	s_and_b64 s[0:1], s[0:1], vcc
	s_and_saveexec_b64 s[2:3], s[0:1]
	s_cbranch_execz .LBB1188_6
; %bb.5:
	v_ashrrev_i32_e32 v1, 31, v0
	v_lshlrev_b64 v[1:2], 4, v[0:1]
	v_mul_f64 v[27:28], s[16:17], v[20:21]
	v_add_co_u32_e64 v1, s[0:1], v5, v1
	v_addc_co_u32_e64 v2, s[0:1], v22, v2, s[0:1]
	global_load_dwordx4 v[23:26], v[1:2], off
	v_mul_f64 v[20:21], s[14:15], v[20:21]
	v_fma_f64 v[27:28], s[14:15], v[18:19], -v[27:28]
	v_fma_f64 v[20:21], s[16:17], v[18:19], v[20:21]
	s_waitcnt vmcnt(0)
	v_mul_f64 v[29:30], s[40:41], v[25:26]
	v_mul_f64 v[25:26], s[38:39], v[25:26]
	v_fma_f64 v[18:19], s[38:39], v[23:24], -v[29:30]
	v_fma_f64 v[23:24], s[40:41], v[23:24], v[25:26]
	v_add_f64 v[18:19], v[27:28], v[18:19]
	v_add_f64 v[20:21], v[20:21], v[23:24]
	global_store_dwordx4 v[1:2], v[18:21], off
.LBB1188_6:
	s_or_b64 exec, exec, s[2:3]
	v_add_u32_e32 v2, 16, v0
	v_cmp_le_i32_e64 s[2:3], v4, v2
	v_cmp_gt_i32_e64 s[0:1], s4, v2
	s_and_b64 s[2:3], s[2:3], s[0:1]
	s_and_saveexec_b64 s[4:5], s[2:3]
	s_cbranch_execz .LBB1188_8
; %bb.7:
	v_ashrrev_i32_e32 v3, 31, v2
	v_lshlrev_b64 v[18:19], 4, v[2:3]
	v_mul_f64 v[25:26], s[16:17], v[10:11]
	v_add_co_u32_e64 v23, s[2:3], v5, v18
	v_addc_co_u32_e64 v24, s[2:3], v22, v19, s[2:3]
	global_load_dwordx4 v[18:21], v[23:24], off
	v_mul_f64 v[10:11], s[14:15], v[10:11]
	v_fma_f64 v[25:26], s[14:15], v[6:7], -v[25:26]
	v_fma_f64 v[5:6], s[16:17], v[6:7], v[10:11]
	s_waitcnt vmcnt(0)
	v_mul_f64 v[27:28], s[40:41], v[20:21]
	v_mul_f64 v[20:21], s[38:39], v[20:21]
	v_fma_f64 v[10:11], s[38:39], v[18:19], -v[27:28]
	v_fma_f64 v[20:21], s[40:41], v[18:19], v[20:21]
	v_add_f64 v[18:19], v[25:26], v[10:11]
	v_add_f64 v[20:21], v[5:6], v[20:21]
	global_store_dwordx4 v[23:24], v[18:21], off
.LBB1188_8:
	s_or_b64 exec, exec, s[4:5]
	v_add_u32_e32 v3, 16, v4
	v_ashrrev_i32_e32 v1, 31, v3
	v_mul_lo_u32 v6, s29, v3
	v_mad_u64_u32 v[4:5], s[2:3], s28, v3, 0
	v_mul_lo_u32 v1, s28, v1
	v_add3_u32 v5, v5, v1, v6
	v_lshlrev_b64 v[4:5], 4, v[4:5]
	v_mov_b32_e32 v1, s7
	v_add_co_u32_e64 v4, s[2:3], s6, v4
	v_addc_co_u32_e64 v5, s[2:3], v1, v5, s[2:3]
	v_cmp_le_i32_e64 s[2:3], v3, v0
	s_and_b64 s[4:5], s[2:3], vcc
	s_and_saveexec_b64 s[2:3], s[4:5]
	s_cbranch_execz .LBB1188_10
; %bb.9:
	v_ashrrev_i32_e32 v1, 31, v0
	v_lshlrev_b64 v[0:1], 4, v[0:1]
	v_mul_f64 v[6:7], s[16:17], v[16:17]
	v_add_co_u32_e32 v0, vcc, v4, v0
	v_addc_co_u32_e32 v1, vcc, v5, v1, vcc
	global_load_dwordx4 v[18:21], v[0:1], off
	v_mul_f64 v[10:11], s[14:15], v[16:17]
	v_fma_f64 v[6:7], s[14:15], v[14:15], -v[6:7]
	v_fma_f64 v[10:11], s[16:17], v[14:15], v[10:11]
	s_waitcnt vmcnt(0)
	v_mul_f64 v[16:17], s[40:41], v[20:21]
	v_mul_f64 v[20:21], s[38:39], v[20:21]
	v_fma_f64 v[14:15], s[38:39], v[18:19], -v[16:17]
	v_fma_f64 v[16:17], s[40:41], v[18:19], v[20:21]
	v_add_f64 v[14:15], v[6:7], v[14:15]
	v_add_f64 v[16:17], v[10:11], v[16:17]
	global_store_dwordx4 v[0:1], v[14:17], off
.LBB1188_10:
	s_or_b64 exec, exec, s[2:3]
	v_cmp_le_i32_e32 vcc, v3, v2
	s_and_b64 s[0:1], vcc, s[0:1]
	s_and_saveexec_b64 s[2:3], s[0:1]
	s_cbranch_execz .LBB1188_12
; %bb.11:
	v_ashrrev_i32_e32 v3, 31, v2
	v_lshlrev_b64 v[0:1], 4, v[2:3]
	v_mul_f64 v[6:7], s[16:17], v[12:13]
	v_add_co_u32_e32 v4, vcc, v4, v0
	v_addc_co_u32_e32 v5, vcc, v5, v1, vcc
	global_load_dwordx4 v[0:3], v[4:5], off
	v_mul_f64 v[10:11], s[14:15], v[12:13]
	v_fma_f64 v[6:7], s[14:15], v[8:9], -v[6:7]
	v_fma_f64 v[8:9], s[16:17], v[8:9], v[10:11]
	s_waitcnt vmcnt(0)
	v_mul_f64 v[12:13], s[40:41], v[2:3]
	v_mul_f64 v[2:3], s[38:39], v[2:3]
	v_fma_f64 v[10:11], s[38:39], v[0:1], -v[12:13]
	v_fma_f64 v[2:3], s[40:41], v[0:1], v[2:3]
	v_add_f64 v[0:1], v[6:7], v[10:11]
	v_add_f64 v[2:3], v[8:9], v[2:3]
	global_store_dwordx4 v[4:5], v[0:3], off
.LBB1188_12:
	s_endpgm
	.section	.rodata,"a",@progbits
	.p2align	6, 0x0
	.amdhsa_kernel _ZL37rocblas_syrkx_herkx_restricted_kernelIl19rocblas_complex_numIdELi16ELi32ELi8ELb0ELb0ELc67ELc76EKS1_S1_EviT_T0_PT8_S3_lS6_S3_lS4_PT9_S3_li
		.amdhsa_group_segment_fixed_size 8192
		.amdhsa_private_segment_fixed_size 0
		.amdhsa_kernarg_size 124
		.amdhsa_user_sgpr_count 6
		.amdhsa_user_sgpr_private_segment_buffer 1
		.amdhsa_user_sgpr_dispatch_ptr 0
		.amdhsa_user_sgpr_queue_ptr 0
		.amdhsa_user_sgpr_kernarg_segment_ptr 1
		.amdhsa_user_sgpr_dispatch_id 0
		.amdhsa_user_sgpr_flat_scratch_init 0
		.amdhsa_user_sgpr_private_segment_size 0
		.amdhsa_uses_dynamic_stack 0
		.amdhsa_system_sgpr_private_segment_wavefront_offset 0
		.amdhsa_system_sgpr_workgroup_id_x 1
		.amdhsa_system_sgpr_workgroup_id_y 1
		.amdhsa_system_sgpr_workgroup_id_z 1
		.amdhsa_system_sgpr_workgroup_info 0
		.amdhsa_system_vgpr_workitem_id 1
		.amdhsa_next_free_vgpr 54
		.amdhsa_next_free_sgpr 61
		.amdhsa_reserve_vcc 1
		.amdhsa_reserve_flat_scratch 0
		.amdhsa_float_round_mode_32 0
		.amdhsa_float_round_mode_16_64 0
		.amdhsa_float_denorm_mode_32 3
		.amdhsa_float_denorm_mode_16_64 3
		.amdhsa_dx10_clamp 1
		.amdhsa_ieee_mode 1
		.amdhsa_fp16_overflow 0
		.amdhsa_exception_fp_ieee_invalid_op 0
		.amdhsa_exception_fp_denorm_src 0
		.amdhsa_exception_fp_ieee_div_zero 0
		.amdhsa_exception_fp_ieee_overflow 0
		.amdhsa_exception_fp_ieee_underflow 0
		.amdhsa_exception_fp_ieee_inexact 0
		.amdhsa_exception_int_div_zero 0
	.end_amdhsa_kernel
	.section	.text._ZL37rocblas_syrkx_herkx_restricted_kernelIl19rocblas_complex_numIdELi16ELi32ELi8ELb0ELb0ELc67ELc76EKS1_S1_EviT_T0_PT8_S3_lS6_S3_lS4_PT9_S3_li,"axG",@progbits,_ZL37rocblas_syrkx_herkx_restricted_kernelIl19rocblas_complex_numIdELi16ELi32ELi8ELb0ELb0ELc67ELc76EKS1_S1_EviT_T0_PT8_S3_lS6_S3_lS4_PT9_S3_li,comdat
.Lfunc_end1188:
	.size	_ZL37rocblas_syrkx_herkx_restricted_kernelIl19rocblas_complex_numIdELi16ELi32ELi8ELb0ELb0ELc67ELc76EKS1_S1_EviT_T0_PT8_S3_lS6_S3_lS4_PT9_S3_li, .Lfunc_end1188-_ZL37rocblas_syrkx_herkx_restricted_kernelIl19rocblas_complex_numIdELi16ELi32ELi8ELb0ELb0ELc67ELc76EKS1_S1_EviT_T0_PT8_S3_lS6_S3_lS4_PT9_S3_li
                                        ; -- End function
	.set _ZL37rocblas_syrkx_herkx_restricted_kernelIl19rocblas_complex_numIdELi16ELi32ELi8ELb0ELb0ELc67ELc76EKS1_S1_EviT_T0_PT8_S3_lS6_S3_lS4_PT9_S3_li.num_vgpr, 54
	.set _ZL37rocblas_syrkx_herkx_restricted_kernelIl19rocblas_complex_numIdELi16ELi32ELi8ELb0ELb0ELc67ELc76EKS1_S1_EviT_T0_PT8_S3_lS6_S3_lS4_PT9_S3_li.num_agpr, 0
	.set _ZL37rocblas_syrkx_herkx_restricted_kernelIl19rocblas_complex_numIdELi16ELi32ELi8ELb0ELb0ELc67ELc76EKS1_S1_EviT_T0_PT8_S3_lS6_S3_lS4_PT9_S3_li.numbered_sgpr, 44
	.set _ZL37rocblas_syrkx_herkx_restricted_kernelIl19rocblas_complex_numIdELi16ELi32ELi8ELb0ELb0ELc67ELc76EKS1_S1_EviT_T0_PT8_S3_lS6_S3_lS4_PT9_S3_li.num_named_barrier, 0
	.set _ZL37rocblas_syrkx_herkx_restricted_kernelIl19rocblas_complex_numIdELi16ELi32ELi8ELb0ELb0ELc67ELc76EKS1_S1_EviT_T0_PT8_S3_lS6_S3_lS4_PT9_S3_li.private_seg_size, 0
	.set _ZL37rocblas_syrkx_herkx_restricted_kernelIl19rocblas_complex_numIdELi16ELi32ELi8ELb0ELb0ELc67ELc76EKS1_S1_EviT_T0_PT8_S3_lS6_S3_lS4_PT9_S3_li.uses_vcc, 1
	.set _ZL37rocblas_syrkx_herkx_restricted_kernelIl19rocblas_complex_numIdELi16ELi32ELi8ELb0ELb0ELc67ELc76EKS1_S1_EviT_T0_PT8_S3_lS6_S3_lS4_PT9_S3_li.uses_flat_scratch, 0
	.set _ZL37rocblas_syrkx_herkx_restricted_kernelIl19rocblas_complex_numIdELi16ELi32ELi8ELb0ELb0ELc67ELc76EKS1_S1_EviT_T0_PT8_S3_lS6_S3_lS4_PT9_S3_li.has_dyn_sized_stack, 0
	.set _ZL37rocblas_syrkx_herkx_restricted_kernelIl19rocblas_complex_numIdELi16ELi32ELi8ELb0ELb0ELc67ELc76EKS1_S1_EviT_T0_PT8_S3_lS6_S3_lS4_PT9_S3_li.has_recursion, 0
	.set _ZL37rocblas_syrkx_herkx_restricted_kernelIl19rocblas_complex_numIdELi16ELi32ELi8ELb0ELb0ELc67ELc76EKS1_S1_EviT_T0_PT8_S3_lS6_S3_lS4_PT9_S3_li.has_indirect_call, 0
	.section	.AMDGPU.csdata,"",@progbits
; Kernel info:
; codeLenInByte = 3228
; TotalNumSgprs: 48
; NumVgprs: 54
; ScratchSize: 0
; MemoryBound: 0
; FloatMode: 240
; IeeeMode: 1
; LDSByteSize: 8192 bytes/workgroup (compile time only)
; SGPRBlocks: 8
; VGPRBlocks: 13
; NumSGPRsForWavesPerEU: 65
; NumVGPRsForWavesPerEU: 54
; Occupancy: 4
; WaveLimiterHint : 0
; COMPUTE_PGM_RSRC2:SCRATCH_EN: 0
; COMPUTE_PGM_RSRC2:USER_SGPR: 6
; COMPUTE_PGM_RSRC2:TRAP_HANDLER: 0
; COMPUTE_PGM_RSRC2:TGID_X_EN: 1
; COMPUTE_PGM_RSRC2:TGID_Y_EN: 1
; COMPUTE_PGM_RSRC2:TGID_Z_EN: 1
; COMPUTE_PGM_RSRC2:TIDIG_COMP_CNT: 1
	.section	.text._ZL37rocblas_syrkx_herkx_restricted_kernelIl19rocblas_complex_numIdELi16ELi32ELi8ELb0ELb0ELc78ELc76EKS1_S1_EviT_T0_PT8_S3_lS6_S3_lS4_PT9_S3_li,"axG",@progbits,_ZL37rocblas_syrkx_herkx_restricted_kernelIl19rocblas_complex_numIdELi16ELi32ELi8ELb0ELb0ELc78ELc76EKS1_S1_EviT_T0_PT8_S3_lS6_S3_lS4_PT9_S3_li,comdat
	.globl	_ZL37rocblas_syrkx_herkx_restricted_kernelIl19rocblas_complex_numIdELi16ELi32ELi8ELb0ELb0ELc78ELc76EKS1_S1_EviT_T0_PT8_S3_lS6_S3_lS4_PT9_S3_li ; -- Begin function _ZL37rocblas_syrkx_herkx_restricted_kernelIl19rocblas_complex_numIdELi16ELi32ELi8ELb0ELb0ELc78ELc76EKS1_S1_EviT_T0_PT8_S3_lS6_S3_lS4_PT9_S3_li
	.p2align	8
	.type	_ZL37rocblas_syrkx_herkx_restricted_kernelIl19rocblas_complex_numIdELi16ELi32ELi8ELb0ELb0ELc78ELc76EKS1_S1_EviT_T0_PT8_S3_lS6_S3_lS4_PT9_S3_li,@function
_ZL37rocblas_syrkx_herkx_restricted_kernelIl19rocblas_complex_numIdELi16ELi32ELi8ELb0ELb0ELc78ELc76EKS1_S1_EviT_T0_PT8_S3_lS6_S3_lS4_PT9_S3_li: ; @_ZL37rocblas_syrkx_herkx_restricted_kernelIl19rocblas_complex_numIdELi16ELi32ELi8ELb0ELb0ELc78ELc76EKS1_S1_EviT_T0_PT8_S3_lS6_S3_lS4_PT9_S3_li
; %bb.0:
	s_load_dwordx16 s[12:27], s[4:5], 0x8
	s_load_dwordx4 s[28:31], s[4:5], 0x68
	s_load_dwordx8 s[36:43], s[4:5], 0x48
	s_lshl_b32 s9, s6, 5
	s_lshl_b32 s10, s7, 5
	s_waitcnt lgkmcnt(0)
	v_cmp_lt_i64_e64 s[0:1], s[12:13], 1
	s_and_b64 vcc, exec, s[0:1]
	s_cbranch_vccnz .LBB1189_3
; %bb.1:
	v_lshl_add_u32 v6, v1, 4, v0
	v_lshrrev_b32_e32 v7, 3, v6
	v_add_u32_e32 v2, s10, v7
	v_and_b32_e32 v8, 7, v0
	v_ashrrev_i32_e32 v3, 31, v2
	v_mad_u64_u32 v[4:5], s[0:1], s26, v8, v[2:3]
	v_lshrrev_b32_e32 v9, 5, v6
	s_mul_i32 s2, s23, s8
	v_mov_b32_e32 v2, v5
	v_mad_u64_u32 v[2:3], s[0:1], s27, v8, v[2:3]
	v_and_b32_e32 v3, 31, v6
	v_lshlrev_b32_e32 v6, 4, v3
	v_mov_b32_e32 v5, v2
	v_lshlrev_b32_e32 v2, 4, v8
	v_lshl_or_b32 v2, v7, 7, v2
	v_add_u32_e32 v23, 0x1000, v2
	v_add_u32_e32 v2, s9, v3
	v_ashrrev_i32_e32 v3, 31, v2
	v_mad_u64_u32 v[2:3], s[0:1], s20, v9, v[2:3]
	v_lshl_or_b32 v22, v9, 9, v6
	v_mov_b32_e32 v6, 0x1000
	v_lshl_add_u32 v25, v1, 7, v6
	v_mad_u64_u32 v[6:7], s[0:1], s21, v9, v[3:4]
	s_mul_hi_u32 s3, s22, s8
	s_add_i32 s1, s3, s2
	s_mul_i32 s0, s22, s8
	s_lshl_b64 s[0:1], s[0:1], 4
	v_mov_b32_e32 v3, v6
	v_lshlrev_b64 v[2:3], 4, v[2:3]
	s_add_u32 s0, s18, s0
	s_addc_u32 s1, s19, s1
	s_mul_i32 s2, s37, s8
	s_mul_hi_u32 s3, s36, s8
	v_mov_b32_e32 v6, s1
	v_add_co_u32_e32 v2, vcc, s0, v2
	s_add_i32 s3, s3, s2
	s_mul_i32 s2, s36, s8
	v_addc_co_u32_e32 v3, vcc, v6, v3, vcc
	s_lshl_b64 s[0:1], s[20:21], 7
	s_lshl_b64 s[2:3], s[2:3], 4
	v_add_co_u32_e32 v2, vcc, 8, v2
	v_lshlrev_b64 v[4:5], 4, v[4:5]
	s_add_u32 s2, s24, s2
	v_addc_co_u32_e32 v3, vcc, 0, v3, vcc
	s_addc_u32 s3, s25, s3
	v_mov_b32_e32 v6, s3
	v_add_co_u32_e32 v4, vcc, s2, v4
	v_addc_co_u32_e32 v5, vcc, v6, v5, vcc
	v_add_co_u32_e32 v4, vcc, 8, v4
	s_lshl_b64 s[2:3], s[26:27], 7
	v_mov_b32_e32 v8, 0
	v_mov_b32_e32 v6, 0
	;; [unrolled: 1-line block ×8, first 2 shown]
	v_lshlrev_b32_e32 v24, 4, v0
	v_addc_co_u32_e32 v5, vcc, 0, v5, vcc
	v_mov_b32_e32 v9, 0
	s_mov_b64 s[6:7], 0
	v_mov_b32_e32 v26, s1
	v_mov_b32_e32 v7, 0
	;; [unrolled: 1-line block ×9, first 2 shown]
.LBB1189_2:                             ; =>This Inner Loop Header: Depth=1
	global_load_dwordx4 v[28:31], v[2:3], off offset:-8
	s_add_u32 s6, s6, 8
	v_add_co_u32_e32 v2, vcc, s0, v2
	s_addc_u32 s7, s7, 0
	v_addc_co_u32_e32 v3, vcc, v3, v26, vcc
	s_waitcnt vmcnt(0)
	ds_write_b128 v22, v[28:31]
	global_load_dwordx4 v[28:31], v[4:5], off offset:-8
	v_add_co_u32_e32 v4, vcc, s2, v4
	v_addc_co_u32_e32 v5, vcc, v5, v27, vcc
	s_waitcnt vmcnt(0)
	ds_write_b128 v23, v[28:31]
	s_waitcnt lgkmcnt(0)
	s_barrier
	ds_read_b128 v[28:31], v25
	ds_read_b128 v[32:35], v25 offset:16
	ds_read_b128 v[36:39], v25 offset:32
	;; [unrolled: 1-line block ×3, first 2 shown]
	ds_read_b128 v[44:47], v24
	s_waitcnt lgkmcnt(0)
	v_mul_f64 v[48:49], v[30:31], v[46:47]
	v_mul_f64 v[50:51], v[28:29], v[46:47]
	v_fma_f64 v[48:49], v[28:29], v[44:45], -v[48:49]
	v_fma_f64 v[50:51], v[30:31], v[44:45], v[50:51]
	v_add_f64 v[48:49], v[18:19], v[48:49]
	v_add_f64 v[50:51], v[50:51], v[20:21]
	ds_read_b128 v[18:21], v24 offset:256
	s_waitcnt lgkmcnt(0)
	v_mul_f64 v[52:53], v[30:31], v[20:21]
	v_fma_f64 v[52:53], v[28:29], v[18:19], -v[52:53]
	v_mul_f64 v[28:29], v[28:29], v[20:21]
	v_fma_f64 v[28:29], v[30:31], v[18:19], v[28:29]
	v_add_f64 v[30:31], v[10:11], v[52:53]
	v_add_f64 v[28:29], v[28:29], v[12:13]
	ds_read_b128 v[10:13], v25 offset:2048
	s_waitcnt lgkmcnt(0)
	v_mul_f64 v[52:53], v[12:13], v[46:47]
	v_mul_f64 v[46:47], v[10:11], v[46:47]
	v_fma_f64 v[52:53], v[10:11], v[44:45], -v[52:53]
	v_fma_f64 v[44:45], v[12:13], v[44:45], v[46:47]
	v_add_f64 v[46:47], v[14:15], v[52:53]
	v_mul_f64 v[14:15], v[12:13], v[20:21]
	v_add_f64 v[44:45], v[44:45], v[16:17]
	v_fma_f64 v[14:15], v[10:11], v[18:19], -v[14:15]
	v_mul_f64 v[10:11], v[10:11], v[20:21]
	v_fma_f64 v[10:11], v[12:13], v[18:19], v[10:11]
	v_add_f64 v[18:19], v[6:7], v[14:15]
	v_add_f64 v[20:21], v[10:11], v[8:9]
	ds_read_b128 v[6:9], v24 offset:512
	s_waitcnt lgkmcnt(0)
	v_mul_f64 v[10:11], v[34:35], v[8:9]
	v_mul_f64 v[12:13], v[32:33], v[8:9]
	v_fma_f64 v[10:11], v[32:33], v[6:7], -v[10:11]
	v_fma_f64 v[12:13], v[34:35], v[6:7], v[12:13]
	v_add_f64 v[48:49], v[48:49], v[10:11]
	v_add_f64 v[50:51], v[12:13], v[50:51]
	ds_read_b128 v[10:13], v24 offset:768
	s_waitcnt lgkmcnt(0)
	v_mul_f64 v[14:15], v[34:35], v[12:13]
	v_mul_f64 v[16:17], v[32:33], v[12:13]
	v_fma_f64 v[14:15], v[32:33], v[10:11], -v[14:15]
	;; [unrolled: 8-line block ×3, first 2 shown]
	v_fma_f64 v[6:7], v[16:17], v[6:7], v[8:9]
	v_mul_f64 v[8:9], v[14:15], v[12:13]
	v_add_f64 v[32:33], v[46:47], v[32:33]
	v_add_f64 v[34:35], v[6:7], v[44:45]
	v_mul_f64 v[6:7], v[16:17], v[12:13]
	v_fma_f64 v[8:9], v[16:17], v[10:11], v[8:9]
	v_fma_f64 v[6:7], v[14:15], v[10:11], -v[6:7]
	v_add_f64 v[20:21], v[8:9], v[20:21]
	v_add_f64 v[18:19], v[18:19], v[6:7]
	ds_read_b128 v[6:9], v24 offset:1024
	s_waitcnt lgkmcnt(0)
	v_mul_f64 v[10:11], v[38:39], v[8:9]
	v_mul_f64 v[12:13], v[36:37], v[8:9]
	v_fma_f64 v[10:11], v[36:37], v[6:7], -v[10:11]
	v_fma_f64 v[12:13], v[38:39], v[6:7], v[12:13]
	v_add_f64 v[44:45], v[48:49], v[10:11]
	v_add_f64 v[46:47], v[12:13], v[50:51]
	ds_read_b128 v[10:13], v24 offset:1280
	s_waitcnt lgkmcnt(0)
	v_mul_f64 v[14:15], v[38:39], v[12:13]
	v_mul_f64 v[16:17], v[36:37], v[12:13]
	v_fma_f64 v[14:15], v[36:37], v[10:11], -v[14:15]
	v_fma_f64 v[16:17], v[38:39], v[10:11], v[16:17]
	;; [unrolled: 8-line block ×3, first 2 shown]
	v_mul_f64 v[8:9], v[14:15], v[12:13]
	v_add_f64 v[32:33], v[32:33], v[36:37]
	v_add_f64 v[34:35], v[6:7], v[34:35]
	v_mul_f64 v[6:7], v[16:17], v[12:13]
	v_fma_f64 v[8:9], v[16:17], v[10:11], v[8:9]
	v_fma_f64 v[6:7], v[14:15], v[10:11], -v[6:7]
	v_add_f64 v[20:21], v[8:9], v[20:21]
	v_add_f64 v[18:19], v[18:19], v[6:7]
	ds_read_b128 v[6:9], v24 offset:1536
	s_waitcnt lgkmcnt(0)
	v_mul_f64 v[10:11], v[42:43], v[8:9]
	v_mul_f64 v[12:13], v[40:41], v[8:9]
	v_fma_f64 v[10:11], v[40:41], v[6:7], -v[10:11]
	v_fma_f64 v[12:13], v[42:43], v[6:7], v[12:13]
	v_add_f64 v[36:37], v[44:45], v[10:11]
	v_add_f64 v[38:39], v[12:13], v[46:47]
	ds_read_b128 v[10:13], v24 offset:1792
	s_waitcnt lgkmcnt(0)
	v_mul_f64 v[14:15], v[42:43], v[12:13]
	v_mul_f64 v[16:17], v[40:41], v[12:13]
	v_fma_f64 v[14:15], v[40:41], v[10:11], -v[14:15]
	v_fma_f64 v[16:17], v[42:43], v[10:11], v[16:17]
	;; [unrolled: 8-line block ×3, first 2 shown]
	v_mul_f64 v[8:9], v[14:15], v[12:13]
	v_add_f64 v[32:33], v[32:33], v[40:41]
	v_add_f64 v[34:35], v[6:7], v[34:35]
	v_mul_f64 v[6:7], v[16:17], v[12:13]
	v_fma_f64 v[8:9], v[16:17], v[10:11], v[8:9]
	v_fma_f64 v[6:7], v[14:15], v[10:11], -v[6:7]
	v_add_f64 v[20:21], v[8:9], v[20:21]
	v_add_f64 v[18:19], v[18:19], v[6:7]
	ds_read_b128 v[6:9], v25 offset:64
	ds_read_b128 v[10:13], v24 offset:2048
	s_waitcnt lgkmcnt(0)
	v_mul_f64 v[14:15], v[8:9], v[12:13]
	v_mul_f64 v[16:17], v[6:7], v[12:13]
	v_fma_f64 v[14:15], v[6:7], v[10:11], -v[14:15]
	v_fma_f64 v[16:17], v[8:9], v[10:11], v[16:17]
	v_add_f64 v[36:37], v[36:37], v[14:15]
	v_add_f64 v[38:39], v[16:17], v[38:39]
	ds_read_b128 v[14:17], v24 offset:2304
	s_waitcnt lgkmcnt(0)
	v_mul_f64 v[40:41], v[8:9], v[16:17]
	v_fma_f64 v[40:41], v[6:7], v[14:15], -v[40:41]
	v_mul_f64 v[6:7], v[6:7], v[16:17]
	v_add_f64 v[30:31], v[30:31], v[40:41]
	v_fma_f64 v[6:7], v[8:9], v[14:15], v[6:7]
	v_add_f64 v[28:29], v[6:7], v[28:29]
	ds_read_b128 v[6:9], v25 offset:2112
	s_waitcnt lgkmcnt(0)
	v_mul_f64 v[40:41], v[8:9], v[12:13]
	v_mul_f64 v[12:13], v[6:7], v[12:13]
	v_fma_f64 v[40:41], v[6:7], v[10:11], -v[40:41]
	v_fma_f64 v[10:11], v[8:9], v[10:11], v[12:13]
	v_add_f64 v[32:33], v[32:33], v[40:41]
	v_add_f64 v[34:35], v[10:11], v[34:35]
	v_mul_f64 v[10:11], v[8:9], v[16:17]
	v_fma_f64 v[10:11], v[6:7], v[14:15], -v[10:11]
	v_mul_f64 v[6:7], v[6:7], v[16:17]
	v_add_f64 v[18:19], v[18:19], v[10:11]
	v_fma_f64 v[6:7], v[8:9], v[14:15], v[6:7]
	v_add_f64 v[20:21], v[6:7], v[20:21]
	ds_read_b128 v[6:9], v25 offset:80
	ds_read_b128 v[10:13], v24 offset:2560
	s_waitcnt lgkmcnt(0)
	v_mul_f64 v[14:15], v[8:9], v[12:13]
	v_mul_f64 v[16:17], v[6:7], v[12:13]
	v_fma_f64 v[14:15], v[6:7], v[10:11], -v[14:15]
	v_fma_f64 v[16:17], v[8:9], v[10:11], v[16:17]
	v_add_f64 v[36:37], v[36:37], v[14:15]
	v_add_f64 v[38:39], v[16:17], v[38:39]
	ds_read_b128 v[14:17], v24 offset:2816
	s_waitcnt lgkmcnt(0)
	v_mul_f64 v[40:41], v[8:9], v[16:17]
	v_fma_f64 v[40:41], v[6:7], v[14:15], -v[40:41]
	v_mul_f64 v[6:7], v[6:7], v[16:17]
	v_add_f64 v[30:31], v[30:31], v[40:41]
	v_fma_f64 v[6:7], v[8:9], v[14:15], v[6:7]
	v_add_f64 v[28:29], v[6:7], v[28:29]
	ds_read_b128 v[6:9], v25 offset:2128
	s_waitcnt lgkmcnt(0)
	v_mul_f64 v[40:41], v[8:9], v[12:13]
	v_mul_f64 v[12:13], v[6:7], v[12:13]
	v_fma_f64 v[40:41], v[6:7], v[10:11], -v[40:41]
	v_fma_f64 v[10:11], v[8:9], v[10:11], v[12:13]
	v_add_f64 v[32:33], v[32:33], v[40:41]
	v_add_f64 v[34:35], v[10:11], v[34:35]
	v_mul_f64 v[10:11], v[8:9], v[16:17]
	v_fma_f64 v[10:11], v[6:7], v[14:15], -v[10:11]
	v_mul_f64 v[6:7], v[6:7], v[16:17]
	v_add_f64 v[18:19], v[18:19], v[10:11]
	v_fma_f64 v[6:7], v[8:9], v[14:15], v[6:7]
	;; [unrolled: 31-line block ×3, first 2 shown]
	v_add_f64 v[46:47], v[6:7], v[20:21]
	ds_read_b128 v[6:9], v25 offset:112
	ds_read_b128 v[14:17], v24 offset:3584
	;; [unrolled: 1-line block ×3, first 2 shown]
	s_waitcnt lgkmcnt(1)
	v_mul_f64 v[10:11], v[8:9], v[16:17]
	v_mul_f64 v[12:13], v[6:7], v[16:17]
	v_fma_f64 v[10:11], v[6:7], v[14:15], -v[10:11]
	v_fma_f64 v[12:13], v[8:9], v[14:15], v[12:13]
	v_add_f64 v[18:19], v[36:37], v[10:11]
	s_waitcnt lgkmcnt(0)
	v_mul_f64 v[10:11], v[8:9], v[30:31]
	v_add_f64 v[20:21], v[12:13], v[38:39]
	v_fma_f64 v[10:11], v[6:7], v[28:29], -v[10:11]
	v_mul_f64 v[6:7], v[6:7], v[30:31]
	v_add_f64 v[10:11], v[40:41], v[10:11]
	v_fma_f64 v[6:7], v[8:9], v[28:29], v[6:7]
	v_add_f64 v[12:13], v[6:7], v[42:43]
	ds_read_b128 v[6:9], v25 offset:2160
	s_waitcnt lgkmcnt(0)
	s_barrier
	v_mul_f64 v[36:37], v[8:9], v[16:17]
	v_mul_f64 v[16:17], v[6:7], v[16:17]
	v_fma_f64 v[36:37], v[6:7], v[14:15], -v[36:37]
	v_fma_f64 v[16:17], v[8:9], v[14:15], v[16:17]
	v_add_f64 v[14:15], v[32:33], v[36:37]
	v_mul_f64 v[32:33], v[8:9], v[30:31]
	v_add_f64 v[16:17], v[16:17], v[34:35]
	v_fma_f64 v[32:33], v[6:7], v[28:29], -v[32:33]
	v_mul_f64 v[6:7], v[6:7], v[30:31]
	v_fma_f64 v[8:9], v[8:9], v[28:29], v[6:7]
	v_add_f64 v[6:7], v[44:45], v[32:33]
	v_mov_b32_e32 v29, s7
	v_mov_b32_e32 v28, s6
	v_cmp_le_u64_e32 vcc, s[12:13], v[28:29]
	v_add_f64 v[8:9], v[8:9], v[46:47]
	s_cbranch_vccz .LBB1189_2
	s_branch .LBB1189_4
.LBB1189_3:
	v_mov_b32_e32 v18, 0
	v_mov_b32_e32 v20, 0
	;; [unrolled: 1-line block ×16, first 2 shown]
.LBB1189_4:
	v_add_u32_e32 v4, s10, v1
	v_ashrrev_i32_e32 v1, 31, v4
	v_mul_lo_u32 v3, s28, v1
	v_mul_lo_u32 v5, s29, v4
	v_mad_u64_u32 v[1:2], s[2:3], s28, v4, 0
	s_mul_i32 s0, s31, s8
	s_mul_hi_u32 s1, s30, s8
	s_add_i32 s1, s1, s0
	s_mul_i32 s0, s30, s8
	s_load_dword s4, s[4:5], 0x0
	s_lshl_b64 s[0:1], s[0:1], 4
	v_add3_u32 v2, v2, v3, v5
	s_add_u32 s6, s42, s0
	v_lshlrev_b64 v[1:2], 4, v[1:2]
	s_addc_u32 s7, s43, s1
	v_mov_b32_e32 v3, s7
	v_add_co_u32_e32 v5, vcc, s6, v1
	v_add_u32_e32 v0, s9, v0
	v_addc_co_u32_e32 v22, vcc, v3, v2, vcc
	v_cmp_le_i32_e64 s[0:1], v4, v0
	s_waitcnt lgkmcnt(0)
	v_cmp_gt_i32_e32 vcc, s4, v0
	s_and_b64 s[0:1], s[0:1], vcc
	s_and_saveexec_b64 s[2:3], s[0:1]
	s_cbranch_execz .LBB1189_6
; %bb.5:
	v_ashrrev_i32_e32 v1, 31, v0
	v_lshlrev_b64 v[1:2], 4, v[0:1]
	v_mul_f64 v[27:28], s[16:17], v[20:21]
	v_add_co_u32_e64 v1, s[0:1], v5, v1
	v_addc_co_u32_e64 v2, s[0:1], v22, v2, s[0:1]
	global_load_dwordx4 v[23:26], v[1:2], off
	v_mul_f64 v[20:21], s[14:15], v[20:21]
	v_fma_f64 v[27:28], s[14:15], v[18:19], -v[27:28]
	v_fma_f64 v[20:21], s[16:17], v[18:19], v[20:21]
	s_waitcnt vmcnt(0)
	v_mul_f64 v[29:30], s[40:41], v[25:26]
	v_mul_f64 v[25:26], s[38:39], v[25:26]
	v_fma_f64 v[18:19], s[38:39], v[23:24], -v[29:30]
	v_fma_f64 v[23:24], s[40:41], v[23:24], v[25:26]
	v_add_f64 v[18:19], v[27:28], v[18:19]
	v_add_f64 v[20:21], v[20:21], v[23:24]
	global_store_dwordx4 v[1:2], v[18:21], off
.LBB1189_6:
	s_or_b64 exec, exec, s[2:3]
	v_add_u32_e32 v2, 16, v0
	v_cmp_le_i32_e64 s[2:3], v4, v2
	v_cmp_gt_i32_e64 s[0:1], s4, v2
	s_and_b64 s[2:3], s[2:3], s[0:1]
	s_and_saveexec_b64 s[4:5], s[2:3]
	s_cbranch_execz .LBB1189_8
; %bb.7:
	v_ashrrev_i32_e32 v3, 31, v2
	v_lshlrev_b64 v[18:19], 4, v[2:3]
	v_mul_f64 v[25:26], s[16:17], v[12:13]
	v_add_co_u32_e64 v23, s[2:3], v5, v18
	v_addc_co_u32_e64 v24, s[2:3], v22, v19, s[2:3]
	global_load_dwordx4 v[18:21], v[23:24], off
	v_mul_f64 v[12:13], s[14:15], v[12:13]
	v_fma_f64 v[25:26], s[14:15], v[10:11], -v[25:26]
	v_fma_f64 v[12:13], s[16:17], v[10:11], v[12:13]
	s_waitcnt vmcnt(0)
	v_mul_f64 v[27:28], s[40:41], v[20:21]
	v_mul_f64 v[20:21], s[38:39], v[20:21]
	v_fma_f64 v[10:11], s[38:39], v[18:19], -v[27:28]
	v_fma_f64 v[18:19], s[40:41], v[18:19], v[20:21]
	v_add_f64 v[10:11], v[25:26], v[10:11]
	v_add_f64 v[12:13], v[12:13], v[18:19]
	global_store_dwordx4 v[23:24], v[10:13], off
.LBB1189_8:
	s_or_b64 exec, exec, s[4:5]
	v_add_u32_e32 v3, 16, v4
	v_ashrrev_i32_e32 v1, 31, v3
	v_mul_lo_u32 v10, s29, v3
	v_mad_u64_u32 v[4:5], s[2:3], s28, v3, 0
	v_mul_lo_u32 v1, s28, v1
	v_add3_u32 v5, v5, v1, v10
	v_lshlrev_b64 v[4:5], 4, v[4:5]
	v_mov_b32_e32 v1, s7
	v_add_co_u32_e64 v4, s[2:3], s6, v4
	v_addc_co_u32_e64 v5, s[2:3], v1, v5, s[2:3]
	v_cmp_le_i32_e64 s[2:3], v3, v0
	s_and_b64 s[4:5], s[2:3], vcc
	s_and_saveexec_b64 s[2:3], s[4:5]
	s_cbranch_execz .LBB1189_10
; %bb.9:
	v_ashrrev_i32_e32 v1, 31, v0
	v_lshlrev_b64 v[0:1], 4, v[0:1]
	v_mul_f64 v[18:19], s[16:17], v[16:17]
	v_add_co_u32_e32 v0, vcc, v4, v0
	v_addc_co_u32_e32 v1, vcc, v5, v1, vcc
	global_load_dwordx4 v[10:13], v[0:1], off
	v_mul_f64 v[16:17], s[14:15], v[16:17]
	v_fma_f64 v[18:19], s[14:15], v[14:15], -v[18:19]
	v_fma_f64 v[14:15], s[16:17], v[14:15], v[16:17]
	s_waitcnt vmcnt(0)
	v_mul_f64 v[20:21], s[40:41], v[12:13]
	v_mul_f64 v[12:13], s[38:39], v[12:13]
	v_fma_f64 v[16:17], s[38:39], v[10:11], -v[20:21]
	v_fma_f64 v[12:13], s[40:41], v[10:11], v[12:13]
	v_add_f64 v[10:11], v[18:19], v[16:17]
	v_add_f64 v[12:13], v[14:15], v[12:13]
	global_store_dwordx4 v[0:1], v[10:13], off
.LBB1189_10:
	s_or_b64 exec, exec, s[2:3]
	v_cmp_le_i32_e32 vcc, v3, v2
	s_and_b64 s[0:1], vcc, s[0:1]
	s_and_saveexec_b64 s[2:3], s[0:1]
	s_cbranch_execz .LBB1189_12
; %bb.11:
	v_ashrrev_i32_e32 v3, 31, v2
	v_lshlrev_b64 v[0:1], 4, v[2:3]
	v_mul_f64 v[10:11], s[16:17], v[8:9]
	v_add_co_u32_e32 v4, vcc, v4, v0
	v_addc_co_u32_e32 v5, vcc, v5, v1, vcc
	global_load_dwordx4 v[0:3], v[4:5], off
	v_mul_f64 v[8:9], s[14:15], v[8:9]
	v_fma_f64 v[10:11], s[14:15], v[6:7], -v[10:11]
	v_fma_f64 v[6:7], s[16:17], v[6:7], v[8:9]
	s_waitcnt vmcnt(0)
	v_mul_f64 v[12:13], s[40:41], v[2:3]
	v_mul_f64 v[2:3], s[38:39], v[2:3]
	v_fma_f64 v[8:9], s[38:39], v[0:1], -v[12:13]
	v_fma_f64 v[2:3], s[40:41], v[0:1], v[2:3]
	v_add_f64 v[0:1], v[10:11], v[8:9]
	v_add_f64 v[2:3], v[6:7], v[2:3]
	global_store_dwordx4 v[4:5], v[0:3], off
.LBB1189_12:
	s_endpgm
	.section	.rodata,"a",@progbits
	.p2align	6, 0x0
	.amdhsa_kernel _ZL37rocblas_syrkx_herkx_restricted_kernelIl19rocblas_complex_numIdELi16ELi32ELi8ELb0ELb0ELc78ELc76EKS1_S1_EviT_T0_PT8_S3_lS6_S3_lS4_PT9_S3_li
		.amdhsa_group_segment_fixed_size 8192
		.amdhsa_private_segment_fixed_size 0
		.amdhsa_kernarg_size 124
		.amdhsa_user_sgpr_count 6
		.amdhsa_user_sgpr_private_segment_buffer 1
		.amdhsa_user_sgpr_dispatch_ptr 0
		.amdhsa_user_sgpr_queue_ptr 0
		.amdhsa_user_sgpr_kernarg_segment_ptr 1
		.amdhsa_user_sgpr_dispatch_id 0
		.amdhsa_user_sgpr_flat_scratch_init 0
		.amdhsa_user_sgpr_private_segment_size 0
		.amdhsa_uses_dynamic_stack 0
		.amdhsa_system_sgpr_private_segment_wavefront_offset 0
		.amdhsa_system_sgpr_workgroup_id_x 1
		.amdhsa_system_sgpr_workgroup_id_y 1
		.amdhsa_system_sgpr_workgroup_id_z 1
		.amdhsa_system_sgpr_workgroup_info 0
		.amdhsa_system_vgpr_workitem_id 1
		.amdhsa_next_free_vgpr 54
		.amdhsa_next_free_sgpr 61
		.amdhsa_reserve_vcc 1
		.amdhsa_reserve_flat_scratch 0
		.amdhsa_float_round_mode_32 0
		.amdhsa_float_round_mode_16_64 0
		.amdhsa_float_denorm_mode_32 3
		.amdhsa_float_denorm_mode_16_64 3
		.amdhsa_dx10_clamp 1
		.amdhsa_ieee_mode 1
		.amdhsa_fp16_overflow 0
		.amdhsa_exception_fp_ieee_invalid_op 0
		.amdhsa_exception_fp_denorm_src 0
		.amdhsa_exception_fp_ieee_div_zero 0
		.amdhsa_exception_fp_ieee_overflow 0
		.amdhsa_exception_fp_ieee_underflow 0
		.amdhsa_exception_fp_ieee_inexact 0
		.amdhsa_exception_int_div_zero 0
	.end_amdhsa_kernel
	.section	.text._ZL37rocblas_syrkx_herkx_restricted_kernelIl19rocblas_complex_numIdELi16ELi32ELi8ELb0ELb0ELc78ELc76EKS1_S1_EviT_T0_PT8_S3_lS6_S3_lS4_PT9_S3_li,"axG",@progbits,_ZL37rocblas_syrkx_herkx_restricted_kernelIl19rocblas_complex_numIdELi16ELi32ELi8ELb0ELb0ELc78ELc76EKS1_S1_EviT_T0_PT8_S3_lS6_S3_lS4_PT9_S3_li,comdat
.Lfunc_end1189:
	.size	_ZL37rocblas_syrkx_herkx_restricted_kernelIl19rocblas_complex_numIdELi16ELi32ELi8ELb0ELb0ELc78ELc76EKS1_S1_EviT_T0_PT8_S3_lS6_S3_lS4_PT9_S3_li, .Lfunc_end1189-_ZL37rocblas_syrkx_herkx_restricted_kernelIl19rocblas_complex_numIdELi16ELi32ELi8ELb0ELb0ELc78ELc76EKS1_S1_EviT_T0_PT8_S3_lS6_S3_lS4_PT9_S3_li
                                        ; -- End function
	.set _ZL37rocblas_syrkx_herkx_restricted_kernelIl19rocblas_complex_numIdELi16ELi32ELi8ELb0ELb0ELc78ELc76EKS1_S1_EviT_T0_PT8_S3_lS6_S3_lS4_PT9_S3_li.num_vgpr, 54
	.set _ZL37rocblas_syrkx_herkx_restricted_kernelIl19rocblas_complex_numIdELi16ELi32ELi8ELb0ELb0ELc78ELc76EKS1_S1_EviT_T0_PT8_S3_lS6_S3_lS4_PT9_S3_li.num_agpr, 0
	.set _ZL37rocblas_syrkx_herkx_restricted_kernelIl19rocblas_complex_numIdELi16ELi32ELi8ELb0ELb0ELc78ELc76EKS1_S1_EviT_T0_PT8_S3_lS6_S3_lS4_PT9_S3_li.numbered_sgpr, 44
	.set _ZL37rocblas_syrkx_herkx_restricted_kernelIl19rocblas_complex_numIdELi16ELi32ELi8ELb0ELb0ELc78ELc76EKS1_S1_EviT_T0_PT8_S3_lS6_S3_lS4_PT9_S3_li.num_named_barrier, 0
	.set _ZL37rocblas_syrkx_herkx_restricted_kernelIl19rocblas_complex_numIdELi16ELi32ELi8ELb0ELb0ELc78ELc76EKS1_S1_EviT_T0_PT8_S3_lS6_S3_lS4_PT9_S3_li.private_seg_size, 0
	.set _ZL37rocblas_syrkx_herkx_restricted_kernelIl19rocblas_complex_numIdELi16ELi32ELi8ELb0ELb0ELc78ELc76EKS1_S1_EviT_T0_PT8_S3_lS6_S3_lS4_PT9_S3_li.uses_vcc, 1
	.set _ZL37rocblas_syrkx_herkx_restricted_kernelIl19rocblas_complex_numIdELi16ELi32ELi8ELb0ELb0ELc78ELc76EKS1_S1_EviT_T0_PT8_S3_lS6_S3_lS4_PT9_S3_li.uses_flat_scratch, 0
	.set _ZL37rocblas_syrkx_herkx_restricted_kernelIl19rocblas_complex_numIdELi16ELi32ELi8ELb0ELb0ELc78ELc76EKS1_S1_EviT_T0_PT8_S3_lS6_S3_lS4_PT9_S3_li.has_dyn_sized_stack, 0
	.set _ZL37rocblas_syrkx_herkx_restricted_kernelIl19rocblas_complex_numIdELi16ELi32ELi8ELb0ELb0ELc78ELc76EKS1_S1_EviT_T0_PT8_S3_lS6_S3_lS4_PT9_S3_li.has_recursion, 0
	.set _ZL37rocblas_syrkx_herkx_restricted_kernelIl19rocblas_complex_numIdELi16ELi32ELi8ELb0ELb0ELc78ELc76EKS1_S1_EviT_T0_PT8_S3_lS6_S3_lS4_PT9_S3_li.has_indirect_call, 0
	.section	.AMDGPU.csdata,"",@progbits
; Kernel info:
; codeLenInByte = 3208
; TotalNumSgprs: 48
; NumVgprs: 54
; ScratchSize: 0
; MemoryBound: 0
; FloatMode: 240
; IeeeMode: 1
; LDSByteSize: 8192 bytes/workgroup (compile time only)
; SGPRBlocks: 8
; VGPRBlocks: 13
; NumSGPRsForWavesPerEU: 65
; NumVGPRsForWavesPerEU: 54
; Occupancy: 4
; WaveLimiterHint : 0
; COMPUTE_PGM_RSRC2:SCRATCH_EN: 0
; COMPUTE_PGM_RSRC2:USER_SGPR: 6
; COMPUTE_PGM_RSRC2:TRAP_HANDLER: 0
; COMPUTE_PGM_RSRC2:TGID_X_EN: 1
; COMPUTE_PGM_RSRC2:TGID_Y_EN: 1
; COMPUTE_PGM_RSRC2:TGID_Z_EN: 1
; COMPUTE_PGM_RSRC2:TIDIG_COMP_CNT: 1
	.section	.text._ZL37rocblas_syrkx_herkx_restricted_kernelIl19rocblas_complex_numIdELi16ELi32ELi8ELb0ELb0ELc84ELc85EKS1_S1_EviT_T0_PT8_S3_lS6_S3_lS4_PT9_S3_li,"axG",@progbits,_ZL37rocblas_syrkx_herkx_restricted_kernelIl19rocblas_complex_numIdELi16ELi32ELi8ELb0ELb0ELc84ELc85EKS1_S1_EviT_T0_PT8_S3_lS6_S3_lS4_PT9_S3_li,comdat
	.globl	_ZL37rocblas_syrkx_herkx_restricted_kernelIl19rocblas_complex_numIdELi16ELi32ELi8ELb0ELb0ELc84ELc85EKS1_S1_EviT_T0_PT8_S3_lS6_S3_lS4_PT9_S3_li ; -- Begin function _ZL37rocblas_syrkx_herkx_restricted_kernelIl19rocblas_complex_numIdELi16ELi32ELi8ELb0ELb0ELc84ELc85EKS1_S1_EviT_T0_PT8_S3_lS6_S3_lS4_PT9_S3_li
	.p2align	8
	.type	_ZL37rocblas_syrkx_herkx_restricted_kernelIl19rocblas_complex_numIdELi16ELi32ELi8ELb0ELb0ELc84ELc85EKS1_S1_EviT_T0_PT8_S3_lS6_S3_lS4_PT9_S3_li,@function
_ZL37rocblas_syrkx_herkx_restricted_kernelIl19rocblas_complex_numIdELi16ELi32ELi8ELb0ELb0ELc84ELc85EKS1_S1_EviT_T0_PT8_S3_lS6_S3_lS4_PT9_S3_li: ; @_ZL37rocblas_syrkx_herkx_restricted_kernelIl19rocblas_complex_numIdELi16ELi32ELi8ELb0ELb0ELc84ELc85EKS1_S1_EviT_T0_PT8_S3_lS6_S3_lS4_PT9_S3_li
; %bb.0:
	s_load_dwordx16 s[12:27], s[4:5], 0x8
	s_load_dwordx4 s[28:31], s[4:5], 0x68
	s_load_dwordx8 s[36:43], s[4:5], 0x48
	s_lshl_b32 s2, s6, 5
	s_lshl_b32 s3, s7, 5
	s_waitcnt lgkmcnt(0)
	v_cmp_lt_i64_e64 s[0:1], s[12:13], 1
	s_and_b64 vcc, exec, s[0:1]
	s_cbranch_vccnz .LBB1190_3
; %bb.1:
	v_lshl_add_u32 v7, v1, 4, v0
	v_lshrrev_b32_e32 v8, 3, v7
	v_add_u32_e32 v4, s3, v8
	v_and_b32_e32 v2, 7, v0
	v_ashrrev_i32_e32 v5, 31, v4
	v_mov_b32_e32 v3, 0
	v_mul_lo_u32 v9, s26, v5
	v_mul_lo_u32 v10, s27, v4
	v_mad_u64_u32 v[4:5], s[0:1], s26, v4, v[2:3]
	v_lshlrev_b32_e32 v2, 4, v2
	v_and_b32_e32 v11, 31, v7
	v_lshl_or_b32 v2, v8, 7, v2
	v_add_u32_e32 v23, 0x1000, v2
	v_mov_b32_e32 v2, 0x1000
	v_add_u32_e32 v8, s2, v11
	v_lshrrev_b32_e32 v6, 5, v7
	v_mov_b32_e32 v7, v3
	v_lshlrev_b32_e32 v3, 4, v11
	v_lshl_add_u32 v25, v1, 7, v2
	v_ashrrev_i32_e32 v2, 31, v8
	v_add3_u32 v5, v10, v5, v9
	v_lshl_or_b32 v22, v6, 9, v3
	v_mul_lo_u32 v9, s20, v2
	v_mad_u64_u32 v[2:3], s[0:1], s20, v8, v[6:7]
	v_mul_lo_u32 v6, s21, v8
	s_mul_i32 s6, s23, s8
	s_mul_hi_u32 s7, s22, s8
	s_add_i32 s1, s7, s6
	s_mul_i32 s0, s22, s8
	s_lshl_b64 s[0:1], s[0:1], 4
	v_add3_u32 v3, v6, v3, v9
	v_lshlrev_b64 v[2:3], 4, v[2:3]
	s_add_u32 s0, s18, s0
	s_addc_u32 s1, s19, s1
	v_mov_b32_e32 v6, s1
	v_add_co_u32_e32 v2, vcc, s0, v2
	s_mul_i32 s0, s37, s8
	s_mul_hi_u32 s1, s36, s8
	s_add_i32 s1, s1, s0
	s_mul_i32 s0, s36, s8
	v_addc_co_u32_e32 v3, vcc, v6, v3, vcc
	s_lshl_b64 s[0:1], s[0:1], 4
	v_add_co_u32_e32 v2, vcc, 8, v2
	v_lshlrev_b64 v[4:5], 4, v[4:5]
	s_add_u32 s0, s24, s0
	v_addc_co_u32_e32 v3, vcc, 0, v3, vcc
	s_addc_u32 s1, s25, s1
	v_mov_b32_e32 v6, s1
	v_add_co_u32_e32 v4, vcc, s0, v4
	v_addc_co_u32_e32 v5, vcc, v6, v5, vcc
	v_add_co_u32_e32 v4, vcc, 8, v4
	v_mov_b32_e32 v12, 0
	v_mov_b32_e32 v8, 0
	;; [unrolled: 1-line block ×8, first 2 shown]
	v_lshlrev_b32_e32 v24, 4, v0
	v_addc_co_u32_e32 v5, vcc, 0, v5, vcc
	v_mov_b32_e32 v13, 0
	v_mov_b32_e32 v9, 0
	;; [unrolled: 1-line block ×8, first 2 shown]
	s_mov_b64 s[0:1], 0
.LBB1190_2:                             ; =>This Inner Loop Header: Depth=1
	global_load_dwordx4 v[26:29], v[2:3], off offset:-8
	s_add_u32 s0, s0, 8
	v_add_co_u32_e32 v2, vcc, 0x80, v2
	s_addc_u32 s1, s1, 0
	v_addc_co_u32_e32 v3, vcc, 0, v3, vcc
	s_waitcnt vmcnt(0)
	ds_write_b128 v22, v[26:29]
	global_load_dwordx4 v[26:29], v[4:5], off offset:-8
	v_add_co_u32_e32 v4, vcc, 0x80, v4
	v_addc_co_u32_e32 v5, vcc, 0, v5, vcc
	s_waitcnt vmcnt(0)
	ds_write_b128 v23, v[26:29]
	s_waitcnt lgkmcnt(0)
	s_barrier
	ds_read_b128 v[26:29], v25
	ds_read_b128 v[30:33], v25 offset:16
	ds_read_b128 v[34:37], v25 offset:32
	;; [unrolled: 1-line block ×3, first 2 shown]
	ds_read_b128 v[42:45], v24
	s_waitcnt lgkmcnt(0)
	v_mul_f64 v[46:47], v[28:29], v[44:45]
	v_mul_f64 v[48:49], v[26:27], v[44:45]
	v_fma_f64 v[46:47], v[26:27], v[42:43], -v[46:47]
	v_fma_f64 v[48:49], v[28:29], v[42:43], v[48:49]
	v_add_f64 v[46:47], v[18:19], v[46:47]
	v_add_f64 v[48:49], v[48:49], v[20:21]
	ds_read_b128 v[18:21], v24 offset:256
	s_waitcnt lgkmcnt(0)
	v_mul_f64 v[50:51], v[28:29], v[20:21]
	v_fma_f64 v[50:51], v[26:27], v[18:19], -v[50:51]
	v_mul_f64 v[26:27], v[26:27], v[20:21]
	v_add_f64 v[50:51], v[6:7], v[50:51]
	v_fma_f64 v[26:27], v[28:29], v[18:19], v[26:27]
	v_add_f64 v[52:53], v[26:27], v[10:11]
	ds_read_b128 v[26:29], v25 offset:2048
	s_waitcnt lgkmcnt(0)
	v_mul_f64 v[6:7], v[28:29], v[44:45]
	v_mul_f64 v[10:11], v[26:27], v[44:45]
	v_fma_f64 v[6:7], v[26:27], v[42:43], -v[6:7]
	v_fma_f64 v[10:11], v[28:29], v[42:43], v[10:11]
	v_add_f64 v[42:43], v[14:15], v[6:7]
	v_mul_f64 v[6:7], v[28:29], v[20:21]
	v_add_f64 v[44:45], v[10:11], v[16:17]
	v_mul_f64 v[10:11], v[26:27], v[20:21]
	v_fma_f64 v[6:7], v[26:27], v[18:19], -v[6:7]
	v_fma_f64 v[10:11], v[28:29], v[18:19], v[10:11]
	v_add_f64 v[18:19], v[8:9], v[6:7]
	ds_read_b128 v[6:9], v24 offset:512
	v_add_f64 v[20:21], v[10:11], v[12:13]
	s_waitcnt lgkmcnt(0)
	v_mul_f64 v[10:11], v[32:33], v[8:9]
	v_mul_f64 v[12:13], v[30:31], v[8:9]
	v_fma_f64 v[10:11], v[30:31], v[6:7], -v[10:11]
	v_fma_f64 v[12:13], v[32:33], v[6:7], v[12:13]
	v_add_f64 v[26:27], v[46:47], v[10:11]
	v_add_f64 v[28:29], v[12:13], v[48:49]
	ds_read_b128 v[10:13], v24 offset:768
	s_waitcnt lgkmcnt(0)
	v_mul_f64 v[14:15], v[32:33], v[12:13]
	v_mul_f64 v[16:17], v[30:31], v[12:13]
	v_fma_f64 v[14:15], v[30:31], v[10:11], -v[14:15]
	v_fma_f64 v[16:17], v[32:33], v[10:11], v[16:17]
	v_add_f64 v[30:31], v[50:51], v[14:15]
	v_add_f64 v[32:33], v[16:17], v[52:53]
	ds_read_b128 v[14:17], v25 offset:2064
	s_waitcnt lgkmcnt(0)
	v_mul_f64 v[46:47], v[16:17], v[8:9]
	v_mul_f64 v[8:9], v[14:15], v[8:9]
	v_fma_f64 v[46:47], v[14:15], v[6:7], -v[46:47]
	v_fma_f64 v[6:7], v[16:17], v[6:7], v[8:9]
	v_mul_f64 v[8:9], v[14:15], v[12:13]
	v_add_f64 v[42:43], v[42:43], v[46:47]
	v_add_f64 v[44:45], v[6:7], v[44:45]
	v_mul_f64 v[6:7], v[16:17], v[12:13]
	v_fma_f64 v[8:9], v[16:17], v[10:11], v[8:9]
	v_fma_f64 v[6:7], v[14:15], v[10:11], -v[6:7]
	v_add_f64 v[20:21], v[8:9], v[20:21]
	v_add_f64 v[18:19], v[18:19], v[6:7]
	ds_read_b128 v[6:9], v24 offset:1024
	s_waitcnt lgkmcnt(0)
	v_mul_f64 v[10:11], v[36:37], v[8:9]
	v_mul_f64 v[12:13], v[34:35], v[8:9]
	v_fma_f64 v[10:11], v[34:35], v[6:7], -v[10:11]
	v_fma_f64 v[12:13], v[36:37], v[6:7], v[12:13]
	v_add_f64 v[26:27], v[26:27], v[10:11]
	v_add_f64 v[28:29], v[12:13], v[28:29]
	ds_read_b128 v[10:13], v24 offset:1280
	s_waitcnt lgkmcnt(0)
	v_mul_f64 v[14:15], v[36:37], v[12:13]
	v_mul_f64 v[16:17], v[34:35], v[12:13]
	v_fma_f64 v[14:15], v[34:35], v[10:11], -v[14:15]
	v_fma_f64 v[16:17], v[36:37], v[10:11], v[16:17]
	v_add_f64 v[30:31], v[30:31], v[14:15]
	v_add_f64 v[32:33], v[16:17], v[32:33]
	ds_read_b128 v[14:17], v25 offset:2080
	s_waitcnt lgkmcnt(0)
	v_mul_f64 v[34:35], v[16:17], v[8:9]
	v_mul_f64 v[8:9], v[14:15], v[8:9]
	v_fma_f64 v[34:35], v[14:15], v[6:7], -v[34:35]
	v_fma_f64 v[6:7], v[16:17], v[6:7], v[8:9]
	v_mul_f64 v[8:9], v[14:15], v[12:13]
	v_add_f64 v[34:35], v[42:43], v[34:35]
	v_add_f64 v[36:37], v[6:7], v[44:45]
	v_mul_f64 v[6:7], v[16:17], v[12:13]
	v_fma_f64 v[8:9], v[16:17], v[10:11], v[8:9]
	v_fma_f64 v[6:7], v[14:15], v[10:11], -v[6:7]
	v_add_f64 v[20:21], v[8:9], v[20:21]
	v_add_f64 v[18:19], v[18:19], v[6:7]
	ds_read_b128 v[6:9], v24 offset:1536
	;; [unrolled: 30-line block ×3, first 2 shown]
	ds_read_b128 v[10:13], v24 offset:2048
	s_waitcnt lgkmcnt(0)
	v_mul_f64 v[14:15], v[8:9], v[12:13]
	v_mul_f64 v[16:17], v[6:7], v[12:13]
	v_fma_f64 v[14:15], v[6:7], v[10:11], -v[14:15]
	v_fma_f64 v[16:17], v[8:9], v[10:11], v[16:17]
	v_add_f64 v[26:27], v[26:27], v[14:15]
	v_add_f64 v[28:29], v[16:17], v[28:29]
	ds_read_b128 v[14:17], v24 offset:2304
	s_waitcnt lgkmcnt(0)
	v_mul_f64 v[38:39], v[8:9], v[16:17]
	v_fma_f64 v[38:39], v[6:7], v[14:15], -v[38:39]
	v_mul_f64 v[6:7], v[6:7], v[16:17]
	v_add_f64 v[30:31], v[30:31], v[38:39]
	v_fma_f64 v[6:7], v[8:9], v[14:15], v[6:7]
	v_add_f64 v[32:33], v[6:7], v[32:33]
	ds_read_b128 v[6:9], v25 offset:2112
	s_waitcnt lgkmcnt(0)
	v_mul_f64 v[38:39], v[8:9], v[12:13]
	v_mul_f64 v[12:13], v[6:7], v[12:13]
	v_fma_f64 v[38:39], v[6:7], v[10:11], -v[38:39]
	v_fma_f64 v[10:11], v[8:9], v[10:11], v[12:13]
	v_add_f64 v[34:35], v[34:35], v[38:39]
	v_add_f64 v[36:37], v[10:11], v[36:37]
	v_mul_f64 v[10:11], v[8:9], v[16:17]
	v_fma_f64 v[10:11], v[6:7], v[14:15], -v[10:11]
	v_mul_f64 v[6:7], v[6:7], v[16:17]
	v_add_f64 v[18:19], v[18:19], v[10:11]
	v_fma_f64 v[6:7], v[8:9], v[14:15], v[6:7]
	v_add_f64 v[20:21], v[6:7], v[20:21]
	ds_read_b128 v[6:9], v25 offset:80
	ds_read_b128 v[10:13], v24 offset:2560
	s_waitcnt lgkmcnt(0)
	v_mul_f64 v[14:15], v[8:9], v[12:13]
	v_mul_f64 v[16:17], v[6:7], v[12:13]
	v_fma_f64 v[14:15], v[6:7], v[10:11], -v[14:15]
	v_fma_f64 v[16:17], v[8:9], v[10:11], v[16:17]
	v_add_f64 v[26:27], v[26:27], v[14:15]
	v_add_f64 v[28:29], v[16:17], v[28:29]
	ds_read_b128 v[14:17], v24 offset:2816
	s_waitcnt lgkmcnt(0)
	v_mul_f64 v[38:39], v[8:9], v[16:17]
	v_fma_f64 v[38:39], v[6:7], v[14:15], -v[38:39]
	v_mul_f64 v[6:7], v[6:7], v[16:17]
	v_add_f64 v[30:31], v[30:31], v[38:39]
	v_fma_f64 v[6:7], v[8:9], v[14:15], v[6:7]
	v_add_f64 v[32:33], v[6:7], v[32:33]
	ds_read_b128 v[6:9], v25 offset:2128
	s_waitcnt lgkmcnt(0)
	v_mul_f64 v[38:39], v[8:9], v[12:13]
	v_mul_f64 v[12:13], v[6:7], v[12:13]
	v_fma_f64 v[38:39], v[6:7], v[10:11], -v[38:39]
	v_fma_f64 v[10:11], v[8:9], v[10:11], v[12:13]
	v_add_f64 v[34:35], v[34:35], v[38:39]
	v_add_f64 v[36:37], v[10:11], v[36:37]
	v_mul_f64 v[10:11], v[8:9], v[16:17]
	v_fma_f64 v[10:11], v[6:7], v[14:15], -v[10:11]
	v_mul_f64 v[6:7], v[6:7], v[16:17]
	v_add_f64 v[18:19], v[18:19], v[10:11]
	v_fma_f64 v[6:7], v[8:9], v[14:15], v[6:7]
	v_add_f64 v[20:21], v[6:7], v[20:21]
	ds_read_b128 v[6:9], v25 offset:96
	ds_read_b128 v[10:13], v24 offset:3072
	s_waitcnt lgkmcnt(0)
	v_mul_f64 v[14:15], v[8:9], v[12:13]
	v_mul_f64 v[16:17], v[6:7], v[12:13]
	v_fma_f64 v[14:15], v[6:7], v[10:11], -v[14:15]
	v_fma_f64 v[16:17], v[8:9], v[10:11], v[16:17]
	v_add_f64 v[26:27], v[26:27], v[14:15]
	v_add_f64 v[28:29], v[16:17], v[28:29]
	ds_read_b128 v[14:17], v24 offset:3328
	s_waitcnt lgkmcnt(0)
	v_mul_f64 v[38:39], v[8:9], v[16:17]
	v_fma_f64 v[38:39], v[6:7], v[14:15], -v[38:39]
	v_mul_f64 v[6:7], v[6:7], v[16:17]
	v_add_f64 v[30:31], v[30:31], v[38:39]
	v_fma_f64 v[6:7], v[8:9], v[14:15], v[6:7]
	v_add_f64 v[32:33], v[6:7], v[32:33]
	ds_read_b128 v[6:9], v25 offset:2144
	s_waitcnt lgkmcnt(0)
	v_mul_f64 v[38:39], v[8:9], v[12:13]
	v_mul_f64 v[12:13], v[6:7], v[12:13]
	v_fma_f64 v[38:39], v[6:7], v[10:11], -v[38:39]
	v_fma_f64 v[10:11], v[8:9], v[10:11], v[12:13]
	v_add_f64 v[34:35], v[34:35], v[38:39]
	v_add_f64 v[36:37], v[10:11], v[36:37]
	v_mul_f64 v[10:11], v[8:9], v[16:17]
	v_fma_f64 v[10:11], v[6:7], v[14:15], -v[10:11]
	v_mul_f64 v[6:7], v[6:7], v[16:17]
	v_add_f64 v[38:39], v[18:19], v[10:11]
	v_fma_f64 v[6:7], v[8:9], v[14:15], v[6:7]
	v_add_f64 v[40:41], v[6:7], v[20:21]
	ds_read_b128 v[6:9], v25 offset:112
	ds_read_b128 v[12:15], v24 offset:3584
	s_waitcnt lgkmcnt(0)
	v_mul_f64 v[10:11], v[8:9], v[14:15]
	v_mul_f64 v[16:17], v[6:7], v[14:15]
	v_fma_f64 v[10:11], v[6:7], v[12:13], -v[10:11]
	v_fma_f64 v[16:17], v[8:9], v[12:13], v[16:17]
	v_add_f64 v[18:19], v[26:27], v[10:11]
	v_add_f64 v[20:21], v[16:17], v[28:29]
	ds_read_b128 v[26:29], v24 offset:3840
	s_waitcnt lgkmcnt(0)
	v_mul_f64 v[10:11], v[8:9], v[28:29]
	v_fma_f64 v[10:11], v[6:7], v[26:27], -v[10:11]
	v_mul_f64 v[6:7], v[6:7], v[28:29]
	v_fma_f64 v[8:9], v[8:9], v[26:27], v[6:7]
	v_add_f64 v[6:7], v[30:31], v[10:11]
	v_add_f64 v[10:11], v[8:9], v[32:33]
	ds_read_b128 v[30:33], v25 offset:2160
	s_waitcnt lgkmcnt(0)
	s_barrier
	v_mul_f64 v[8:9], v[32:33], v[14:15]
	v_mul_f64 v[14:15], v[30:31], v[14:15]
	v_fma_f64 v[8:9], v[30:31], v[12:13], -v[8:9]
	v_fma_f64 v[12:13], v[32:33], v[12:13], v[14:15]
	v_add_f64 v[14:15], v[34:35], v[8:9]
	v_add_f64 v[16:17], v[12:13], v[36:37]
	v_mul_f64 v[8:9], v[32:33], v[28:29]
	v_mul_f64 v[12:13], v[30:31], v[28:29]
	v_fma_f64 v[8:9], v[30:31], v[26:27], -v[8:9]
	v_fma_f64 v[12:13], v[32:33], v[26:27], v[12:13]
	v_mov_b32_e32 v27, s1
	v_mov_b32_e32 v26, s0
	v_cmp_le_u64_e32 vcc, s[12:13], v[26:27]
	v_add_f64 v[8:9], v[38:39], v[8:9]
	v_add_f64 v[12:13], v[12:13], v[40:41]
	s_cbranch_vccz .LBB1190_2
	s_branch .LBB1190_4
.LBB1190_3:
	v_mov_b32_e32 v18, 0
	v_mov_b32_e32 v20, 0
	;; [unrolled: 1-line block ×16, first 2 shown]
.LBB1190_4:
	v_add_u32_e32 v4, s3, v1
	v_ashrrev_i32_e32 v1, 31, v4
	v_mul_lo_u32 v3, s28, v1
	v_mul_lo_u32 v5, s29, v4
	v_mad_u64_u32 v[1:2], s[6:7], s28, v4, 0
	s_mul_i32 s0, s31, s8
	s_mul_hi_u32 s1, s30, s8
	s_add_i32 s1, s1, s0
	s_mul_i32 s0, s30, s8
	s_load_dword s4, s[4:5], 0x0
	s_lshl_b64 s[0:1], s[0:1], 4
	v_add3_u32 v2, v2, v3, v5
	s_add_u32 s5, s42, s0
	v_lshlrev_b64 v[1:2], 4, v[1:2]
	s_addc_u32 s6, s43, s1
	v_mov_b32_e32 v3, s6
	v_add_co_u32_e64 v5, s[0:1], s5, v1
	v_add_u32_e32 v0, s2, v0
	v_addc_co_u32_e64 v22, s[0:1], v3, v2, s[0:1]
	s_waitcnt lgkmcnt(0)
	v_cmp_gt_i32_e32 vcc, s4, v4
	v_cmp_le_i32_e64 s[0:1], v0, v4
	s_and_b64 s[0:1], vcc, s[0:1]
	s_and_saveexec_b64 s[2:3], s[0:1]
	s_cbranch_execz .LBB1190_6
; %bb.5:
	v_ashrrev_i32_e32 v1, 31, v0
	v_lshlrev_b64 v[1:2], 4, v[0:1]
	v_mul_f64 v[27:28], s[16:17], v[20:21]
	v_add_co_u32_e64 v1, s[0:1], v5, v1
	v_addc_co_u32_e64 v2, s[0:1], v22, v2, s[0:1]
	global_load_dwordx4 v[23:26], v[1:2], off
	v_mul_f64 v[20:21], s[14:15], v[20:21]
	v_fma_f64 v[27:28], s[14:15], v[18:19], -v[27:28]
	v_fma_f64 v[20:21], s[16:17], v[18:19], v[20:21]
	s_waitcnt vmcnt(0)
	v_mul_f64 v[29:30], s[40:41], v[25:26]
	v_mul_f64 v[25:26], s[38:39], v[25:26]
	v_fma_f64 v[18:19], s[38:39], v[23:24], -v[29:30]
	v_fma_f64 v[23:24], s[40:41], v[23:24], v[25:26]
	v_add_f64 v[18:19], v[27:28], v[18:19]
	v_add_f64 v[20:21], v[20:21], v[23:24]
	global_store_dwordx4 v[1:2], v[18:21], off
.LBB1190_6:
	s_or_b64 exec, exec, s[2:3]
	v_add_u32_e32 v2, 16, v0
	v_cmp_le_i32_e64 s[0:1], v2, v4
	s_and_b64 s[2:3], vcc, s[0:1]
	s_and_saveexec_b64 s[0:1], s[2:3]
	s_cbranch_execz .LBB1190_8
; %bb.7:
	v_ashrrev_i32_e32 v3, 31, v2
	v_lshlrev_b64 v[18:19], 4, v[2:3]
	v_mul_f64 v[25:26], s[16:17], v[10:11]
	v_add_co_u32_e32 v23, vcc, v5, v18
	v_addc_co_u32_e32 v24, vcc, v22, v19, vcc
	global_load_dwordx4 v[18:21], v[23:24], off
	v_mul_f64 v[10:11], s[14:15], v[10:11]
	v_fma_f64 v[25:26], s[14:15], v[6:7], -v[25:26]
	v_fma_f64 v[5:6], s[16:17], v[6:7], v[10:11]
	s_waitcnt vmcnt(0)
	v_mul_f64 v[27:28], s[40:41], v[20:21]
	v_mul_f64 v[20:21], s[38:39], v[20:21]
	v_fma_f64 v[10:11], s[38:39], v[18:19], -v[27:28]
	v_fma_f64 v[20:21], s[40:41], v[18:19], v[20:21]
	v_add_f64 v[18:19], v[25:26], v[10:11]
	v_add_f64 v[20:21], v[5:6], v[20:21]
	global_store_dwordx4 v[23:24], v[18:21], off
.LBB1190_8:
	s_or_b64 exec, exec, s[0:1]
	v_add_u32_e32 v3, 16, v4
	v_ashrrev_i32_e32 v1, 31, v3
	v_mul_lo_u32 v1, s28, v1
	v_mul_lo_u32 v6, s29, v3
	v_mad_u64_u32 v[4:5], s[0:1], s28, v3, 0
	v_cmp_gt_i32_e32 vcc, s4, v3
	v_add3_u32 v5, v5, v1, v6
	v_lshlrev_b64 v[4:5], 4, v[4:5]
	v_mov_b32_e32 v1, s6
	v_add_co_u32_e64 v4, s[0:1], s5, v4
	v_addc_co_u32_e64 v5, s[0:1], v1, v5, s[0:1]
	v_cmp_le_i32_e64 s[0:1], v0, v3
	s_and_b64 s[0:1], vcc, s[0:1]
	s_and_saveexec_b64 s[2:3], s[0:1]
	s_cbranch_execz .LBB1190_10
; %bb.9:
	v_ashrrev_i32_e32 v1, 31, v0
	v_lshlrev_b64 v[0:1], 4, v[0:1]
	v_mul_f64 v[6:7], s[16:17], v[16:17]
	v_add_co_u32_e64 v0, s[0:1], v4, v0
	v_addc_co_u32_e64 v1, s[0:1], v5, v1, s[0:1]
	global_load_dwordx4 v[18:21], v[0:1], off
	v_mul_f64 v[10:11], s[14:15], v[16:17]
	v_fma_f64 v[6:7], s[14:15], v[14:15], -v[6:7]
	v_fma_f64 v[10:11], s[16:17], v[14:15], v[10:11]
	s_waitcnt vmcnt(0)
	v_mul_f64 v[16:17], s[40:41], v[20:21]
	v_mul_f64 v[20:21], s[38:39], v[20:21]
	v_fma_f64 v[14:15], s[38:39], v[18:19], -v[16:17]
	v_fma_f64 v[16:17], s[40:41], v[18:19], v[20:21]
	v_add_f64 v[14:15], v[6:7], v[14:15]
	v_add_f64 v[16:17], v[10:11], v[16:17]
	global_store_dwordx4 v[0:1], v[14:17], off
.LBB1190_10:
	s_or_b64 exec, exec, s[2:3]
	v_cmp_le_i32_e64 s[0:1], v2, v3
	s_and_b64 s[0:1], vcc, s[0:1]
	s_and_saveexec_b64 s[2:3], s[0:1]
	s_cbranch_execz .LBB1190_12
; %bb.11:
	v_ashrrev_i32_e32 v3, 31, v2
	v_lshlrev_b64 v[0:1], 4, v[2:3]
	v_mul_f64 v[6:7], s[16:17], v[12:13]
	v_add_co_u32_e32 v4, vcc, v4, v0
	v_addc_co_u32_e32 v5, vcc, v5, v1, vcc
	global_load_dwordx4 v[0:3], v[4:5], off
	v_mul_f64 v[10:11], s[14:15], v[12:13]
	v_fma_f64 v[6:7], s[14:15], v[8:9], -v[6:7]
	v_fma_f64 v[8:9], s[16:17], v[8:9], v[10:11]
	s_waitcnt vmcnt(0)
	v_mul_f64 v[12:13], s[40:41], v[2:3]
	v_mul_f64 v[2:3], s[38:39], v[2:3]
	v_fma_f64 v[10:11], s[38:39], v[0:1], -v[12:13]
	v_fma_f64 v[2:3], s[40:41], v[0:1], v[2:3]
	v_add_f64 v[0:1], v[6:7], v[10:11]
	v_add_f64 v[2:3], v[8:9], v[2:3]
	global_store_dwordx4 v[4:5], v[0:3], off
.LBB1190_12:
	s_endpgm
	.section	.rodata,"a",@progbits
	.p2align	6, 0x0
	.amdhsa_kernel _ZL37rocblas_syrkx_herkx_restricted_kernelIl19rocblas_complex_numIdELi16ELi32ELi8ELb0ELb0ELc84ELc85EKS1_S1_EviT_T0_PT8_S3_lS6_S3_lS4_PT9_S3_li
		.amdhsa_group_segment_fixed_size 8192
		.amdhsa_private_segment_fixed_size 0
		.amdhsa_kernarg_size 124
		.amdhsa_user_sgpr_count 6
		.amdhsa_user_sgpr_private_segment_buffer 1
		.amdhsa_user_sgpr_dispatch_ptr 0
		.amdhsa_user_sgpr_queue_ptr 0
		.amdhsa_user_sgpr_kernarg_segment_ptr 1
		.amdhsa_user_sgpr_dispatch_id 0
		.amdhsa_user_sgpr_flat_scratch_init 0
		.amdhsa_user_sgpr_private_segment_size 0
		.amdhsa_uses_dynamic_stack 0
		.amdhsa_system_sgpr_private_segment_wavefront_offset 0
		.amdhsa_system_sgpr_workgroup_id_x 1
		.amdhsa_system_sgpr_workgroup_id_y 1
		.amdhsa_system_sgpr_workgroup_id_z 1
		.amdhsa_system_sgpr_workgroup_info 0
		.amdhsa_system_vgpr_workitem_id 1
		.amdhsa_next_free_vgpr 54
		.amdhsa_next_free_sgpr 61
		.amdhsa_reserve_vcc 1
		.amdhsa_reserve_flat_scratch 0
		.amdhsa_float_round_mode_32 0
		.amdhsa_float_round_mode_16_64 0
		.amdhsa_float_denorm_mode_32 3
		.amdhsa_float_denorm_mode_16_64 3
		.amdhsa_dx10_clamp 1
		.amdhsa_ieee_mode 1
		.amdhsa_fp16_overflow 0
		.amdhsa_exception_fp_ieee_invalid_op 0
		.amdhsa_exception_fp_denorm_src 0
		.amdhsa_exception_fp_ieee_div_zero 0
		.amdhsa_exception_fp_ieee_overflow 0
		.amdhsa_exception_fp_ieee_underflow 0
		.amdhsa_exception_fp_ieee_inexact 0
		.amdhsa_exception_int_div_zero 0
	.end_amdhsa_kernel
	.section	.text._ZL37rocblas_syrkx_herkx_restricted_kernelIl19rocblas_complex_numIdELi16ELi32ELi8ELb0ELb0ELc84ELc85EKS1_S1_EviT_T0_PT8_S3_lS6_S3_lS4_PT9_S3_li,"axG",@progbits,_ZL37rocblas_syrkx_herkx_restricted_kernelIl19rocblas_complex_numIdELi16ELi32ELi8ELb0ELb0ELc84ELc85EKS1_S1_EviT_T0_PT8_S3_lS6_S3_lS4_PT9_S3_li,comdat
.Lfunc_end1190:
	.size	_ZL37rocblas_syrkx_herkx_restricted_kernelIl19rocblas_complex_numIdELi16ELi32ELi8ELb0ELb0ELc84ELc85EKS1_S1_EviT_T0_PT8_S3_lS6_S3_lS4_PT9_S3_li, .Lfunc_end1190-_ZL37rocblas_syrkx_herkx_restricted_kernelIl19rocblas_complex_numIdELi16ELi32ELi8ELb0ELb0ELc84ELc85EKS1_S1_EviT_T0_PT8_S3_lS6_S3_lS4_PT9_S3_li
                                        ; -- End function
	.set _ZL37rocblas_syrkx_herkx_restricted_kernelIl19rocblas_complex_numIdELi16ELi32ELi8ELb0ELb0ELc84ELc85EKS1_S1_EviT_T0_PT8_S3_lS6_S3_lS4_PT9_S3_li.num_vgpr, 54
	.set _ZL37rocblas_syrkx_herkx_restricted_kernelIl19rocblas_complex_numIdELi16ELi32ELi8ELb0ELb0ELc84ELc85EKS1_S1_EviT_T0_PT8_S3_lS6_S3_lS4_PT9_S3_li.num_agpr, 0
	.set _ZL37rocblas_syrkx_herkx_restricted_kernelIl19rocblas_complex_numIdELi16ELi32ELi8ELb0ELb0ELc84ELc85EKS1_S1_EviT_T0_PT8_S3_lS6_S3_lS4_PT9_S3_li.numbered_sgpr, 44
	.set _ZL37rocblas_syrkx_herkx_restricted_kernelIl19rocblas_complex_numIdELi16ELi32ELi8ELb0ELb0ELc84ELc85EKS1_S1_EviT_T0_PT8_S3_lS6_S3_lS4_PT9_S3_li.num_named_barrier, 0
	.set _ZL37rocblas_syrkx_herkx_restricted_kernelIl19rocblas_complex_numIdELi16ELi32ELi8ELb0ELb0ELc84ELc85EKS1_S1_EviT_T0_PT8_S3_lS6_S3_lS4_PT9_S3_li.private_seg_size, 0
	.set _ZL37rocblas_syrkx_herkx_restricted_kernelIl19rocblas_complex_numIdELi16ELi32ELi8ELb0ELb0ELc84ELc85EKS1_S1_EviT_T0_PT8_S3_lS6_S3_lS4_PT9_S3_li.uses_vcc, 1
	.set _ZL37rocblas_syrkx_herkx_restricted_kernelIl19rocblas_complex_numIdELi16ELi32ELi8ELb0ELb0ELc84ELc85EKS1_S1_EviT_T0_PT8_S3_lS6_S3_lS4_PT9_S3_li.uses_flat_scratch, 0
	.set _ZL37rocblas_syrkx_herkx_restricted_kernelIl19rocblas_complex_numIdELi16ELi32ELi8ELb0ELb0ELc84ELc85EKS1_S1_EviT_T0_PT8_S3_lS6_S3_lS4_PT9_S3_li.has_dyn_sized_stack, 0
	.set _ZL37rocblas_syrkx_herkx_restricted_kernelIl19rocblas_complex_numIdELi16ELi32ELi8ELb0ELb0ELc84ELc85EKS1_S1_EviT_T0_PT8_S3_lS6_S3_lS4_PT9_S3_li.has_recursion, 0
	.set _ZL37rocblas_syrkx_herkx_restricted_kernelIl19rocblas_complex_numIdELi16ELi32ELi8ELb0ELb0ELc84ELc85EKS1_S1_EviT_T0_PT8_S3_lS6_S3_lS4_PT9_S3_li.has_indirect_call, 0
	.section	.AMDGPU.csdata,"",@progbits
; Kernel info:
; codeLenInByte = 3236
; TotalNumSgprs: 48
; NumVgprs: 54
; ScratchSize: 0
; MemoryBound: 0
; FloatMode: 240
; IeeeMode: 1
; LDSByteSize: 8192 bytes/workgroup (compile time only)
; SGPRBlocks: 8
; VGPRBlocks: 13
; NumSGPRsForWavesPerEU: 65
; NumVGPRsForWavesPerEU: 54
; Occupancy: 4
; WaveLimiterHint : 0
; COMPUTE_PGM_RSRC2:SCRATCH_EN: 0
; COMPUTE_PGM_RSRC2:USER_SGPR: 6
; COMPUTE_PGM_RSRC2:TRAP_HANDLER: 0
; COMPUTE_PGM_RSRC2:TGID_X_EN: 1
; COMPUTE_PGM_RSRC2:TGID_Y_EN: 1
; COMPUTE_PGM_RSRC2:TGID_Z_EN: 1
; COMPUTE_PGM_RSRC2:TIDIG_COMP_CNT: 1
	.section	.text._ZL37rocblas_syrkx_herkx_restricted_kernelIl19rocblas_complex_numIdELi16ELi32ELi8ELb0ELb0ELc67ELc85EKS1_S1_EviT_T0_PT8_S3_lS6_S3_lS4_PT9_S3_li,"axG",@progbits,_ZL37rocblas_syrkx_herkx_restricted_kernelIl19rocblas_complex_numIdELi16ELi32ELi8ELb0ELb0ELc67ELc85EKS1_S1_EviT_T0_PT8_S3_lS6_S3_lS4_PT9_S3_li,comdat
	.globl	_ZL37rocblas_syrkx_herkx_restricted_kernelIl19rocblas_complex_numIdELi16ELi32ELi8ELb0ELb0ELc67ELc85EKS1_S1_EviT_T0_PT8_S3_lS6_S3_lS4_PT9_S3_li ; -- Begin function _ZL37rocblas_syrkx_herkx_restricted_kernelIl19rocblas_complex_numIdELi16ELi32ELi8ELb0ELb0ELc67ELc85EKS1_S1_EviT_T0_PT8_S3_lS6_S3_lS4_PT9_S3_li
	.p2align	8
	.type	_ZL37rocblas_syrkx_herkx_restricted_kernelIl19rocblas_complex_numIdELi16ELi32ELi8ELb0ELb0ELc67ELc85EKS1_S1_EviT_T0_PT8_S3_lS6_S3_lS4_PT9_S3_li,@function
_ZL37rocblas_syrkx_herkx_restricted_kernelIl19rocblas_complex_numIdELi16ELi32ELi8ELb0ELb0ELc67ELc85EKS1_S1_EviT_T0_PT8_S3_lS6_S3_lS4_PT9_S3_li: ; @_ZL37rocblas_syrkx_herkx_restricted_kernelIl19rocblas_complex_numIdELi16ELi32ELi8ELb0ELb0ELc67ELc85EKS1_S1_EviT_T0_PT8_S3_lS6_S3_lS4_PT9_S3_li
; %bb.0:
	s_load_dwordx16 s[12:27], s[4:5], 0x8
	s_load_dwordx4 s[28:31], s[4:5], 0x68
	s_load_dwordx8 s[36:43], s[4:5], 0x48
	s_lshl_b32 s2, s6, 5
	s_lshl_b32 s3, s7, 5
	s_waitcnt lgkmcnt(0)
	v_cmp_lt_i64_e64 s[0:1], s[12:13], 1
	s_and_b64 vcc, exec, s[0:1]
	s_cbranch_vccnz .LBB1191_3
; %bb.1:
	v_lshl_add_u32 v7, v1, 4, v0
	v_lshrrev_b32_e32 v8, 3, v7
	v_add_u32_e32 v4, s3, v8
	v_and_b32_e32 v2, 7, v0
	v_ashrrev_i32_e32 v5, 31, v4
	v_mov_b32_e32 v3, 0
	v_mul_lo_u32 v9, s26, v5
	v_mul_lo_u32 v10, s27, v4
	v_mad_u64_u32 v[4:5], s[0:1], s26, v4, v[2:3]
	v_lshlrev_b32_e32 v2, 4, v2
	v_and_b32_e32 v11, 31, v7
	v_lshl_or_b32 v2, v8, 7, v2
	v_add_u32_e32 v23, 0x1000, v2
	v_mov_b32_e32 v2, 0x1000
	v_add_u32_e32 v8, s2, v11
	v_lshrrev_b32_e32 v6, 5, v7
	v_mov_b32_e32 v7, v3
	v_lshlrev_b32_e32 v3, 4, v11
	v_lshl_add_u32 v25, v1, 7, v2
	v_ashrrev_i32_e32 v2, 31, v8
	v_add3_u32 v5, v10, v5, v9
	v_lshl_or_b32 v22, v6, 9, v3
	v_mul_lo_u32 v9, s20, v2
	v_mad_u64_u32 v[2:3], s[0:1], s20, v8, v[6:7]
	v_mul_lo_u32 v6, s21, v8
	s_mul_i32 s6, s23, s8
	s_mul_hi_u32 s7, s22, s8
	s_add_i32 s1, s7, s6
	s_mul_i32 s0, s22, s8
	s_lshl_b64 s[0:1], s[0:1], 4
	v_add3_u32 v3, v6, v3, v9
	v_lshlrev_b64 v[2:3], 4, v[2:3]
	s_add_u32 s0, s18, s0
	s_addc_u32 s1, s19, s1
	v_mov_b32_e32 v6, s1
	v_add_co_u32_e32 v2, vcc, s0, v2
	s_mul_i32 s0, s37, s8
	s_mul_hi_u32 s1, s36, s8
	s_add_i32 s1, s1, s0
	s_mul_i32 s0, s36, s8
	v_addc_co_u32_e32 v3, vcc, v6, v3, vcc
	s_lshl_b64 s[0:1], s[0:1], 4
	v_add_co_u32_e32 v2, vcc, 8, v2
	v_lshlrev_b64 v[4:5], 4, v[4:5]
	s_add_u32 s0, s24, s0
	v_addc_co_u32_e32 v3, vcc, 0, v3, vcc
	s_addc_u32 s1, s25, s1
	v_mov_b32_e32 v6, s1
	v_add_co_u32_e32 v4, vcc, s0, v4
	v_addc_co_u32_e32 v5, vcc, v6, v5, vcc
	v_add_co_u32_e32 v4, vcc, 8, v4
	v_mov_b32_e32 v12, 0
	v_mov_b32_e32 v8, 0
	v_mov_b32_e32 v16, 0
	v_mov_b32_e32 v14, 0
	v_mov_b32_e32 v10, 0
	v_mov_b32_e32 v6, 0
	v_mov_b32_e32 v20, 0
	v_mov_b32_e32 v18, 0
	v_lshlrev_b32_e32 v24, 4, v0
	v_addc_co_u32_e32 v5, vcc, 0, v5, vcc
	v_mov_b32_e32 v13, 0
	v_mov_b32_e32 v9, 0
	;; [unrolled: 1-line block ×8, first 2 shown]
	s_mov_b64 s[0:1], 0
.LBB1191_2:                             ; =>This Inner Loop Header: Depth=1
	global_load_dwordx4 v[26:29], v[2:3], off offset:-8
	s_add_u32 s0, s0, 8
	v_add_co_u32_e32 v2, vcc, 0x80, v2
	s_addc_u32 s1, s1, 0
	v_addc_co_u32_e32 v3, vcc, 0, v3, vcc
	s_waitcnt vmcnt(0)
	ds_write_b128 v22, v[26:29]
	global_load_dwordx4 v[26:29], v[4:5], off offset:-8
	v_add_co_u32_e32 v4, vcc, 0x80, v4
	v_addc_co_u32_e32 v5, vcc, 0, v5, vcc
	s_waitcnt vmcnt(0)
	ds_write_b128 v23, v[26:29]
	s_waitcnt lgkmcnt(0)
	s_barrier
	ds_read_b128 v[26:29], v25
	ds_read_b128 v[30:33], v25 offset:16
	ds_read_b128 v[34:37], v25 offset:32
	;; [unrolled: 1-line block ×3, first 2 shown]
	ds_read_b128 v[42:45], v24
	s_waitcnt lgkmcnt(0)
	v_mul_f64 v[46:47], v[28:29], v[44:45]
	v_mul_f64 v[48:49], v[26:27], v[44:45]
	v_fma_f64 v[46:47], v[26:27], v[42:43], -v[46:47]
	v_fma_f64 v[48:49], v[28:29], v[42:43], v[48:49]
	v_add_f64 v[46:47], v[18:19], v[46:47]
	v_add_f64 v[48:49], v[48:49], v[20:21]
	ds_read_b128 v[18:21], v24 offset:256
	s_waitcnt lgkmcnt(0)
	v_mul_f64 v[50:51], v[28:29], v[20:21]
	v_fma_f64 v[50:51], v[26:27], v[18:19], -v[50:51]
	v_mul_f64 v[26:27], v[26:27], v[20:21]
	v_add_f64 v[50:51], v[6:7], v[50:51]
	v_fma_f64 v[26:27], v[28:29], v[18:19], v[26:27]
	v_add_f64 v[52:53], v[26:27], v[10:11]
	ds_read_b128 v[26:29], v25 offset:2048
	s_waitcnt lgkmcnt(0)
	v_mul_f64 v[6:7], v[28:29], v[44:45]
	v_mul_f64 v[10:11], v[26:27], v[44:45]
	v_fma_f64 v[6:7], v[26:27], v[42:43], -v[6:7]
	v_fma_f64 v[10:11], v[28:29], v[42:43], v[10:11]
	v_add_f64 v[42:43], v[14:15], v[6:7]
	v_mul_f64 v[6:7], v[28:29], v[20:21]
	v_add_f64 v[44:45], v[10:11], v[16:17]
	v_mul_f64 v[10:11], v[26:27], v[20:21]
	v_fma_f64 v[6:7], v[26:27], v[18:19], -v[6:7]
	v_fma_f64 v[10:11], v[28:29], v[18:19], v[10:11]
	v_add_f64 v[18:19], v[8:9], v[6:7]
	ds_read_b128 v[6:9], v24 offset:512
	v_add_f64 v[20:21], v[10:11], v[12:13]
	s_waitcnt lgkmcnt(0)
	v_mul_f64 v[10:11], v[32:33], v[8:9]
	v_mul_f64 v[12:13], v[30:31], v[8:9]
	v_fma_f64 v[10:11], v[30:31], v[6:7], -v[10:11]
	v_fma_f64 v[12:13], v[32:33], v[6:7], v[12:13]
	v_add_f64 v[26:27], v[46:47], v[10:11]
	v_add_f64 v[28:29], v[12:13], v[48:49]
	ds_read_b128 v[10:13], v24 offset:768
	s_waitcnt lgkmcnt(0)
	v_mul_f64 v[14:15], v[32:33], v[12:13]
	v_mul_f64 v[16:17], v[30:31], v[12:13]
	v_fma_f64 v[14:15], v[30:31], v[10:11], -v[14:15]
	v_fma_f64 v[16:17], v[32:33], v[10:11], v[16:17]
	v_add_f64 v[30:31], v[50:51], v[14:15]
	v_add_f64 v[32:33], v[16:17], v[52:53]
	ds_read_b128 v[14:17], v25 offset:2064
	s_waitcnt lgkmcnt(0)
	v_mul_f64 v[46:47], v[16:17], v[8:9]
	v_mul_f64 v[8:9], v[14:15], v[8:9]
	v_fma_f64 v[46:47], v[14:15], v[6:7], -v[46:47]
	v_fma_f64 v[6:7], v[16:17], v[6:7], v[8:9]
	v_mul_f64 v[8:9], v[14:15], v[12:13]
	v_add_f64 v[42:43], v[42:43], v[46:47]
	v_add_f64 v[44:45], v[6:7], v[44:45]
	v_mul_f64 v[6:7], v[16:17], v[12:13]
	v_fma_f64 v[8:9], v[16:17], v[10:11], v[8:9]
	v_fma_f64 v[6:7], v[14:15], v[10:11], -v[6:7]
	v_add_f64 v[20:21], v[8:9], v[20:21]
	v_add_f64 v[18:19], v[18:19], v[6:7]
	ds_read_b128 v[6:9], v24 offset:1024
	s_waitcnt lgkmcnt(0)
	v_mul_f64 v[10:11], v[36:37], v[8:9]
	v_mul_f64 v[12:13], v[34:35], v[8:9]
	v_fma_f64 v[10:11], v[34:35], v[6:7], -v[10:11]
	v_fma_f64 v[12:13], v[36:37], v[6:7], v[12:13]
	v_add_f64 v[26:27], v[26:27], v[10:11]
	v_add_f64 v[28:29], v[12:13], v[28:29]
	ds_read_b128 v[10:13], v24 offset:1280
	s_waitcnt lgkmcnt(0)
	v_mul_f64 v[14:15], v[36:37], v[12:13]
	v_mul_f64 v[16:17], v[34:35], v[12:13]
	v_fma_f64 v[14:15], v[34:35], v[10:11], -v[14:15]
	v_fma_f64 v[16:17], v[36:37], v[10:11], v[16:17]
	v_add_f64 v[30:31], v[30:31], v[14:15]
	v_add_f64 v[32:33], v[16:17], v[32:33]
	ds_read_b128 v[14:17], v25 offset:2080
	s_waitcnt lgkmcnt(0)
	v_mul_f64 v[34:35], v[16:17], v[8:9]
	v_mul_f64 v[8:9], v[14:15], v[8:9]
	v_fma_f64 v[34:35], v[14:15], v[6:7], -v[34:35]
	v_fma_f64 v[6:7], v[16:17], v[6:7], v[8:9]
	v_mul_f64 v[8:9], v[14:15], v[12:13]
	v_add_f64 v[34:35], v[42:43], v[34:35]
	v_add_f64 v[36:37], v[6:7], v[44:45]
	v_mul_f64 v[6:7], v[16:17], v[12:13]
	v_fma_f64 v[8:9], v[16:17], v[10:11], v[8:9]
	v_fma_f64 v[6:7], v[14:15], v[10:11], -v[6:7]
	v_add_f64 v[20:21], v[8:9], v[20:21]
	v_add_f64 v[18:19], v[18:19], v[6:7]
	ds_read_b128 v[6:9], v24 offset:1536
	;; [unrolled: 30-line block ×3, first 2 shown]
	ds_read_b128 v[10:13], v24 offset:2048
	s_waitcnt lgkmcnt(0)
	v_mul_f64 v[14:15], v[8:9], v[12:13]
	v_mul_f64 v[16:17], v[6:7], v[12:13]
	v_fma_f64 v[14:15], v[6:7], v[10:11], -v[14:15]
	v_fma_f64 v[16:17], v[8:9], v[10:11], v[16:17]
	v_add_f64 v[26:27], v[26:27], v[14:15]
	v_add_f64 v[28:29], v[16:17], v[28:29]
	ds_read_b128 v[14:17], v24 offset:2304
	s_waitcnt lgkmcnt(0)
	v_mul_f64 v[38:39], v[8:9], v[16:17]
	v_fma_f64 v[38:39], v[6:7], v[14:15], -v[38:39]
	v_mul_f64 v[6:7], v[6:7], v[16:17]
	v_add_f64 v[30:31], v[30:31], v[38:39]
	v_fma_f64 v[6:7], v[8:9], v[14:15], v[6:7]
	v_add_f64 v[32:33], v[6:7], v[32:33]
	ds_read_b128 v[6:9], v25 offset:2112
	s_waitcnt lgkmcnt(0)
	v_mul_f64 v[38:39], v[8:9], v[12:13]
	v_mul_f64 v[12:13], v[6:7], v[12:13]
	v_fma_f64 v[38:39], v[6:7], v[10:11], -v[38:39]
	v_fma_f64 v[10:11], v[8:9], v[10:11], v[12:13]
	v_add_f64 v[34:35], v[34:35], v[38:39]
	v_add_f64 v[36:37], v[10:11], v[36:37]
	v_mul_f64 v[10:11], v[8:9], v[16:17]
	v_fma_f64 v[10:11], v[6:7], v[14:15], -v[10:11]
	v_mul_f64 v[6:7], v[6:7], v[16:17]
	v_add_f64 v[18:19], v[18:19], v[10:11]
	v_fma_f64 v[6:7], v[8:9], v[14:15], v[6:7]
	v_add_f64 v[20:21], v[6:7], v[20:21]
	ds_read_b128 v[6:9], v25 offset:80
	ds_read_b128 v[10:13], v24 offset:2560
	s_waitcnt lgkmcnt(0)
	v_mul_f64 v[14:15], v[8:9], v[12:13]
	v_mul_f64 v[16:17], v[6:7], v[12:13]
	v_fma_f64 v[14:15], v[6:7], v[10:11], -v[14:15]
	v_fma_f64 v[16:17], v[8:9], v[10:11], v[16:17]
	v_add_f64 v[26:27], v[26:27], v[14:15]
	v_add_f64 v[28:29], v[16:17], v[28:29]
	ds_read_b128 v[14:17], v24 offset:2816
	s_waitcnt lgkmcnt(0)
	v_mul_f64 v[38:39], v[8:9], v[16:17]
	v_fma_f64 v[38:39], v[6:7], v[14:15], -v[38:39]
	v_mul_f64 v[6:7], v[6:7], v[16:17]
	v_add_f64 v[30:31], v[30:31], v[38:39]
	v_fma_f64 v[6:7], v[8:9], v[14:15], v[6:7]
	v_add_f64 v[32:33], v[6:7], v[32:33]
	ds_read_b128 v[6:9], v25 offset:2128
	s_waitcnt lgkmcnt(0)
	v_mul_f64 v[38:39], v[8:9], v[12:13]
	v_mul_f64 v[12:13], v[6:7], v[12:13]
	v_fma_f64 v[38:39], v[6:7], v[10:11], -v[38:39]
	v_fma_f64 v[10:11], v[8:9], v[10:11], v[12:13]
	v_add_f64 v[34:35], v[34:35], v[38:39]
	v_add_f64 v[36:37], v[10:11], v[36:37]
	v_mul_f64 v[10:11], v[8:9], v[16:17]
	v_fma_f64 v[10:11], v[6:7], v[14:15], -v[10:11]
	v_mul_f64 v[6:7], v[6:7], v[16:17]
	v_add_f64 v[18:19], v[18:19], v[10:11]
	v_fma_f64 v[6:7], v[8:9], v[14:15], v[6:7]
	v_add_f64 v[20:21], v[6:7], v[20:21]
	ds_read_b128 v[6:9], v25 offset:96
	;; [unrolled: 31-line block ×3, first 2 shown]
	ds_read_b128 v[12:15], v24 offset:3584
	s_waitcnt lgkmcnt(0)
	v_mul_f64 v[10:11], v[8:9], v[14:15]
	v_mul_f64 v[16:17], v[6:7], v[14:15]
	v_fma_f64 v[10:11], v[6:7], v[12:13], -v[10:11]
	v_fma_f64 v[16:17], v[8:9], v[12:13], v[16:17]
	v_add_f64 v[18:19], v[26:27], v[10:11]
	v_add_f64 v[20:21], v[16:17], v[28:29]
	ds_read_b128 v[26:29], v24 offset:3840
	s_waitcnt lgkmcnt(0)
	v_mul_f64 v[10:11], v[8:9], v[28:29]
	v_fma_f64 v[10:11], v[6:7], v[26:27], -v[10:11]
	v_mul_f64 v[6:7], v[6:7], v[28:29]
	v_fma_f64 v[8:9], v[8:9], v[26:27], v[6:7]
	v_add_f64 v[6:7], v[30:31], v[10:11]
	v_add_f64 v[10:11], v[8:9], v[32:33]
	ds_read_b128 v[30:33], v25 offset:2160
	s_waitcnt lgkmcnt(0)
	s_barrier
	v_mul_f64 v[8:9], v[32:33], v[14:15]
	v_mul_f64 v[14:15], v[30:31], v[14:15]
	v_fma_f64 v[8:9], v[30:31], v[12:13], -v[8:9]
	v_fma_f64 v[12:13], v[32:33], v[12:13], v[14:15]
	v_add_f64 v[14:15], v[34:35], v[8:9]
	v_add_f64 v[16:17], v[12:13], v[36:37]
	v_mul_f64 v[8:9], v[32:33], v[28:29]
	v_mul_f64 v[12:13], v[30:31], v[28:29]
	v_fma_f64 v[8:9], v[30:31], v[26:27], -v[8:9]
	v_fma_f64 v[12:13], v[32:33], v[26:27], v[12:13]
	v_mov_b32_e32 v27, s1
	v_mov_b32_e32 v26, s0
	v_cmp_le_u64_e32 vcc, s[12:13], v[26:27]
	v_add_f64 v[8:9], v[38:39], v[8:9]
	v_add_f64 v[12:13], v[12:13], v[40:41]
	s_cbranch_vccz .LBB1191_2
	s_branch .LBB1191_4
.LBB1191_3:
	v_mov_b32_e32 v18, 0
	v_mov_b32_e32 v20, 0
	;; [unrolled: 1-line block ×16, first 2 shown]
.LBB1191_4:
	v_add_u32_e32 v4, s3, v1
	v_ashrrev_i32_e32 v1, 31, v4
	v_mul_lo_u32 v3, s28, v1
	v_mul_lo_u32 v5, s29, v4
	v_mad_u64_u32 v[1:2], s[6:7], s28, v4, 0
	s_mul_i32 s0, s31, s8
	s_mul_hi_u32 s1, s30, s8
	s_add_i32 s1, s1, s0
	s_mul_i32 s0, s30, s8
	s_load_dword s4, s[4:5], 0x0
	s_lshl_b64 s[0:1], s[0:1], 4
	v_add3_u32 v2, v2, v3, v5
	s_add_u32 s5, s42, s0
	v_lshlrev_b64 v[1:2], 4, v[1:2]
	s_addc_u32 s6, s43, s1
	v_mov_b32_e32 v3, s6
	v_add_co_u32_e64 v5, s[0:1], s5, v1
	v_add_u32_e32 v0, s2, v0
	v_addc_co_u32_e64 v22, s[0:1], v3, v2, s[0:1]
	s_waitcnt lgkmcnt(0)
	v_cmp_gt_i32_e32 vcc, s4, v4
	v_cmp_le_i32_e64 s[0:1], v0, v4
	s_and_b64 s[0:1], vcc, s[0:1]
	s_and_saveexec_b64 s[2:3], s[0:1]
	s_cbranch_execz .LBB1191_6
; %bb.5:
	v_ashrrev_i32_e32 v1, 31, v0
	v_lshlrev_b64 v[1:2], 4, v[0:1]
	v_mul_f64 v[27:28], s[16:17], v[20:21]
	v_add_co_u32_e64 v1, s[0:1], v5, v1
	v_addc_co_u32_e64 v2, s[0:1], v22, v2, s[0:1]
	global_load_dwordx4 v[23:26], v[1:2], off
	v_mul_f64 v[20:21], s[14:15], v[20:21]
	v_fma_f64 v[27:28], s[14:15], v[18:19], -v[27:28]
	v_fma_f64 v[20:21], s[16:17], v[18:19], v[20:21]
	s_waitcnt vmcnt(0)
	v_mul_f64 v[29:30], s[40:41], v[25:26]
	v_mul_f64 v[25:26], s[38:39], v[25:26]
	v_fma_f64 v[18:19], s[38:39], v[23:24], -v[29:30]
	v_fma_f64 v[23:24], s[40:41], v[23:24], v[25:26]
	v_add_f64 v[18:19], v[27:28], v[18:19]
	v_add_f64 v[20:21], v[20:21], v[23:24]
	global_store_dwordx4 v[1:2], v[18:21], off
.LBB1191_6:
	s_or_b64 exec, exec, s[2:3]
	v_add_u32_e32 v2, 16, v0
	v_cmp_le_i32_e64 s[0:1], v2, v4
	s_and_b64 s[2:3], vcc, s[0:1]
	s_and_saveexec_b64 s[0:1], s[2:3]
	s_cbranch_execz .LBB1191_8
; %bb.7:
	v_ashrrev_i32_e32 v3, 31, v2
	v_lshlrev_b64 v[18:19], 4, v[2:3]
	v_mul_f64 v[25:26], s[16:17], v[10:11]
	v_add_co_u32_e32 v23, vcc, v5, v18
	v_addc_co_u32_e32 v24, vcc, v22, v19, vcc
	global_load_dwordx4 v[18:21], v[23:24], off
	v_mul_f64 v[10:11], s[14:15], v[10:11]
	v_fma_f64 v[25:26], s[14:15], v[6:7], -v[25:26]
	v_fma_f64 v[5:6], s[16:17], v[6:7], v[10:11]
	s_waitcnt vmcnt(0)
	v_mul_f64 v[27:28], s[40:41], v[20:21]
	v_mul_f64 v[20:21], s[38:39], v[20:21]
	v_fma_f64 v[10:11], s[38:39], v[18:19], -v[27:28]
	v_fma_f64 v[20:21], s[40:41], v[18:19], v[20:21]
	v_add_f64 v[18:19], v[25:26], v[10:11]
	v_add_f64 v[20:21], v[5:6], v[20:21]
	global_store_dwordx4 v[23:24], v[18:21], off
.LBB1191_8:
	s_or_b64 exec, exec, s[0:1]
	v_add_u32_e32 v3, 16, v4
	v_ashrrev_i32_e32 v1, 31, v3
	v_mul_lo_u32 v1, s28, v1
	v_mul_lo_u32 v6, s29, v3
	v_mad_u64_u32 v[4:5], s[0:1], s28, v3, 0
	v_cmp_gt_i32_e32 vcc, s4, v3
	v_add3_u32 v5, v5, v1, v6
	v_lshlrev_b64 v[4:5], 4, v[4:5]
	v_mov_b32_e32 v1, s6
	v_add_co_u32_e64 v4, s[0:1], s5, v4
	v_addc_co_u32_e64 v5, s[0:1], v1, v5, s[0:1]
	v_cmp_le_i32_e64 s[0:1], v0, v3
	s_and_b64 s[0:1], vcc, s[0:1]
	s_and_saveexec_b64 s[2:3], s[0:1]
	s_cbranch_execz .LBB1191_10
; %bb.9:
	v_ashrrev_i32_e32 v1, 31, v0
	v_lshlrev_b64 v[0:1], 4, v[0:1]
	v_mul_f64 v[6:7], s[16:17], v[16:17]
	v_add_co_u32_e64 v0, s[0:1], v4, v0
	v_addc_co_u32_e64 v1, s[0:1], v5, v1, s[0:1]
	global_load_dwordx4 v[18:21], v[0:1], off
	v_mul_f64 v[10:11], s[14:15], v[16:17]
	v_fma_f64 v[6:7], s[14:15], v[14:15], -v[6:7]
	v_fma_f64 v[10:11], s[16:17], v[14:15], v[10:11]
	s_waitcnt vmcnt(0)
	v_mul_f64 v[16:17], s[40:41], v[20:21]
	v_mul_f64 v[20:21], s[38:39], v[20:21]
	v_fma_f64 v[14:15], s[38:39], v[18:19], -v[16:17]
	v_fma_f64 v[16:17], s[40:41], v[18:19], v[20:21]
	v_add_f64 v[14:15], v[6:7], v[14:15]
	v_add_f64 v[16:17], v[10:11], v[16:17]
	global_store_dwordx4 v[0:1], v[14:17], off
.LBB1191_10:
	s_or_b64 exec, exec, s[2:3]
	v_cmp_le_i32_e64 s[0:1], v2, v3
	s_and_b64 s[0:1], vcc, s[0:1]
	s_and_saveexec_b64 s[2:3], s[0:1]
	s_cbranch_execz .LBB1191_12
; %bb.11:
	v_ashrrev_i32_e32 v3, 31, v2
	v_lshlrev_b64 v[0:1], 4, v[2:3]
	v_mul_f64 v[6:7], s[16:17], v[12:13]
	v_add_co_u32_e32 v4, vcc, v4, v0
	v_addc_co_u32_e32 v5, vcc, v5, v1, vcc
	global_load_dwordx4 v[0:3], v[4:5], off
	v_mul_f64 v[10:11], s[14:15], v[12:13]
	v_fma_f64 v[6:7], s[14:15], v[8:9], -v[6:7]
	v_fma_f64 v[8:9], s[16:17], v[8:9], v[10:11]
	s_waitcnt vmcnt(0)
	v_mul_f64 v[12:13], s[40:41], v[2:3]
	v_mul_f64 v[2:3], s[38:39], v[2:3]
	v_fma_f64 v[10:11], s[38:39], v[0:1], -v[12:13]
	v_fma_f64 v[2:3], s[40:41], v[0:1], v[2:3]
	v_add_f64 v[0:1], v[6:7], v[10:11]
	v_add_f64 v[2:3], v[8:9], v[2:3]
	global_store_dwordx4 v[4:5], v[0:3], off
.LBB1191_12:
	s_endpgm
	.section	.rodata,"a",@progbits
	.p2align	6, 0x0
	.amdhsa_kernel _ZL37rocblas_syrkx_herkx_restricted_kernelIl19rocblas_complex_numIdELi16ELi32ELi8ELb0ELb0ELc67ELc85EKS1_S1_EviT_T0_PT8_S3_lS6_S3_lS4_PT9_S3_li
		.amdhsa_group_segment_fixed_size 8192
		.amdhsa_private_segment_fixed_size 0
		.amdhsa_kernarg_size 124
		.amdhsa_user_sgpr_count 6
		.amdhsa_user_sgpr_private_segment_buffer 1
		.amdhsa_user_sgpr_dispatch_ptr 0
		.amdhsa_user_sgpr_queue_ptr 0
		.amdhsa_user_sgpr_kernarg_segment_ptr 1
		.amdhsa_user_sgpr_dispatch_id 0
		.amdhsa_user_sgpr_flat_scratch_init 0
		.amdhsa_user_sgpr_private_segment_size 0
		.amdhsa_uses_dynamic_stack 0
		.amdhsa_system_sgpr_private_segment_wavefront_offset 0
		.amdhsa_system_sgpr_workgroup_id_x 1
		.amdhsa_system_sgpr_workgroup_id_y 1
		.amdhsa_system_sgpr_workgroup_id_z 1
		.amdhsa_system_sgpr_workgroup_info 0
		.amdhsa_system_vgpr_workitem_id 1
		.amdhsa_next_free_vgpr 54
		.amdhsa_next_free_sgpr 61
		.amdhsa_reserve_vcc 1
		.amdhsa_reserve_flat_scratch 0
		.amdhsa_float_round_mode_32 0
		.amdhsa_float_round_mode_16_64 0
		.amdhsa_float_denorm_mode_32 3
		.amdhsa_float_denorm_mode_16_64 3
		.amdhsa_dx10_clamp 1
		.amdhsa_ieee_mode 1
		.amdhsa_fp16_overflow 0
		.amdhsa_exception_fp_ieee_invalid_op 0
		.amdhsa_exception_fp_denorm_src 0
		.amdhsa_exception_fp_ieee_div_zero 0
		.amdhsa_exception_fp_ieee_overflow 0
		.amdhsa_exception_fp_ieee_underflow 0
		.amdhsa_exception_fp_ieee_inexact 0
		.amdhsa_exception_int_div_zero 0
	.end_amdhsa_kernel
	.section	.text._ZL37rocblas_syrkx_herkx_restricted_kernelIl19rocblas_complex_numIdELi16ELi32ELi8ELb0ELb0ELc67ELc85EKS1_S1_EviT_T0_PT8_S3_lS6_S3_lS4_PT9_S3_li,"axG",@progbits,_ZL37rocblas_syrkx_herkx_restricted_kernelIl19rocblas_complex_numIdELi16ELi32ELi8ELb0ELb0ELc67ELc85EKS1_S1_EviT_T0_PT8_S3_lS6_S3_lS4_PT9_S3_li,comdat
.Lfunc_end1191:
	.size	_ZL37rocblas_syrkx_herkx_restricted_kernelIl19rocblas_complex_numIdELi16ELi32ELi8ELb0ELb0ELc67ELc85EKS1_S1_EviT_T0_PT8_S3_lS6_S3_lS4_PT9_S3_li, .Lfunc_end1191-_ZL37rocblas_syrkx_herkx_restricted_kernelIl19rocblas_complex_numIdELi16ELi32ELi8ELb0ELb0ELc67ELc85EKS1_S1_EviT_T0_PT8_S3_lS6_S3_lS4_PT9_S3_li
                                        ; -- End function
	.set _ZL37rocblas_syrkx_herkx_restricted_kernelIl19rocblas_complex_numIdELi16ELi32ELi8ELb0ELb0ELc67ELc85EKS1_S1_EviT_T0_PT8_S3_lS6_S3_lS4_PT9_S3_li.num_vgpr, 54
	.set _ZL37rocblas_syrkx_herkx_restricted_kernelIl19rocblas_complex_numIdELi16ELi32ELi8ELb0ELb0ELc67ELc85EKS1_S1_EviT_T0_PT8_S3_lS6_S3_lS4_PT9_S3_li.num_agpr, 0
	.set _ZL37rocblas_syrkx_herkx_restricted_kernelIl19rocblas_complex_numIdELi16ELi32ELi8ELb0ELb0ELc67ELc85EKS1_S1_EviT_T0_PT8_S3_lS6_S3_lS4_PT9_S3_li.numbered_sgpr, 44
	.set _ZL37rocblas_syrkx_herkx_restricted_kernelIl19rocblas_complex_numIdELi16ELi32ELi8ELb0ELb0ELc67ELc85EKS1_S1_EviT_T0_PT8_S3_lS6_S3_lS4_PT9_S3_li.num_named_barrier, 0
	.set _ZL37rocblas_syrkx_herkx_restricted_kernelIl19rocblas_complex_numIdELi16ELi32ELi8ELb0ELb0ELc67ELc85EKS1_S1_EviT_T0_PT8_S3_lS6_S3_lS4_PT9_S3_li.private_seg_size, 0
	.set _ZL37rocblas_syrkx_herkx_restricted_kernelIl19rocblas_complex_numIdELi16ELi32ELi8ELb0ELb0ELc67ELc85EKS1_S1_EviT_T0_PT8_S3_lS6_S3_lS4_PT9_S3_li.uses_vcc, 1
	.set _ZL37rocblas_syrkx_herkx_restricted_kernelIl19rocblas_complex_numIdELi16ELi32ELi8ELb0ELb0ELc67ELc85EKS1_S1_EviT_T0_PT8_S3_lS6_S3_lS4_PT9_S3_li.uses_flat_scratch, 0
	.set _ZL37rocblas_syrkx_herkx_restricted_kernelIl19rocblas_complex_numIdELi16ELi32ELi8ELb0ELb0ELc67ELc85EKS1_S1_EviT_T0_PT8_S3_lS6_S3_lS4_PT9_S3_li.has_dyn_sized_stack, 0
	.set _ZL37rocblas_syrkx_herkx_restricted_kernelIl19rocblas_complex_numIdELi16ELi32ELi8ELb0ELb0ELc67ELc85EKS1_S1_EviT_T0_PT8_S3_lS6_S3_lS4_PT9_S3_li.has_recursion, 0
	.set _ZL37rocblas_syrkx_herkx_restricted_kernelIl19rocblas_complex_numIdELi16ELi32ELi8ELb0ELb0ELc67ELc85EKS1_S1_EviT_T0_PT8_S3_lS6_S3_lS4_PT9_S3_li.has_indirect_call, 0
	.section	.AMDGPU.csdata,"",@progbits
; Kernel info:
; codeLenInByte = 3236
; TotalNumSgprs: 48
; NumVgprs: 54
; ScratchSize: 0
; MemoryBound: 0
; FloatMode: 240
; IeeeMode: 1
; LDSByteSize: 8192 bytes/workgroup (compile time only)
; SGPRBlocks: 8
; VGPRBlocks: 13
; NumSGPRsForWavesPerEU: 65
; NumVGPRsForWavesPerEU: 54
; Occupancy: 4
; WaveLimiterHint : 0
; COMPUTE_PGM_RSRC2:SCRATCH_EN: 0
; COMPUTE_PGM_RSRC2:USER_SGPR: 6
; COMPUTE_PGM_RSRC2:TRAP_HANDLER: 0
; COMPUTE_PGM_RSRC2:TGID_X_EN: 1
; COMPUTE_PGM_RSRC2:TGID_Y_EN: 1
; COMPUTE_PGM_RSRC2:TGID_Z_EN: 1
; COMPUTE_PGM_RSRC2:TIDIG_COMP_CNT: 1
	.section	.text._ZL37rocblas_syrkx_herkx_restricted_kernelIl19rocblas_complex_numIdELi16ELi32ELi8ELb0ELb0ELc78ELc85EKS1_S1_EviT_T0_PT8_S3_lS6_S3_lS4_PT9_S3_li,"axG",@progbits,_ZL37rocblas_syrkx_herkx_restricted_kernelIl19rocblas_complex_numIdELi16ELi32ELi8ELb0ELb0ELc78ELc85EKS1_S1_EviT_T0_PT8_S3_lS6_S3_lS4_PT9_S3_li,comdat
	.globl	_ZL37rocblas_syrkx_herkx_restricted_kernelIl19rocblas_complex_numIdELi16ELi32ELi8ELb0ELb0ELc78ELc85EKS1_S1_EviT_T0_PT8_S3_lS6_S3_lS4_PT9_S3_li ; -- Begin function _ZL37rocblas_syrkx_herkx_restricted_kernelIl19rocblas_complex_numIdELi16ELi32ELi8ELb0ELb0ELc78ELc85EKS1_S1_EviT_T0_PT8_S3_lS6_S3_lS4_PT9_S3_li
	.p2align	8
	.type	_ZL37rocblas_syrkx_herkx_restricted_kernelIl19rocblas_complex_numIdELi16ELi32ELi8ELb0ELb0ELc78ELc85EKS1_S1_EviT_T0_PT8_S3_lS6_S3_lS4_PT9_S3_li,@function
_ZL37rocblas_syrkx_herkx_restricted_kernelIl19rocblas_complex_numIdELi16ELi32ELi8ELb0ELb0ELc78ELc85EKS1_S1_EviT_T0_PT8_S3_lS6_S3_lS4_PT9_S3_li: ; @_ZL37rocblas_syrkx_herkx_restricted_kernelIl19rocblas_complex_numIdELi16ELi32ELi8ELb0ELb0ELc78ELc85EKS1_S1_EviT_T0_PT8_S3_lS6_S3_lS4_PT9_S3_li
; %bb.0:
	s_load_dwordx16 s[12:27], s[4:5], 0x8
	s_load_dwordx4 s[28:31], s[4:5], 0x68
	s_load_dwordx8 s[36:43], s[4:5], 0x48
	s_lshl_b32 s9, s6, 5
	s_lshl_b32 s10, s7, 5
	s_waitcnt lgkmcnt(0)
	v_cmp_lt_i64_e64 s[0:1], s[12:13], 1
	s_and_b64 vcc, exec, s[0:1]
	s_cbranch_vccnz .LBB1192_3
; %bb.1:
	v_lshl_add_u32 v6, v1, 4, v0
	v_lshrrev_b32_e32 v7, 3, v6
	v_add_u32_e32 v2, s10, v7
	v_and_b32_e32 v8, 7, v0
	v_ashrrev_i32_e32 v3, 31, v2
	v_mad_u64_u32 v[4:5], s[0:1], s26, v8, v[2:3]
	v_lshrrev_b32_e32 v9, 5, v6
	s_mul_i32 s2, s23, s8
	v_mov_b32_e32 v2, v5
	v_mad_u64_u32 v[2:3], s[0:1], s27, v8, v[2:3]
	v_and_b32_e32 v3, 31, v6
	v_lshlrev_b32_e32 v6, 4, v3
	v_mov_b32_e32 v5, v2
	v_lshlrev_b32_e32 v2, 4, v8
	v_lshl_or_b32 v2, v7, 7, v2
	v_add_u32_e32 v23, 0x1000, v2
	v_add_u32_e32 v2, s9, v3
	v_ashrrev_i32_e32 v3, 31, v2
	v_mad_u64_u32 v[2:3], s[0:1], s20, v9, v[2:3]
	v_lshl_or_b32 v22, v9, 9, v6
	v_mov_b32_e32 v6, 0x1000
	v_lshl_add_u32 v25, v1, 7, v6
	v_mad_u64_u32 v[6:7], s[0:1], s21, v9, v[3:4]
	s_mul_hi_u32 s3, s22, s8
	s_add_i32 s1, s3, s2
	s_mul_i32 s0, s22, s8
	s_lshl_b64 s[0:1], s[0:1], 4
	v_mov_b32_e32 v3, v6
	v_lshlrev_b64 v[2:3], 4, v[2:3]
	s_add_u32 s0, s18, s0
	s_addc_u32 s1, s19, s1
	s_mul_i32 s2, s37, s8
	s_mul_hi_u32 s3, s36, s8
	v_mov_b32_e32 v6, s1
	v_add_co_u32_e32 v2, vcc, s0, v2
	s_add_i32 s3, s3, s2
	s_mul_i32 s2, s36, s8
	v_addc_co_u32_e32 v3, vcc, v6, v3, vcc
	s_lshl_b64 s[0:1], s[20:21], 7
	s_lshl_b64 s[2:3], s[2:3], 4
	v_add_co_u32_e32 v2, vcc, 8, v2
	v_lshlrev_b64 v[4:5], 4, v[4:5]
	s_add_u32 s2, s24, s2
	v_addc_co_u32_e32 v3, vcc, 0, v3, vcc
	s_addc_u32 s3, s25, s3
	v_mov_b32_e32 v6, s3
	v_add_co_u32_e32 v4, vcc, s2, v4
	v_addc_co_u32_e32 v5, vcc, v6, v5, vcc
	v_add_co_u32_e32 v4, vcc, 8, v4
	s_lshl_b64 s[2:3], s[26:27], 7
	v_mov_b32_e32 v8, 0
	v_mov_b32_e32 v6, 0
	;; [unrolled: 1-line block ×8, first 2 shown]
	v_lshlrev_b32_e32 v24, 4, v0
	v_addc_co_u32_e32 v5, vcc, 0, v5, vcc
	v_mov_b32_e32 v9, 0
	s_mov_b64 s[6:7], 0
	v_mov_b32_e32 v26, s1
	v_mov_b32_e32 v7, 0
	;; [unrolled: 1-line block ×9, first 2 shown]
.LBB1192_2:                             ; =>This Inner Loop Header: Depth=1
	global_load_dwordx4 v[28:31], v[2:3], off offset:-8
	s_add_u32 s6, s6, 8
	v_add_co_u32_e32 v2, vcc, s0, v2
	s_addc_u32 s7, s7, 0
	v_addc_co_u32_e32 v3, vcc, v3, v26, vcc
	s_waitcnt vmcnt(0)
	ds_write_b128 v22, v[28:31]
	global_load_dwordx4 v[28:31], v[4:5], off offset:-8
	v_add_co_u32_e32 v4, vcc, s2, v4
	v_addc_co_u32_e32 v5, vcc, v5, v27, vcc
	s_waitcnt vmcnt(0)
	ds_write_b128 v23, v[28:31]
	s_waitcnt lgkmcnt(0)
	s_barrier
	ds_read_b128 v[28:31], v25
	ds_read_b128 v[32:35], v25 offset:16
	ds_read_b128 v[36:39], v25 offset:32
	;; [unrolled: 1-line block ×3, first 2 shown]
	ds_read_b128 v[44:47], v24
	s_waitcnt lgkmcnt(0)
	v_mul_f64 v[48:49], v[30:31], v[46:47]
	v_mul_f64 v[50:51], v[28:29], v[46:47]
	v_fma_f64 v[48:49], v[28:29], v[44:45], -v[48:49]
	v_fma_f64 v[50:51], v[30:31], v[44:45], v[50:51]
	v_add_f64 v[48:49], v[18:19], v[48:49]
	v_add_f64 v[50:51], v[50:51], v[20:21]
	ds_read_b128 v[18:21], v24 offset:256
	s_waitcnt lgkmcnt(0)
	v_mul_f64 v[52:53], v[30:31], v[20:21]
	v_fma_f64 v[52:53], v[28:29], v[18:19], -v[52:53]
	v_mul_f64 v[28:29], v[28:29], v[20:21]
	v_fma_f64 v[28:29], v[30:31], v[18:19], v[28:29]
	v_add_f64 v[30:31], v[10:11], v[52:53]
	v_add_f64 v[28:29], v[28:29], v[12:13]
	ds_read_b128 v[10:13], v25 offset:2048
	s_waitcnt lgkmcnt(0)
	v_mul_f64 v[52:53], v[12:13], v[46:47]
	v_mul_f64 v[46:47], v[10:11], v[46:47]
	v_fma_f64 v[52:53], v[10:11], v[44:45], -v[52:53]
	v_fma_f64 v[44:45], v[12:13], v[44:45], v[46:47]
	v_add_f64 v[46:47], v[14:15], v[52:53]
	v_mul_f64 v[14:15], v[12:13], v[20:21]
	v_add_f64 v[44:45], v[44:45], v[16:17]
	v_fma_f64 v[14:15], v[10:11], v[18:19], -v[14:15]
	v_mul_f64 v[10:11], v[10:11], v[20:21]
	v_fma_f64 v[10:11], v[12:13], v[18:19], v[10:11]
	v_add_f64 v[18:19], v[6:7], v[14:15]
	v_add_f64 v[20:21], v[10:11], v[8:9]
	ds_read_b128 v[6:9], v24 offset:512
	s_waitcnt lgkmcnt(0)
	v_mul_f64 v[10:11], v[34:35], v[8:9]
	v_mul_f64 v[12:13], v[32:33], v[8:9]
	v_fma_f64 v[10:11], v[32:33], v[6:7], -v[10:11]
	v_fma_f64 v[12:13], v[34:35], v[6:7], v[12:13]
	v_add_f64 v[48:49], v[48:49], v[10:11]
	v_add_f64 v[50:51], v[12:13], v[50:51]
	ds_read_b128 v[10:13], v24 offset:768
	s_waitcnt lgkmcnt(0)
	v_mul_f64 v[14:15], v[34:35], v[12:13]
	v_mul_f64 v[16:17], v[32:33], v[12:13]
	v_fma_f64 v[14:15], v[32:33], v[10:11], -v[14:15]
	;; [unrolled: 8-line block ×3, first 2 shown]
	v_fma_f64 v[6:7], v[16:17], v[6:7], v[8:9]
	v_mul_f64 v[8:9], v[14:15], v[12:13]
	v_add_f64 v[32:33], v[46:47], v[32:33]
	v_add_f64 v[34:35], v[6:7], v[44:45]
	v_mul_f64 v[6:7], v[16:17], v[12:13]
	v_fma_f64 v[8:9], v[16:17], v[10:11], v[8:9]
	v_fma_f64 v[6:7], v[14:15], v[10:11], -v[6:7]
	v_add_f64 v[20:21], v[8:9], v[20:21]
	v_add_f64 v[18:19], v[18:19], v[6:7]
	ds_read_b128 v[6:9], v24 offset:1024
	s_waitcnt lgkmcnt(0)
	v_mul_f64 v[10:11], v[38:39], v[8:9]
	v_mul_f64 v[12:13], v[36:37], v[8:9]
	v_fma_f64 v[10:11], v[36:37], v[6:7], -v[10:11]
	v_fma_f64 v[12:13], v[38:39], v[6:7], v[12:13]
	v_add_f64 v[44:45], v[48:49], v[10:11]
	v_add_f64 v[46:47], v[12:13], v[50:51]
	ds_read_b128 v[10:13], v24 offset:1280
	s_waitcnt lgkmcnt(0)
	v_mul_f64 v[14:15], v[38:39], v[12:13]
	v_mul_f64 v[16:17], v[36:37], v[12:13]
	v_fma_f64 v[14:15], v[36:37], v[10:11], -v[14:15]
	v_fma_f64 v[16:17], v[38:39], v[10:11], v[16:17]
	;; [unrolled: 8-line block ×3, first 2 shown]
	v_mul_f64 v[8:9], v[14:15], v[12:13]
	v_add_f64 v[32:33], v[32:33], v[36:37]
	v_add_f64 v[34:35], v[6:7], v[34:35]
	v_mul_f64 v[6:7], v[16:17], v[12:13]
	v_fma_f64 v[8:9], v[16:17], v[10:11], v[8:9]
	v_fma_f64 v[6:7], v[14:15], v[10:11], -v[6:7]
	v_add_f64 v[20:21], v[8:9], v[20:21]
	v_add_f64 v[18:19], v[18:19], v[6:7]
	ds_read_b128 v[6:9], v24 offset:1536
	s_waitcnt lgkmcnt(0)
	v_mul_f64 v[10:11], v[42:43], v[8:9]
	v_mul_f64 v[12:13], v[40:41], v[8:9]
	v_fma_f64 v[10:11], v[40:41], v[6:7], -v[10:11]
	v_fma_f64 v[12:13], v[42:43], v[6:7], v[12:13]
	v_add_f64 v[36:37], v[44:45], v[10:11]
	v_add_f64 v[38:39], v[12:13], v[46:47]
	ds_read_b128 v[10:13], v24 offset:1792
	s_waitcnt lgkmcnt(0)
	v_mul_f64 v[14:15], v[42:43], v[12:13]
	v_mul_f64 v[16:17], v[40:41], v[12:13]
	v_fma_f64 v[14:15], v[40:41], v[10:11], -v[14:15]
	v_fma_f64 v[16:17], v[42:43], v[10:11], v[16:17]
	;; [unrolled: 8-line block ×3, first 2 shown]
	v_mul_f64 v[8:9], v[14:15], v[12:13]
	v_add_f64 v[32:33], v[32:33], v[40:41]
	v_add_f64 v[34:35], v[6:7], v[34:35]
	v_mul_f64 v[6:7], v[16:17], v[12:13]
	v_fma_f64 v[8:9], v[16:17], v[10:11], v[8:9]
	v_fma_f64 v[6:7], v[14:15], v[10:11], -v[6:7]
	v_add_f64 v[20:21], v[8:9], v[20:21]
	v_add_f64 v[18:19], v[18:19], v[6:7]
	ds_read_b128 v[6:9], v25 offset:64
	ds_read_b128 v[10:13], v24 offset:2048
	s_waitcnt lgkmcnt(0)
	v_mul_f64 v[14:15], v[8:9], v[12:13]
	v_mul_f64 v[16:17], v[6:7], v[12:13]
	v_fma_f64 v[14:15], v[6:7], v[10:11], -v[14:15]
	v_fma_f64 v[16:17], v[8:9], v[10:11], v[16:17]
	v_add_f64 v[36:37], v[36:37], v[14:15]
	v_add_f64 v[38:39], v[16:17], v[38:39]
	ds_read_b128 v[14:17], v24 offset:2304
	s_waitcnt lgkmcnt(0)
	v_mul_f64 v[40:41], v[8:9], v[16:17]
	v_fma_f64 v[40:41], v[6:7], v[14:15], -v[40:41]
	v_mul_f64 v[6:7], v[6:7], v[16:17]
	v_add_f64 v[30:31], v[30:31], v[40:41]
	v_fma_f64 v[6:7], v[8:9], v[14:15], v[6:7]
	v_add_f64 v[28:29], v[6:7], v[28:29]
	ds_read_b128 v[6:9], v25 offset:2112
	s_waitcnt lgkmcnt(0)
	v_mul_f64 v[40:41], v[8:9], v[12:13]
	v_mul_f64 v[12:13], v[6:7], v[12:13]
	v_fma_f64 v[40:41], v[6:7], v[10:11], -v[40:41]
	v_fma_f64 v[10:11], v[8:9], v[10:11], v[12:13]
	v_add_f64 v[32:33], v[32:33], v[40:41]
	v_add_f64 v[34:35], v[10:11], v[34:35]
	v_mul_f64 v[10:11], v[8:9], v[16:17]
	v_fma_f64 v[10:11], v[6:7], v[14:15], -v[10:11]
	v_mul_f64 v[6:7], v[6:7], v[16:17]
	v_add_f64 v[18:19], v[18:19], v[10:11]
	v_fma_f64 v[6:7], v[8:9], v[14:15], v[6:7]
	v_add_f64 v[20:21], v[6:7], v[20:21]
	ds_read_b128 v[6:9], v25 offset:80
	ds_read_b128 v[10:13], v24 offset:2560
	s_waitcnt lgkmcnt(0)
	v_mul_f64 v[14:15], v[8:9], v[12:13]
	v_mul_f64 v[16:17], v[6:7], v[12:13]
	v_fma_f64 v[14:15], v[6:7], v[10:11], -v[14:15]
	v_fma_f64 v[16:17], v[8:9], v[10:11], v[16:17]
	v_add_f64 v[36:37], v[36:37], v[14:15]
	v_add_f64 v[38:39], v[16:17], v[38:39]
	ds_read_b128 v[14:17], v24 offset:2816
	s_waitcnt lgkmcnt(0)
	v_mul_f64 v[40:41], v[8:9], v[16:17]
	v_fma_f64 v[40:41], v[6:7], v[14:15], -v[40:41]
	v_mul_f64 v[6:7], v[6:7], v[16:17]
	v_add_f64 v[30:31], v[30:31], v[40:41]
	v_fma_f64 v[6:7], v[8:9], v[14:15], v[6:7]
	v_add_f64 v[28:29], v[6:7], v[28:29]
	ds_read_b128 v[6:9], v25 offset:2128
	s_waitcnt lgkmcnt(0)
	v_mul_f64 v[40:41], v[8:9], v[12:13]
	v_mul_f64 v[12:13], v[6:7], v[12:13]
	v_fma_f64 v[40:41], v[6:7], v[10:11], -v[40:41]
	v_fma_f64 v[10:11], v[8:9], v[10:11], v[12:13]
	v_add_f64 v[32:33], v[32:33], v[40:41]
	v_add_f64 v[34:35], v[10:11], v[34:35]
	v_mul_f64 v[10:11], v[8:9], v[16:17]
	v_fma_f64 v[10:11], v[6:7], v[14:15], -v[10:11]
	v_mul_f64 v[6:7], v[6:7], v[16:17]
	v_add_f64 v[18:19], v[18:19], v[10:11]
	v_fma_f64 v[6:7], v[8:9], v[14:15], v[6:7]
	;; [unrolled: 31-line block ×3, first 2 shown]
	v_add_f64 v[46:47], v[6:7], v[20:21]
	ds_read_b128 v[6:9], v25 offset:112
	ds_read_b128 v[14:17], v24 offset:3584
	;; [unrolled: 1-line block ×3, first 2 shown]
	s_waitcnt lgkmcnt(1)
	v_mul_f64 v[10:11], v[8:9], v[16:17]
	v_mul_f64 v[12:13], v[6:7], v[16:17]
	v_fma_f64 v[10:11], v[6:7], v[14:15], -v[10:11]
	v_fma_f64 v[12:13], v[8:9], v[14:15], v[12:13]
	v_add_f64 v[18:19], v[36:37], v[10:11]
	s_waitcnt lgkmcnt(0)
	v_mul_f64 v[10:11], v[8:9], v[30:31]
	v_add_f64 v[20:21], v[12:13], v[38:39]
	v_fma_f64 v[10:11], v[6:7], v[28:29], -v[10:11]
	v_mul_f64 v[6:7], v[6:7], v[30:31]
	v_add_f64 v[10:11], v[40:41], v[10:11]
	v_fma_f64 v[6:7], v[8:9], v[28:29], v[6:7]
	v_add_f64 v[12:13], v[6:7], v[42:43]
	ds_read_b128 v[6:9], v25 offset:2160
	s_waitcnt lgkmcnt(0)
	s_barrier
	v_mul_f64 v[36:37], v[8:9], v[16:17]
	v_mul_f64 v[16:17], v[6:7], v[16:17]
	v_fma_f64 v[36:37], v[6:7], v[14:15], -v[36:37]
	v_fma_f64 v[16:17], v[8:9], v[14:15], v[16:17]
	v_add_f64 v[14:15], v[32:33], v[36:37]
	v_mul_f64 v[32:33], v[8:9], v[30:31]
	v_add_f64 v[16:17], v[16:17], v[34:35]
	v_fma_f64 v[32:33], v[6:7], v[28:29], -v[32:33]
	v_mul_f64 v[6:7], v[6:7], v[30:31]
	v_fma_f64 v[8:9], v[8:9], v[28:29], v[6:7]
	v_add_f64 v[6:7], v[44:45], v[32:33]
	v_mov_b32_e32 v29, s7
	v_mov_b32_e32 v28, s6
	v_cmp_le_u64_e32 vcc, s[12:13], v[28:29]
	v_add_f64 v[8:9], v[8:9], v[46:47]
	s_cbranch_vccz .LBB1192_2
	s_branch .LBB1192_4
.LBB1192_3:
	v_mov_b32_e32 v18, 0
	v_mov_b32_e32 v20, 0
	;; [unrolled: 1-line block ×16, first 2 shown]
.LBB1192_4:
	v_add_u32_e32 v4, s10, v1
	v_ashrrev_i32_e32 v1, 31, v4
	v_mul_lo_u32 v3, s28, v1
	v_mul_lo_u32 v5, s29, v4
	v_mad_u64_u32 v[1:2], s[2:3], s28, v4, 0
	s_mul_i32 s0, s31, s8
	s_mul_hi_u32 s1, s30, s8
	s_add_i32 s1, s1, s0
	s_mul_i32 s0, s30, s8
	s_load_dword s4, s[4:5], 0x0
	s_lshl_b64 s[0:1], s[0:1], 4
	v_add3_u32 v2, v2, v3, v5
	s_add_u32 s5, s42, s0
	v_lshlrev_b64 v[1:2], 4, v[1:2]
	s_addc_u32 s6, s43, s1
	v_mov_b32_e32 v3, s6
	v_add_co_u32_e64 v5, s[0:1], s5, v1
	v_add_u32_e32 v0, s9, v0
	v_addc_co_u32_e64 v22, s[0:1], v3, v2, s[0:1]
	s_waitcnt lgkmcnt(0)
	v_cmp_gt_i32_e32 vcc, s4, v4
	v_cmp_le_i32_e64 s[0:1], v0, v4
	s_and_b64 s[0:1], vcc, s[0:1]
	s_and_saveexec_b64 s[2:3], s[0:1]
	s_cbranch_execz .LBB1192_6
; %bb.5:
	v_ashrrev_i32_e32 v1, 31, v0
	v_lshlrev_b64 v[1:2], 4, v[0:1]
	v_mul_f64 v[27:28], s[16:17], v[20:21]
	v_add_co_u32_e64 v1, s[0:1], v5, v1
	v_addc_co_u32_e64 v2, s[0:1], v22, v2, s[0:1]
	global_load_dwordx4 v[23:26], v[1:2], off
	v_mul_f64 v[20:21], s[14:15], v[20:21]
	v_fma_f64 v[27:28], s[14:15], v[18:19], -v[27:28]
	v_fma_f64 v[20:21], s[16:17], v[18:19], v[20:21]
	s_waitcnt vmcnt(0)
	v_mul_f64 v[29:30], s[40:41], v[25:26]
	v_mul_f64 v[25:26], s[38:39], v[25:26]
	v_fma_f64 v[18:19], s[38:39], v[23:24], -v[29:30]
	v_fma_f64 v[23:24], s[40:41], v[23:24], v[25:26]
	v_add_f64 v[18:19], v[27:28], v[18:19]
	v_add_f64 v[20:21], v[20:21], v[23:24]
	global_store_dwordx4 v[1:2], v[18:21], off
.LBB1192_6:
	s_or_b64 exec, exec, s[2:3]
	v_add_u32_e32 v2, 16, v0
	v_cmp_le_i32_e64 s[0:1], v2, v4
	s_and_b64 s[2:3], vcc, s[0:1]
	s_and_saveexec_b64 s[0:1], s[2:3]
	s_cbranch_execz .LBB1192_8
; %bb.7:
	v_ashrrev_i32_e32 v3, 31, v2
	v_lshlrev_b64 v[18:19], 4, v[2:3]
	v_mul_f64 v[25:26], s[16:17], v[12:13]
	v_add_co_u32_e32 v23, vcc, v5, v18
	v_addc_co_u32_e32 v24, vcc, v22, v19, vcc
	global_load_dwordx4 v[18:21], v[23:24], off
	v_mul_f64 v[12:13], s[14:15], v[12:13]
	v_fma_f64 v[25:26], s[14:15], v[10:11], -v[25:26]
	v_fma_f64 v[12:13], s[16:17], v[10:11], v[12:13]
	s_waitcnt vmcnt(0)
	v_mul_f64 v[27:28], s[40:41], v[20:21]
	v_mul_f64 v[20:21], s[38:39], v[20:21]
	v_fma_f64 v[10:11], s[38:39], v[18:19], -v[27:28]
	v_fma_f64 v[18:19], s[40:41], v[18:19], v[20:21]
	v_add_f64 v[10:11], v[25:26], v[10:11]
	v_add_f64 v[12:13], v[12:13], v[18:19]
	global_store_dwordx4 v[23:24], v[10:13], off
.LBB1192_8:
	s_or_b64 exec, exec, s[0:1]
	v_add_u32_e32 v3, 16, v4
	v_ashrrev_i32_e32 v1, 31, v3
	v_mul_lo_u32 v1, s28, v1
	v_mul_lo_u32 v10, s29, v3
	v_mad_u64_u32 v[4:5], s[0:1], s28, v3, 0
	v_cmp_gt_i32_e32 vcc, s4, v3
	v_add3_u32 v5, v5, v1, v10
	v_lshlrev_b64 v[4:5], 4, v[4:5]
	v_mov_b32_e32 v1, s6
	v_add_co_u32_e64 v4, s[0:1], s5, v4
	v_addc_co_u32_e64 v5, s[0:1], v1, v5, s[0:1]
	v_cmp_le_i32_e64 s[0:1], v0, v3
	s_and_b64 s[0:1], vcc, s[0:1]
	s_and_saveexec_b64 s[2:3], s[0:1]
	s_cbranch_execz .LBB1192_10
; %bb.9:
	v_ashrrev_i32_e32 v1, 31, v0
	v_lshlrev_b64 v[0:1], 4, v[0:1]
	v_mul_f64 v[18:19], s[16:17], v[16:17]
	v_add_co_u32_e64 v0, s[0:1], v4, v0
	v_addc_co_u32_e64 v1, s[0:1], v5, v1, s[0:1]
	global_load_dwordx4 v[10:13], v[0:1], off
	v_mul_f64 v[16:17], s[14:15], v[16:17]
	v_fma_f64 v[18:19], s[14:15], v[14:15], -v[18:19]
	v_fma_f64 v[14:15], s[16:17], v[14:15], v[16:17]
	s_waitcnt vmcnt(0)
	v_mul_f64 v[20:21], s[40:41], v[12:13]
	v_mul_f64 v[12:13], s[38:39], v[12:13]
	v_fma_f64 v[16:17], s[38:39], v[10:11], -v[20:21]
	v_fma_f64 v[12:13], s[40:41], v[10:11], v[12:13]
	v_add_f64 v[10:11], v[18:19], v[16:17]
	v_add_f64 v[12:13], v[14:15], v[12:13]
	global_store_dwordx4 v[0:1], v[10:13], off
.LBB1192_10:
	s_or_b64 exec, exec, s[2:3]
	v_cmp_le_i32_e64 s[0:1], v2, v3
	s_and_b64 s[0:1], vcc, s[0:1]
	s_and_saveexec_b64 s[2:3], s[0:1]
	s_cbranch_execz .LBB1192_12
; %bb.11:
	v_ashrrev_i32_e32 v3, 31, v2
	v_lshlrev_b64 v[0:1], 4, v[2:3]
	v_mul_f64 v[10:11], s[16:17], v[8:9]
	v_add_co_u32_e32 v4, vcc, v4, v0
	v_addc_co_u32_e32 v5, vcc, v5, v1, vcc
	global_load_dwordx4 v[0:3], v[4:5], off
	v_mul_f64 v[8:9], s[14:15], v[8:9]
	v_fma_f64 v[10:11], s[14:15], v[6:7], -v[10:11]
	v_fma_f64 v[6:7], s[16:17], v[6:7], v[8:9]
	s_waitcnt vmcnt(0)
	v_mul_f64 v[12:13], s[40:41], v[2:3]
	v_mul_f64 v[2:3], s[38:39], v[2:3]
	v_fma_f64 v[8:9], s[38:39], v[0:1], -v[12:13]
	v_fma_f64 v[2:3], s[40:41], v[0:1], v[2:3]
	v_add_f64 v[0:1], v[10:11], v[8:9]
	v_add_f64 v[2:3], v[6:7], v[2:3]
	global_store_dwordx4 v[4:5], v[0:3], off
.LBB1192_12:
	s_endpgm
	.section	.rodata,"a",@progbits
	.p2align	6, 0x0
	.amdhsa_kernel _ZL37rocblas_syrkx_herkx_restricted_kernelIl19rocblas_complex_numIdELi16ELi32ELi8ELb0ELb0ELc78ELc85EKS1_S1_EviT_T0_PT8_S3_lS6_S3_lS4_PT9_S3_li
		.amdhsa_group_segment_fixed_size 8192
		.amdhsa_private_segment_fixed_size 0
		.amdhsa_kernarg_size 124
		.amdhsa_user_sgpr_count 6
		.amdhsa_user_sgpr_private_segment_buffer 1
		.amdhsa_user_sgpr_dispatch_ptr 0
		.amdhsa_user_sgpr_queue_ptr 0
		.amdhsa_user_sgpr_kernarg_segment_ptr 1
		.amdhsa_user_sgpr_dispatch_id 0
		.amdhsa_user_sgpr_flat_scratch_init 0
		.amdhsa_user_sgpr_private_segment_size 0
		.amdhsa_uses_dynamic_stack 0
		.amdhsa_system_sgpr_private_segment_wavefront_offset 0
		.amdhsa_system_sgpr_workgroup_id_x 1
		.amdhsa_system_sgpr_workgroup_id_y 1
		.amdhsa_system_sgpr_workgroup_id_z 1
		.amdhsa_system_sgpr_workgroup_info 0
		.amdhsa_system_vgpr_workitem_id 1
		.amdhsa_next_free_vgpr 54
		.amdhsa_next_free_sgpr 61
		.amdhsa_reserve_vcc 1
		.amdhsa_reserve_flat_scratch 0
		.amdhsa_float_round_mode_32 0
		.amdhsa_float_round_mode_16_64 0
		.amdhsa_float_denorm_mode_32 3
		.amdhsa_float_denorm_mode_16_64 3
		.amdhsa_dx10_clamp 1
		.amdhsa_ieee_mode 1
		.amdhsa_fp16_overflow 0
		.amdhsa_exception_fp_ieee_invalid_op 0
		.amdhsa_exception_fp_denorm_src 0
		.amdhsa_exception_fp_ieee_div_zero 0
		.amdhsa_exception_fp_ieee_overflow 0
		.amdhsa_exception_fp_ieee_underflow 0
		.amdhsa_exception_fp_ieee_inexact 0
		.amdhsa_exception_int_div_zero 0
	.end_amdhsa_kernel
	.section	.text._ZL37rocblas_syrkx_herkx_restricted_kernelIl19rocblas_complex_numIdELi16ELi32ELi8ELb0ELb0ELc78ELc85EKS1_S1_EviT_T0_PT8_S3_lS6_S3_lS4_PT9_S3_li,"axG",@progbits,_ZL37rocblas_syrkx_herkx_restricted_kernelIl19rocblas_complex_numIdELi16ELi32ELi8ELb0ELb0ELc78ELc85EKS1_S1_EviT_T0_PT8_S3_lS6_S3_lS4_PT9_S3_li,comdat
.Lfunc_end1192:
	.size	_ZL37rocblas_syrkx_herkx_restricted_kernelIl19rocblas_complex_numIdELi16ELi32ELi8ELb0ELb0ELc78ELc85EKS1_S1_EviT_T0_PT8_S3_lS6_S3_lS4_PT9_S3_li, .Lfunc_end1192-_ZL37rocblas_syrkx_herkx_restricted_kernelIl19rocblas_complex_numIdELi16ELi32ELi8ELb0ELb0ELc78ELc85EKS1_S1_EviT_T0_PT8_S3_lS6_S3_lS4_PT9_S3_li
                                        ; -- End function
	.set _ZL37rocblas_syrkx_herkx_restricted_kernelIl19rocblas_complex_numIdELi16ELi32ELi8ELb0ELb0ELc78ELc85EKS1_S1_EviT_T0_PT8_S3_lS6_S3_lS4_PT9_S3_li.num_vgpr, 54
	.set _ZL37rocblas_syrkx_herkx_restricted_kernelIl19rocblas_complex_numIdELi16ELi32ELi8ELb0ELb0ELc78ELc85EKS1_S1_EviT_T0_PT8_S3_lS6_S3_lS4_PT9_S3_li.num_agpr, 0
	.set _ZL37rocblas_syrkx_herkx_restricted_kernelIl19rocblas_complex_numIdELi16ELi32ELi8ELb0ELb0ELc78ELc85EKS1_S1_EviT_T0_PT8_S3_lS6_S3_lS4_PT9_S3_li.numbered_sgpr, 44
	.set _ZL37rocblas_syrkx_herkx_restricted_kernelIl19rocblas_complex_numIdELi16ELi32ELi8ELb0ELb0ELc78ELc85EKS1_S1_EviT_T0_PT8_S3_lS6_S3_lS4_PT9_S3_li.num_named_barrier, 0
	.set _ZL37rocblas_syrkx_herkx_restricted_kernelIl19rocblas_complex_numIdELi16ELi32ELi8ELb0ELb0ELc78ELc85EKS1_S1_EviT_T0_PT8_S3_lS6_S3_lS4_PT9_S3_li.private_seg_size, 0
	.set _ZL37rocblas_syrkx_herkx_restricted_kernelIl19rocblas_complex_numIdELi16ELi32ELi8ELb0ELb0ELc78ELc85EKS1_S1_EviT_T0_PT8_S3_lS6_S3_lS4_PT9_S3_li.uses_vcc, 1
	.set _ZL37rocblas_syrkx_herkx_restricted_kernelIl19rocblas_complex_numIdELi16ELi32ELi8ELb0ELb0ELc78ELc85EKS1_S1_EviT_T0_PT8_S3_lS6_S3_lS4_PT9_S3_li.uses_flat_scratch, 0
	.set _ZL37rocblas_syrkx_herkx_restricted_kernelIl19rocblas_complex_numIdELi16ELi32ELi8ELb0ELb0ELc78ELc85EKS1_S1_EviT_T0_PT8_S3_lS6_S3_lS4_PT9_S3_li.has_dyn_sized_stack, 0
	.set _ZL37rocblas_syrkx_herkx_restricted_kernelIl19rocblas_complex_numIdELi16ELi32ELi8ELb0ELb0ELc78ELc85EKS1_S1_EviT_T0_PT8_S3_lS6_S3_lS4_PT9_S3_li.has_recursion, 0
	.set _ZL37rocblas_syrkx_herkx_restricted_kernelIl19rocblas_complex_numIdELi16ELi32ELi8ELb0ELb0ELc78ELc85EKS1_S1_EviT_T0_PT8_S3_lS6_S3_lS4_PT9_S3_li.has_indirect_call, 0
	.section	.AMDGPU.csdata,"",@progbits
; Kernel info:
; codeLenInByte = 3216
; TotalNumSgprs: 48
; NumVgprs: 54
; ScratchSize: 0
; MemoryBound: 0
; FloatMode: 240
; IeeeMode: 1
; LDSByteSize: 8192 bytes/workgroup (compile time only)
; SGPRBlocks: 8
; VGPRBlocks: 13
; NumSGPRsForWavesPerEU: 65
; NumVGPRsForWavesPerEU: 54
; Occupancy: 4
; WaveLimiterHint : 0
; COMPUTE_PGM_RSRC2:SCRATCH_EN: 0
; COMPUTE_PGM_RSRC2:USER_SGPR: 6
; COMPUTE_PGM_RSRC2:TRAP_HANDLER: 0
; COMPUTE_PGM_RSRC2:TGID_X_EN: 1
; COMPUTE_PGM_RSRC2:TGID_Y_EN: 1
; COMPUTE_PGM_RSRC2:TGID_Z_EN: 1
; COMPUTE_PGM_RSRC2:TIDIG_COMP_CNT: 1
	.section	.text._ZL41rocblas_syrkx_herkx_small_restrict_kernelIl19rocblas_complex_numIdELi16ELb1ELb0ELc84ELc76EKS1_S1_EviT_T0_PT6_S3_lS6_S3_lS4_PT7_S3_li,"axG",@progbits,_ZL41rocblas_syrkx_herkx_small_restrict_kernelIl19rocblas_complex_numIdELi16ELb1ELb0ELc84ELc76EKS1_S1_EviT_T0_PT6_S3_lS6_S3_lS4_PT7_S3_li,comdat
	.globl	_ZL41rocblas_syrkx_herkx_small_restrict_kernelIl19rocblas_complex_numIdELi16ELb1ELb0ELc84ELc76EKS1_S1_EviT_T0_PT6_S3_lS6_S3_lS4_PT7_S3_li ; -- Begin function _ZL41rocblas_syrkx_herkx_small_restrict_kernelIl19rocblas_complex_numIdELi16ELb1ELb0ELc84ELc76EKS1_S1_EviT_T0_PT6_S3_lS6_S3_lS4_PT7_S3_li
	.p2align	8
	.type	_ZL41rocblas_syrkx_herkx_small_restrict_kernelIl19rocblas_complex_numIdELi16ELb1ELb0ELc84ELc76EKS1_S1_EviT_T0_PT6_S3_lS6_S3_lS4_PT7_S3_li,@function
_ZL41rocblas_syrkx_herkx_small_restrict_kernelIl19rocblas_complex_numIdELi16ELb1ELb0ELc84ELc76EKS1_S1_EviT_T0_PT6_S3_lS6_S3_lS4_PT7_S3_li: ; @_ZL41rocblas_syrkx_herkx_small_restrict_kernelIl19rocblas_complex_numIdELi16ELb1ELb0ELc84ELc76EKS1_S1_EviT_T0_PT6_S3_lS6_S3_lS4_PT7_S3_li
; %bb.0:
	s_load_dwordx16 s[12:27], s[4:5], 0x8
	v_lshl_add_u32 v2, s6, 4, v0
	v_lshl_add_u32 v12, s7, 4, v1
	v_ashrrev_i32_e32 v3, 31, v2
	v_ashrrev_i32_e32 v13, 31, v12
	s_waitcnt lgkmcnt(0)
	v_cmp_lt_i64_e64 s[0:1], s[12:13], 1
	s_and_b64 vcc, exec, s[0:1]
	s_cbranch_vccnz .LBB1193_6
; %bb.1:
	s_load_dwordx2 s[0:1], s[4:5], 0x48
	v_lshlrev_b32_e32 v14, 4, v0
	v_mul_lo_u32 v0, s27, v12
	v_mul_lo_u32 v7, s26, v13
	v_mad_u64_u32 v[4:5], s[2:3], s26, v12, 0
	s_waitcnt lgkmcnt(0)
	s_mul_i32 s1, s1, s8
	s_mul_hi_u32 s2, s0, s8
	v_add3_u32 v5, v5, v7, v0
	v_lshlrev_b64 v[4:5], 4, v[4:5]
	s_add_i32 s1, s2, s1
	s_mul_i32 s0, s0, s8
	v_lshlrev_b32_e32 v6, 8, v1
	s_lshl_b64 s[0:1], s[0:1], 4
	v_add_u32_e32 v15, v14, v6
	v_add_u32_e32 v16, 0x1000, v6
	v_mov_b32_e32 v0, s1
	v_add_co_u32_e32 v4, vcc, s0, v4
	v_mul_lo_u32 v8, s21, v2
	v_mul_lo_u32 v9, s20, v3
	v_mad_u64_u32 v[6:7], s[0:1], s20, v2, 0
	v_addc_co_u32_e32 v0, vcc, v5, v0, vcc
	v_add_co_u32_e32 v4, vcc, v4, v14
	v_addc_co_u32_e32 v0, vcc, 0, v0, vcc
	v_add3_u32 v7, v7, v9, v8
	s_mul_i32 s0, s23, s8
	s_mul_hi_u32 s1, s22, s8
	v_mov_b32_e32 v5, s25
	v_add_co_u32_e32 v4, vcc, s24, v4
	v_lshlrev_b64 v[6:7], 4, v[6:7]
	s_add_i32 s1, s1, s0
	s_mul_i32 s0, s22, s8
	v_addc_co_u32_e32 v5, vcc, v5, v0, vcc
	s_lshl_b64 s[0:1], s[0:1], 4
	v_mov_b32_e32 v0, s1
	v_add_co_u32_e32 v6, vcc, s0, v6
	v_addc_co_u32_e32 v0, vcc, v7, v0, vcc
	v_lshlrev_b32_e32 v1, 4, v1
	v_add_co_u32_e32 v1, vcc, v6, v1
	v_addc_co_u32_e32 v6, vcc, 0, v0, vcc
	v_mov_b32_e32 v7, s19
	v_add_co_u32_e32 v0, vcc, s18, v1
	v_addc_co_u32_e32 v1, vcc, v7, v6, vcc
	v_mov_b32_e32 v10, 0
	v_mov_b32_e32 v8, 0
	;; [unrolled: 1-line block ×3, first 2 shown]
	v_add_u32_e32 v17, v16, v14
	v_mov_b32_e32 v11, 0
	s_mov_b64 s[0:1], 0
	v_mov_b32_e32 v9, 0
	v_mov_b32_e32 v7, s13
.LBB1193_2:                             ; =>This Inner Loop Header: Depth=1
	global_load_dwordx4 v[18:21], v[0:1], off
	s_add_u32 s0, s0, 16
	s_addc_u32 s1, s1, 0
	s_waitcnt vmcnt(0)
	ds_write2_b64 v15, v[18:19], v[20:21] offset1:1
	global_load_dwordx4 v[18:21], v[4:5], off
	v_add_co_u32_e32 v4, vcc, 0x100, v4
	v_addc_co_u32_e32 v5, vcc, 0, v5, vcc
	v_add_co_u32_e32 v0, vcc, 0x100, v0
	v_addc_co_u32_e32 v1, vcc, 0, v1, vcc
	v_cmp_lt_i64_e32 vcc, s[0:1], v[6:7]
	s_and_b64 vcc, exec, vcc
	s_waitcnt vmcnt(0)
	ds_write2_b64 v17, v[18:19], v[20:21] offset1:1
	s_waitcnt lgkmcnt(0)
	s_barrier
	ds_read_b128 v[18:21], v16
	ds_read_b128 v[22:25], v16 offset:16
	ds_read_b128 v[26:29], v16 offset:32
	;; [unrolled: 1-line block ×3, first 2 shown]
	ds_read_b128 v[34:37], v14
	s_waitcnt lgkmcnt(0)
	v_mul_f64 v[38:39], v[20:21], v[36:37]
	v_fma_f64 v[38:39], v[18:19], v[34:35], -v[38:39]
	v_mul_f64 v[18:19], v[18:19], v[36:37]
	v_fma_f64 v[18:19], v[20:21], v[34:35], v[18:19]
	v_add_f64 v[20:21], v[8:9], v[38:39]
	v_add_f64 v[18:19], v[10:11], v[18:19]
	ds_read_b128 v[8:11], v14 offset:256
	s_waitcnt lgkmcnt(0)
	v_mul_f64 v[34:35], v[24:25], v[10:11]
	v_mul_f64 v[10:11], v[22:23], v[10:11]
	v_fma_f64 v[34:35], v[22:23], v[8:9], -v[34:35]
	v_fma_f64 v[8:9], v[24:25], v[8:9], v[10:11]
	v_add_f64 v[20:21], v[20:21], v[34:35]
	v_add_f64 v[18:19], v[18:19], v[8:9]
	ds_read_b128 v[8:11], v14 offset:512
	s_waitcnt lgkmcnt(0)
	v_mul_f64 v[22:23], v[28:29], v[10:11]
	v_mul_f64 v[10:11], v[26:27], v[10:11]
	v_fma_f64 v[22:23], v[26:27], v[8:9], -v[22:23]
	;; [unrolled: 8-line block ×3, first 2 shown]
	v_fma_f64 v[8:9], v[32:33], v[8:9], v[10:11]
	v_add_f64 v[22:23], v[20:21], v[22:23]
	v_add_f64 v[24:25], v[18:19], v[8:9]
	ds_read_b128 v[8:11], v16 offset:64
	ds_read_b128 v[18:21], v14 offset:1024
	s_waitcnt lgkmcnt(0)
	v_mul_f64 v[26:27], v[10:11], v[20:21]
	v_fma_f64 v[26:27], v[8:9], v[18:19], -v[26:27]
	v_mul_f64 v[8:9], v[8:9], v[20:21]
	v_add_f64 v[22:23], v[22:23], v[26:27]
	v_fma_f64 v[8:9], v[10:11], v[18:19], v[8:9]
	v_add_f64 v[24:25], v[24:25], v[8:9]
	ds_read_b128 v[8:11], v16 offset:80
	ds_read_b128 v[18:21], v14 offset:1280
	s_waitcnt lgkmcnt(0)
	v_mul_f64 v[26:27], v[10:11], v[20:21]
	v_fma_f64 v[26:27], v[8:9], v[18:19], -v[26:27]
	v_mul_f64 v[8:9], v[8:9], v[20:21]
	v_add_f64 v[22:23], v[22:23], v[26:27]
	v_fma_f64 v[8:9], v[10:11], v[18:19], v[8:9]
	v_add_f64 v[24:25], v[24:25], v[8:9]
	ds_read_b128 v[8:11], v16 offset:96
	ds_read_b128 v[18:21], v14 offset:1536
	s_waitcnt lgkmcnt(0)
	v_mul_f64 v[26:27], v[10:11], v[20:21]
	v_fma_f64 v[26:27], v[8:9], v[18:19], -v[26:27]
	v_mul_f64 v[8:9], v[8:9], v[20:21]
	v_add_f64 v[22:23], v[22:23], v[26:27]
	v_fma_f64 v[8:9], v[10:11], v[18:19], v[8:9]
	v_add_f64 v[24:25], v[24:25], v[8:9]
	ds_read_b128 v[8:11], v16 offset:112
	ds_read_b128 v[18:21], v14 offset:1792
	s_waitcnt lgkmcnt(0)
	v_mul_f64 v[26:27], v[10:11], v[20:21]
	v_fma_f64 v[26:27], v[8:9], v[18:19], -v[26:27]
	v_mul_f64 v[8:9], v[8:9], v[20:21]
	v_add_f64 v[22:23], v[22:23], v[26:27]
	v_fma_f64 v[8:9], v[10:11], v[18:19], v[8:9]
	v_add_f64 v[24:25], v[24:25], v[8:9]
	ds_read_b128 v[8:11], v16 offset:128
	ds_read_b128 v[18:21], v14 offset:2048
	s_waitcnt lgkmcnt(0)
	v_mul_f64 v[26:27], v[10:11], v[20:21]
	v_fma_f64 v[26:27], v[8:9], v[18:19], -v[26:27]
	v_mul_f64 v[8:9], v[8:9], v[20:21]
	v_add_f64 v[22:23], v[22:23], v[26:27]
	v_fma_f64 v[8:9], v[10:11], v[18:19], v[8:9]
	v_add_f64 v[24:25], v[24:25], v[8:9]
	ds_read_b128 v[8:11], v16 offset:144
	ds_read_b128 v[18:21], v14 offset:2304
	s_waitcnt lgkmcnt(0)
	v_mul_f64 v[26:27], v[10:11], v[20:21]
	v_fma_f64 v[26:27], v[8:9], v[18:19], -v[26:27]
	v_mul_f64 v[8:9], v[8:9], v[20:21]
	v_add_f64 v[22:23], v[22:23], v[26:27]
	v_fma_f64 v[8:9], v[10:11], v[18:19], v[8:9]
	v_add_f64 v[24:25], v[24:25], v[8:9]
	ds_read_b128 v[8:11], v16 offset:160
	ds_read_b128 v[18:21], v14 offset:2560
	s_waitcnt lgkmcnt(0)
	v_mul_f64 v[26:27], v[10:11], v[20:21]
	v_fma_f64 v[26:27], v[8:9], v[18:19], -v[26:27]
	v_mul_f64 v[8:9], v[8:9], v[20:21]
	v_add_f64 v[22:23], v[22:23], v[26:27]
	v_fma_f64 v[8:9], v[10:11], v[18:19], v[8:9]
	v_add_f64 v[24:25], v[24:25], v[8:9]
	ds_read_b128 v[8:11], v16 offset:176
	ds_read_b128 v[18:21], v14 offset:2816
	s_waitcnt lgkmcnt(0)
	v_mul_f64 v[26:27], v[10:11], v[20:21]
	v_fma_f64 v[26:27], v[8:9], v[18:19], -v[26:27]
	v_mul_f64 v[8:9], v[8:9], v[20:21]
	v_add_f64 v[22:23], v[22:23], v[26:27]
	v_fma_f64 v[8:9], v[10:11], v[18:19], v[8:9]
	v_add_f64 v[24:25], v[24:25], v[8:9]
	ds_read_b128 v[8:11], v16 offset:192
	ds_read_b128 v[18:21], v14 offset:3072
	s_waitcnt lgkmcnt(0)
	v_mul_f64 v[26:27], v[10:11], v[20:21]
	v_fma_f64 v[26:27], v[8:9], v[18:19], -v[26:27]
	v_mul_f64 v[8:9], v[8:9], v[20:21]
	v_add_f64 v[22:23], v[22:23], v[26:27]
	v_fma_f64 v[8:9], v[10:11], v[18:19], v[8:9]
	v_add_f64 v[24:25], v[24:25], v[8:9]
	ds_read_b128 v[8:11], v16 offset:208
	ds_read_b128 v[18:21], v14 offset:3328
	s_waitcnt lgkmcnt(0)
	v_mul_f64 v[26:27], v[10:11], v[20:21]
	v_fma_f64 v[26:27], v[8:9], v[18:19], -v[26:27]
	v_mul_f64 v[8:9], v[8:9], v[20:21]
	v_add_f64 v[22:23], v[22:23], v[26:27]
	v_fma_f64 v[8:9], v[10:11], v[18:19], v[8:9]
	v_add_f64 v[24:25], v[24:25], v[8:9]
	ds_read_b128 v[8:11], v16 offset:224
	ds_read_b128 v[18:21], v14 offset:3584
	s_waitcnt lgkmcnt(0)
	v_mul_f64 v[26:27], v[10:11], v[20:21]
	v_fma_f64 v[26:27], v[8:9], v[18:19], -v[26:27]
	v_mul_f64 v[8:9], v[8:9], v[20:21]
	v_add_f64 v[22:23], v[22:23], v[26:27]
	v_fma_f64 v[8:9], v[10:11], v[18:19], v[8:9]
	v_add_f64 v[24:25], v[24:25], v[8:9]
	ds_read_b128 v[8:11], v16 offset:240
	ds_read_b128 v[18:21], v14 offset:3840
	s_waitcnt lgkmcnt(0)
	s_barrier
	v_mul_f64 v[26:27], v[10:11], v[20:21]
	v_fma_f64 v[26:27], v[8:9], v[18:19], -v[26:27]
	v_mul_f64 v[8:9], v[8:9], v[20:21]
	v_fma_f64 v[10:11], v[10:11], v[18:19], v[8:9]
	v_add_f64 v[8:9], v[22:23], v[26:27]
	v_add_f64 v[10:11], v[24:25], v[10:11]
	s_cbranch_vccnz .LBB1193_2
; %bb.3:
	v_cmp_le_i32_e32 vcc, v12, v2
	s_and_saveexec_b64 s[0:1], vcc
	s_cbranch_execz .LBB1193_5
.LBB1193_4:
	s_load_dwordx2 s[6:7], s[4:5], 0x70
	s_load_dwordx4 s[0:3], s[4:5], 0x60
	v_mul_f64 v[0:1], s[16:17], v[10:11]
	v_mul_f64 v[6:7], s[14:15], v[10:11]
	s_waitcnt lgkmcnt(0)
	s_mul_i32 s5, s7, s8
	v_mul_lo_u32 v14, s3, v12
	v_mul_lo_u32 v13, s2, v13
	v_mad_u64_u32 v[10:11], s[2:3], s2, v12, 0
	s_mul_hi_u32 s7, s6, s8
	s_mul_i32 s4, s6, s8
	s_add_i32 s5, s7, s5
	s_lshl_b64 s[4:5], s[4:5], 4
	v_fma_f64 v[4:5], s[14:15], v[8:9], -v[0:1]
	v_fma_f64 v[6:7], s[16:17], v[8:9], v[6:7]
	v_add3_u32 v11, v11, v13, v14
	s_add_u32 s0, s0, s4
	v_lshlrev_b64 v[0:1], 4, v[10:11]
	s_addc_u32 s1, s1, s5
	v_mov_b32_e32 v8, s1
	v_add_co_u32_e32 v9, vcc, s0, v0
	v_addc_co_u32_e32 v8, vcc, v8, v1, vcc
	v_lshlrev_b64 v[0:1], 4, v[2:3]
	v_add_co_u32_e32 v0, vcc, v9, v0
	v_addc_co_u32_e32 v1, vcc, v8, v1, vcc
	global_store_dwordx4 v[0:1], v[4:7], off
.LBB1193_5:
	s_endpgm
.LBB1193_6:
	v_mov_b32_e32 v10, 0
	v_mov_b32_e32 v8, 0
	v_mov_b32_e32 v11, 0
	v_mov_b32_e32 v9, 0
	v_cmp_le_i32_e32 vcc, v12, v2
	s_and_saveexec_b64 s[0:1], vcc
	s_cbranch_execnz .LBB1193_4
	s_branch .LBB1193_5
	.section	.rodata,"a",@progbits
	.p2align	6, 0x0
	.amdhsa_kernel _ZL41rocblas_syrkx_herkx_small_restrict_kernelIl19rocblas_complex_numIdELi16ELb1ELb0ELc84ELc76EKS1_S1_EviT_T0_PT6_S3_lS6_S3_lS4_PT7_S3_li
		.amdhsa_group_segment_fixed_size 8192
		.amdhsa_private_segment_fixed_size 0
		.amdhsa_kernarg_size 124
		.amdhsa_user_sgpr_count 6
		.amdhsa_user_sgpr_private_segment_buffer 1
		.amdhsa_user_sgpr_dispatch_ptr 0
		.amdhsa_user_sgpr_queue_ptr 0
		.amdhsa_user_sgpr_kernarg_segment_ptr 1
		.amdhsa_user_sgpr_dispatch_id 0
		.amdhsa_user_sgpr_flat_scratch_init 0
		.amdhsa_user_sgpr_private_segment_size 0
		.amdhsa_uses_dynamic_stack 0
		.amdhsa_system_sgpr_private_segment_wavefront_offset 0
		.amdhsa_system_sgpr_workgroup_id_x 1
		.amdhsa_system_sgpr_workgroup_id_y 1
		.amdhsa_system_sgpr_workgroup_id_z 1
		.amdhsa_system_sgpr_workgroup_info 0
		.amdhsa_system_vgpr_workitem_id 1
		.amdhsa_next_free_vgpr 40
		.amdhsa_next_free_sgpr 61
		.amdhsa_reserve_vcc 1
		.amdhsa_reserve_flat_scratch 0
		.amdhsa_float_round_mode_32 0
		.amdhsa_float_round_mode_16_64 0
		.amdhsa_float_denorm_mode_32 3
		.amdhsa_float_denorm_mode_16_64 3
		.amdhsa_dx10_clamp 1
		.amdhsa_ieee_mode 1
		.amdhsa_fp16_overflow 0
		.amdhsa_exception_fp_ieee_invalid_op 0
		.amdhsa_exception_fp_denorm_src 0
		.amdhsa_exception_fp_ieee_div_zero 0
		.amdhsa_exception_fp_ieee_overflow 0
		.amdhsa_exception_fp_ieee_underflow 0
		.amdhsa_exception_fp_ieee_inexact 0
		.amdhsa_exception_int_div_zero 0
	.end_amdhsa_kernel
	.section	.text._ZL41rocblas_syrkx_herkx_small_restrict_kernelIl19rocblas_complex_numIdELi16ELb1ELb0ELc84ELc76EKS1_S1_EviT_T0_PT6_S3_lS6_S3_lS4_PT7_S3_li,"axG",@progbits,_ZL41rocblas_syrkx_herkx_small_restrict_kernelIl19rocblas_complex_numIdELi16ELb1ELb0ELc84ELc76EKS1_S1_EviT_T0_PT6_S3_lS6_S3_lS4_PT7_S3_li,comdat
.Lfunc_end1193:
	.size	_ZL41rocblas_syrkx_herkx_small_restrict_kernelIl19rocblas_complex_numIdELi16ELb1ELb0ELc84ELc76EKS1_S1_EviT_T0_PT6_S3_lS6_S3_lS4_PT7_S3_li, .Lfunc_end1193-_ZL41rocblas_syrkx_herkx_small_restrict_kernelIl19rocblas_complex_numIdELi16ELb1ELb0ELc84ELc76EKS1_S1_EviT_T0_PT6_S3_lS6_S3_lS4_PT7_S3_li
                                        ; -- End function
	.set _ZL41rocblas_syrkx_herkx_small_restrict_kernelIl19rocblas_complex_numIdELi16ELb1ELb0ELc84ELc76EKS1_S1_EviT_T0_PT6_S3_lS6_S3_lS4_PT7_S3_li.num_vgpr, 40
	.set _ZL41rocblas_syrkx_herkx_small_restrict_kernelIl19rocblas_complex_numIdELi16ELb1ELb0ELc84ELc76EKS1_S1_EviT_T0_PT6_S3_lS6_S3_lS4_PT7_S3_li.num_agpr, 0
	.set _ZL41rocblas_syrkx_herkx_small_restrict_kernelIl19rocblas_complex_numIdELi16ELb1ELb0ELc84ELc76EKS1_S1_EviT_T0_PT6_S3_lS6_S3_lS4_PT7_S3_li.numbered_sgpr, 28
	.set _ZL41rocblas_syrkx_herkx_small_restrict_kernelIl19rocblas_complex_numIdELi16ELb1ELb0ELc84ELc76EKS1_S1_EviT_T0_PT6_S3_lS6_S3_lS4_PT7_S3_li.num_named_barrier, 0
	.set _ZL41rocblas_syrkx_herkx_small_restrict_kernelIl19rocblas_complex_numIdELi16ELb1ELb0ELc84ELc76EKS1_S1_EviT_T0_PT6_S3_lS6_S3_lS4_PT7_S3_li.private_seg_size, 0
	.set _ZL41rocblas_syrkx_herkx_small_restrict_kernelIl19rocblas_complex_numIdELi16ELb1ELb0ELc84ELc76EKS1_S1_EviT_T0_PT6_S3_lS6_S3_lS4_PT7_S3_li.uses_vcc, 1
	.set _ZL41rocblas_syrkx_herkx_small_restrict_kernelIl19rocblas_complex_numIdELi16ELb1ELb0ELc84ELc76EKS1_S1_EviT_T0_PT6_S3_lS6_S3_lS4_PT7_S3_li.uses_flat_scratch, 0
	.set _ZL41rocblas_syrkx_herkx_small_restrict_kernelIl19rocblas_complex_numIdELi16ELb1ELb0ELc84ELc76EKS1_S1_EviT_T0_PT6_S3_lS6_S3_lS4_PT7_S3_li.has_dyn_sized_stack, 0
	.set _ZL41rocblas_syrkx_herkx_small_restrict_kernelIl19rocblas_complex_numIdELi16ELb1ELb0ELc84ELc76EKS1_S1_EviT_T0_PT6_S3_lS6_S3_lS4_PT7_S3_li.has_recursion, 0
	.set _ZL41rocblas_syrkx_herkx_small_restrict_kernelIl19rocblas_complex_numIdELi16ELb1ELb0ELc84ELc76EKS1_S1_EviT_T0_PT6_S3_lS6_S3_lS4_PT7_S3_li.has_indirect_call, 0
	.section	.AMDGPU.csdata,"",@progbits
; Kernel info:
; codeLenInByte = 1692
; TotalNumSgprs: 32
; NumVgprs: 40
; ScratchSize: 0
; MemoryBound: 0
; FloatMode: 240
; IeeeMode: 1
; LDSByteSize: 8192 bytes/workgroup (compile time only)
; SGPRBlocks: 8
; VGPRBlocks: 9
; NumSGPRsForWavesPerEU: 65
; NumVGPRsForWavesPerEU: 40
; Occupancy: 6
; WaveLimiterHint : 0
; COMPUTE_PGM_RSRC2:SCRATCH_EN: 0
; COMPUTE_PGM_RSRC2:USER_SGPR: 6
; COMPUTE_PGM_RSRC2:TRAP_HANDLER: 0
; COMPUTE_PGM_RSRC2:TGID_X_EN: 1
; COMPUTE_PGM_RSRC2:TGID_Y_EN: 1
; COMPUTE_PGM_RSRC2:TGID_Z_EN: 1
; COMPUTE_PGM_RSRC2:TIDIG_COMP_CNT: 1
	.section	.text._ZL41rocblas_syrkx_herkx_small_restrict_kernelIl19rocblas_complex_numIdELi16ELb1ELb0ELc67ELc76EKS1_S1_EviT_T0_PT6_S3_lS6_S3_lS4_PT7_S3_li,"axG",@progbits,_ZL41rocblas_syrkx_herkx_small_restrict_kernelIl19rocblas_complex_numIdELi16ELb1ELb0ELc67ELc76EKS1_S1_EviT_T0_PT6_S3_lS6_S3_lS4_PT7_S3_li,comdat
	.globl	_ZL41rocblas_syrkx_herkx_small_restrict_kernelIl19rocblas_complex_numIdELi16ELb1ELb0ELc67ELc76EKS1_S1_EviT_T0_PT6_S3_lS6_S3_lS4_PT7_S3_li ; -- Begin function _ZL41rocblas_syrkx_herkx_small_restrict_kernelIl19rocblas_complex_numIdELi16ELb1ELb0ELc67ELc76EKS1_S1_EviT_T0_PT6_S3_lS6_S3_lS4_PT7_S3_li
	.p2align	8
	.type	_ZL41rocblas_syrkx_herkx_small_restrict_kernelIl19rocblas_complex_numIdELi16ELb1ELb0ELc67ELc76EKS1_S1_EviT_T0_PT6_S3_lS6_S3_lS4_PT7_S3_li,@function
_ZL41rocblas_syrkx_herkx_small_restrict_kernelIl19rocblas_complex_numIdELi16ELb1ELb0ELc67ELc76EKS1_S1_EviT_T0_PT6_S3_lS6_S3_lS4_PT7_S3_li: ; @_ZL41rocblas_syrkx_herkx_small_restrict_kernelIl19rocblas_complex_numIdELi16ELb1ELb0ELc67ELc76EKS1_S1_EviT_T0_PT6_S3_lS6_S3_lS4_PT7_S3_li
; %bb.0:
	s_load_dwordx16 s[12:27], s[4:5], 0x8
	v_lshl_add_u32 v2, s6, 4, v0
	v_lshl_add_u32 v12, s7, 4, v1
	v_ashrrev_i32_e32 v3, 31, v2
	v_ashrrev_i32_e32 v13, 31, v12
	s_waitcnt lgkmcnt(0)
	v_cmp_lt_i64_e64 s[0:1], s[12:13], 1
	s_and_b64 vcc, exec, s[0:1]
	s_cbranch_vccnz .LBB1194_6
; %bb.1:
	s_load_dwordx2 s[0:1], s[4:5], 0x48
	v_lshlrev_b32_e32 v14, 4, v0
	v_mul_lo_u32 v0, s27, v12
	v_mul_lo_u32 v7, s26, v13
	v_mad_u64_u32 v[4:5], s[2:3], s26, v12, 0
	s_waitcnt lgkmcnt(0)
	s_mul_i32 s1, s1, s8
	s_mul_hi_u32 s2, s0, s8
	v_add3_u32 v5, v5, v7, v0
	v_lshlrev_b64 v[4:5], 4, v[4:5]
	s_add_i32 s1, s2, s1
	s_mul_i32 s0, s0, s8
	v_lshlrev_b32_e32 v6, 8, v1
	s_lshl_b64 s[0:1], s[0:1], 4
	v_add_u32_e32 v15, v14, v6
	v_add_u32_e32 v16, 0x1000, v6
	v_mov_b32_e32 v0, s1
	v_add_co_u32_e32 v4, vcc, s0, v4
	v_mul_lo_u32 v8, s21, v2
	v_mul_lo_u32 v9, s20, v3
	v_mad_u64_u32 v[6:7], s[0:1], s20, v2, 0
	v_addc_co_u32_e32 v0, vcc, v5, v0, vcc
	v_add_co_u32_e32 v4, vcc, v4, v14
	v_addc_co_u32_e32 v0, vcc, 0, v0, vcc
	v_add3_u32 v7, v7, v9, v8
	s_mul_i32 s0, s23, s8
	s_mul_hi_u32 s1, s22, s8
	v_mov_b32_e32 v5, s25
	v_add_co_u32_e32 v4, vcc, s24, v4
	v_lshlrev_b64 v[6:7], 4, v[6:7]
	s_add_i32 s1, s1, s0
	s_mul_i32 s0, s22, s8
	v_addc_co_u32_e32 v5, vcc, v5, v0, vcc
	s_lshl_b64 s[0:1], s[0:1], 4
	v_mov_b32_e32 v0, s1
	v_add_co_u32_e32 v6, vcc, s0, v6
	v_addc_co_u32_e32 v0, vcc, v7, v0, vcc
	v_lshlrev_b32_e32 v1, 4, v1
	v_add_co_u32_e32 v1, vcc, v6, v1
	v_addc_co_u32_e32 v0, vcc, 0, v0, vcc
	v_mov_b32_e32 v6, s19
	v_add_co_u32_e32 v1, vcc, s18, v1
	v_addc_co_u32_e32 v6, vcc, v6, v0, vcc
	v_add_co_u32_e32 v0, vcc, 8, v1
	v_addc_co_u32_e32 v1, vcc, 0, v6, vcc
	v_mov_b32_e32 v10, 0
	v_mov_b32_e32 v8, 0
	;; [unrolled: 1-line block ×3, first 2 shown]
	v_add_u32_e32 v17, v16, v14
	v_mov_b32_e32 v11, 0
	s_mov_b64 s[0:1], 0
	v_mov_b32_e32 v9, 0
	v_mov_b32_e32 v7, s13
.LBB1194_2:                             ; =>This Inner Loop Header: Depth=1
	global_load_dwordx4 v[18:21], v[0:1], off offset:-8
	s_add_u32 s0, s0, 16
	s_addc_u32 s1, s1, 0
	s_waitcnt vmcnt(0)
	ds_write_b128 v15, v[18:21]
	global_load_dwordx4 v[18:21], v[4:5], off
	v_add_co_u32_e32 v4, vcc, 0x100, v4
	v_addc_co_u32_e32 v5, vcc, 0, v5, vcc
	v_add_co_u32_e32 v0, vcc, 0x100, v0
	v_addc_co_u32_e32 v1, vcc, 0, v1, vcc
	v_cmp_lt_i64_e32 vcc, s[0:1], v[6:7]
	s_and_b64 vcc, exec, vcc
	s_waitcnt vmcnt(0)
	ds_write2_b64 v17, v[18:19], v[20:21] offset1:1
	s_waitcnt lgkmcnt(0)
	s_barrier
	ds_read_b128 v[18:21], v16
	ds_read_b128 v[22:25], v16 offset:16
	ds_read_b128 v[26:29], v16 offset:32
	ds_read_b128 v[30:33], v16 offset:48
	ds_read_b128 v[34:37], v14
	s_waitcnt lgkmcnt(0)
	v_mul_f64 v[38:39], v[20:21], v[36:37]
	v_fma_f64 v[38:39], v[18:19], v[34:35], -v[38:39]
	v_mul_f64 v[18:19], v[18:19], v[36:37]
	v_fma_f64 v[18:19], v[20:21], v[34:35], v[18:19]
	v_add_f64 v[20:21], v[8:9], v[38:39]
	v_add_f64 v[18:19], v[10:11], v[18:19]
	ds_read_b128 v[8:11], v14 offset:256
	s_waitcnt lgkmcnt(0)
	v_mul_f64 v[34:35], v[24:25], v[10:11]
	v_mul_f64 v[10:11], v[22:23], v[10:11]
	v_fma_f64 v[34:35], v[22:23], v[8:9], -v[34:35]
	v_fma_f64 v[8:9], v[24:25], v[8:9], v[10:11]
	v_add_f64 v[20:21], v[20:21], v[34:35]
	v_add_f64 v[18:19], v[18:19], v[8:9]
	ds_read_b128 v[8:11], v14 offset:512
	s_waitcnt lgkmcnt(0)
	v_mul_f64 v[22:23], v[28:29], v[10:11]
	v_mul_f64 v[10:11], v[26:27], v[10:11]
	v_fma_f64 v[22:23], v[26:27], v[8:9], -v[22:23]
	;; [unrolled: 8-line block ×3, first 2 shown]
	v_fma_f64 v[8:9], v[32:33], v[8:9], v[10:11]
	v_add_f64 v[22:23], v[20:21], v[22:23]
	v_add_f64 v[24:25], v[18:19], v[8:9]
	ds_read_b128 v[8:11], v16 offset:64
	ds_read_b128 v[18:21], v14 offset:1024
	s_waitcnt lgkmcnt(0)
	v_mul_f64 v[26:27], v[10:11], v[20:21]
	v_fma_f64 v[26:27], v[8:9], v[18:19], -v[26:27]
	v_mul_f64 v[8:9], v[8:9], v[20:21]
	v_add_f64 v[22:23], v[22:23], v[26:27]
	v_fma_f64 v[8:9], v[10:11], v[18:19], v[8:9]
	v_add_f64 v[24:25], v[24:25], v[8:9]
	ds_read_b128 v[8:11], v16 offset:80
	ds_read_b128 v[18:21], v14 offset:1280
	s_waitcnt lgkmcnt(0)
	v_mul_f64 v[26:27], v[10:11], v[20:21]
	v_fma_f64 v[26:27], v[8:9], v[18:19], -v[26:27]
	v_mul_f64 v[8:9], v[8:9], v[20:21]
	v_add_f64 v[22:23], v[22:23], v[26:27]
	v_fma_f64 v[8:9], v[10:11], v[18:19], v[8:9]
	;; [unrolled: 9-line block ×11, first 2 shown]
	v_add_f64 v[24:25], v[24:25], v[8:9]
	ds_read_b128 v[8:11], v16 offset:240
	ds_read_b128 v[18:21], v14 offset:3840
	s_waitcnt lgkmcnt(0)
	s_barrier
	v_mul_f64 v[26:27], v[10:11], v[20:21]
	v_fma_f64 v[26:27], v[8:9], v[18:19], -v[26:27]
	v_mul_f64 v[8:9], v[8:9], v[20:21]
	v_fma_f64 v[10:11], v[10:11], v[18:19], v[8:9]
	v_add_f64 v[8:9], v[22:23], v[26:27]
	v_add_f64 v[10:11], v[24:25], v[10:11]
	s_cbranch_vccnz .LBB1194_2
; %bb.3:
	v_cmp_le_i32_e32 vcc, v12, v2
	s_and_saveexec_b64 s[0:1], vcc
	s_cbranch_execz .LBB1194_5
.LBB1194_4:
	s_load_dwordx2 s[6:7], s[4:5], 0x70
	s_load_dwordx4 s[0:3], s[4:5], 0x60
	v_mul_f64 v[0:1], s[16:17], v[10:11]
	v_mul_f64 v[6:7], s[14:15], v[10:11]
	s_waitcnt lgkmcnt(0)
	s_mul_i32 s5, s7, s8
	v_mul_lo_u32 v14, s3, v12
	v_mul_lo_u32 v13, s2, v13
	v_mad_u64_u32 v[10:11], s[2:3], s2, v12, 0
	s_mul_hi_u32 s7, s6, s8
	s_mul_i32 s4, s6, s8
	s_add_i32 s5, s7, s5
	s_lshl_b64 s[4:5], s[4:5], 4
	v_fma_f64 v[4:5], s[14:15], v[8:9], -v[0:1]
	v_fma_f64 v[6:7], s[16:17], v[8:9], v[6:7]
	v_add3_u32 v11, v11, v13, v14
	s_add_u32 s0, s0, s4
	v_lshlrev_b64 v[0:1], 4, v[10:11]
	s_addc_u32 s1, s1, s5
	v_mov_b32_e32 v8, s1
	v_add_co_u32_e32 v9, vcc, s0, v0
	v_addc_co_u32_e32 v8, vcc, v8, v1, vcc
	v_lshlrev_b64 v[0:1], 4, v[2:3]
	v_add_co_u32_e32 v0, vcc, v9, v0
	v_addc_co_u32_e32 v1, vcc, v8, v1, vcc
	global_store_dwordx4 v[0:1], v[4:7], off
.LBB1194_5:
	s_endpgm
.LBB1194_6:
	v_mov_b32_e32 v10, 0
	v_mov_b32_e32 v8, 0
	;; [unrolled: 1-line block ×4, first 2 shown]
	v_cmp_le_i32_e32 vcc, v12, v2
	s_and_saveexec_b64 s[0:1], vcc
	s_cbranch_execnz .LBB1194_4
	s_branch .LBB1194_5
	.section	.rodata,"a",@progbits
	.p2align	6, 0x0
	.amdhsa_kernel _ZL41rocblas_syrkx_herkx_small_restrict_kernelIl19rocblas_complex_numIdELi16ELb1ELb0ELc67ELc76EKS1_S1_EviT_T0_PT6_S3_lS6_S3_lS4_PT7_S3_li
		.amdhsa_group_segment_fixed_size 8192
		.amdhsa_private_segment_fixed_size 0
		.amdhsa_kernarg_size 124
		.amdhsa_user_sgpr_count 6
		.amdhsa_user_sgpr_private_segment_buffer 1
		.amdhsa_user_sgpr_dispatch_ptr 0
		.amdhsa_user_sgpr_queue_ptr 0
		.amdhsa_user_sgpr_kernarg_segment_ptr 1
		.amdhsa_user_sgpr_dispatch_id 0
		.amdhsa_user_sgpr_flat_scratch_init 0
		.amdhsa_user_sgpr_private_segment_size 0
		.amdhsa_uses_dynamic_stack 0
		.amdhsa_system_sgpr_private_segment_wavefront_offset 0
		.amdhsa_system_sgpr_workgroup_id_x 1
		.amdhsa_system_sgpr_workgroup_id_y 1
		.amdhsa_system_sgpr_workgroup_id_z 1
		.amdhsa_system_sgpr_workgroup_info 0
		.amdhsa_system_vgpr_workitem_id 1
		.amdhsa_next_free_vgpr 40
		.amdhsa_next_free_sgpr 61
		.amdhsa_reserve_vcc 1
		.amdhsa_reserve_flat_scratch 0
		.amdhsa_float_round_mode_32 0
		.amdhsa_float_round_mode_16_64 0
		.amdhsa_float_denorm_mode_32 3
		.amdhsa_float_denorm_mode_16_64 3
		.amdhsa_dx10_clamp 1
		.amdhsa_ieee_mode 1
		.amdhsa_fp16_overflow 0
		.amdhsa_exception_fp_ieee_invalid_op 0
		.amdhsa_exception_fp_denorm_src 0
		.amdhsa_exception_fp_ieee_div_zero 0
		.amdhsa_exception_fp_ieee_overflow 0
		.amdhsa_exception_fp_ieee_underflow 0
		.amdhsa_exception_fp_ieee_inexact 0
		.amdhsa_exception_int_div_zero 0
	.end_amdhsa_kernel
	.section	.text._ZL41rocblas_syrkx_herkx_small_restrict_kernelIl19rocblas_complex_numIdELi16ELb1ELb0ELc67ELc76EKS1_S1_EviT_T0_PT6_S3_lS6_S3_lS4_PT7_S3_li,"axG",@progbits,_ZL41rocblas_syrkx_herkx_small_restrict_kernelIl19rocblas_complex_numIdELi16ELb1ELb0ELc67ELc76EKS1_S1_EviT_T0_PT6_S3_lS6_S3_lS4_PT7_S3_li,comdat
.Lfunc_end1194:
	.size	_ZL41rocblas_syrkx_herkx_small_restrict_kernelIl19rocblas_complex_numIdELi16ELb1ELb0ELc67ELc76EKS1_S1_EviT_T0_PT6_S3_lS6_S3_lS4_PT7_S3_li, .Lfunc_end1194-_ZL41rocblas_syrkx_herkx_small_restrict_kernelIl19rocblas_complex_numIdELi16ELb1ELb0ELc67ELc76EKS1_S1_EviT_T0_PT6_S3_lS6_S3_lS4_PT7_S3_li
                                        ; -- End function
	.set _ZL41rocblas_syrkx_herkx_small_restrict_kernelIl19rocblas_complex_numIdELi16ELb1ELb0ELc67ELc76EKS1_S1_EviT_T0_PT6_S3_lS6_S3_lS4_PT7_S3_li.num_vgpr, 40
	.set _ZL41rocblas_syrkx_herkx_small_restrict_kernelIl19rocblas_complex_numIdELi16ELb1ELb0ELc67ELc76EKS1_S1_EviT_T0_PT6_S3_lS6_S3_lS4_PT7_S3_li.num_agpr, 0
	.set _ZL41rocblas_syrkx_herkx_small_restrict_kernelIl19rocblas_complex_numIdELi16ELb1ELb0ELc67ELc76EKS1_S1_EviT_T0_PT6_S3_lS6_S3_lS4_PT7_S3_li.numbered_sgpr, 28
	.set _ZL41rocblas_syrkx_herkx_small_restrict_kernelIl19rocblas_complex_numIdELi16ELb1ELb0ELc67ELc76EKS1_S1_EviT_T0_PT6_S3_lS6_S3_lS4_PT7_S3_li.num_named_barrier, 0
	.set _ZL41rocblas_syrkx_herkx_small_restrict_kernelIl19rocblas_complex_numIdELi16ELb1ELb0ELc67ELc76EKS1_S1_EviT_T0_PT6_S3_lS6_S3_lS4_PT7_S3_li.private_seg_size, 0
	.set _ZL41rocblas_syrkx_herkx_small_restrict_kernelIl19rocblas_complex_numIdELi16ELb1ELb0ELc67ELc76EKS1_S1_EviT_T0_PT6_S3_lS6_S3_lS4_PT7_S3_li.uses_vcc, 1
	.set _ZL41rocblas_syrkx_herkx_small_restrict_kernelIl19rocblas_complex_numIdELi16ELb1ELb0ELc67ELc76EKS1_S1_EviT_T0_PT6_S3_lS6_S3_lS4_PT7_S3_li.uses_flat_scratch, 0
	.set _ZL41rocblas_syrkx_herkx_small_restrict_kernelIl19rocblas_complex_numIdELi16ELb1ELb0ELc67ELc76EKS1_S1_EviT_T0_PT6_S3_lS6_S3_lS4_PT7_S3_li.has_dyn_sized_stack, 0
	.set _ZL41rocblas_syrkx_herkx_small_restrict_kernelIl19rocblas_complex_numIdELi16ELb1ELb0ELc67ELc76EKS1_S1_EviT_T0_PT6_S3_lS6_S3_lS4_PT7_S3_li.has_recursion, 0
	.set _ZL41rocblas_syrkx_herkx_small_restrict_kernelIl19rocblas_complex_numIdELi16ELb1ELb0ELc67ELc76EKS1_S1_EviT_T0_PT6_S3_lS6_S3_lS4_PT7_S3_li.has_indirect_call, 0
	.section	.AMDGPU.csdata,"",@progbits
; Kernel info:
; codeLenInByte = 1700
; TotalNumSgprs: 32
; NumVgprs: 40
; ScratchSize: 0
; MemoryBound: 0
; FloatMode: 240
; IeeeMode: 1
; LDSByteSize: 8192 bytes/workgroup (compile time only)
; SGPRBlocks: 8
; VGPRBlocks: 9
; NumSGPRsForWavesPerEU: 65
; NumVGPRsForWavesPerEU: 40
; Occupancy: 6
; WaveLimiterHint : 0
; COMPUTE_PGM_RSRC2:SCRATCH_EN: 0
; COMPUTE_PGM_RSRC2:USER_SGPR: 6
; COMPUTE_PGM_RSRC2:TRAP_HANDLER: 0
; COMPUTE_PGM_RSRC2:TGID_X_EN: 1
; COMPUTE_PGM_RSRC2:TGID_Y_EN: 1
; COMPUTE_PGM_RSRC2:TGID_Z_EN: 1
; COMPUTE_PGM_RSRC2:TIDIG_COMP_CNT: 1
	.section	.text._ZL41rocblas_syrkx_herkx_small_restrict_kernelIl19rocblas_complex_numIdELi16ELb1ELb0ELc78ELc76EKS1_S1_EviT_T0_PT6_S3_lS6_S3_lS4_PT7_S3_li,"axG",@progbits,_ZL41rocblas_syrkx_herkx_small_restrict_kernelIl19rocblas_complex_numIdELi16ELb1ELb0ELc78ELc76EKS1_S1_EviT_T0_PT6_S3_lS6_S3_lS4_PT7_S3_li,comdat
	.globl	_ZL41rocblas_syrkx_herkx_small_restrict_kernelIl19rocblas_complex_numIdELi16ELb1ELb0ELc78ELc76EKS1_S1_EviT_T0_PT6_S3_lS6_S3_lS4_PT7_S3_li ; -- Begin function _ZL41rocblas_syrkx_herkx_small_restrict_kernelIl19rocblas_complex_numIdELi16ELb1ELb0ELc78ELc76EKS1_S1_EviT_T0_PT6_S3_lS6_S3_lS4_PT7_S3_li
	.p2align	8
	.type	_ZL41rocblas_syrkx_herkx_small_restrict_kernelIl19rocblas_complex_numIdELi16ELb1ELb0ELc78ELc76EKS1_S1_EviT_T0_PT6_S3_lS6_S3_lS4_PT7_S3_li,@function
_ZL41rocblas_syrkx_herkx_small_restrict_kernelIl19rocblas_complex_numIdELi16ELb1ELb0ELc78ELc76EKS1_S1_EviT_T0_PT6_S3_lS6_S3_lS4_PT7_S3_li: ; @_ZL41rocblas_syrkx_herkx_small_restrict_kernelIl19rocblas_complex_numIdELi16ELb1ELb0ELc78ELc76EKS1_S1_EviT_T0_PT6_S3_lS6_S3_lS4_PT7_S3_li
; %bb.0:
	s_load_dwordx16 s[12:27], s[4:5], 0x8
	v_lshl_add_u32 v2, s6, 4, v0
	v_lshl_add_u32 v4, s7, 4, v1
	v_ashrrev_i32_e32 v3, 31, v2
	v_ashrrev_i32_e32 v5, 31, v4
	s_waitcnt lgkmcnt(0)
	v_cmp_lt_i64_e64 s[0:1], s[12:13], 1
	s_and_b64 vcc, exec, s[0:1]
	s_cbranch_vccnz .LBB1195_6
; %bb.1:
	v_lshlrev_b32_e32 v6, 8, v1
	v_lshlrev_b32_e32 v14, 4, v0
	v_add_u32_e32 v15, v14, v6
	v_add_u32_e32 v16, 0x1000, v6
	v_mad_u64_u32 v[6:7], s[2:3], s26, v0, 0
	s_load_dwordx2 s[0:1], s[4:5], 0x48
	s_mul_hi_u32 s7, s22, s8
	v_mad_u64_u32 v[7:8], s[2:3], s27, v0, v[7:8]
	v_mov_b32_e32 v10, 0
	s_waitcnt lgkmcnt(0)
	s_mul_i32 s1, s1, s8
	s_mul_hi_u32 s6, s0, s8
	s_add_i32 s1, s6, s1
	s_mul_i32 s0, s0, s8
	v_lshlrev_b64 v[6:7], 4, v[6:7]
	s_lshl_b64 s[0:1], s[0:1], 4
	v_mov_b32_e32 v0, s1
	v_add_co_u32_e32 v8, vcc, s0, v6
	v_addc_co_u32_e32 v0, vcc, v0, v7, vcc
	v_lshlrev_b64 v[6:7], 4, v[4:5]
	s_mul_i32 s6, s23, s8
	v_add_co_u32_e32 v6, vcc, v8, v6
	v_addc_co_u32_e32 v0, vcc, v0, v7, vcc
	v_mad_u64_u32 v[8:9], s[0:1], s20, v1, 0
	v_mov_b32_e32 v7, s25
	v_add_co_u32_e32 v6, vcc, s24, v6
	v_addc_co_u32_e32 v0, vcc, v7, v0, vcc
	v_add_co_u32_e32 v6, vcc, 8, v6
	v_addc_co_u32_e32 v7, vcc, 0, v0, vcc
	v_mov_b32_e32 v0, v9
	v_mad_u64_u32 v[0:1], s[2:3], s21, v1, v[0:1]
	s_add_i32 s3, s7, s6
	s_mul_i32 s2, s22, s8
	v_mov_b32_e32 v9, v0
	v_lshlrev_b64 v[0:1], 4, v[8:9]
	s_lshl_b64 s[2:3], s[2:3], 4
	v_mov_b32_e32 v8, s3
	v_add_co_u32_e32 v9, vcc, s2, v0
	v_addc_co_u32_e32 v8, vcc, v8, v1, vcc
	v_lshlrev_b64 v[0:1], 4, v[2:3]
	s_lshl_b64 s[0:1], s[26:27], 8
	v_add_co_u32_e32 v0, vcc, v9, v0
	v_addc_co_u32_e32 v1, vcc, v8, v1, vcc
	v_mov_b32_e32 v8, s19
	v_add_co_u32_e32 v0, vcc, s18, v0
	v_addc_co_u32_e32 v1, vcc, v8, v1, vcc
	s_lshl_b64 s[2:3], s[20:21], 8
	v_mov_b32_e32 v12, 0
	v_mov_b32_e32 v8, s12
	v_add_u32_e32 v17, v16, v14
	v_mov_b32_e32 v11, 0
	s_mov_b64 s[6:7], 0
	v_mov_b32_e32 v18, s1
	v_mov_b32_e32 v19, s3
	;; [unrolled: 1-line block ×4, first 2 shown]
.LBB1195_2:                             ; =>This Inner Loop Header: Depth=1
	global_load_dwordx4 v[20:23], v[0:1], off
	s_add_u32 s6, s6, 16
	s_addc_u32 s7, s7, 0
	s_waitcnt vmcnt(0)
	ds_write2_b64 v15, v[20:21], v[22:23] offset1:1
	global_load_dwordx4 v[20:23], v[6:7], off offset:-8
	v_add_co_u32_e32 v6, vcc, s0, v6
	v_addc_co_u32_e32 v7, vcc, v7, v18, vcc
	v_add_co_u32_e32 v0, vcc, s2, v0
	v_addc_co_u32_e32 v1, vcc, v1, v19, vcc
	v_cmp_lt_i64_e32 vcc, s[6:7], v[8:9]
	s_and_b64 vcc, exec, vcc
	s_waitcnt vmcnt(0)
	ds_write_b128 v17, v[20:23]
	s_waitcnt lgkmcnt(0)
	s_barrier
	ds_read_b128 v[20:23], v16
	ds_read_b128 v[24:27], v16 offset:16
	ds_read_b128 v[28:31], v16 offset:32
	;; [unrolled: 1-line block ×3, first 2 shown]
	ds_read_b128 v[36:39], v14
	s_waitcnt lgkmcnt(0)
	v_mul_f64 v[40:41], v[22:23], v[38:39]
	v_fma_f64 v[40:41], v[20:21], v[36:37], -v[40:41]
	v_mul_f64 v[20:21], v[20:21], v[38:39]
	v_fma_f64 v[20:21], v[22:23], v[36:37], v[20:21]
	v_add_f64 v[22:23], v[12:13], v[40:41]
	v_add_f64 v[20:21], v[10:11], v[20:21]
	ds_read_b128 v[10:13], v14 offset:256
	s_waitcnt lgkmcnt(0)
	v_mul_f64 v[36:37], v[26:27], v[12:13]
	v_mul_f64 v[12:13], v[24:25], v[12:13]
	v_fma_f64 v[36:37], v[24:25], v[10:11], -v[36:37]
	v_fma_f64 v[10:11], v[26:27], v[10:11], v[12:13]
	v_add_f64 v[22:23], v[22:23], v[36:37]
	v_add_f64 v[20:21], v[20:21], v[10:11]
	ds_read_b128 v[10:13], v14 offset:512
	s_waitcnt lgkmcnt(0)
	v_mul_f64 v[24:25], v[30:31], v[12:13]
	v_mul_f64 v[12:13], v[28:29], v[12:13]
	v_fma_f64 v[24:25], v[28:29], v[10:11], -v[24:25]
	v_fma_f64 v[10:11], v[30:31], v[10:11], v[12:13]
	v_add_f64 v[22:23], v[22:23], v[24:25]
	v_add_f64 v[20:21], v[20:21], v[10:11]
	ds_read_b128 v[10:13], v14 offset:768
	s_waitcnt lgkmcnt(0)
	v_mul_f64 v[24:25], v[34:35], v[12:13]
	v_mul_f64 v[12:13], v[32:33], v[12:13]
	v_fma_f64 v[24:25], v[32:33], v[10:11], -v[24:25]
	v_fma_f64 v[10:11], v[34:35], v[10:11], v[12:13]
	v_add_f64 v[24:25], v[22:23], v[24:25]
	v_add_f64 v[26:27], v[20:21], v[10:11]
	ds_read_b128 v[10:13], v16 offset:64
	ds_read_b128 v[20:23], v14 offset:1024
	s_waitcnt lgkmcnt(0)
	v_mul_f64 v[28:29], v[12:13], v[22:23]
	v_fma_f64 v[28:29], v[10:11], v[20:21], -v[28:29]
	v_mul_f64 v[10:11], v[10:11], v[22:23]
	v_add_f64 v[24:25], v[24:25], v[28:29]
	v_fma_f64 v[10:11], v[12:13], v[20:21], v[10:11]
	v_add_f64 v[26:27], v[26:27], v[10:11]
	ds_read_b128 v[10:13], v16 offset:80
	ds_read_b128 v[20:23], v14 offset:1280
	s_waitcnt lgkmcnt(0)
	v_mul_f64 v[28:29], v[12:13], v[22:23]
	v_fma_f64 v[28:29], v[10:11], v[20:21], -v[28:29]
	v_mul_f64 v[10:11], v[10:11], v[22:23]
	v_add_f64 v[24:25], v[24:25], v[28:29]
	v_fma_f64 v[10:11], v[12:13], v[20:21], v[10:11]
	;; [unrolled: 9-line block ×11, first 2 shown]
	v_add_f64 v[26:27], v[26:27], v[10:11]
	ds_read_b128 v[10:13], v16 offset:240
	ds_read_b128 v[20:23], v14 offset:3840
	s_waitcnt lgkmcnt(0)
	s_barrier
	v_mul_f64 v[28:29], v[12:13], v[22:23]
	v_fma_f64 v[28:29], v[10:11], v[20:21], -v[28:29]
	v_mul_f64 v[10:11], v[10:11], v[22:23]
	v_fma_f64 v[10:11], v[12:13], v[20:21], v[10:11]
	v_add_f64 v[12:13], v[24:25], v[28:29]
	v_add_f64 v[10:11], v[26:27], v[10:11]
	s_cbranch_vccnz .LBB1195_2
; %bb.3:
	v_cmp_le_i32_e32 vcc, v4, v2
	s_and_saveexec_b64 s[0:1], vcc
	s_cbranch_execz .LBB1195_5
.LBB1195_4:
	s_load_dwordx2 s[6:7], s[4:5], 0x70
	s_load_dwordx4 s[0:3], s[4:5], 0x60
	v_mul_f64 v[0:1], s[16:17], v[10:11]
	v_mul_f64 v[6:7], s[14:15], v[10:11]
	s_waitcnt lgkmcnt(0)
	s_mul_i32 s5, s7, s8
	v_mul_lo_u32 v10, s3, v4
	v_mul_lo_u32 v11, s2, v5
	v_mad_u64_u32 v[8:9], s[2:3], s2, v4, 0
	s_mul_hi_u32 s7, s6, s8
	s_mul_i32 s4, s6, s8
	s_add_i32 s5, s7, s5
	s_lshl_b64 s[4:5], s[4:5], 4
	v_fma_f64 v[4:5], s[14:15], v[12:13], -v[0:1]
	v_fma_f64 v[6:7], s[16:17], v[12:13], v[6:7]
	v_add3_u32 v9, v9, v11, v10
	s_add_u32 s0, s0, s4
	v_lshlrev_b64 v[0:1], 4, v[8:9]
	s_addc_u32 s1, s1, s5
	v_mov_b32_e32 v8, s1
	v_add_co_u32_e32 v9, vcc, s0, v0
	v_addc_co_u32_e32 v8, vcc, v8, v1, vcc
	v_lshlrev_b64 v[0:1], 4, v[2:3]
	v_add_co_u32_e32 v0, vcc, v9, v0
	v_addc_co_u32_e32 v1, vcc, v8, v1, vcc
	global_store_dwordx4 v[0:1], v[4:7], off
.LBB1195_5:
	s_endpgm
.LBB1195_6:
	v_mov_b32_e32 v10, 0
	v_mov_b32_e32 v12, 0
	;; [unrolled: 1-line block ×4, first 2 shown]
	v_cmp_le_i32_e32 vcc, v4, v2
	s_and_saveexec_b64 s[0:1], vcc
	s_cbranch_execnz .LBB1195_4
	s_branch .LBB1195_5
	.section	.rodata,"a",@progbits
	.p2align	6, 0x0
	.amdhsa_kernel _ZL41rocblas_syrkx_herkx_small_restrict_kernelIl19rocblas_complex_numIdELi16ELb1ELb0ELc78ELc76EKS1_S1_EviT_T0_PT6_S3_lS6_S3_lS4_PT7_S3_li
		.amdhsa_group_segment_fixed_size 8192
		.amdhsa_private_segment_fixed_size 0
		.amdhsa_kernarg_size 124
		.amdhsa_user_sgpr_count 6
		.amdhsa_user_sgpr_private_segment_buffer 1
		.amdhsa_user_sgpr_dispatch_ptr 0
		.amdhsa_user_sgpr_queue_ptr 0
		.amdhsa_user_sgpr_kernarg_segment_ptr 1
		.amdhsa_user_sgpr_dispatch_id 0
		.amdhsa_user_sgpr_flat_scratch_init 0
		.amdhsa_user_sgpr_private_segment_size 0
		.amdhsa_uses_dynamic_stack 0
		.amdhsa_system_sgpr_private_segment_wavefront_offset 0
		.amdhsa_system_sgpr_workgroup_id_x 1
		.amdhsa_system_sgpr_workgroup_id_y 1
		.amdhsa_system_sgpr_workgroup_id_z 1
		.amdhsa_system_sgpr_workgroup_info 0
		.amdhsa_system_vgpr_workitem_id 1
		.amdhsa_next_free_vgpr 42
		.amdhsa_next_free_sgpr 61
		.amdhsa_reserve_vcc 1
		.amdhsa_reserve_flat_scratch 0
		.amdhsa_float_round_mode_32 0
		.amdhsa_float_round_mode_16_64 0
		.amdhsa_float_denorm_mode_32 3
		.amdhsa_float_denorm_mode_16_64 3
		.amdhsa_dx10_clamp 1
		.amdhsa_ieee_mode 1
		.amdhsa_fp16_overflow 0
		.amdhsa_exception_fp_ieee_invalid_op 0
		.amdhsa_exception_fp_denorm_src 0
		.amdhsa_exception_fp_ieee_div_zero 0
		.amdhsa_exception_fp_ieee_overflow 0
		.amdhsa_exception_fp_ieee_underflow 0
		.amdhsa_exception_fp_ieee_inexact 0
		.amdhsa_exception_int_div_zero 0
	.end_amdhsa_kernel
	.section	.text._ZL41rocblas_syrkx_herkx_small_restrict_kernelIl19rocblas_complex_numIdELi16ELb1ELb0ELc78ELc76EKS1_S1_EviT_T0_PT6_S3_lS6_S3_lS4_PT7_S3_li,"axG",@progbits,_ZL41rocblas_syrkx_herkx_small_restrict_kernelIl19rocblas_complex_numIdELi16ELb1ELb0ELc78ELc76EKS1_S1_EviT_T0_PT6_S3_lS6_S3_lS4_PT7_S3_li,comdat
.Lfunc_end1195:
	.size	_ZL41rocblas_syrkx_herkx_small_restrict_kernelIl19rocblas_complex_numIdELi16ELb1ELb0ELc78ELc76EKS1_S1_EviT_T0_PT6_S3_lS6_S3_lS4_PT7_S3_li, .Lfunc_end1195-_ZL41rocblas_syrkx_herkx_small_restrict_kernelIl19rocblas_complex_numIdELi16ELb1ELb0ELc78ELc76EKS1_S1_EviT_T0_PT6_S3_lS6_S3_lS4_PT7_S3_li
                                        ; -- End function
	.set _ZL41rocblas_syrkx_herkx_small_restrict_kernelIl19rocblas_complex_numIdELi16ELb1ELb0ELc78ELc76EKS1_S1_EviT_T0_PT6_S3_lS6_S3_lS4_PT7_S3_li.num_vgpr, 42
	.set _ZL41rocblas_syrkx_herkx_small_restrict_kernelIl19rocblas_complex_numIdELi16ELb1ELb0ELc78ELc76EKS1_S1_EviT_T0_PT6_S3_lS6_S3_lS4_PT7_S3_li.num_agpr, 0
	.set _ZL41rocblas_syrkx_herkx_small_restrict_kernelIl19rocblas_complex_numIdELi16ELb1ELb0ELc78ELc76EKS1_S1_EviT_T0_PT6_S3_lS6_S3_lS4_PT7_S3_li.numbered_sgpr, 28
	.set _ZL41rocblas_syrkx_herkx_small_restrict_kernelIl19rocblas_complex_numIdELi16ELb1ELb0ELc78ELc76EKS1_S1_EviT_T0_PT6_S3_lS6_S3_lS4_PT7_S3_li.num_named_barrier, 0
	.set _ZL41rocblas_syrkx_herkx_small_restrict_kernelIl19rocblas_complex_numIdELi16ELb1ELb0ELc78ELc76EKS1_S1_EviT_T0_PT6_S3_lS6_S3_lS4_PT7_S3_li.private_seg_size, 0
	.set _ZL41rocblas_syrkx_herkx_small_restrict_kernelIl19rocblas_complex_numIdELi16ELb1ELb0ELc78ELc76EKS1_S1_EviT_T0_PT6_S3_lS6_S3_lS4_PT7_S3_li.uses_vcc, 1
	.set _ZL41rocblas_syrkx_herkx_small_restrict_kernelIl19rocblas_complex_numIdELi16ELb1ELb0ELc78ELc76EKS1_S1_EviT_T0_PT6_S3_lS6_S3_lS4_PT7_S3_li.uses_flat_scratch, 0
	.set _ZL41rocblas_syrkx_herkx_small_restrict_kernelIl19rocblas_complex_numIdELi16ELb1ELb0ELc78ELc76EKS1_S1_EviT_T0_PT6_S3_lS6_S3_lS4_PT7_S3_li.has_dyn_sized_stack, 0
	.set _ZL41rocblas_syrkx_herkx_small_restrict_kernelIl19rocblas_complex_numIdELi16ELb1ELb0ELc78ELc76EKS1_S1_EviT_T0_PT6_S3_lS6_S3_lS4_PT7_S3_li.has_recursion, 0
	.set _ZL41rocblas_syrkx_herkx_small_restrict_kernelIl19rocblas_complex_numIdELi16ELb1ELb0ELc78ELc76EKS1_S1_EviT_T0_PT6_S3_lS6_S3_lS4_PT7_S3_li.has_indirect_call, 0
	.section	.AMDGPU.csdata,"",@progbits
; Kernel info:
; codeLenInByte = 1696
; TotalNumSgprs: 32
; NumVgprs: 42
; ScratchSize: 0
; MemoryBound: 0
; FloatMode: 240
; IeeeMode: 1
; LDSByteSize: 8192 bytes/workgroup (compile time only)
; SGPRBlocks: 8
; VGPRBlocks: 10
; NumSGPRsForWavesPerEU: 65
; NumVGPRsForWavesPerEU: 42
; Occupancy: 5
; WaveLimiterHint : 0
; COMPUTE_PGM_RSRC2:SCRATCH_EN: 0
; COMPUTE_PGM_RSRC2:USER_SGPR: 6
; COMPUTE_PGM_RSRC2:TRAP_HANDLER: 0
; COMPUTE_PGM_RSRC2:TGID_X_EN: 1
; COMPUTE_PGM_RSRC2:TGID_Y_EN: 1
; COMPUTE_PGM_RSRC2:TGID_Z_EN: 1
; COMPUTE_PGM_RSRC2:TIDIG_COMP_CNT: 1
	.section	.text._ZL41rocblas_syrkx_herkx_small_restrict_kernelIl19rocblas_complex_numIdELi16ELb1ELb0ELc84ELc85EKS1_S1_EviT_T0_PT6_S3_lS6_S3_lS4_PT7_S3_li,"axG",@progbits,_ZL41rocblas_syrkx_herkx_small_restrict_kernelIl19rocblas_complex_numIdELi16ELb1ELb0ELc84ELc85EKS1_S1_EviT_T0_PT6_S3_lS6_S3_lS4_PT7_S3_li,comdat
	.globl	_ZL41rocblas_syrkx_herkx_small_restrict_kernelIl19rocblas_complex_numIdELi16ELb1ELb0ELc84ELc85EKS1_S1_EviT_T0_PT6_S3_lS6_S3_lS4_PT7_S3_li ; -- Begin function _ZL41rocblas_syrkx_herkx_small_restrict_kernelIl19rocblas_complex_numIdELi16ELb1ELb0ELc84ELc85EKS1_S1_EviT_T0_PT6_S3_lS6_S3_lS4_PT7_S3_li
	.p2align	8
	.type	_ZL41rocblas_syrkx_herkx_small_restrict_kernelIl19rocblas_complex_numIdELi16ELb1ELb0ELc84ELc85EKS1_S1_EviT_T0_PT6_S3_lS6_S3_lS4_PT7_S3_li,@function
_ZL41rocblas_syrkx_herkx_small_restrict_kernelIl19rocblas_complex_numIdELi16ELb1ELb0ELc84ELc85EKS1_S1_EviT_T0_PT6_S3_lS6_S3_lS4_PT7_S3_li: ; @_ZL41rocblas_syrkx_herkx_small_restrict_kernelIl19rocblas_complex_numIdELi16ELb1ELb0ELc84ELc85EKS1_S1_EviT_T0_PT6_S3_lS6_S3_lS4_PT7_S3_li
; %bb.0:
	s_load_dwordx16 s[12:27], s[4:5], 0x8
	v_lshl_add_u32 v2, s6, 4, v0
	v_lshl_add_u32 v12, s7, 4, v1
	v_ashrrev_i32_e32 v3, 31, v2
	v_ashrrev_i32_e32 v13, 31, v12
	s_waitcnt lgkmcnt(0)
	v_cmp_lt_i64_e64 s[0:1], s[12:13], 1
	s_and_b64 vcc, exec, s[0:1]
	s_cbranch_vccnz .LBB1196_6
; %bb.1:
	s_load_dwordx2 s[0:1], s[4:5], 0x48
	v_lshlrev_b32_e32 v14, 4, v0
	v_mul_lo_u32 v0, s27, v12
	v_mul_lo_u32 v7, s26, v13
	v_mad_u64_u32 v[4:5], s[2:3], s26, v12, 0
	s_waitcnt lgkmcnt(0)
	s_mul_i32 s1, s1, s8
	s_mul_hi_u32 s2, s0, s8
	v_add3_u32 v5, v5, v7, v0
	v_lshlrev_b64 v[4:5], 4, v[4:5]
	s_add_i32 s1, s2, s1
	s_mul_i32 s0, s0, s8
	v_lshlrev_b32_e32 v6, 8, v1
	s_lshl_b64 s[0:1], s[0:1], 4
	v_add_u32_e32 v15, v14, v6
	v_add_u32_e32 v16, 0x1000, v6
	v_mov_b32_e32 v0, s1
	v_add_co_u32_e32 v4, vcc, s0, v4
	v_mul_lo_u32 v8, s21, v2
	v_mul_lo_u32 v9, s20, v3
	v_mad_u64_u32 v[6:7], s[0:1], s20, v2, 0
	v_addc_co_u32_e32 v0, vcc, v5, v0, vcc
	v_add_co_u32_e32 v4, vcc, v4, v14
	v_addc_co_u32_e32 v0, vcc, 0, v0, vcc
	v_add3_u32 v7, v7, v9, v8
	s_mul_i32 s0, s23, s8
	s_mul_hi_u32 s1, s22, s8
	v_mov_b32_e32 v5, s25
	v_add_co_u32_e32 v4, vcc, s24, v4
	v_lshlrev_b64 v[6:7], 4, v[6:7]
	s_add_i32 s1, s1, s0
	s_mul_i32 s0, s22, s8
	v_addc_co_u32_e32 v5, vcc, v5, v0, vcc
	s_lshl_b64 s[0:1], s[0:1], 4
	v_mov_b32_e32 v0, s1
	v_add_co_u32_e32 v6, vcc, s0, v6
	v_addc_co_u32_e32 v0, vcc, v7, v0, vcc
	v_lshlrev_b32_e32 v1, 4, v1
	v_add_co_u32_e32 v1, vcc, v6, v1
	v_addc_co_u32_e32 v6, vcc, 0, v0, vcc
	v_mov_b32_e32 v7, s19
	v_add_co_u32_e32 v0, vcc, s18, v1
	v_addc_co_u32_e32 v1, vcc, v7, v6, vcc
	v_mov_b32_e32 v10, 0
	v_mov_b32_e32 v8, 0
	;; [unrolled: 1-line block ×3, first 2 shown]
	v_add_u32_e32 v17, v16, v14
	v_mov_b32_e32 v11, 0
	s_mov_b64 s[0:1], 0
	v_mov_b32_e32 v9, 0
	v_mov_b32_e32 v7, s13
.LBB1196_2:                             ; =>This Inner Loop Header: Depth=1
	global_load_dwordx4 v[18:21], v[0:1], off
	s_add_u32 s0, s0, 16
	s_addc_u32 s1, s1, 0
	s_waitcnt vmcnt(0)
	ds_write2_b64 v15, v[18:19], v[20:21] offset1:1
	global_load_dwordx4 v[18:21], v[4:5], off
	v_add_co_u32_e32 v4, vcc, 0x100, v4
	v_addc_co_u32_e32 v5, vcc, 0, v5, vcc
	v_add_co_u32_e32 v0, vcc, 0x100, v0
	v_addc_co_u32_e32 v1, vcc, 0, v1, vcc
	v_cmp_lt_i64_e32 vcc, s[0:1], v[6:7]
	s_and_b64 vcc, exec, vcc
	s_waitcnt vmcnt(0)
	ds_write2_b64 v17, v[18:19], v[20:21] offset1:1
	s_waitcnt lgkmcnt(0)
	s_barrier
	ds_read_b128 v[18:21], v16
	ds_read_b128 v[22:25], v16 offset:16
	ds_read_b128 v[26:29], v16 offset:32
	;; [unrolled: 1-line block ×3, first 2 shown]
	ds_read_b128 v[34:37], v14
	s_waitcnt lgkmcnt(0)
	v_mul_f64 v[38:39], v[20:21], v[36:37]
	v_fma_f64 v[38:39], v[18:19], v[34:35], -v[38:39]
	v_mul_f64 v[18:19], v[18:19], v[36:37]
	v_fma_f64 v[18:19], v[20:21], v[34:35], v[18:19]
	v_add_f64 v[20:21], v[8:9], v[38:39]
	v_add_f64 v[18:19], v[10:11], v[18:19]
	ds_read_b128 v[8:11], v14 offset:256
	s_waitcnt lgkmcnt(0)
	v_mul_f64 v[34:35], v[24:25], v[10:11]
	v_mul_f64 v[10:11], v[22:23], v[10:11]
	v_fma_f64 v[34:35], v[22:23], v[8:9], -v[34:35]
	v_fma_f64 v[8:9], v[24:25], v[8:9], v[10:11]
	v_add_f64 v[20:21], v[20:21], v[34:35]
	v_add_f64 v[18:19], v[18:19], v[8:9]
	ds_read_b128 v[8:11], v14 offset:512
	s_waitcnt lgkmcnt(0)
	v_mul_f64 v[22:23], v[28:29], v[10:11]
	v_mul_f64 v[10:11], v[26:27], v[10:11]
	v_fma_f64 v[22:23], v[26:27], v[8:9], -v[22:23]
	;; [unrolled: 8-line block ×3, first 2 shown]
	v_fma_f64 v[8:9], v[32:33], v[8:9], v[10:11]
	v_add_f64 v[22:23], v[20:21], v[22:23]
	v_add_f64 v[24:25], v[18:19], v[8:9]
	ds_read_b128 v[8:11], v16 offset:64
	ds_read_b128 v[18:21], v14 offset:1024
	s_waitcnt lgkmcnt(0)
	v_mul_f64 v[26:27], v[10:11], v[20:21]
	v_fma_f64 v[26:27], v[8:9], v[18:19], -v[26:27]
	v_mul_f64 v[8:9], v[8:9], v[20:21]
	v_add_f64 v[22:23], v[22:23], v[26:27]
	v_fma_f64 v[8:9], v[10:11], v[18:19], v[8:9]
	v_add_f64 v[24:25], v[24:25], v[8:9]
	ds_read_b128 v[8:11], v16 offset:80
	ds_read_b128 v[18:21], v14 offset:1280
	s_waitcnt lgkmcnt(0)
	v_mul_f64 v[26:27], v[10:11], v[20:21]
	v_fma_f64 v[26:27], v[8:9], v[18:19], -v[26:27]
	v_mul_f64 v[8:9], v[8:9], v[20:21]
	v_add_f64 v[22:23], v[22:23], v[26:27]
	v_fma_f64 v[8:9], v[10:11], v[18:19], v[8:9]
	v_add_f64 v[24:25], v[24:25], v[8:9]
	ds_read_b128 v[8:11], v16 offset:96
	ds_read_b128 v[18:21], v14 offset:1536
	s_waitcnt lgkmcnt(0)
	v_mul_f64 v[26:27], v[10:11], v[20:21]
	v_fma_f64 v[26:27], v[8:9], v[18:19], -v[26:27]
	v_mul_f64 v[8:9], v[8:9], v[20:21]
	v_add_f64 v[22:23], v[22:23], v[26:27]
	v_fma_f64 v[8:9], v[10:11], v[18:19], v[8:9]
	v_add_f64 v[24:25], v[24:25], v[8:9]
	ds_read_b128 v[8:11], v16 offset:112
	ds_read_b128 v[18:21], v14 offset:1792
	s_waitcnt lgkmcnt(0)
	v_mul_f64 v[26:27], v[10:11], v[20:21]
	v_fma_f64 v[26:27], v[8:9], v[18:19], -v[26:27]
	v_mul_f64 v[8:9], v[8:9], v[20:21]
	v_add_f64 v[22:23], v[22:23], v[26:27]
	v_fma_f64 v[8:9], v[10:11], v[18:19], v[8:9]
	v_add_f64 v[24:25], v[24:25], v[8:9]
	ds_read_b128 v[8:11], v16 offset:128
	ds_read_b128 v[18:21], v14 offset:2048
	s_waitcnt lgkmcnt(0)
	v_mul_f64 v[26:27], v[10:11], v[20:21]
	v_fma_f64 v[26:27], v[8:9], v[18:19], -v[26:27]
	v_mul_f64 v[8:9], v[8:9], v[20:21]
	v_add_f64 v[22:23], v[22:23], v[26:27]
	v_fma_f64 v[8:9], v[10:11], v[18:19], v[8:9]
	v_add_f64 v[24:25], v[24:25], v[8:9]
	ds_read_b128 v[8:11], v16 offset:144
	ds_read_b128 v[18:21], v14 offset:2304
	s_waitcnt lgkmcnt(0)
	v_mul_f64 v[26:27], v[10:11], v[20:21]
	v_fma_f64 v[26:27], v[8:9], v[18:19], -v[26:27]
	v_mul_f64 v[8:9], v[8:9], v[20:21]
	v_add_f64 v[22:23], v[22:23], v[26:27]
	v_fma_f64 v[8:9], v[10:11], v[18:19], v[8:9]
	v_add_f64 v[24:25], v[24:25], v[8:9]
	ds_read_b128 v[8:11], v16 offset:160
	ds_read_b128 v[18:21], v14 offset:2560
	s_waitcnt lgkmcnt(0)
	v_mul_f64 v[26:27], v[10:11], v[20:21]
	v_fma_f64 v[26:27], v[8:9], v[18:19], -v[26:27]
	v_mul_f64 v[8:9], v[8:9], v[20:21]
	v_add_f64 v[22:23], v[22:23], v[26:27]
	v_fma_f64 v[8:9], v[10:11], v[18:19], v[8:9]
	v_add_f64 v[24:25], v[24:25], v[8:9]
	ds_read_b128 v[8:11], v16 offset:176
	ds_read_b128 v[18:21], v14 offset:2816
	s_waitcnt lgkmcnt(0)
	v_mul_f64 v[26:27], v[10:11], v[20:21]
	v_fma_f64 v[26:27], v[8:9], v[18:19], -v[26:27]
	v_mul_f64 v[8:9], v[8:9], v[20:21]
	v_add_f64 v[22:23], v[22:23], v[26:27]
	v_fma_f64 v[8:9], v[10:11], v[18:19], v[8:9]
	v_add_f64 v[24:25], v[24:25], v[8:9]
	ds_read_b128 v[8:11], v16 offset:192
	ds_read_b128 v[18:21], v14 offset:3072
	s_waitcnt lgkmcnt(0)
	v_mul_f64 v[26:27], v[10:11], v[20:21]
	v_fma_f64 v[26:27], v[8:9], v[18:19], -v[26:27]
	v_mul_f64 v[8:9], v[8:9], v[20:21]
	v_add_f64 v[22:23], v[22:23], v[26:27]
	v_fma_f64 v[8:9], v[10:11], v[18:19], v[8:9]
	v_add_f64 v[24:25], v[24:25], v[8:9]
	ds_read_b128 v[8:11], v16 offset:208
	ds_read_b128 v[18:21], v14 offset:3328
	s_waitcnt lgkmcnt(0)
	v_mul_f64 v[26:27], v[10:11], v[20:21]
	v_fma_f64 v[26:27], v[8:9], v[18:19], -v[26:27]
	v_mul_f64 v[8:9], v[8:9], v[20:21]
	v_add_f64 v[22:23], v[22:23], v[26:27]
	v_fma_f64 v[8:9], v[10:11], v[18:19], v[8:9]
	v_add_f64 v[24:25], v[24:25], v[8:9]
	ds_read_b128 v[8:11], v16 offset:224
	ds_read_b128 v[18:21], v14 offset:3584
	s_waitcnt lgkmcnt(0)
	v_mul_f64 v[26:27], v[10:11], v[20:21]
	v_fma_f64 v[26:27], v[8:9], v[18:19], -v[26:27]
	v_mul_f64 v[8:9], v[8:9], v[20:21]
	v_add_f64 v[22:23], v[22:23], v[26:27]
	v_fma_f64 v[8:9], v[10:11], v[18:19], v[8:9]
	v_add_f64 v[24:25], v[24:25], v[8:9]
	ds_read_b128 v[8:11], v16 offset:240
	ds_read_b128 v[18:21], v14 offset:3840
	s_waitcnt lgkmcnt(0)
	s_barrier
	v_mul_f64 v[26:27], v[10:11], v[20:21]
	v_fma_f64 v[26:27], v[8:9], v[18:19], -v[26:27]
	v_mul_f64 v[8:9], v[8:9], v[20:21]
	v_fma_f64 v[10:11], v[10:11], v[18:19], v[8:9]
	v_add_f64 v[8:9], v[22:23], v[26:27]
	v_add_f64 v[10:11], v[24:25], v[10:11]
	s_cbranch_vccnz .LBB1196_2
; %bb.3:
	v_cmp_le_i32_e32 vcc, v2, v12
	s_and_saveexec_b64 s[0:1], vcc
	s_cbranch_execz .LBB1196_5
.LBB1196_4:
	s_load_dwordx2 s[6:7], s[4:5], 0x70
	s_load_dwordx4 s[0:3], s[4:5], 0x60
	v_mul_f64 v[0:1], s[16:17], v[10:11]
	v_mul_f64 v[6:7], s[14:15], v[10:11]
	s_waitcnt lgkmcnt(0)
	s_mul_i32 s5, s7, s8
	v_mul_lo_u32 v14, s3, v12
	v_mul_lo_u32 v13, s2, v13
	v_mad_u64_u32 v[10:11], s[2:3], s2, v12, 0
	s_mul_hi_u32 s7, s6, s8
	s_mul_i32 s4, s6, s8
	s_add_i32 s5, s7, s5
	s_lshl_b64 s[4:5], s[4:5], 4
	v_fma_f64 v[4:5], s[14:15], v[8:9], -v[0:1]
	v_fma_f64 v[6:7], s[16:17], v[8:9], v[6:7]
	v_add3_u32 v11, v11, v13, v14
	s_add_u32 s0, s0, s4
	v_lshlrev_b64 v[0:1], 4, v[10:11]
	s_addc_u32 s1, s1, s5
	v_mov_b32_e32 v8, s1
	v_add_co_u32_e32 v9, vcc, s0, v0
	v_addc_co_u32_e32 v8, vcc, v8, v1, vcc
	v_lshlrev_b64 v[0:1], 4, v[2:3]
	v_add_co_u32_e32 v0, vcc, v9, v0
	v_addc_co_u32_e32 v1, vcc, v8, v1, vcc
	global_store_dwordx4 v[0:1], v[4:7], off
.LBB1196_5:
	s_endpgm
.LBB1196_6:
	v_mov_b32_e32 v10, 0
	v_mov_b32_e32 v8, 0
	v_mov_b32_e32 v11, 0
	v_mov_b32_e32 v9, 0
	v_cmp_le_i32_e32 vcc, v2, v12
	s_and_saveexec_b64 s[0:1], vcc
	s_cbranch_execnz .LBB1196_4
	s_branch .LBB1196_5
	.section	.rodata,"a",@progbits
	.p2align	6, 0x0
	.amdhsa_kernel _ZL41rocblas_syrkx_herkx_small_restrict_kernelIl19rocblas_complex_numIdELi16ELb1ELb0ELc84ELc85EKS1_S1_EviT_T0_PT6_S3_lS6_S3_lS4_PT7_S3_li
		.amdhsa_group_segment_fixed_size 8192
		.amdhsa_private_segment_fixed_size 0
		.amdhsa_kernarg_size 124
		.amdhsa_user_sgpr_count 6
		.amdhsa_user_sgpr_private_segment_buffer 1
		.amdhsa_user_sgpr_dispatch_ptr 0
		.amdhsa_user_sgpr_queue_ptr 0
		.amdhsa_user_sgpr_kernarg_segment_ptr 1
		.amdhsa_user_sgpr_dispatch_id 0
		.amdhsa_user_sgpr_flat_scratch_init 0
		.amdhsa_user_sgpr_private_segment_size 0
		.amdhsa_uses_dynamic_stack 0
		.amdhsa_system_sgpr_private_segment_wavefront_offset 0
		.amdhsa_system_sgpr_workgroup_id_x 1
		.amdhsa_system_sgpr_workgroup_id_y 1
		.amdhsa_system_sgpr_workgroup_id_z 1
		.amdhsa_system_sgpr_workgroup_info 0
		.amdhsa_system_vgpr_workitem_id 1
		.amdhsa_next_free_vgpr 40
		.amdhsa_next_free_sgpr 61
		.amdhsa_reserve_vcc 1
		.amdhsa_reserve_flat_scratch 0
		.amdhsa_float_round_mode_32 0
		.amdhsa_float_round_mode_16_64 0
		.amdhsa_float_denorm_mode_32 3
		.amdhsa_float_denorm_mode_16_64 3
		.amdhsa_dx10_clamp 1
		.amdhsa_ieee_mode 1
		.amdhsa_fp16_overflow 0
		.amdhsa_exception_fp_ieee_invalid_op 0
		.amdhsa_exception_fp_denorm_src 0
		.amdhsa_exception_fp_ieee_div_zero 0
		.amdhsa_exception_fp_ieee_overflow 0
		.amdhsa_exception_fp_ieee_underflow 0
		.amdhsa_exception_fp_ieee_inexact 0
		.amdhsa_exception_int_div_zero 0
	.end_amdhsa_kernel
	.section	.text._ZL41rocblas_syrkx_herkx_small_restrict_kernelIl19rocblas_complex_numIdELi16ELb1ELb0ELc84ELc85EKS1_S1_EviT_T0_PT6_S3_lS6_S3_lS4_PT7_S3_li,"axG",@progbits,_ZL41rocblas_syrkx_herkx_small_restrict_kernelIl19rocblas_complex_numIdELi16ELb1ELb0ELc84ELc85EKS1_S1_EviT_T0_PT6_S3_lS6_S3_lS4_PT7_S3_li,comdat
.Lfunc_end1196:
	.size	_ZL41rocblas_syrkx_herkx_small_restrict_kernelIl19rocblas_complex_numIdELi16ELb1ELb0ELc84ELc85EKS1_S1_EviT_T0_PT6_S3_lS6_S3_lS4_PT7_S3_li, .Lfunc_end1196-_ZL41rocblas_syrkx_herkx_small_restrict_kernelIl19rocblas_complex_numIdELi16ELb1ELb0ELc84ELc85EKS1_S1_EviT_T0_PT6_S3_lS6_S3_lS4_PT7_S3_li
                                        ; -- End function
	.set _ZL41rocblas_syrkx_herkx_small_restrict_kernelIl19rocblas_complex_numIdELi16ELb1ELb0ELc84ELc85EKS1_S1_EviT_T0_PT6_S3_lS6_S3_lS4_PT7_S3_li.num_vgpr, 40
	.set _ZL41rocblas_syrkx_herkx_small_restrict_kernelIl19rocblas_complex_numIdELi16ELb1ELb0ELc84ELc85EKS1_S1_EviT_T0_PT6_S3_lS6_S3_lS4_PT7_S3_li.num_agpr, 0
	.set _ZL41rocblas_syrkx_herkx_small_restrict_kernelIl19rocblas_complex_numIdELi16ELb1ELb0ELc84ELc85EKS1_S1_EviT_T0_PT6_S3_lS6_S3_lS4_PT7_S3_li.numbered_sgpr, 28
	.set _ZL41rocblas_syrkx_herkx_small_restrict_kernelIl19rocblas_complex_numIdELi16ELb1ELb0ELc84ELc85EKS1_S1_EviT_T0_PT6_S3_lS6_S3_lS4_PT7_S3_li.num_named_barrier, 0
	.set _ZL41rocblas_syrkx_herkx_small_restrict_kernelIl19rocblas_complex_numIdELi16ELb1ELb0ELc84ELc85EKS1_S1_EviT_T0_PT6_S3_lS6_S3_lS4_PT7_S3_li.private_seg_size, 0
	.set _ZL41rocblas_syrkx_herkx_small_restrict_kernelIl19rocblas_complex_numIdELi16ELb1ELb0ELc84ELc85EKS1_S1_EviT_T0_PT6_S3_lS6_S3_lS4_PT7_S3_li.uses_vcc, 1
	.set _ZL41rocblas_syrkx_herkx_small_restrict_kernelIl19rocblas_complex_numIdELi16ELb1ELb0ELc84ELc85EKS1_S1_EviT_T0_PT6_S3_lS6_S3_lS4_PT7_S3_li.uses_flat_scratch, 0
	.set _ZL41rocblas_syrkx_herkx_small_restrict_kernelIl19rocblas_complex_numIdELi16ELb1ELb0ELc84ELc85EKS1_S1_EviT_T0_PT6_S3_lS6_S3_lS4_PT7_S3_li.has_dyn_sized_stack, 0
	.set _ZL41rocblas_syrkx_herkx_small_restrict_kernelIl19rocblas_complex_numIdELi16ELb1ELb0ELc84ELc85EKS1_S1_EviT_T0_PT6_S3_lS6_S3_lS4_PT7_S3_li.has_recursion, 0
	.set _ZL41rocblas_syrkx_herkx_small_restrict_kernelIl19rocblas_complex_numIdELi16ELb1ELb0ELc84ELc85EKS1_S1_EviT_T0_PT6_S3_lS6_S3_lS4_PT7_S3_li.has_indirect_call, 0
	.section	.AMDGPU.csdata,"",@progbits
; Kernel info:
; codeLenInByte = 1692
; TotalNumSgprs: 32
; NumVgprs: 40
; ScratchSize: 0
; MemoryBound: 0
; FloatMode: 240
; IeeeMode: 1
; LDSByteSize: 8192 bytes/workgroup (compile time only)
; SGPRBlocks: 8
; VGPRBlocks: 9
; NumSGPRsForWavesPerEU: 65
; NumVGPRsForWavesPerEU: 40
; Occupancy: 6
; WaveLimiterHint : 0
; COMPUTE_PGM_RSRC2:SCRATCH_EN: 0
; COMPUTE_PGM_RSRC2:USER_SGPR: 6
; COMPUTE_PGM_RSRC2:TRAP_HANDLER: 0
; COMPUTE_PGM_RSRC2:TGID_X_EN: 1
; COMPUTE_PGM_RSRC2:TGID_Y_EN: 1
; COMPUTE_PGM_RSRC2:TGID_Z_EN: 1
; COMPUTE_PGM_RSRC2:TIDIG_COMP_CNT: 1
	.section	.text._ZL41rocblas_syrkx_herkx_small_restrict_kernelIl19rocblas_complex_numIdELi16ELb1ELb0ELc67ELc85EKS1_S1_EviT_T0_PT6_S3_lS6_S3_lS4_PT7_S3_li,"axG",@progbits,_ZL41rocblas_syrkx_herkx_small_restrict_kernelIl19rocblas_complex_numIdELi16ELb1ELb0ELc67ELc85EKS1_S1_EviT_T0_PT6_S3_lS6_S3_lS4_PT7_S3_li,comdat
	.globl	_ZL41rocblas_syrkx_herkx_small_restrict_kernelIl19rocblas_complex_numIdELi16ELb1ELb0ELc67ELc85EKS1_S1_EviT_T0_PT6_S3_lS6_S3_lS4_PT7_S3_li ; -- Begin function _ZL41rocblas_syrkx_herkx_small_restrict_kernelIl19rocblas_complex_numIdELi16ELb1ELb0ELc67ELc85EKS1_S1_EviT_T0_PT6_S3_lS6_S3_lS4_PT7_S3_li
	.p2align	8
	.type	_ZL41rocblas_syrkx_herkx_small_restrict_kernelIl19rocblas_complex_numIdELi16ELb1ELb0ELc67ELc85EKS1_S1_EviT_T0_PT6_S3_lS6_S3_lS4_PT7_S3_li,@function
_ZL41rocblas_syrkx_herkx_small_restrict_kernelIl19rocblas_complex_numIdELi16ELb1ELb0ELc67ELc85EKS1_S1_EviT_T0_PT6_S3_lS6_S3_lS4_PT7_S3_li: ; @_ZL41rocblas_syrkx_herkx_small_restrict_kernelIl19rocblas_complex_numIdELi16ELb1ELb0ELc67ELc85EKS1_S1_EviT_T0_PT6_S3_lS6_S3_lS4_PT7_S3_li
; %bb.0:
	s_load_dwordx16 s[12:27], s[4:5], 0x8
	v_lshl_add_u32 v2, s6, 4, v0
	v_lshl_add_u32 v12, s7, 4, v1
	v_ashrrev_i32_e32 v3, 31, v2
	v_ashrrev_i32_e32 v13, 31, v12
	s_waitcnt lgkmcnt(0)
	v_cmp_lt_i64_e64 s[0:1], s[12:13], 1
	s_and_b64 vcc, exec, s[0:1]
	s_cbranch_vccnz .LBB1197_6
; %bb.1:
	s_load_dwordx2 s[0:1], s[4:5], 0x48
	v_lshlrev_b32_e32 v14, 4, v0
	v_mul_lo_u32 v0, s27, v12
	v_mul_lo_u32 v7, s26, v13
	v_mad_u64_u32 v[4:5], s[2:3], s26, v12, 0
	s_waitcnt lgkmcnt(0)
	s_mul_i32 s1, s1, s8
	s_mul_hi_u32 s2, s0, s8
	v_add3_u32 v5, v5, v7, v0
	v_lshlrev_b64 v[4:5], 4, v[4:5]
	s_add_i32 s1, s2, s1
	s_mul_i32 s0, s0, s8
	v_lshlrev_b32_e32 v6, 8, v1
	s_lshl_b64 s[0:1], s[0:1], 4
	v_add_u32_e32 v15, v14, v6
	v_add_u32_e32 v16, 0x1000, v6
	v_mov_b32_e32 v0, s1
	v_add_co_u32_e32 v4, vcc, s0, v4
	v_mul_lo_u32 v8, s21, v2
	v_mul_lo_u32 v9, s20, v3
	v_mad_u64_u32 v[6:7], s[0:1], s20, v2, 0
	v_addc_co_u32_e32 v0, vcc, v5, v0, vcc
	v_add_co_u32_e32 v4, vcc, v4, v14
	v_addc_co_u32_e32 v0, vcc, 0, v0, vcc
	v_add3_u32 v7, v7, v9, v8
	s_mul_i32 s0, s23, s8
	s_mul_hi_u32 s1, s22, s8
	v_mov_b32_e32 v5, s25
	v_add_co_u32_e32 v4, vcc, s24, v4
	v_lshlrev_b64 v[6:7], 4, v[6:7]
	s_add_i32 s1, s1, s0
	s_mul_i32 s0, s22, s8
	v_addc_co_u32_e32 v5, vcc, v5, v0, vcc
	s_lshl_b64 s[0:1], s[0:1], 4
	v_mov_b32_e32 v0, s1
	v_add_co_u32_e32 v6, vcc, s0, v6
	v_addc_co_u32_e32 v0, vcc, v7, v0, vcc
	v_lshlrev_b32_e32 v1, 4, v1
	v_add_co_u32_e32 v1, vcc, v6, v1
	v_addc_co_u32_e32 v0, vcc, 0, v0, vcc
	v_mov_b32_e32 v6, s19
	v_add_co_u32_e32 v1, vcc, s18, v1
	v_addc_co_u32_e32 v6, vcc, v6, v0, vcc
	v_add_co_u32_e32 v0, vcc, 8, v1
	v_addc_co_u32_e32 v1, vcc, 0, v6, vcc
	v_mov_b32_e32 v10, 0
	v_mov_b32_e32 v8, 0
	;; [unrolled: 1-line block ×3, first 2 shown]
	v_add_u32_e32 v17, v16, v14
	v_mov_b32_e32 v11, 0
	s_mov_b64 s[0:1], 0
	v_mov_b32_e32 v9, 0
	v_mov_b32_e32 v7, s13
.LBB1197_2:                             ; =>This Inner Loop Header: Depth=1
	global_load_dwordx4 v[18:21], v[0:1], off offset:-8
	s_add_u32 s0, s0, 16
	s_addc_u32 s1, s1, 0
	s_waitcnt vmcnt(0)
	ds_write_b128 v15, v[18:21]
	global_load_dwordx4 v[18:21], v[4:5], off
	v_add_co_u32_e32 v4, vcc, 0x100, v4
	v_addc_co_u32_e32 v5, vcc, 0, v5, vcc
	v_add_co_u32_e32 v0, vcc, 0x100, v0
	v_addc_co_u32_e32 v1, vcc, 0, v1, vcc
	v_cmp_lt_i64_e32 vcc, s[0:1], v[6:7]
	s_and_b64 vcc, exec, vcc
	s_waitcnt vmcnt(0)
	ds_write2_b64 v17, v[18:19], v[20:21] offset1:1
	s_waitcnt lgkmcnt(0)
	s_barrier
	ds_read_b128 v[18:21], v16
	ds_read_b128 v[22:25], v16 offset:16
	ds_read_b128 v[26:29], v16 offset:32
	;; [unrolled: 1-line block ×3, first 2 shown]
	ds_read_b128 v[34:37], v14
	s_waitcnt lgkmcnt(0)
	v_mul_f64 v[38:39], v[20:21], v[36:37]
	v_fma_f64 v[38:39], v[18:19], v[34:35], -v[38:39]
	v_mul_f64 v[18:19], v[18:19], v[36:37]
	v_fma_f64 v[18:19], v[20:21], v[34:35], v[18:19]
	v_add_f64 v[20:21], v[8:9], v[38:39]
	v_add_f64 v[18:19], v[10:11], v[18:19]
	ds_read_b128 v[8:11], v14 offset:256
	s_waitcnt lgkmcnt(0)
	v_mul_f64 v[34:35], v[24:25], v[10:11]
	v_mul_f64 v[10:11], v[22:23], v[10:11]
	v_fma_f64 v[34:35], v[22:23], v[8:9], -v[34:35]
	v_fma_f64 v[8:9], v[24:25], v[8:9], v[10:11]
	v_add_f64 v[20:21], v[20:21], v[34:35]
	v_add_f64 v[18:19], v[18:19], v[8:9]
	ds_read_b128 v[8:11], v14 offset:512
	s_waitcnt lgkmcnt(0)
	v_mul_f64 v[22:23], v[28:29], v[10:11]
	v_mul_f64 v[10:11], v[26:27], v[10:11]
	v_fma_f64 v[22:23], v[26:27], v[8:9], -v[22:23]
	;; [unrolled: 8-line block ×3, first 2 shown]
	v_fma_f64 v[8:9], v[32:33], v[8:9], v[10:11]
	v_add_f64 v[22:23], v[20:21], v[22:23]
	v_add_f64 v[24:25], v[18:19], v[8:9]
	ds_read_b128 v[8:11], v16 offset:64
	ds_read_b128 v[18:21], v14 offset:1024
	s_waitcnt lgkmcnt(0)
	v_mul_f64 v[26:27], v[10:11], v[20:21]
	v_fma_f64 v[26:27], v[8:9], v[18:19], -v[26:27]
	v_mul_f64 v[8:9], v[8:9], v[20:21]
	v_add_f64 v[22:23], v[22:23], v[26:27]
	v_fma_f64 v[8:9], v[10:11], v[18:19], v[8:9]
	v_add_f64 v[24:25], v[24:25], v[8:9]
	ds_read_b128 v[8:11], v16 offset:80
	ds_read_b128 v[18:21], v14 offset:1280
	s_waitcnt lgkmcnt(0)
	v_mul_f64 v[26:27], v[10:11], v[20:21]
	v_fma_f64 v[26:27], v[8:9], v[18:19], -v[26:27]
	v_mul_f64 v[8:9], v[8:9], v[20:21]
	v_add_f64 v[22:23], v[22:23], v[26:27]
	v_fma_f64 v[8:9], v[10:11], v[18:19], v[8:9]
	;; [unrolled: 9-line block ×11, first 2 shown]
	v_add_f64 v[24:25], v[24:25], v[8:9]
	ds_read_b128 v[8:11], v16 offset:240
	ds_read_b128 v[18:21], v14 offset:3840
	s_waitcnt lgkmcnt(0)
	s_barrier
	v_mul_f64 v[26:27], v[10:11], v[20:21]
	v_fma_f64 v[26:27], v[8:9], v[18:19], -v[26:27]
	v_mul_f64 v[8:9], v[8:9], v[20:21]
	v_fma_f64 v[10:11], v[10:11], v[18:19], v[8:9]
	v_add_f64 v[8:9], v[22:23], v[26:27]
	v_add_f64 v[10:11], v[24:25], v[10:11]
	s_cbranch_vccnz .LBB1197_2
; %bb.3:
	v_cmp_le_i32_e32 vcc, v2, v12
	s_and_saveexec_b64 s[0:1], vcc
	s_cbranch_execz .LBB1197_5
.LBB1197_4:
	s_load_dwordx2 s[6:7], s[4:5], 0x70
	s_load_dwordx4 s[0:3], s[4:5], 0x60
	v_mul_f64 v[0:1], s[16:17], v[10:11]
	v_mul_f64 v[6:7], s[14:15], v[10:11]
	s_waitcnt lgkmcnt(0)
	s_mul_i32 s5, s7, s8
	v_mul_lo_u32 v14, s3, v12
	v_mul_lo_u32 v13, s2, v13
	v_mad_u64_u32 v[10:11], s[2:3], s2, v12, 0
	s_mul_hi_u32 s7, s6, s8
	s_mul_i32 s4, s6, s8
	s_add_i32 s5, s7, s5
	s_lshl_b64 s[4:5], s[4:5], 4
	v_fma_f64 v[4:5], s[14:15], v[8:9], -v[0:1]
	v_fma_f64 v[6:7], s[16:17], v[8:9], v[6:7]
	v_add3_u32 v11, v11, v13, v14
	s_add_u32 s0, s0, s4
	v_lshlrev_b64 v[0:1], 4, v[10:11]
	s_addc_u32 s1, s1, s5
	v_mov_b32_e32 v8, s1
	v_add_co_u32_e32 v9, vcc, s0, v0
	v_addc_co_u32_e32 v8, vcc, v8, v1, vcc
	v_lshlrev_b64 v[0:1], 4, v[2:3]
	v_add_co_u32_e32 v0, vcc, v9, v0
	v_addc_co_u32_e32 v1, vcc, v8, v1, vcc
	global_store_dwordx4 v[0:1], v[4:7], off
.LBB1197_5:
	s_endpgm
.LBB1197_6:
	v_mov_b32_e32 v10, 0
	v_mov_b32_e32 v8, 0
	;; [unrolled: 1-line block ×4, first 2 shown]
	v_cmp_le_i32_e32 vcc, v2, v12
	s_and_saveexec_b64 s[0:1], vcc
	s_cbranch_execnz .LBB1197_4
	s_branch .LBB1197_5
	.section	.rodata,"a",@progbits
	.p2align	6, 0x0
	.amdhsa_kernel _ZL41rocblas_syrkx_herkx_small_restrict_kernelIl19rocblas_complex_numIdELi16ELb1ELb0ELc67ELc85EKS1_S1_EviT_T0_PT6_S3_lS6_S3_lS4_PT7_S3_li
		.amdhsa_group_segment_fixed_size 8192
		.amdhsa_private_segment_fixed_size 0
		.amdhsa_kernarg_size 124
		.amdhsa_user_sgpr_count 6
		.amdhsa_user_sgpr_private_segment_buffer 1
		.amdhsa_user_sgpr_dispatch_ptr 0
		.amdhsa_user_sgpr_queue_ptr 0
		.amdhsa_user_sgpr_kernarg_segment_ptr 1
		.amdhsa_user_sgpr_dispatch_id 0
		.amdhsa_user_sgpr_flat_scratch_init 0
		.amdhsa_user_sgpr_private_segment_size 0
		.amdhsa_uses_dynamic_stack 0
		.amdhsa_system_sgpr_private_segment_wavefront_offset 0
		.amdhsa_system_sgpr_workgroup_id_x 1
		.amdhsa_system_sgpr_workgroup_id_y 1
		.amdhsa_system_sgpr_workgroup_id_z 1
		.amdhsa_system_sgpr_workgroup_info 0
		.amdhsa_system_vgpr_workitem_id 1
		.amdhsa_next_free_vgpr 40
		.amdhsa_next_free_sgpr 61
		.amdhsa_reserve_vcc 1
		.amdhsa_reserve_flat_scratch 0
		.amdhsa_float_round_mode_32 0
		.amdhsa_float_round_mode_16_64 0
		.amdhsa_float_denorm_mode_32 3
		.amdhsa_float_denorm_mode_16_64 3
		.amdhsa_dx10_clamp 1
		.amdhsa_ieee_mode 1
		.amdhsa_fp16_overflow 0
		.amdhsa_exception_fp_ieee_invalid_op 0
		.amdhsa_exception_fp_denorm_src 0
		.amdhsa_exception_fp_ieee_div_zero 0
		.amdhsa_exception_fp_ieee_overflow 0
		.amdhsa_exception_fp_ieee_underflow 0
		.amdhsa_exception_fp_ieee_inexact 0
		.amdhsa_exception_int_div_zero 0
	.end_amdhsa_kernel
	.section	.text._ZL41rocblas_syrkx_herkx_small_restrict_kernelIl19rocblas_complex_numIdELi16ELb1ELb0ELc67ELc85EKS1_S1_EviT_T0_PT6_S3_lS6_S3_lS4_PT7_S3_li,"axG",@progbits,_ZL41rocblas_syrkx_herkx_small_restrict_kernelIl19rocblas_complex_numIdELi16ELb1ELb0ELc67ELc85EKS1_S1_EviT_T0_PT6_S3_lS6_S3_lS4_PT7_S3_li,comdat
.Lfunc_end1197:
	.size	_ZL41rocblas_syrkx_herkx_small_restrict_kernelIl19rocblas_complex_numIdELi16ELb1ELb0ELc67ELc85EKS1_S1_EviT_T0_PT6_S3_lS6_S3_lS4_PT7_S3_li, .Lfunc_end1197-_ZL41rocblas_syrkx_herkx_small_restrict_kernelIl19rocblas_complex_numIdELi16ELb1ELb0ELc67ELc85EKS1_S1_EviT_T0_PT6_S3_lS6_S3_lS4_PT7_S3_li
                                        ; -- End function
	.set _ZL41rocblas_syrkx_herkx_small_restrict_kernelIl19rocblas_complex_numIdELi16ELb1ELb0ELc67ELc85EKS1_S1_EviT_T0_PT6_S3_lS6_S3_lS4_PT7_S3_li.num_vgpr, 40
	.set _ZL41rocblas_syrkx_herkx_small_restrict_kernelIl19rocblas_complex_numIdELi16ELb1ELb0ELc67ELc85EKS1_S1_EviT_T0_PT6_S3_lS6_S3_lS4_PT7_S3_li.num_agpr, 0
	.set _ZL41rocblas_syrkx_herkx_small_restrict_kernelIl19rocblas_complex_numIdELi16ELb1ELb0ELc67ELc85EKS1_S1_EviT_T0_PT6_S3_lS6_S3_lS4_PT7_S3_li.numbered_sgpr, 28
	.set _ZL41rocblas_syrkx_herkx_small_restrict_kernelIl19rocblas_complex_numIdELi16ELb1ELb0ELc67ELc85EKS1_S1_EviT_T0_PT6_S3_lS6_S3_lS4_PT7_S3_li.num_named_barrier, 0
	.set _ZL41rocblas_syrkx_herkx_small_restrict_kernelIl19rocblas_complex_numIdELi16ELb1ELb0ELc67ELc85EKS1_S1_EviT_T0_PT6_S3_lS6_S3_lS4_PT7_S3_li.private_seg_size, 0
	.set _ZL41rocblas_syrkx_herkx_small_restrict_kernelIl19rocblas_complex_numIdELi16ELb1ELb0ELc67ELc85EKS1_S1_EviT_T0_PT6_S3_lS6_S3_lS4_PT7_S3_li.uses_vcc, 1
	.set _ZL41rocblas_syrkx_herkx_small_restrict_kernelIl19rocblas_complex_numIdELi16ELb1ELb0ELc67ELc85EKS1_S1_EviT_T0_PT6_S3_lS6_S3_lS4_PT7_S3_li.uses_flat_scratch, 0
	.set _ZL41rocblas_syrkx_herkx_small_restrict_kernelIl19rocblas_complex_numIdELi16ELb1ELb0ELc67ELc85EKS1_S1_EviT_T0_PT6_S3_lS6_S3_lS4_PT7_S3_li.has_dyn_sized_stack, 0
	.set _ZL41rocblas_syrkx_herkx_small_restrict_kernelIl19rocblas_complex_numIdELi16ELb1ELb0ELc67ELc85EKS1_S1_EviT_T0_PT6_S3_lS6_S3_lS4_PT7_S3_li.has_recursion, 0
	.set _ZL41rocblas_syrkx_herkx_small_restrict_kernelIl19rocblas_complex_numIdELi16ELb1ELb0ELc67ELc85EKS1_S1_EviT_T0_PT6_S3_lS6_S3_lS4_PT7_S3_li.has_indirect_call, 0
	.section	.AMDGPU.csdata,"",@progbits
; Kernel info:
; codeLenInByte = 1700
; TotalNumSgprs: 32
; NumVgprs: 40
; ScratchSize: 0
; MemoryBound: 0
; FloatMode: 240
; IeeeMode: 1
; LDSByteSize: 8192 bytes/workgroup (compile time only)
; SGPRBlocks: 8
; VGPRBlocks: 9
; NumSGPRsForWavesPerEU: 65
; NumVGPRsForWavesPerEU: 40
; Occupancy: 6
; WaveLimiterHint : 0
; COMPUTE_PGM_RSRC2:SCRATCH_EN: 0
; COMPUTE_PGM_RSRC2:USER_SGPR: 6
; COMPUTE_PGM_RSRC2:TRAP_HANDLER: 0
; COMPUTE_PGM_RSRC2:TGID_X_EN: 1
; COMPUTE_PGM_RSRC2:TGID_Y_EN: 1
; COMPUTE_PGM_RSRC2:TGID_Z_EN: 1
; COMPUTE_PGM_RSRC2:TIDIG_COMP_CNT: 1
	.section	.text._ZL41rocblas_syrkx_herkx_small_restrict_kernelIl19rocblas_complex_numIdELi16ELb1ELb0ELc78ELc85EKS1_S1_EviT_T0_PT6_S3_lS6_S3_lS4_PT7_S3_li,"axG",@progbits,_ZL41rocblas_syrkx_herkx_small_restrict_kernelIl19rocblas_complex_numIdELi16ELb1ELb0ELc78ELc85EKS1_S1_EviT_T0_PT6_S3_lS6_S3_lS4_PT7_S3_li,comdat
	.globl	_ZL41rocblas_syrkx_herkx_small_restrict_kernelIl19rocblas_complex_numIdELi16ELb1ELb0ELc78ELc85EKS1_S1_EviT_T0_PT6_S3_lS6_S3_lS4_PT7_S3_li ; -- Begin function _ZL41rocblas_syrkx_herkx_small_restrict_kernelIl19rocblas_complex_numIdELi16ELb1ELb0ELc78ELc85EKS1_S1_EviT_T0_PT6_S3_lS6_S3_lS4_PT7_S3_li
	.p2align	8
	.type	_ZL41rocblas_syrkx_herkx_small_restrict_kernelIl19rocblas_complex_numIdELi16ELb1ELb0ELc78ELc85EKS1_S1_EviT_T0_PT6_S3_lS6_S3_lS4_PT7_S3_li,@function
_ZL41rocblas_syrkx_herkx_small_restrict_kernelIl19rocblas_complex_numIdELi16ELb1ELb0ELc78ELc85EKS1_S1_EviT_T0_PT6_S3_lS6_S3_lS4_PT7_S3_li: ; @_ZL41rocblas_syrkx_herkx_small_restrict_kernelIl19rocblas_complex_numIdELi16ELb1ELb0ELc78ELc85EKS1_S1_EviT_T0_PT6_S3_lS6_S3_lS4_PT7_S3_li
; %bb.0:
	s_load_dwordx16 s[12:27], s[4:5], 0x8
	v_lshl_add_u32 v2, s6, 4, v0
	v_lshl_add_u32 v4, s7, 4, v1
	v_ashrrev_i32_e32 v3, 31, v2
	v_ashrrev_i32_e32 v5, 31, v4
	s_waitcnt lgkmcnt(0)
	v_cmp_lt_i64_e64 s[0:1], s[12:13], 1
	s_and_b64 vcc, exec, s[0:1]
	s_cbranch_vccnz .LBB1198_6
; %bb.1:
	v_lshlrev_b32_e32 v6, 8, v1
	v_lshlrev_b32_e32 v14, 4, v0
	v_add_u32_e32 v15, v14, v6
	v_add_u32_e32 v16, 0x1000, v6
	v_mad_u64_u32 v[6:7], s[2:3], s26, v0, 0
	s_load_dwordx2 s[0:1], s[4:5], 0x48
	s_mul_hi_u32 s7, s22, s8
	v_mad_u64_u32 v[7:8], s[2:3], s27, v0, v[7:8]
	v_mov_b32_e32 v10, 0
	s_waitcnt lgkmcnt(0)
	s_mul_i32 s1, s1, s8
	s_mul_hi_u32 s6, s0, s8
	s_add_i32 s1, s6, s1
	s_mul_i32 s0, s0, s8
	v_lshlrev_b64 v[6:7], 4, v[6:7]
	s_lshl_b64 s[0:1], s[0:1], 4
	v_mov_b32_e32 v0, s1
	v_add_co_u32_e32 v8, vcc, s0, v6
	v_addc_co_u32_e32 v0, vcc, v0, v7, vcc
	v_lshlrev_b64 v[6:7], 4, v[4:5]
	s_mul_i32 s6, s23, s8
	v_add_co_u32_e32 v6, vcc, v8, v6
	v_addc_co_u32_e32 v0, vcc, v0, v7, vcc
	v_mad_u64_u32 v[8:9], s[0:1], s20, v1, 0
	v_mov_b32_e32 v7, s25
	v_add_co_u32_e32 v6, vcc, s24, v6
	v_addc_co_u32_e32 v0, vcc, v7, v0, vcc
	v_add_co_u32_e32 v6, vcc, 8, v6
	v_addc_co_u32_e32 v7, vcc, 0, v0, vcc
	v_mov_b32_e32 v0, v9
	v_mad_u64_u32 v[0:1], s[2:3], s21, v1, v[0:1]
	s_add_i32 s3, s7, s6
	s_mul_i32 s2, s22, s8
	v_mov_b32_e32 v9, v0
	v_lshlrev_b64 v[0:1], 4, v[8:9]
	s_lshl_b64 s[2:3], s[2:3], 4
	v_mov_b32_e32 v8, s3
	v_add_co_u32_e32 v9, vcc, s2, v0
	v_addc_co_u32_e32 v8, vcc, v8, v1, vcc
	v_lshlrev_b64 v[0:1], 4, v[2:3]
	s_lshl_b64 s[0:1], s[26:27], 8
	v_add_co_u32_e32 v0, vcc, v9, v0
	v_addc_co_u32_e32 v1, vcc, v8, v1, vcc
	v_mov_b32_e32 v8, s19
	v_add_co_u32_e32 v0, vcc, s18, v0
	v_addc_co_u32_e32 v1, vcc, v8, v1, vcc
	s_lshl_b64 s[2:3], s[20:21], 8
	v_mov_b32_e32 v12, 0
	v_mov_b32_e32 v8, s12
	v_add_u32_e32 v17, v16, v14
	v_mov_b32_e32 v11, 0
	s_mov_b64 s[6:7], 0
	v_mov_b32_e32 v18, s1
	v_mov_b32_e32 v19, s3
	v_mov_b32_e32 v13, 0
	v_mov_b32_e32 v9, s13
.LBB1198_2:                             ; =>This Inner Loop Header: Depth=1
	global_load_dwordx4 v[20:23], v[0:1], off
	s_add_u32 s6, s6, 16
	s_addc_u32 s7, s7, 0
	s_waitcnt vmcnt(0)
	ds_write2_b64 v15, v[20:21], v[22:23] offset1:1
	global_load_dwordx4 v[20:23], v[6:7], off offset:-8
	v_add_co_u32_e32 v6, vcc, s0, v6
	v_addc_co_u32_e32 v7, vcc, v7, v18, vcc
	v_add_co_u32_e32 v0, vcc, s2, v0
	v_addc_co_u32_e32 v1, vcc, v1, v19, vcc
	v_cmp_lt_i64_e32 vcc, s[6:7], v[8:9]
	s_and_b64 vcc, exec, vcc
	s_waitcnt vmcnt(0)
	ds_write_b128 v17, v[20:23]
	s_waitcnt lgkmcnt(0)
	s_barrier
	ds_read_b128 v[20:23], v16
	ds_read_b128 v[24:27], v16 offset:16
	ds_read_b128 v[28:31], v16 offset:32
	;; [unrolled: 1-line block ×3, first 2 shown]
	ds_read_b128 v[36:39], v14
	s_waitcnt lgkmcnt(0)
	v_mul_f64 v[40:41], v[22:23], v[38:39]
	v_fma_f64 v[40:41], v[20:21], v[36:37], -v[40:41]
	v_mul_f64 v[20:21], v[20:21], v[38:39]
	v_fma_f64 v[20:21], v[22:23], v[36:37], v[20:21]
	v_add_f64 v[22:23], v[12:13], v[40:41]
	v_add_f64 v[20:21], v[10:11], v[20:21]
	ds_read_b128 v[10:13], v14 offset:256
	s_waitcnt lgkmcnt(0)
	v_mul_f64 v[36:37], v[26:27], v[12:13]
	v_mul_f64 v[12:13], v[24:25], v[12:13]
	v_fma_f64 v[36:37], v[24:25], v[10:11], -v[36:37]
	v_fma_f64 v[10:11], v[26:27], v[10:11], v[12:13]
	v_add_f64 v[22:23], v[22:23], v[36:37]
	v_add_f64 v[20:21], v[20:21], v[10:11]
	ds_read_b128 v[10:13], v14 offset:512
	s_waitcnt lgkmcnt(0)
	v_mul_f64 v[24:25], v[30:31], v[12:13]
	v_mul_f64 v[12:13], v[28:29], v[12:13]
	v_fma_f64 v[24:25], v[28:29], v[10:11], -v[24:25]
	;; [unrolled: 8-line block ×3, first 2 shown]
	v_fma_f64 v[10:11], v[34:35], v[10:11], v[12:13]
	v_add_f64 v[24:25], v[22:23], v[24:25]
	v_add_f64 v[26:27], v[20:21], v[10:11]
	ds_read_b128 v[10:13], v16 offset:64
	ds_read_b128 v[20:23], v14 offset:1024
	s_waitcnt lgkmcnt(0)
	v_mul_f64 v[28:29], v[12:13], v[22:23]
	v_fma_f64 v[28:29], v[10:11], v[20:21], -v[28:29]
	v_mul_f64 v[10:11], v[10:11], v[22:23]
	v_add_f64 v[24:25], v[24:25], v[28:29]
	v_fma_f64 v[10:11], v[12:13], v[20:21], v[10:11]
	v_add_f64 v[26:27], v[26:27], v[10:11]
	ds_read_b128 v[10:13], v16 offset:80
	ds_read_b128 v[20:23], v14 offset:1280
	s_waitcnt lgkmcnt(0)
	v_mul_f64 v[28:29], v[12:13], v[22:23]
	v_fma_f64 v[28:29], v[10:11], v[20:21], -v[28:29]
	v_mul_f64 v[10:11], v[10:11], v[22:23]
	v_add_f64 v[24:25], v[24:25], v[28:29]
	v_fma_f64 v[10:11], v[12:13], v[20:21], v[10:11]
	;; [unrolled: 9-line block ×11, first 2 shown]
	v_add_f64 v[26:27], v[26:27], v[10:11]
	ds_read_b128 v[10:13], v16 offset:240
	ds_read_b128 v[20:23], v14 offset:3840
	s_waitcnt lgkmcnt(0)
	s_barrier
	v_mul_f64 v[28:29], v[12:13], v[22:23]
	v_fma_f64 v[28:29], v[10:11], v[20:21], -v[28:29]
	v_mul_f64 v[10:11], v[10:11], v[22:23]
	v_fma_f64 v[10:11], v[12:13], v[20:21], v[10:11]
	v_add_f64 v[12:13], v[24:25], v[28:29]
	v_add_f64 v[10:11], v[26:27], v[10:11]
	s_cbranch_vccnz .LBB1198_2
; %bb.3:
	v_cmp_le_i32_e32 vcc, v2, v4
	s_and_saveexec_b64 s[0:1], vcc
	s_cbranch_execz .LBB1198_5
.LBB1198_4:
	s_load_dwordx2 s[6:7], s[4:5], 0x70
	s_load_dwordx4 s[0:3], s[4:5], 0x60
	v_mul_f64 v[0:1], s[16:17], v[10:11]
	v_mul_f64 v[6:7], s[14:15], v[10:11]
	s_waitcnt lgkmcnt(0)
	s_mul_i32 s5, s7, s8
	v_mul_lo_u32 v10, s3, v4
	v_mul_lo_u32 v11, s2, v5
	v_mad_u64_u32 v[8:9], s[2:3], s2, v4, 0
	s_mul_hi_u32 s7, s6, s8
	s_mul_i32 s4, s6, s8
	s_add_i32 s5, s7, s5
	s_lshl_b64 s[4:5], s[4:5], 4
	v_fma_f64 v[4:5], s[14:15], v[12:13], -v[0:1]
	v_fma_f64 v[6:7], s[16:17], v[12:13], v[6:7]
	v_add3_u32 v9, v9, v11, v10
	s_add_u32 s0, s0, s4
	v_lshlrev_b64 v[0:1], 4, v[8:9]
	s_addc_u32 s1, s1, s5
	v_mov_b32_e32 v8, s1
	v_add_co_u32_e32 v9, vcc, s0, v0
	v_addc_co_u32_e32 v8, vcc, v8, v1, vcc
	v_lshlrev_b64 v[0:1], 4, v[2:3]
	v_add_co_u32_e32 v0, vcc, v9, v0
	v_addc_co_u32_e32 v1, vcc, v8, v1, vcc
	global_store_dwordx4 v[0:1], v[4:7], off
.LBB1198_5:
	s_endpgm
.LBB1198_6:
	v_mov_b32_e32 v10, 0
	v_mov_b32_e32 v12, 0
	;; [unrolled: 1-line block ×4, first 2 shown]
	v_cmp_le_i32_e32 vcc, v2, v4
	s_and_saveexec_b64 s[0:1], vcc
	s_cbranch_execnz .LBB1198_4
	s_branch .LBB1198_5
	.section	.rodata,"a",@progbits
	.p2align	6, 0x0
	.amdhsa_kernel _ZL41rocblas_syrkx_herkx_small_restrict_kernelIl19rocblas_complex_numIdELi16ELb1ELb0ELc78ELc85EKS1_S1_EviT_T0_PT6_S3_lS6_S3_lS4_PT7_S3_li
		.amdhsa_group_segment_fixed_size 8192
		.amdhsa_private_segment_fixed_size 0
		.amdhsa_kernarg_size 124
		.amdhsa_user_sgpr_count 6
		.amdhsa_user_sgpr_private_segment_buffer 1
		.amdhsa_user_sgpr_dispatch_ptr 0
		.amdhsa_user_sgpr_queue_ptr 0
		.amdhsa_user_sgpr_kernarg_segment_ptr 1
		.amdhsa_user_sgpr_dispatch_id 0
		.amdhsa_user_sgpr_flat_scratch_init 0
		.amdhsa_user_sgpr_private_segment_size 0
		.amdhsa_uses_dynamic_stack 0
		.amdhsa_system_sgpr_private_segment_wavefront_offset 0
		.amdhsa_system_sgpr_workgroup_id_x 1
		.amdhsa_system_sgpr_workgroup_id_y 1
		.amdhsa_system_sgpr_workgroup_id_z 1
		.amdhsa_system_sgpr_workgroup_info 0
		.amdhsa_system_vgpr_workitem_id 1
		.amdhsa_next_free_vgpr 42
		.amdhsa_next_free_sgpr 61
		.amdhsa_reserve_vcc 1
		.amdhsa_reserve_flat_scratch 0
		.amdhsa_float_round_mode_32 0
		.amdhsa_float_round_mode_16_64 0
		.amdhsa_float_denorm_mode_32 3
		.amdhsa_float_denorm_mode_16_64 3
		.amdhsa_dx10_clamp 1
		.amdhsa_ieee_mode 1
		.amdhsa_fp16_overflow 0
		.amdhsa_exception_fp_ieee_invalid_op 0
		.amdhsa_exception_fp_denorm_src 0
		.amdhsa_exception_fp_ieee_div_zero 0
		.amdhsa_exception_fp_ieee_overflow 0
		.amdhsa_exception_fp_ieee_underflow 0
		.amdhsa_exception_fp_ieee_inexact 0
		.amdhsa_exception_int_div_zero 0
	.end_amdhsa_kernel
	.section	.text._ZL41rocblas_syrkx_herkx_small_restrict_kernelIl19rocblas_complex_numIdELi16ELb1ELb0ELc78ELc85EKS1_S1_EviT_T0_PT6_S3_lS6_S3_lS4_PT7_S3_li,"axG",@progbits,_ZL41rocblas_syrkx_herkx_small_restrict_kernelIl19rocblas_complex_numIdELi16ELb1ELb0ELc78ELc85EKS1_S1_EviT_T0_PT6_S3_lS6_S3_lS4_PT7_S3_li,comdat
.Lfunc_end1198:
	.size	_ZL41rocblas_syrkx_herkx_small_restrict_kernelIl19rocblas_complex_numIdELi16ELb1ELb0ELc78ELc85EKS1_S1_EviT_T0_PT6_S3_lS6_S3_lS4_PT7_S3_li, .Lfunc_end1198-_ZL41rocblas_syrkx_herkx_small_restrict_kernelIl19rocblas_complex_numIdELi16ELb1ELb0ELc78ELc85EKS1_S1_EviT_T0_PT6_S3_lS6_S3_lS4_PT7_S3_li
                                        ; -- End function
	.set _ZL41rocblas_syrkx_herkx_small_restrict_kernelIl19rocblas_complex_numIdELi16ELb1ELb0ELc78ELc85EKS1_S1_EviT_T0_PT6_S3_lS6_S3_lS4_PT7_S3_li.num_vgpr, 42
	.set _ZL41rocblas_syrkx_herkx_small_restrict_kernelIl19rocblas_complex_numIdELi16ELb1ELb0ELc78ELc85EKS1_S1_EviT_T0_PT6_S3_lS6_S3_lS4_PT7_S3_li.num_agpr, 0
	.set _ZL41rocblas_syrkx_herkx_small_restrict_kernelIl19rocblas_complex_numIdELi16ELb1ELb0ELc78ELc85EKS1_S1_EviT_T0_PT6_S3_lS6_S3_lS4_PT7_S3_li.numbered_sgpr, 28
	.set _ZL41rocblas_syrkx_herkx_small_restrict_kernelIl19rocblas_complex_numIdELi16ELb1ELb0ELc78ELc85EKS1_S1_EviT_T0_PT6_S3_lS6_S3_lS4_PT7_S3_li.num_named_barrier, 0
	.set _ZL41rocblas_syrkx_herkx_small_restrict_kernelIl19rocblas_complex_numIdELi16ELb1ELb0ELc78ELc85EKS1_S1_EviT_T0_PT6_S3_lS6_S3_lS4_PT7_S3_li.private_seg_size, 0
	.set _ZL41rocblas_syrkx_herkx_small_restrict_kernelIl19rocblas_complex_numIdELi16ELb1ELb0ELc78ELc85EKS1_S1_EviT_T0_PT6_S3_lS6_S3_lS4_PT7_S3_li.uses_vcc, 1
	.set _ZL41rocblas_syrkx_herkx_small_restrict_kernelIl19rocblas_complex_numIdELi16ELb1ELb0ELc78ELc85EKS1_S1_EviT_T0_PT6_S3_lS6_S3_lS4_PT7_S3_li.uses_flat_scratch, 0
	.set _ZL41rocblas_syrkx_herkx_small_restrict_kernelIl19rocblas_complex_numIdELi16ELb1ELb0ELc78ELc85EKS1_S1_EviT_T0_PT6_S3_lS6_S3_lS4_PT7_S3_li.has_dyn_sized_stack, 0
	.set _ZL41rocblas_syrkx_herkx_small_restrict_kernelIl19rocblas_complex_numIdELi16ELb1ELb0ELc78ELc85EKS1_S1_EviT_T0_PT6_S3_lS6_S3_lS4_PT7_S3_li.has_recursion, 0
	.set _ZL41rocblas_syrkx_herkx_small_restrict_kernelIl19rocblas_complex_numIdELi16ELb1ELb0ELc78ELc85EKS1_S1_EviT_T0_PT6_S3_lS6_S3_lS4_PT7_S3_li.has_indirect_call, 0
	.section	.AMDGPU.csdata,"",@progbits
; Kernel info:
; codeLenInByte = 1696
; TotalNumSgprs: 32
; NumVgprs: 42
; ScratchSize: 0
; MemoryBound: 0
; FloatMode: 240
; IeeeMode: 1
; LDSByteSize: 8192 bytes/workgroup (compile time only)
; SGPRBlocks: 8
; VGPRBlocks: 10
; NumSGPRsForWavesPerEU: 65
; NumVGPRsForWavesPerEU: 42
; Occupancy: 5
; WaveLimiterHint : 0
; COMPUTE_PGM_RSRC2:SCRATCH_EN: 0
; COMPUTE_PGM_RSRC2:USER_SGPR: 6
; COMPUTE_PGM_RSRC2:TRAP_HANDLER: 0
; COMPUTE_PGM_RSRC2:TGID_X_EN: 1
; COMPUTE_PGM_RSRC2:TGID_Y_EN: 1
; COMPUTE_PGM_RSRC2:TGID_Z_EN: 1
; COMPUTE_PGM_RSRC2:TIDIG_COMP_CNT: 1
	.section	.text._ZL41rocblas_syrkx_herkx_small_restrict_kernelIl19rocblas_complex_numIdELi16ELb0ELb0ELc84ELc76EKS1_S1_EviT_T0_PT6_S3_lS6_S3_lS4_PT7_S3_li,"axG",@progbits,_ZL41rocblas_syrkx_herkx_small_restrict_kernelIl19rocblas_complex_numIdELi16ELb0ELb0ELc84ELc76EKS1_S1_EviT_T0_PT6_S3_lS6_S3_lS4_PT7_S3_li,comdat
	.globl	_ZL41rocblas_syrkx_herkx_small_restrict_kernelIl19rocblas_complex_numIdELi16ELb0ELb0ELc84ELc76EKS1_S1_EviT_T0_PT6_S3_lS6_S3_lS4_PT7_S3_li ; -- Begin function _ZL41rocblas_syrkx_herkx_small_restrict_kernelIl19rocblas_complex_numIdELi16ELb0ELb0ELc84ELc76EKS1_S1_EviT_T0_PT6_S3_lS6_S3_lS4_PT7_S3_li
	.p2align	8
	.type	_ZL41rocblas_syrkx_herkx_small_restrict_kernelIl19rocblas_complex_numIdELi16ELb0ELb0ELc84ELc76EKS1_S1_EviT_T0_PT6_S3_lS6_S3_lS4_PT7_S3_li,@function
_ZL41rocblas_syrkx_herkx_small_restrict_kernelIl19rocblas_complex_numIdELi16ELb0ELb0ELc84ELc76EKS1_S1_EviT_T0_PT6_S3_lS6_S3_lS4_PT7_S3_li: ; @_ZL41rocblas_syrkx_herkx_small_restrict_kernelIl19rocblas_complex_numIdELi16ELb0ELb0ELc84ELc76EKS1_S1_EviT_T0_PT6_S3_lS6_S3_lS4_PT7_S3_li
; %bb.0:
	s_load_dwordx16 s[12:27], s[4:5], 0x8
	s_load_dwordx4 s[0:3], s[4:5], 0x68
	s_load_dwordx8 s[36:43], s[4:5], 0x48
	v_lshl_add_u32 v2, s6, 4, v0
	v_lshl_add_u32 v12, s7, 4, v1
	s_waitcnt lgkmcnt(0)
	v_cmp_lt_i64_e64 s[4:5], s[12:13], 1
	v_ashrrev_i32_e32 v3, 31, v2
	s_and_b64 vcc, exec, s[4:5]
	v_ashrrev_i32_e32 v13, 31, v12
	s_cbranch_vccnz .LBB1199_6
; %bb.1:
	v_lshlrev_b32_e32 v14, 4, v0
	v_mul_lo_u32 v0, s27, v12
	v_mul_lo_u32 v7, s26, v13
	v_mad_u64_u32 v[4:5], s[4:5], s26, v12, 0
	s_mul_i32 s4, s37, s8
	s_mul_hi_u32 s5, s36, s8
	v_add3_u32 v5, v5, v7, v0
	v_lshlrev_b64 v[4:5], 4, v[4:5]
	s_add_i32 s5, s5, s4
	s_mul_i32 s4, s36, s8
	v_lshlrev_b32_e32 v6, 8, v1
	s_lshl_b64 s[4:5], s[4:5], 4
	v_add_u32_e32 v15, v14, v6
	v_add_u32_e32 v16, 0x1000, v6
	v_mov_b32_e32 v0, s5
	v_add_co_u32_e32 v4, vcc, s4, v4
	v_mul_lo_u32 v8, s21, v2
	v_mul_lo_u32 v9, s20, v3
	v_mad_u64_u32 v[6:7], s[4:5], s20, v2, 0
	v_addc_co_u32_e32 v0, vcc, v5, v0, vcc
	v_add_co_u32_e32 v4, vcc, v4, v14
	v_addc_co_u32_e32 v0, vcc, 0, v0, vcc
	v_add3_u32 v7, v7, v9, v8
	s_mul_i32 s4, s23, s8
	s_mul_hi_u32 s5, s22, s8
	v_mov_b32_e32 v5, s25
	v_add_co_u32_e32 v4, vcc, s24, v4
	v_lshlrev_b64 v[6:7], 4, v[6:7]
	s_add_i32 s5, s5, s4
	s_mul_i32 s4, s22, s8
	v_addc_co_u32_e32 v5, vcc, v5, v0, vcc
	s_lshl_b64 s[4:5], s[4:5], 4
	v_mov_b32_e32 v0, s5
	v_add_co_u32_e32 v6, vcc, s4, v6
	v_addc_co_u32_e32 v0, vcc, v7, v0, vcc
	v_lshlrev_b32_e32 v1, 4, v1
	v_add_co_u32_e32 v1, vcc, v6, v1
	v_addc_co_u32_e32 v6, vcc, 0, v0, vcc
	v_mov_b32_e32 v7, s19
	v_add_co_u32_e32 v0, vcc, s18, v1
	v_addc_co_u32_e32 v1, vcc, v7, v6, vcc
	v_mov_b32_e32 v8, 0
	v_mov_b32_e32 v10, 0
	;; [unrolled: 1-line block ×3, first 2 shown]
	v_add_u32_e32 v17, v16, v14
	v_mov_b32_e32 v9, 0
	s_mov_b64 s[4:5], 0
	v_mov_b32_e32 v11, 0
	v_mov_b32_e32 v7, s13
.LBB1199_2:                             ; =>This Inner Loop Header: Depth=1
	global_load_dwordx4 v[18:21], v[0:1], off
	s_add_u32 s4, s4, 16
	s_addc_u32 s5, s5, 0
	s_waitcnt vmcnt(0)
	ds_write2_b64 v15, v[18:19], v[20:21] offset1:1
	global_load_dwordx4 v[18:21], v[4:5], off
	v_add_co_u32_e32 v4, vcc, 0x100, v4
	v_addc_co_u32_e32 v5, vcc, 0, v5, vcc
	v_add_co_u32_e32 v0, vcc, 0x100, v0
	v_addc_co_u32_e32 v1, vcc, 0, v1, vcc
	v_cmp_lt_i64_e32 vcc, s[4:5], v[6:7]
	s_and_b64 vcc, exec, vcc
	s_waitcnt vmcnt(0)
	ds_write2_b64 v17, v[18:19], v[20:21] offset1:1
	s_waitcnt lgkmcnt(0)
	s_barrier
	ds_read_b128 v[18:21], v16
	ds_read_b128 v[22:25], v16 offset:16
	ds_read_b128 v[26:29], v16 offset:32
	ds_read_b128 v[30:33], v16 offset:48
	ds_read_b128 v[34:37], v14
	s_waitcnt lgkmcnt(0)
	v_mul_f64 v[38:39], v[20:21], v[36:37]
	v_fma_f64 v[38:39], v[18:19], v[34:35], -v[38:39]
	v_mul_f64 v[18:19], v[18:19], v[36:37]
	v_fma_f64 v[18:19], v[20:21], v[34:35], v[18:19]
	v_add_f64 v[20:21], v[10:11], v[38:39]
	v_add_f64 v[18:19], v[8:9], v[18:19]
	ds_read_b128 v[8:11], v14 offset:256
	s_waitcnt lgkmcnt(0)
	v_mul_f64 v[34:35], v[24:25], v[10:11]
	v_mul_f64 v[10:11], v[22:23], v[10:11]
	v_fma_f64 v[34:35], v[22:23], v[8:9], -v[34:35]
	v_fma_f64 v[8:9], v[24:25], v[8:9], v[10:11]
	v_add_f64 v[20:21], v[20:21], v[34:35]
	v_add_f64 v[18:19], v[18:19], v[8:9]
	ds_read_b128 v[8:11], v14 offset:512
	s_waitcnt lgkmcnt(0)
	v_mul_f64 v[22:23], v[28:29], v[10:11]
	v_mul_f64 v[10:11], v[26:27], v[10:11]
	v_fma_f64 v[22:23], v[26:27], v[8:9], -v[22:23]
	;; [unrolled: 8-line block ×3, first 2 shown]
	v_fma_f64 v[8:9], v[32:33], v[8:9], v[10:11]
	v_add_f64 v[22:23], v[20:21], v[22:23]
	v_add_f64 v[24:25], v[18:19], v[8:9]
	ds_read_b128 v[8:11], v16 offset:64
	ds_read_b128 v[18:21], v14 offset:1024
	s_waitcnt lgkmcnt(0)
	v_mul_f64 v[26:27], v[10:11], v[20:21]
	v_fma_f64 v[26:27], v[8:9], v[18:19], -v[26:27]
	v_mul_f64 v[8:9], v[8:9], v[20:21]
	v_add_f64 v[22:23], v[22:23], v[26:27]
	v_fma_f64 v[8:9], v[10:11], v[18:19], v[8:9]
	v_add_f64 v[24:25], v[24:25], v[8:9]
	ds_read_b128 v[8:11], v16 offset:80
	ds_read_b128 v[18:21], v14 offset:1280
	s_waitcnt lgkmcnt(0)
	v_mul_f64 v[26:27], v[10:11], v[20:21]
	v_fma_f64 v[26:27], v[8:9], v[18:19], -v[26:27]
	v_mul_f64 v[8:9], v[8:9], v[20:21]
	v_add_f64 v[22:23], v[22:23], v[26:27]
	v_fma_f64 v[8:9], v[10:11], v[18:19], v[8:9]
	;; [unrolled: 9-line block ×11, first 2 shown]
	v_add_f64 v[24:25], v[24:25], v[8:9]
	ds_read_b128 v[8:11], v16 offset:240
	ds_read_b128 v[18:21], v14 offset:3840
	s_waitcnt lgkmcnt(0)
	s_barrier
	v_mul_f64 v[26:27], v[10:11], v[20:21]
	v_fma_f64 v[26:27], v[8:9], v[18:19], -v[26:27]
	v_mul_f64 v[8:9], v[8:9], v[20:21]
	v_fma_f64 v[8:9], v[10:11], v[18:19], v[8:9]
	v_add_f64 v[10:11], v[22:23], v[26:27]
	v_add_f64 v[8:9], v[24:25], v[8:9]
	s_cbranch_vccnz .LBB1199_2
; %bb.3:
	v_cmp_le_i32_e32 vcc, v12, v2
	s_and_saveexec_b64 s[4:5], vcc
	s_cbranch_execz .LBB1199_5
.LBB1199_4:
	v_mul_lo_u32 v4, s1, v12
	v_mul_lo_u32 v5, s0, v13
	v_mad_u64_u32 v[0:1], s[0:1], s0, v12, 0
	s_mul_i32 s3, s3, s8
	s_mul_hi_u32 s4, s2, s8
	s_add_i32 s3, s4, s3
	s_mul_i32 s2, s2, s8
	s_lshl_b64 s[0:1], s[2:3], 4
	v_add3_u32 v1, v1, v5, v4
	s_add_u32 s0, s42, s0
	v_lshlrev_b64 v[0:1], 4, v[0:1]
	s_addc_u32 s1, s43, s1
	v_mov_b32_e32 v4, s1
	v_add_co_u32_e32 v5, vcc, s0, v0
	v_addc_co_u32_e32 v6, vcc, v4, v1, vcc
	v_lshlrev_b64 v[0:1], 4, v[2:3]
	v_add_co_u32_e32 v4, vcc, v5, v0
	v_addc_co_u32_e32 v5, vcc, v6, v1, vcc
	global_load_dwordx4 v[0:3], v[4:5], off
	v_mul_f64 v[6:7], s[16:17], v[8:9]
	v_mul_f64 v[8:9], s[14:15], v[8:9]
	v_fma_f64 v[6:7], s[14:15], v[10:11], -v[6:7]
	v_fma_f64 v[8:9], s[16:17], v[10:11], v[8:9]
	s_waitcnt vmcnt(0)
	v_mul_f64 v[12:13], s[40:41], v[2:3]
	v_mul_f64 v[2:3], s[38:39], v[2:3]
	v_fma_f64 v[10:11], s[38:39], v[0:1], -v[12:13]
	v_fma_f64 v[2:3], s[40:41], v[0:1], v[2:3]
	v_add_f64 v[0:1], v[6:7], v[10:11]
	v_add_f64 v[2:3], v[8:9], v[2:3]
	global_store_dwordx4 v[4:5], v[0:3], off
.LBB1199_5:
	s_endpgm
.LBB1199_6:
	v_mov_b32_e32 v8, 0
	v_mov_b32_e32 v10, 0
	;; [unrolled: 1-line block ×4, first 2 shown]
	v_cmp_le_i32_e32 vcc, v12, v2
	s_and_saveexec_b64 s[4:5], vcc
	s_cbranch_execnz .LBB1199_4
	s_branch .LBB1199_5
	.section	.rodata,"a",@progbits
	.p2align	6, 0x0
	.amdhsa_kernel _ZL41rocblas_syrkx_herkx_small_restrict_kernelIl19rocblas_complex_numIdELi16ELb0ELb0ELc84ELc76EKS1_S1_EviT_T0_PT6_S3_lS6_S3_lS4_PT7_S3_li
		.amdhsa_group_segment_fixed_size 8192
		.amdhsa_private_segment_fixed_size 0
		.amdhsa_kernarg_size 124
		.amdhsa_user_sgpr_count 6
		.amdhsa_user_sgpr_private_segment_buffer 1
		.amdhsa_user_sgpr_dispatch_ptr 0
		.amdhsa_user_sgpr_queue_ptr 0
		.amdhsa_user_sgpr_kernarg_segment_ptr 1
		.amdhsa_user_sgpr_dispatch_id 0
		.amdhsa_user_sgpr_flat_scratch_init 0
		.amdhsa_user_sgpr_private_segment_size 0
		.amdhsa_uses_dynamic_stack 0
		.amdhsa_system_sgpr_private_segment_wavefront_offset 0
		.amdhsa_system_sgpr_workgroup_id_x 1
		.amdhsa_system_sgpr_workgroup_id_y 1
		.amdhsa_system_sgpr_workgroup_id_z 1
		.amdhsa_system_sgpr_workgroup_info 0
		.amdhsa_system_vgpr_workitem_id 1
		.amdhsa_next_free_vgpr 40
		.amdhsa_next_free_sgpr 61
		.amdhsa_reserve_vcc 1
		.amdhsa_reserve_flat_scratch 0
		.amdhsa_float_round_mode_32 0
		.amdhsa_float_round_mode_16_64 0
		.amdhsa_float_denorm_mode_32 3
		.amdhsa_float_denorm_mode_16_64 3
		.amdhsa_dx10_clamp 1
		.amdhsa_ieee_mode 1
		.amdhsa_fp16_overflow 0
		.amdhsa_exception_fp_ieee_invalid_op 0
		.amdhsa_exception_fp_denorm_src 0
		.amdhsa_exception_fp_ieee_div_zero 0
		.amdhsa_exception_fp_ieee_overflow 0
		.amdhsa_exception_fp_ieee_underflow 0
		.amdhsa_exception_fp_ieee_inexact 0
		.amdhsa_exception_int_div_zero 0
	.end_amdhsa_kernel
	.section	.text._ZL41rocblas_syrkx_herkx_small_restrict_kernelIl19rocblas_complex_numIdELi16ELb0ELb0ELc84ELc76EKS1_S1_EviT_T0_PT6_S3_lS6_S3_lS4_PT7_S3_li,"axG",@progbits,_ZL41rocblas_syrkx_herkx_small_restrict_kernelIl19rocblas_complex_numIdELi16ELb0ELb0ELc84ELc76EKS1_S1_EviT_T0_PT6_S3_lS6_S3_lS4_PT7_S3_li,comdat
.Lfunc_end1199:
	.size	_ZL41rocblas_syrkx_herkx_small_restrict_kernelIl19rocblas_complex_numIdELi16ELb0ELb0ELc84ELc76EKS1_S1_EviT_T0_PT6_S3_lS6_S3_lS4_PT7_S3_li, .Lfunc_end1199-_ZL41rocblas_syrkx_herkx_small_restrict_kernelIl19rocblas_complex_numIdELi16ELb0ELb0ELc84ELc76EKS1_S1_EviT_T0_PT6_S3_lS6_S3_lS4_PT7_S3_li
                                        ; -- End function
	.set _ZL41rocblas_syrkx_herkx_small_restrict_kernelIl19rocblas_complex_numIdELi16ELb0ELb0ELc84ELc76EKS1_S1_EviT_T0_PT6_S3_lS6_S3_lS4_PT7_S3_li.num_vgpr, 40
	.set _ZL41rocblas_syrkx_herkx_small_restrict_kernelIl19rocblas_complex_numIdELi16ELb0ELb0ELc84ELc76EKS1_S1_EviT_T0_PT6_S3_lS6_S3_lS4_PT7_S3_li.num_agpr, 0
	.set _ZL41rocblas_syrkx_herkx_small_restrict_kernelIl19rocblas_complex_numIdELi16ELb0ELb0ELc84ELc76EKS1_S1_EviT_T0_PT6_S3_lS6_S3_lS4_PT7_S3_li.numbered_sgpr, 44
	.set _ZL41rocblas_syrkx_herkx_small_restrict_kernelIl19rocblas_complex_numIdELi16ELb0ELb0ELc84ELc76EKS1_S1_EviT_T0_PT6_S3_lS6_S3_lS4_PT7_S3_li.num_named_barrier, 0
	.set _ZL41rocblas_syrkx_herkx_small_restrict_kernelIl19rocblas_complex_numIdELi16ELb0ELb0ELc84ELc76EKS1_S1_EviT_T0_PT6_S3_lS6_S3_lS4_PT7_S3_li.private_seg_size, 0
	.set _ZL41rocblas_syrkx_herkx_small_restrict_kernelIl19rocblas_complex_numIdELi16ELb0ELb0ELc84ELc76EKS1_S1_EviT_T0_PT6_S3_lS6_S3_lS4_PT7_S3_li.uses_vcc, 1
	.set _ZL41rocblas_syrkx_herkx_small_restrict_kernelIl19rocblas_complex_numIdELi16ELb0ELb0ELc84ELc76EKS1_S1_EviT_T0_PT6_S3_lS6_S3_lS4_PT7_S3_li.uses_flat_scratch, 0
	.set _ZL41rocblas_syrkx_herkx_small_restrict_kernelIl19rocblas_complex_numIdELi16ELb0ELb0ELc84ELc76EKS1_S1_EviT_T0_PT6_S3_lS6_S3_lS4_PT7_S3_li.has_dyn_sized_stack, 0
	.set _ZL41rocblas_syrkx_herkx_small_restrict_kernelIl19rocblas_complex_numIdELi16ELb0ELb0ELc84ELc76EKS1_S1_EviT_T0_PT6_S3_lS6_S3_lS4_PT7_S3_li.has_recursion, 0
	.set _ZL41rocblas_syrkx_herkx_small_restrict_kernelIl19rocblas_complex_numIdELi16ELb0ELb0ELc84ELc76EKS1_S1_EviT_T0_PT6_S3_lS6_S3_lS4_PT7_S3_li.has_indirect_call, 0
	.section	.AMDGPU.csdata,"",@progbits
; Kernel info:
; codeLenInByte = 1736
; TotalNumSgprs: 48
; NumVgprs: 40
; ScratchSize: 0
; MemoryBound: 0
; FloatMode: 240
; IeeeMode: 1
; LDSByteSize: 8192 bytes/workgroup (compile time only)
; SGPRBlocks: 8
; VGPRBlocks: 9
; NumSGPRsForWavesPerEU: 65
; NumVGPRsForWavesPerEU: 40
; Occupancy: 6
; WaveLimiterHint : 0
; COMPUTE_PGM_RSRC2:SCRATCH_EN: 0
; COMPUTE_PGM_RSRC2:USER_SGPR: 6
; COMPUTE_PGM_RSRC2:TRAP_HANDLER: 0
; COMPUTE_PGM_RSRC2:TGID_X_EN: 1
; COMPUTE_PGM_RSRC2:TGID_Y_EN: 1
; COMPUTE_PGM_RSRC2:TGID_Z_EN: 1
; COMPUTE_PGM_RSRC2:TIDIG_COMP_CNT: 1
	.section	.text._ZL41rocblas_syrkx_herkx_small_restrict_kernelIl19rocblas_complex_numIdELi16ELb0ELb0ELc67ELc76EKS1_S1_EviT_T0_PT6_S3_lS6_S3_lS4_PT7_S3_li,"axG",@progbits,_ZL41rocblas_syrkx_herkx_small_restrict_kernelIl19rocblas_complex_numIdELi16ELb0ELb0ELc67ELc76EKS1_S1_EviT_T0_PT6_S3_lS6_S3_lS4_PT7_S3_li,comdat
	.globl	_ZL41rocblas_syrkx_herkx_small_restrict_kernelIl19rocblas_complex_numIdELi16ELb0ELb0ELc67ELc76EKS1_S1_EviT_T0_PT6_S3_lS6_S3_lS4_PT7_S3_li ; -- Begin function _ZL41rocblas_syrkx_herkx_small_restrict_kernelIl19rocblas_complex_numIdELi16ELb0ELb0ELc67ELc76EKS1_S1_EviT_T0_PT6_S3_lS6_S3_lS4_PT7_S3_li
	.p2align	8
	.type	_ZL41rocblas_syrkx_herkx_small_restrict_kernelIl19rocblas_complex_numIdELi16ELb0ELb0ELc67ELc76EKS1_S1_EviT_T0_PT6_S3_lS6_S3_lS4_PT7_S3_li,@function
_ZL41rocblas_syrkx_herkx_small_restrict_kernelIl19rocblas_complex_numIdELi16ELb0ELb0ELc67ELc76EKS1_S1_EviT_T0_PT6_S3_lS6_S3_lS4_PT7_S3_li: ; @_ZL41rocblas_syrkx_herkx_small_restrict_kernelIl19rocblas_complex_numIdELi16ELb0ELb0ELc67ELc76EKS1_S1_EviT_T0_PT6_S3_lS6_S3_lS4_PT7_S3_li
; %bb.0:
	s_load_dwordx16 s[12:27], s[4:5], 0x8
	s_load_dwordx4 s[0:3], s[4:5], 0x68
	s_load_dwordx8 s[36:43], s[4:5], 0x48
	v_lshl_add_u32 v2, s6, 4, v0
	v_lshl_add_u32 v12, s7, 4, v1
	s_waitcnt lgkmcnt(0)
	v_cmp_lt_i64_e64 s[4:5], s[12:13], 1
	v_ashrrev_i32_e32 v3, 31, v2
	s_and_b64 vcc, exec, s[4:5]
	v_ashrrev_i32_e32 v13, 31, v12
	s_cbranch_vccnz .LBB1200_6
; %bb.1:
	v_lshlrev_b32_e32 v14, 4, v0
	v_mul_lo_u32 v0, s27, v12
	v_mul_lo_u32 v7, s26, v13
	v_mad_u64_u32 v[4:5], s[4:5], s26, v12, 0
	s_mul_i32 s4, s37, s8
	s_mul_hi_u32 s5, s36, s8
	v_add3_u32 v5, v5, v7, v0
	v_lshlrev_b64 v[4:5], 4, v[4:5]
	s_add_i32 s5, s5, s4
	s_mul_i32 s4, s36, s8
	v_lshlrev_b32_e32 v6, 8, v1
	s_lshl_b64 s[4:5], s[4:5], 4
	v_add_u32_e32 v15, v14, v6
	v_add_u32_e32 v16, 0x1000, v6
	v_mov_b32_e32 v0, s5
	v_add_co_u32_e32 v4, vcc, s4, v4
	v_mul_lo_u32 v8, s21, v2
	v_mul_lo_u32 v9, s20, v3
	v_mad_u64_u32 v[6:7], s[4:5], s20, v2, 0
	v_addc_co_u32_e32 v0, vcc, v5, v0, vcc
	v_add_co_u32_e32 v4, vcc, v4, v14
	v_addc_co_u32_e32 v0, vcc, 0, v0, vcc
	v_add3_u32 v7, v7, v9, v8
	s_mul_i32 s4, s23, s8
	s_mul_hi_u32 s5, s22, s8
	v_mov_b32_e32 v5, s25
	v_add_co_u32_e32 v4, vcc, s24, v4
	v_lshlrev_b64 v[6:7], 4, v[6:7]
	s_add_i32 s5, s5, s4
	s_mul_i32 s4, s22, s8
	v_addc_co_u32_e32 v5, vcc, v5, v0, vcc
	s_lshl_b64 s[4:5], s[4:5], 4
	v_mov_b32_e32 v0, s5
	v_add_co_u32_e32 v6, vcc, s4, v6
	v_addc_co_u32_e32 v0, vcc, v7, v0, vcc
	v_lshlrev_b32_e32 v1, 4, v1
	v_add_co_u32_e32 v1, vcc, v6, v1
	v_addc_co_u32_e32 v0, vcc, 0, v0, vcc
	v_mov_b32_e32 v6, s19
	v_add_co_u32_e32 v1, vcc, s18, v1
	v_addc_co_u32_e32 v6, vcc, v6, v0, vcc
	v_add_co_u32_e32 v0, vcc, 8, v1
	v_addc_co_u32_e32 v1, vcc, 0, v6, vcc
	v_mov_b32_e32 v8, 0
	v_mov_b32_e32 v10, 0
	;; [unrolled: 1-line block ×3, first 2 shown]
	v_add_u32_e32 v17, v16, v14
	v_mov_b32_e32 v9, 0
	s_mov_b64 s[4:5], 0
	v_mov_b32_e32 v11, 0
	v_mov_b32_e32 v7, s13
.LBB1200_2:                             ; =>This Inner Loop Header: Depth=1
	global_load_dwordx4 v[18:21], v[0:1], off offset:-8
	s_add_u32 s4, s4, 16
	s_addc_u32 s5, s5, 0
	s_waitcnt vmcnt(0)
	ds_write_b128 v15, v[18:21]
	global_load_dwordx4 v[18:21], v[4:5], off
	v_add_co_u32_e32 v4, vcc, 0x100, v4
	v_addc_co_u32_e32 v5, vcc, 0, v5, vcc
	v_add_co_u32_e32 v0, vcc, 0x100, v0
	v_addc_co_u32_e32 v1, vcc, 0, v1, vcc
	v_cmp_lt_i64_e32 vcc, s[4:5], v[6:7]
	s_and_b64 vcc, exec, vcc
	s_waitcnt vmcnt(0)
	ds_write2_b64 v17, v[18:19], v[20:21] offset1:1
	s_waitcnt lgkmcnt(0)
	s_barrier
	ds_read_b128 v[18:21], v16
	ds_read_b128 v[22:25], v16 offset:16
	ds_read_b128 v[26:29], v16 offset:32
	;; [unrolled: 1-line block ×3, first 2 shown]
	ds_read_b128 v[34:37], v14
	s_waitcnt lgkmcnt(0)
	v_mul_f64 v[38:39], v[20:21], v[36:37]
	v_fma_f64 v[38:39], v[18:19], v[34:35], -v[38:39]
	v_mul_f64 v[18:19], v[18:19], v[36:37]
	v_fma_f64 v[18:19], v[20:21], v[34:35], v[18:19]
	v_add_f64 v[20:21], v[10:11], v[38:39]
	v_add_f64 v[18:19], v[8:9], v[18:19]
	ds_read_b128 v[8:11], v14 offset:256
	s_waitcnt lgkmcnt(0)
	v_mul_f64 v[34:35], v[24:25], v[10:11]
	v_mul_f64 v[10:11], v[22:23], v[10:11]
	v_fma_f64 v[34:35], v[22:23], v[8:9], -v[34:35]
	v_fma_f64 v[8:9], v[24:25], v[8:9], v[10:11]
	v_add_f64 v[20:21], v[20:21], v[34:35]
	v_add_f64 v[18:19], v[18:19], v[8:9]
	ds_read_b128 v[8:11], v14 offset:512
	s_waitcnt lgkmcnt(0)
	v_mul_f64 v[22:23], v[28:29], v[10:11]
	v_mul_f64 v[10:11], v[26:27], v[10:11]
	v_fma_f64 v[22:23], v[26:27], v[8:9], -v[22:23]
	;; [unrolled: 8-line block ×3, first 2 shown]
	v_fma_f64 v[8:9], v[32:33], v[8:9], v[10:11]
	v_add_f64 v[22:23], v[20:21], v[22:23]
	v_add_f64 v[24:25], v[18:19], v[8:9]
	ds_read_b128 v[8:11], v16 offset:64
	ds_read_b128 v[18:21], v14 offset:1024
	s_waitcnt lgkmcnt(0)
	v_mul_f64 v[26:27], v[10:11], v[20:21]
	v_fma_f64 v[26:27], v[8:9], v[18:19], -v[26:27]
	v_mul_f64 v[8:9], v[8:9], v[20:21]
	v_add_f64 v[22:23], v[22:23], v[26:27]
	v_fma_f64 v[8:9], v[10:11], v[18:19], v[8:9]
	v_add_f64 v[24:25], v[24:25], v[8:9]
	ds_read_b128 v[8:11], v16 offset:80
	ds_read_b128 v[18:21], v14 offset:1280
	s_waitcnt lgkmcnt(0)
	v_mul_f64 v[26:27], v[10:11], v[20:21]
	v_fma_f64 v[26:27], v[8:9], v[18:19], -v[26:27]
	v_mul_f64 v[8:9], v[8:9], v[20:21]
	v_add_f64 v[22:23], v[22:23], v[26:27]
	v_fma_f64 v[8:9], v[10:11], v[18:19], v[8:9]
	v_add_f64 v[24:25], v[24:25], v[8:9]
	ds_read_b128 v[8:11], v16 offset:96
	ds_read_b128 v[18:21], v14 offset:1536
	s_waitcnt lgkmcnt(0)
	v_mul_f64 v[26:27], v[10:11], v[20:21]
	v_fma_f64 v[26:27], v[8:9], v[18:19], -v[26:27]
	v_mul_f64 v[8:9], v[8:9], v[20:21]
	v_add_f64 v[22:23], v[22:23], v[26:27]
	v_fma_f64 v[8:9], v[10:11], v[18:19], v[8:9]
	v_add_f64 v[24:25], v[24:25], v[8:9]
	ds_read_b128 v[8:11], v16 offset:112
	ds_read_b128 v[18:21], v14 offset:1792
	s_waitcnt lgkmcnt(0)
	v_mul_f64 v[26:27], v[10:11], v[20:21]
	v_fma_f64 v[26:27], v[8:9], v[18:19], -v[26:27]
	v_mul_f64 v[8:9], v[8:9], v[20:21]
	v_add_f64 v[22:23], v[22:23], v[26:27]
	v_fma_f64 v[8:9], v[10:11], v[18:19], v[8:9]
	v_add_f64 v[24:25], v[24:25], v[8:9]
	ds_read_b128 v[8:11], v16 offset:128
	ds_read_b128 v[18:21], v14 offset:2048
	s_waitcnt lgkmcnt(0)
	v_mul_f64 v[26:27], v[10:11], v[20:21]
	v_fma_f64 v[26:27], v[8:9], v[18:19], -v[26:27]
	v_mul_f64 v[8:9], v[8:9], v[20:21]
	v_add_f64 v[22:23], v[22:23], v[26:27]
	v_fma_f64 v[8:9], v[10:11], v[18:19], v[8:9]
	v_add_f64 v[24:25], v[24:25], v[8:9]
	ds_read_b128 v[8:11], v16 offset:144
	ds_read_b128 v[18:21], v14 offset:2304
	s_waitcnt lgkmcnt(0)
	v_mul_f64 v[26:27], v[10:11], v[20:21]
	v_fma_f64 v[26:27], v[8:9], v[18:19], -v[26:27]
	v_mul_f64 v[8:9], v[8:9], v[20:21]
	v_add_f64 v[22:23], v[22:23], v[26:27]
	v_fma_f64 v[8:9], v[10:11], v[18:19], v[8:9]
	v_add_f64 v[24:25], v[24:25], v[8:9]
	ds_read_b128 v[8:11], v16 offset:160
	ds_read_b128 v[18:21], v14 offset:2560
	s_waitcnt lgkmcnt(0)
	v_mul_f64 v[26:27], v[10:11], v[20:21]
	v_fma_f64 v[26:27], v[8:9], v[18:19], -v[26:27]
	v_mul_f64 v[8:9], v[8:9], v[20:21]
	v_add_f64 v[22:23], v[22:23], v[26:27]
	v_fma_f64 v[8:9], v[10:11], v[18:19], v[8:9]
	v_add_f64 v[24:25], v[24:25], v[8:9]
	ds_read_b128 v[8:11], v16 offset:176
	ds_read_b128 v[18:21], v14 offset:2816
	s_waitcnt lgkmcnt(0)
	v_mul_f64 v[26:27], v[10:11], v[20:21]
	v_fma_f64 v[26:27], v[8:9], v[18:19], -v[26:27]
	v_mul_f64 v[8:9], v[8:9], v[20:21]
	v_add_f64 v[22:23], v[22:23], v[26:27]
	v_fma_f64 v[8:9], v[10:11], v[18:19], v[8:9]
	v_add_f64 v[24:25], v[24:25], v[8:9]
	ds_read_b128 v[8:11], v16 offset:192
	ds_read_b128 v[18:21], v14 offset:3072
	s_waitcnt lgkmcnt(0)
	v_mul_f64 v[26:27], v[10:11], v[20:21]
	v_fma_f64 v[26:27], v[8:9], v[18:19], -v[26:27]
	v_mul_f64 v[8:9], v[8:9], v[20:21]
	v_add_f64 v[22:23], v[22:23], v[26:27]
	v_fma_f64 v[8:9], v[10:11], v[18:19], v[8:9]
	v_add_f64 v[24:25], v[24:25], v[8:9]
	ds_read_b128 v[8:11], v16 offset:208
	ds_read_b128 v[18:21], v14 offset:3328
	s_waitcnt lgkmcnt(0)
	v_mul_f64 v[26:27], v[10:11], v[20:21]
	v_fma_f64 v[26:27], v[8:9], v[18:19], -v[26:27]
	v_mul_f64 v[8:9], v[8:9], v[20:21]
	v_add_f64 v[22:23], v[22:23], v[26:27]
	v_fma_f64 v[8:9], v[10:11], v[18:19], v[8:9]
	v_add_f64 v[24:25], v[24:25], v[8:9]
	ds_read_b128 v[8:11], v16 offset:224
	ds_read_b128 v[18:21], v14 offset:3584
	s_waitcnt lgkmcnt(0)
	v_mul_f64 v[26:27], v[10:11], v[20:21]
	v_fma_f64 v[26:27], v[8:9], v[18:19], -v[26:27]
	v_mul_f64 v[8:9], v[8:9], v[20:21]
	v_add_f64 v[22:23], v[22:23], v[26:27]
	v_fma_f64 v[8:9], v[10:11], v[18:19], v[8:9]
	v_add_f64 v[24:25], v[24:25], v[8:9]
	ds_read_b128 v[8:11], v16 offset:240
	ds_read_b128 v[18:21], v14 offset:3840
	s_waitcnt lgkmcnt(0)
	s_barrier
	v_mul_f64 v[26:27], v[10:11], v[20:21]
	v_fma_f64 v[26:27], v[8:9], v[18:19], -v[26:27]
	v_mul_f64 v[8:9], v[8:9], v[20:21]
	v_fma_f64 v[8:9], v[10:11], v[18:19], v[8:9]
	v_add_f64 v[10:11], v[22:23], v[26:27]
	v_add_f64 v[8:9], v[24:25], v[8:9]
	s_cbranch_vccnz .LBB1200_2
; %bb.3:
	v_cmp_le_i32_e32 vcc, v12, v2
	s_and_saveexec_b64 s[4:5], vcc
	s_cbranch_execz .LBB1200_5
.LBB1200_4:
	v_mul_lo_u32 v4, s1, v12
	v_mul_lo_u32 v5, s0, v13
	v_mad_u64_u32 v[0:1], s[0:1], s0, v12, 0
	s_mul_i32 s3, s3, s8
	s_mul_hi_u32 s4, s2, s8
	s_add_i32 s3, s4, s3
	s_mul_i32 s2, s2, s8
	s_lshl_b64 s[0:1], s[2:3], 4
	v_add3_u32 v1, v1, v5, v4
	s_add_u32 s0, s42, s0
	v_lshlrev_b64 v[0:1], 4, v[0:1]
	s_addc_u32 s1, s43, s1
	v_mov_b32_e32 v4, s1
	v_add_co_u32_e32 v5, vcc, s0, v0
	v_addc_co_u32_e32 v6, vcc, v4, v1, vcc
	v_lshlrev_b64 v[0:1], 4, v[2:3]
	v_add_co_u32_e32 v4, vcc, v5, v0
	v_addc_co_u32_e32 v5, vcc, v6, v1, vcc
	global_load_dwordx4 v[0:3], v[4:5], off
	v_mul_f64 v[6:7], s[16:17], v[8:9]
	v_mul_f64 v[8:9], s[14:15], v[8:9]
	v_fma_f64 v[6:7], s[14:15], v[10:11], -v[6:7]
	v_fma_f64 v[8:9], s[16:17], v[10:11], v[8:9]
	s_waitcnt vmcnt(0)
	v_mul_f64 v[12:13], s[40:41], v[2:3]
	v_mul_f64 v[2:3], s[38:39], v[2:3]
	v_fma_f64 v[10:11], s[38:39], v[0:1], -v[12:13]
	v_fma_f64 v[2:3], s[40:41], v[0:1], v[2:3]
	v_add_f64 v[0:1], v[6:7], v[10:11]
	v_add_f64 v[2:3], v[8:9], v[2:3]
	global_store_dwordx4 v[4:5], v[0:3], off
.LBB1200_5:
	s_endpgm
.LBB1200_6:
	v_mov_b32_e32 v8, 0
	v_mov_b32_e32 v10, 0
	v_mov_b32_e32 v9, 0
	v_mov_b32_e32 v11, 0
	v_cmp_le_i32_e32 vcc, v12, v2
	s_and_saveexec_b64 s[4:5], vcc
	s_cbranch_execnz .LBB1200_4
	s_branch .LBB1200_5
	.section	.rodata,"a",@progbits
	.p2align	6, 0x0
	.amdhsa_kernel _ZL41rocblas_syrkx_herkx_small_restrict_kernelIl19rocblas_complex_numIdELi16ELb0ELb0ELc67ELc76EKS1_S1_EviT_T0_PT6_S3_lS6_S3_lS4_PT7_S3_li
		.amdhsa_group_segment_fixed_size 8192
		.amdhsa_private_segment_fixed_size 0
		.amdhsa_kernarg_size 124
		.amdhsa_user_sgpr_count 6
		.amdhsa_user_sgpr_private_segment_buffer 1
		.amdhsa_user_sgpr_dispatch_ptr 0
		.amdhsa_user_sgpr_queue_ptr 0
		.amdhsa_user_sgpr_kernarg_segment_ptr 1
		.amdhsa_user_sgpr_dispatch_id 0
		.amdhsa_user_sgpr_flat_scratch_init 0
		.amdhsa_user_sgpr_private_segment_size 0
		.amdhsa_uses_dynamic_stack 0
		.amdhsa_system_sgpr_private_segment_wavefront_offset 0
		.amdhsa_system_sgpr_workgroup_id_x 1
		.amdhsa_system_sgpr_workgroup_id_y 1
		.amdhsa_system_sgpr_workgroup_id_z 1
		.amdhsa_system_sgpr_workgroup_info 0
		.amdhsa_system_vgpr_workitem_id 1
		.amdhsa_next_free_vgpr 40
		.amdhsa_next_free_sgpr 61
		.amdhsa_reserve_vcc 1
		.amdhsa_reserve_flat_scratch 0
		.amdhsa_float_round_mode_32 0
		.amdhsa_float_round_mode_16_64 0
		.amdhsa_float_denorm_mode_32 3
		.amdhsa_float_denorm_mode_16_64 3
		.amdhsa_dx10_clamp 1
		.amdhsa_ieee_mode 1
		.amdhsa_fp16_overflow 0
		.amdhsa_exception_fp_ieee_invalid_op 0
		.amdhsa_exception_fp_denorm_src 0
		.amdhsa_exception_fp_ieee_div_zero 0
		.amdhsa_exception_fp_ieee_overflow 0
		.amdhsa_exception_fp_ieee_underflow 0
		.amdhsa_exception_fp_ieee_inexact 0
		.amdhsa_exception_int_div_zero 0
	.end_amdhsa_kernel
	.section	.text._ZL41rocblas_syrkx_herkx_small_restrict_kernelIl19rocblas_complex_numIdELi16ELb0ELb0ELc67ELc76EKS1_S1_EviT_T0_PT6_S3_lS6_S3_lS4_PT7_S3_li,"axG",@progbits,_ZL41rocblas_syrkx_herkx_small_restrict_kernelIl19rocblas_complex_numIdELi16ELb0ELb0ELc67ELc76EKS1_S1_EviT_T0_PT6_S3_lS6_S3_lS4_PT7_S3_li,comdat
.Lfunc_end1200:
	.size	_ZL41rocblas_syrkx_herkx_small_restrict_kernelIl19rocblas_complex_numIdELi16ELb0ELb0ELc67ELc76EKS1_S1_EviT_T0_PT6_S3_lS6_S3_lS4_PT7_S3_li, .Lfunc_end1200-_ZL41rocblas_syrkx_herkx_small_restrict_kernelIl19rocblas_complex_numIdELi16ELb0ELb0ELc67ELc76EKS1_S1_EviT_T0_PT6_S3_lS6_S3_lS4_PT7_S3_li
                                        ; -- End function
	.set _ZL41rocblas_syrkx_herkx_small_restrict_kernelIl19rocblas_complex_numIdELi16ELb0ELb0ELc67ELc76EKS1_S1_EviT_T0_PT6_S3_lS6_S3_lS4_PT7_S3_li.num_vgpr, 40
	.set _ZL41rocblas_syrkx_herkx_small_restrict_kernelIl19rocblas_complex_numIdELi16ELb0ELb0ELc67ELc76EKS1_S1_EviT_T0_PT6_S3_lS6_S3_lS4_PT7_S3_li.num_agpr, 0
	.set _ZL41rocblas_syrkx_herkx_small_restrict_kernelIl19rocblas_complex_numIdELi16ELb0ELb0ELc67ELc76EKS1_S1_EviT_T0_PT6_S3_lS6_S3_lS4_PT7_S3_li.numbered_sgpr, 44
	.set _ZL41rocblas_syrkx_herkx_small_restrict_kernelIl19rocblas_complex_numIdELi16ELb0ELb0ELc67ELc76EKS1_S1_EviT_T0_PT6_S3_lS6_S3_lS4_PT7_S3_li.num_named_barrier, 0
	.set _ZL41rocblas_syrkx_herkx_small_restrict_kernelIl19rocblas_complex_numIdELi16ELb0ELb0ELc67ELc76EKS1_S1_EviT_T0_PT6_S3_lS6_S3_lS4_PT7_S3_li.private_seg_size, 0
	.set _ZL41rocblas_syrkx_herkx_small_restrict_kernelIl19rocblas_complex_numIdELi16ELb0ELb0ELc67ELc76EKS1_S1_EviT_T0_PT6_S3_lS6_S3_lS4_PT7_S3_li.uses_vcc, 1
	.set _ZL41rocblas_syrkx_herkx_small_restrict_kernelIl19rocblas_complex_numIdELi16ELb0ELb0ELc67ELc76EKS1_S1_EviT_T0_PT6_S3_lS6_S3_lS4_PT7_S3_li.uses_flat_scratch, 0
	.set _ZL41rocblas_syrkx_herkx_small_restrict_kernelIl19rocblas_complex_numIdELi16ELb0ELb0ELc67ELc76EKS1_S1_EviT_T0_PT6_S3_lS6_S3_lS4_PT7_S3_li.has_dyn_sized_stack, 0
	.set _ZL41rocblas_syrkx_herkx_small_restrict_kernelIl19rocblas_complex_numIdELi16ELb0ELb0ELc67ELc76EKS1_S1_EviT_T0_PT6_S3_lS6_S3_lS4_PT7_S3_li.has_recursion, 0
	.set _ZL41rocblas_syrkx_herkx_small_restrict_kernelIl19rocblas_complex_numIdELi16ELb0ELb0ELc67ELc76EKS1_S1_EviT_T0_PT6_S3_lS6_S3_lS4_PT7_S3_li.has_indirect_call, 0
	.section	.AMDGPU.csdata,"",@progbits
; Kernel info:
; codeLenInByte = 1744
; TotalNumSgprs: 48
; NumVgprs: 40
; ScratchSize: 0
; MemoryBound: 0
; FloatMode: 240
; IeeeMode: 1
; LDSByteSize: 8192 bytes/workgroup (compile time only)
; SGPRBlocks: 8
; VGPRBlocks: 9
; NumSGPRsForWavesPerEU: 65
; NumVGPRsForWavesPerEU: 40
; Occupancy: 6
; WaveLimiterHint : 0
; COMPUTE_PGM_RSRC2:SCRATCH_EN: 0
; COMPUTE_PGM_RSRC2:USER_SGPR: 6
; COMPUTE_PGM_RSRC2:TRAP_HANDLER: 0
; COMPUTE_PGM_RSRC2:TGID_X_EN: 1
; COMPUTE_PGM_RSRC2:TGID_Y_EN: 1
; COMPUTE_PGM_RSRC2:TGID_Z_EN: 1
; COMPUTE_PGM_RSRC2:TIDIG_COMP_CNT: 1
	.section	.text._ZL41rocblas_syrkx_herkx_small_restrict_kernelIl19rocblas_complex_numIdELi16ELb0ELb0ELc78ELc76EKS1_S1_EviT_T0_PT6_S3_lS6_S3_lS4_PT7_S3_li,"axG",@progbits,_ZL41rocblas_syrkx_herkx_small_restrict_kernelIl19rocblas_complex_numIdELi16ELb0ELb0ELc78ELc76EKS1_S1_EviT_T0_PT6_S3_lS6_S3_lS4_PT7_S3_li,comdat
	.globl	_ZL41rocblas_syrkx_herkx_small_restrict_kernelIl19rocblas_complex_numIdELi16ELb0ELb0ELc78ELc76EKS1_S1_EviT_T0_PT6_S3_lS6_S3_lS4_PT7_S3_li ; -- Begin function _ZL41rocblas_syrkx_herkx_small_restrict_kernelIl19rocblas_complex_numIdELi16ELb0ELb0ELc78ELc76EKS1_S1_EviT_T0_PT6_S3_lS6_S3_lS4_PT7_S3_li
	.p2align	8
	.type	_ZL41rocblas_syrkx_herkx_small_restrict_kernelIl19rocblas_complex_numIdELi16ELb0ELb0ELc78ELc76EKS1_S1_EviT_T0_PT6_S3_lS6_S3_lS4_PT7_S3_li,@function
_ZL41rocblas_syrkx_herkx_small_restrict_kernelIl19rocblas_complex_numIdELi16ELb0ELb0ELc78ELc76EKS1_S1_EviT_T0_PT6_S3_lS6_S3_lS4_PT7_S3_li: ; @_ZL41rocblas_syrkx_herkx_small_restrict_kernelIl19rocblas_complex_numIdELi16ELb0ELb0ELc78ELc76EKS1_S1_EviT_T0_PT6_S3_lS6_S3_lS4_PT7_S3_li
; %bb.0:
	s_load_dwordx16 s[12:27], s[4:5], 0x8
	s_load_dwordx4 s[0:3], s[4:5], 0x68
	s_load_dwordx8 s[36:43], s[4:5], 0x48
	v_lshl_add_u32 v2, s6, 4, v0
	v_lshl_add_u32 v4, s7, 4, v1
	s_waitcnt lgkmcnt(0)
	v_cmp_lt_i64_e64 s[4:5], s[12:13], 1
	v_ashrrev_i32_e32 v3, 31, v2
	s_and_b64 vcc, exec, s[4:5]
	v_ashrrev_i32_e32 v5, 31, v4
	s_cbranch_vccnz .LBB1201_6
; %bb.1:
	v_lshlrev_b32_e32 v6, 8, v1
	v_lshlrev_b32_e32 v14, 4, v0
	v_add_u32_e32 v15, v14, v6
	v_add_u32_e32 v16, 0x1000, v6
	v_mad_u64_u32 v[6:7], s[4:5], s26, v0, 0
	s_mul_i32 s6, s37, s8
	s_mul_hi_u32 s7, s36, s8
	v_mad_u64_u32 v[7:8], s[4:5], s27, v0, v[7:8]
	s_add_i32 s5, s7, s6
	s_mul_i32 s4, s36, s8
	v_lshlrev_b64 v[6:7], 4, v[6:7]
	s_lshl_b64 s[4:5], s[4:5], 4
	v_mov_b32_e32 v0, s5
	v_add_co_u32_e32 v8, vcc, s4, v6
	v_addc_co_u32_e32 v0, vcc, v0, v7, vcc
	v_lshlrev_b64 v[6:7], 4, v[4:5]
	s_mul_i32 s9, s23, s8
	v_add_co_u32_e32 v6, vcc, v8, v6
	v_addc_co_u32_e32 v0, vcc, v0, v7, vcc
	v_mad_u64_u32 v[8:9], s[4:5], s20, v1, 0
	v_mov_b32_e32 v7, s25
	v_add_co_u32_e32 v6, vcc, s24, v6
	v_addc_co_u32_e32 v0, vcc, v7, v0, vcc
	v_add_co_u32_e32 v6, vcc, 8, v6
	v_addc_co_u32_e32 v7, vcc, 0, v0, vcc
	v_mov_b32_e32 v0, v9
	v_mad_u64_u32 v[0:1], s[6:7], s21, v1, v[0:1]
	s_mul_hi_u32 s10, s22, s8
	s_add_i32 s7, s10, s9
	v_mov_b32_e32 v9, v0
	s_mul_i32 s6, s22, s8
	v_lshlrev_b64 v[0:1], 4, v[8:9]
	s_lshl_b64 s[6:7], s[6:7], 4
	v_mov_b32_e32 v8, s7
	v_add_co_u32_e32 v9, vcc, s6, v0
	v_addc_co_u32_e32 v8, vcc, v8, v1, vcc
	v_lshlrev_b64 v[0:1], 4, v[2:3]
	s_lshl_b64 s[4:5], s[26:27], 8
	v_add_co_u32_e32 v0, vcc, v9, v0
	v_addc_co_u32_e32 v1, vcc, v8, v1, vcc
	v_mov_b32_e32 v8, s19
	v_add_co_u32_e32 v0, vcc, s18, v0
	v_addc_co_u32_e32 v1, vcc, v8, v1, vcc
	s_lshl_b64 s[6:7], s[20:21], 8
	v_mov_b32_e32 v10, 0
	v_mov_b32_e32 v12, 0
	;; [unrolled: 1-line block ×3, first 2 shown]
	v_add_u32_e32 v17, v16, v14
	v_mov_b32_e32 v11, 0
	s_mov_b64 s[10:11], 0
	v_mov_b32_e32 v18, s5
	v_mov_b32_e32 v19, s7
	;; [unrolled: 1-line block ×4, first 2 shown]
.LBB1201_2:                             ; =>This Inner Loop Header: Depth=1
	global_load_dwordx4 v[20:23], v[0:1], off
	s_add_u32 s10, s10, 16
	s_addc_u32 s11, s11, 0
	s_waitcnt vmcnt(0)
	ds_write2_b64 v15, v[20:21], v[22:23] offset1:1
	global_load_dwordx4 v[20:23], v[6:7], off offset:-8
	v_add_co_u32_e32 v6, vcc, s4, v6
	v_addc_co_u32_e32 v7, vcc, v7, v18, vcc
	v_add_co_u32_e32 v0, vcc, s6, v0
	v_addc_co_u32_e32 v1, vcc, v1, v19, vcc
	v_cmp_lt_i64_e32 vcc, s[10:11], v[8:9]
	s_and_b64 vcc, exec, vcc
	s_waitcnt vmcnt(0)
	ds_write_b128 v17, v[20:23]
	s_waitcnt lgkmcnt(0)
	s_barrier
	ds_read_b128 v[20:23], v16
	ds_read_b128 v[24:27], v16 offset:16
	ds_read_b128 v[28:31], v16 offset:32
	;; [unrolled: 1-line block ×3, first 2 shown]
	ds_read_b128 v[36:39], v14
	s_waitcnt lgkmcnt(0)
	v_mul_f64 v[40:41], v[22:23], v[38:39]
	v_fma_f64 v[40:41], v[20:21], v[36:37], -v[40:41]
	v_mul_f64 v[20:21], v[20:21], v[38:39]
	v_fma_f64 v[20:21], v[22:23], v[36:37], v[20:21]
	v_add_f64 v[22:23], v[12:13], v[40:41]
	v_add_f64 v[20:21], v[10:11], v[20:21]
	ds_read_b128 v[10:13], v14 offset:256
	s_waitcnt lgkmcnt(0)
	v_mul_f64 v[36:37], v[26:27], v[12:13]
	v_mul_f64 v[12:13], v[24:25], v[12:13]
	v_fma_f64 v[36:37], v[24:25], v[10:11], -v[36:37]
	v_fma_f64 v[10:11], v[26:27], v[10:11], v[12:13]
	v_add_f64 v[22:23], v[22:23], v[36:37]
	v_add_f64 v[20:21], v[20:21], v[10:11]
	ds_read_b128 v[10:13], v14 offset:512
	s_waitcnt lgkmcnt(0)
	v_mul_f64 v[24:25], v[30:31], v[12:13]
	v_mul_f64 v[12:13], v[28:29], v[12:13]
	v_fma_f64 v[24:25], v[28:29], v[10:11], -v[24:25]
	;; [unrolled: 8-line block ×3, first 2 shown]
	v_fma_f64 v[10:11], v[34:35], v[10:11], v[12:13]
	v_add_f64 v[24:25], v[22:23], v[24:25]
	v_add_f64 v[26:27], v[20:21], v[10:11]
	ds_read_b128 v[10:13], v16 offset:64
	ds_read_b128 v[20:23], v14 offset:1024
	s_waitcnt lgkmcnt(0)
	v_mul_f64 v[28:29], v[12:13], v[22:23]
	v_fma_f64 v[28:29], v[10:11], v[20:21], -v[28:29]
	v_mul_f64 v[10:11], v[10:11], v[22:23]
	v_add_f64 v[24:25], v[24:25], v[28:29]
	v_fma_f64 v[10:11], v[12:13], v[20:21], v[10:11]
	v_add_f64 v[26:27], v[26:27], v[10:11]
	ds_read_b128 v[10:13], v16 offset:80
	ds_read_b128 v[20:23], v14 offset:1280
	s_waitcnt lgkmcnt(0)
	v_mul_f64 v[28:29], v[12:13], v[22:23]
	v_fma_f64 v[28:29], v[10:11], v[20:21], -v[28:29]
	v_mul_f64 v[10:11], v[10:11], v[22:23]
	v_add_f64 v[24:25], v[24:25], v[28:29]
	v_fma_f64 v[10:11], v[12:13], v[20:21], v[10:11]
	;; [unrolled: 9-line block ×11, first 2 shown]
	v_add_f64 v[26:27], v[26:27], v[10:11]
	ds_read_b128 v[10:13], v16 offset:240
	ds_read_b128 v[20:23], v14 offset:3840
	s_waitcnt lgkmcnt(0)
	s_barrier
	v_mul_f64 v[28:29], v[12:13], v[22:23]
	v_fma_f64 v[28:29], v[10:11], v[20:21], -v[28:29]
	v_mul_f64 v[10:11], v[10:11], v[22:23]
	v_fma_f64 v[10:11], v[12:13], v[20:21], v[10:11]
	v_add_f64 v[12:13], v[24:25], v[28:29]
	v_add_f64 v[10:11], v[26:27], v[10:11]
	s_cbranch_vccnz .LBB1201_2
; %bb.3:
	v_cmp_le_i32_e32 vcc, v4, v2
	s_and_saveexec_b64 s[4:5], vcc
	s_cbranch_execz .LBB1201_5
.LBB1201_4:
	v_mul_lo_u32 v6, s1, v4
	v_mul_lo_u32 v5, s0, v5
	v_mad_u64_u32 v[0:1], s[0:1], s0, v4, 0
	s_mul_i32 s3, s3, s8
	s_mul_hi_u32 s4, s2, s8
	s_add_i32 s3, s4, s3
	s_mul_i32 s2, s2, s8
	s_lshl_b64 s[0:1], s[2:3], 4
	v_add3_u32 v1, v1, v5, v6
	s_add_u32 s0, s42, s0
	v_lshlrev_b64 v[0:1], 4, v[0:1]
	s_addc_u32 s1, s43, s1
	v_mov_b32_e32 v4, s1
	v_add_co_u32_e32 v5, vcc, s0, v0
	v_addc_co_u32_e32 v6, vcc, v4, v1, vcc
	v_lshlrev_b64 v[0:1], 4, v[2:3]
	v_mul_f64 v[8:9], s[14:15], v[10:11]
	v_add_co_u32_e32 v4, vcc, v5, v0
	v_addc_co_u32_e32 v5, vcc, v6, v1, vcc
	global_load_dwordx4 v[0:3], v[4:5], off
	v_mul_f64 v[6:7], s[16:17], v[10:11]
	v_fma_f64 v[8:9], s[16:17], v[12:13], v[8:9]
	v_fma_f64 v[6:7], s[14:15], v[12:13], -v[6:7]
	s_waitcnt vmcnt(0)
	v_mul_f64 v[10:11], s[40:41], v[2:3]
	v_mul_f64 v[2:3], s[38:39], v[2:3]
	v_fma_f64 v[10:11], s[38:39], v[0:1], -v[10:11]
	v_fma_f64 v[2:3], s[40:41], v[0:1], v[2:3]
	v_add_f64 v[0:1], v[6:7], v[10:11]
	v_add_f64 v[2:3], v[8:9], v[2:3]
	global_store_dwordx4 v[4:5], v[0:3], off
.LBB1201_5:
	s_endpgm
.LBB1201_6:
	v_mov_b32_e32 v10, 0
	v_mov_b32_e32 v12, 0
	;; [unrolled: 1-line block ×4, first 2 shown]
	v_cmp_le_i32_e32 vcc, v4, v2
	s_and_saveexec_b64 s[4:5], vcc
	s_cbranch_execnz .LBB1201_4
	s_branch .LBB1201_5
	.section	.rodata,"a",@progbits
	.p2align	6, 0x0
	.amdhsa_kernel _ZL41rocblas_syrkx_herkx_small_restrict_kernelIl19rocblas_complex_numIdELi16ELb0ELb0ELc78ELc76EKS1_S1_EviT_T0_PT6_S3_lS6_S3_lS4_PT7_S3_li
		.amdhsa_group_segment_fixed_size 8192
		.amdhsa_private_segment_fixed_size 0
		.amdhsa_kernarg_size 124
		.amdhsa_user_sgpr_count 6
		.amdhsa_user_sgpr_private_segment_buffer 1
		.amdhsa_user_sgpr_dispatch_ptr 0
		.amdhsa_user_sgpr_queue_ptr 0
		.amdhsa_user_sgpr_kernarg_segment_ptr 1
		.amdhsa_user_sgpr_dispatch_id 0
		.amdhsa_user_sgpr_flat_scratch_init 0
		.amdhsa_user_sgpr_private_segment_size 0
		.amdhsa_uses_dynamic_stack 0
		.amdhsa_system_sgpr_private_segment_wavefront_offset 0
		.amdhsa_system_sgpr_workgroup_id_x 1
		.amdhsa_system_sgpr_workgroup_id_y 1
		.amdhsa_system_sgpr_workgroup_id_z 1
		.amdhsa_system_sgpr_workgroup_info 0
		.amdhsa_system_vgpr_workitem_id 1
		.amdhsa_next_free_vgpr 42
		.amdhsa_next_free_sgpr 61
		.amdhsa_reserve_vcc 1
		.amdhsa_reserve_flat_scratch 0
		.amdhsa_float_round_mode_32 0
		.amdhsa_float_round_mode_16_64 0
		.amdhsa_float_denorm_mode_32 3
		.amdhsa_float_denorm_mode_16_64 3
		.amdhsa_dx10_clamp 1
		.amdhsa_ieee_mode 1
		.amdhsa_fp16_overflow 0
		.amdhsa_exception_fp_ieee_invalid_op 0
		.amdhsa_exception_fp_denorm_src 0
		.amdhsa_exception_fp_ieee_div_zero 0
		.amdhsa_exception_fp_ieee_overflow 0
		.amdhsa_exception_fp_ieee_underflow 0
		.amdhsa_exception_fp_ieee_inexact 0
		.amdhsa_exception_int_div_zero 0
	.end_amdhsa_kernel
	.section	.text._ZL41rocblas_syrkx_herkx_small_restrict_kernelIl19rocblas_complex_numIdELi16ELb0ELb0ELc78ELc76EKS1_S1_EviT_T0_PT6_S3_lS6_S3_lS4_PT7_S3_li,"axG",@progbits,_ZL41rocblas_syrkx_herkx_small_restrict_kernelIl19rocblas_complex_numIdELi16ELb0ELb0ELc78ELc76EKS1_S1_EviT_T0_PT6_S3_lS6_S3_lS4_PT7_S3_li,comdat
.Lfunc_end1201:
	.size	_ZL41rocblas_syrkx_herkx_small_restrict_kernelIl19rocblas_complex_numIdELi16ELb0ELb0ELc78ELc76EKS1_S1_EviT_T0_PT6_S3_lS6_S3_lS4_PT7_S3_li, .Lfunc_end1201-_ZL41rocblas_syrkx_herkx_small_restrict_kernelIl19rocblas_complex_numIdELi16ELb0ELb0ELc78ELc76EKS1_S1_EviT_T0_PT6_S3_lS6_S3_lS4_PT7_S3_li
                                        ; -- End function
	.set _ZL41rocblas_syrkx_herkx_small_restrict_kernelIl19rocblas_complex_numIdELi16ELb0ELb0ELc78ELc76EKS1_S1_EviT_T0_PT6_S3_lS6_S3_lS4_PT7_S3_li.num_vgpr, 42
	.set _ZL41rocblas_syrkx_herkx_small_restrict_kernelIl19rocblas_complex_numIdELi16ELb0ELb0ELc78ELc76EKS1_S1_EviT_T0_PT6_S3_lS6_S3_lS4_PT7_S3_li.num_agpr, 0
	.set _ZL41rocblas_syrkx_herkx_small_restrict_kernelIl19rocblas_complex_numIdELi16ELb0ELb0ELc78ELc76EKS1_S1_EviT_T0_PT6_S3_lS6_S3_lS4_PT7_S3_li.numbered_sgpr, 44
	.set _ZL41rocblas_syrkx_herkx_small_restrict_kernelIl19rocblas_complex_numIdELi16ELb0ELb0ELc78ELc76EKS1_S1_EviT_T0_PT6_S3_lS6_S3_lS4_PT7_S3_li.num_named_barrier, 0
	.set _ZL41rocblas_syrkx_herkx_small_restrict_kernelIl19rocblas_complex_numIdELi16ELb0ELb0ELc78ELc76EKS1_S1_EviT_T0_PT6_S3_lS6_S3_lS4_PT7_S3_li.private_seg_size, 0
	.set _ZL41rocblas_syrkx_herkx_small_restrict_kernelIl19rocblas_complex_numIdELi16ELb0ELb0ELc78ELc76EKS1_S1_EviT_T0_PT6_S3_lS6_S3_lS4_PT7_S3_li.uses_vcc, 1
	.set _ZL41rocblas_syrkx_herkx_small_restrict_kernelIl19rocblas_complex_numIdELi16ELb0ELb0ELc78ELc76EKS1_S1_EviT_T0_PT6_S3_lS6_S3_lS4_PT7_S3_li.uses_flat_scratch, 0
	.set _ZL41rocblas_syrkx_herkx_small_restrict_kernelIl19rocblas_complex_numIdELi16ELb0ELb0ELc78ELc76EKS1_S1_EviT_T0_PT6_S3_lS6_S3_lS4_PT7_S3_li.has_dyn_sized_stack, 0
	.set _ZL41rocblas_syrkx_herkx_small_restrict_kernelIl19rocblas_complex_numIdELi16ELb0ELb0ELc78ELc76EKS1_S1_EviT_T0_PT6_S3_lS6_S3_lS4_PT7_S3_li.has_recursion, 0
	.set _ZL41rocblas_syrkx_herkx_small_restrict_kernelIl19rocblas_complex_numIdELi16ELb0ELb0ELc78ELc76EKS1_S1_EviT_T0_PT6_S3_lS6_S3_lS4_PT7_S3_li.has_indirect_call, 0
	.section	.AMDGPU.csdata,"",@progbits
; Kernel info:
; codeLenInByte = 1740
; TotalNumSgprs: 48
; NumVgprs: 42
; ScratchSize: 0
; MemoryBound: 0
; FloatMode: 240
; IeeeMode: 1
; LDSByteSize: 8192 bytes/workgroup (compile time only)
; SGPRBlocks: 8
; VGPRBlocks: 10
; NumSGPRsForWavesPerEU: 65
; NumVGPRsForWavesPerEU: 42
; Occupancy: 5
; WaveLimiterHint : 0
; COMPUTE_PGM_RSRC2:SCRATCH_EN: 0
; COMPUTE_PGM_RSRC2:USER_SGPR: 6
; COMPUTE_PGM_RSRC2:TRAP_HANDLER: 0
; COMPUTE_PGM_RSRC2:TGID_X_EN: 1
; COMPUTE_PGM_RSRC2:TGID_Y_EN: 1
; COMPUTE_PGM_RSRC2:TGID_Z_EN: 1
; COMPUTE_PGM_RSRC2:TIDIG_COMP_CNT: 1
	.section	.text._ZL41rocblas_syrkx_herkx_small_restrict_kernelIl19rocblas_complex_numIdELi16ELb0ELb0ELc84ELc85EKS1_S1_EviT_T0_PT6_S3_lS6_S3_lS4_PT7_S3_li,"axG",@progbits,_ZL41rocblas_syrkx_herkx_small_restrict_kernelIl19rocblas_complex_numIdELi16ELb0ELb0ELc84ELc85EKS1_S1_EviT_T0_PT6_S3_lS6_S3_lS4_PT7_S3_li,comdat
	.globl	_ZL41rocblas_syrkx_herkx_small_restrict_kernelIl19rocblas_complex_numIdELi16ELb0ELb0ELc84ELc85EKS1_S1_EviT_T0_PT6_S3_lS6_S3_lS4_PT7_S3_li ; -- Begin function _ZL41rocblas_syrkx_herkx_small_restrict_kernelIl19rocblas_complex_numIdELi16ELb0ELb0ELc84ELc85EKS1_S1_EviT_T0_PT6_S3_lS6_S3_lS4_PT7_S3_li
	.p2align	8
	.type	_ZL41rocblas_syrkx_herkx_small_restrict_kernelIl19rocblas_complex_numIdELi16ELb0ELb0ELc84ELc85EKS1_S1_EviT_T0_PT6_S3_lS6_S3_lS4_PT7_S3_li,@function
_ZL41rocblas_syrkx_herkx_small_restrict_kernelIl19rocblas_complex_numIdELi16ELb0ELb0ELc84ELc85EKS1_S1_EviT_T0_PT6_S3_lS6_S3_lS4_PT7_S3_li: ; @_ZL41rocblas_syrkx_herkx_small_restrict_kernelIl19rocblas_complex_numIdELi16ELb0ELb0ELc84ELc85EKS1_S1_EviT_T0_PT6_S3_lS6_S3_lS4_PT7_S3_li
; %bb.0:
	s_load_dwordx16 s[12:27], s[4:5], 0x8
	s_load_dwordx4 s[0:3], s[4:5], 0x68
	s_load_dwordx8 s[36:43], s[4:5], 0x48
	v_lshl_add_u32 v2, s6, 4, v0
	v_lshl_add_u32 v12, s7, 4, v1
	s_waitcnt lgkmcnt(0)
	v_cmp_lt_i64_e64 s[4:5], s[12:13], 1
	v_ashrrev_i32_e32 v3, 31, v2
	s_and_b64 vcc, exec, s[4:5]
	v_ashrrev_i32_e32 v13, 31, v12
	s_cbranch_vccnz .LBB1202_6
; %bb.1:
	v_lshlrev_b32_e32 v14, 4, v0
	v_mul_lo_u32 v0, s27, v12
	v_mul_lo_u32 v7, s26, v13
	v_mad_u64_u32 v[4:5], s[4:5], s26, v12, 0
	s_mul_i32 s4, s37, s8
	s_mul_hi_u32 s5, s36, s8
	v_add3_u32 v5, v5, v7, v0
	v_lshlrev_b64 v[4:5], 4, v[4:5]
	s_add_i32 s5, s5, s4
	s_mul_i32 s4, s36, s8
	v_lshlrev_b32_e32 v6, 8, v1
	s_lshl_b64 s[4:5], s[4:5], 4
	v_add_u32_e32 v15, v14, v6
	v_add_u32_e32 v16, 0x1000, v6
	v_mov_b32_e32 v0, s5
	v_add_co_u32_e32 v4, vcc, s4, v4
	v_mul_lo_u32 v8, s21, v2
	v_mul_lo_u32 v9, s20, v3
	v_mad_u64_u32 v[6:7], s[4:5], s20, v2, 0
	v_addc_co_u32_e32 v0, vcc, v5, v0, vcc
	v_add_co_u32_e32 v4, vcc, v4, v14
	v_addc_co_u32_e32 v0, vcc, 0, v0, vcc
	v_add3_u32 v7, v7, v9, v8
	s_mul_i32 s4, s23, s8
	s_mul_hi_u32 s5, s22, s8
	v_mov_b32_e32 v5, s25
	v_add_co_u32_e32 v4, vcc, s24, v4
	v_lshlrev_b64 v[6:7], 4, v[6:7]
	s_add_i32 s5, s5, s4
	s_mul_i32 s4, s22, s8
	v_addc_co_u32_e32 v5, vcc, v5, v0, vcc
	s_lshl_b64 s[4:5], s[4:5], 4
	v_mov_b32_e32 v0, s5
	v_add_co_u32_e32 v6, vcc, s4, v6
	v_addc_co_u32_e32 v0, vcc, v7, v0, vcc
	v_lshlrev_b32_e32 v1, 4, v1
	v_add_co_u32_e32 v1, vcc, v6, v1
	v_addc_co_u32_e32 v6, vcc, 0, v0, vcc
	v_mov_b32_e32 v7, s19
	v_add_co_u32_e32 v0, vcc, s18, v1
	v_addc_co_u32_e32 v1, vcc, v7, v6, vcc
	v_mov_b32_e32 v8, 0
	v_mov_b32_e32 v10, 0
	;; [unrolled: 1-line block ×3, first 2 shown]
	v_add_u32_e32 v17, v16, v14
	v_mov_b32_e32 v9, 0
	s_mov_b64 s[4:5], 0
	v_mov_b32_e32 v11, 0
	v_mov_b32_e32 v7, s13
.LBB1202_2:                             ; =>This Inner Loop Header: Depth=1
	global_load_dwordx4 v[18:21], v[0:1], off
	s_add_u32 s4, s4, 16
	s_addc_u32 s5, s5, 0
	s_waitcnt vmcnt(0)
	ds_write2_b64 v15, v[18:19], v[20:21] offset1:1
	global_load_dwordx4 v[18:21], v[4:5], off
	v_add_co_u32_e32 v4, vcc, 0x100, v4
	v_addc_co_u32_e32 v5, vcc, 0, v5, vcc
	v_add_co_u32_e32 v0, vcc, 0x100, v0
	v_addc_co_u32_e32 v1, vcc, 0, v1, vcc
	v_cmp_lt_i64_e32 vcc, s[4:5], v[6:7]
	s_and_b64 vcc, exec, vcc
	s_waitcnt vmcnt(0)
	ds_write2_b64 v17, v[18:19], v[20:21] offset1:1
	s_waitcnt lgkmcnt(0)
	s_barrier
	ds_read_b128 v[18:21], v16
	ds_read_b128 v[22:25], v16 offset:16
	ds_read_b128 v[26:29], v16 offset:32
	;; [unrolled: 1-line block ×3, first 2 shown]
	ds_read_b128 v[34:37], v14
	s_waitcnt lgkmcnt(0)
	v_mul_f64 v[38:39], v[20:21], v[36:37]
	v_fma_f64 v[38:39], v[18:19], v[34:35], -v[38:39]
	v_mul_f64 v[18:19], v[18:19], v[36:37]
	v_fma_f64 v[18:19], v[20:21], v[34:35], v[18:19]
	v_add_f64 v[20:21], v[10:11], v[38:39]
	v_add_f64 v[18:19], v[8:9], v[18:19]
	ds_read_b128 v[8:11], v14 offset:256
	s_waitcnt lgkmcnt(0)
	v_mul_f64 v[34:35], v[24:25], v[10:11]
	v_mul_f64 v[10:11], v[22:23], v[10:11]
	v_fma_f64 v[34:35], v[22:23], v[8:9], -v[34:35]
	v_fma_f64 v[8:9], v[24:25], v[8:9], v[10:11]
	v_add_f64 v[20:21], v[20:21], v[34:35]
	v_add_f64 v[18:19], v[18:19], v[8:9]
	ds_read_b128 v[8:11], v14 offset:512
	s_waitcnt lgkmcnt(0)
	v_mul_f64 v[22:23], v[28:29], v[10:11]
	v_mul_f64 v[10:11], v[26:27], v[10:11]
	v_fma_f64 v[22:23], v[26:27], v[8:9], -v[22:23]
	;; [unrolled: 8-line block ×3, first 2 shown]
	v_fma_f64 v[8:9], v[32:33], v[8:9], v[10:11]
	v_add_f64 v[22:23], v[20:21], v[22:23]
	v_add_f64 v[24:25], v[18:19], v[8:9]
	ds_read_b128 v[8:11], v16 offset:64
	ds_read_b128 v[18:21], v14 offset:1024
	s_waitcnt lgkmcnt(0)
	v_mul_f64 v[26:27], v[10:11], v[20:21]
	v_fma_f64 v[26:27], v[8:9], v[18:19], -v[26:27]
	v_mul_f64 v[8:9], v[8:9], v[20:21]
	v_add_f64 v[22:23], v[22:23], v[26:27]
	v_fma_f64 v[8:9], v[10:11], v[18:19], v[8:9]
	v_add_f64 v[24:25], v[24:25], v[8:9]
	ds_read_b128 v[8:11], v16 offset:80
	ds_read_b128 v[18:21], v14 offset:1280
	s_waitcnt lgkmcnt(0)
	v_mul_f64 v[26:27], v[10:11], v[20:21]
	v_fma_f64 v[26:27], v[8:9], v[18:19], -v[26:27]
	v_mul_f64 v[8:9], v[8:9], v[20:21]
	v_add_f64 v[22:23], v[22:23], v[26:27]
	v_fma_f64 v[8:9], v[10:11], v[18:19], v[8:9]
	;; [unrolled: 9-line block ×11, first 2 shown]
	v_add_f64 v[24:25], v[24:25], v[8:9]
	ds_read_b128 v[8:11], v16 offset:240
	ds_read_b128 v[18:21], v14 offset:3840
	s_waitcnt lgkmcnt(0)
	s_barrier
	v_mul_f64 v[26:27], v[10:11], v[20:21]
	v_fma_f64 v[26:27], v[8:9], v[18:19], -v[26:27]
	v_mul_f64 v[8:9], v[8:9], v[20:21]
	v_fma_f64 v[8:9], v[10:11], v[18:19], v[8:9]
	v_add_f64 v[10:11], v[22:23], v[26:27]
	v_add_f64 v[8:9], v[24:25], v[8:9]
	s_cbranch_vccnz .LBB1202_2
; %bb.3:
	v_cmp_le_i32_e32 vcc, v2, v12
	s_and_saveexec_b64 s[4:5], vcc
	s_cbranch_execz .LBB1202_5
.LBB1202_4:
	v_mul_lo_u32 v4, s1, v12
	v_mul_lo_u32 v5, s0, v13
	v_mad_u64_u32 v[0:1], s[0:1], s0, v12, 0
	s_mul_i32 s3, s3, s8
	s_mul_hi_u32 s4, s2, s8
	s_add_i32 s3, s4, s3
	s_mul_i32 s2, s2, s8
	s_lshl_b64 s[0:1], s[2:3], 4
	v_add3_u32 v1, v1, v5, v4
	s_add_u32 s0, s42, s0
	v_lshlrev_b64 v[0:1], 4, v[0:1]
	s_addc_u32 s1, s43, s1
	v_mov_b32_e32 v4, s1
	v_add_co_u32_e32 v5, vcc, s0, v0
	v_addc_co_u32_e32 v6, vcc, v4, v1, vcc
	v_lshlrev_b64 v[0:1], 4, v[2:3]
	v_add_co_u32_e32 v4, vcc, v5, v0
	v_addc_co_u32_e32 v5, vcc, v6, v1, vcc
	global_load_dwordx4 v[0:3], v[4:5], off
	v_mul_f64 v[6:7], s[16:17], v[8:9]
	v_mul_f64 v[8:9], s[14:15], v[8:9]
	v_fma_f64 v[6:7], s[14:15], v[10:11], -v[6:7]
	v_fma_f64 v[8:9], s[16:17], v[10:11], v[8:9]
	s_waitcnt vmcnt(0)
	v_mul_f64 v[12:13], s[40:41], v[2:3]
	v_mul_f64 v[2:3], s[38:39], v[2:3]
	v_fma_f64 v[10:11], s[38:39], v[0:1], -v[12:13]
	v_fma_f64 v[2:3], s[40:41], v[0:1], v[2:3]
	v_add_f64 v[0:1], v[6:7], v[10:11]
	v_add_f64 v[2:3], v[8:9], v[2:3]
	global_store_dwordx4 v[4:5], v[0:3], off
.LBB1202_5:
	s_endpgm
.LBB1202_6:
	v_mov_b32_e32 v8, 0
	v_mov_b32_e32 v10, 0
	;; [unrolled: 1-line block ×4, first 2 shown]
	v_cmp_le_i32_e32 vcc, v2, v12
	s_and_saveexec_b64 s[4:5], vcc
	s_cbranch_execnz .LBB1202_4
	s_branch .LBB1202_5
	.section	.rodata,"a",@progbits
	.p2align	6, 0x0
	.amdhsa_kernel _ZL41rocblas_syrkx_herkx_small_restrict_kernelIl19rocblas_complex_numIdELi16ELb0ELb0ELc84ELc85EKS1_S1_EviT_T0_PT6_S3_lS6_S3_lS4_PT7_S3_li
		.amdhsa_group_segment_fixed_size 8192
		.amdhsa_private_segment_fixed_size 0
		.amdhsa_kernarg_size 124
		.amdhsa_user_sgpr_count 6
		.amdhsa_user_sgpr_private_segment_buffer 1
		.amdhsa_user_sgpr_dispatch_ptr 0
		.amdhsa_user_sgpr_queue_ptr 0
		.amdhsa_user_sgpr_kernarg_segment_ptr 1
		.amdhsa_user_sgpr_dispatch_id 0
		.amdhsa_user_sgpr_flat_scratch_init 0
		.amdhsa_user_sgpr_private_segment_size 0
		.amdhsa_uses_dynamic_stack 0
		.amdhsa_system_sgpr_private_segment_wavefront_offset 0
		.amdhsa_system_sgpr_workgroup_id_x 1
		.amdhsa_system_sgpr_workgroup_id_y 1
		.amdhsa_system_sgpr_workgroup_id_z 1
		.amdhsa_system_sgpr_workgroup_info 0
		.amdhsa_system_vgpr_workitem_id 1
		.amdhsa_next_free_vgpr 40
		.amdhsa_next_free_sgpr 61
		.amdhsa_reserve_vcc 1
		.amdhsa_reserve_flat_scratch 0
		.amdhsa_float_round_mode_32 0
		.amdhsa_float_round_mode_16_64 0
		.amdhsa_float_denorm_mode_32 3
		.amdhsa_float_denorm_mode_16_64 3
		.amdhsa_dx10_clamp 1
		.amdhsa_ieee_mode 1
		.amdhsa_fp16_overflow 0
		.amdhsa_exception_fp_ieee_invalid_op 0
		.amdhsa_exception_fp_denorm_src 0
		.amdhsa_exception_fp_ieee_div_zero 0
		.amdhsa_exception_fp_ieee_overflow 0
		.amdhsa_exception_fp_ieee_underflow 0
		.amdhsa_exception_fp_ieee_inexact 0
		.amdhsa_exception_int_div_zero 0
	.end_amdhsa_kernel
	.section	.text._ZL41rocblas_syrkx_herkx_small_restrict_kernelIl19rocblas_complex_numIdELi16ELb0ELb0ELc84ELc85EKS1_S1_EviT_T0_PT6_S3_lS6_S3_lS4_PT7_S3_li,"axG",@progbits,_ZL41rocblas_syrkx_herkx_small_restrict_kernelIl19rocblas_complex_numIdELi16ELb0ELb0ELc84ELc85EKS1_S1_EviT_T0_PT6_S3_lS6_S3_lS4_PT7_S3_li,comdat
.Lfunc_end1202:
	.size	_ZL41rocblas_syrkx_herkx_small_restrict_kernelIl19rocblas_complex_numIdELi16ELb0ELb0ELc84ELc85EKS1_S1_EviT_T0_PT6_S3_lS6_S3_lS4_PT7_S3_li, .Lfunc_end1202-_ZL41rocblas_syrkx_herkx_small_restrict_kernelIl19rocblas_complex_numIdELi16ELb0ELb0ELc84ELc85EKS1_S1_EviT_T0_PT6_S3_lS6_S3_lS4_PT7_S3_li
                                        ; -- End function
	.set _ZL41rocblas_syrkx_herkx_small_restrict_kernelIl19rocblas_complex_numIdELi16ELb0ELb0ELc84ELc85EKS1_S1_EviT_T0_PT6_S3_lS6_S3_lS4_PT7_S3_li.num_vgpr, 40
	.set _ZL41rocblas_syrkx_herkx_small_restrict_kernelIl19rocblas_complex_numIdELi16ELb0ELb0ELc84ELc85EKS1_S1_EviT_T0_PT6_S3_lS6_S3_lS4_PT7_S3_li.num_agpr, 0
	.set _ZL41rocblas_syrkx_herkx_small_restrict_kernelIl19rocblas_complex_numIdELi16ELb0ELb0ELc84ELc85EKS1_S1_EviT_T0_PT6_S3_lS6_S3_lS4_PT7_S3_li.numbered_sgpr, 44
	.set _ZL41rocblas_syrkx_herkx_small_restrict_kernelIl19rocblas_complex_numIdELi16ELb0ELb0ELc84ELc85EKS1_S1_EviT_T0_PT6_S3_lS6_S3_lS4_PT7_S3_li.num_named_barrier, 0
	.set _ZL41rocblas_syrkx_herkx_small_restrict_kernelIl19rocblas_complex_numIdELi16ELb0ELb0ELc84ELc85EKS1_S1_EviT_T0_PT6_S3_lS6_S3_lS4_PT7_S3_li.private_seg_size, 0
	.set _ZL41rocblas_syrkx_herkx_small_restrict_kernelIl19rocblas_complex_numIdELi16ELb0ELb0ELc84ELc85EKS1_S1_EviT_T0_PT6_S3_lS6_S3_lS4_PT7_S3_li.uses_vcc, 1
	.set _ZL41rocblas_syrkx_herkx_small_restrict_kernelIl19rocblas_complex_numIdELi16ELb0ELb0ELc84ELc85EKS1_S1_EviT_T0_PT6_S3_lS6_S3_lS4_PT7_S3_li.uses_flat_scratch, 0
	.set _ZL41rocblas_syrkx_herkx_small_restrict_kernelIl19rocblas_complex_numIdELi16ELb0ELb0ELc84ELc85EKS1_S1_EviT_T0_PT6_S3_lS6_S3_lS4_PT7_S3_li.has_dyn_sized_stack, 0
	.set _ZL41rocblas_syrkx_herkx_small_restrict_kernelIl19rocblas_complex_numIdELi16ELb0ELb0ELc84ELc85EKS1_S1_EviT_T0_PT6_S3_lS6_S3_lS4_PT7_S3_li.has_recursion, 0
	.set _ZL41rocblas_syrkx_herkx_small_restrict_kernelIl19rocblas_complex_numIdELi16ELb0ELb0ELc84ELc85EKS1_S1_EviT_T0_PT6_S3_lS6_S3_lS4_PT7_S3_li.has_indirect_call, 0
	.section	.AMDGPU.csdata,"",@progbits
; Kernel info:
; codeLenInByte = 1736
; TotalNumSgprs: 48
; NumVgprs: 40
; ScratchSize: 0
; MemoryBound: 0
; FloatMode: 240
; IeeeMode: 1
; LDSByteSize: 8192 bytes/workgroup (compile time only)
; SGPRBlocks: 8
; VGPRBlocks: 9
; NumSGPRsForWavesPerEU: 65
; NumVGPRsForWavesPerEU: 40
; Occupancy: 6
; WaveLimiterHint : 0
; COMPUTE_PGM_RSRC2:SCRATCH_EN: 0
; COMPUTE_PGM_RSRC2:USER_SGPR: 6
; COMPUTE_PGM_RSRC2:TRAP_HANDLER: 0
; COMPUTE_PGM_RSRC2:TGID_X_EN: 1
; COMPUTE_PGM_RSRC2:TGID_Y_EN: 1
; COMPUTE_PGM_RSRC2:TGID_Z_EN: 1
; COMPUTE_PGM_RSRC2:TIDIG_COMP_CNT: 1
	.section	.text._ZL41rocblas_syrkx_herkx_small_restrict_kernelIl19rocblas_complex_numIdELi16ELb0ELb0ELc67ELc85EKS1_S1_EviT_T0_PT6_S3_lS6_S3_lS4_PT7_S3_li,"axG",@progbits,_ZL41rocblas_syrkx_herkx_small_restrict_kernelIl19rocblas_complex_numIdELi16ELb0ELb0ELc67ELc85EKS1_S1_EviT_T0_PT6_S3_lS6_S3_lS4_PT7_S3_li,comdat
	.globl	_ZL41rocblas_syrkx_herkx_small_restrict_kernelIl19rocblas_complex_numIdELi16ELb0ELb0ELc67ELc85EKS1_S1_EviT_T0_PT6_S3_lS6_S3_lS4_PT7_S3_li ; -- Begin function _ZL41rocblas_syrkx_herkx_small_restrict_kernelIl19rocblas_complex_numIdELi16ELb0ELb0ELc67ELc85EKS1_S1_EviT_T0_PT6_S3_lS6_S3_lS4_PT7_S3_li
	.p2align	8
	.type	_ZL41rocblas_syrkx_herkx_small_restrict_kernelIl19rocblas_complex_numIdELi16ELb0ELb0ELc67ELc85EKS1_S1_EviT_T0_PT6_S3_lS6_S3_lS4_PT7_S3_li,@function
_ZL41rocblas_syrkx_herkx_small_restrict_kernelIl19rocblas_complex_numIdELi16ELb0ELb0ELc67ELc85EKS1_S1_EviT_T0_PT6_S3_lS6_S3_lS4_PT7_S3_li: ; @_ZL41rocblas_syrkx_herkx_small_restrict_kernelIl19rocblas_complex_numIdELi16ELb0ELb0ELc67ELc85EKS1_S1_EviT_T0_PT6_S3_lS6_S3_lS4_PT7_S3_li
; %bb.0:
	s_load_dwordx16 s[12:27], s[4:5], 0x8
	s_load_dwordx4 s[0:3], s[4:5], 0x68
	s_load_dwordx8 s[36:43], s[4:5], 0x48
	v_lshl_add_u32 v2, s6, 4, v0
	v_lshl_add_u32 v12, s7, 4, v1
	s_waitcnt lgkmcnt(0)
	v_cmp_lt_i64_e64 s[4:5], s[12:13], 1
	v_ashrrev_i32_e32 v3, 31, v2
	s_and_b64 vcc, exec, s[4:5]
	v_ashrrev_i32_e32 v13, 31, v12
	s_cbranch_vccnz .LBB1203_6
; %bb.1:
	v_lshlrev_b32_e32 v14, 4, v0
	v_mul_lo_u32 v0, s27, v12
	v_mul_lo_u32 v7, s26, v13
	v_mad_u64_u32 v[4:5], s[4:5], s26, v12, 0
	s_mul_i32 s4, s37, s8
	s_mul_hi_u32 s5, s36, s8
	v_add3_u32 v5, v5, v7, v0
	v_lshlrev_b64 v[4:5], 4, v[4:5]
	s_add_i32 s5, s5, s4
	s_mul_i32 s4, s36, s8
	v_lshlrev_b32_e32 v6, 8, v1
	s_lshl_b64 s[4:5], s[4:5], 4
	v_add_u32_e32 v15, v14, v6
	v_add_u32_e32 v16, 0x1000, v6
	v_mov_b32_e32 v0, s5
	v_add_co_u32_e32 v4, vcc, s4, v4
	v_mul_lo_u32 v8, s21, v2
	v_mul_lo_u32 v9, s20, v3
	v_mad_u64_u32 v[6:7], s[4:5], s20, v2, 0
	v_addc_co_u32_e32 v0, vcc, v5, v0, vcc
	v_add_co_u32_e32 v4, vcc, v4, v14
	v_addc_co_u32_e32 v0, vcc, 0, v0, vcc
	v_add3_u32 v7, v7, v9, v8
	s_mul_i32 s4, s23, s8
	s_mul_hi_u32 s5, s22, s8
	v_mov_b32_e32 v5, s25
	v_add_co_u32_e32 v4, vcc, s24, v4
	v_lshlrev_b64 v[6:7], 4, v[6:7]
	s_add_i32 s5, s5, s4
	s_mul_i32 s4, s22, s8
	v_addc_co_u32_e32 v5, vcc, v5, v0, vcc
	s_lshl_b64 s[4:5], s[4:5], 4
	v_mov_b32_e32 v0, s5
	v_add_co_u32_e32 v6, vcc, s4, v6
	v_addc_co_u32_e32 v0, vcc, v7, v0, vcc
	v_lshlrev_b32_e32 v1, 4, v1
	v_add_co_u32_e32 v1, vcc, v6, v1
	v_addc_co_u32_e32 v0, vcc, 0, v0, vcc
	v_mov_b32_e32 v6, s19
	v_add_co_u32_e32 v1, vcc, s18, v1
	v_addc_co_u32_e32 v6, vcc, v6, v0, vcc
	v_add_co_u32_e32 v0, vcc, 8, v1
	v_addc_co_u32_e32 v1, vcc, 0, v6, vcc
	v_mov_b32_e32 v8, 0
	v_mov_b32_e32 v10, 0
	;; [unrolled: 1-line block ×3, first 2 shown]
	v_add_u32_e32 v17, v16, v14
	v_mov_b32_e32 v9, 0
	s_mov_b64 s[4:5], 0
	v_mov_b32_e32 v11, 0
	v_mov_b32_e32 v7, s13
.LBB1203_2:                             ; =>This Inner Loop Header: Depth=1
	global_load_dwordx4 v[18:21], v[0:1], off offset:-8
	s_add_u32 s4, s4, 16
	s_addc_u32 s5, s5, 0
	s_waitcnt vmcnt(0)
	ds_write_b128 v15, v[18:21]
	global_load_dwordx4 v[18:21], v[4:5], off
	v_add_co_u32_e32 v4, vcc, 0x100, v4
	v_addc_co_u32_e32 v5, vcc, 0, v5, vcc
	v_add_co_u32_e32 v0, vcc, 0x100, v0
	v_addc_co_u32_e32 v1, vcc, 0, v1, vcc
	v_cmp_lt_i64_e32 vcc, s[4:5], v[6:7]
	s_and_b64 vcc, exec, vcc
	s_waitcnt vmcnt(0)
	ds_write2_b64 v17, v[18:19], v[20:21] offset1:1
	s_waitcnt lgkmcnt(0)
	s_barrier
	ds_read_b128 v[18:21], v16
	ds_read_b128 v[22:25], v16 offset:16
	ds_read_b128 v[26:29], v16 offset:32
	;; [unrolled: 1-line block ×3, first 2 shown]
	ds_read_b128 v[34:37], v14
	s_waitcnt lgkmcnt(0)
	v_mul_f64 v[38:39], v[20:21], v[36:37]
	v_fma_f64 v[38:39], v[18:19], v[34:35], -v[38:39]
	v_mul_f64 v[18:19], v[18:19], v[36:37]
	v_fma_f64 v[18:19], v[20:21], v[34:35], v[18:19]
	v_add_f64 v[20:21], v[10:11], v[38:39]
	v_add_f64 v[18:19], v[8:9], v[18:19]
	ds_read_b128 v[8:11], v14 offset:256
	s_waitcnt lgkmcnt(0)
	v_mul_f64 v[34:35], v[24:25], v[10:11]
	v_mul_f64 v[10:11], v[22:23], v[10:11]
	v_fma_f64 v[34:35], v[22:23], v[8:9], -v[34:35]
	v_fma_f64 v[8:9], v[24:25], v[8:9], v[10:11]
	v_add_f64 v[20:21], v[20:21], v[34:35]
	v_add_f64 v[18:19], v[18:19], v[8:9]
	ds_read_b128 v[8:11], v14 offset:512
	s_waitcnt lgkmcnt(0)
	v_mul_f64 v[22:23], v[28:29], v[10:11]
	v_mul_f64 v[10:11], v[26:27], v[10:11]
	v_fma_f64 v[22:23], v[26:27], v[8:9], -v[22:23]
	v_fma_f64 v[8:9], v[28:29], v[8:9], v[10:11]
	v_add_f64 v[20:21], v[20:21], v[22:23]
	v_add_f64 v[18:19], v[18:19], v[8:9]
	ds_read_b128 v[8:11], v14 offset:768
	s_waitcnt lgkmcnt(0)
	v_mul_f64 v[22:23], v[32:33], v[10:11]
	v_mul_f64 v[10:11], v[30:31], v[10:11]
	v_fma_f64 v[22:23], v[30:31], v[8:9], -v[22:23]
	v_fma_f64 v[8:9], v[32:33], v[8:9], v[10:11]
	v_add_f64 v[22:23], v[20:21], v[22:23]
	v_add_f64 v[24:25], v[18:19], v[8:9]
	ds_read_b128 v[8:11], v16 offset:64
	ds_read_b128 v[18:21], v14 offset:1024
	s_waitcnt lgkmcnt(0)
	v_mul_f64 v[26:27], v[10:11], v[20:21]
	v_fma_f64 v[26:27], v[8:9], v[18:19], -v[26:27]
	v_mul_f64 v[8:9], v[8:9], v[20:21]
	v_add_f64 v[22:23], v[22:23], v[26:27]
	v_fma_f64 v[8:9], v[10:11], v[18:19], v[8:9]
	v_add_f64 v[24:25], v[24:25], v[8:9]
	ds_read_b128 v[8:11], v16 offset:80
	ds_read_b128 v[18:21], v14 offset:1280
	s_waitcnt lgkmcnt(0)
	v_mul_f64 v[26:27], v[10:11], v[20:21]
	v_fma_f64 v[26:27], v[8:9], v[18:19], -v[26:27]
	v_mul_f64 v[8:9], v[8:9], v[20:21]
	v_add_f64 v[22:23], v[22:23], v[26:27]
	v_fma_f64 v[8:9], v[10:11], v[18:19], v[8:9]
	;; [unrolled: 9-line block ×11, first 2 shown]
	v_add_f64 v[24:25], v[24:25], v[8:9]
	ds_read_b128 v[8:11], v16 offset:240
	ds_read_b128 v[18:21], v14 offset:3840
	s_waitcnt lgkmcnt(0)
	s_barrier
	v_mul_f64 v[26:27], v[10:11], v[20:21]
	v_fma_f64 v[26:27], v[8:9], v[18:19], -v[26:27]
	v_mul_f64 v[8:9], v[8:9], v[20:21]
	v_fma_f64 v[8:9], v[10:11], v[18:19], v[8:9]
	v_add_f64 v[10:11], v[22:23], v[26:27]
	v_add_f64 v[8:9], v[24:25], v[8:9]
	s_cbranch_vccnz .LBB1203_2
; %bb.3:
	v_cmp_le_i32_e32 vcc, v2, v12
	s_and_saveexec_b64 s[4:5], vcc
	s_cbranch_execz .LBB1203_5
.LBB1203_4:
	v_mul_lo_u32 v4, s1, v12
	v_mul_lo_u32 v5, s0, v13
	v_mad_u64_u32 v[0:1], s[0:1], s0, v12, 0
	s_mul_i32 s3, s3, s8
	s_mul_hi_u32 s4, s2, s8
	s_add_i32 s3, s4, s3
	s_mul_i32 s2, s2, s8
	s_lshl_b64 s[0:1], s[2:3], 4
	v_add3_u32 v1, v1, v5, v4
	s_add_u32 s0, s42, s0
	v_lshlrev_b64 v[0:1], 4, v[0:1]
	s_addc_u32 s1, s43, s1
	v_mov_b32_e32 v4, s1
	v_add_co_u32_e32 v5, vcc, s0, v0
	v_addc_co_u32_e32 v6, vcc, v4, v1, vcc
	v_lshlrev_b64 v[0:1], 4, v[2:3]
	v_add_co_u32_e32 v4, vcc, v5, v0
	v_addc_co_u32_e32 v5, vcc, v6, v1, vcc
	global_load_dwordx4 v[0:3], v[4:5], off
	v_mul_f64 v[6:7], s[16:17], v[8:9]
	v_mul_f64 v[8:9], s[14:15], v[8:9]
	v_fma_f64 v[6:7], s[14:15], v[10:11], -v[6:7]
	v_fma_f64 v[8:9], s[16:17], v[10:11], v[8:9]
	s_waitcnt vmcnt(0)
	v_mul_f64 v[12:13], s[40:41], v[2:3]
	v_mul_f64 v[2:3], s[38:39], v[2:3]
	v_fma_f64 v[10:11], s[38:39], v[0:1], -v[12:13]
	v_fma_f64 v[2:3], s[40:41], v[0:1], v[2:3]
	v_add_f64 v[0:1], v[6:7], v[10:11]
	v_add_f64 v[2:3], v[8:9], v[2:3]
	global_store_dwordx4 v[4:5], v[0:3], off
.LBB1203_5:
	s_endpgm
.LBB1203_6:
	v_mov_b32_e32 v8, 0
	v_mov_b32_e32 v10, 0
	;; [unrolled: 1-line block ×4, first 2 shown]
	v_cmp_le_i32_e32 vcc, v2, v12
	s_and_saveexec_b64 s[4:5], vcc
	s_cbranch_execnz .LBB1203_4
	s_branch .LBB1203_5
	.section	.rodata,"a",@progbits
	.p2align	6, 0x0
	.amdhsa_kernel _ZL41rocblas_syrkx_herkx_small_restrict_kernelIl19rocblas_complex_numIdELi16ELb0ELb0ELc67ELc85EKS1_S1_EviT_T0_PT6_S3_lS6_S3_lS4_PT7_S3_li
		.amdhsa_group_segment_fixed_size 8192
		.amdhsa_private_segment_fixed_size 0
		.amdhsa_kernarg_size 124
		.amdhsa_user_sgpr_count 6
		.amdhsa_user_sgpr_private_segment_buffer 1
		.amdhsa_user_sgpr_dispatch_ptr 0
		.amdhsa_user_sgpr_queue_ptr 0
		.amdhsa_user_sgpr_kernarg_segment_ptr 1
		.amdhsa_user_sgpr_dispatch_id 0
		.amdhsa_user_sgpr_flat_scratch_init 0
		.amdhsa_user_sgpr_private_segment_size 0
		.amdhsa_uses_dynamic_stack 0
		.amdhsa_system_sgpr_private_segment_wavefront_offset 0
		.amdhsa_system_sgpr_workgroup_id_x 1
		.amdhsa_system_sgpr_workgroup_id_y 1
		.amdhsa_system_sgpr_workgroup_id_z 1
		.amdhsa_system_sgpr_workgroup_info 0
		.amdhsa_system_vgpr_workitem_id 1
		.amdhsa_next_free_vgpr 40
		.amdhsa_next_free_sgpr 61
		.amdhsa_reserve_vcc 1
		.amdhsa_reserve_flat_scratch 0
		.amdhsa_float_round_mode_32 0
		.amdhsa_float_round_mode_16_64 0
		.amdhsa_float_denorm_mode_32 3
		.amdhsa_float_denorm_mode_16_64 3
		.amdhsa_dx10_clamp 1
		.amdhsa_ieee_mode 1
		.amdhsa_fp16_overflow 0
		.amdhsa_exception_fp_ieee_invalid_op 0
		.amdhsa_exception_fp_denorm_src 0
		.amdhsa_exception_fp_ieee_div_zero 0
		.amdhsa_exception_fp_ieee_overflow 0
		.amdhsa_exception_fp_ieee_underflow 0
		.amdhsa_exception_fp_ieee_inexact 0
		.amdhsa_exception_int_div_zero 0
	.end_amdhsa_kernel
	.section	.text._ZL41rocblas_syrkx_herkx_small_restrict_kernelIl19rocblas_complex_numIdELi16ELb0ELb0ELc67ELc85EKS1_S1_EviT_T0_PT6_S3_lS6_S3_lS4_PT7_S3_li,"axG",@progbits,_ZL41rocblas_syrkx_herkx_small_restrict_kernelIl19rocblas_complex_numIdELi16ELb0ELb0ELc67ELc85EKS1_S1_EviT_T0_PT6_S3_lS6_S3_lS4_PT7_S3_li,comdat
.Lfunc_end1203:
	.size	_ZL41rocblas_syrkx_herkx_small_restrict_kernelIl19rocblas_complex_numIdELi16ELb0ELb0ELc67ELc85EKS1_S1_EviT_T0_PT6_S3_lS6_S3_lS4_PT7_S3_li, .Lfunc_end1203-_ZL41rocblas_syrkx_herkx_small_restrict_kernelIl19rocblas_complex_numIdELi16ELb0ELb0ELc67ELc85EKS1_S1_EviT_T0_PT6_S3_lS6_S3_lS4_PT7_S3_li
                                        ; -- End function
	.set _ZL41rocblas_syrkx_herkx_small_restrict_kernelIl19rocblas_complex_numIdELi16ELb0ELb0ELc67ELc85EKS1_S1_EviT_T0_PT6_S3_lS6_S3_lS4_PT7_S3_li.num_vgpr, 40
	.set _ZL41rocblas_syrkx_herkx_small_restrict_kernelIl19rocblas_complex_numIdELi16ELb0ELb0ELc67ELc85EKS1_S1_EviT_T0_PT6_S3_lS6_S3_lS4_PT7_S3_li.num_agpr, 0
	.set _ZL41rocblas_syrkx_herkx_small_restrict_kernelIl19rocblas_complex_numIdELi16ELb0ELb0ELc67ELc85EKS1_S1_EviT_T0_PT6_S3_lS6_S3_lS4_PT7_S3_li.numbered_sgpr, 44
	.set _ZL41rocblas_syrkx_herkx_small_restrict_kernelIl19rocblas_complex_numIdELi16ELb0ELb0ELc67ELc85EKS1_S1_EviT_T0_PT6_S3_lS6_S3_lS4_PT7_S3_li.num_named_barrier, 0
	.set _ZL41rocblas_syrkx_herkx_small_restrict_kernelIl19rocblas_complex_numIdELi16ELb0ELb0ELc67ELc85EKS1_S1_EviT_T0_PT6_S3_lS6_S3_lS4_PT7_S3_li.private_seg_size, 0
	.set _ZL41rocblas_syrkx_herkx_small_restrict_kernelIl19rocblas_complex_numIdELi16ELb0ELb0ELc67ELc85EKS1_S1_EviT_T0_PT6_S3_lS6_S3_lS4_PT7_S3_li.uses_vcc, 1
	.set _ZL41rocblas_syrkx_herkx_small_restrict_kernelIl19rocblas_complex_numIdELi16ELb0ELb0ELc67ELc85EKS1_S1_EviT_T0_PT6_S3_lS6_S3_lS4_PT7_S3_li.uses_flat_scratch, 0
	.set _ZL41rocblas_syrkx_herkx_small_restrict_kernelIl19rocblas_complex_numIdELi16ELb0ELb0ELc67ELc85EKS1_S1_EviT_T0_PT6_S3_lS6_S3_lS4_PT7_S3_li.has_dyn_sized_stack, 0
	.set _ZL41rocblas_syrkx_herkx_small_restrict_kernelIl19rocblas_complex_numIdELi16ELb0ELb0ELc67ELc85EKS1_S1_EviT_T0_PT6_S3_lS6_S3_lS4_PT7_S3_li.has_recursion, 0
	.set _ZL41rocblas_syrkx_herkx_small_restrict_kernelIl19rocblas_complex_numIdELi16ELb0ELb0ELc67ELc85EKS1_S1_EviT_T0_PT6_S3_lS6_S3_lS4_PT7_S3_li.has_indirect_call, 0
	.section	.AMDGPU.csdata,"",@progbits
; Kernel info:
; codeLenInByte = 1744
; TotalNumSgprs: 48
; NumVgprs: 40
; ScratchSize: 0
; MemoryBound: 0
; FloatMode: 240
; IeeeMode: 1
; LDSByteSize: 8192 bytes/workgroup (compile time only)
; SGPRBlocks: 8
; VGPRBlocks: 9
; NumSGPRsForWavesPerEU: 65
; NumVGPRsForWavesPerEU: 40
; Occupancy: 6
; WaveLimiterHint : 0
; COMPUTE_PGM_RSRC2:SCRATCH_EN: 0
; COMPUTE_PGM_RSRC2:USER_SGPR: 6
; COMPUTE_PGM_RSRC2:TRAP_HANDLER: 0
; COMPUTE_PGM_RSRC2:TGID_X_EN: 1
; COMPUTE_PGM_RSRC2:TGID_Y_EN: 1
; COMPUTE_PGM_RSRC2:TGID_Z_EN: 1
; COMPUTE_PGM_RSRC2:TIDIG_COMP_CNT: 1
	.section	.text._ZL41rocblas_syrkx_herkx_small_restrict_kernelIl19rocblas_complex_numIdELi16ELb0ELb0ELc78ELc85EKS1_S1_EviT_T0_PT6_S3_lS6_S3_lS4_PT7_S3_li,"axG",@progbits,_ZL41rocblas_syrkx_herkx_small_restrict_kernelIl19rocblas_complex_numIdELi16ELb0ELb0ELc78ELc85EKS1_S1_EviT_T0_PT6_S3_lS6_S3_lS4_PT7_S3_li,comdat
	.globl	_ZL41rocblas_syrkx_herkx_small_restrict_kernelIl19rocblas_complex_numIdELi16ELb0ELb0ELc78ELc85EKS1_S1_EviT_T0_PT6_S3_lS6_S3_lS4_PT7_S3_li ; -- Begin function _ZL41rocblas_syrkx_herkx_small_restrict_kernelIl19rocblas_complex_numIdELi16ELb0ELb0ELc78ELc85EKS1_S1_EviT_T0_PT6_S3_lS6_S3_lS4_PT7_S3_li
	.p2align	8
	.type	_ZL41rocblas_syrkx_herkx_small_restrict_kernelIl19rocblas_complex_numIdELi16ELb0ELb0ELc78ELc85EKS1_S1_EviT_T0_PT6_S3_lS6_S3_lS4_PT7_S3_li,@function
_ZL41rocblas_syrkx_herkx_small_restrict_kernelIl19rocblas_complex_numIdELi16ELb0ELb0ELc78ELc85EKS1_S1_EviT_T0_PT6_S3_lS6_S3_lS4_PT7_S3_li: ; @_ZL41rocblas_syrkx_herkx_small_restrict_kernelIl19rocblas_complex_numIdELi16ELb0ELb0ELc78ELc85EKS1_S1_EviT_T0_PT6_S3_lS6_S3_lS4_PT7_S3_li
; %bb.0:
	s_load_dwordx16 s[12:27], s[4:5], 0x8
	s_load_dwordx4 s[0:3], s[4:5], 0x68
	s_load_dwordx8 s[36:43], s[4:5], 0x48
	v_lshl_add_u32 v2, s6, 4, v0
	v_lshl_add_u32 v4, s7, 4, v1
	s_waitcnt lgkmcnt(0)
	v_cmp_lt_i64_e64 s[4:5], s[12:13], 1
	v_ashrrev_i32_e32 v3, 31, v2
	s_and_b64 vcc, exec, s[4:5]
	v_ashrrev_i32_e32 v5, 31, v4
	s_cbranch_vccnz .LBB1204_6
; %bb.1:
	v_lshlrev_b32_e32 v6, 8, v1
	v_lshlrev_b32_e32 v14, 4, v0
	v_add_u32_e32 v15, v14, v6
	v_add_u32_e32 v16, 0x1000, v6
	v_mad_u64_u32 v[6:7], s[4:5], s26, v0, 0
	s_mul_i32 s6, s37, s8
	s_mul_hi_u32 s7, s36, s8
	v_mad_u64_u32 v[7:8], s[4:5], s27, v0, v[7:8]
	s_add_i32 s5, s7, s6
	s_mul_i32 s4, s36, s8
	v_lshlrev_b64 v[6:7], 4, v[6:7]
	s_lshl_b64 s[4:5], s[4:5], 4
	v_mov_b32_e32 v0, s5
	v_add_co_u32_e32 v8, vcc, s4, v6
	v_addc_co_u32_e32 v0, vcc, v0, v7, vcc
	v_lshlrev_b64 v[6:7], 4, v[4:5]
	s_mul_i32 s9, s23, s8
	v_add_co_u32_e32 v6, vcc, v8, v6
	v_addc_co_u32_e32 v0, vcc, v0, v7, vcc
	v_mad_u64_u32 v[8:9], s[4:5], s20, v1, 0
	v_mov_b32_e32 v7, s25
	v_add_co_u32_e32 v6, vcc, s24, v6
	v_addc_co_u32_e32 v0, vcc, v7, v0, vcc
	v_add_co_u32_e32 v6, vcc, 8, v6
	v_addc_co_u32_e32 v7, vcc, 0, v0, vcc
	v_mov_b32_e32 v0, v9
	v_mad_u64_u32 v[0:1], s[6:7], s21, v1, v[0:1]
	s_mul_hi_u32 s10, s22, s8
	s_add_i32 s7, s10, s9
	v_mov_b32_e32 v9, v0
	s_mul_i32 s6, s22, s8
	v_lshlrev_b64 v[0:1], 4, v[8:9]
	s_lshl_b64 s[6:7], s[6:7], 4
	v_mov_b32_e32 v8, s7
	v_add_co_u32_e32 v9, vcc, s6, v0
	v_addc_co_u32_e32 v8, vcc, v8, v1, vcc
	v_lshlrev_b64 v[0:1], 4, v[2:3]
	s_lshl_b64 s[4:5], s[26:27], 8
	v_add_co_u32_e32 v0, vcc, v9, v0
	v_addc_co_u32_e32 v1, vcc, v8, v1, vcc
	v_mov_b32_e32 v8, s19
	v_add_co_u32_e32 v0, vcc, s18, v0
	v_addc_co_u32_e32 v1, vcc, v8, v1, vcc
	s_lshl_b64 s[6:7], s[20:21], 8
	v_mov_b32_e32 v10, 0
	v_mov_b32_e32 v12, 0
	;; [unrolled: 1-line block ×3, first 2 shown]
	v_add_u32_e32 v17, v16, v14
	v_mov_b32_e32 v11, 0
	s_mov_b64 s[10:11], 0
	v_mov_b32_e32 v18, s5
	v_mov_b32_e32 v19, s7
	;; [unrolled: 1-line block ×4, first 2 shown]
.LBB1204_2:                             ; =>This Inner Loop Header: Depth=1
	global_load_dwordx4 v[20:23], v[0:1], off
	s_add_u32 s10, s10, 16
	s_addc_u32 s11, s11, 0
	s_waitcnt vmcnt(0)
	ds_write2_b64 v15, v[20:21], v[22:23] offset1:1
	global_load_dwordx4 v[20:23], v[6:7], off offset:-8
	v_add_co_u32_e32 v6, vcc, s4, v6
	v_addc_co_u32_e32 v7, vcc, v7, v18, vcc
	v_add_co_u32_e32 v0, vcc, s6, v0
	v_addc_co_u32_e32 v1, vcc, v1, v19, vcc
	v_cmp_lt_i64_e32 vcc, s[10:11], v[8:9]
	s_and_b64 vcc, exec, vcc
	s_waitcnt vmcnt(0)
	ds_write_b128 v17, v[20:23]
	s_waitcnt lgkmcnt(0)
	s_barrier
	ds_read_b128 v[20:23], v16
	ds_read_b128 v[24:27], v16 offset:16
	ds_read_b128 v[28:31], v16 offset:32
	ds_read_b128 v[32:35], v16 offset:48
	ds_read_b128 v[36:39], v14
	s_waitcnt lgkmcnt(0)
	v_mul_f64 v[40:41], v[22:23], v[38:39]
	v_fma_f64 v[40:41], v[20:21], v[36:37], -v[40:41]
	v_mul_f64 v[20:21], v[20:21], v[38:39]
	v_fma_f64 v[20:21], v[22:23], v[36:37], v[20:21]
	v_add_f64 v[22:23], v[12:13], v[40:41]
	v_add_f64 v[20:21], v[10:11], v[20:21]
	ds_read_b128 v[10:13], v14 offset:256
	s_waitcnt lgkmcnt(0)
	v_mul_f64 v[36:37], v[26:27], v[12:13]
	v_mul_f64 v[12:13], v[24:25], v[12:13]
	v_fma_f64 v[36:37], v[24:25], v[10:11], -v[36:37]
	v_fma_f64 v[10:11], v[26:27], v[10:11], v[12:13]
	v_add_f64 v[22:23], v[22:23], v[36:37]
	v_add_f64 v[20:21], v[20:21], v[10:11]
	ds_read_b128 v[10:13], v14 offset:512
	s_waitcnt lgkmcnt(0)
	v_mul_f64 v[24:25], v[30:31], v[12:13]
	v_mul_f64 v[12:13], v[28:29], v[12:13]
	v_fma_f64 v[24:25], v[28:29], v[10:11], -v[24:25]
	;; [unrolled: 8-line block ×3, first 2 shown]
	v_fma_f64 v[10:11], v[34:35], v[10:11], v[12:13]
	v_add_f64 v[24:25], v[22:23], v[24:25]
	v_add_f64 v[26:27], v[20:21], v[10:11]
	ds_read_b128 v[10:13], v16 offset:64
	ds_read_b128 v[20:23], v14 offset:1024
	s_waitcnt lgkmcnt(0)
	v_mul_f64 v[28:29], v[12:13], v[22:23]
	v_fma_f64 v[28:29], v[10:11], v[20:21], -v[28:29]
	v_mul_f64 v[10:11], v[10:11], v[22:23]
	v_add_f64 v[24:25], v[24:25], v[28:29]
	v_fma_f64 v[10:11], v[12:13], v[20:21], v[10:11]
	v_add_f64 v[26:27], v[26:27], v[10:11]
	ds_read_b128 v[10:13], v16 offset:80
	ds_read_b128 v[20:23], v14 offset:1280
	s_waitcnt lgkmcnt(0)
	v_mul_f64 v[28:29], v[12:13], v[22:23]
	v_fma_f64 v[28:29], v[10:11], v[20:21], -v[28:29]
	v_mul_f64 v[10:11], v[10:11], v[22:23]
	v_add_f64 v[24:25], v[24:25], v[28:29]
	v_fma_f64 v[10:11], v[12:13], v[20:21], v[10:11]
	;; [unrolled: 9-line block ×11, first 2 shown]
	v_add_f64 v[26:27], v[26:27], v[10:11]
	ds_read_b128 v[10:13], v16 offset:240
	ds_read_b128 v[20:23], v14 offset:3840
	s_waitcnt lgkmcnt(0)
	s_barrier
	v_mul_f64 v[28:29], v[12:13], v[22:23]
	v_fma_f64 v[28:29], v[10:11], v[20:21], -v[28:29]
	v_mul_f64 v[10:11], v[10:11], v[22:23]
	v_fma_f64 v[10:11], v[12:13], v[20:21], v[10:11]
	v_add_f64 v[12:13], v[24:25], v[28:29]
	v_add_f64 v[10:11], v[26:27], v[10:11]
	s_cbranch_vccnz .LBB1204_2
; %bb.3:
	v_cmp_le_i32_e32 vcc, v2, v4
	s_and_saveexec_b64 s[4:5], vcc
	s_cbranch_execz .LBB1204_5
.LBB1204_4:
	v_mul_lo_u32 v6, s1, v4
	v_mul_lo_u32 v5, s0, v5
	v_mad_u64_u32 v[0:1], s[0:1], s0, v4, 0
	s_mul_i32 s3, s3, s8
	s_mul_hi_u32 s4, s2, s8
	s_add_i32 s3, s4, s3
	s_mul_i32 s2, s2, s8
	s_lshl_b64 s[0:1], s[2:3], 4
	v_add3_u32 v1, v1, v5, v6
	s_add_u32 s0, s42, s0
	v_lshlrev_b64 v[0:1], 4, v[0:1]
	s_addc_u32 s1, s43, s1
	v_mov_b32_e32 v4, s1
	v_add_co_u32_e32 v5, vcc, s0, v0
	v_addc_co_u32_e32 v6, vcc, v4, v1, vcc
	v_lshlrev_b64 v[0:1], 4, v[2:3]
	v_mul_f64 v[8:9], s[14:15], v[10:11]
	v_add_co_u32_e32 v4, vcc, v5, v0
	v_addc_co_u32_e32 v5, vcc, v6, v1, vcc
	global_load_dwordx4 v[0:3], v[4:5], off
	v_mul_f64 v[6:7], s[16:17], v[10:11]
	v_fma_f64 v[8:9], s[16:17], v[12:13], v[8:9]
	v_fma_f64 v[6:7], s[14:15], v[12:13], -v[6:7]
	s_waitcnt vmcnt(0)
	v_mul_f64 v[10:11], s[40:41], v[2:3]
	v_mul_f64 v[2:3], s[38:39], v[2:3]
	v_fma_f64 v[10:11], s[38:39], v[0:1], -v[10:11]
	v_fma_f64 v[2:3], s[40:41], v[0:1], v[2:3]
	v_add_f64 v[0:1], v[6:7], v[10:11]
	v_add_f64 v[2:3], v[8:9], v[2:3]
	global_store_dwordx4 v[4:5], v[0:3], off
.LBB1204_5:
	s_endpgm
.LBB1204_6:
	v_mov_b32_e32 v10, 0
	v_mov_b32_e32 v12, 0
	;; [unrolled: 1-line block ×4, first 2 shown]
	v_cmp_le_i32_e32 vcc, v2, v4
	s_and_saveexec_b64 s[4:5], vcc
	s_cbranch_execnz .LBB1204_4
	s_branch .LBB1204_5
	.section	.rodata,"a",@progbits
	.p2align	6, 0x0
	.amdhsa_kernel _ZL41rocblas_syrkx_herkx_small_restrict_kernelIl19rocblas_complex_numIdELi16ELb0ELb0ELc78ELc85EKS1_S1_EviT_T0_PT6_S3_lS6_S3_lS4_PT7_S3_li
		.amdhsa_group_segment_fixed_size 8192
		.amdhsa_private_segment_fixed_size 0
		.amdhsa_kernarg_size 124
		.amdhsa_user_sgpr_count 6
		.amdhsa_user_sgpr_private_segment_buffer 1
		.amdhsa_user_sgpr_dispatch_ptr 0
		.amdhsa_user_sgpr_queue_ptr 0
		.amdhsa_user_sgpr_kernarg_segment_ptr 1
		.amdhsa_user_sgpr_dispatch_id 0
		.amdhsa_user_sgpr_flat_scratch_init 0
		.amdhsa_user_sgpr_private_segment_size 0
		.amdhsa_uses_dynamic_stack 0
		.amdhsa_system_sgpr_private_segment_wavefront_offset 0
		.amdhsa_system_sgpr_workgroup_id_x 1
		.amdhsa_system_sgpr_workgroup_id_y 1
		.amdhsa_system_sgpr_workgroup_id_z 1
		.amdhsa_system_sgpr_workgroup_info 0
		.amdhsa_system_vgpr_workitem_id 1
		.amdhsa_next_free_vgpr 42
		.amdhsa_next_free_sgpr 61
		.amdhsa_reserve_vcc 1
		.amdhsa_reserve_flat_scratch 0
		.amdhsa_float_round_mode_32 0
		.amdhsa_float_round_mode_16_64 0
		.amdhsa_float_denorm_mode_32 3
		.amdhsa_float_denorm_mode_16_64 3
		.amdhsa_dx10_clamp 1
		.amdhsa_ieee_mode 1
		.amdhsa_fp16_overflow 0
		.amdhsa_exception_fp_ieee_invalid_op 0
		.amdhsa_exception_fp_denorm_src 0
		.amdhsa_exception_fp_ieee_div_zero 0
		.amdhsa_exception_fp_ieee_overflow 0
		.amdhsa_exception_fp_ieee_underflow 0
		.amdhsa_exception_fp_ieee_inexact 0
		.amdhsa_exception_int_div_zero 0
	.end_amdhsa_kernel
	.section	.text._ZL41rocblas_syrkx_herkx_small_restrict_kernelIl19rocblas_complex_numIdELi16ELb0ELb0ELc78ELc85EKS1_S1_EviT_T0_PT6_S3_lS6_S3_lS4_PT7_S3_li,"axG",@progbits,_ZL41rocblas_syrkx_herkx_small_restrict_kernelIl19rocblas_complex_numIdELi16ELb0ELb0ELc78ELc85EKS1_S1_EviT_T0_PT6_S3_lS6_S3_lS4_PT7_S3_li,comdat
.Lfunc_end1204:
	.size	_ZL41rocblas_syrkx_herkx_small_restrict_kernelIl19rocblas_complex_numIdELi16ELb0ELb0ELc78ELc85EKS1_S1_EviT_T0_PT6_S3_lS6_S3_lS4_PT7_S3_li, .Lfunc_end1204-_ZL41rocblas_syrkx_herkx_small_restrict_kernelIl19rocblas_complex_numIdELi16ELb0ELb0ELc78ELc85EKS1_S1_EviT_T0_PT6_S3_lS6_S3_lS4_PT7_S3_li
                                        ; -- End function
	.set _ZL41rocblas_syrkx_herkx_small_restrict_kernelIl19rocblas_complex_numIdELi16ELb0ELb0ELc78ELc85EKS1_S1_EviT_T0_PT6_S3_lS6_S3_lS4_PT7_S3_li.num_vgpr, 42
	.set _ZL41rocblas_syrkx_herkx_small_restrict_kernelIl19rocblas_complex_numIdELi16ELb0ELb0ELc78ELc85EKS1_S1_EviT_T0_PT6_S3_lS6_S3_lS4_PT7_S3_li.num_agpr, 0
	.set _ZL41rocblas_syrkx_herkx_small_restrict_kernelIl19rocblas_complex_numIdELi16ELb0ELb0ELc78ELc85EKS1_S1_EviT_T0_PT6_S3_lS6_S3_lS4_PT7_S3_li.numbered_sgpr, 44
	.set _ZL41rocblas_syrkx_herkx_small_restrict_kernelIl19rocblas_complex_numIdELi16ELb0ELb0ELc78ELc85EKS1_S1_EviT_T0_PT6_S3_lS6_S3_lS4_PT7_S3_li.num_named_barrier, 0
	.set _ZL41rocblas_syrkx_herkx_small_restrict_kernelIl19rocblas_complex_numIdELi16ELb0ELb0ELc78ELc85EKS1_S1_EviT_T0_PT6_S3_lS6_S3_lS4_PT7_S3_li.private_seg_size, 0
	.set _ZL41rocblas_syrkx_herkx_small_restrict_kernelIl19rocblas_complex_numIdELi16ELb0ELb0ELc78ELc85EKS1_S1_EviT_T0_PT6_S3_lS6_S3_lS4_PT7_S3_li.uses_vcc, 1
	.set _ZL41rocblas_syrkx_herkx_small_restrict_kernelIl19rocblas_complex_numIdELi16ELb0ELb0ELc78ELc85EKS1_S1_EviT_T0_PT6_S3_lS6_S3_lS4_PT7_S3_li.uses_flat_scratch, 0
	.set _ZL41rocblas_syrkx_herkx_small_restrict_kernelIl19rocblas_complex_numIdELi16ELb0ELb0ELc78ELc85EKS1_S1_EviT_T0_PT6_S3_lS6_S3_lS4_PT7_S3_li.has_dyn_sized_stack, 0
	.set _ZL41rocblas_syrkx_herkx_small_restrict_kernelIl19rocblas_complex_numIdELi16ELb0ELb0ELc78ELc85EKS1_S1_EviT_T0_PT6_S3_lS6_S3_lS4_PT7_S3_li.has_recursion, 0
	.set _ZL41rocblas_syrkx_herkx_small_restrict_kernelIl19rocblas_complex_numIdELi16ELb0ELb0ELc78ELc85EKS1_S1_EviT_T0_PT6_S3_lS6_S3_lS4_PT7_S3_li.has_indirect_call, 0
	.section	.AMDGPU.csdata,"",@progbits
; Kernel info:
; codeLenInByte = 1740
; TotalNumSgprs: 48
; NumVgprs: 42
; ScratchSize: 0
; MemoryBound: 0
; FloatMode: 240
; IeeeMode: 1
; LDSByteSize: 8192 bytes/workgroup (compile time only)
; SGPRBlocks: 8
; VGPRBlocks: 10
; NumSGPRsForWavesPerEU: 65
; NumVGPRsForWavesPerEU: 42
; Occupancy: 5
; WaveLimiterHint : 0
; COMPUTE_PGM_RSRC2:SCRATCH_EN: 0
; COMPUTE_PGM_RSRC2:USER_SGPR: 6
; COMPUTE_PGM_RSRC2:TRAP_HANDLER: 0
; COMPUTE_PGM_RSRC2:TGID_X_EN: 1
; COMPUTE_PGM_RSRC2:TGID_Y_EN: 1
; COMPUTE_PGM_RSRC2:TGID_Z_EN: 1
; COMPUTE_PGM_RSRC2:TIDIG_COMP_CNT: 1
	.section	.text._ZL32rocblas_syrkx_herkx_small_kernelIl19rocblas_complex_numIdELi16ELb1ELb0ELc84ELc76EKS1_S1_EviT_T0_PT6_S3_lS6_S3_lS4_PT7_S3_li,"axG",@progbits,_ZL32rocblas_syrkx_herkx_small_kernelIl19rocblas_complex_numIdELi16ELb1ELb0ELc84ELc76EKS1_S1_EviT_T0_PT6_S3_lS6_S3_lS4_PT7_S3_li,comdat
	.globl	_ZL32rocblas_syrkx_herkx_small_kernelIl19rocblas_complex_numIdELi16ELb1ELb0ELc84ELc76EKS1_S1_EviT_T0_PT6_S3_lS6_S3_lS4_PT7_S3_li ; -- Begin function _ZL32rocblas_syrkx_herkx_small_kernelIl19rocblas_complex_numIdELi16ELb1ELb0ELc84ELc76EKS1_S1_EviT_T0_PT6_S3_lS6_S3_lS4_PT7_S3_li
	.p2align	8
	.type	_ZL32rocblas_syrkx_herkx_small_kernelIl19rocblas_complex_numIdELi16ELb1ELb0ELc84ELc76EKS1_S1_EviT_T0_PT6_S3_lS6_S3_lS4_PT7_S3_li,@function
_ZL32rocblas_syrkx_herkx_small_kernelIl19rocblas_complex_numIdELi16ELb1ELb0ELc84ELc76EKS1_S1_EviT_T0_PT6_S3_lS6_S3_lS4_PT7_S3_li: ; @_ZL32rocblas_syrkx_herkx_small_kernelIl19rocblas_complex_numIdELi16ELb1ELb0ELc84ELc76EKS1_S1_EviT_T0_PT6_S3_lS6_S3_lS4_PT7_S3_li
; %bb.0:
	s_load_dwordx16 s[12:27], s[4:5], 0x8
	s_load_dword s9, s[4:5], 0x0
	v_lshl_add_u32 v6, s6, 4, v0
	v_lshl_add_u32 v18, s7, 4, v1
	v_ashrrev_i32_e32 v7, 31, v6
	s_waitcnt lgkmcnt(0)
	v_cmp_lt_i64_e64 s[0:1], s[12:13], 1
	v_ashrrev_i32_e32 v19, 31, v18
	s_and_b64 vcc, exec, s[0:1]
	v_cmp_gt_i32_e64 s[0:1], s9, v6
	s_cbranch_vccnz .LBB1205_11
; %bb.1:
	s_load_dwordx2 s[2:3], s[4:5], 0x48
	v_mul_lo_u32 v8, s27, v18
	v_mul_lo_u32 v9, s26, v19
	v_mad_u64_u32 v[3:4], s[6:7], s26, v18, 0
	s_waitcnt lgkmcnt(0)
	s_mul_i32 s3, s3, s8
	s_mul_hi_u32 s6, s2, s8
	v_add3_u32 v4, v4, v9, v8
	v_lshlrev_b64 v[3:4], 4, v[3:4]
	s_add_i32 s3, s6, s3
	s_mul_i32 s2, s2, s8
	v_lshlrev_b32_e32 v5, 8, v1
	v_lshlrev_b32_e32 v20, 4, v0
	s_lshl_b64 s[2:3], s[2:3], 4
	v_add_u32_e32 v21, v20, v5
	v_add_u32_e32 v22, 0x1000, v5
	v_mov_b32_e32 v5, s3
	v_add_co_u32_e64 v3, s[2:3], s2, v3
	v_addc_co_u32_e64 v4, s[2:3], v4, v5, s[2:3]
	v_add_co_u32_e64 v5, s[2:3], v3, v20
	v_addc_co_u32_e64 v9, s[2:3], 0, v4, s[2:3]
	v_mul_lo_u32 v11, s21, v6
	v_mul_lo_u32 v12, s20, v7
	v_mad_u64_u32 v[3:4], s[2:3], s20, v6, 0
	v_mov_b32_e32 v10, s25
	v_add_co_u32_e64 v8, s[2:3], s24, v5
	v_addc_co_u32_e64 v9, s[2:3], v10, v9, s[2:3]
	v_add3_u32 v4, v4, v12, v11
	s_mul_i32 s2, s23, s8
	s_mul_hi_u32 s3, s22, s8
	v_lshlrev_b64 v[3:4], 4, v[3:4]
	s_add_i32 s3, s3, s2
	s_mul_i32 s2, s22, s8
	s_lshl_b64 s[2:3], s[2:3], 4
	v_mov_b32_e32 v5, s3
	v_add_co_u32_e64 v3, s[2:3], s2, v3
	v_addc_co_u32_e64 v4, s[2:3], v4, v5, s[2:3]
	v_lshlrev_b32_e32 v5, 4, v1
	v_add_co_u32_e64 v3, s[2:3], v3, v5
	v_addc_co_u32_e64 v4, s[2:3], 0, v4, s[2:3]
	v_mov_b32_e32 v5, s19
	v_add_co_u32_e64 v10, s[2:3], s18, v3
	v_cmp_gt_i32_e32 vcc, s9, v18
	v_addc_co_u32_e64 v11, s[2:3], v5, v4, s[2:3]
	v_mov_b32_e32 v14, 0
	v_mov_b32_e32 v16, 0
	;; [unrolled: 1-line block ×4, first 2 shown]
	v_add_u32_e32 v23, v22, v20
	v_mov_b32_e32 v15, 0
	s_mov_b64 s[2:3], 0
	s_xor_b64 s[0:1], s[0:1], -1
	s_xor_b64 s[6:7], vcc, -1
	v_mov_b32_e32 v17, 0
	v_mov_b32_e32 v13, s13
	s_branch .LBB1205_3
.LBB1205_2:                             ;   in Loop: Header=BB1205_3 Depth=1
	s_or_b64 exec, exec, s[10:11]
	s_waitcnt lgkmcnt(0)
	s_barrier
	ds_read_b128 v[24:27], v22
	ds_read_b128 v[28:31], v22 offset:16
	ds_read_b128 v[32:35], v22 offset:32
	;; [unrolled: 1-line block ×3, first 2 shown]
	ds_read_b128 v[40:43], v20
	v_add_co_u32_e32 v8, vcc, 0x100, v8
	v_addc_co_u32_e32 v9, vcc, 0, v9, vcc
	s_waitcnt lgkmcnt(0)
	v_mul_f64 v[3:4], v[26:27], v[42:43]
	s_add_u32 s2, s2, 16
	v_add_co_u32_e32 v10, vcc, 0x100, v10
	s_addc_u32 s3, s3, 0
	v_addc_co_u32_e32 v11, vcc, 0, v11, vcc
	v_cmp_ge_i64_e32 vcc, s[2:3], v[12:13]
	v_fma_f64 v[3:4], v[24:25], v[40:41], -v[3:4]
	v_mul_f64 v[24:25], v[24:25], v[42:43]
	s_and_b64 vcc, exec, vcc
	v_add_f64 v[3:4], v[16:17], v[3:4]
	v_fma_f64 v[24:25], v[26:27], v[40:41], v[24:25]
	v_add_f64 v[24:25], v[14:15], v[24:25]
	ds_read_b128 v[14:17], v20 offset:256
	s_waitcnt lgkmcnt(0)
	v_mul_f64 v[26:27], v[30:31], v[16:17]
	v_mul_f64 v[16:17], v[28:29], v[16:17]
	v_fma_f64 v[26:27], v[28:29], v[14:15], -v[26:27]
	v_fma_f64 v[14:15], v[30:31], v[14:15], v[16:17]
	v_add_f64 v[3:4], v[3:4], v[26:27]
	v_add_f64 v[24:25], v[24:25], v[14:15]
	ds_read_b128 v[14:17], v20 offset:512
	s_waitcnt lgkmcnt(0)
	v_mul_f64 v[26:27], v[34:35], v[16:17]
	v_mul_f64 v[16:17], v[32:33], v[16:17]
	v_fma_f64 v[26:27], v[32:33], v[14:15], -v[26:27]
	v_fma_f64 v[14:15], v[34:35], v[14:15], v[16:17]
	v_add_f64 v[3:4], v[3:4], v[26:27]
	v_add_f64 v[24:25], v[24:25], v[14:15]
	ds_read_b128 v[14:17], v20 offset:768
	s_waitcnt lgkmcnt(0)
	v_mul_f64 v[26:27], v[38:39], v[16:17]
	v_mul_f64 v[16:17], v[36:37], v[16:17]
	v_fma_f64 v[26:27], v[36:37], v[14:15], -v[26:27]
	v_fma_f64 v[14:15], v[38:39], v[14:15], v[16:17]
	v_add_f64 v[3:4], v[3:4], v[26:27]
	v_add_f64 v[28:29], v[24:25], v[14:15]
	ds_read_b128 v[14:17], v22 offset:64
	ds_read_b128 v[24:27], v20 offset:1024
	s_waitcnt lgkmcnt(0)
	v_mul_f64 v[30:31], v[16:17], v[26:27]
	v_fma_f64 v[30:31], v[14:15], v[24:25], -v[30:31]
	v_mul_f64 v[14:15], v[14:15], v[26:27]
	v_add_f64 v[3:4], v[3:4], v[30:31]
	v_fma_f64 v[14:15], v[16:17], v[24:25], v[14:15]
	v_add_f64 v[28:29], v[28:29], v[14:15]
	ds_read_b128 v[14:17], v22 offset:80
	ds_read_b128 v[24:27], v20 offset:1280
	s_waitcnt lgkmcnt(0)
	v_mul_f64 v[30:31], v[16:17], v[26:27]
	v_fma_f64 v[30:31], v[14:15], v[24:25], -v[30:31]
	v_mul_f64 v[14:15], v[14:15], v[26:27]
	v_add_f64 v[3:4], v[3:4], v[30:31]
	v_fma_f64 v[14:15], v[16:17], v[24:25], v[14:15]
	;; [unrolled: 9-line block ×11, first 2 shown]
	v_add_f64 v[28:29], v[28:29], v[14:15]
	ds_read_b128 v[14:17], v22 offset:240
	ds_read_b128 v[24:27], v20 offset:3840
	s_waitcnt lgkmcnt(0)
	s_barrier
	v_mul_f64 v[30:31], v[16:17], v[26:27]
	v_fma_f64 v[30:31], v[14:15], v[24:25], -v[30:31]
	v_mul_f64 v[14:15], v[14:15], v[26:27]
	v_fma_f64 v[14:15], v[16:17], v[24:25], v[14:15]
	v_add_f64 v[16:17], v[3:4], v[30:31]
	v_add_f64 v[14:15], v[28:29], v[14:15]
	s_cbranch_vccnz .LBB1205_12
.LBB1205_3:                             ; =>This Inner Loop Header: Depth=1
	v_mov_b32_e32 v4, s3
	v_add_co_u32_e32 v3, vcc, s2, v1
	v_addc_co_u32_e32 v4, vcc, 0, v4, vcc
	v_cmp_le_i64_e32 vcc, s[12:13], v[3:4]
	s_or_b64 s[10:11], s[0:1], vcc
	s_and_saveexec_b64 s[18:19], s[10:11]
	s_xor_b64 s[10:11], exec, s[18:19]
; %bb.4:                                ;   in Loop: Header=BB1205_3 Depth=1
	v_mov_b32_e32 v3, v2
	v_mov_b32_e32 v4, v2
	;; [unrolled: 1-line block ×3, first 2 shown]
	ds_write_b128 v21, v[2:5]
; %bb.5:                                ;   in Loop: Header=BB1205_3 Depth=1
	s_andn2_saveexec_b64 s[10:11], s[10:11]
	s_cbranch_execz .LBB1205_7
; %bb.6:                                ;   in Loop: Header=BB1205_3 Depth=1
	global_load_dwordx4 v[24:27], v[10:11], off
	s_waitcnt vmcnt(0)
	ds_write2_b64 v21, v[24:25], v[26:27] offset1:1
.LBB1205_7:                             ;   in Loop: Header=BB1205_3 Depth=1
	s_or_b64 exec, exec, s[10:11]
	v_mov_b32_e32 v4, s3
	v_add_co_u32_e32 v3, vcc, s2, v0
	v_addc_co_u32_e32 v4, vcc, 0, v4, vcc
	v_cmp_le_i64_e32 vcc, s[12:13], v[3:4]
	s_or_b64 s[10:11], s[6:7], vcc
	s_and_saveexec_b64 s[18:19], s[10:11]
	s_xor_b64 s[10:11], exec, s[18:19]
; %bb.8:                                ;   in Loop: Header=BB1205_3 Depth=1
	v_mov_b32_e32 v3, v2
	v_mov_b32_e32 v4, v2
	;; [unrolled: 1-line block ×3, first 2 shown]
	ds_write_b128 v23, v[2:5]
; %bb.9:                                ;   in Loop: Header=BB1205_3 Depth=1
	s_andn2_saveexec_b64 s[10:11], s[10:11]
	s_cbranch_execz .LBB1205_2
; %bb.10:                               ;   in Loop: Header=BB1205_3 Depth=1
	global_load_dwordx4 v[24:27], v[8:9], off
	s_waitcnt vmcnt(0)
	ds_write2_b64 v23, v[24:25], v[26:27] offset1:1
	s_branch .LBB1205_2
.LBB1205_11:
	v_mov_b32_e32 v14, 0
	v_mov_b32_e32 v16, 0
	;; [unrolled: 1-line block ×4, first 2 shown]
.LBB1205_12:
	v_cmp_le_i32_e32 vcc, v18, v6
	v_cmp_gt_i32_e64 s[0:1], s9, v6
	s_and_b64 s[0:1], vcc, s[0:1]
	s_and_saveexec_b64 s[2:3], s[0:1]
	s_cbranch_execz .LBB1205_14
; %bb.13:
	s_load_dwordx2 s[6:7], s[4:5], 0x70
	s_load_dwordx4 s[0:3], s[4:5], 0x60
	v_mul_f64 v[0:1], s[16:17], v[14:15]
	v_mul_f64 v[2:3], s[14:15], v[14:15]
	s_waitcnt lgkmcnt(0)
	s_mul_i32 s5, s7, s8
	v_mul_lo_u32 v8, s3, v18
	v_mul_lo_u32 v9, s2, v19
	v_mad_u64_u32 v[4:5], s[2:3], s2, v18, 0
	s_mul_hi_u32 s7, s6, s8
	s_mul_i32 s4, s6, s8
	s_add_i32 s5, s7, s5
	s_lshl_b64 s[4:5], s[4:5], 4
	v_fma_f64 v[0:1], s[14:15], v[16:17], -v[0:1]
	v_fma_f64 v[2:3], s[16:17], v[16:17], v[2:3]
	v_add3_u32 v5, v5, v9, v8
	s_add_u32 s0, s0, s4
	v_lshlrev_b64 v[4:5], 4, v[4:5]
	s_addc_u32 s1, s1, s5
	v_mov_b32_e32 v8, s1
	v_add_co_u32_e32 v9, vcc, s0, v4
	v_addc_co_u32_e32 v8, vcc, v8, v5, vcc
	v_lshlrev_b64 v[4:5], 4, v[6:7]
	v_add_co_u32_e32 v4, vcc, v9, v4
	v_addc_co_u32_e32 v5, vcc, v8, v5, vcc
	global_store_dwordx4 v[4:5], v[0:3], off
.LBB1205_14:
	s_endpgm
	.section	.rodata,"a",@progbits
	.p2align	6, 0x0
	.amdhsa_kernel _ZL32rocblas_syrkx_herkx_small_kernelIl19rocblas_complex_numIdELi16ELb1ELb0ELc84ELc76EKS1_S1_EviT_T0_PT6_S3_lS6_S3_lS4_PT7_S3_li
		.amdhsa_group_segment_fixed_size 8192
		.amdhsa_private_segment_fixed_size 0
		.amdhsa_kernarg_size 124
		.amdhsa_user_sgpr_count 6
		.amdhsa_user_sgpr_private_segment_buffer 1
		.amdhsa_user_sgpr_dispatch_ptr 0
		.amdhsa_user_sgpr_queue_ptr 0
		.amdhsa_user_sgpr_kernarg_segment_ptr 1
		.amdhsa_user_sgpr_dispatch_id 0
		.amdhsa_user_sgpr_flat_scratch_init 0
		.amdhsa_user_sgpr_private_segment_size 0
		.amdhsa_uses_dynamic_stack 0
		.amdhsa_system_sgpr_private_segment_wavefront_offset 0
		.amdhsa_system_sgpr_workgroup_id_x 1
		.amdhsa_system_sgpr_workgroup_id_y 1
		.amdhsa_system_sgpr_workgroup_id_z 1
		.amdhsa_system_sgpr_workgroup_info 0
		.amdhsa_system_vgpr_workitem_id 1
		.amdhsa_next_free_vgpr 44
		.amdhsa_next_free_sgpr 61
		.amdhsa_reserve_vcc 1
		.amdhsa_reserve_flat_scratch 0
		.amdhsa_float_round_mode_32 0
		.amdhsa_float_round_mode_16_64 0
		.amdhsa_float_denorm_mode_32 3
		.amdhsa_float_denorm_mode_16_64 3
		.amdhsa_dx10_clamp 1
		.amdhsa_ieee_mode 1
		.amdhsa_fp16_overflow 0
		.amdhsa_exception_fp_ieee_invalid_op 0
		.amdhsa_exception_fp_denorm_src 0
		.amdhsa_exception_fp_ieee_div_zero 0
		.amdhsa_exception_fp_ieee_overflow 0
		.amdhsa_exception_fp_ieee_underflow 0
		.amdhsa_exception_fp_ieee_inexact 0
		.amdhsa_exception_int_div_zero 0
	.end_amdhsa_kernel
	.section	.text._ZL32rocblas_syrkx_herkx_small_kernelIl19rocblas_complex_numIdELi16ELb1ELb0ELc84ELc76EKS1_S1_EviT_T0_PT6_S3_lS6_S3_lS4_PT7_S3_li,"axG",@progbits,_ZL32rocblas_syrkx_herkx_small_kernelIl19rocblas_complex_numIdELi16ELb1ELb0ELc84ELc76EKS1_S1_EviT_T0_PT6_S3_lS6_S3_lS4_PT7_S3_li,comdat
.Lfunc_end1205:
	.size	_ZL32rocblas_syrkx_herkx_small_kernelIl19rocblas_complex_numIdELi16ELb1ELb0ELc84ELc76EKS1_S1_EviT_T0_PT6_S3_lS6_S3_lS4_PT7_S3_li, .Lfunc_end1205-_ZL32rocblas_syrkx_herkx_small_kernelIl19rocblas_complex_numIdELi16ELb1ELb0ELc84ELc76EKS1_S1_EviT_T0_PT6_S3_lS6_S3_lS4_PT7_S3_li
                                        ; -- End function
	.set _ZL32rocblas_syrkx_herkx_small_kernelIl19rocblas_complex_numIdELi16ELb1ELb0ELc84ELc76EKS1_S1_EviT_T0_PT6_S3_lS6_S3_lS4_PT7_S3_li.num_vgpr, 44
	.set _ZL32rocblas_syrkx_herkx_small_kernelIl19rocblas_complex_numIdELi16ELb1ELb0ELc84ELc76EKS1_S1_EviT_T0_PT6_S3_lS6_S3_lS4_PT7_S3_li.num_agpr, 0
	.set _ZL32rocblas_syrkx_herkx_small_kernelIl19rocblas_complex_numIdELi16ELb1ELb0ELc84ELc76EKS1_S1_EviT_T0_PT6_S3_lS6_S3_lS4_PT7_S3_li.numbered_sgpr, 28
	.set _ZL32rocblas_syrkx_herkx_small_kernelIl19rocblas_complex_numIdELi16ELb1ELb0ELc84ELc76EKS1_S1_EviT_T0_PT6_S3_lS6_S3_lS4_PT7_S3_li.num_named_barrier, 0
	.set _ZL32rocblas_syrkx_herkx_small_kernelIl19rocblas_complex_numIdELi16ELb1ELb0ELc84ELc76EKS1_S1_EviT_T0_PT6_S3_lS6_S3_lS4_PT7_S3_li.private_seg_size, 0
	.set _ZL32rocblas_syrkx_herkx_small_kernelIl19rocblas_complex_numIdELi16ELb1ELb0ELc84ELc76EKS1_S1_EviT_T0_PT6_S3_lS6_S3_lS4_PT7_S3_li.uses_vcc, 1
	.set _ZL32rocblas_syrkx_herkx_small_kernelIl19rocblas_complex_numIdELi16ELb1ELb0ELc84ELc76EKS1_S1_EviT_T0_PT6_S3_lS6_S3_lS4_PT7_S3_li.uses_flat_scratch, 0
	.set _ZL32rocblas_syrkx_herkx_small_kernelIl19rocblas_complex_numIdELi16ELb1ELb0ELc84ELc76EKS1_S1_EviT_T0_PT6_S3_lS6_S3_lS4_PT7_S3_li.has_dyn_sized_stack, 0
	.set _ZL32rocblas_syrkx_herkx_small_kernelIl19rocblas_complex_numIdELi16ELb1ELb0ELc84ELc76EKS1_S1_EviT_T0_PT6_S3_lS6_S3_lS4_PT7_S3_li.has_recursion, 0
	.set _ZL32rocblas_syrkx_herkx_small_kernelIl19rocblas_complex_numIdELi16ELb1ELb0ELc84ELc76EKS1_S1_EviT_T0_PT6_S3_lS6_S3_lS4_PT7_S3_li.has_indirect_call, 0
	.section	.AMDGPU.csdata,"",@progbits
; Kernel info:
; codeLenInByte = 1896
; TotalNumSgprs: 32
; NumVgprs: 44
; ScratchSize: 0
; MemoryBound: 0
; FloatMode: 240
; IeeeMode: 1
; LDSByteSize: 8192 bytes/workgroup (compile time only)
; SGPRBlocks: 8
; VGPRBlocks: 10
; NumSGPRsForWavesPerEU: 65
; NumVGPRsForWavesPerEU: 44
; Occupancy: 5
; WaveLimiterHint : 0
; COMPUTE_PGM_RSRC2:SCRATCH_EN: 0
; COMPUTE_PGM_RSRC2:USER_SGPR: 6
; COMPUTE_PGM_RSRC2:TRAP_HANDLER: 0
; COMPUTE_PGM_RSRC2:TGID_X_EN: 1
; COMPUTE_PGM_RSRC2:TGID_Y_EN: 1
; COMPUTE_PGM_RSRC2:TGID_Z_EN: 1
; COMPUTE_PGM_RSRC2:TIDIG_COMP_CNT: 1
	.section	.text._ZL32rocblas_syrkx_herkx_small_kernelIl19rocblas_complex_numIdELi16ELb1ELb0ELc67ELc76EKS1_S1_EviT_T0_PT6_S3_lS6_S3_lS4_PT7_S3_li,"axG",@progbits,_ZL32rocblas_syrkx_herkx_small_kernelIl19rocblas_complex_numIdELi16ELb1ELb0ELc67ELc76EKS1_S1_EviT_T0_PT6_S3_lS6_S3_lS4_PT7_S3_li,comdat
	.globl	_ZL32rocblas_syrkx_herkx_small_kernelIl19rocblas_complex_numIdELi16ELb1ELb0ELc67ELc76EKS1_S1_EviT_T0_PT6_S3_lS6_S3_lS4_PT7_S3_li ; -- Begin function _ZL32rocblas_syrkx_herkx_small_kernelIl19rocblas_complex_numIdELi16ELb1ELb0ELc67ELc76EKS1_S1_EviT_T0_PT6_S3_lS6_S3_lS4_PT7_S3_li
	.p2align	8
	.type	_ZL32rocblas_syrkx_herkx_small_kernelIl19rocblas_complex_numIdELi16ELb1ELb0ELc67ELc76EKS1_S1_EviT_T0_PT6_S3_lS6_S3_lS4_PT7_S3_li,@function
_ZL32rocblas_syrkx_herkx_small_kernelIl19rocblas_complex_numIdELi16ELb1ELb0ELc67ELc76EKS1_S1_EviT_T0_PT6_S3_lS6_S3_lS4_PT7_S3_li: ; @_ZL32rocblas_syrkx_herkx_small_kernelIl19rocblas_complex_numIdELi16ELb1ELb0ELc67ELc76EKS1_S1_EviT_T0_PT6_S3_lS6_S3_lS4_PT7_S3_li
; %bb.0:
	s_load_dwordx16 s[12:27], s[4:5], 0x8
	s_load_dword s9, s[4:5], 0x0
	v_lshl_add_u32 v7, s6, 4, v0
	v_lshl_add_u32 v19, s7, 4, v1
	v_ashrrev_i32_e32 v8, 31, v7
	s_waitcnt lgkmcnt(0)
	v_cmp_lt_i64_e64 s[0:1], s[12:13], 1
	v_ashrrev_i32_e32 v20, 31, v19
	s_and_b64 vcc, exec, s[0:1]
	v_cmp_gt_i32_e64 s[0:1], s9, v7
	s_cbranch_vccnz .LBB1206_9
; %bb.1:
	s_load_dwordx2 s[2:3], s[4:5], 0x48
	v_mul_lo_u32 v6, s27, v19
	v_mul_lo_u32 v9, s26, v20
	v_mad_u64_u32 v[3:4], s[6:7], s26, v19, 0
	s_waitcnt lgkmcnt(0)
	s_mul_i32 s3, s3, s8
	s_mul_hi_u32 s6, s2, s8
	v_add3_u32 v4, v4, v9, v6
	v_lshlrev_b64 v[3:4], 4, v[3:4]
	s_add_i32 s3, s6, s3
	s_mul_i32 s2, s2, s8
	v_lshlrev_b32_e32 v5, 8, v1
	v_lshlrev_b32_e32 v21, 4, v0
	s_lshl_b64 s[2:3], s[2:3], 4
	v_add_u32_e32 v22, v21, v5
	v_add_u32_e32 v23, 0x1000, v5
	v_mov_b32_e32 v5, s3
	v_add_co_u32_e64 v3, s[2:3], s2, v3
	v_addc_co_u32_e64 v4, s[2:3], v4, v5, s[2:3]
	v_add_co_u32_e64 v5, s[2:3], v3, v21
	v_addc_co_u32_e64 v6, s[2:3], 0, v4, s[2:3]
	v_mul_lo_u32 v11, s21, v7
	v_mul_lo_u32 v12, s20, v8
	v_mad_u64_u32 v[3:4], s[2:3], s20, v7, 0
	v_mov_b32_e32 v10, s25
	v_add_co_u32_e64 v9, s[2:3], s24, v5
	v_addc_co_u32_e64 v10, s[2:3], v10, v6, s[2:3]
	v_add3_u32 v4, v4, v12, v11
	s_mul_i32 s2, s23, s8
	s_mul_hi_u32 s3, s22, s8
	v_lshlrev_b64 v[3:4], 4, v[3:4]
	s_add_i32 s3, s3, s2
	s_mul_i32 s2, s22, s8
	s_lshl_b64 s[2:3], s[2:3], 4
	v_mov_b32_e32 v5, s3
	v_add_co_u32_e64 v3, s[2:3], s2, v3
	v_addc_co_u32_e64 v4, s[2:3], v4, v5, s[2:3]
	v_lshlrev_b32_e32 v5, 4, v1
	v_add_co_u32_e64 v3, s[2:3], v3, v5
	v_addc_co_u32_e64 v4, s[2:3], 0, v4, s[2:3]
	v_mov_b32_e32 v5, s19
	v_add_co_u32_e64 v3, s[2:3], s18, v3
	v_addc_co_u32_e64 v4, s[2:3], v5, v4, s[2:3]
	v_cmp_gt_i32_e32 vcc, s9, v19
	v_add_co_u32_e64 v11, s[2:3], 8, v3
	v_mov_b32_e32 v15, 0
	v_mov_b32_e32 v17, 0
	;; [unrolled: 1-line block ×4, first 2 shown]
	v_add_u32_e32 v24, v23, v21
	v_addc_co_u32_e64 v12, s[2:3], 0, v4, s[2:3]
	v_mov_b32_e32 v16, 0
	s_mov_b64 s[6:7], 0
	s_xor_b64 s[10:11], vcc, -1
	v_mov_b32_e32 v18, 0
	v_mov_b32_e32 v13, s12
	s_branch .LBB1206_3
.LBB1206_2:                             ;   in Loop: Header=BB1206_3 Depth=1
	s_or_b64 exec, exec, s[2:3]
	s_waitcnt lgkmcnt(0)
	s_barrier
	ds_read_b128 v[3:6], v21
	ds_read_b128 v[25:28], v23
	ds_read_b128 v[29:32], v23 offset:16
	ds_read_b128 v[33:36], v21 offset:256
	s_add_u32 s6, s6, 16
	v_add_co_u32_e32 v9, vcc, 0x100, v9
	s_waitcnt lgkmcnt(2)
	v_mul_f64 v[39:40], v[27:28], v[5:6]
	v_mul_f64 v[5:6], v[25:26], v[5:6]
	s_waitcnt lgkmcnt(0)
	v_mul_f64 v[43:44], v[31:32], v[35:36]
	v_mul_f64 v[45:46], v[29:30], v[35:36]
	ds_read_b128 v[35:38], v21 offset:512
	s_addc_u32 s7, s7, 0
	v_addc_co_u32_e32 v10, vcc, 0, v10, vcc
	v_fma_f64 v[47:48], v[25:26], v[3:4], -v[39:40]
	v_fma_f64 v[49:50], v[27:28], v[3:4], v[5:6]
	ds_read_b128 v[3:6], v23 offset:32
	ds_read_b128 v[25:28], v23 offset:48
	;; [unrolled: 1-line block ×3, first 2 shown]
	v_fma_f64 v[29:30], v[29:30], v[33:34], -v[43:44]
	v_fma_f64 v[31:32], v[31:32], v[33:34], v[45:46]
	s_waitcnt lgkmcnt(2)
	v_mul_f64 v[33:34], v[5:6], v[37:38]
	v_mul_f64 v[37:38], v[3:4], v[37:38]
	v_add_co_u32_e32 v11, vcc, 0x100, v11
	v_add_f64 v[43:44], v[17:18], v[47:48]
	v_add_f64 v[45:46], v[15:16], v[49:50]
	s_waitcnt lgkmcnt(0)
	v_mul_f64 v[47:48], v[27:28], v[41:42]
	v_mul_f64 v[41:42], v[25:26], v[41:42]
	v_fma_f64 v[49:50], v[3:4], v[35:36], -v[33:34]
	v_fma_f64 v[37:38], v[5:6], v[35:36], v[37:38]
	ds_read_b128 v[15:18], v21 offset:1024
	v_cmp_ge_i64_e64 s[2:3], s[6:7], v[13:14]
	v_add_f64 v[43:44], v[43:44], v[29:30]
	v_add_f64 v[45:46], v[45:46], v[31:32]
	ds_read_b128 v[3:6], v23 offset:64
	ds_read_b128 v[29:32], v23 offset:80
	;; [unrolled: 1-line block ×3, first 2 shown]
	v_fma_f64 v[47:48], v[25:26], v[39:40], -v[47:48]
	v_fma_f64 v[39:40], v[27:28], v[39:40], v[41:42]
	s_waitcnt lgkmcnt(2)
	v_mul_f64 v[41:42], v[5:6], v[17:18]
	v_mul_f64 v[17:18], v[3:4], v[17:18]
	ds_read_b128 v[25:28], v21 offset:1536
	v_add_f64 v[43:44], v[43:44], v[49:50]
	v_add_f64 v[37:38], v[45:46], v[37:38]
	s_waitcnt lgkmcnt(1)
	v_mul_f64 v[45:46], v[31:32], v[35:36]
	v_mul_f64 v[49:50], v[29:30], v[35:36]
	v_addc_co_u32_e32 v12, vcc, 0, v12, vcc
	v_fma_f64 v[41:42], v[3:4], v[15:16], -v[41:42]
	v_fma_f64 v[51:52], v[5:6], v[15:16], v[17:18]
	v_add_f64 v[43:44], v[43:44], v[47:48]
	v_add_f64 v[39:40], v[37:38], v[39:40]
	ds_read_b128 v[3:6], v23 offset:96
	ds_read_b128 v[15:18], v23 offset:112
	;; [unrolled: 1-line block ×3, first 2 shown]
	v_fma_f64 v[45:46], v[29:30], v[33:34], -v[45:46]
	v_fma_f64 v[31:32], v[31:32], v[33:34], v[49:50]
	s_waitcnt lgkmcnt(2)
	v_mul_f64 v[33:34], v[5:6], v[27:28]
	v_mul_f64 v[47:48], v[3:4], v[27:28]
	s_waitcnt lgkmcnt(0)
	v_mul_f64 v[49:50], v[15:16], v[37:38]
	v_add_f64 v[41:42], v[43:44], v[41:42]
	v_add_f64 v[39:40], v[39:40], v[51:52]
	v_mul_f64 v[43:44], v[17:18], v[37:38]
	ds_read_b128 v[27:30], v21 offset:2048
	s_and_b64 vcc, exec, s[2:3]
	v_fma_f64 v[51:52], v[3:4], v[25:26], -v[33:34]
	v_fma_f64 v[25:26], v[5:6], v[25:26], v[47:48]
	v_add_f64 v[41:42], v[41:42], v[45:46]
	v_add_f64 v[45:46], v[39:40], v[31:32]
	ds_read_b128 v[3:6], v23 offset:128
	ds_read_b128 v[31:34], v23 offset:144
	;; [unrolled: 1-line block ×3, first 2 shown]
	v_fma_f64 v[43:44], v[15:16], v[35:36], -v[43:44]
	v_fma_f64 v[35:36], v[17:18], v[35:36], v[49:50]
	s_waitcnt lgkmcnt(2)
	v_mul_f64 v[47:48], v[5:6], v[29:30]
	v_mul_f64 v[29:30], v[3:4], v[29:30]
	s_waitcnt lgkmcnt(0)
	v_mul_f64 v[49:50], v[31:32], v[39:40]
	v_add_f64 v[41:42], v[41:42], v[51:52]
	v_add_f64 v[25:26], v[45:46], v[25:26]
	v_mul_f64 v[45:46], v[33:34], v[39:40]
	ds_read_b128 v[15:18], v21 offset:2560
	v_fma_f64 v[47:48], v[3:4], v[27:28], -v[47:48]
	v_fma_f64 v[29:30], v[5:6], v[27:28], v[29:30]
	v_fma_f64 v[33:34], v[33:34], v[37:38], v[49:50]
	v_add_f64 v[43:44], v[41:42], v[43:44]
	v_add_f64 v[35:36], v[25:26], v[35:36]
	ds_read_b128 v[3:6], v23 offset:160
	ds_read_b128 v[25:28], v23 offset:176
	;; [unrolled: 1-line block ×3, first 2 shown]
	v_fma_f64 v[45:46], v[31:32], v[37:38], -v[45:46]
	s_waitcnt lgkmcnt(2)
	v_mul_f64 v[37:38], v[5:6], v[17:18]
	v_mul_f64 v[17:18], v[3:4], v[17:18]
	v_add_f64 v[43:44], v[43:44], v[47:48]
	v_add_f64 v[35:36], v[35:36], v[29:30]
	s_waitcnt lgkmcnt(0)
	v_mul_f64 v[47:48], v[27:28], v[41:42]
	v_mul_f64 v[41:42], v[25:26], v[41:42]
	ds_read_b128 v[29:32], v21 offset:3072
	v_fma_f64 v[37:38], v[3:4], v[15:16], -v[37:38]
	v_fma_f64 v[49:50], v[5:6], v[15:16], v[17:18]
	v_add_f64 v[43:44], v[43:44], v[45:46]
	v_add_f64 v[45:46], v[35:36], v[33:34]
	ds_read_b128 v[3:6], v23 offset:192
	ds_read_b128 v[15:18], v23 offset:208
	ds_read_b128 v[33:36], v21 offset:3328
	v_fma_f64 v[47:48], v[25:26], v[39:40], -v[47:48]
	v_fma_f64 v[39:40], v[27:28], v[39:40], v[41:42]
	s_waitcnt lgkmcnt(2)
	v_mul_f64 v[41:42], v[5:6], v[31:32]
	v_mul_f64 v[31:32], v[3:4], v[31:32]
	ds_read_b128 v[25:28], v21 offset:3584
	v_add_f64 v[37:38], v[43:44], v[37:38]
	v_add_f64 v[43:44], v[45:46], v[49:50]
	s_waitcnt lgkmcnt(1)
	v_mul_f64 v[45:46], v[17:18], v[35:36]
	v_mul_f64 v[49:50], v[15:16], v[35:36]
	v_fma_f64 v[41:42], v[3:4], v[29:30], -v[41:42]
	v_fma_f64 v[51:52], v[5:6], v[29:30], v[31:32]
	v_add_f64 v[47:48], v[37:38], v[47:48]
	v_add_f64 v[39:40], v[43:44], v[39:40]
	ds_read_b128 v[3:6], v23 offset:224
	ds_read_b128 v[29:32], v23 offset:240
	;; [unrolled: 1-line block ×3, first 2 shown]
	v_fma_f64 v[15:16], v[15:16], v[33:34], -v[45:46]
	v_fma_f64 v[17:18], v[17:18], v[33:34], v[49:50]
	s_waitcnt lgkmcnt(2)
	v_mul_f64 v[33:34], v[5:6], v[27:28]
	v_mul_f64 v[27:28], v[3:4], v[27:28]
	s_waitcnt lgkmcnt(0)
	v_mul_f64 v[43:44], v[31:32], v[37:38]
	v_add_f64 v[41:42], v[47:48], v[41:42]
	v_add_f64 v[39:40], v[39:40], v[51:52]
	v_mul_f64 v[37:38], v[29:30], v[37:38]
	s_barrier
	v_fma_f64 v[3:4], v[3:4], v[25:26], -v[33:34]
	v_fma_f64 v[5:6], v[5:6], v[25:26], v[27:28]
	v_fma_f64 v[25:26], v[29:30], v[35:36], -v[43:44]
	v_add_f64 v[15:16], v[41:42], v[15:16]
	v_add_f64 v[17:18], v[39:40], v[17:18]
	v_fma_f64 v[27:28], v[31:32], v[35:36], v[37:38]
	v_add_f64 v[3:4], v[15:16], v[3:4]
	v_add_f64 v[5:6], v[17:18], v[5:6]
	;; [unrolled: 1-line block ×4, first 2 shown]
	s_cbranch_vccnz .LBB1206_10
.LBB1206_3:                             ; =>This Inner Loop Header: Depth=1
	v_mov_b32_e32 v4, s7
	v_add_co_u32_e32 v3, vcc, s6, v1
	v_addc_co_u32_e32 v4, vcc, 0, v4, vcc
	v_cmp_gt_i64_e32 vcc, s[12:13], v[3:4]
	v_mov_b32_e32 v3, 0
	v_mov_b32_e32 v5, 0
	;; [unrolled: 1-line block ×4, first 2 shown]
	s_and_b64 s[18:19], s[0:1], vcc
	s_and_saveexec_b64 s[2:3], s[18:19]
	s_cbranch_execz .LBB1206_5
; %bb.4:                                ;   in Loop: Header=BB1206_3 Depth=1
	global_load_dwordx4 v[3:6], v[11:12], off offset:-8
.LBB1206_5:                             ;   in Loop: Header=BB1206_3 Depth=1
	s_or_b64 exec, exec, s[2:3]
	v_mov_b32_e32 v26, s7
	v_add_co_u32_e32 v25, vcc, s6, v0
	v_addc_co_u32_e32 v26, vcc, 0, v26, vcc
	v_cmp_le_i64_e32 vcc, s[12:13], v[25:26]
	s_waitcnt vmcnt(0)
	ds_write_b128 v22, v[3:6]
	s_or_b64 s[2:3], s[10:11], vcc
	s_and_saveexec_b64 s[18:19], s[2:3]
	s_xor_b64 s[2:3], exec, s[18:19]
; %bb.6:                                ;   in Loop: Header=BB1206_3 Depth=1
	v_mov_b32_e32 v3, v2
	v_mov_b32_e32 v4, v2
	;; [unrolled: 1-line block ×3, first 2 shown]
	ds_write_b128 v24, v[2:5]
; %bb.7:                                ;   in Loop: Header=BB1206_3 Depth=1
	s_andn2_saveexec_b64 s[2:3], s[2:3]
	s_cbranch_execz .LBB1206_2
; %bb.8:                                ;   in Loop: Header=BB1206_3 Depth=1
	global_load_dwordx4 v[3:6], v[9:10], off
	s_waitcnt vmcnt(0)
	ds_write2_b64 v24, v[3:4], v[5:6] offset1:1
	s_branch .LBB1206_2
.LBB1206_9:
	v_mov_b32_e32 v15, 0
	v_mov_b32_e32 v17, 0
	;; [unrolled: 1-line block ×4, first 2 shown]
.LBB1206_10:
	v_cmp_le_i32_e32 vcc, v19, v7
	v_cmp_gt_i32_e64 s[0:1], s9, v7
	s_and_b64 s[0:1], vcc, s[0:1]
	s_and_saveexec_b64 s[2:3], s[0:1]
	s_cbranch_execz .LBB1206_12
; %bb.11:
	s_load_dwordx2 s[6:7], s[4:5], 0x70
	s_load_dwordx4 s[0:3], s[4:5], 0x60
	v_mul_f64 v[0:1], s[16:17], v[15:16]
	v_mul_f64 v[2:3], s[14:15], v[15:16]
	s_waitcnt lgkmcnt(0)
	s_mul_i32 s5, s7, s8
	v_mul_lo_u32 v6, s3, v19
	v_mul_lo_u32 v9, s2, v20
	v_mad_u64_u32 v[4:5], s[2:3], s2, v19, 0
	s_mul_hi_u32 s7, s6, s8
	s_mul_i32 s4, s6, s8
	s_add_i32 s5, s7, s5
	s_lshl_b64 s[4:5], s[4:5], 4
	v_fma_f64 v[0:1], s[14:15], v[17:18], -v[0:1]
	v_fma_f64 v[2:3], s[16:17], v[17:18], v[2:3]
	v_add3_u32 v5, v5, v9, v6
	s_add_u32 s0, s0, s4
	v_lshlrev_b64 v[4:5], 4, v[4:5]
	s_addc_u32 s1, s1, s5
	v_mov_b32_e32 v6, s1
	v_add_co_u32_e32 v9, vcc, s0, v4
	v_addc_co_u32_e32 v6, vcc, v6, v5, vcc
	v_lshlrev_b64 v[4:5], 4, v[7:8]
	v_add_co_u32_e32 v4, vcc, v9, v4
	v_addc_co_u32_e32 v5, vcc, v6, v5, vcc
	global_store_dwordx4 v[4:5], v[0:3], off
.LBB1206_12:
	s_endpgm
	.section	.rodata,"a",@progbits
	.p2align	6, 0x0
	.amdhsa_kernel _ZL32rocblas_syrkx_herkx_small_kernelIl19rocblas_complex_numIdELi16ELb1ELb0ELc67ELc76EKS1_S1_EviT_T0_PT6_S3_lS6_S3_lS4_PT7_S3_li
		.amdhsa_group_segment_fixed_size 8192
		.amdhsa_private_segment_fixed_size 0
		.amdhsa_kernarg_size 124
		.amdhsa_user_sgpr_count 6
		.amdhsa_user_sgpr_private_segment_buffer 1
		.amdhsa_user_sgpr_dispatch_ptr 0
		.amdhsa_user_sgpr_queue_ptr 0
		.amdhsa_user_sgpr_kernarg_segment_ptr 1
		.amdhsa_user_sgpr_dispatch_id 0
		.amdhsa_user_sgpr_flat_scratch_init 0
		.amdhsa_user_sgpr_private_segment_size 0
		.amdhsa_uses_dynamic_stack 0
		.amdhsa_system_sgpr_private_segment_wavefront_offset 0
		.amdhsa_system_sgpr_workgroup_id_x 1
		.amdhsa_system_sgpr_workgroup_id_y 1
		.amdhsa_system_sgpr_workgroup_id_z 1
		.amdhsa_system_sgpr_workgroup_info 0
		.amdhsa_system_vgpr_workitem_id 1
		.amdhsa_next_free_vgpr 53
		.amdhsa_next_free_sgpr 61
		.amdhsa_reserve_vcc 1
		.amdhsa_reserve_flat_scratch 0
		.amdhsa_float_round_mode_32 0
		.amdhsa_float_round_mode_16_64 0
		.amdhsa_float_denorm_mode_32 3
		.amdhsa_float_denorm_mode_16_64 3
		.amdhsa_dx10_clamp 1
		.amdhsa_ieee_mode 1
		.amdhsa_fp16_overflow 0
		.amdhsa_exception_fp_ieee_invalid_op 0
		.amdhsa_exception_fp_denorm_src 0
		.amdhsa_exception_fp_ieee_div_zero 0
		.amdhsa_exception_fp_ieee_overflow 0
		.amdhsa_exception_fp_ieee_underflow 0
		.amdhsa_exception_fp_ieee_inexact 0
		.amdhsa_exception_int_div_zero 0
	.end_amdhsa_kernel
	.section	.text._ZL32rocblas_syrkx_herkx_small_kernelIl19rocblas_complex_numIdELi16ELb1ELb0ELc67ELc76EKS1_S1_EviT_T0_PT6_S3_lS6_S3_lS4_PT7_S3_li,"axG",@progbits,_ZL32rocblas_syrkx_herkx_small_kernelIl19rocblas_complex_numIdELi16ELb1ELb0ELc67ELc76EKS1_S1_EviT_T0_PT6_S3_lS6_S3_lS4_PT7_S3_li,comdat
.Lfunc_end1206:
	.size	_ZL32rocblas_syrkx_herkx_small_kernelIl19rocblas_complex_numIdELi16ELb1ELb0ELc67ELc76EKS1_S1_EviT_T0_PT6_S3_lS6_S3_lS4_PT7_S3_li, .Lfunc_end1206-_ZL32rocblas_syrkx_herkx_small_kernelIl19rocblas_complex_numIdELi16ELb1ELb0ELc67ELc76EKS1_S1_EviT_T0_PT6_S3_lS6_S3_lS4_PT7_S3_li
                                        ; -- End function
	.set _ZL32rocblas_syrkx_herkx_small_kernelIl19rocblas_complex_numIdELi16ELb1ELb0ELc67ELc76EKS1_S1_EviT_T0_PT6_S3_lS6_S3_lS4_PT7_S3_li.num_vgpr, 53
	.set _ZL32rocblas_syrkx_herkx_small_kernelIl19rocblas_complex_numIdELi16ELb1ELb0ELc67ELc76EKS1_S1_EviT_T0_PT6_S3_lS6_S3_lS4_PT7_S3_li.num_agpr, 0
	.set _ZL32rocblas_syrkx_herkx_small_kernelIl19rocblas_complex_numIdELi16ELb1ELb0ELc67ELc76EKS1_S1_EviT_T0_PT6_S3_lS6_S3_lS4_PT7_S3_li.numbered_sgpr, 28
	.set _ZL32rocblas_syrkx_herkx_small_kernelIl19rocblas_complex_numIdELi16ELb1ELb0ELc67ELc76EKS1_S1_EviT_T0_PT6_S3_lS6_S3_lS4_PT7_S3_li.num_named_barrier, 0
	.set _ZL32rocblas_syrkx_herkx_small_kernelIl19rocblas_complex_numIdELi16ELb1ELb0ELc67ELc76EKS1_S1_EviT_T0_PT6_S3_lS6_S3_lS4_PT7_S3_li.private_seg_size, 0
	.set _ZL32rocblas_syrkx_herkx_small_kernelIl19rocblas_complex_numIdELi16ELb1ELb0ELc67ELc76EKS1_S1_EviT_T0_PT6_S3_lS6_S3_lS4_PT7_S3_li.uses_vcc, 1
	.set _ZL32rocblas_syrkx_herkx_small_kernelIl19rocblas_complex_numIdELi16ELb1ELb0ELc67ELc76EKS1_S1_EviT_T0_PT6_S3_lS6_S3_lS4_PT7_S3_li.uses_flat_scratch, 0
	.set _ZL32rocblas_syrkx_herkx_small_kernelIl19rocblas_complex_numIdELi16ELb1ELb0ELc67ELc76EKS1_S1_EviT_T0_PT6_S3_lS6_S3_lS4_PT7_S3_li.has_dyn_sized_stack, 0
	.set _ZL32rocblas_syrkx_herkx_small_kernelIl19rocblas_complex_numIdELi16ELb1ELb0ELc67ELc76EKS1_S1_EviT_T0_PT6_S3_lS6_S3_lS4_PT7_S3_li.has_recursion, 0
	.set _ZL32rocblas_syrkx_herkx_small_kernelIl19rocblas_complex_numIdELi16ELb1ELb0ELc67ELc76EKS1_S1_EviT_T0_PT6_S3_lS6_S3_lS4_PT7_S3_li.has_indirect_call, 0
	.section	.AMDGPU.csdata,"",@progbits
; Kernel info:
; codeLenInByte = 1900
; TotalNumSgprs: 32
; NumVgprs: 53
; ScratchSize: 0
; MemoryBound: 1
; FloatMode: 240
; IeeeMode: 1
; LDSByteSize: 8192 bytes/workgroup (compile time only)
; SGPRBlocks: 8
; VGPRBlocks: 13
; NumSGPRsForWavesPerEU: 65
; NumVGPRsForWavesPerEU: 53
; Occupancy: 4
; WaveLimiterHint : 0
; COMPUTE_PGM_RSRC2:SCRATCH_EN: 0
; COMPUTE_PGM_RSRC2:USER_SGPR: 6
; COMPUTE_PGM_RSRC2:TRAP_HANDLER: 0
; COMPUTE_PGM_RSRC2:TGID_X_EN: 1
; COMPUTE_PGM_RSRC2:TGID_Y_EN: 1
; COMPUTE_PGM_RSRC2:TGID_Z_EN: 1
; COMPUTE_PGM_RSRC2:TIDIG_COMP_CNT: 1
	.section	.text._ZL32rocblas_syrkx_herkx_small_kernelIl19rocblas_complex_numIdELi16ELb1ELb0ELc78ELc76EKS1_S1_EviT_T0_PT6_S3_lS6_S3_lS4_PT7_S3_li,"axG",@progbits,_ZL32rocblas_syrkx_herkx_small_kernelIl19rocblas_complex_numIdELi16ELb1ELb0ELc78ELc76EKS1_S1_EviT_T0_PT6_S3_lS6_S3_lS4_PT7_S3_li,comdat
	.globl	_ZL32rocblas_syrkx_herkx_small_kernelIl19rocblas_complex_numIdELi16ELb1ELb0ELc78ELc76EKS1_S1_EviT_T0_PT6_S3_lS6_S3_lS4_PT7_S3_li ; -- Begin function _ZL32rocblas_syrkx_herkx_small_kernelIl19rocblas_complex_numIdELi16ELb1ELb0ELc78ELc76EKS1_S1_EviT_T0_PT6_S3_lS6_S3_lS4_PT7_S3_li
	.p2align	8
	.type	_ZL32rocblas_syrkx_herkx_small_kernelIl19rocblas_complex_numIdELi16ELb1ELb0ELc78ELc76EKS1_S1_EviT_T0_PT6_S3_lS6_S3_lS4_PT7_S3_li,@function
_ZL32rocblas_syrkx_herkx_small_kernelIl19rocblas_complex_numIdELi16ELb1ELb0ELc78ELc76EKS1_S1_EviT_T0_PT6_S3_lS6_S3_lS4_PT7_S3_li: ; @_ZL32rocblas_syrkx_herkx_small_kernelIl19rocblas_complex_numIdELi16ELb1ELb0ELc78ELc76EKS1_S1_EviT_T0_PT6_S3_lS6_S3_lS4_PT7_S3_li
; %bb.0:
	s_load_dwordx16 s[12:27], s[4:5], 0x8
	s_load_dword s9, s[4:5], 0x0
	v_lshl_add_u32 v7, s6, 4, v0
	v_lshl_add_u32 v9, s7, 4, v1
	v_ashrrev_i32_e32 v8, 31, v7
	s_waitcnt lgkmcnt(0)
	v_cmp_lt_i64_e64 s[0:1], s[12:13], 1
	v_cmp_gt_i32_e64 s[2:3], s9, v7
	s_and_b64 vcc, exec, s[0:1]
	v_ashrrev_i32_e32 v10, 31, v9
	s_cbranch_vccnz .LBB1207_9
; %bb.1:
	v_lshlrev_b32_e32 v3, 8, v1
	v_lshlrev_b32_e32 v21, 4, v0
	v_add_u32_e32 v22, v21, v3
	v_add_u32_e32 v23, 0x1000, v3
	v_mad_u64_u32 v[3:4], s[10:11], s26, v0, 0
	s_load_dwordx2 s[6:7], s[4:5], 0x48
	s_mul_i32 s23, s23, s8
	v_mad_u64_u32 v[4:5], s[10:11], s27, v0, v[4:5]
	v_mov_b32_e32 v17, 0
	s_waitcnt lgkmcnt(0)
	s_mul_i32 s7, s7, s8
	s_mul_hi_u32 s28, s6, s8
	s_add_i32 s7, s28, s7
	s_mul_i32 s6, s6, s8
	v_lshlrev_b64 v[3:4], 4, v[3:4]
	s_lshl_b64 s[6:7], s[6:7], 4
	v_mov_b32_e32 v5, s7
	v_add_co_u32_e32 v6, vcc, s6, v3
	v_addc_co_u32_e32 v5, vcc, v5, v4, vcc
	v_lshlrev_b64 v[3:4], 4, v[9:10]
	v_mov_b32_e32 v19, 0
	v_add_co_u32_e32 v3, vcc, v6, v3
	v_addc_co_u32_e32 v4, vcc, v5, v4, vcc
	v_mov_b32_e32 v5, s25
	v_add_co_u32_e32 v3, vcc, s24, v3
	v_addc_co_u32_e32 v4, vcc, v5, v4, vcc
	v_add_co_u32_e32 v11, vcc, 8, v3
	v_addc_co_u32_e32 v12, vcc, 0, v4, vcc
	v_mad_u64_u32 v[3:4], s[6:7], s20, v1, 0
	s_mul_hi_u32 s24, s22, s8
	s_lshl_b64 s[6:7], s[26:27], 8
	v_mad_u64_u32 v[4:5], s[10:11], s21, v1, v[4:5]
	s_add_i32 s11, s24, s23
	s_mul_i32 s10, s22, s8
	v_lshlrev_b64 v[3:4], 4, v[3:4]
	s_lshl_b64 s[10:11], s[10:11], 4
	v_mov_b32_e32 v5, s11
	v_add_co_u32_e32 v6, vcc, s10, v3
	v_addc_co_u32_e32 v5, vcc, v5, v4, vcc
	v_lshlrev_b64 v[3:4], 4, v[7:8]
	s_lshl_b64 s[10:11], s[20:21], 8
	v_add_co_u32_e32 v3, vcc, v6, v3
	v_addc_co_u32_e32 v4, vcc, v5, v4, vcc
	v_mov_b32_e32 v5, s19
	v_add_co_u32_e32 v13, vcc, s18, v3
	v_mov_b32_e32 v16, s13
	v_mov_b32_e32 v2, 0
	v_cmp_gt_i32_e64 s[0:1], s9, v9
	v_add_u32_e32 v24, v23, v21
	v_addc_co_u32_e32 v14, vcc, v5, v4, vcc
	v_mov_b32_e32 v18, 0
	s_mov_b64 s[18:19], 0
	s_xor_b64 s[20:21], s[2:3], -1
	v_mov_b32_e32 v25, s7
	v_mov_b32_e32 v26, s11
	;; [unrolled: 1-line block ×4, first 2 shown]
	s_branch .LBB1207_3
.LBB1207_2:                             ;   in Loop: Header=BB1207_3 Depth=1
	s_or_b64 exec, exec, s[2:3]
	s_waitcnt vmcnt(0)
	ds_write_b128 v24, v[3:6]
	s_waitcnt lgkmcnt(0)
	s_barrier
	ds_read_b128 v[3:6], v21
	ds_read_b128 v[27:30], v23
	ds_read_b128 v[31:34], v23 offset:16
	ds_read_b128 v[35:38], v21 offset:256
	s_add_u32 s18, s18, 16
	v_add_co_u32_e32 v11, vcc, s6, v11
	s_waitcnt lgkmcnt(2)
	v_mul_f64 v[39:40], v[29:30], v[5:6]
	v_mul_f64 v[5:6], v[27:28], v[5:6]
	s_waitcnt lgkmcnt(0)
	v_mul_f64 v[41:42], v[33:34], v[37:38]
	v_mul_f64 v[43:44], v[31:32], v[37:38]
	v_addc_co_u32_e32 v12, vcc, v12, v25, vcc
	s_addc_u32 s19, s19, 0
	v_cmp_ge_i64_e32 vcc, s[18:19], v[15:16]
	v_fma_f64 v[45:46], v[27:28], v[3:4], -v[39:40]
	v_fma_f64 v[47:48], v[29:30], v[3:4], v[5:6]
	ds_read_b128 v[3:6], v21 offset:512
	ds_read_b128 v[27:30], v23 offset:32
	;; [unrolled: 1-line block ×3, first 2 shown]
	v_fma_f64 v[41:42], v[31:32], v[35:36], -v[41:42]
	v_fma_f64 v[35:36], v[33:34], v[35:36], v[43:44]
	ds_read_b128 v[31:34], v21 offset:768
	s_waitcnt lgkmcnt(2)
	v_mul_f64 v[43:44], v[29:30], v[5:6]
	v_mul_f64 v[5:6], v[27:28], v[5:6]
	v_add_f64 v[19:20], v[19:20], v[45:46]
	v_add_f64 v[17:18], v[17:18], v[47:48]
	s_waitcnt lgkmcnt(0)
	v_mul_f64 v[45:46], v[39:40], v[33:34]
	v_mul_f64 v[33:34], v[37:38], v[33:34]
	v_add_co_u32_e64 v13, s[2:3], s10, v13
	v_fma_f64 v[43:44], v[27:28], v[3:4], -v[43:44]
	v_fma_f64 v[47:48], v[29:30], v[3:4], v[5:6]
	v_add_f64 v[41:42], v[19:20], v[41:42]
	v_add_f64 v[35:36], v[17:18], v[35:36]
	ds_read_b128 v[3:6], v23 offset:64
	ds_read_b128 v[17:20], v21 offset:1024
	v_fma_f64 v[37:38], v[37:38], v[31:32], -v[45:46]
	v_fma_f64 v[39:40], v[39:40], v[31:32], v[33:34]
	ds_read_b128 v[27:30], v23 offset:80
	ds_read_b128 v[31:34], v21 offset:1280
	v_addc_co_u32_e64 v14, s[2:3], v14, v26, s[2:3]
	s_waitcnt lgkmcnt(2)
	v_mul_f64 v[45:46], v[5:6], v[19:20]
	v_mul_f64 v[19:20], v[3:4], v[19:20]
	v_add_f64 v[41:42], v[41:42], v[43:44]
	v_add_f64 v[35:36], v[35:36], v[47:48]
	s_waitcnt lgkmcnt(0)
	v_mul_f64 v[43:44], v[29:30], v[33:34]
	v_mul_f64 v[33:34], v[27:28], v[33:34]
	s_and_b64 vcc, exec, vcc
	v_fma_f64 v[45:46], v[3:4], v[17:18], -v[45:46]
	v_fma_f64 v[47:48], v[5:6], v[17:18], v[19:20]
	v_add_f64 v[37:38], v[41:42], v[37:38]
	v_add_f64 v[35:36], v[35:36], v[39:40]
	ds_read_b128 v[3:6], v23 offset:96
	ds_read_b128 v[17:20], v21 offset:1536
	v_fma_f64 v[39:40], v[27:28], v[31:32], -v[43:44]
	v_fma_f64 v[41:42], v[29:30], v[31:32], v[33:34]
	ds_read_b128 v[27:30], v23 offset:112
	ds_read_b128 v[31:34], v21 offset:1792
	s_waitcnt lgkmcnt(2)
	v_mul_f64 v[43:44], v[5:6], v[19:20]
	v_mul_f64 v[19:20], v[3:4], v[19:20]
	v_add_f64 v[37:38], v[37:38], v[45:46]
	v_add_f64 v[35:36], v[35:36], v[47:48]
	s_waitcnt lgkmcnt(0)
	v_mul_f64 v[45:46], v[29:30], v[33:34]
	v_mul_f64 v[33:34], v[27:28], v[33:34]
	v_fma_f64 v[43:44], v[3:4], v[17:18], -v[43:44]
	v_fma_f64 v[47:48], v[5:6], v[17:18], v[19:20]
	v_add_f64 v[37:38], v[37:38], v[39:40]
	v_add_f64 v[35:36], v[35:36], v[41:42]
	ds_read_b128 v[3:6], v23 offset:128
	ds_read_b128 v[17:20], v21 offset:2048
	v_fma_f64 v[39:40], v[27:28], v[31:32], -v[45:46]
	v_fma_f64 v[41:42], v[29:30], v[31:32], v[33:34]
	ds_read_b128 v[27:30], v23 offset:144
	ds_read_b128 v[31:34], v21 offset:2304
	s_waitcnt lgkmcnt(2)
	v_mul_f64 v[45:46], v[5:6], v[19:20]
	v_mul_f64 v[19:20], v[3:4], v[19:20]
	v_add_f64 v[37:38], v[37:38], v[43:44]
	v_add_f64 v[35:36], v[35:36], v[47:48]
	s_waitcnt lgkmcnt(0)
	v_mul_f64 v[43:44], v[29:30], v[33:34]
	v_mul_f64 v[33:34], v[27:28], v[33:34]
	;; [unrolled: 18-line block ×4, first 2 shown]
	v_fma_f64 v[45:46], v[3:4], v[17:18], -v[45:46]
	v_fma_f64 v[47:48], v[5:6], v[17:18], v[19:20]
	v_add_f64 v[37:38], v[37:38], v[39:40]
	v_add_f64 v[35:36], v[35:36], v[41:42]
	ds_read_b128 v[3:6], v23 offset:224
	ds_read_b128 v[17:20], v21 offset:3584
	v_fma_f64 v[39:40], v[27:28], v[31:32], -v[43:44]
	v_fma_f64 v[41:42], v[29:30], v[31:32], v[33:34]
	ds_read_b128 v[27:30], v23 offset:240
	ds_read_b128 v[31:34], v21 offset:3840
	s_waitcnt lgkmcnt(0)
	v_mul_f64 v[43:44], v[5:6], v[19:20]
	v_mul_f64 v[19:20], v[3:4], v[19:20]
	v_add_f64 v[37:38], v[37:38], v[45:46]
	v_add_f64 v[35:36], v[35:36], v[47:48]
	v_mul_f64 v[45:46], v[29:30], v[33:34]
	v_mul_f64 v[33:34], v[27:28], v[33:34]
	s_barrier
	v_fma_f64 v[3:4], v[3:4], v[17:18], -v[43:44]
	v_fma_f64 v[5:6], v[5:6], v[17:18], v[19:20]
	v_add_f64 v[17:18], v[37:38], v[39:40]
	v_add_f64 v[19:20], v[35:36], v[41:42]
	v_fma_f64 v[27:28], v[27:28], v[31:32], -v[45:46]
	v_fma_f64 v[29:30], v[29:30], v[31:32], v[33:34]
	v_add_f64 v[3:4], v[17:18], v[3:4]
	v_add_f64 v[5:6], v[19:20], v[5:6]
	v_add_f64 v[19:20], v[3:4], v[27:28]
	v_add_f64 v[17:18], v[5:6], v[29:30]
	s_cbranch_vccnz .LBB1207_10
.LBB1207_3:                             ; =>This Inner Loop Header: Depth=1
	v_mov_b32_e32 v4, s19
	v_add_co_u32_e32 v3, vcc, s18, v1
	v_addc_co_u32_e32 v4, vcc, 0, v4, vcc
	v_cmp_le_i64_e32 vcc, s[12:13], v[3:4]
	s_or_b64 s[2:3], s[20:21], vcc
	s_and_saveexec_b64 s[22:23], s[2:3]
	s_xor_b64 s[2:3], exec, s[22:23]
; %bb.4:                                ;   in Loop: Header=BB1207_3 Depth=1
	v_mov_b32_e32 v3, v2
	v_mov_b32_e32 v4, v2
	;; [unrolled: 1-line block ×3, first 2 shown]
	ds_write_b128 v22, v[2:5]
; %bb.5:                                ;   in Loop: Header=BB1207_3 Depth=1
	s_andn2_saveexec_b64 s[2:3], s[2:3]
	s_cbranch_execz .LBB1207_7
; %bb.6:                                ;   in Loop: Header=BB1207_3 Depth=1
	global_load_dwordx4 v[3:6], v[13:14], off
	s_waitcnt vmcnt(0)
	ds_write2_b64 v22, v[3:4], v[5:6] offset1:1
.LBB1207_7:                             ;   in Loop: Header=BB1207_3 Depth=1
	s_or_b64 exec, exec, s[2:3]
	v_mov_b32_e32 v4, s19
	v_add_co_u32_e32 v3, vcc, s18, v0
	v_addc_co_u32_e32 v4, vcc, 0, v4, vcc
	v_cmp_gt_i64_e32 vcc, s[12:13], v[3:4]
	v_mov_b32_e32 v3, 0
	v_mov_b32_e32 v5, 0
	;; [unrolled: 1-line block ×4, first 2 shown]
	s_and_b64 s[22:23], s[0:1], vcc
	s_and_saveexec_b64 s[2:3], s[22:23]
	s_cbranch_execz .LBB1207_2
; %bb.8:                                ;   in Loop: Header=BB1207_3 Depth=1
	global_load_dwordx4 v[3:6], v[11:12], off offset:-8
	s_branch .LBB1207_2
.LBB1207_9:
	v_mov_b32_e32 v17, 0
	v_mov_b32_e32 v19, 0
	;; [unrolled: 1-line block ×4, first 2 shown]
.LBB1207_10:
	v_cmp_le_i32_e32 vcc, v9, v7
	v_cmp_gt_i32_e64 s[0:1], s9, v7
	s_and_b64 s[0:1], vcc, s[0:1]
	s_and_saveexec_b64 s[2:3], s[0:1]
	s_cbranch_execz .LBB1207_12
; %bb.11:
	s_load_dwordx2 s[6:7], s[4:5], 0x70
	s_load_dwordx4 s[0:3], s[4:5], 0x60
	v_mul_f64 v[0:1], s[16:17], v[17:18]
	v_mul_f64 v[2:3], s[14:15], v[17:18]
	s_waitcnt lgkmcnt(0)
	s_mul_i32 s5, s7, s8
	v_mul_lo_u32 v6, s3, v9
	v_mul_lo_u32 v10, s2, v10
	v_mad_u64_u32 v[4:5], s[2:3], s2, v9, 0
	s_mul_hi_u32 s7, s6, s8
	s_mul_i32 s4, s6, s8
	s_add_i32 s5, s7, s5
	s_lshl_b64 s[4:5], s[4:5], 4
	v_fma_f64 v[0:1], s[14:15], v[19:20], -v[0:1]
	v_fma_f64 v[2:3], s[16:17], v[19:20], v[2:3]
	v_add3_u32 v5, v5, v10, v6
	s_add_u32 s0, s0, s4
	v_lshlrev_b64 v[4:5], 4, v[4:5]
	s_addc_u32 s1, s1, s5
	v_mov_b32_e32 v6, s1
	v_add_co_u32_e32 v9, vcc, s0, v4
	v_addc_co_u32_e32 v6, vcc, v6, v5, vcc
	v_lshlrev_b64 v[4:5], 4, v[7:8]
	v_add_co_u32_e32 v4, vcc, v9, v4
	v_addc_co_u32_e32 v5, vcc, v6, v5, vcc
	global_store_dwordx4 v[4:5], v[0:3], off
.LBB1207_12:
	s_endpgm
	.section	.rodata,"a",@progbits
	.p2align	6, 0x0
	.amdhsa_kernel _ZL32rocblas_syrkx_herkx_small_kernelIl19rocblas_complex_numIdELi16ELb1ELb0ELc78ELc76EKS1_S1_EviT_T0_PT6_S3_lS6_S3_lS4_PT7_S3_li
		.amdhsa_group_segment_fixed_size 8192
		.amdhsa_private_segment_fixed_size 0
		.amdhsa_kernarg_size 124
		.amdhsa_user_sgpr_count 6
		.amdhsa_user_sgpr_private_segment_buffer 1
		.amdhsa_user_sgpr_dispatch_ptr 0
		.amdhsa_user_sgpr_queue_ptr 0
		.amdhsa_user_sgpr_kernarg_segment_ptr 1
		.amdhsa_user_sgpr_dispatch_id 0
		.amdhsa_user_sgpr_flat_scratch_init 0
		.amdhsa_user_sgpr_private_segment_size 0
		.amdhsa_uses_dynamic_stack 0
		.amdhsa_system_sgpr_private_segment_wavefront_offset 0
		.amdhsa_system_sgpr_workgroup_id_x 1
		.amdhsa_system_sgpr_workgroup_id_y 1
		.amdhsa_system_sgpr_workgroup_id_z 1
		.amdhsa_system_sgpr_workgroup_info 0
		.amdhsa_system_vgpr_workitem_id 1
		.amdhsa_next_free_vgpr 49
		.amdhsa_next_free_sgpr 61
		.amdhsa_reserve_vcc 1
		.amdhsa_reserve_flat_scratch 0
		.amdhsa_float_round_mode_32 0
		.amdhsa_float_round_mode_16_64 0
		.amdhsa_float_denorm_mode_32 3
		.amdhsa_float_denorm_mode_16_64 3
		.amdhsa_dx10_clamp 1
		.amdhsa_ieee_mode 1
		.amdhsa_fp16_overflow 0
		.amdhsa_exception_fp_ieee_invalid_op 0
		.amdhsa_exception_fp_denorm_src 0
		.amdhsa_exception_fp_ieee_div_zero 0
		.amdhsa_exception_fp_ieee_overflow 0
		.amdhsa_exception_fp_ieee_underflow 0
		.amdhsa_exception_fp_ieee_inexact 0
		.amdhsa_exception_int_div_zero 0
	.end_amdhsa_kernel
	.section	.text._ZL32rocblas_syrkx_herkx_small_kernelIl19rocblas_complex_numIdELi16ELb1ELb0ELc78ELc76EKS1_S1_EviT_T0_PT6_S3_lS6_S3_lS4_PT7_S3_li,"axG",@progbits,_ZL32rocblas_syrkx_herkx_small_kernelIl19rocblas_complex_numIdELi16ELb1ELb0ELc78ELc76EKS1_S1_EviT_T0_PT6_S3_lS6_S3_lS4_PT7_S3_li,comdat
.Lfunc_end1207:
	.size	_ZL32rocblas_syrkx_herkx_small_kernelIl19rocblas_complex_numIdELi16ELb1ELb0ELc78ELc76EKS1_S1_EviT_T0_PT6_S3_lS6_S3_lS4_PT7_S3_li, .Lfunc_end1207-_ZL32rocblas_syrkx_herkx_small_kernelIl19rocblas_complex_numIdELi16ELb1ELb0ELc78ELc76EKS1_S1_EviT_T0_PT6_S3_lS6_S3_lS4_PT7_S3_li
                                        ; -- End function
	.set _ZL32rocblas_syrkx_herkx_small_kernelIl19rocblas_complex_numIdELi16ELb1ELb0ELc78ELc76EKS1_S1_EviT_T0_PT6_S3_lS6_S3_lS4_PT7_S3_li.num_vgpr, 49
	.set _ZL32rocblas_syrkx_herkx_small_kernelIl19rocblas_complex_numIdELi16ELb1ELb0ELc78ELc76EKS1_S1_EviT_T0_PT6_S3_lS6_S3_lS4_PT7_S3_li.num_agpr, 0
	.set _ZL32rocblas_syrkx_herkx_small_kernelIl19rocblas_complex_numIdELi16ELb1ELb0ELc78ELc76EKS1_S1_EviT_T0_PT6_S3_lS6_S3_lS4_PT7_S3_li.numbered_sgpr, 29
	.set _ZL32rocblas_syrkx_herkx_small_kernelIl19rocblas_complex_numIdELi16ELb1ELb0ELc78ELc76EKS1_S1_EviT_T0_PT6_S3_lS6_S3_lS4_PT7_S3_li.num_named_barrier, 0
	.set _ZL32rocblas_syrkx_herkx_small_kernelIl19rocblas_complex_numIdELi16ELb1ELb0ELc78ELc76EKS1_S1_EviT_T0_PT6_S3_lS6_S3_lS4_PT7_S3_li.private_seg_size, 0
	.set _ZL32rocblas_syrkx_herkx_small_kernelIl19rocblas_complex_numIdELi16ELb1ELb0ELc78ELc76EKS1_S1_EviT_T0_PT6_S3_lS6_S3_lS4_PT7_S3_li.uses_vcc, 1
	.set _ZL32rocblas_syrkx_herkx_small_kernelIl19rocblas_complex_numIdELi16ELb1ELb0ELc78ELc76EKS1_S1_EviT_T0_PT6_S3_lS6_S3_lS4_PT7_S3_li.uses_flat_scratch, 0
	.set _ZL32rocblas_syrkx_herkx_small_kernelIl19rocblas_complex_numIdELi16ELb1ELb0ELc78ELc76EKS1_S1_EviT_T0_PT6_S3_lS6_S3_lS4_PT7_S3_li.has_dyn_sized_stack, 0
	.set _ZL32rocblas_syrkx_herkx_small_kernelIl19rocblas_complex_numIdELi16ELb1ELb0ELc78ELc76EKS1_S1_EviT_T0_PT6_S3_lS6_S3_lS4_PT7_S3_li.has_recursion, 0
	.set _ZL32rocblas_syrkx_herkx_small_kernelIl19rocblas_complex_numIdELi16ELb1ELb0ELc78ELc76EKS1_S1_EviT_T0_PT6_S3_lS6_S3_lS4_PT7_S3_li.has_indirect_call, 0
	.section	.AMDGPU.csdata,"",@progbits
; Kernel info:
; codeLenInByte = 1836
; TotalNumSgprs: 33
; NumVgprs: 49
; ScratchSize: 0
; MemoryBound: 1
; FloatMode: 240
; IeeeMode: 1
; LDSByteSize: 8192 bytes/workgroup (compile time only)
; SGPRBlocks: 8
; VGPRBlocks: 12
; NumSGPRsForWavesPerEU: 65
; NumVGPRsForWavesPerEU: 49
; Occupancy: 4
; WaveLimiterHint : 0
; COMPUTE_PGM_RSRC2:SCRATCH_EN: 0
; COMPUTE_PGM_RSRC2:USER_SGPR: 6
; COMPUTE_PGM_RSRC2:TRAP_HANDLER: 0
; COMPUTE_PGM_RSRC2:TGID_X_EN: 1
; COMPUTE_PGM_RSRC2:TGID_Y_EN: 1
; COMPUTE_PGM_RSRC2:TGID_Z_EN: 1
; COMPUTE_PGM_RSRC2:TIDIG_COMP_CNT: 1
	.section	.text._ZL32rocblas_syrkx_herkx_small_kernelIl19rocblas_complex_numIdELi16ELb1ELb0ELc84ELc85EKS1_S1_EviT_T0_PT6_S3_lS6_S3_lS4_PT7_S3_li,"axG",@progbits,_ZL32rocblas_syrkx_herkx_small_kernelIl19rocblas_complex_numIdELi16ELb1ELb0ELc84ELc85EKS1_S1_EviT_T0_PT6_S3_lS6_S3_lS4_PT7_S3_li,comdat
	.globl	_ZL32rocblas_syrkx_herkx_small_kernelIl19rocblas_complex_numIdELi16ELb1ELb0ELc84ELc85EKS1_S1_EviT_T0_PT6_S3_lS6_S3_lS4_PT7_S3_li ; -- Begin function _ZL32rocblas_syrkx_herkx_small_kernelIl19rocblas_complex_numIdELi16ELb1ELb0ELc84ELc85EKS1_S1_EviT_T0_PT6_S3_lS6_S3_lS4_PT7_S3_li
	.p2align	8
	.type	_ZL32rocblas_syrkx_herkx_small_kernelIl19rocblas_complex_numIdELi16ELb1ELb0ELc84ELc85EKS1_S1_EviT_T0_PT6_S3_lS6_S3_lS4_PT7_S3_li,@function
_ZL32rocblas_syrkx_herkx_small_kernelIl19rocblas_complex_numIdELi16ELb1ELb0ELc84ELc85EKS1_S1_EviT_T0_PT6_S3_lS6_S3_lS4_PT7_S3_li: ; @_ZL32rocblas_syrkx_herkx_small_kernelIl19rocblas_complex_numIdELi16ELb1ELb0ELc84ELc85EKS1_S1_EviT_T0_PT6_S3_lS6_S3_lS4_PT7_S3_li
; %bb.0:
	s_load_dwordx16 s[12:27], s[4:5], 0x8
	s_load_dword s9, s[4:5], 0x0
	v_lshl_add_u32 v6, s6, 4, v0
	v_lshl_add_u32 v18, s7, 4, v1
	v_ashrrev_i32_e32 v7, 31, v6
	s_waitcnt lgkmcnt(0)
	v_cmp_lt_i64_e64 s[0:1], s[12:13], 1
	v_ashrrev_i32_e32 v19, 31, v18
	s_and_b64 vcc, exec, s[0:1]
	v_cmp_gt_i32_e64 s[0:1], s9, v18
	s_cbranch_vccnz .LBB1208_11
; %bb.1:
	s_load_dwordx2 s[2:3], s[4:5], 0x48
	v_mul_lo_u32 v8, s27, v18
	v_mul_lo_u32 v9, s26, v19
	v_mad_u64_u32 v[3:4], s[6:7], s26, v18, 0
	s_waitcnt lgkmcnt(0)
	s_mul_i32 s3, s3, s8
	s_mul_hi_u32 s6, s2, s8
	v_add3_u32 v4, v4, v9, v8
	v_lshlrev_b64 v[3:4], 4, v[3:4]
	s_add_i32 s3, s6, s3
	s_mul_i32 s2, s2, s8
	v_lshlrev_b32_e32 v5, 8, v1
	v_lshlrev_b32_e32 v20, 4, v0
	s_lshl_b64 s[2:3], s[2:3], 4
	v_add_u32_e32 v21, v20, v5
	v_add_u32_e32 v22, 0x1000, v5
	v_mov_b32_e32 v5, s3
	v_add_co_u32_e64 v3, s[2:3], s2, v3
	v_addc_co_u32_e64 v4, s[2:3], v4, v5, s[2:3]
	v_add_co_u32_e64 v5, s[2:3], v3, v20
	v_addc_co_u32_e64 v9, s[2:3], 0, v4, s[2:3]
	v_mul_lo_u32 v11, s21, v6
	v_mul_lo_u32 v12, s20, v7
	v_mad_u64_u32 v[3:4], s[2:3], s20, v6, 0
	v_mov_b32_e32 v10, s25
	v_add_co_u32_e64 v8, s[2:3], s24, v5
	v_addc_co_u32_e64 v9, s[2:3], v10, v9, s[2:3]
	v_add3_u32 v4, v4, v12, v11
	s_mul_i32 s2, s23, s8
	s_mul_hi_u32 s3, s22, s8
	v_lshlrev_b64 v[3:4], 4, v[3:4]
	s_add_i32 s3, s3, s2
	s_mul_i32 s2, s22, s8
	s_lshl_b64 s[2:3], s[2:3], 4
	v_mov_b32_e32 v5, s3
	v_add_co_u32_e64 v3, s[2:3], s2, v3
	v_addc_co_u32_e64 v4, s[2:3], v4, v5, s[2:3]
	v_lshlrev_b32_e32 v5, 4, v1
	v_add_co_u32_e64 v3, s[2:3], v3, v5
	v_addc_co_u32_e64 v4, s[2:3], 0, v4, s[2:3]
	v_mov_b32_e32 v5, s19
	v_add_co_u32_e64 v10, s[2:3], s18, v3
	v_cmp_gt_i32_e32 vcc, s9, v6
	v_addc_co_u32_e64 v11, s[2:3], v5, v4, s[2:3]
	v_mov_b32_e32 v14, 0
	v_mov_b32_e32 v16, 0
	;; [unrolled: 1-line block ×4, first 2 shown]
	v_add_u32_e32 v23, v22, v20
	v_mov_b32_e32 v15, 0
	s_mov_b64 s[2:3], 0
	s_xor_b64 s[6:7], vcc, -1
	s_xor_b64 s[0:1], s[0:1], -1
	v_mov_b32_e32 v17, 0
	v_mov_b32_e32 v13, s13
	s_branch .LBB1208_3
.LBB1208_2:                             ;   in Loop: Header=BB1208_3 Depth=1
	s_or_b64 exec, exec, s[10:11]
	s_waitcnt lgkmcnt(0)
	s_barrier
	ds_read_b128 v[24:27], v22
	ds_read_b128 v[28:31], v22 offset:16
	ds_read_b128 v[32:35], v22 offset:32
	;; [unrolled: 1-line block ×3, first 2 shown]
	ds_read_b128 v[40:43], v20
	v_add_co_u32_e32 v8, vcc, 0x100, v8
	v_addc_co_u32_e32 v9, vcc, 0, v9, vcc
	s_waitcnt lgkmcnt(0)
	v_mul_f64 v[3:4], v[26:27], v[42:43]
	s_add_u32 s2, s2, 16
	v_add_co_u32_e32 v10, vcc, 0x100, v10
	s_addc_u32 s3, s3, 0
	v_addc_co_u32_e32 v11, vcc, 0, v11, vcc
	v_cmp_ge_i64_e32 vcc, s[2:3], v[12:13]
	v_fma_f64 v[3:4], v[24:25], v[40:41], -v[3:4]
	v_mul_f64 v[24:25], v[24:25], v[42:43]
	s_and_b64 vcc, exec, vcc
	v_add_f64 v[3:4], v[16:17], v[3:4]
	v_fma_f64 v[24:25], v[26:27], v[40:41], v[24:25]
	v_add_f64 v[24:25], v[14:15], v[24:25]
	ds_read_b128 v[14:17], v20 offset:256
	s_waitcnt lgkmcnt(0)
	v_mul_f64 v[26:27], v[30:31], v[16:17]
	v_mul_f64 v[16:17], v[28:29], v[16:17]
	v_fma_f64 v[26:27], v[28:29], v[14:15], -v[26:27]
	v_fma_f64 v[14:15], v[30:31], v[14:15], v[16:17]
	v_add_f64 v[3:4], v[3:4], v[26:27]
	v_add_f64 v[24:25], v[24:25], v[14:15]
	ds_read_b128 v[14:17], v20 offset:512
	s_waitcnt lgkmcnt(0)
	v_mul_f64 v[26:27], v[34:35], v[16:17]
	v_mul_f64 v[16:17], v[32:33], v[16:17]
	v_fma_f64 v[26:27], v[32:33], v[14:15], -v[26:27]
	v_fma_f64 v[14:15], v[34:35], v[14:15], v[16:17]
	v_add_f64 v[3:4], v[3:4], v[26:27]
	;; [unrolled: 8-line block ×3, first 2 shown]
	v_add_f64 v[28:29], v[24:25], v[14:15]
	ds_read_b128 v[14:17], v22 offset:64
	ds_read_b128 v[24:27], v20 offset:1024
	s_waitcnt lgkmcnt(0)
	v_mul_f64 v[30:31], v[16:17], v[26:27]
	v_fma_f64 v[30:31], v[14:15], v[24:25], -v[30:31]
	v_mul_f64 v[14:15], v[14:15], v[26:27]
	v_add_f64 v[3:4], v[3:4], v[30:31]
	v_fma_f64 v[14:15], v[16:17], v[24:25], v[14:15]
	v_add_f64 v[28:29], v[28:29], v[14:15]
	ds_read_b128 v[14:17], v22 offset:80
	ds_read_b128 v[24:27], v20 offset:1280
	s_waitcnt lgkmcnt(0)
	v_mul_f64 v[30:31], v[16:17], v[26:27]
	v_fma_f64 v[30:31], v[14:15], v[24:25], -v[30:31]
	v_mul_f64 v[14:15], v[14:15], v[26:27]
	v_add_f64 v[3:4], v[3:4], v[30:31]
	v_fma_f64 v[14:15], v[16:17], v[24:25], v[14:15]
	;; [unrolled: 9-line block ×11, first 2 shown]
	v_add_f64 v[28:29], v[28:29], v[14:15]
	ds_read_b128 v[14:17], v22 offset:240
	ds_read_b128 v[24:27], v20 offset:3840
	s_waitcnt lgkmcnt(0)
	s_barrier
	v_mul_f64 v[30:31], v[16:17], v[26:27]
	v_fma_f64 v[30:31], v[14:15], v[24:25], -v[30:31]
	v_mul_f64 v[14:15], v[14:15], v[26:27]
	v_fma_f64 v[14:15], v[16:17], v[24:25], v[14:15]
	v_add_f64 v[16:17], v[3:4], v[30:31]
	v_add_f64 v[14:15], v[28:29], v[14:15]
	s_cbranch_vccnz .LBB1208_12
.LBB1208_3:                             ; =>This Inner Loop Header: Depth=1
	v_mov_b32_e32 v4, s3
	v_add_co_u32_e32 v3, vcc, s2, v1
	v_addc_co_u32_e32 v4, vcc, 0, v4, vcc
	v_cmp_le_i64_e32 vcc, s[12:13], v[3:4]
	s_or_b64 s[10:11], s[6:7], vcc
	s_and_saveexec_b64 s[18:19], s[10:11]
	s_xor_b64 s[10:11], exec, s[18:19]
; %bb.4:                                ;   in Loop: Header=BB1208_3 Depth=1
	v_mov_b32_e32 v3, v2
	v_mov_b32_e32 v4, v2
	;; [unrolled: 1-line block ×3, first 2 shown]
	ds_write_b128 v21, v[2:5]
; %bb.5:                                ;   in Loop: Header=BB1208_3 Depth=1
	s_andn2_saveexec_b64 s[10:11], s[10:11]
	s_cbranch_execz .LBB1208_7
; %bb.6:                                ;   in Loop: Header=BB1208_3 Depth=1
	global_load_dwordx4 v[24:27], v[10:11], off
	s_waitcnt vmcnt(0)
	ds_write2_b64 v21, v[24:25], v[26:27] offset1:1
.LBB1208_7:                             ;   in Loop: Header=BB1208_3 Depth=1
	s_or_b64 exec, exec, s[10:11]
	v_mov_b32_e32 v4, s3
	v_add_co_u32_e32 v3, vcc, s2, v0
	v_addc_co_u32_e32 v4, vcc, 0, v4, vcc
	v_cmp_le_i64_e32 vcc, s[12:13], v[3:4]
	s_or_b64 s[10:11], s[0:1], vcc
	s_and_saveexec_b64 s[18:19], s[10:11]
	s_xor_b64 s[10:11], exec, s[18:19]
; %bb.8:                                ;   in Loop: Header=BB1208_3 Depth=1
	v_mov_b32_e32 v3, v2
	v_mov_b32_e32 v4, v2
	;; [unrolled: 1-line block ×3, first 2 shown]
	ds_write_b128 v23, v[2:5]
; %bb.9:                                ;   in Loop: Header=BB1208_3 Depth=1
	s_andn2_saveexec_b64 s[10:11], s[10:11]
	s_cbranch_execz .LBB1208_2
; %bb.10:                               ;   in Loop: Header=BB1208_3 Depth=1
	global_load_dwordx4 v[24:27], v[8:9], off
	s_waitcnt vmcnt(0)
	ds_write2_b64 v23, v[24:25], v[26:27] offset1:1
	s_branch .LBB1208_2
.LBB1208_11:
	v_mov_b32_e32 v14, 0
	v_mov_b32_e32 v16, 0
	;; [unrolled: 1-line block ×4, first 2 shown]
.LBB1208_12:
	v_cmp_le_i32_e32 vcc, v6, v18
	v_cmp_gt_i32_e64 s[0:1], s9, v18
	s_and_b64 s[0:1], vcc, s[0:1]
	s_and_saveexec_b64 s[2:3], s[0:1]
	s_cbranch_execz .LBB1208_14
; %bb.13:
	s_load_dwordx2 s[6:7], s[4:5], 0x70
	s_load_dwordx4 s[0:3], s[4:5], 0x60
	v_mul_f64 v[0:1], s[16:17], v[14:15]
	v_mul_f64 v[2:3], s[14:15], v[14:15]
	s_waitcnt lgkmcnt(0)
	s_mul_i32 s5, s7, s8
	v_mul_lo_u32 v8, s3, v18
	v_mul_lo_u32 v9, s2, v19
	v_mad_u64_u32 v[4:5], s[2:3], s2, v18, 0
	s_mul_hi_u32 s7, s6, s8
	s_mul_i32 s4, s6, s8
	s_add_i32 s5, s7, s5
	s_lshl_b64 s[4:5], s[4:5], 4
	v_fma_f64 v[0:1], s[14:15], v[16:17], -v[0:1]
	v_fma_f64 v[2:3], s[16:17], v[16:17], v[2:3]
	v_add3_u32 v5, v5, v9, v8
	s_add_u32 s0, s0, s4
	v_lshlrev_b64 v[4:5], 4, v[4:5]
	s_addc_u32 s1, s1, s5
	v_mov_b32_e32 v8, s1
	v_add_co_u32_e32 v9, vcc, s0, v4
	v_addc_co_u32_e32 v8, vcc, v8, v5, vcc
	v_lshlrev_b64 v[4:5], 4, v[6:7]
	v_add_co_u32_e32 v4, vcc, v9, v4
	v_addc_co_u32_e32 v5, vcc, v8, v5, vcc
	global_store_dwordx4 v[4:5], v[0:3], off
.LBB1208_14:
	s_endpgm
	.section	.rodata,"a",@progbits
	.p2align	6, 0x0
	.amdhsa_kernel _ZL32rocblas_syrkx_herkx_small_kernelIl19rocblas_complex_numIdELi16ELb1ELb0ELc84ELc85EKS1_S1_EviT_T0_PT6_S3_lS6_S3_lS4_PT7_S3_li
		.amdhsa_group_segment_fixed_size 8192
		.amdhsa_private_segment_fixed_size 0
		.amdhsa_kernarg_size 124
		.amdhsa_user_sgpr_count 6
		.amdhsa_user_sgpr_private_segment_buffer 1
		.amdhsa_user_sgpr_dispatch_ptr 0
		.amdhsa_user_sgpr_queue_ptr 0
		.amdhsa_user_sgpr_kernarg_segment_ptr 1
		.amdhsa_user_sgpr_dispatch_id 0
		.amdhsa_user_sgpr_flat_scratch_init 0
		.amdhsa_user_sgpr_private_segment_size 0
		.amdhsa_uses_dynamic_stack 0
		.amdhsa_system_sgpr_private_segment_wavefront_offset 0
		.amdhsa_system_sgpr_workgroup_id_x 1
		.amdhsa_system_sgpr_workgroup_id_y 1
		.amdhsa_system_sgpr_workgroup_id_z 1
		.amdhsa_system_sgpr_workgroup_info 0
		.amdhsa_system_vgpr_workitem_id 1
		.amdhsa_next_free_vgpr 44
		.amdhsa_next_free_sgpr 61
		.amdhsa_reserve_vcc 1
		.amdhsa_reserve_flat_scratch 0
		.amdhsa_float_round_mode_32 0
		.amdhsa_float_round_mode_16_64 0
		.amdhsa_float_denorm_mode_32 3
		.amdhsa_float_denorm_mode_16_64 3
		.amdhsa_dx10_clamp 1
		.amdhsa_ieee_mode 1
		.amdhsa_fp16_overflow 0
		.amdhsa_exception_fp_ieee_invalid_op 0
		.amdhsa_exception_fp_denorm_src 0
		.amdhsa_exception_fp_ieee_div_zero 0
		.amdhsa_exception_fp_ieee_overflow 0
		.amdhsa_exception_fp_ieee_underflow 0
		.amdhsa_exception_fp_ieee_inexact 0
		.amdhsa_exception_int_div_zero 0
	.end_amdhsa_kernel
	.section	.text._ZL32rocblas_syrkx_herkx_small_kernelIl19rocblas_complex_numIdELi16ELb1ELb0ELc84ELc85EKS1_S1_EviT_T0_PT6_S3_lS6_S3_lS4_PT7_S3_li,"axG",@progbits,_ZL32rocblas_syrkx_herkx_small_kernelIl19rocblas_complex_numIdELi16ELb1ELb0ELc84ELc85EKS1_S1_EviT_T0_PT6_S3_lS6_S3_lS4_PT7_S3_li,comdat
.Lfunc_end1208:
	.size	_ZL32rocblas_syrkx_herkx_small_kernelIl19rocblas_complex_numIdELi16ELb1ELb0ELc84ELc85EKS1_S1_EviT_T0_PT6_S3_lS6_S3_lS4_PT7_S3_li, .Lfunc_end1208-_ZL32rocblas_syrkx_herkx_small_kernelIl19rocblas_complex_numIdELi16ELb1ELb0ELc84ELc85EKS1_S1_EviT_T0_PT6_S3_lS6_S3_lS4_PT7_S3_li
                                        ; -- End function
	.set _ZL32rocblas_syrkx_herkx_small_kernelIl19rocblas_complex_numIdELi16ELb1ELb0ELc84ELc85EKS1_S1_EviT_T0_PT6_S3_lS6_S3_lS4_PT7_S3_li.num_vgpr, 44
	.set _ZL32rocblas_syrkx_herkx_small_kernelIl19rocblas_complex_numIdELi16ELb1ELb0ELc84ELc85EKS1_S1_EviT_T0_PT6_S3_lS6_S3_lS4_PT7_S3_li.num_agpr, 0
	.set _ZL32rocblas_syrkx_herkx_small_kernelIl19rocblas_complex_numIdELi16ELb1ELb0ELc84ELc85EKS1_S1_EviT_T0_PT6_S3_lS6_S3_lS4_PT7_S3_li.numbered_sgpr, 28
	.set _ZL32rocblas_syrkx_herkx_small_kernelIl19rocblas_complex_numIdELi16ELb1ELb0ELc84ELc85EKS1_S1_EviT_T0_PT6_S3_lS6_S3_lS4_PT7_S3_li.num_named_barrier, 0
	.set _ZL32rocblas_syrkx_herkx_small_kernelIl19rocblas_complex_numIdELi16ELb1ELb0ELc84ELc85EKS1_S1_EviT_T0_PT6_S3_lS6_S3_lS4_PT7_S3_li.private_seg_size, 0
	.set _ZL32rocblas_syrkx_herkx_small_kernelIl19rocblas_complex_numIdELi16ELb1ELb0ELc84ELc85EKS1_S1_EviT_T0_PT6_S3_lS6_S3_lS4_PT7_S3_li.uses_vcc, 1
	.set _ZL32rocblas_syrkx_herkx_small_kernelIl19rocblas_complex_numIdELi16ELb1ELb0ELc84ELc85EKS1_S1_EviT_T0_PT6_S3_lS6_S3_lS4_PT7_S3_li.uses_flat_scratch, 0
	.set _ZL32rocblas_syrkx_herkx_small_kernelIl19rocblas_complex_numIdELi16ELb1ELb0ELc84ELc85EKS1_S1_EviT_T0_PT6_S3_lS6_S3_lS4_PT7_S3_li.has_dyn_sized_stack, 0
	.set _ZL32rocblas_syrkx_herkx_small_kernelIl19rocblas_complex_numIdELi16ELb1ELb0ELc84ELc85EKS1_S1_EviT_T0_PT6_S3_lS6_S3_lS4_PT7_S3_li.has_recursion, 0
	.set _ZL32rocblas_syrkx_herkx_small_kernelIl19rocblas_complex_numIdELi16ELb1ELb0ELc84ELc85EKS1_S1_EviT_T0_PT6_S3_lS6_S3_lS4_PT7_S3_li.has_indirect_call, 0
	.section	.AMDGPU.csdata,"",@progbits
; Kernel info:
; codeLenInByte = 1896
; TotalNumSgprs: 32
; NumVgprs: 44
; ScratchSize: 0
; MemoryBound: 0
; FloatMode: 240
; IeeeMode: 1
; LDSByteSize: 8192 bytes/workgroup (compile time only)
; SGPRBlocks: 8
; VGPRBlocks: 10
; NumSGPRsForWavesPerEU: 65
; NumVGPRsForWavesPerEU: 44
; Occupancy: 5
; WaveLimiterHint : 0
; COMPUTE_PGM_RSRC2:SCRATCH_EN: 0
; COMPUTE_PGM_RSRC2:USER_SGPR: 6
; COMPUTE_PGM_RSRC2:TRAP_HANDLER: 0
; COMPUTE_PGM_RSRC2:TGID_X_EN: 1
; COMPUTE_PGM_RSRC2:TGID_Y_EN: 1
; COMPUTE_PGM_RSRC2:TGID_Z_EN: 1
; COMPUTE_PGM_RSRC2:TIDIG_COMP_CNT: 1
	.section	.text._ZL32rocblas_syrkx_herkx_small_kernelIl19rocblas_complex_numIdELi16ELb1ELb0ELc67ELc85EKS1_S1_EviT_T0_PT6_S3_lS6_S3_lS4_PT7_S3_li,"axG",@progbits,_ZL32rocblas_syrkx_herkx_small_kernelIl19rocblas_complex_numIdELi16ELb1ELb0ELc67ELc85EKS1_S1_EviT_T0_PT6_S3_lS6_S3_lS4_PT7_S3_li,comdat
	.globl	_ZL32rocblas_syrkx_herkx_small_kernelIl19rocblas_complex_numIdELi16ELb1ELb0ELc67ELc85EKS1_S1_EviT_T0_PT6_S3_lS6_S3_lS4_PT7_S3_li ; -- Begin function _ZL32rocblas_syrkx_herkx_small_kernelIl19rocblas_complex_numIdELi16ELb1ELb0ELc67ELc85EKS1_S1_EviT_T0_PT6_S3_lS6_S3_lS4_PT7_S3_li
	.p2align	8
	.type	_ZL32rocblas_syrkx_herkx_small_kernelIl19rocblas_complex_numIdELi16ELb1ELb0ELc67ELc85EKS1_S1_EviT_T0_PT6_S3_lS6_S3_lS4_PT7_S3_li,@function
_ZL32rocblas_syrkx_herkx_small_kernelIl19rocblas_complex_numIdELi16ELb1ELb0ELc67ELc85EKS1_S1_EviT_T0_PT6_S3_lS6_S3_lS4_PT7_S3_li: ; @_ZL32rocblas_syrkx_herkx_small_kernelIl19rocblas_complex_numIdELi16ELb1ELb0ELc67ELc85EKS1_S1_EviT_T0_PT6_S3_lS6_S3_lS4_PT7_S3_li
; %bb.0:
	s_load_dwordx16 s[12:27], s[4:5], 0x8
	s_load_dword s9, s[4:5], 0x0
	v_lshl_add_u32 v7, s6, 4, v0
	v_lshl_add_u32 v19, s7, 4, v1
	v_ashrrev_i32_e32 v8, 31, v7
	s_waitcnt lgkmcnt(0)
	v_cmp_lt_i64_e64 s[0:1], s[12:13], 1
	v_cmp_gt_i32_e64 s[2:3], s9, v19
	s_and_b64 vcc, exec, s[0:1]
	v_ashrrev_i32_e32 v20, 31, v19
	s_cbranch_vccnz .LBB1209_9
; %bb.1:
	s_load_dwordx2 s[6:7], s[4:5], 0x48
	v_mul_lo_u32 v6, s27, v19
	v_mul_lo_u32 v9, s26, v20
	v_mad_u64_u32 v[3:4], s[10:11], s26, v19, 0
	s_waitcnt lgkmcnt(0)
	s_mul_i32 s7, s7, s8
	s_mul_hi_u32 s10, s6, s8
	v_add3_u32 v4, v4, v9, v6
	v_lshlrev_b64 v[3:4], 4, v[3:4]
	s_add_i32 s7, s10, s7
	s_mul_i32 s6, s6, s8
	v_lshlrev_b32_e32 v5, 8, v1
	v_lshlrev_b32_e32 v21, 4, v0
	s_lshl_b64 s[6:7], s[6:7], 4
	v_add_u32_e32 v22, v21, v5
	v_add_u32_e32 v23, 0x1000, v5
	v_mov_b32_e32 v5, s7
	v_add_co_u32_e32 v3, vcc, s6, v3
	v_addc_co_u32_e32 v4, vcc, v4, v5, vcc
	v_add_co_u32_e32 v5, vcc, v3, v21
	v_addc_co_u32_e32 v6, vcc, 0, v4, vcc
	v_mul_lo_u32 v11, s21, v7
	v_mul_lo_u32 v12, s20, v8
	v_mad_u64_u32 v[3:4], s[6:7], s20, v7, 0
	s_mul_i32 s6, s23, s8
	s_mul_hi_u32 s7, s22, s8
	v_add3_u32 v4, v4, v12, v11
	v_mov_b32_e32 v10, s25
	v_add_co_u32_e32 v9, vcc, s24, v5
	v_lshlrev_b64 v[3:4], 4, v[3:4]
	s_add_i32 s7, s7, s6
	s_mul_i32 s6, s22, s8
	v_addc_co_u32_e32 v10, vcc, v10, v6, vcc
	s_lshl_b64 s[6:7], s[6:7], 4
	v_mov_b32_e32 v5, s7
	v_add_co_u32_e32 v3, vcc, s6, v3
	v_addc_co_u32_e32 v4, vcc, v4, v5, vcc
	v_lshlrev_b32_e32 v5, 4, v1
	v_add_co_u32_e32 v3, vcc, v3, v5
	v_addc_co_u32_e32 v4, vcc, 0, v4, vcc
	v_mov_b32_e32 v5, s19
	v_add_co_u32_e32 v3, vcc, s18, v3
	v_addc_co_u32_e32 v4, vcc, v5, v4, vcc
	v_add_co_u32_e32 v11, vcc, 8, v3
	v_mov_b32_e32 v15, 0
	v_mov_b32_e32 v17, 0
	;; [unrolled: 1-line block ×4, first 2 shown]
	v_cmp_gt_i32_e64 s[0:1], s9, v7
	v_add_u32_e32 v24, v23, v21
	v_addc_co_u32_e32 v12, vcc, 0, v4, vcc
	v_mov_b32_e32 v16, 0
	s_mov_b64 s[6:7], 0
	s_xor_b64 s[10:11], s[2:3], -1
	v_mov_b32_e32 v18, 0
	v_mov_b32_e32 v13, s12
	s_branch .LBB1209_3
.LBB1209_2:                             ;   in Loop: Header=BB1209_3 Depth=1
	s_or_b64 exec, exec, s[2:3]
	s_waitcnt lgkmcnt(0)
	s_barrier
	ds_read_b128 v[3:6], v21
	ds_read_b128 v[25:28], v23
	ds_read_b128 v[29:32], v23 offset:16
	ds_read_b128 v[33:36], v21 offset:256
	s_add_u32 s6, s6, 16
	v_add_co_u32_e32 v9, vcc, 0x100, v9
	s_waitcnt lgkmcnt(2)
	v_mul_f64 v[39:40], v[27:28], v[5:6]
	v_mul_f64 v[5:6], v[25:26], v[5:6]
	s_waitcnt lgkmcnt(0)
	v_mul_f64 v[43:44], v[31:32], v[35:36]
	v_mul_f64 v[45:46], v[29:30], v[35:36]
	ds_read_b128 v[35:38], v21 offset:512
	s_addc_u32 s7, s7, 0
	v_addc_co_u32_e32 v10, vcc, 0, v10, vcc
	v_fma_f64 v[47:48], v[25:26], v[3:4], -v[39:40]
	v_fma_f64 v[49:50], v[27:28], v[3:4], v[5:6]
	ds_read_b128 v[3:6], v23 offset:32
	ds_read_b128 v[25:28], v23 offset:48
	;; [unrolled: 1-line block ×3, first 2 shown]
	v_fma_f64 v[29:30], v[29:30], v[33:34], -v[43:44]
	v_fma_f64 v[31:32], v[31:32], v[33:34], v[45:46]
	s_waitcnt lgkmcnt(2)
	v_mul_f64 v[33:34], v[5:6], v[37:38]
	v_mul_f64 v[37:38], v[3:4], v[37:38]
	v_add_co_u32_e32 v11, vcc, 0x100, v11
	v_add_f64 v[43:44], v[17:18], v[47:48]
	v_add_f64 v[45:46], v[15:16], v[49:50]
	s_waitcnt lgkmcnt(0)
	v_mul_f64 v[47:48], v[27:28], v[41:42]
	v_mul_f64 v[41:42], v[25:26], v[41:42]
	v_fma_f64 v[49:50], v[3:4], v[35:36], -v[33:34]
	v_fma_f64 v[37:38], v[5:6], v[35:36], v[37:38]
	ds_read_b128 v[15:18], v21 offset:1024
	v_cmp_ge_i64_e64 s[2:3], s[6:7], v[13:14]
	v_add_f64 v[43:44], v[43:44], v[29:30]
	v_add_f64 v[45:46], v[45:46], v[31:32]
	ds_read_b128 v[3:6], v23 offset:64
	ds_read_b128 v[29:32], v23 offset:80
	;; [unrolled: 1-line block ×3, first 2 shown]
	v_fma_f64 v[47:48], v[25:26], v[39:40], -v[47:48]
	v_fma_f64 v[39:40], v[27:28], v[39:40], v[41:42]
	s_waitcnt lgkmcnt(2)
	v_mul_f64 v[41:42], v[5:6], v[17:18]
	v_mul_f64 v[17:18], v[3:4], v[17:18]
	ds_read_b128 v[25:28], v21 offset:1536
	v_add_f64 v[43:44], v[43:44], v[49:50]
	v_add_f64 v[37:38], v[45:46], v[37:38]
	s_waitcnt lgkmcnt(1)
	v_mul_f64 v[45:46], v[31:32], v[35:36]
	v_mul_f64 v[49:50], v[29:30], v[35:36]
	v_addc_co_u32_e32 v12, vcc, 0, v12, vcc
	v_fma_f64 v[41:42], v[3:4], v[15:16], -v[41:42]
	v_fma_f64 v[51:52], v[5:6], v[15:16], v[17:18]
	v_add_f64 v[43:44], v[43:44], v[47:48]
	v_add_f64 v[39:40], v[37:38], v[39:40]
	ds_read_b128 v[3:6], v23 offset:96
	ds_read_b128 v[15:18], v23 offset:112
	;; [unrolled: 1-line block ×3, first 2 shown]
	v_fma_f64 v[45:46], v[29:30], v[33:34], -v[45:46]
	v_fma_f64 v[31:32], v[31:32], v[33:34], v[49:50]
	s_waitcnt lgkmcnt(2)
	v_mul_f64 v[33:34], v[5:6], v[27:28]
	v_mul_f64 v[47:48], v[3:4], v[27:28]
	s_waitcnt lgkmcnt(0)
	v_mul_f64 v[49:50], v[15:16], v[37:38]
	v_add_f64 v[41:42], v[43:44], v[41:42]
	v_add_f64 v[39:40], v[39:40], v[51:52]
	v_mul_f64 v[43:44], v[17:18], v[37:38]
	ds_read_b128 v[27:30], v21 offset:2048
	s_and_b64 vcc, exec, s[2:3]
	v_fma_f64 v[51:52], v[3:4], v[25:26], -v[33:34]
	v_fma_f64 v[25:26], v[5:6], v[25:26], v[47:48]
	v_add_f64 v[41:42], v[41:42], v[45:46]
	v_add_f64 v[45:46], v[39:40], v[31:32]
	ds_read_b128 v[3:6], v23 offset:128
	ds_read_b128 v[31:34], v23 offset:144
	;; [unrolled: 1-line block ×3, first 2 shown]
	v_fma_f64 v[43:44], v[15:16], v[35:36], -v[43:44]
	v_fma_f64 v[35:36], v[17:18], v[35:36], v[49:50]
	s_waitcnt lgkmcnt(2)
	v_mul_f64 v[47:48], v[5:6], v[29:30]
	v_mul_f64 v[29:30], v[3:4], v[29:30]
	s_waitcnt lgkmcnt(0)
	v_mul_f64 v[49:50], v[31:32], v[39:40]
	v_add_f64 v[41:42], v[41:42], v[51:52]
	v_add_f64 v[25:26], v[45:46], v[25:26]
	v_mul_f64 v[45:46], v[33:34], v[39:40]
	ds_read_b128 v[15:18], v21 offset:2560
	v_fma_f64 v[47:48], v[3:4], v[27:28], -v[47:48]
	v_fma_f64 v[29:30], v[5:6], v[27:28], v[29:30]
	v_fma_f64 v[33:34], v[33:34], v[37:38], v[49:50]
	v_add_f64 v[43:44], v[41:42], v[43:44]
	v_add_f64 v[35:36], v[25:26], v[35:36]
	ds_read_b128 v[3:6], v23 offset:160
	ds_read_b128 v[25:28], v23 offset:176
	;; [unrolled: 1-line block ×3, first 2 shown]
	v_fma_f64 v[45:46], v[31:32], v[37:38], -v[45:46]
	s_waitcnt lgkmcnt(2)
	v_mul_f64 v[37:38], v[5:6], v[17:18]
	v_mul_f64 v[17:18], v[3:4], v[17:18]
	v_add_f64 v[43:44], v[43:44], v[47:48]
	v_add_f64 v[35:36], v[35:36], v[29:30]
	s_waitcnt lgkmcnt(0)
	v_mul_f64 v[47:48], v[27:28], v[41:42]
	v_mul_f64 v[41:42], v[25:26], v[41:42]
	ds_read_b128 v[29:32], v21 offset:3072
	v_fma_f64 v[37:38], v[3:4], v[15:16], -v[37:38]
	v_fma_f64 v[49:50], v[5:6], v[15:16], v[17:18]
	v_add_f64 v[43:44], v[43:44], v[45:46]
	v_add_f64 v[45:46], v[35:36], v[33:34]
	ds_read_b128 v[3:6], v23 offset:192
	ds_read_b128 v[15:18], v23 offset:208
	;; [unrolled: 1-line block ×3, first 2 shown]
	v_fma_f64 v[47:48], v[25:26], v[39:40], -v[47:48]
	v_fma_f64 v[39:40], v[27:28], v[39:40], v[41:42]
	s_waitcnt lgkmcnt(2)
	v_mul_f64 v[41:42], v[5:6], v[31:32]
	v_mul_f64 v[31:32], v[3:4], v[31:32]
	ds_read_b128 v[25:28], v21 offset:3584
	v_add_f64 v[37:38], v[43:44], v[37:38]
	v_add_f64 v[43:44], v[45:46], v[49:50]
	s_waitcnt lgkmcnt(1)
	v_mul_f64 v[45:46], v[17:18], v[35:36]
	v_mul_f64 v[49:50], v[15:16], v[35:36]
	v_fma_f64 v[41:42], v[3:4], v[29:30], -v[41:42]
	v_fma_f64 v[51:52], v[5:6], v[29:30], v[31:32]
	v_add_f64 v[47:48], v[37:38], v[47:48]
	v_add_f64 v[39:40], v[43:44], v[39:40]
	ds_read_b128 v[3:6], v23 offset:224
	ds_read_b128 v[29:32], v23 offset:240
	;; [unrolled: 1-line block ×3, first 2 shown]
	v_fma_f64 v[15:16], v[15:16], v[33:34], -v[45:46]
	v_fma_f64 v[17:18], v[17:18], v[33:34], v[49:50]
	s_waitcnt lgkmcnt(2)
	v_mul_f64 v[33:34], v[5:6], v[27:28]
	v_mul_f64 v[27:28], v[3:4], v[27:28]
	s_waitcnt lgkmcnt(0)
	v_mul_f64 v[43:44], v[31:32], v[37:38]
	v_add_f64 v[41:42], v[47:48], v[41:42]
	v_add_f64 v[39:40], v[39:40], v[51:52]
	v_mul_f64 v[37:38], v[29:30], v[37:38]
	s_barrier
	v_fma_f64 v[3:4], v[3:4], v[25:26], -v[33:34]
	v_fma_f64 v[5:6], v[5:6], v[25:26], v[27:28]
	v_fma_f64 v[25:26], v[29:30], v[35:36], -v[43:44]
	v_add_f64 v[15:16], v[41:42], v[15:16]
	v_add_f64 v[17:18], v[39:40], v[17:18]
	v_fma_f64 v[27:28], v[31:32], v[35:36], v[37:38]
	v_add_f64 v[3:4], v[15:16], v[3:4]
	v_add_f64 v[5:6], v[17:18], v[5:6]
	;; [unrolled: 1-line block ×4, first 2 shown]
	s_cbranch_vccnz .LBB1209_10
.LBB1209_3:                             ; =>This Inner Loop Header: Depth=1
	v_mov_b32_e32 v4, s7
	v_add_co_u32_e32 v3, vcc, s6, v1
	v_addc_co_u32_e32 v4, vcc, 0, v4, vcc
	v_cmp_gt_i64_e32 vcc, s[12:13], v[3:4]
	v_mov_b32_e32 v3, 0
	v_mov_b32_e32 v5, 0
	;; [unrolled: 1-line block ×4, first 2 shown]
	s_and_b64 s[18:19], s[0:1], vcc
	s_and_saveexec_b64 s[2:3], s[18:19]
	s_cbranch_execz .LBB1209_5
; %bb.4:                                ;   in Loop: Header=BB1209_3 Depth=1
	global_load_dwordx4 v[3:6], v[11:12], off offset:-8
.LBB1209_5:                             ;   in Loop: Header=BB1209_3 Depth=1
	s_or_b64 exec, exec, s[2:3]
	v_mov_b32_e32 v26, s7
	v_add_co_u32_e32 v25, vcc, s6, v0
	v_addc_co_u32_e32 v26, vcc, 0, v26, vcc
	v_cmp_le_i64_e32 vcc, s[12:13], v[25:26]
	s_waitcnt vmcnt(0)
	ds_write_b128 v22, v[3:6]
	s_or_b64 s[2:3], s[10:11], vcc
	s_and_saveexec_b64 s[18:19], s[2:3]
	s_xor_b64 s[2:3], exec, s[18:19]
; %bb.6:                                ;   in Loop: Header=BB1209_3 Depth=1
	v_mov_b32_e32 v3, v2
	v_mov_b32_e32 v4, v2
	;; [unrolled: 1-line block ×3, first 2 shown]
	ds_write_b128 v24, v[2:5]
; %bb.7:                                ;   in Loop: Header=BB1209_3 Depth=1
	s_andn2_saveexec_b64 s[2:3], s[2:3]
	s_cbranch_execz .LBB1209_2
; %bb.8:                                ;   in Loop: Header=BB1209_3 Depth=1
	global_load_dwordx4 v[3:6], v[9:10], off
	s_waitcnt vmcnt(0)
	ds_write2_b64 v24, v[3:4], v[5:6] offset1:1
	s_branch .LBB1209_2
.LBB1209_9:
	v_mov_b32_e32 v15, 0
	v_mov_b32_e32 v17, 0
	;; [unrolled: 1-line block ×4, first 2 shown]
.LBB1209_10:
	v_cmp_le_i32_e32 vcc, v7, v19
	v_cmp_gt_i32_e64 s[0:1], s9, v19
	s_and_b64 s[0:1], vcc, s[0:1]
	s_and_saveexec_b64 s[2:3], s[0:1]
	s_cbranch_execz .LBB1209_12
; %bb.11:
	s_load_dwordx2 s[6:7], s[4:5], 0x70
	s_load_dwordx4 s[0:3], s[4:5], 0x60
	v_mul_f64 v[0:1], s[16:17], v[15:16]
	v_mul_f64 v[2:3], s[14:15], v[15:16]
	s_waitcnt lgkmcnt(0)
	s_mul_i32 s5, s7, s8
	v_mul_lo_u32 v6, s3, v19
	v_mul_lo_u32 v9, s2, v20
	v_mad_u64_u32 v[4:5], s[2:3], s2, v19, 0
	s_mul_hi_u32 s7, s6, s8
	s_mul_i32 s4, s6, s8
	s_add_i32 s5, s7, s5
	s_lshl_b64 s[4:5], s[4:5], 4
	v_fma_f64 v[0:1], s[14:15], v[17:18], -v[0:1]
	v_fma_f64 v[2:3], s[16:17], v[17:18], v[2:3]
	v_add3_u32 v5, v5, v9, v6
	s_add_u32 s0, s0, s4
	v_lshlrev_b64 v[4:5], 4, v[4:5]
	s_addc_u32 s1, s1, s5
	v_mov_b32_e32 v6, s1
	v_add_co_u32_e32 v9, vcc, s0, v4
	v_addc_co_u32_e32 v6, vcc, v6, v5, vcc
	v_lshlrev_b64 v[4:5], 4, v[7:8]
	v_add_co_u32_e32 v4, vcc, v9, v4
	v_addc_co_u32_e32 v5, vcc, v6, v5, vcc
	global_store_dwordx4 v[4:5], v[0:3], off
.LBB1209_12:
	s_endpgm
	.section	.rodata,"a",@progbits
	.p2align	6, 0x0
	.amdhsa_kernel _ZL32rocblas_syrkx_herkx_small_kernelIl19rocblas_complex_numIdELi16ELb1ELb0ELc67ELc85EKS1_S1_EviT_T0_PT6_S3_lS6_S3_lS4_PT7_S3_li
		.amdhsa_group_segment_fixed_size 8192
		.amdhsa_private_segment_fixed_size 0
		.amdhsa_kernarg_size 124
		.amdhsa_user_sgpr_count 6
		.amdhsa_user_sgpr_private_segment_buffer 1
		.amdhsa_user_sgpr_dispatch_ptr 0
		.amdhsa_user_sgpr_queue_ptr 0
		.amdhsa_user_sgpr_kernarg_segment_ptr 1
		.amdhsa_user_sgpr_dispatch_id 0
		.amdhsa_user_sgpr_flat_scratch_init 0
		.amdhsa_user_sgpr_private_segment_size 0
		.amdhsa_uses_dynamic_stack 0
		.amdhsa_system_sgpr_private_segment_wavefront_offset 0
		.amdhsa_system_sgpr_workgroup_id_x 1
		.amdhsa_system_sgpr_workgroup_id_y 1
		.amdhsa_system_sgpr_workgroup_id_z 1
		.amdhsa_system_sgpr_workgroup_info 0
		.amdhsa_system_vgpr_workitem_id 1
		.amdhsa_next_free_vgpr 53
		.amdhsa_next_free_sgpr 61
		.amdhsa_reserve_vcc 1
		.amdhsa_reserve_flat_scratch 0
		.amdhsa_float_round_mode_32 0
		.amdhsa_float_round_mode_16_64 0
		.amdhsa_float_denorm_mode_32 3
		.amdhsa_float_denorm_mode_16_64 3
		.amdhsa_dx10_clamp 1
		.amdhsa_ieee_mode 1
		.amdhsa_fp16_overflow 0
		.amdhsa_exception_fp_ieee_invalid_op 0
		.amdhsa_exception_fp_denorm_src 0
		.amdhsa_exception_fp_ieee_div_zero 0
		.amdhsa_exception_fp_ieee_overflow 0
		.amdhsa_exception_fp_ieee_underflow 0
		.amdhsa_exception_fp_ieee_inexact 0
		.amdhsa_exception_int_div_zero 0
	.end_amdhsa_kernel
	.section	.text._ZL32rocblas_syrkx_herkx_small_kernelIl19rocblas_complex_numIdELi16ELb1ELb0ELc67ELc85EKS1_S1_EviT_T0_PT6_S3_lS6_S3_lS4_PT7_S3_li,"axG",@progbits,_ZL32rocblas_syrkx_herkx_small_kernelIl19rocblas_complex_numIdELi16ELb1ELb0ELc67ELc85EKS1_S1_EviT_T0_PT6_S3_lS6_S3_lS4_PT7_S3_li,comdat
.Lfunc_end1209:
	.size	_ZL32rocblas_syrkx_herkx_small_kernelIl19rocblas_complex_numIdELi16ELb1ELb0ELc67ELc85EKS1_S1_EviT_T0_PT6_S3_lS6_S3_lS4_PT7_S3_li, .Lfunc_end1209-_ZL32rocblas_syrkx_herkx_small_kernelIl19rocblas_complex_numIdELi16ELb1ELb0ELc67ELc85EKS1_S1_EviT_T0_PT6_S3_lS6_S3_lS4_PT7_S3_li
                                        ; -- End function
	.set _ZL32rocblas_syrkx_herkx_small_kernelIl19rocblas_complex_numIdELi16ELb1ELb0ELc67ELc85EKS1_S1_EviT_T0_PT6_S3_lS6_S3_lS4_PT7_S3_li.num_vgpr, 53
	.set _ZL32rocblas_syrkx_herkx_small_kernelIl19rocblas_complex_numIdELi16ELb1ELb0ELc67ELc85EKS1_S1_EviT_T0_PT6_S3_lS6_S3_lS4_PT7_S3_li.num_agpr, 0
	.set _ZL32rocblas_syrkx_herkx_small_kernelIl19rocblas_complex_numIdELi16ELb1ELb0ELc67ELc85EKS1_S1_EviT_T0_PT6_S3_lS6_S3_lS4_PT7_S3_li.numbered_sgpr, 28
	.set _ZL32rocblas_syrkx_herkx_small_kernelIl19rocblas_complex_numIdELi16ELb1ELb0ELc67ELc85EKS1_S1_EviT_T0_PT6_S3_lS6_S3_lS4_PT7_S3_li.num_named_barrier, 0
	.set _ZL32rocblas_syrkx_herkx_small_kernelIl19rocblas_complex_numIdELi16ELb1ELb0ELc67ELc85EKS1_S1_EviT_T0_PT6_S3_lS6_S3_lS4_PT7_S3_li.private_seg_size, 0
	.set _ZL32rocblas_syrkx_herkx_small_kernelIl19rocblas_complex_numIdELi16ELb1ELb0ELc67ELc85EKS1_S1_EviT_T0_PT6_S3_lS6_S3_lS4_PT7_S3_li.uses_vcc, 1
	.set _ZL32rocblas_syrkx_herkx_small_kernelIl19rocblas_complex_numIdELi16ELb1ELb0ELc67ELc85EKS1_S1_EviT_T0_PT6_S3_lS6_S3_lS4_PT7_S3_li.uses_flat_scratch, 0
	.set _ZL32rocblas_syrkx_herkx_small_kernelIl19rocblas_complex_numIdELi16ELb1ELb0ELc67ELc85EKS1_S1_EviT_T0_PT6_S3_lS6_S3_lS4_PT7_S3_li.has_dyn_sized_stack, 0
	.set _ZL32rocblas_syrkx_herkx_small_kernelIl19rocblas_complex_numIdELi16ELb1ELb0ELc67ELc85EKS1_S1_EviT_T0_PT6_S3_lS6_S3_lS4_PT7_S3_li.has_recursion, 0
	.set _ZL32rocblas_syrkx_herkx_small_kernelIl19rocblas_complex_numIdELi16ELb1ELb0ELc67ELc85EKS1_S1_EviT_T0_PT6_S3_lS6_S3_lS4_PT7_S3_li.has_indirect_call, 0
	.section	.AMDGPU.csdata,"",@progbits
; Kernel info:
; codeLenInByte = 1848
; TotalNumSgprs: 32
; NumVgprs: 53
; ScratchSize: 0
; MemoryBound: 1
; FloatMode: 240
; IeeeMode: 1
; LDSByteSize: 8192 bytes/workgroup (compile time only)
; SGPRBlocks: 8
; VGPRBlocks: 13
; NumSGPRsForWavesPerEU: 65
; NumVGPRsForWavesPerEU: 53
; Occupancy: 4
; WaveLimiterHint : 0
; COMPUTE_PGM_RSRC2:SCRATCH_EN: 0
; COMPUTE_PGM_RSRC2:USER_SGPR: 6
; COMPUTE_PGM_RSRC2:TRAP_HANDLER: 0
; COMPUTE_PGM_RSRC2:TGID_X_EN: 1
; COMPUTE_PGM_RSRC2:TGID_Y_EN: 1
; COMPUTE_PGM_RSRC2:TGID_Z_EN: 1
; COMPUTE_PGM_RSRC2:TIDIG_COMP_CNT: 1
	.section	.text._ZL32rocblas_syrkx_herkx_small_kernelIl19rocblas_complex_numIdELi16ELb1ELb0ELc78ELc85EKS1_S1_EviT_T0_PT6_S3_lS6_S3_lS4_PT7_S3_li,"axG",@progbits,_ZL32rocblas_syrkx_herkx_small_kernelIl19rocblas_complex_numIdELi16ELb1ELb0ELc78ELc85EKS1_S1_EviT_T0_PT6_S3_lS6_S3_lS4_PT7_S3_li,comdat
	.globl	_ZL32rocblas_syrkx_herkx_small_kernelIl19rocblas_complex_numIdELi16ELb1ELb0ELc78ELc85EKS1_S1_EviT_T0_PT6_S3_lS6_S3_lS4_PT7_S3_li ; -- Begin function _ZL32rocblas_syrkx_herkx_small_kernelIl19rocblas_complex_numIdELi16ELb1ELb0ELc78ELc85EKS1_S1_EviT_T0_PT6_S3_lS6_S3_lS4_PT7_S3_li
	.p2align	8
	.type	_ZL32rocblas_syrkx_herkx_small_kernelIl19rocblas_complex_numIdELi16ELb1ELb0ELc78ELc85EKS1_S1_EviT_T0_PT6_S3_lS6_S3_lS4_PT7_S3_li,@function
_ZL32rocblas_syrkx_herkx_small_kernelIl19rocblas_complex_numIdELi16ELb1ELb0ELc78ELc85EKS1_S1_EviT_T0_PT6_S3_lS6_S3_lS4_PT7_S3_li: ; @_ZL32rocblas_syrkx_herkx_small_kernelIl19rocblas_complex_numIdELi16ELb1ELb0ELc78ELc85EKS1_S1_EviT_T0_PT6_S3_lS6_S3_lS4_PT7_S3_li
; %bb.0:
	s_load_dwordx16 s[12:27], s[4:5], 0x8
	s_load_dword s9, s[4:5], 0x0
	v_lshl_add_u32 v7, s6, 4, v0
	v_lshl_add_u32 v9, s7, 4, v1
	v_ashrrev_i32_e32 v8, 31, v7
	s_waitcnt lgkmcnt(0)
	v_cmp_lt_i64_e64 s[0:1], s[12:13], 1
	v_ashrrev_i32_e32 v10, 31, v9
	s_and_b64 vcc, exec, s[0:1]
	v_cmp_gt_i32_e64 s[0:1], s9, v9
	s_cbranch_vccnz .LBB1210_9
; %bb.1:
	v_lshlrev_b32_e32 v3, 8, v1
	v_lshlrev_b32_e32 v21, 4, v0
	v_add_u32_e32 v22, v21, v3
	v_add_u32_e32 v23, 0x1000, v3
	v_mad_u64_u32 v[3:4], s[6:7], s26, v0, 0
	s_load_dwordx2 s[2:3], s[4:5], 0x48
	s_mul_hi_u32 s11, s22, s8
	v_mad_u64_u32 v[4:5], s[6:7], s27, v0, v[4:5]
	v_cmp_gt_i32_e32 vcc, s9, v7
	s_waitcnt lgkmcnt(0)
	s_mul_i32 s3, s3, s8
	s_mul_hi_u32 s10, s2, s8
	s_add_i32 s3, s10, s3
	s_mul_i32 s2, s2, s8
	v_lshlrev_b64 v[3:4], 4, v[3:4]
	s_lshl_b64 s[2:3], s[2:3], 4
	v_mov_b32_e32 v5, s3
	v_add_co_u32_e64 v6, s[2:3], s2, v3
	v_addc_co_u32_e64 v5, s[2:3], v5, v4, s[2:3]
	v_lshlrev_b64 v[3:4], 4, v[9:10]
	s_mul_i32 s10, s23, s8
	v_add_co_u32_e64 v3, s[2:3], v6, v3
	v_addc_co_u32_e64 v4, s[2:3], v5, v4, s[2:3]
	v_mov_b32_e32 v5, s25
	v_add_co_u32_e64 v3, s[2:3], s24, v3
	v_addc_co_u32_e64 v4, s[2:3], v5, v4, s[2:3]
	v_add_co_u32_e64 v11, s[2:3], 8, v3
	v_addc_co_u32_e64 v12, s[2:3], 0, v4, s[2:3]
	v_mad_u64_u32 v[3:4], s[2:3], s20, v1, 0
	s_lshl_b64 s[6:7], s[26:27], 8
	v_mov_b32_e32 v17, 0
	v_mad_u64_u32 v[4:5], s[2:3], s21, v1, v[4:5]
	s_add_i32 s3, s11, s10
	s_mul_i32 s2, s22, s8
	v_lshlrev_b64 v[3:4], 4, v[3:4]
	s_lshl_b64 s[2:3], s[2:3], 4
	v_mov_b32_e32 v5, s3
	v_add_co_u32_e64 v6, s[2:3], s2, v3
	v_addc_co_u32_e64 v5, s[2:3], v5, v4, s[2:3]
	v_lshlrev_b64 v[3:4], 4, v[7:8]
	s_lshl_b64 s[10:11], s[20:21], 8
	v_add_co_u32_e64 v3, s[2:3], v6, v3
	v_addc_co_u32_e64 v4, s[2:3], v5, v4, s[2:3]
	v_mov_b32_e32 v5, s19
	v_add_co_u32_e64 v13, s[2:3], s18, v3
	v_mov_b32_e32 v19, 0
	v_mov_b32_e32 v16, s13
	;; [unrolled: 1-line block ×3, first 2 shown]
	v_add_u32_e32 v24, v23, v21
	v_addc_co_u32_e64 v14, s[2:3], v5, v4, s[2:3]
	v_mov_b32_e32 v18, 0
	s_mov_b64 s[18:19], 0
	s_xor_b64 s[20:21], vcc, -1
	v_mov_b32_e32 v25, s7
	v_mov_b32_e32 v26, s11
	;; [unrolled: 1-line block ×4, first 2 shown]
	s_branch .LBB1210_3
.LBB1210_2:                             ;   in Loop: Header=BB1210_3 Depth=1
	s_or_b64 exec, exec, s[2:3]
	s_waitcnt vmcnt(0)
	ds_write_b128 v24, v[3:6]
	s_waitcnt lgkmcnt(0)
	s_barrier
	ds_read_b128 v[3:6], v21
	ds_read_b128 v[27:30], v23
	ds_read_b128 v[31:34], v23 offset:16
	ds_read_b128 v[35:38], v21 offset:256
	s_add_u32 s18, s18, 16
	v_add_co_u32_e32 v11, vcc, s6, v11
	s_waitcnt lgkmcnt(2)
	v_mul_f64 v[39:40], v[29:30], v[5:6]
	v_mul_f64 v[5:6], v[27:28], v[5:6]
	s_waitcnt lgkmcnt(0)
	v_mul_f64 v[41:42], v[33:34], v[37:38]
	v_mul_f64 v[43:44], v[31:32], v[37:38]
	v_addc_co_u32_e32 v12, vcc, v12, v25, vcc
	s_addc_u32 s19, s19, 0
	v_cmp_ge_i64_e32 vcc, s[18:19], v[15:16]
	v_fma_f64 v[45:46], v[27:28], v[3:4], -v[39:40]
	v_fma_f64 v[47:48], v[29:30], v[3:4], v[5:6]
	ds_read_b128 v[3:6], v21 offset:512
	ds_read_b128 v[27:30], v23 offset:32
	;; [unrolled: 1-line block ×3, first 2 shown]
	v_fma_f64 v[41:42], v[31:32], v[35:36], -v[41:42]
	v_fma_f64 v[35:36], v[33:34], v[35:36], v[43:44]
	ds_read_b128 v[31:34], v21 offset:768
	s_waitcnt lgkmcnt(2)
	v_mul_f64 v[43:44], v[29:30], v[5:6]
	v_mul_f64 v[5:6], v[27:28], v[5:6]
	v_add_f64 v[19:20], v[19:20], v[45:46]
	v_add_f64 v[17:18], v[17:18], v[47:48]
	s_waitcnt lgkmcnt(0)
	v_mul_f64 v[45:46], v[39:40], v[33:34]
	v_mul_f64 v[33:34], v[37:38], v[33:34]
	v_add_co_u32_e64 v13, s[2:3], s10, v13
	v_fma_f64 v[43:44], v[27:28], v[3:4], -v[43:44]
	v_fma_f64 v[47:48], v[29:30], v[3:4], v[5:6]
	v_add_f64 v[41:42], v[19:20], v[41:42]
	v_add_f64 v[35:36], v[17:18], v[35:36]
	ds_read_b128 v[3:6], v23 offset:64
	ds_read_b128 v[17:20], v21 offset:1024
	v_fma_f64 v[37:38], v[37:38], v[31:32], -v[45:46]
	v_fma_f64 v[39:40], v[39:40], v[31:32], v[33:34]
	ds_read_b128 v[27:30], v23 offset:80
	ds_read_b128 v[31:34], v21 offset:1280
	v_addc_co_u32_e64 v14, s[2:3], v14, v26, s[2:3]
	s_waitcnt lgkmcnt(2)
	v_mul_f64 v[45:46], v[5:6], v[19:20]
	v_mul_f64 v[19:20], v[3:4], v[19:20]
	v_add_f64 v[41:42], v[41:42], v[43:44]
	v_add_f64 v[35:36], v[35:36], v[47:48]
	s_waitcnt lgkmcnt(0)
	v_mul_f64 v[43:44], v[29:30], v[33:34]
	v_mul_f64 v[33:34], v[27:28], v[33:34]
	s_and_b64 vcc, exec, vcc
	v_fma_f64 v[45:46], v[3:4], v[17:18], -v[45:46]
	v_fma_f64 v[47:48], v[5:6], v[17:18], v[19:20]
	v_add_f64 v[37:38], v[41:42], v[37:38]
	v_add_f64 v[35:36], v[35:36], v[39:40]
	ds_read_b128 v[3:6], v23 offset:96
	ds_read_b128 v[17:20], v21 offset:1536
	v_fma_f64 v[39:40], v[27:28], v[31:32], -v[43:44]
	v_fma_f64 v[41:42], v[29:30], v[31:32], v[33:34]
	ds_read_b128 v[27:30], v23 offset:112
	ds_read_b128 v[31:34], v21 offset:1792
	s_waitcnt lgkmcnt(2)
	v_mul_f64 v[43:44], v[5:6], v[19:20]
	v_mul_f64 v[19:20], v[3:4], v[19:20]
	v_add_f64 v[37:38], v[37:38], v[45:46]
	v_add_f64 v[35:36], v[35:36], v[47:48]
	s_waitcnt lgkmcnt(0)
	v_mul_f64 v[45:46], v[29:30], v[33:34]
	v_mul_f64 v[33:34], v[27:28], v[33:34]
	v_fma_f64 v[43:44], v[3:4], v[17:18], -v[43:44]
	v_fma_f64 v[47:48], v[5:6], v[17:18], v[19:20]
	v_add_f64 v[37:38], v[37:38], v[39:40]
	v_add_f64 v[35:36], v[35:36], v[41:42]
	ds_read_b128 v[3:6], v23 offset:128
	ds_read_b128 v[17:20], v21 offset:2048
	v_fma_f64 v[39:40], v[27:28], v[31:32], -v[45:46]
	v_fma_f64 v[41:42], v[29:30], v[31:32], v[33:34]
	ds_read_b128 v[27:30], v23 offset:144
	ds_read_b128 v[31:34], v21 offset:2304
	s_waitcnt lgkmcnt(2)
	v_mul_f64 v[45:46], v[5:6], v[19:20]
	v_mul_f64 v[19:20], v[3:4], v[19:20]
	v_add_f64 v[37:38], v[37:38], v[43:44]
	v_add_f64 v[35:36], v[35:36], v[47:48]
	s_waitcnt lgkmcnt(0)
	v_mul_f64 v[43:44], v[29:30], v[33:34]
	v_mul_f64 v[33:34], v[27:28], v[33:34]
	;; [unrolled: 18-line block ×4, first 2 shown]
	v_fma_f64 v[45:46], v[3:4], v[17:18], -v[45:46]
	v_fma_f64 v[47:48], v[5:6], v[17:18], v[19:20]
	v_add_f64 v[37:38], v[37:38], v[39:40]
	v_add_f64 v[35:36], v[35:36], v[41:42]
	ds_read_b128 v[3:6], v23 offset:224
	ds_read_b128 v[17:20], v21 offset:3584
	v_fma_f64 v[39:40], v[27:28], v[31:32], -v[43:44]
	v_fma_f64 v[41:42], v[29:30], v[31:32], v[33:34]
	ds_read_b128 v[27:30], v23 offset:240
	ds_read_b128 v[31:34], v21 offset:3840
	s_waitcnt lgkmcnt(0)
	v_mul_f64 v[43:44], v[5:6], v[19:20]
	v_mul_f64 v[19:20], v[3:4], v[19:20]
	v_add_f64 v[37:38], v[37:38], v[45:46]
	v_add_f64 v[35:36], v[35:36], v[47:48]
	v_mul_f64 v[45:46], v[29:30], v[33:34]
	v_mul_f64 v[33:34], v[27:28], v[33:34]
	s_barrier
	v_fma_f64 v[3:4], v[3:4], v[17:18], -v[43:44]
	v_fma_f64 v[5:6], v[5:6], v[17:18], v[19:20]
	v_add_f64 v[17:18], v[37:38], v[39:40]
	v_add_f64 v[19:20], v[35:36], v[41:42]
	v_fma_f64 v[27:28], v[27:28], v[31:32], -v[45:46]
	v_fma_f64 v[29:30], v[29:30], v[31:32], v[33:34]
	v_add_f64 v[3:4], v[17:18], v[3:4]
	v_add_f64 v[5:6], v[19:20], v[5:6]
	;; [unrolled: 1-line block ×4, first 2 shown]
	s_cbranch_vccnz .LBB1210_10
.LBB1210_3:                             ; =>This Inner Loop Header: Depth=1
	v_mov_b32_e32 v4, s19
	v_add_co_u32_e32 v3, vcc, s18, v1
	v_addc_co_u32_e32 v4, vcc, 0, v4, vcc
	v_cmp_le_i64_e32 vcc, s[12:13], v[3:4]
	s_or_b64 s[2:3], s[20:21], vcc
	s_and_saveexec_b64 s[22:23], s[2:3]
	s_xor_b64 s[2:3], exec, s[22:23]
; %bb.4:                                ;   in Loop: Header=BB1210_3 Depth=1
	v_mov_b32_e32 v3, v2
	v_mov_b32_e32 v4, v2
	;; [unrolled: 1-line block ×3, first 2 shown]
	ds_write_b128 v22, v[2:5]
; %bb.5:                                ;   in Loop: Header=BB1210_3 Depth=1
	s_andn2_saveexec_b64 s[2:3], s[2:3]
	s_cbranch_execz .LBB1210_7
; %bb.6:                                ;   in Loop: Header=BB1210_3 Depth=1
	global_load_dwordx4 v[3:6], v[13:14], off
	s_waitcnt vmcnt(0)
	ds_write2_b64 v22, v[3:4], v[5:6] offset1:1
.LBB1210_7:                             ;   in Loop: Header=BB1210_3 Depth=1
	s_or_b64 exec, exec, s[2:3]
	v_mov_b32_e32 v4, s19
	v_add_co_u32_e32 v3, vcc, s18, v0
	v_addc_co_u32_e32 v4, vcc, 0, v4, vcc
	v_cmp_gt_i64_e32 vcc, s[12:13], v[3:4]
	v_mov_b32_e32 v3, 0
	v_mov_b32_e32 v5, 0
	;; [unrolled: 1-line block ×4, first 2 shown]
	s_and_b64 s[22:23], s[0:1], vcc
	s_and_saveexec_b64 s[2:3], s[22:23]
	s_cbranch_execz .LBB1210_2
; %bb.8:                                ;   in Loop: Header=BB1210_3 Depth=1
	global_load_dwordx4 v[3:6], v[11:12], off offset:-8
	s_branch .LBB1210_2
.LBB1210_9:
	v_mov_b32_e32 v17, 0
	v_mov_b32_e32 v19, 0
	v_mov_b32_e32 v18, 0
	v_mov_b32_e32 v20, 0
.LBB1210_10:
	v_cmp_le_i32_e32 vcc, v7, v9
	v_cmp_gt_i32_e64 s[0:1], s9, v9
	s_and_b64 s[0:1], vcc, s[0:1]
	s_and_saveexec_b64 s[2:3], s[0:1]
	s_cbranch_execz .LBB1210_12
; %bb.11:
	s_load_dwordx2 s[6:7], s[4:5], 0x70
	s_load_dwordx4 s[0:3], s[4:5], 0x60
	v_mul_f64 v[0:1], s[16:17], v[17:18]
	v_mul_f64 v[2:3], s[14:15], v[17:18]
	s_waitcnt lgkmcnt(0)
	s_mul_i32 s5, s7, s8
	v_mul_lo_u32 v6, s3, v9
	v_mul_lo_u32 v10, s2, v10
	v_mad_u64_u32 v[4:5], s[2:3], s2, v9, 0
	s_mul_hi_u32 s7, s6, s8
	s_mul_i32 s4, s6, s8
	s_add_i32 s5, s7, s5
	s_lshl_b64 s[4:5], s[4:5], 4
	v_fma_f64 v[0:1], s[14:15], v[19:20], -v[0:1]
	v_fma_f64 v[2:3], s[16:17], v[19:20], v[2:3]
	v_add3_u32 v5, v5, v10, v6
	s_add_u32 s0, s0, s4
	v_lshlrev_b64 v[4:5], 4, v[4:5]
	s_addc_u32 s1, s1, s5
	v_mov_b32_e32 v6, s1
	v_add_co_u32_e32 v9, vcc, s0, v4
	v_addc_co_u32_e32 v6, vcc, v6, v5, vcc
	v_lshlrev_b64 v[4:5], 4, v[7:8]
	v_add_co_u32_e32 v4, vcc, v9, v4
	v_addc_co_u32_e32 v5, vcc, v6, v5, vcc
	global_store_dwordx4 v[4:5], v[0:3], off
.LBB1210_12:
	s_endpgm
	.section	.rodata,"a",@progbits
	.p2align	6, 0x0
	.amdhsa_kernel _ZL32rocblas_syrkx_herkx_small_kernelIl19rocblas_complex_numIdELi16ELb1ELb0ELc78ELc85EKS1_S1_EviT_T0_PT6_S3_lS6_S3_lS4_PT7_S3_li
		.amdhsa_group_segment_fixed_size 8192
		.amdhsa_private_segment_fixed_size 0
		.amdhsa_kernarg_size 124
		.amdhsa_user_sgpr_count 6
		.amdhsa_user_sgpr_private_segment_buffer 1
		.amdhsa_user_sgpr_dispatch_ptr 0
		.amdhsa_user_sgpr_queue_ptr 0
		.amdhsa_user_sgpr_kernarg_segment_ptr 1
		.amdhsa_user_sgpr_dispatch_id 0
		.amdhsa_user_sgpr_flat_scratch_init 0
		.amdhsa_user_sgpr_private_segment_size 0
		.amdhsa_uses_dynamic_stack 0
		.amdhsa_system_sgpr_private_segment_wavefront_offset 0
		.amdhsa_system_sgpr_workgroup_id_x 1
		.amdhsa_system_sgpr_workgroup_id_y 1
		.amdhsa_system_sgpr_workgroup_id_z 1
		.amdhsa_system_sgpr_workgroup_info 0
		.amdhsa_system_vgpr_workitem_id 1
		.amdhsa_next_free_vgpr 49
		.amdhsa_next_free_sgpr 61
		.amdhsa_reserve_vcc 1
		.amdhsa_reserve_flat_scratch 0
		.amdhsa_float_round_mode_32 0
		.amdhsa_float_round_mode_16_64 0
		.amdhsa_float_denorm_mode_32 3
		.amdhsa_float_denorm_mode_16_64 3
		.amdhsa_dx10_clamp 1
		.amdhsa_ieee_mode 1
		.amdhsa_fp16_overflow 0
		.amdhsa_exception_fp_ieee_invalid_op 0
		.amdhsa_exception_fp_denorm_src 0
		.amdhsa_exception_fp_ieee_div_zero 0
		.amdhsa_exception_fp_ieee_overflow 0
		.amdhsa_exception_fp_ieee_underflow 0
		.amdhsa_exception_fp_ieee_inexact 0
		.amdhsa_exception_int_div_zero 0
	.end_amdhsa_kernel
	.section	.text._ZL32rocblas_syrkx_herkx_small_kernelIl19rocblas_complex_numIdELi16ELb1ELb0ELc78ELc85EKS1_S1_EviT_T0_PT6_S3_lS6_S3_lS4_PT7_S3_li,"axG",@progbits,_ZL32rocblas_syrkx_herkx_small_kernelIl19rocblas_complex_numIdELi16ELb1ELb0ELc78ELc85EKS1_S1_EviT_T0_PT6_S3_lS6_S3_lS4_PT7_S3_li,comdat
.Lfunc_end1210:
	.size	_ZL32rocblas_syrkx_herkx_small_kernelIl19rocblas_complex_numIdELi16ELb1ELb0ELc78ELc85EKS1_S1_EviT_T0_PT6_S3_lS6_S3_lS4_PT7_S3_li, .Lfunc_end1210-_ZL32rocblas_syrkx_herkx_small_kernelIl19rocblas_complex_numIdELi16ELb1ELb0ELc78ELc85EKS1_S1_EviT_T0_PT6_S3_lS6_S3_lS4_PT7_S3_li
                                        ; -- End function
	.set _ZL32rocblas_syrkx_herkx_small_kernelIl19rocblas_complex_numIdELi16ELb1ELb0ELc78ELc85EKS1_S1_EviT_T0_PT6_S3_lS6_S3_lS4_PT7_S3_li.num_vgpr, 49
	.set _ZL32rocblas_syrkx_herkx_small_kernelIl19rocblas_complex_numIdELi16ELb1ELb0ELc78ELc85EKS1_S1_EviT_T0_PT6_S3_lS6_S3_lS4_PT7_S3_li.num_agpr, 0
	.set _ZL32rocblas_syrkx_herkx_small_kernelIl19rocblas_complex_numIdELi16ELb1ELb0ELc78ELc85EKS1_S1_EviT_T0_PT6_S3_lS6_S3_lS4_PT7_S3_li.numbered_sgpr, 28
	.set _ZL32rocblas_syrkx_herkx_small_kernelIl19rocblas_complex_numIdELi16ELb1ELb0ELc78ELc85EKS1_S1_EviT_T0_PT6_S3_lS6_S3_lS4_PT7_S3_li.num_named_barrier, 0
	.set _ZL32rocblas_syrkx_herkx_small_kernelIl19rocblas_complex_numIdELi16ELb1ELb0ELc78ELc85EKS1_S1_EviT_T0_PT6_S3_lS6_S3_lS4_PT7_S3_li.private_seg_size, 0
	.set _ZL32rocblas_syrkx_herkx_small_kernelIl19rocblas_complex_numIdELi16ELb1ELb0ELc78ELc85EKS1_S1_EviT_T0_PT6_S3_lS6_S3_lS4_PT7_S3_li.uses_vcc, 1
	.set _ZL32rocblas_syrkx_herkx_small_kernelIl19rocblas_complex_numIdELi16ELb1ELb0ELc78ELc85EKS1_S1_EviT_T0_PT6_S3_lS6_S3_lS4_PT7_S3_li.uses_flat_scratch, 0
	.set _ZL32rocblas_syrkx_herkx_small_kernelIl19rocblas_complex_numIdELi16ELb1ELb0ELc78ELc85EKS1_S1_EviT_T0_PT6_S3_lS6_S3_lS4_PT7_S3_li.has_dyn_sized_stack, 0
	.set _ZL32rocblas_syrkx_herkx_small_kernelIl19rocblas_complex_numIdELi16ELb1ELb0ELc78ELc85EKS1_S1_EviT_T0_PT6_S3_lS6_S3_lS4_PT7_S3_li.has_recursion, 0
	.set _ZL32rocblas_syrkx_herkx_small_kernelIl19rocblas_complex_numIdELi16ELb1ELb0ELc78ELc85EKS1_S1_EviT_T0_PT6_S3_lS6_S3_lS4_PT7_S3_li.has_indirect_call, 0
	.section	.AMDGPU.csdata,"",@progbits
; Kernel info:
; codeLenInByte = 1888
; TotalNumSgprs: 32
; NumVgprs: 49
; ScratchSize: 0
; MemoryBound: 1
; FloatMode: 240
; IeeeMode: 1
; LDSByteSize: 8192 bytes/workgroup (compile time only)
; SGPRBlocks: 8
; VGPRBlocks: 12
; NumSGPRsForWavesPerEU: 65
; NumVGPRsForWavesPerEU: 49
; Occupancy: 4
; WaveLimiterHint : 0
; COMPUTE_PGM_RSRC2:SCRATCH_EN: 0
; COMPUTE_PGM_RSRC2:USER_SGPR: 6
; COMPUTE_PGM_RSRC2:TRAP_HANDLER: 0
; COMPUTE_PGM_RSRC2:TGID_X_EN: 1
; COMPUTE_PGM_RSRC2:TGID_Y_EN: 1
; COMPUTE_PGM_RSRC2:TGID_Z_EN: 1
; COMPUTE_PGM_RSRC2:TIDIG_COMP_CNT: 1
	.section	.text._ZL32rocblas_syrkx_herkx_small_kernelIl19rocblas_complex_numIdELi16ELb0ELb0ELc84ELc76EKS1_S1_EviT_T0_PT6_S3_lS6_S3_lS4_PT7_S3_li,"axG",@progbits,_ZL32rocblas_syrkx_herkx_small_kernelIl19rocblas_complex_numIdELi16ELb0ELb0ELc84ELc76EKS1_S1_EviT_T0_PT6_S3_lS6_S3_lS4_PT7_S3_li,comdat
	.globl	_ZL32rocblas_syrkx_herkx_small_kernelIl19rocblas_complex_numIdELi16ELb0ELb0ELc84ELc76EKS1_S1_EviT_T0_PT6_S3_lS6_S3_lS4_PT7_S3_li ; -- Begin function _ZL32rocblas_syrkx_herkx_small_kernelIl19rocblas_complex_numIdELi16ELb0ELb0ELc84ELc76EKS1_S1_EviT_T0_PT6_S3_lS6_S3_lS4_PT7_S3_li
	.p2align	8
	.type	_ZL32rocblas_syrkx_herkx_small_kernelIl19rocblas_complex_numIdELi16ELb0ELb0ELc84ELc76EKS1_S1_EviT_T0_PT6_S3_lS6_S3_lS4_PT7_S3_li,@function
_ZL32rocblas_syrkx_herkx_small_kernelIl19rocblas_complex_numIdELi16ELb0ELb0ELc84ELc76EKS1_S1_EviT_T0_PT6_S3_lS6_S3_lS4_PT7_S3_li: ; @_ZL32rocblas_syrkx_herkx_small_kernelIl19rocblas_complex_numIdELi16ELb0ELb0ELc84ELc76EKS1_S1_EviT_T0_PT6_S3_lS6_S3_lS4_PT7_S3_li
; %bb.0:
	s_load_dwordx16 s[12:27], s[4:5], 0x8
	s_load_dword s9, s[4:5], 0x0
	s_load_dwordx4 s[28:31], s[4:5], 0x68
	s_load_dwordx8 s[36:43], s[4:5], 0x48
	v_lshl_add_u32 v6, s6, 4, v0
	s_waitcnt lgkmcnt(0)
	v_cmp_lt_i64_e64 s[0:1], s[12:13], 1
	v_lshl_add_u32 v18, s7, 4, v1
	s_and_b64 vcc, exec, s[0:1]
	v_cmp_gt_i32_e64 s[0:1], s9, v6
	v_ashrrev_i32_e32 v7, 31, v6
	v_ashrrev_i32_e32 v19, 31, v18
	s_cbranch_vccnz .LBB1211_11
; %bb.1:
	v_mul_lo_u32 v8, s27, v18
	v_mul_lo_u32 v9, s26, v19
	v_mad_u64_u32 v[3:4], s[2:3], s26, v18, 0
	s_mul_i32 s2, s37, s8
	s_mul_hi_u32 s3, s36, s8
	v_add3_u32 v4, v4, v9, v8
	v_lshlrev_b64 v[3:4], 4, v[3:4]
	s_add_i32 s3, s3, s2
	s_mul_i32 s2, s36, s8
	v_lshlrev_b32_e32 v5, 8, v1
	v_lshlrev_b32_e32 v20, 4, v0
	s_lshl_b64 s[2:3], s[2:3], 4
	v_add_u32_e32 v21, v20, v5
	v_add_u32_e32 v22, 0x1000, v5
	v_mov_b32_e32 v5, s3
	v_add_co_u32_e64 v3, s[2:3], s2, v3
	v_addc_co_u32_e64 v4, s[2:3], v4, v5, s[2:3]
	v_add_co_u32_e64 v5, s[2:3], v3, v20
	v_addc_co_u32_e64 v9, s[2:3], 0, v4, s[2:3]
	v_mul_lo_u32 v11, s21, v6
	v_mul_lo_u32 v12, s20, v7
	v_mad_u64_u32 v[3:4], s[2:3], s20, v6, 0
	v_mov_b32_e32 v10, s25
	v_add_co_u32_e64 v8, s[2:3], s24, v5
	v_addc_co_u32_e64 v9, s[2:3], v10, v9, s[2:3]
	v_add3_u32 v4, v4, v12, v11
	s_mul_i32 s2, s23, s8
	s_mul_hi_u32 s3, s22, s8
	v_lshlrev_b64 v[3:4], 4, v[3:4]
	s_add_i32 s3, s3, s2
	s_mul_i32 s2, s22, s8
	s_lshl_b64 s[2:3], s[2:3], 4
	v_mov_b32_e32 v5, s3
	v_add_co_u32_e64 v3, s[2:3], s2, v3
	v_addc_co_u32_e64 v4, s[2:3], v4, v5, s[2:3]
	v_lshlrev_b32_e32 v5, 4, v1
	v_add_co_u32_e64 v3, s[2:3], v3, v5
	v_addc_co_u32_e64 v4, s[2:3], 0, v4, s[2:3]
	v_mov_b32_e32 v5, s19
	v_add_co_u32_e64 v10, s[2:3], s18, v3
	v_cmp_gt_i32_e32 vcc, s9, v18
	v_addc_co_u32_e64 v11, s[2:3], v5, v4, s[2:3]
	v_mov_b32_e32 v14, 0
	v_mov_b32_e32 v16, 0
	;; [unrolled: 1-line block ×4, first 2 shown]
	v_add_u32_e32 v23, v22, v20
	v_mov_b32_e32 v15, 0
	s_mov_b64 s[2:3], 0
	s_xor_b64 s[0:1], s[0:1], -1
	s_xor_b64 s[4:5], vcc, -1
	v_mov_b32_e32 v17, 0
	v_mov_b32_e32 v13, s13
	s_branch .LBB1211_3
.LBB1211_2:                             ;   in Loop: Header=BB1211_3 Depth=1
	s_or_b64 exec, exec, s[6:7]
	s_waitcnt lgkmcnt(0)
	s_barrier
	ds_read_b128 v[24:27], v22
	ds_read_b128 v[28:31], v22 offset:16
	ds_read_b128 v[32:35], v22 offset:32
	;; [unrolled: 1-line block ×3, first 2 shown]
	ds_read_b128 v[40:43], v20
	v_add_co_u32_e32 v8, vcc, 0x100, v8
	v_addc_co_u32_e32 v9, vcc, 0, v9, vcc
	s_waitcnt lgkmcnt(0)
	v_mul_f64 v[3:4], v[26:27], v[42:43]
	s_add_u32 s2, s2, 16
	v_add_co_u32_e32 v10, vcc, 0x100, v10
	s_addc_u32 s3, s3, 0
	v_addc_co_u32_e32 v11, vcc, 0, v11, vcc
	v_cmp_ge_i64_e32 vcc, s[2:3], v[12:13]
	v_fma_f64 v[3:4], v[24:25], v[40:41], -v[3:4]
	v_mul_f64 v[24:25], v[24:25], v[42:43]
	s_and_b64 vcc, exec, vcc
	v_add_f64 v[3:4], v[16:17], v[3:4]
	v_fma_f64 v[24:25], v[26:27], v[40:41], v[24:25]
	v_add_f64 v[24:25], v[14:15], v[24:25]
	ds_read_b128 v[14:17], v20 offset:256
	s_waitcnt lgkmcnt(0)
	v_mul_f64 v[26:27], v[30:31], v[16:17]
	v_mul_f64 v[16:17], v[28:29], v[16:17]
	v_fma_f64 v[26:27], v[28:29], v[14:15], -v[26:27]
	v_fma_f64 v[14:15], v[30:31], v[14:15], v[16:17]
	v_add_f64 v[3:4], v[3:4], v[26:27]
	v_add_f64 v[24:25], v[24:25], v[14:15]
	ds_read_b128 v[14:17], v20 offset:512
	s_waitcnt lgkmcnt(0)
	v_mul_f64 v[26:27], v[34:35], v[16:17]
	v_mul_f64 v[16:17], v[32:33], v[16:17]
	v_fma_f64 v[26:27], v[32:33], v[14:15], -v[26:27]
	v_fma_f64 v[14:15], v[34:35], v[14:15], v[16:17]
	v_add_f64 v[3:4], v[3:4], v[26:27]
	v_add_f64 v[24:25], v[24:25], v[14:15]
	ds_read_b128 v[14:17], v20 offset:768
	s_waitcnt lgkmcnt(0)
	v_mul_f64 v[26:27], v[38:39], v[16:17]
	v_mul_f64 v[16:17], v[36:37], v[16:17]
	v_fma_f64 v[26:27], v[36:37], v[14:15], -v[26:27]
	v_fma_f64 v[14:15], v[38:39], v[14:15], v[16:17]
	v_add_f64 v[3:4], v[3:4], v[26:27]
	v_add_f64 v[28:29], v[24:25], v[14:15]
	ds_read_b128 v[14:17], v22 offset:64
	ds_read_b128 v[24:27], v20 offset:1024
	s_waitcnt lgkmcnt(0)
	v_mul_f64 v[30:31], v[16:17], v[26:27]
	v_fma_f64 v[30:31], v[14:15], v[24:25], -v[30:31]
	v_mul_f64 v[14:15], v[14:15], v[26:27]
	v_add_f64 v[3:4], v[3:4], v[30:31]
	v_fma_f64 v[14:15], v[16:17], v[24:25], v[14:15]
	v_add_f64 v[28:29], v[28:29], v[14:15]
	ds_read_b128 v[14:17], v22 offset:80
	ds_read_b128 v[24:27], v20 offset:1280
	s_waitcnt lgkmcnt(0)
	v_mul_f64 v[30:31], v[16:17], v[26:27]
	v_fma_f64 v[30:31], v[14:15], v[24:25], -v[30:31]
	v_mul_f64 v[14:15], v[14:15], v[26:27]
	v_add_f64 v[3:4], v[3:4], v[30:31]
	v_fma_f64 v[14:15], v[16:17], v[24:25], v[14:15]
	;; [unrolled: 9-line block ×11, first 2 shown]
	v_add_f64 v[28:29], v[28:29], v[14:15]
	ds_read_b128 v[14:17], v22 offset:240
	ds_read_b128 v[24:27], v20 offset:3840
	s_waitcnt lgkmcnt(0)
	s_barrier
	v_mul_f64 v[30:31], v[16:17], v[26:27]
	v_fma_f64 v[30:31], v[14:15], v[24:25], -v[30:31]
	v_mul_f64 v[14:15], v[14:15], v[26:27]
	v_fma_f64 v[14:15], v[16:17], v[24:25], v[14:15]
	v_add_f64 v[16:17], v[3:4], v[30:31]
	v_add_f64 v[14:15], v[28:29], v[14:15]
	s_cbranch_vccnz .LBB1211_12
.LBB1211_3:                             ; =>This Inner Loop Header: Depth=1
	v_mov_b32_e32 v4, s3
	v_add_co_u32_e32 v3, vcc, s2, v1
	v_addc_co_u32_e32 v4, vcc, 0, v4, vcc
	v_cmp_le_i64_e32 vcc, s[12:13], v[3:4]
	s_or_b64 s[6:7], s[0:1], vcc
	s_and_saveexec_b64 s[10:11], s[6:7]
	s_xor_b64 s[6:7], exec, s[10:11]
; %bb.4:                                ;   in Loop: Header=BB1211_3 Depth=1
	v_mov_b32_e32 v3, v2
	v_mov_b32_e32 v4, v2
	;; [unrolled: 1-line block ×3, first 2 shown]
	ds_write_b128 v21, v[2:5]
; %bb.5:                                ;   in Loop: Header=BB1211_3 Depth=1
	s_andn2_saveexec_b64 s[6:7], s[6:7]
	s_cbranch_execz .LBB1211_7
; %bb.6:                                ;   in Loop: Header=BB1211_3 Depth=1
	global_load_dwordx4 v[24:27], v[10:11], off
	s_waitcnt vmcnt(0)
	ds_write2_b64 v21, v[24:25], v[26:27] offset1:1
.LBB1211_7:                             ;   in Loop: Header=BB1211_3 Depth=1
	s_or_b64 exec, exec, s[6:7]
	v_mov_b32_e32 v4, s3
	v_add_co_u32_e32 v3, vcc, s2, v0
	v_addc_co_u32_e32 v4, vcc, 0, v4, vcc
	v_cmp_le_i64_e32 vcc, s[12:13], v[3:4]
	s_or_b64 s[6:7], s[4:5], vcc
	s_and_saveexec_b64 s[10:11], s[6:7]
	s_xor_b64 s[6:7], exec, s[10:11]
; %bb.8:                                ;   in Loop: Header=BB1211_3 Depth=1
	v_mov_b32_e32 v3, v2
	v_mov_b32_e32 v4, v2
	;; [unrolled: 1-line block ×3, first 2 shown]
	ds_write_b128 v23, v[2:5]
; %bb.9:                                ;   in Loop: Header=BB1211_3 Depth=1
	s_andn2_saveexec_b64 s[6:7], s[6:7]
	s_cbranch_execz .LBB1211_2
; %bb.10:                               ;   in Loop: Header=BB1211_3 Depth=1
	global_load_dwordx4 v[24:27], v[8:9], off
	s_waitcnt vmcnt(0)
	ds_write2_b64 v23, v[24:25], v[26:27] offset1:1
	s_branch .LBB1211_2
.LBB1211_11:
	v_mov_b32_e32 v14, 0
	v_mov_b32_e32 v16, 0
	;; [unrolled: 1-line block ×4, first 2 shown]
.LBB1211_12:
	v_cmp_le_i32_e32 vcc, v18, v6
	v_cmp_gt_i32_e64 s[0:1], s9, v6
	s_and_b64 s[0:1], vcc, s[0:1]
	s_and_saveexec_b64 s[2:3], s[0:1]
	s_cbranch_execz .LBB1211_14
; %bb.13:
	v_mul_lo_u32 v2, s29, v18
	v_mul_lo_u32 v3, s28, v19
	v_mad_u64_u32 v[0:1], s[2:3], s28, v18, 0
	s_mul_i32 s0, s31, s8
	s_mul_hi_u32 s1, s30, s8
	s_add_i32 s1, s1, s0
	s_mul_i32 s0, s30, s8
	s_lshl_b64 s[0:1], s[0:1], 4
	v_add3_u32 v1, v1, v3, v2
	s_add_u32 s0, s42, s0
	v_lshlrev_b64 v[0:1], 4, v[0:1]
	s_addc_u32 s1, s43, s1
	v_mov_b32_e32 v2, s1
	v_add_co_u32_e32 v3, vcc, s0, v0
	v_addc_co_u32_e32 v2, vcc, v2, v1, vcc
	v_lshlrev_b64 v[0:1], 4, v[6:7]
	v_mul_f64 v[6:7], s[16:17], v[14:15]
	v_add_co_u32_e32 v4, vcc, v3, v0
	v_addc_co_u32_e32 v5, vcc, v2, v1, vcc
	global_load_dwordx4 v[0:3], v[4:5], off
	v_mul_f64 v[8:9], s[14:15], v[14:15]
	v_fma_f64 v[6:7], s[14:15], v[16:17], -v[6:7]
	v_fma_f64 v[8:9], s[16:17], v[16:17], v[8:9]
	s_waitcnt vmcnt(0)
	v_mul_f64 v[10:11], s[40:41], v[2:3]
	v_mul_f64 v[2:3], s[38:39], v[2:3]
	v_fma_f64 v[10:11], s[38:39], v[0:1], -v[10:11]
	v_fma_f64 v[2:3], s[40:41], v[0:1], v[2:3]
	v_add_f64 v[0:1], v[6:7], v[10:11]
	v_add_f64 v[2:3], v[8:9], v[2:3]
	global_store_dwordx4 v[4:5], v[0:3], off
.LBB1211_14:
	s_endpgm
	.section	.rodata,"a",@progbits
	.p2align	6, 0x0
	.amdhsa_kernel _ZL32rocblas_syrkx_herkx_small_kernelIl19rocblas_complex_numIdELi16ELb0ELb0ELc84ELc76EKS1_S1_EviT_T0_PT6_S3_lS6_S3_lS4_PT7_S3_li
		.amdhsa_group_segment_fixed_size 8192
		.amdhsa_private_segment_fixed_size 0
		.amdhsa_kernarg_size 124
		.amdhsa_user_sgpr_count 6
		.amdhsa_user_sgpr_private_segment_buffer 1
		.amdhsa_user_sgpr_dispatch_ptr 0
		.amdhsa_user_sgpr_queue_ptr 0
		.amdhsa_user_sgpr_kernarg_segment_ptr 1
		.amdhsa_user_sgpr_dispatch_id 0
		.amdhsa_user_sgpr_flat_scratch_init 0
		.amdhsa_user_sgpr_private_segment_size 0
		.amdhsa_uses_dynamic_stack 0
		.amdhsa_system_sgpr_private_segment_wavefront_offset 0
		.amdhsa_system_sgpr_workgroup_id_x 1
		.amdhsa_system_sgpr_workgroup_id_y 1
		.amdhsa_system_sgpr_workgroup_id_z 1
		.amdhsa_system_sgpr_workgroup_info 0
		.amdhsa_system_vgpr_workitem_id 1
		.amdhsa_next_free_vgpr 44
		.amdhsa_next_free_sgpr 61
		.amdhsa_reserve_vcc 1
		.amdhsa_reserve_flat_scratch 0
		.amdhsa_float_round_mode_32 0
		.amdhsa_float_round_mode_16_64 0
		.amdhsa_float_denorm_mode_32 3
		.amdhsa_float_denorm_mode_16_64 3
		.amdhsa_dx10_clamp 1
		.amdhsa_ieee_mode 1
		.amdhsa_fp16_overflow 0
		.amdhsa_exception_fp_ieee_invalid_op 0
		.amdhsa_exception_fp_denorm_src 0
		.amdhsa_exception_fp_ieee_div_zero 0
		.amdhsa_exception_fp_ieee_overflow 0
		.amdhsa_exception_fp_ieee_underflow 0
		.amdhsa_exception_fp_ieee_inexact 0
		.amdhsa_exception_int_div_zero 0
	.end_amdhsa_kernel
	.section	.text._ZL32rocblas_syrkx_herkx_small_kernelIl19rocblas_complex_numIdELi16ELb0ELb0ELc84ELc76EKS1_S1_EviT_T0_PT6_S3_lS6_S3_lS4_PT7_S3_li,"axG",@progbits,_ZL32rocblas_syrkx_herkx_small_kernelIl19rocblas_complex_numIdELi16ELb0ELb0ELc84ELc76EKS1_S1_EviT_T0_PT6_S3_lS6_S3_lS4_PT7_S3_li,comdat
.Lfunc_end1211:
	.size	_ZL32rocblas_syrkx_herkx_small_kernelIl19rocblas_complex_numIdELi16ELb0ELb0ELc84ELc76EKS1_S1_EviT_T0_PT6_S3_lS6_S3_lS4_PT7_S3_li, .Lfunc_end1211-_ZL32rocblas_syrkx_herkx_small_kernelIl19rocblas_complex_numIdELi16ELb0ELb0ELc84ELc76EKS1_S1_EviT_T0_PT6_S3_lS6_S3_lS4_PT7_S3_li
                                        ; -- End function
	.set _ZL32rocblas_syrkx_herkx_small_kernelIl19rocblas_complex_numIdELi16ELb0ELb0ELc84ELc76EKS1_S1_EviT_T0_PT6_S3_lS6_S3_lS4_PT7_S3_li.num_vgpr, 44
	.set _ZL32rocblas_syrkx_herkx_small_kernelIl19rocblas_complex_numIdELi16ELb0ELb0ELc84ELc76EKS1_S1_EviT_T0_PT6_S3_lS6_S3_lS4_PT7_S3_li.num_agpr, 0
	.set _ZL32rocblas_syrkx_herkx_small_kernelIl19rocblas_complex_numIdELi16ELb0ELb0ELc84ELc76EKS1_S1_EviT_T0_PT6_S3_lS6_S3_lS4_PT7_S3_li.numbered_sgpr, 44
	.set _ZL32rocblas_syrkx_herkx_small_kernelIl19rocblas_complex_numIdELi16ELb0ELb0ELc84ELc76EKS1_S1_EviT_T0_PT6_S3_lS6_S3_lS4_PT7_S3_li.num_named_barrier, 0
	.set _ZL32rocblas_syrkx_herkx_small_kernelIl19rocblas_complex_numIdELi16ELb0ELb0ELc84ELc76EKS1_S1_EviT_T0_PT6_S3_lS6_S3_lS4_PT7_S3_li.private_seg_size, 0
	.set _ZL32rocblas_syrkx_herkx_small_kernelIl19rocblas_complex_numIdELi16ELb0ELb0ELc84ELc76EKS1_S1_EviT_T0_PT6_S3_lS6_S3_lS4_PT7_S3_li.uses_vcc, 1
	.set _ZL32rocblas_syrkx_herkx_small_kernelIl19rocblas_complex_numIdELi16ELb0ELb0ELc84ELc76EKS1_S1_EviT_T0_PT6_S3_lS6_S3_lS4_PT7_S3_li.uses_flat_scratch, 0
	.set _ZL32rocblas_syrkx_herkx_small_kernelIl19rocblas_complex_numIdELi16ELb0ELb0ELc84ELc76EKS1_S1_EviT_T0_PT6_S3_lS6_S3_lS4_PT7_S3_li.has_dyn_sized_stack, 0
	.set _ZL32rocblas_syrkx_herkx_small_kernelIl19rocblas_complex_numIdELi16ELb0ELb0ELc84ELc76EKS1_S1_EviT_T0_PT6_S3_lS6_S3_lS4_PT7_S3_li.has_recursion, 0
	.set _ZL32rocblas_syrkx_herkx_small_kernelIl19rocblas_complex_numIdELi16ELb0ELb0ELc84ELc76EKS1_S1_EviT_T0_PT6_S3_lS6_S3_lS4_PT7_S3_li.has_indirect_call, 0
	.section	.AMDGPU.csdata,"",@progbits
; Kernel info:
; codeLenInByte = 1940
; TotalNumSgprs: 48
; NumVgprs: 44
; ScratchSize: 0
; MemoryBound: 0
; FloatMode: 240
; IeeeMode: 1
; LDSByteSize: 8192 bytes/workgroup (compile time only)
; SGPRBlocks: 8
; VGPRBlocks: 10
; NumSGPRsForWavesPerEU: 65
; NumVGPRsForWavesPerEU: 44
; Occupancy: 5
; WaveLimiterHint : 0
; COMPUTE_PGM_RSRC2:SCRATCH_EN: 0
; COMPUTE_PGM_RSRC2:USER_SGPR: 6
; COMPUTE_PGM_RSRC2:TRAP_HANDLER: 0
; COMPUTE_PGM_RSRC2:TGID_X_EN: 1
; COMPUTE_PGM_RSRC2:TGID_Y_EN: 1
; COMPUTE_PGM_RSRC2:TGID_Z_EN: 1
; COMPUTE_PGM_RSRC2:TIDIG_COMP_CNT: 1
	.section	.text._ZL32rocblas_syrkx_herkx_small_kernelIl19rocblas_complex_numIdELi16ELb0ELb0ELc67ELc76EKS1_S1_EviT_T0_PT6_S3_lS6_S3_lS4_PT7_S3_li,"axG",@progbits,_ZL32rocblas_syrkx_herkx_small_kernelIl19rocblas_complex_numIdELi16ELb0ELb0ELc67ELc76EKS1_S1_EviT_T0_PT6_S3_lS6_S3_lS4_PT7_S3_li,comdat
	.globl	_ZL32rocblas_syrkx_herkx_small_kernelIl19rocblas_complex_numIdELi16ELb0ELb0ELc67ELc76EKS1_S1_EviT_T0_PT6_S3_lS6_S3_lS4_PT7_S3_li ; -- Begin function _ZL32rocblas_syrkx_herkx_small_kernelIl19rocblas_complex_numIdELi16ELb0ELb0ELc67ELc76EKS1_S1_EviT_T0_PT6_S3_lS6_S3_lS4_PT7_S3_li
	.p2align	8
	.type	_ZL32rocblas_syrkx_herkx_small_kernelIl19rocblas_complex_numIdELi16ELb0ELb0ELc67ELc76EKS1_S1_EviT_T0_PT6_S3_lS6_S3_lS4_PT7_S3_li,@function
_ZL32rocblas_syrkx_herkx_small_kernelIl19rocblas_complex_numIdELi16ELb0ELb0ELc67ELc76EKS1_S1_EviT_T0_PT6_S3_lS6_S3_lS4_PT7_S3_li: ; @_ZL32rocblas_syrkx_herkx_small_kernelIl19rocblas_complex_numIdELi16ELb0ELb0ELc67ELc76EKS1_S1_EviT_T0_PT6_S3_lS6_S3_lS4_PT7_S3_li
; %bb.0:
	s_load_dwordx16 s[12:27], s[4:5], 0x8
	s_load_dword s9, s[4:5], 0x0
	s_load_dwordx4 s[28:31], s[4:5], 0x68
	s_load_dwordx8 s[36:43], s[4:5], 0x48
	v_lshl_add_u32 v7, s6, 4, v0
	s_waitcnt lgkmcnt(0)
	v_cmp_lt_i64_e64 s[0:1], s[12:13], 1
	v_lshl_add_u32 v19, s7, 4, v1
	s_and_b64 vcc, exec, s[0:1]
	v_cmp_gt_i32_e64 s[0:1], s9, v7
	v_ashrrev_i32_e32 v8, 31, v7
	v_ashrrev_i32_e32 v20, 31, v19
	s_cbranch_vccnz .LBB1212_9
; %bb.1:
	v_mul_lo_u32 v6, s27, v19
	v_mul_lo_u32 v9, s26, v20
	v_mad_u64_u32 v[3:4], s[2:3], s26, v19, 0
	s_mul_i32 s2, s37, s8
	s_mul_hi_u32 s3, s36, s8
	v_add3_u32 v4, v4, v9, v6
	v_lshlrev_b64 v[3:4], 4, v[3:4]
	s_add_i32 s3, s3, s2
	s_mul_i32 s2, s36, s8
	v_lshlrev_b32_e32 v5, 8, v1
	v_lshlrev_b32_e32 v21, 4, v0
	s_lshl_b64 s[2:3], s[2:3], 4
	v_add_u32_e32 v22, v21, v5
	v_add_u32_e32 v23, 0x1000, v5
	v_mov_b32_e32 v5, s3
	v_add_co_u32_e64 v3, s[2:3], s2, v3
	v_addc_co_u32_e64 v4, s[2:3], v4, v5, s[2:3]
	v_add_co_u32_e64 v5, s[2:3], v3, v21
	v_addc_co_u32_e64 v6, s[2:3], 0, v4, s[2:3]
	v_mul_lo_u32 v11, s21, v7
	v_mul_lo_u32 v12, s20, v8
	v_mad_u64_u32 v[3:4], s[2:3], s20, v7, 0
	v_mov_b32_e32 v10, s25
	v_add_co_u32_e64 v9, s[2:3], s24, v5
	v_addc_co_u32_e64 v10, s[2:3], v10, v6, s[2:3]
	v_add3_u32 v4, v4, v12, v11
	s_mul_i32 s2, s23, s8
	s_mul_hi_u32 s3, s22, s8
	v_lshlrev_b64 v[3:4], 4, v[3:4]
	s_add_i32 s3, s3, s2
	s_mul_i32 s2, s22, s8
	s_lshl_b64 s[2:3], s[2:3], 4
	v_mov_b32_e32 v5, s3
	v_add_co_u32_e64 v3, s[2:3], s2, v3
	v_addc_co_u32_e64 v4, s[2:3], v4, v5, s[2:3]
	v_lshlrev_b32_e32 v5, 4, v1
	v_add_co_u32_e64 v3, s[2:3], v3, v5
	v_addc_co_u32_e64 v4, s[2:3], 0, v4, s[2:3]
	v_mov_b32_e32 v5, s19
	v_add_co_u32_e64 v3, s[2:3], s18, v3
	v_addc_co_u32_e64 v4, s[2:3], v5, v4, s[2:3]
	v_cmp_gt_i32_e32 vcc, s9, v19
	v_add_co_u32_e64 v11, s[2:3], 8, v3
	v_mov_b32_e32 v15, 0
	v_mov_b32_e32 v17, 0
	;; [unrolled: 1-line block ×4, first 2 shown]
	v_add_u32_e32 v24, v23, v21
	v_addc_co_u32_e64 v12, s[2:3], 0, v4, s[2:3]
	v_mov_b32_e32 v16, 0
	s_mov_b64 s[4:5], 0
	s_xor_b64 s[6:7], vcc, -1
	v_mov_b32_e32 v18, 0
	v_mov_b32_e32 v13, s12
	s_branch .LBB1212_3
.LBB1212_2:                             ;   in Loop: Header=BB1212_3 Depth=1
	s_or_b64 exec, exec, s[2:3]
	s_waitcnt lgkmcnt(0)
	s_barrier
	ds_read_b128 v[3:6], v21
	ds_read_b128 v[25:28], v23
	ds_read_b128 v[29:32], v23 offset:16
	ds_read_b128 v[33:36], v21 offset:256
	s_add_u32 s4, s4, 16
	v_add_co_u32_e32 v9, vcc, 0x100, v9
	s_waitcnt lgkmcnt(2)
	v_mul_f64 v[39:40], v[27:28], v[5:6]
	v_mul_f64 v[5:6], v[25:26], v[5:6]
	s_waitcnt lgkmcnt(0)
	v_mul_f64 v[43:44], v[31:32], v[35:36]
	v_mul_f64 v[45:46], v[29:30], v[35:36]
	ds_read_b128 v[35:38], v21 offset:512
	s_addc_u32 s5, s5, 0
	v_addc_co_u32_e32 v10, vcc, 0, v10, vcc
	v_fma_f64 v[47:48], v[25:26], v[3:4], -v[39:40]
	v_fma_f64 v[49:50], v[27:28], v[3:4], v[5:6]
	ds_read_b128 v[3:6], v23 offset:32
	ds_read_b128 v[25:28], v23 offset:48
	;; [unrolled: 1-line block ×3, first 2 shown]
	v_fma_f64 v[29:30], v[29:30], v[33:34], -v[43:44]
	v_fma_f64 v[31:32], v[31:32], v[33:34], v[45:46]
	s_waitcnt lgkmcnt(2)
	v_mul_f64 v[33:34], v[5:6], v[37:38]
	v_mul_f64 v[37:38], v[3:4], v[37:38]
	v_add_co_u32_e32 v11, vcc, 0x100, v11
	v_add_f64 v[43:44], v[17:18], v[47:48]
	v_add_f64 v[45:46], v[15:16], v[49:50]
	s_waitcnt lgkmcnt(0)
	v_mul_f64 v[47:48], v[27:28], v[41:42]
	v_mul_f64 v[41:42], v[25:26], v[41:42]
	v_fma_f64 v[49:50], v[3:4], v[35:36], -v[33:34]
	v_fma_f64 v[37:38], v[5:6], v[35:36], v[37:38]
	ds_read_b128 v[15:18], v21 offset:1024
	v_cmp_ge_i64_e64 s[2:3], s[4:5], v[13:14]
	v_add_f64 v[43:44], v[43:44], v[29:30]
	v_add_f64 v[45:46], v[45:46], v[31:32]
	ds_read_b128 v[3:6], v23 offset:64
	ds_read_b128 v[29:32], v23 offset:80
	;; [unrolled: 1-line block ×3, first 2 shown]
	v_fma_f64 v[47:48], v[25:26], v[39:40], -v[47:48]
	v_fma_f64 v[39:40], v[27:28], v[39:40], v[41:42]
	s_waitcnt lgkmcnt(2)
	v_mul_f64 v[41:42], v[5:6], v[17:18]
	v_mul_f64 v[17:18], v[3:4], v[17:18]
	ds_read_b128 v[25:28], v21 offset:1536
	v_add_f64 v[43:44], v[43:44], v[49:50]
	v_add_f64 v[37:38], v[45:46], v[37:38]
	s_waitcnt lgkmcnt(1)
	v_mul_f64 v[45:46], v[31:32], v[35:36]
	v_mul_f64 v[49:50], v[29:30], v[35:36]
	v_addc_co_u32_e32 v12, vcc, 0, v12, vcc
	v_fma_f64 v[41:42], v[3:4], v[15:16], -v[41:42]
	v_fma_f64 v[51:52], v[5:6], v[15:16], v[17:18]
	v_add_f64 v[43:44], v[43:44], v[47:48]
	v_add_f64 v[39:40], v[37:38], v[39:40]
	ds_read_b128 v[3:6], v23 offset:96
	ds_read_b128 v[15:18], v23 offset:112
	;; [unrolled: 1-line block ×3, first 2 shown]
	v_fma_f64 v[45:46], v[29:30], v[33:34], -v[45:46]
	v_fma_f64 v[31:32], v[31:32], v[33:34], v[49:50]
	s_waitcnt lgkmcnt(2)
	v_mul_f64 v[33:34], v[5:6], v[27:28]
	v_mul_f64 v[47:48], v[3:4], v[27:28]
	s_waitcnt lgkmcnt(0)
	v_mul_f64 v[49:50], v[15:16], v[37:38]
	v_add_f64 v[41:42], v[43:44], v[41:42]
	v_add_f64 v[39:40], v[39:40], v[51:52]
	v_mul_f64 v[43:44], v[17:18], v[37:38]
	ds_read_b128 v[27:30], v21 offset:2048
	s_and_b64 vcc, exec, s[2:3]
	v_fma_f64 v[51:52], v[3:4], v[25:26], -v[33:34]
	v_fma_f64 v[25:26], v[5:6], v[25:26], v[47:48]
	v_add_f64 v[41:42], v[41:42], v[45:46]
	v_add_f64 v[45:46], v[39:40], v[31:32]
	ds_read_b128 v[3:6], v23 offset:128
	ds_read_b128 v[31:34], v23 offset:144
	;; [unrolled: 1-line block ×3, first 2 shown]
	v_fma_f64 v[43:44], v[15:16], v[35:36], -v[43:44]
	v_fma_f64 v[35:36], v[17:18], v[35:36], v[49:50]
	s_waitcnt lgkmcnt(2)
	v_mul_f64 v[47:48], v[5:6], v[29:30]
	v_mul_f64 v[29:30], v[3:4], v[29:30]
	s_waitcnt lgkmcnt(0)
	v_mul_f64 v[49:50], v[31:32], v[39:40]
	v_add_f64 v[41:42], v[41:42], v[51:52]
	v_add_f64 v[25:26], v[45:46], v[25:26]
	v_mul_f64 v[45:46], v[33:34], v[39:40]
	ds_read_b128 v[15:18], v21 offset:2560
	v_fma_f64 v[47:48], v[3:4], v[27:28], -v[47:48]
	v_fma_f64 v[29:30], v[5:6], v[27:28], v[29:30]
	v_fma_f64 v[33:34], v[33:34], v[37:38], v[49:50]
	v_add_f64 v[43:44], v[41:42], v[43:44]
	v_add_f64 v[35:36], v[25:26], v[35:36]
	ds_read_b128 v[3:6], v23 offset:160
	ds_read_b128 v[25:28], v23 offset:176
	;; [unrolled: 1-line block ×3, first 2 shown]
	v_fma_f64 v[45:46], v[31:32], v[37:38], -v[45:46]
	s_waitcnt lgkmcnt(2)
	v_mul_f64 v[37:38], v[5:6], v[17:18]
	v_mul_f64 v[17:18], v[3:4], v[17:18]
	v_add_f64 v[43:44], v[43:44], v[47:48]
	v_add_f64 v[35:36], v[35:36], v[29:30]
	s_waitcnt lgkmcnt(0)
	v_mul_f64 v[47:48], v[27:28], v[41:42]
	v_mul_f64 v[41:42], v[25:26], v[41:42]
	ds_read_b128 v[29:32], v21 offset:3072
	v_fma_f64 v[37:38], v[3:4], v[15:16], -v[37:38]
	v_fma_f64 v[49:50], v[5:6], v[15:16], v[17:18]
	v_add_f64 v[43:44], v[43:44], v[45:46]
	v_add_f64 v[45:46], v[35:36], v[33:34]
	ds_read_b128 v[3:6], v23 offset:192
	ds_read_b128 v[15:18], v23 offset:208
	;; [unrolled: 1-line block ×3, first 2 shown]
	v_fma_f64 v[47:48], v[25:26], v[39:40], -v[47:48]
	v_fma_f64 v[39:40], v[27:28], v[39:40], v[41:42]
	s_waitcnt lgkmcnt(2)
	v_mul_f64 v[41:42], v[5:6], v[31:32]
	v_mul_f64 v[31:32], v[3:4], v[31:32]
	ds_read_b128 v[25:28], v21 offset:3584
	v_add_f64 v[37:38], v[43:44], v[37:38]
	v_add_f64 v[43:44], v[45:46], v[49:50]
	s_waitcnt lgkmcnt(1)
	v_mul_f64 v[45:46], v[17:18], v[35:36]
	v_mul_f64 v[49:50], v[15:16], v[35:36]
	v_fma_f64 v[41:42], v[3:4], v[29:30], -v[41:42]
	v_fma_f64 v[51:52], v[5:6], v[29:30], v[31:32]
	v_add_f64 v[47:48], v[37:38], v[47:48]
	v_add_f64 v[39:40], v[43:44], v[39:40]
	ds_read_b128 v[3:6], v23 offset:224
	ds_read_b128 v[29:32], v23 offset:240
	;; [unrolled: 1-line block ×3, first 2 shown]
	v_fma_f64 v[15:16], v[15:16], v[33:34], -v[45:46]
	v_fma_f64 v[17:18], v[17:18], v[33:34], v[49:50]
	s_waitcnt lgkmcnt(2)
	v_mul_f64 v[33:34], v[5:6], v[27:28]
	v_mul_f64 v[27:28], v[3:4], v[27:28]
	s_waitcnt lgkmcnt(0)
	v_mul_f64 v[43:44], v[31:32], v[37:38]
	v_add_f64 v[41:42], v[47:48], v[41:42]
	v_add_f64 v[39:40], v[39:40], v[51:52]
	v_mul_f64 v[37:38], v[29:30], v[37:38]
	s_barrier
	v_fma_f64 v[3:4], v[3:4], v[25:26], -v[33:34]
	v_fma_f64 v[5:6], v[5:6], v[25:26], v[27:28]
	v_fma_f64 v[25:26], v[29:30], v[35:36], -v[43:44]
	v_add_f64 v[15:16], v[41:42], v[15:16]
	v_add_f64 v[17:18], v[39:40], v[17:18]
	v_fma_f64 v[27:28], v[31:32], v[35:36], v[37:38]
	v_add_f64 v[3:4], v[15:16], v[3:4]
	v_add_f64 v[5:6], v[17:18], v[5:6]
	;; [unrolled: 1-line block ×4, first 2 shown]
	s_cbranch_vccnz .LBB1212_10
.LBB1212_3:                             ; =>This Inner Loop Header: Depth=1
	v_mov_b32_e32 v4, s5
	v_add_co_u32_e32 v3, vcc, s4, v1
	v_addc_co_u32_e32 v4, vcc, 0, v4, vcc
	v_cmp_gt_i64_e32 vcc, s[12:13], v[3:4]
	v_mov_b32_e32 v3, 0
	v_mov_b32_e32 v5, 0
	;; [unrolled: 1-line block ×4, first 2 shown]
	s_and_b64 s[10:11], s[0:1], vcc
	s_and_saveexec_b64 s[2:3], s[10:11]
	s_cbranch_execz .LBB1212_5
; %bb.4:                                ;   in Loop: Header=BB1212_3 Depth=1
	global_load_dwordx4 v[3:6], v[11:12], off offset:-8
.LBB1212_5:                             ;   in Loop: Header=BB1212_3 Depth=1
	s_or_b64 exec, exec, s[2:3]
	v_mov_b32_e32 v26, s5
	v_add_co_u32_e32 v25, vcc, s4, v0
	v_addc_co_u32_e32 v26, vcc, 0, v26, vcc
	v_cmp_le_i64_e32 vcc, s[12:13], v[25:26]
	s_waitcnt vmcnt(0)
	ds_write_b128 v22, v[3:6]
	s_or_b64 s[2:3], s[6:7], vcc
	s_and_saveexec_b64 s[10:11], s[2:3]
	s_xor_b64 s[2:3], exec, s[10:11]
; %bb.6:                                ;   in Loop: Header=BB1212_3 Depth=1
	v_mov_b32_e32 v3, v2
	v_mov_b32_e32 v4, v2
	;; [unrolled: 1-line block ×3, first 2 shown]
	ds_write_b128 v24, v[2:5]
; %bb.7:                                ;   in Loop: Header=BB1212_3 Depth=1
	s_andn2_saveexec_b64 s[2:3], s[2:3]
	s_cbranch_execz .LBB1212_2
; %bb.8:                                ;   in Loop: Header=BB1212_3 Depth=1
	global_load_dwordx4 v[3:6], v[9:10], off
	s_waitcnt vmcnt(0)
	ds_write2_b64 v24, v[3:4], v[5:6] offset1:1
	s_branch .LBB1212_2
.LBB1212_9:
	v_mov_b32_e32 v15, 0
	v_mov_b32_e32 v17, 0
	v_mov_b32_e32 v16, 0
	v_mov_b32_e32 v18, 0
.LBB1212_10:
	v_cmp_le_i32_e32 vcc, v19, v7
	v_cmp_gt_i32_e64 s[0:1], s9, v7
	s_and_b64 s[0:1], vcc, s[0:1]
	s_and_saveexec_b64 s[2:3], s[0:1]
	s_cbranch_execz .LBB1212_12
; %bb.11:
	v_mul_lo_u32 v2, s29, v19
	v_mul_lo_u32 v3, s28, v20
	v_mad_u64_u32 v[0:1], s[2:3], s28, v19, 0
	s_mul_i32 s0, s31, s8
	s_mul_hi_u32 s1, s30, s8
	s_add_i32 s1, s1, s0
	s_mul_i32 s0, s30, s8
	s_lshl_b64 s[0:1], s[0:1], 4
	v_add3_u32 v1, v1, v3, v2
	s_add_u32 s0, s42, s0
	v_lshlrev_b64 v[0:1], 4, v[0:1]
	s_addc_u32 s1, s43, s1
	v_mov_b32_e32 v2, s1
	v_add_co_u32_e32 v3, vcc, s0, v0
	v_addc_co_u32_e32 v2, vcc, v2, v1, vcc
	v_lshlrev_b64 v[0:1], 4, v[7:8]
	v_mul_f64 v[6:7], s[16:17], v[15:16]
	v_add_co_u32_e32 v4, vcc, v3, v0
	v_addc_co_u32_e32 v5, vcc, v2, v1, vcc
	global_load_dwordx4 v[0:3], v[4:5], off
	v_mul_f64 v[8:9], s[14:15], v[15:16]
	v_fma_f64 v[6:7], s[14:15], v[17:18], -v[6:7]
	v_fma_f64 v[8:9], s[16:17], v[17:18], v[8:9]
	s_waitcnt vmcnt(0)
	v_mul_f64 v[10:11], s[40:41], v[2:3]
	v_mul_f64 v[2:3], s[38:39], v[2:3]
	v_fma_f64 v[10:11], s[38:39], v[0:1], -v[10:11]
	v_fma_f64 v[2:3], s[40:41], v[0:1], v[2:3]
	v_add_f64 v[0:1], v[6:7], v[10:11]
	v_add_f64 v[2:3], v[8:9], v[2:3]
	global_store_dwordx4 v[4:5], v[0:3], off
.LBB1212_12:
	s_endpgm
	.section	.rodata,"a",@progbits
	.p2align	6, 0x0
	.amdhsa_kernel _ZL32rocblas_syrkx_herkx_small_kernelIl19rocblas_complex_numIdELi16ELb0ELb0ELc67ELc76EKS1_S1_EviT_T0_PT6_S3_lS6_S3_lS4_PT7_S3_li
		.amdhsa_group_segment_fixed_size 8192
		.amdhsa_private_segment_fixed_size 0
		.amdhsa_kernarg_size 124
		.amdhsa_user_sgpr_count 6
		.amdhsa_user_sgpr_private_segment_buffer 1
		.amdhsa_user_sgpr_dispatch_ptr 0
		.amdhsa_user_sgpr_queue_ptr 0
		.amdhsa_user_sgpr_kernarg_segment_ptr 1
		.amdhsa_user_sgpr_dispatch_id 0
		.amdhsa_user_sgpr_flat_scratch_init 0
		.amdhsa_user_sgpr_private_segment_size 0
		.amdhsa_uses_dynamic_stack 0
		.amdhsa_system_sgpr_private_segment_wavefront_offset 0
		.amdhsa_system_sgpr_workgroup_id_x 1
		.amdhsa_system_sgpr_workgroup_id_y 1
		.amdhsa_system_sgpr_workgroup_id_z 1
		.amdhsa_system_sgpr_workgroup_info 0
		.amdhsa_system_vgpr_workitem_id 1
		.amdhsa_next_free_vgpr 53
		.amdhsa_next_free_sgpr 61
		.amdhsa_reserve_vcc 1
		.amdhsa_reserve_flat_scratch 0
		.amdhsa_float_round_mode_32 0
		.amdhsa_float_round_mode_16_64 0
		.amdhsa_float_denorm_mode_32 3
		.amdhsa_float_denorm_mode_16_64 3
		.amdhsa_dx10_clamp 1
		.amdhsa_ieee_mode 1
		.amdhsa_fp16_overflow 0
		.amdhsa_exception_fp_ieee_invalid_op 0
		.amdhsa_exception_fp_denorm_src 0
		.amdhsa_exception_fp_ieee_div_zero 0
		.amdhsa_exception_fp_ieee_overflow 0
		.amdhsa_exception_fp_ieee_underflow 0
		.amdhsa_exception_fp_ieee_inexact 0
		.amdhsa_exception_int_div_zero 0
	.end_amdhsa_kernel
	.section	.text._ZL32rocblas_syrkx_herkx_small_kernelIl19rocblas_complex_numIdELi16ELb0ELb0ELc67ELc76EKS1_S1_EviT_T0_PT6_S3_lS6_S3_lS4_PT7_S3_li,"axG",@progbits,_ZL32rocblas_syrkx_herkx_small_kernelIl19rocblas_complex_numIdELi16ELb0ELb0ELc67ELc76EKS1_S1_EviT_T0_PT6_S3_lS6_S3_lS4_PT7_S3_li,comdat
.Lfunc_end1212:
	.size	_ZL32rocblas_syrkx_herkx_small_kernelIl19rocblas_complex_numIdELi16ELb0ELb0ELc67ELc76EKS1_S1_EviT_T0_PT6_S3_lS6_S3_lS4_PT7_S3_li, .Lfunc_end1212-_ZL32rocblas_syrkx_herkx_small_kernelIl19rocblas_complex_numIdELi16ELb0ELb0ELc67ELc76EKS1_S1_EviT_T0_PT6_S3_lS6_S3_lS4_PT7_S3_li
                                        ; -- End function
	.set _ZL32rocblas_syrkx_herkx_small_kernelIl19rocblas_complex_numIdELi16ELb0ELb0ELc67ELc76EKS1_S1_EviT_T0_PT6_S3_lS6_S3_lS4_PT7_S3_li.num_vgpr, 53
	.set _ZL32rocblas_syrkx_herkx_small_kernelIl19rocblas_complex_numIdELi16ELb0ELb0ELc67ELc76EKS1_S1_EviT_T0_PT6_S3_lS6_S3_lS4_PT7_S3_li.num_agpr, 0
	.set _ZL32rocblas_syrkx_herkx_small_kernelIl19rocblas_complex_numIdELi16ELb0ELb0ELc67ELc76EKS1_S1_EviT_T0_PT6_S3_lS6_S3_lS4_PT7_S3_li.numbered_sgpr, 44
	.set _ZL32rocblas_syrkx_herkx_small_kernelIl19rocblas_complex_numIdELi16ELb0ELb0ELc67ELc76EKS1_S1_EviT_T0_PT6_S3_lS6_S3_lS4_PT7_S3_li.num_named_barrier, 0
	.set _ZL32rocblas_syrkx_herkx_small_kernelIl19rocblas_complex_numIdELi16ELb0ELb0ELc67ELc76EKS1_S1_EviT_T0_PT6_S3_lS6_S3_lS4_PT7_S3_li.private_seg_size, 0
	.set _ZL32rocblas_syrkx_herkx_small_kernelIl19rocblas_complex_numIdELi16ELb0ELb0ELc67ELc76EKS1_S1_EviT_T0_PT6_S3_lS6_S3_lS4_PT7_S3_li.uses_vcc, 1
	.set _ZL32rocblas_syrkx_herkx_small_kernelIl19rocblas_complex_numIdELi16ELb0ELb0ELc67ELc76EKS1_S1_EviT_T0_PT6_S3_lS6_S3_lS4_PT7_S3_li.uses_flat_scratch, 0
	.set _ZL32rocblas_syrkx_herkx_small_kernelIl19rocblas_complex_numIdELi16ELb0ELb0ELc67ELc76EKS1_S1_EviT_T0_PT6_S3_lS6_S3_lS4_PT7_S3_li.has_dyn_sized_stack, 0
	.set _ZL32rocblas_syrkx_herkx_small_kernelIl19rocblas_complex_numIdELi16ELb0ELb0ELc67ELc76EKS1_S1_EviT_T0_PT6_S3_lS6_S3_lS4_PT7_S3_li.has_recursion, 0
	.set _ZL32rocblas_syrkx_herkx_small_kernelIl19rocblas_complex_numIdELi16ELb0ELb0ELc67ELc76EKS1_S1_EviT_T0_PT6_S3_lS6_S3_lS4_PT7_S3_li.has_indirect_call, 0
	.section	.AMDGPU.csdata,"",@progbits
; Kernel info:
; codeLenInByte = 1944
; TotalNumSgprs: 48
; NumVgprs: 53
; ScratchSize: 0
; MemoryBound: 1
; FloatMode: 240
; IeeeMode: 1
; LDSByteSize: 8192 bytes/workgroup (compile time only)
; SGPRBlocks: 8
; VGPRBlocks: 13
; NumSGPRsForWavesPerEU: 65
; NumVGPRsForWavesPerEU: 53
; Occupancy: 4
; WaveLimiterHint : 0
; COMPUTE_PGM_RSRC2:SCRATCH_EN: 0
; COMPUTE_PGM_RSRC2:USER_SGPR: 6
; COMPUTE_PGM_RSRC2:TRAP_HANDLER: 0
; COMPUTE_PGM_RSRC2:TGID_X_EN: 1
; COMPUTE_PGM_RSRC2:TGID_Y_EN: 1
; COMPUTE_PGM_RSRC2:TGID_Z_EN: 1
; COMPUTE_PGM_RSRC2:TIDIG_COMP_CNT: 1
	.section	.text._ZL32rocblas_syrkx_herkx_small_kernelIl19rocblas_complex_numIdELi16ELb0ELb0ELc78ELc76EKS1_S1_EviT_T0_PT6_S3_lS6_S3_lS4_PT7_S3_li,"axG",@progbits,_ZL32rocblas_syrkx_herkx_small_kernelIl19rocblas_complex_numIdELi16ELb0ELb0ELc78ELc76EKS1_S1_EviT_T0_PT6_S3_lS6_S3_lS4_PT7_S3_li,comdat
	.globl	_ZL32rocblas_syrkx_herkx_small_kernelIl19rocblas_complex_numIdELi16ELb0ELb0ELc78ELc76EKS1_S1_EviT_T0_PT6_S3_lS6_S3_lS4_PT7_S3_li ; -- Begin function _ZL32rocblas_syrkx_herkx_small_kernelIl19rocblas_complex_numIdELi16ELb0ELb0ELc78ELc76EKS1_S1_EviT_T0_PT6_S3_lS6_S3_lS4_PT7_S3_li
	.p2align	8
	.type	_ZL32rocblas_syrkx_herkx_small_kernelIl19rocblas_complex_numIdELi16ELb0ELb0ELc78ELc76EKS1_S1_EviT_T0_PT6_S3_lS6_S3_lS4_PT7_S3_li,@function
_ZL32rocblas_syrkx_herkx_small_kernelIl19rocblas_complex_numIdELi16ELb0ELb0ELc78ELc76EKS1_S1_EviT_T0_PT6_S3_lS6_S3_lS4_PT7_S3_li: ; @_ZL32rocblas_syrkx_herkx_small_kernelIl19rocblas_complex_numIdELi16ELb0ELb0ELc78ELc76EKS1_S1_EviT_T0_PT6_S3_lS6_S3_lS4_PT7_S3_li
; %bb.0:
	s_load_dwordx16 s[12:27], s[4:5], 0x8
	s_load_dword s9, s[4:5], 0x0
	s_load_dwordx4 s[28:31], s[4:5], 0x68
	s_load_dwordx8 s[36:43], s[4:5], 0x48
	v_lshl_add_u32 v7, s6, 4, v0
	s_waitcnt lgkmcnt(0)
	v_cmp_lt_i64_e64 s[0:1], s[12:13], 1
	v_lshl_add_u32 v9, s7, 4, v1
	s_and_b64 vcc, exec, s[0:1]
	v_cmp_gt_i32_e64 s[2:3], s9, v7
	v_ashrrev_i32_e32 v8, 31, v7
	v_ashrrev_i32_e32 v10, 31, v9
	s_cbranch_vccnz .LBB1213_9
; %bb.1:
	v_lshlrev_b32_e32 v3, 8, v1
	v_lshlrev_b32_e32 v21, 4, v0
	v_add_u32_e32 v22, v21, v3
	v_add_u32_e32 v23, 0x1000, v3
	v_mad_u64_u32 v[3:4], s[4:5], s26, v0, 0
	s_mul_i32 s6, s37, s8
	s_mul_hi_u32 s7, s36, s8
	v_mad_u64_u32 v[4:5], s[4:5], s27, v0, v[4:5]
	s_add_i32 s5, s7, s6
	s_mul_i32 s4, s36, s8
	v_lshlrev_b64 v[3:4], 4, v[3:4]
	s_lshl_b64 s[4:5], s[4:5], 4
	v_mov_b32_e32 v5, s5
	v_add_co_u32_e32 v6, vcc, s4, v3
	v_addc_co_u32_e32 v5, vcc, v5, v4, vcc
	v_lshlrev_b64 v[3:4], 4, v[9:10]
	s_mul_i32 s10, s23, s8
	v_add_co_u32_e32 v3, vcc, v6, v3
	v_addc_co_u32_e32 v4, vcc, v5, v4, vcc
	v_mov_b32_e32 v5, s25
	v_add_co_u32_e32 v3, vcc, s24, v3
	v_addc_co_u32_e32 v4, vcc, v5, v4, vcc
	v_add_co_u32_e32 v11, vcc, 8, v3
	v_addc_co_u32_e32 v12, vcc, 0, v4, vcc
	v_mad_u64_u32 v[3:4], s[4:5], s20, v1, 0
	s_mul_hi_u32 s11, s22, s8
	s_lshl_b64 s[4:5], s[26:27], 8
	v_mad_u64_u32 v[4:5], s[6:7], s21, v1, v[4:5]
	s_add_i32 s7, s11, s10
	s_mul_i32 s6, s22, s8
	v_lshlrev_b64 v[3:4], 4, v[3:4]
	s_lshl_b64 s[6:7], s[6:7], 4
	v_mov_b32_e32 v5, s7
	v_add_co_u32_e32 v6, vcc, s6, v3
	v_addc_co_u32_e32 v5, vcc, v5, v4, vcc
	v_lshlrev_b64 v[3:4], 4, v[7:8]
	s_lshl_b64 s[6:7], s[20:21], 8
	v_add_co_u32_e32 v3, vcc, v6, v3
	v_addc_co_u32_e32 v4, vcc, v5, v4, vcc
	v_mov_b32_e32 v5, s19
	v_add_co_u32_e32 v13, vcc, s18, v3
	v_mov_b32_e32 v17, 0
	v_mov_b32_e32 v19, 0
	v_mov_b32_e32 v16, s13
	v_mov_b32_e32 v2, 0
	v_cmp_gt_i32_e64 s[0:1], s9, v9
	v_add_u32_e32 v24, v23, v21
	v_addc_co_u32_e32 v14, vcc, v5, v4, vcc
	v_mov_b32_e32 v18, 0
	s_mov_b64 s[10:11], 0
	s_xor_b64 s[18:19], s[2:3], -1
	v_mov_b32_e32 v25, s5
	v_mov_b32_e32 v26, s7
	;; [unrolled: 1-line block ×4, first 2 shown]
	s_branch .LBB1213_3
.LBB1213_2:                             ;   in Loop: Header=BB1213_3 Depth=1
	s_or_b64 exec, exec, s[2:3]
	s_waitcnt vmcnt(0)
	ds_write_b128 v24, v[3:6]
	s_waitcnt lgkmcnt(0)
	s_barrier
	ds_read_b128 v[3:6], v21
	ds_read_b128 v[27:30], v23
	ds_read_b128 v[31:34], v23 offset:16
	ds_read_b128 v[35:38], v21 offset:256
	s_add_u32 s10, s10, 16
	v_add_co_u32_e32 v11, vcc, s4, v11
	s_waitcnt lgkmcnt(2)
	v_mul_f64 v[39:40], v[29:30], v[5:6]
	v_mul_f64 v[5:6], v[27:28], v[5:6]
	s_waitcnt lgkmcnt(0)
	v_mul_f64 v[41:42], v[33:34], v[37:38]
	v_mul_f64 v[43:44], v[31:32], v[37:38]
	v_addc_co_u32_e32 v12, vcc, v12, v25, vcc
	s_addc_u32 s11, s11, 0
	v_cmp_ge_i64_e32 vcc, s[10:11], v[15:16]
	v_fma_f64 v[45:46], v[27:28], v[3:4], -v[39:40]
	v_fma_f64 v[47:48], v[29:30], v[3:4], v[5:6]
	ds_read_b128 v[3:6], v21 offset:512
	ds_read_b128 v[27:30], v23 offset:32
	;; [unrolled: 1-line block ×3, first 2 shown]
	v_fma_f64 v[41:42], v[31:32], v[35:36], -v[41:42]
	v_fma_f64 v[35:36], v[33:34], v[35:36], v[43:44]
	ds_read_b128 v[31:34], v21 offset:768
	s_waitcnt lgkmcnt(2)
	v_mul_f64 v[43:44], v[29:30], v[5:6]
	v_mul_f64 v[5:6], v[27:28], v[5:6]
	v_add_f64 v[19:20], v[19:20], v[45:46]
	v_add_f64 v[17:18], v[17:18], v[47:48]
	s_waitcnt lgkmcnt(0)
	v_mul_f64 v[45:46], v[39:40], v[33:34]
	v_mul_f64 v[33:34], v[37:38], v[33:34]
	v_add_co_u32_e64 v13, s[2:3], s6, v13
	v_fma_f64 v[43:44], v[27:28], v[3:4], -v[43:44]
	v_fma_f64 v[47:48], v[29:30], v[3:4], v[5:6]
	v_add_f64 v[41:42], v[19:20], v[41:42]
	v_add_f64 v[35:36], v[17:18], v[35:36]
	ds_read_b128 v[3:6], v23 offset:64
	ds_read_b128 v[17:20], v21 offset:1024
	v_fma_f64 v[37:38], v[37:38], v[31:32], -v[45:46]
	v_fma_f64 v[39:40], v[39:40], v[31:32], v[33:34]
	ds_read_b128 v[27:30], v23 offset:80
	ds_read_b128 v[31:34], v21 offset:1280
	v_addc_co_u32_e64 v14, s[2:3], v14, v26, s[2:3]
	s_waitcnt lgkmcnt(2)
	v_mul_f64 v[45:46], v[5:6], v[19:20]
	v_mul_f64 v[19:20], v[3:4], v[19:20]
	v_add_f64 v[41:42], v[41:42], v[43:44]
	v_add_f64 v[35:36], v[35:36], v[47:48]
	s_waitcnt lgkmcnt(0)
	v_mul_f64 v[43:44], v[29:30], v[33:34]
	v_mul_f64 v[33:34], v[27:28], v[33:34]
	s_and_b64 vcc, exec, vcc
	v_fma_f64 v[45:46], v[3:4], v[17:18], -v[45:46]
	v_fma_f64 v[47:48], v[5:6], v[17:18], v[19:20]
	v_add_f64 v[37:38], v[41:42], v[37:38]
	v_add_f64 v[35:36], v[35:36], v[39:40]
	ds_read_b128 v[3:6], v23 offset:96
	ds_read_b128 v[17:20], v21 offset:1536
	v_fma_f64 v[39:40], v[27:28], v[31:32], -v[43:44]
	v_fma_f64 v[41:42], v[29:30], v[31:32], v[33:34]
	ds_read_b128 v[27:30], v23 offset:112
	ds_read_b128 v[31:34], v21 offset:1792
	s_waitcnt lgkmcnt(2)
	v_mul_f64 v[43:44], v[5:6], v[19:20]
	v_mul_f64 v[19:20], v[3:4], v[19:20]
	v_add_f64 v[37:38], v[37:38], v[45:46]
	v_add_f64 v[35:36], v[35:36], v[47:48]
	s_waitcnt lgkmcnt(0)
	v_mul_f64 v[45:46], v[29:30], v[33:34]
	v_mul_f64 v[33:34], v[27:28], v[33:34]
	v_fma_f64 v[43:44], v[3:4], v[17:18], -v[43:44]
	v_fma_f64 v[47:48], v[5:6], v[17:18], v[19:20]
	v_add_f64 v[37:38], v[37:38], v[39:40]
	v_add_f64 v[35:36], v[35:36], v[41:42]
	ds_read_b128 v[3:6], v23 offset:128
	ds_read_b128 v[17:20], v21 offset:2048
	v_fma_f64 v[39:40], v[27:28], v[31:32], -v[45:46]
	v_fma_f64 v[41:42], v[29:30], v[31:32], v[33:34]
	ds_read_b128 v[27:30], v23 offset:144
	ds_read_b128 v[31:34], v21 offset:2304
	s_waitcnt lgkmcnt(2)
	v_mul_f64 v[45:46], v[5:6], v[19:20]
	v_mul_f64 v[19:20], v[3:4], v[19:20]
	v_add_f64 v[37:38], v[37:38], v[43:44]
	v_add_f64 v[35:36], v[35:36], v[47:48]
	s_waitcnt lgkmcnt(0)
	v_mul_f64 v[43:44], v[29:30], v[33:34]
	v_mul_f64 v[33:34], v[27:28], v[33:34]
	;; [unrolled: 18-line block ×4, first 2 shown]
	v_fma_f64 v[45:46], v[3:4], v[17:18], -v[45:46]
	v_fma_f64 v[47:48], v[5:6], v[17:18], v[19:20]
	v_add_f64 v[37:38], v[37:38], v[39:40]
	v_add_f64 v[35:36], v[35:36], v[41:42]
	ds_read_b128 v[3:6], v23 offset:224
	ds_read_b128 v[17:20], v21 offset:3584
	v_fma_f64 v[39:40], v[27:28], v[31:32], -v[43:44]
	v_fma_f64 v[41:42], v[29:30], v[31:32], v[33:34]
	ds_read_b128 v[27:30], v23 offset:240
	ds_read_b128 v[31:34], v21 offset:3840
	s_waitcnt lgkmcnt(0)
	v_mul_f64 v[43:44], v[5:6], v[19:20]
	v_mul_f64 v[19:20], v[3:4], v[19:20]
	v_add_f64 v[37:38], v[37:38], v[45:46]
	v_add_f64 v[35:36], v[35:36], v[47:48]
	v_mul_f64 v[45:46], v[29:30], v[33:34]
	v_mul_f64 v[33:34], v[27:28], v[33:34]
	s_barrier
	v_fma_f64 v[3:4], v[3:4], v[17:18], -v[43:44]
	v_fma_f64 v[5:6], v[5:6], v[17:18], v[19:20]
	v_add_f64 v[17:18], v[37:38], v[39:40]
	v_add_f64 v[19:20], v[35:36], v[41:42]
	v_fma_f64 v[27:28], v[27:28], v[31:32], -v[45:46]
	v_fma_f64 v[29:30], v[29:30], v[31:32], v[33:34]
	v_add_f64 v[3:4], v[17:18], v[3:4]
	v_add_f64 v[5:6], v[19:20], v[5:6]
	;; [unrolled: 1-line block ×4, first 2 shown]
	s_cbranch_vccnz .LBB1213_10
.LBB1213_3:                             ; =>This Inner Loop Header: Depth=1
	v_mov_b32_e32 v4, s11
	v_add_co_u32_e32 v3, vcc, s10, v1
	v_addc_co_u32_e32 v4, vcc, 0, v4, vcc
	v_cmp_le_i64_e32 vcc, s[12:13], v[3:4]
	s_or_b64 s[2:3], s[18:19], vcc
	s_and_saveexec_b64 s[20:21], s[2:3]
	s_xor_b64 s[2:3], exec, s[20:21]
; %bb.4:                                ;   in Loop: Header=BB1213_3 Depth=1
	v_mov_b32_e32 v3, v2
	v_mov_b32_e32 v4, v2
	v_mov_b32_e32 v5, v2
	ds_write_b128 v22, v[2:5]
; %bb.5:                                ;   in Loop: Header=BB1213_3 Depth=1
	s_andn2_saveexec_b64 s[2:3], s[2:3]
	s_cbranch_execz .LBB1213_7
; %bb.6:                                ;   in Loop: Header=BB1213_3 Depth=1
	global_load_dwordx4 v[3:6], v[13:14], off
	s_waitcnt vmcnt(0)
	ds_write2_b64 v22, v[3:4], v[5:6] offset1:1
.LBB1213_7:                             ;   in Loop: Header=BB1213_3 Depth=1
	s_or_b64 exec, exec, s[2:3]
	v_mov_b32_e32 v4, s11
	v_add_co_u32_e32 v3, vcc, s10, v0
	v_addc_co_u32_e32 v4, vcc, 0, v4, vcc
	v_cmp_gt_i64_e32 vcc, s[12:13], v[3:4]
	v_mov_b32_e32 v3, 0
	v_mov_b32_e32 v5, 0
	;; [unrolled: 1-line block ×4, first 2 shown]
	s_and_b64 s[20:21], s[0:1], vcc
	s_and_saveexec_b64 s[2:3], s[20:21]
	s_cbranch_execz .LBB1213_2
; %bb.8:                                ;   in Loop: Header=BB1213_3 Depth=1
	global_load_dwordx4 v[3:6], v[11:12], off offset:-8
	s_branch .LBB1213_2
.LBB1213_9:
	v_mov_b32_e32 v17, 0
	v_mov_b32_e32 v19, 0
	;; [unrolled: 1-line block ×4, first 2 shown]
.LBB1213_10:
	v_cmp_le_i32_e32 vcc, v9, v7
	v_cmp_gt_i32_e64 s[0:1], s9, v7
	s_and_b64 s[0:1], vcc, s[0:1]
	s_and_saveexec_b64 s[2:3], s[0:1]
	s_cbranch_execz .LBB1213_12
; %bb.11:
	v_mul_lo_u32 v2, s29, v9
	v_mul_lo_u32 v3, s28, v10
	v_mad_u64_u32 v[0:1], s[2:3], s28, v9, 0
	s_mul_i32 s0, s31, s8
	s_mul_hi_u32 s1, s30, s8
	s_add_i32 s1, s1, s0
	s_mul_i32 s0, s30, s8
	s_lshl_b64 s[0:1], s[0:1], 4
	v_add3_u32 v1, v1, v3, v2
	s_add_u32 s0, s42, s0
	v_lshlrev_b64 v[0:1], 4, v[0:1]
	s_addc_u32 s1, s43, s1
	v_mov_b32_e32 v2, s1
	v_add_co_u32_e32 v3, vcc, s0, v0
	v_addc_co_u32_e32 v2, vcc, v2, v1, vcc
	v_lshlrev_b64 v[0:1], 4, v[7:8]
	v_mul_f64 v[6:7], s[16:17], v[17:18]
	v_add_co_u32_e32 v4, vcc, v3, v0
	v_addc_co_u32_e32 v5, vcc, v2, v1, vcc
	global_load_dwordx4 v[0:3], v[4:5], off
	v_mul_f64 v[8:9], s[14:15], v[17:18]
	v_fma_f64 v[6:7], s[14:15], v[19:20], -v[6:7]
	v_fma_f64 v[8:9], s[16:17], v[19:20], v[8:9]
	s_waitcnt vmcnt(0)
	v_mul_f64 v[10:11], s[40:41], v[2:3]
	v_mul_f64 v[2:3], s[38:39], v[2:3]
	v_fma_f64 v[10:11], s[38:39], v[0:1], -v[10:11]
	v_fma_f64 v[2:3], s[40:41], v[0:1], v[2:3]
	v_add_f64 v[0:1], v[6:7], v[10:11]
	v_add_f64 v[2:3], v[8:9], v[2:3]
	global_store_dwordx4 v[4:5], v[0:3], off
.LBB1213_12:
	s_endpgm
	.section	.rodata,"a",@progbits
	.p2align	6, 0x0
	.amdhsa_kernel _ZL32rocblas_syrkx_herkx_small_kernelIl19rocblas_complex_numIdELi16ELb0ELb0ELc78ELc76EKS1_S1_EviT_T0_PT6_S3_lS6_S3_lS4_PT7_S3_li
		.amdhsa_group_segment_fixed_size 8192
		.amdhsa_private_segment_fixed_size 0
		.amdhsa_kernarg_size 124
		.amdhsa_user_sgpr_count 6
		.amdhsa_user_sgpr_private_segment_buffer 1
		.amdhsa_user_sgpr_dispatch_ptr 0
		.amdhsa_user_sgpr_queue_ptr 0
		.amdhsa_user_sgpr_kernarg_segment_ptr 1
		.amdhsa_user_sgpr_dispatch_id 0
		.amdhsa_user_sgpr_flat_scratch_init 0
		.amdhsa_user_sgpr_private_segment_size 0
		.amdhsa_uses_dynamic_stack 0
		.amdhsa_system_sgpr_private_segment_wavefront_offset 0
		.amdhsa_system_sgpr_workgroup_id_x 1
		.amdhsa_system_sgpr_workgroup_id_y 1
		.amdhsa_system_sgpr_workgroup_id_z 1
		.amdhsa_system_sgpr_workgroup_info 0
		.amdhsa_system_vgpr_workitem_id 1
		.amdhsa_next_free_vgpr 49
		.amdhsa_next_free_sgpr 61
		.amdhsa_reserve_vcc 1
		.amdhsa_reserve_flat_scratch 0
		.amdhsa_float_round_mode_32 0
		.amdhsa_float_round_mode_16_64 0
		.amdhsa_float_denorm_mode_32 3
		.amdhsa_float_denorm_mode_16_64 3
		.amdhsa_dx10_clamp 1
		.amdhsa_ieee_mode 1
		.amdhsa_fp16_overflow 0
		.amdhsa_exception_fp_ieee_invalid_op 0
		.amdhsa_exception_fp_denorm_src 0
		.amdhsa_exception_fp_ieee_div_zero 0
		.amdhsa_exception_fp_ieee_overflow 0
		.amdhsa_exception_fp_ieee_underflow 0
		.amdhsa_exception_fp_ieee_inexact 0
		.amdhsa_exception_int_div_zero 0
	.end_amdhsa_kernel
	.section	.text._ZL32rocblas_syrkx_herkx_small_kernelIl19rocblas_complex_numIdELi16ELb0ELb0ELc78ELc76EKS1_S1_EviT_T0_PT6_S3_lS6_S3_lS4_PT7_S3_li,"axG",@progbits,_ZL32rocblas_syrkx_herkx_small_kernelIl19rocblas_complex_numIdELi16ELb0ELb0ELc78ELc76EKS1_S1_EviT_T0_PT6_S3_lS6_S3_lS4_PT7_S3_li,comdat
.Lfunc_end1213:
	.size	_ZL32rocblas_syrkx_herkx_small_kernelIl19rocblas_complex_numIdELi16ELb0ELb0ELc78ELc76EKS1_S1_EviT_T0_PT6_S3_lS6_S3_lS4_PT7_S3_li, .Lfunc_end1213-_ZL32rocblas_syrkx_herkx_small_kernelIl19rocblas_complex_numIdELi16ELb0ELb0ELc78ELc76EKS1_S1_EviT_T0_PT6_S3_lS6_S3_lS4_PT7_S3_li
                                        ; -- End function
	.set _ZL32rocblas_syrkx_herkx_small_kernelIl19rocblas_complex_numIdELi16ELb0ELb0ELc78ELc76EKS1_S1_EviT_T0_PT6_S3_lS6_S3_lS4_PT7_S3_li.num_vgpr, 49
	.set _ZL32rocblas_syrkx_herkx_small_kernelIl19rocblas_complex_numIdELi16ELb0ELb0ELc78ELc76EKS1_S1_EviT_T0_PT6_S3_lS6_S3_lS4_PT7_S3_li.num_agpr, 0
	.set _ZL32rocblas_syrkx_herkx_small_kernelIl19rocblas_complex_numIdELi16ELb0ELb0ELc78ELc76EKS1_S1_EviT_T0_PT6_S3_lS6_S3_lS4_PT7_S3_li.numbered_sgpr, 44
	.set _ZL32rocblas_syrkx_herkx_small_kernelIl19rocblas_complex_numIdELi16ELb0ELb0ELc78ELc76EKS1_S1_EviT_T0_PT6_S3_lS6_S3_lS4_PT7_S3_li.num_named_barrier, 0
	.set _ZL32rocblas_syrkx_herkx_small_kernelIl19rocblas_complex_numIdELi16ELb0ELb0ELc78ELc76EKS1_S1_EviT_T0_PT6_S3_lS6_S3_lS4_PT7_S3_li.private_seg_size, 0
	.set _ZL32rocblas_syrkx_herkx_small_kernelIl19rocblas_complex_numIdELi16ELb0ELb0ELc78ELc76EKS1_S1_EviT_T0_PT6_S3_lS6_S3_lS4_PT7_S3_li.uses_vcc, 1
	.set _ZL32rocblas_syrkx_herkx_small_kernelIl19rocblas_complex_numIdELi16ELb0ELb0ELc78ELc76EKS1_S1_EviT_T0_PT6_S3_lS6_S3_lS4_PT7_S3_li.uses_flat_scratch, 0
	.set _ZL32rocblas_syrkx_herkx_small_kernelIl19rocblas_complex_numIdELi16ELb0ELb0ELc78ELc76EKS1_S1_EviT_T0_PT6_S3_lS6_S3_lS4_PT7_S3_li.has_dyn_sized_stack, 0
	.set _ZL32rocblas_syrkx_herkx_small_kernelIl19rocblas_complex_numIdELi16ELb0ELb0ELc78ELc76EKS1_S1_EviT_T0_PT6_S3_lS6_S3_lS4_PT7_S3_li.has_recursion, 0
	.set _ZL32rocblas_syrkx_herkx_small_kernelIl19rocblas_complex_numIdELi16ELb0ELb0ELc78ELc76EKS1_S1_EviT_T0_PT6_S3_lS6_S3_lS4_PT7_S3_li.has_indirect_call, 0
	.section	.AMDGPU.csdata,"",@progbits
; Kernel info:
; codeLenInByte = 1880
; TotalNumSgprs: 48
; NumVgprs: 49
; ScratchSize: 0
; MemoryBound: 1
; FloatMode: 240
; IeeeMode: 1
; LDSByteSize: 8192 bytes/workgroup (compile time only)
; SGPRBlocks: 8
; VGPRBlocks: 12
; NumSGPRsForWavesPerEU: 65
; NumVGPRsForWavesPerEU: 49
; Occupancy: 4
; WaveLimiterHint : 0
; COMPUTE_PGM_RSRC2:SCRATCH_EN: 0
; COMPUTE_PGM_RSRC2:USER_SGPR: 6
; COMPUTE_PGM_RSRC2:TRAP_HANDLER: 0
; COMPUTE_PGM_RSRC2:TGID_X_EN: 1
; COMPUTE_PGM_RSRC2:TGID_Y_EN: 1
; COMPUTE_PGM_RSRC2:TGID_Z_EN: 1
; COMPUTE_PGM_RSRC2:TIDIG_COMP_CNT: 1
	.section	.text._ZL32rocblas_syrkx_herkx_small_kernelIl19rocblas_complex_numIdELi16ELb0ELb0ELc84ELc85EKS1_S1_EviT_T0_PT6_S3_lS6_S3_lS4_PT7_S3_li,"axG",@progbits,_ZL32rocblas_syrkx_herkx_small_kernelIl19rocblas_complex_numIdELi16ELb0ELb0ELc84ELc85EKS1_S1_EviT_T0_PT6_S3_lS6_S3_lS4_PT7_S3_li,comdat
	.globl	_ZL32rocblas_syrkx_herkx_small_kernelIl19rocblas_complex_numIdELi16ELb0ELb0ELc84ELc85EKS1_S1_EviT_T0_PT6_S3_lS6_S3_lS4_PT7_S3_li ; -- Begin function _ZL32rocblas_syrkx_herkx_small_kernelIl19rocblas_complex_numIdELi16ELb0ELb0ELc84ELc85EKS1_S1_EviT_T0_PT6_S3_lS6_S3_lS4_PT7_S3_li
	.p2align	8
	.type	_ZL32rocblas_syrkx_herkx_small_kernelIl19rocblas_complex_numIdELi16ELb0ELb0ELc84ELc85EKS1_S1_EviT_T0_PT6_S3_lS6_S3_lS4_PT7_S3_li,@function
_ZL32rocblas_syrkx_herkx_small_kernelIl19rocblas_complex_numIdELi16ELb0ELb0ELc84ELc85EKS1_S1_EviT_T0_PT6_S3_lS6_S3_lS4_PT7_S3_li: ; @_ZL32rocblas_syrkx_herkx_small_kernelIl19rocblas_complex_numIdELi16ELb0ELb0ELc84ELc85EKS1_S1_EviT_T0_PT6_S3_lS6_S3_lS4_PT7_S3_li
; %bb.0:
	s_load_dwordx16 s[12:27], s[4:5], 0x8
	s_load_dword s9, s[4:5], 0x0
	s_load_dwordx4 s[28:31], s[4:5], 0x68
	s_load_dwordx8 s[36:43], s[4:5], 0x48
	v_lshl_add_u32 v6, s6, 4, v0
	s_waitcnt lgkmcnt(0)
	v_cmp_lt_i64_e64 s[0:1], s[12:13], 1
	v_lshl_add_u32 v18, s7, 4, v1
	s_and_b64 vcc, exec, s[0:1]
	v_ashrrev_i32_e32 v7, 31, v6
	v_cmp_gt_i32_e64 s[0:1], s9, v18
	v_ashrrev_i32_e32 v19, 31, v18
	s_cbranch_vccnz .LBB1214_11
; %bb.1:
	v_mul_lo_u32 v8, s27, v18
	v_mul_lo_u32 v9, s26, v19
	v_mad_u64_u32 v[3:4], s[2:3], s26, v18, 0
	s_mul_i32 s2, s37, s8
	s_mul_hi_u32 s3, s36, s8
	v_add3_u32 v4, v4, v9, v8
	v_lshlrev_b64 v[3:4], 4, v[3:4]
	s_add_i32 s3, s3, s2
	s_mul_i32 s2, s36, s8
	v_lshlrev_b32_e32 v5, 8, v1
	v_lshlrev_b32_e32 v20, 4, v0
	s_lshl_b64 s[2:3], s[2:3], 4
	v_add_u32_e32 v21, v20, v5
	v_add_u32_e32 v22, 0x1000, v5
	v_mov_b32_e32 v5, s3
	v_add_co_u32_e64 v3, s[2:3], s2, v3
	v_addc_co_u32_e64 v4, s[2:3], v4, v5, s[2:3]
	v_add_co_u32_e64 v5, s[2:3], v3, v20
	v_addc_co_u32_e64 v9, s[2:3], 0, v4, s[2:3]
	v_mul_lo_u32 v11, s21, v6
	v_mul_lo_u32 v12, s20, v7
	v_mad_u64_u32 v[3:4], s[2:3], s20, v6, 0
	v_mov_b32_e32 v10, s25
	v_add_co_u32_e64 v8, s[2:3], s24, v5
	v_addc_co_u32_e64 v9, s[2:3], v10, v9, s[2:3]
	v_add3_u32 v4, v4, v12, v11
	s_mul_i32 s2, s23, s8
	s_mul_hi_u32 s3, s22, s8
	v_lshlrev_b64 v[3:4], 4, v[3:4]
	s_add_i32 s3, s3, s2
	s_mul_i32 s2, s22, s8
	s_lshl_b64 s[2:3], s[2:3], 4
	v_mov_b32_e32 v5, s3
	v_add_co_u32_e64 v3, s[2:3], s2, v3
	v_addc_co_u32_e64 v4, s[2:3], v4, v5, s[2:3]
	v_lshlrev_b32_e32 v5, 4, v1
	v_add_co_u32_e64 v3, s[2:3], v3, v5
	v_addc_co_u32_e64 v4, s[2:3], 0, v4, s[2:3]
	v_mov_b32_e32 v5, s19
	v_add_co_u32_e64 v10, s[2:3], s18, v3
	v_cmp_gt_i32_e32 vcc, s9, v6
	v_addc_co_u32_e64 v11, s[2:3], v5, v4, s[2:3]
	v_mov_b32_e32 v14, 0
	v_mov_b32_e32 v16, 0
	v_mov_b32_e32 v12, s12
	v_mov_b32_e32 v2, 0
	v_add_u32_e32 v23, v22, v20
	v_mov_b32_e32 v15, 0
	s_mov_b64 s[2:3], 0
	s_xor_b64 s[4:5], vcc, -1
	s_xor_b64 s[0:1], s[0:1], -1
	v_mov_b32_e32 v17, 0
	v_mov_b32_e32 v13, s13
	s_branch .LBB1214_3
.LBB1214_2:                             ;   in Loop: Header=BB1214_3 Depth=1
	s_or_b64 exec, exec, s[6:7]
	s_waitcnt lgkmcnt(0)
	s_barrier
	ds_read_b128 v[24:27], v22
	ds_read_b128 v[28:31], v22 offset:16
	ds_read_b128 v[32:35], v22 offset:32
	;; [unrolled: 1-line block ×3, first 2 shown]
	ds_read_b128 v[40:43], v20
	v_add_co_u32_e32 v8, vcc, 0x100, v8
	v_addc_co_u32_e32 v9, vcc, 0, v9, vcc
	s_waitcnt lgkmcnt(0)
	v_mul_f64 v[3:4], v[26:27], v[42:43]
	s_add_u32 s2, s2, 16
	v_add_co_u32_e32 v10, vcc, 0x100, v10
	s_addc_u32 s3, s3, 0
	v_addc_co_u32_e32 v11, vcc, 0, v11, vcc
	v_cmp_ge_i64_e32 vcc, s[2:3], v[12:13]
	v_fma_f64 v[3:4], v[24:25], v[40:41], -v[3:4]
	v_mul_f64 v[24:25], v[24:25], v[42:43]
	s_and_b64 vcc, exec, vcc
	v_add_f64 v[3:4], v[16:17], v[3:4]
	v_fma_f64 v[24:25], v[26:27], v[40:41], v[24:25]
	v_add_f64 v[24:25], v[14:15], v[24:25]
	ds_read_b128 v[14:17], v20 offset:256
	s_waitcnt lgkmcnt(0)
	v_mul_f64 v[26:27], v[30:31], v[16:17]
	v_mul_f64 v[16:17], v[28:29], v[16:17]
	v_fma_f64 v[26:27], v[28:29], v[14:15], -v[26:27]
	v_fma_f64 v[14:15], v[30:31], v[14:15], v[16:17]
	v_add_f64 v[3:4], v[3:4], v[26:27]
	v_add_f64 v[24:25], v[24:25], v[14:15]
	ds_read_b128 v[14:17], v20 offset:512
	s_waitcnt lgkmcnt(0)
	v_mul_f64 v[26:27], v[34:35], v[16:17]
	v_mul_f64 v[16:17], v[32:33], v[16:17]
	v_fma_f64 v[26:27], v[32:33], v[14:15], -v[26:27]
	v_fma_f64 v[14:15], v[34:35], v[14:15], v[16:17]
	v_add_f64 v[3:4], v[3:4], v[26:27]
	;; [unrolled: 8-line block ×3, first 2 shown]
	v_add_f64 v[28:29], v[24:25], v[14:15]
	ds_read_b128 v[14:17], v22 offset:64
	ds_read_b128 v[24:27], v20 offset:1024
	s_waitcnt lgkmcnt(0)
	v_mul_f64 v[30:31], v[16:17], v[26:27]
	v_fma_f64 v[30:31], v[14:15], v[24:25], -v[30:31]
	v_mul_f64 v[14:15], v[14:15], v[26:27]
	v_add_f64 v[3:4], v[3:4], v[30:31]
	v_fma_f64 v[14:15], v[16:17], v[24:25], v[14:15]
	v_add_f64 v[28:29], v[28:29], v[14:15]
	ds_read_b128 v[14:17], v22 offset:80
	ds_read_b128 v[24:27], v20 offset:1280
	s_waitcnt lgkmcnt(0)
	v_mul_f64 v[30:31], v[16:17], v[26:27]
	v_fma_f64 v[30:31], v[14:15], v[24:25], -v[30:31]
	v_mul_f64 v[14:15], v[14:15], v[26:27]
	v_add_f64 v[3:4], v[3:4], v[30:31]
	v_fma_f64 v[14:15], v[16:17], v[24:25], v[14:15]
	;; [unrolled: 9-line block ×11, first 2 shown]
	v_add_f64 v[28:29], v[28:29], v[14:15]
	ds_read_b128 v[14:17], v22 offset:240
	ds_read_b128 v[24:27], v20 offset:3840
	s_waitcnt lgkmcnt(0)
	s_barrier
	v_mul_f64 v[30:31], v[16:17], v[26:27]
	v_fma_f64 v[30:31], v[14:15], v[24:25], -v[30:31]
	v_mul_f64 v[14:15], v[14:15], v[26:27]
	v_fma_f64 v[14:15], v[16:17], v[24:25], v[14:15]
	v_add_f64 v[16:17], v[3:4], v[30:31]
	v_add_f64 v[14:15], v[28:29], v[14:15]
	s_cbranch_vccnz .LBB1214_12
.LBB1214_3:                             ; =>This Inner Loop Header: Depth=1
	v_mov_b32_e32 v4, s3
	v_add_co_u32_e32 v3, vcc, s2, v1
	v_addc_co_u32_e32 v4, vcc, 0, v4, vcc
	v_cmp_le_i64_e32 vcc, s[12:13], v[3:4]
	s_or_b64 s[6:7], s[4:5], vcc
	s_and_saveexec_b64 s[10:11], s[6:7]
	s_xor_b64 s[6:7], exec, s[10:11]
; %bb.4:                                ;   in Loop: Header=BB1214_3 Depth=1
	v_mov_b32_e32 v3, v2
	v_mov_b32_e32 v4, v2
	;; [unrolled: 1-line block ×3, first 2 shown]
	ds_write_b128 v21, v[2:5]
; %bb.5:                                ;   in Loop: Header=BB1214_3 Depth=1
	s_andn2_saveexec_b64 s[6:7], s[6:7]
	s_cbranch_execz .LBB1214_7
; %bb.6:                                ;   in Loop: Header=BB1214_3 Depth=1
	global_load_dwordx4 v[24:27], v[10:11], off
	s_waitcnt vmcnt(0)
	ds_write2_b64 v21, v[24:25], v[26:27] offset1:1
.LBB1214_7:                             ;   in Loop: Header=BB1214_3 Depth=1
	s_or_b64 exec, exec, s[6:7]
	v_mov_b32_e32 v4, s3
	v_add_co_u32_e32 v3, vcc, s2, v0
	v_addc_co_u32_e32 v4, vcc, 0, v4, vcc
	v_cmp_le_i64_e32 vcc, s[12:13], v[3:4]
	s_or_b64 s[6:7], s[0:1], vcc
	s_and_saveexec_b64 s[10:11], s[6:7]
	s_xor_b64 s[6:7], exec, s[10:11]
; %bb.8:                                ;   in Loop: Header=BB1214_3 Depth=1
	v_mov_b32_e32 v3, v2
	v_mov_b32_e32 v4, v2
	;; [unrolled: 1-line block ×3, first 2 shown]
	ds_write_b128 v23, v[2:5]
; %bb.9:                                ;   in Loop: Header=BB1214_3 Depth=1
	s_andn2_saveexec_b64 s[6:7], s[6:7]
	s_cbranch_execz .LBB1214_2
; %bb.10:                               ;   in Loop: Header=BB1214_3 Depth=1
	global_load_dwordx4 v[24:27], v[8:9], off
	s_waitcnt vmcnt(0)
	ds_write2_b64 v23, v[24:25], v[26:27] offset1:1
	s_branch .LBB1214_2
.LBB1214_11:
	v_mov_b32_e32 v14, 0
	v_mov_b32_e32 v16, 0
	;; [unrolled: 1-line block ×4, first 2 shown]
.LBB1214_12:
	v_cmp_le_i32_e32 vcc, v6, v18
	v_cmp_gt_i32_e64 s[0:1], s9, v18
	s_and_b64 s[0:1], vcc, s[0:1]
	s_and_saveexec_b64 s[2:3], s[0:1]
	s_cbranch_execz .LBB1214_14
; %bb.13:
	v_mul_lo_u32 v2, s29, v18
	v_mul_lo_u32 v3, s28, v19
	v_mad_u64_u32 v[0:1], s[2:3], s28, v18, 0
	s_mul_i32 s0, s31, s8
	s_mul_hi_u32 s1, s30, s8
	s_add_i32 s1, s1, s0
	s_mul_i32 s0, s30, s8
	s_lshl_b64 s[0:1], s[0:1], 4
	v_add3_u32 v1, v1, v3, v2
	s_add_u32 s0, s42, s0
	v_lshlrev_b64 v[0:1], 4, v[0:1]
	s_addc_u32 s1, s43, s1
	v_mov_b32_e32 v2, s1
	v_add_co_u32_e32 v3, vcc, s0, v0
	v_addc_co_u32_e32 v2, vcc, v2, v1, vcc
	v_lshlrev_b64 v[0:1], 4, v[6:7]
	v_mul_f64 v[6:7], s[16:17], v[14:15]
	v_add_co_u32_e32 v4, vcc, v3, v0
	v_addc_co_u32_e32 v5, vcc, v2, v1, vcc
	global_load_dwordx4 v[0:3], v[4:5], off
	v_mul_f64 v[8:9], s[14:15], v[14:15]
	v_fma_f64 v[6:7], s[14:15], v[16:17], -v[6:7]
	v_fma_f64 v[8:9], s[16:17], v[16:17], v[8:9]
	s_waitcnt vmcnt(0)
	v_mul_f64 v[10:11], s[40:41], v[2:3]
	v_mul_f64 v[2:3], s[38:39], v[2:3]
	v_fma_f64 v[10:11], s[38:39], v[0:1], -v[10:11]
	v_fma_f64 v[2:3], s[40:41], v[0:1], v[2:3]
	v_add_f64 v[0:1], v[6:7], v[10:11]
	v_add_f64 v[2:3], v[8:9], v[2:3]
	global_store_dwordx4 v[4:5], v[0:3], off
.LBB1214_14:
	s_endpgm
	.section	.rodata,"a",@progbits
	.p2align	6, 0x0
	.amdhsa_kernel _ZL32rocblas_syrkx_herkx_small_kernelIl19rocblas_complex_numIdELi16ELb0ELb0ELc84ELc85EKS1_S1_EviT_T0_PT6_S3_lS6_S3_lS4_PT7_S3_li
		.amdhsa_group_segment_fixed_size 8192
		.amdhsa_private_segment_fixed_size 0
		.amdhsa_kernarg_size 124
		.amdhsa_user_sgpr_count 6
		.amdhsa_user_sgpr_private_segment_buffer 1
		.amdhsa_user_sgpr_dispatch_ptr 0
		.amdhsa_user_sgpr_queue_ptr 0
		.amdhsa_user_sgpr_kernarg_segment_ptr 1
		.amdhsa_user_sgpr_dispatch_id 0
		.amdhsa_user_sgpr_flat_scratch_init 0
		.amdhsa_user_sgpr_private_segment_size 0
		.amdhsa_uses_dynamic_stack 0
		.amdhsa_system_sgpr_private_segment_wavefront_offset 0
		.amdhsa_system_sgpr_workgroup_id_x 1
		.amdhsa_system_sgpr_workgroup_id_y 1
		.amdhsa_system_sgpr_workgroup_id_z 1
		.amdhsa_system_sgpr_workgroup_info 0
		.amdhsa_system_vgpr_workitem_id 1
		.amdhsa_next_free_vgpr 44
		.amdhsa_next_free_sgpr 61
		.amdhsa_reserve_vcc 1
		.amdhsa_reserve_flat_scratch 0
		.amdhsa_float_round_mode_32 0
		.amdhsa_float_round_mode_16_64 0
		.amdhsa_float_denorm_mode_32 3
		.amdhsa_float_denorm_mode_16_64 3
		.amdhsa_dx10_clamp 1
		.amdhsa_ieee_mode 1
		.amdhsa_fp16_overflow 0
		.amdhsa_exception_fp_ieee_invalid_op 0
		.amdhsa_exception_fp_denorm_src 0
		.amdhsa_exception_fp_ieee_div_zero 0
		.amdhsa_exception_fp_ieee_overflow 0
		.amdhsa_exception_fp_ieee_underflow 0
		.amdhsa_exception_fp_ieee_inexact 0
		.amdhsa_exception_int_div_zero 0
	.end_amdhsa_kernel
	.section	.text._ZL32rocblas_syrkx_herkx_small_kernelIl19rocblas_complex_numIdELi16ELb0ELb0ELc84ELc85EKS1_S1_EviT_T0_PT6_S3_lS6_S3_lS4_PT7_S3_li,"axG",@progbits,_ZL32rocblas_syrkx_herkx_small_kernelIl19rocblas_complex_numIdELi16ELb0ELb0ELc84ELc85EKS1_S1_EviT_T0_PT6_S3_lS6_S3_lS4_PT7_S3_li,comdat
.Lfunc_end1214:
	.size	_ZL32rocblas_syrkx_herkx_small_kernelIl19rocblas_complex_numIdELi16ELb0ELb0ELc84ELc85EKS1_S1_EviT_T0_PT6_S3_lS6_S3_lS4_PT7_S3_li, .Lfunc_end1214-_ZL32rocblas_syrkx_herkx_small_kernelIl19rocblas_complex_numIdELi16ELb0ELb0ELc84ELc85EKS1_S1_EviT_T0_PT6_S3_lS6_S3_lS4_PT7_S3_li
                                        ; -- End function
	.set _ZL32rocblas_syrkx_herkx_small_kernelIl19rocblas_complex_numIdELi16ELb0ELb0ELc84ELc85EKS1_S1_EviT_T0_PT6_S3_lS6_S3_lS4_PT7_S3_li.num_vgpr, 44
	.set _ZL32rocblas_syrkx_herkx_small_kernelIl19rocblas_complex_numIdELi16ELb0ELb0ELc84ELc85EKS1_S1_EviT_T0_PT6_S3_lS6_S3_lS4_PT7_S3_li.num_agpr, 0
	.set _ZL32rocblas_syrkx_herkx_small_kernelIl19rocblas_complex_numIdELi16ELb0ELb0ELc84ELc85EKS1_S1_EviT_T0_PT6_S3_lS6_S3_lS4_PT7_S3_li.numbered_sgpr, 44
	.set _ZL32rocblas_syrkx_herkx_small_kernelIl19rocblas_complex_numIdELi16ELb0ELb0ELc84ELc85EKS1_S1_EviT_T0_PT6_S3_lS6_S3_lS4_PT7_S3_li.num_named_barrier, 0
	.set _ZL32rocblas_syrkx_herkx_small_kernelIl19rocblas_complex_numIdELi16ELb0ELb0ELc84ELc85EKS1_S1_EviT_T0_PT6_S3_lS6_S3_lS4_PT7_S3_li.private_seg_size, 0
	.set _ZL32rocblas_syrkx_herkx_small_kernelIl19rocblas_complex_numIdELi16ELb0ELb0ELc84ELc85EKS1_S1_EviT_T0_PT6_S3_lS6_S3_lS4_PT7_S3_li.uses_vcc, 1
	.set _ZL32rocblas_syrkx_herkx_small_kernelIl19rocblas_complex_numIdELi16ELb0ELb0ELc84ELc85EKS1_S1_EviT_T0_PT6_S3_lS6_S3_lS4_PT7_S3_li.uses_flat_scratch, 0
	.set _ZL32rocblas_syrkx_herkx_small_kernelIl19rocblas_complex_numIdELi16ELb0ELb0ELc84ELc85EKS1_S1_EviT_T0_PT6_S3_lS6_S3_lS4_PT7_S3_li.has_dyn_sized_stack, 0
	.set _ZL32rocblas_syrkx_herkx_small_kernelIl19rocblas_complex_numIdELi16ELb0ELb0ELc84ELc85EKS1_S1_EviT_T0_PT6_S3_lS6_S3_lS4_PT7_S3_li.has_recursion, 0
	.set _ZL32rocblas_syrkx_herkx_small_kernelIl19rocblas_complex_numIdELi16ELb0ELb0ELc84ELc85EKS1_S1_EviT_T0_PT6_S3_lS6_S3_lS4_PT7_S3_li.has_indirect_call, 0
	.section	.AMDGPU.csdata,"",@progbits
; Kernel info:
; codeLenInByte = 1940
; TotalNumSgprs: 48
; NumVgprs: 44
; ScratchSize: 0
; MemoryBound: 0
; FloatMode: 240
; IeeeMode: 1
; LDSByteSize: 8192 bytes/workgroup (compile time only)
; SGPRBlocks: 8
; VGPRBlocks: 10
; NumSGPRsForWavesPerEU: 65
; NumVGPRsForWavesPerEU: 44
; Occupancy: 5
; WaveLimiterHint : 0
; COMPUTE_PGM_RSRC2:SCRATCH_EN: 0
; COMPUTE_PGM_RSRC2:USER_SGPR: 6
; COMPUTE_PGM_RSRC2:TRAP_HANDLER: 0
; COMPUTE_PGM_RSRC2:TGID_X_EN: 1
; COMPUTE_PGM_RSRC2:TGID_Y_EN: 1
; COMPUTE_PGM_RSRC2:TGID_Z_EN: 1
; COMPUTE_PGM_RSRC2:TIDIG_COMP_CNT: 1
	.section	.text._ZL32rocblas_syrkx_herkx_small_kernelIl19rocblas_complex_numIdELi16ELb0ELb0ELc67ELc85EKS1_S1_EviT_T0_PT6_S3_lS6_S3_lS4_PT7_S3_li,"axG",@progbits,_ZL32rocblas_syrkx_herkx_small_kernelIl19rocblas_complex_numIdELi16ELb0ELb0ELc67ELc85EKS1_S1_EviT_T0_PT6_S3_lS6_S3_lS4_PT7_S3_li,comdat
	.globl	_ZL32rocblas_syrkx_herkx_small_kernelIl19rocblas_complex_numIdELi16ELb0ELb0ELc67ELc85EKS1_S1_EviT_T0_PT6_S3_lS6_S3_lS4_PT7_S3_li ; -- Begin function _ZL32rocblas_syrkx_herkx_small_kernelIl19rocblas_complex_numIdELi16ELb0ELb0ELc67ELc85EKS1_S1_EviT_T0_PT6_S3_lS6_S3_lS4_PT7_S3_li
	.p2align	8
	.type	_ZL32rocblas_syrkx_herkx_small_kernelIl19rocblas_complex_numIdELi16ELb0ELb0ELc67ELc85EKS1_S1_EviT_T0_PT6_S3_lS6_S3_lS4_PT7_S3_li,@function
_ZL32rocblas_syrkx_herkx_small_kernelIl19rocblas_complex_numIdELi16ELb0ELb0ELc67ELc85EKS1_S1_EviT_T0_PT6_S3_lS6_S3_lS4_PT7_S3_li: ; @_ZL32rocblas_syrkx_herkx_small_kernelIl19rocblas_complex_numIdELi16ELb0ELb0ELc67ELc85EKS1_S1_EviT_T0_PT6_S3_lS6_S3_lS4_PT7_S3_li
; %bb.0:
	s_load_dwordx16 s[12:27], s[4:5], 0x8
	s_load_dword s9, s[4:5], 0x0
	s_load_dwordx4 s[28:31], s[4:5], 0x68
	s_load_dwordx8 s[36:43], s[4:5], 0x48
	v_lshl_add_u32 v7, s6, 4, v0
	s_waitcnt lgkmcnt(0)
	v_cmp_lt_i64_e64 s[0:1], s[12:13], 1
	v_lshl_add_u32 v19, s7, 4, v1
	s_and_b64 vcc, exec, s[0:1]
	v_ashrrev_i32_e32 v8, 31, v7
	v_cmp_gt_i32_e64 s[2:3], s9, v19
	v_ashrrev_i32_e32 v20, 31, v19
	s_cbranch_vccnz .LBB1215_9
; %bb.1:
	v_mul_lo_u32 v6, s27, v19
	v_mul_lo_u32 v9, s26, v20
	v_mad_u64_u32 v[3:4], s[4:5], s26, v19, 0
	s_mul_i32 s4, s37, s8
	s_mul_hi_u32 s5, s36, s8
	v_add3_u32 v4, v4, v9, v6
	v_lshlrev_b64 v[3:4], 4, v[3:4]
	s_add_i32 s5, s5, s4
	s_mul_i32 s4, s36, s8
	v_lshlrev_b32_e32 v5, 8, v1
	v_lshlrev_b32_e32 v21, 4, v0
	s_lshl_b64 s[4:5], s[4:5], 4
	v_add_u32_e32 v22, v21, v5
	v_add_u32_e32 v23, 0x1000, v5
	v_mov_b32_e32 v5, s5
	v_add_co_u32_e32 v3, vcc, s4, v3
	v_addc_co_u32_e32 v4, vcc, v4, v5, vcc
	v_add_co_u32_e32 v5, vcc, v3, v21
	v_addc_co_u32_e32 v6, vcc, 0, v4, vcc
	v_mul_lo_u32 v11, s21, v7
	v_mul_lo_u32 v12, s20, v8
	v_mad_u64_u32 v[3:4], s[4:5], s20, v7, 0
	s_mul_i32 s4, s23, s8
	s_mul_hi_u32 s5, s22, s8
	v_add3_u32 v4, v4, v12, v11
	v_mov_b32_e32 v10, s25
	v_add_co_u32_e32 v9, vcc, s24, v5
	v_lshlrev_b64 v[3:4], 4, v[3:4]
	s_add_i32 s5, s5, s4
	s_mul_i32 s4, s22, s8
	v_addc_co_u32_e32 v10, vcc, v10, v6, vcc
	s_lshl_b64 s[4:5], s[4:5], 4
	v_mov_b32_e32 v5, s5
	v_add_co_u32_e32 v3, vcc, s4, v3
	v_addc_co_u32_e32 v4, vcc, v4, v5, vcc
	v_lshlrev_b32_e32 v5, 4, v1
	v_add_co_u32_e32 v3, vcc, v3, v5
	v_addc_co_u32_e32 v4, vcc, 0, v4, vcc
	v_mov_b32_e32 v5, s19
	v_add_co_u32_e32 v3, vcc, s18, v3
	v_addc_co_u32_e32 v4, vcc, v5, v4, vcc
	v_add_co_u32_e32 v11, vcc, 8, v3
	v_mov_b32_e32 v15, 0
	v_mov_b32_e32 v17, 0
	;; [unrolled: 1-line block ×4, first 2 shown]
	v_cmp_gt_i32_e64 s[0:1], s9, v7
	v_add_u32_e32 v24, v23, v21
	v_addc_co_u32_e32 v12, vcc, 0, v4, vcc
	v_mov_b32_e32 v16, 0
	s_mov_b64 s[4:5], 0
	s_xor_b64 s[6:7], s[2:3], -1
	v_mov_b32_e32 v18, 0
	v_mov_b32_e32 v13, s12
	s_branch .LBB1215_3
.LBB1215_2:                             ;   in Loop: Header=BB1215_3 Depth=1
	s_or_b64 exec, exec, s[2:3]
	s_waitcnt lgkmcnt(0)
	s_barrier
	ds_read_b128 v[3:6], v21
	ds_read_b128 v[25:28], v23
	ds_read_b128 v[29:32], v23 offset:16
	ds_read_b128 v[33:36], v21 offset:256
	s_add_u32 s4, s4, 16
	v_add_co_u32_e32 v9, vcc, 0x100, v9
	s_waitcnt lgkmcnt(2)
	v_mul_f64 v[39:40], v[27:28], v[5:6]
	v_mul_f64 v[5:6], v[25:26], v[5:6]
	s_waitcnt lgkmcnt(0)
	v_mul_f64 v[43:44], v[31:32], v[35:36]
	v_mul_f64 v[45:46], v[29:30], v[35:36]
	ds_read_b128 v[35:38], v21 offset:512
	s_addc_u32 s5, s5, 0
	v_addc_co_u32_e32 v10, vcc, 0, v10, vcc
	v_fma_f64 v[47:48], v[25:26], v[3:4], -v[39:40]
	v_fma_f64 v[49:50], v[27:28], v[3:4], v[5:6]
	ds_read_b128 v[3:6], v23 offset:32
	ds_read_b128 v[25:28], v23 offset:48
	;; [unrolled: 1-line block ×3, first 2 shown]
	v_fma_f64 v[29:30], v[29:30], v[33:34], -v[43:44]
	v_fma_f64 v[31:32], v[31:32], v[33:34], v[45:46]
	s_waitcnt lgkmcnt(2)
	v_mul_f64 v[33:34], v[5:6], v[37:38]
	v_mul_f64 v[37:38], v[3:4], v[37:38]
	v_add_co_u32_e32 v11, vcc, 0x100, v11
	v_add_f64 v[43:44], v[17:18], v[47:48]
	v_add_f64 v[45:46], v[15:16], v[49:50]
	s_waitcnt lgkmcnt(0)
	v_mul_f64 v[47:48], v[27:28], v[41:42]
	v_mul_f64 v[41:42], v[25:26], v[41:42]
	v_fma_f64 v[49:50], v[3:4], v[35:36], -v[33:34]
	v_fma_f64 v[37:38], v[5:6], v[35:36], v[37:38]
	ds_read_b128 v[15:18], v21 offset:1024
	v_cmp_ge_i64_e64 s[2:3], s[4:5], v[13:14]
	v_add_f64 v[43:44], v[43:44], v[29:30]
	v_add_f64 v[45:46], v[45:46], v[31:32]
	ds_read_b128 v[3:6], v23 offset:64
	ds_read_b128 v[29:32], v23 offset:80
	ds_read_b128 v[33:36], v21 offset:1280
	v_fma_f64 v[47:48], v[25:26], v[39:40], -v[47:48]
	v_fma_f64 v[39:40], v[27:28], v[39:40], v[41:42]
	s_waitcnt lgkmcnt(2)
	v_mul_f64 v[41:42], v[5:6], v[17:18]
	v_mul_f64 v[17:18], v[3:4], v[17:18]
	ds_read_b128 v[25:28], v21 offset:1536
	v_add_f64 v[43:44], v[43:44], v[49:50]
	v_add_f64 v[37:38], v[45:46], v[37:38]
	s_waitcnt lgkmcnt(1)
	v_mul_f64 v[45:46], v[31:32], v[35:36]
	v_mul_f64 v[49:50], v[29:30], v[35:36]
	v_addc_co_u32_e32 v12, vcc, 0, v12, vcc
	v_fma_f64 v[41:42], v[3:4], v[15:16], -v[41:42]
	v_fma_f64 v[51:52], v[5:6], v[15:16], v[17:18]
	v_add_f64 v[43:44], v[43:44], v[47:48]
	v_add_f64 v[39:40], v[37:38], v[39:40]
	ds_read_b128 v[3:6], v23 offset:96
	ds_read_b128 v[15:18], v23 offset:112
	;; [unrolled: 1-line block ×3, first 2 shown]
	v_fma_f64 v[45:46], v[29:30], v[33:34], -v[45:46]
	v_fma_f64 v[31:32], v[31:32], v[33:34], v[49:50]
	s_waitcnt lgkmcnt(2)
	v_mul_f64 v[33:34], v[5:6], v[27:28]
	v_mul_f64 v[47:48], v[3:4], v[27:28]
	s_waitcnt lgkmcnt(0)
	v_mul_f64 v[49:50], v[15:16], v[37:38]
	v_add_f64 v[41:42], v[43:44], v[41:42]
	v_add_f64 v[39:40], v[39:40], v[51:52]
	v_mul_f64 v[43:44], v[17:18], v[37:38]
	ds_read_b128 v[27:30], v21 offset:2048
	s_and_b64 vcc, exec, s[2:3]
	v_fma_f64 v[51:52], v[3:4], v[25:26], -v[33:34]
	v_fma_f64 v[25:26], v[5:6], v[25:26], v[47:48]
	v_add_f64 v[41:42], v[41:42], v[45:46]
	v_add_f64 v[45:46], v[39:40], v[31:32]
	ds_read_b128 v[3:6], v23 offset:128
	ds_read_b128 v[31:34], v23 offset:144
	;; [unrolled: 1-line block ×3, first 2 shown]
	v_fma_f64 v[43:44], v[15:16], v[35:36], -v[43:44]
	v_fma_f64 v[35:36], v[17:18], v[35:36], v[49:50]
	s_waitcnt lgkmcnt(2)
	v_mul_f64 v[47:48], v[5:6], v[29:30]
	v_mul_f64 v[29:30], v[3:4], v[29:30]
	s_waitcnt lgkmcnt(0)
	v_mul_f64 v[49:50], v[31:32], v[39:40]
	v_add_f64 v[41:42], v[41:42], v[51:52]
	v_add_f64 v[25:26], v[45:46], v[25:26]
	v_mul_f64 v[45:46], v[33:34], v[39:40]
	ds_read_b128 v[15:18], v21 offset:2560
	v_fma_f64 v[47:48], v[3:4], v[27:28], -v[47:48]
	v_fma_f64 v[29:30], v[5:6], v[27:28], v[29:30]
	v_fma_f64 v[33:34], v[33:34], v[37:38], v[49:50]
	v_add_f64 v[43:44], v[41:42], v[43:44]
	v_add_f64 v[35:36], v[25:26], v[35:36]
	ds_read_b128 v[3:6], v23 offset:160
	ds_read_b128 v[25:28], v23 offset:176
	;; [unrolled: 1-line block ×3, first 2 shown]
	v_fma_f64 v[45:46], v[31:32], v[37:38], -v[45:46]
	s_waitcnt lgkmcnt(2)
	v_mul_f64 v[37:38], v[5:6], v[17:18]
	v_mul_f64 v[17:18], v[3:4], v[17:18]
	v_add_f64 v[43:44], v[43:44], v[47:48]
	v_add_f64 v[35:36], v[35:36], v[29:30]
	s_waitcnt lgkmcnt(0)
	v_mul_f64 v[47:48], v[27:28], v[41:42]
	v_mul_f64 v[41:42], v[25:26], v[41:42]
	ds_read_b128 v[29:32], v21 offset:3072
	v_fma_f64 v[37:38], v[3:4], v[15:16], -v[37:38]
	v_fma_f64 v[49:50], v[5:6], v[15:16], v[17:18]
	v_add_f64 v[43:44], v[43:44], v[45:46]
	v_add_f64 v[45:46], v[35:36], v[33:34]
	ds_read_b128 v[3:6], v23 offset:192
	ds_read_b128 v[15:18], v23 offset:208
	;; [unrolled: 1-line block ×3, first 2 shown]
	v_fma_f64 v[47:48], v[25:26], v[39:40], -v[47:48]
	v_fma_f64 v[39:40], v[27:28], v[39:40], v[41:42]
	s_waitcnt lgkmcnt(2)
	v_mul_f64 v[41:42], v[5:6], v[31:32]
	v_mul_f64 v[31:32], v[3:4], v[31:32]
	ds_read_b128 v[25:28], v21 offset:3584
	v_add_f64 v[37:38], v[43:44], v[37:38]
	v_add_f64 v[43:44], v[45:46], v[49:50]
	s_waitcnt lgkmcnt(1)
	v_mul_f64 v[45:46], v[17:18], v[35:36]
	v_mul_f64 v[49:50], v[15:16], v[35:36]
	v_fma_f64 v[41:42], v[3:4], v[29:30], -v[41:42]
	v_fma_f64 v[51:52], v[5:6], v[29:30], v[31:32]
	v_add_f64 v[47:48], v[37:38], v[47:48]
	v_add_f64 v[39:40], v[43:44], v[39:40]
	ds_read_b128 v[3:6], v23 offset:224
	ds_read_b128 v[29:32], v23 offset:240
	;; [unrolled: 1-line block ×3, first 2 shown]
	v_fma_f64 v[15:16], v[15:16], v[33:34], -v[45:46]
	v_fma_f64 v[17:18], v[17:18], v[33:34], v[49:50]
	s_waitcnt lgkmcnt(2)
	v_mul_f64 v[33:34], v[5:6], v[27:28]
	v_mul_f64 v[27:28], v[3:4], v[27:28]
	s_waitcnt lgkmcnt(0)
	v_mul_f64 v[43:44], v[31:32], v[37:38]
	v_add_f64 v[41:42], v[47:48], v[41:42]
	v_add_f64 v[39:40], v[39:40], v[51:52]
	v_mul_f64 v[37:38], v[29:30], v[37:38]
	s_barrier
	v_fma_f64 v[3:4], v[3:4], v[25:26], -v[33:34]
	v_fma_f64 v[5:6], v[5:6], v[25:26], v[27:28]
	v_fma_f64 v[25:26], v[29:30], v[35:36], -v[43:44]
	v_add_f64 v[15:16], v[41:42], v[15:16]
	v_add_f64 v[17:18], v[39:40], v[17:18]
	v_fma_f64 v[27:28], v[31:32], v[35:36], v[37:38]
	v_add_f64 v[3:4], v[15:16], v[3:4]
	v_add_f64 v[5:6], v[17:18], v[5:6]
	;; [unrolled: 1-line block ×4, first 2 shown]
	s_cbranch_vccnz .LBB1215_10
.LBB1215_3:                             ; =>This Inner Loop Header: Depth=1
	v_mov_b32_e32 v4, s5
	v_add_co_u32_e32 v3, vcc, s4, v1
	v_addc_co_u32_e32 v4, vcc, 0, v4, vcc
	v_cmp_gt_i64_e32 vcc, s[12:13], v[3:4]
	v_mov_b32_e32 v3, 0
	v_mov_b32_e32 v5, 0
	;; [unrolled: 1-line block ×4, first 2 shown]
	s_and_b64 s[10:11], s[0:1], vcc
	s_and_saveexec_b64 s[2:3], s[10:11]
	s_cbranch_execz .LBB1215_5
; %bb.4:                                ;   in Loop: Header=BB1215_3 Depth=1
	global_load_dwordx4 v[3:6], v[11:12], off offset:-8
.LBB1215_5:                             ;   in Loop: Header=BB1215_3 Depth=1
	s_or_b64 exec, exec, s[2:3]
	v_mov_b32_e32 v26, s5
	v_add_co_u32_e32 v25, vcc, s4, v0
	v_addc_co_u32_e32 v26, vcc, 0, v26, vcc
	v_cmp_le_i64_e32 vcc, s[12:13], v[25:26]
	s_waitcnt vmcnt(0)
	ds_write_b128 v22, v[3:6]
	s_or_b64 s[2:3], s[6:7], vcc
	s_and_saveexec_b64 s[10:11], s[2:3]
	s_xor_b64 s[2:3], exec, s[10:11]
; %bb.6:                                ;   in Loop: Header=BB1215_3 Depth=1
	v_mov_b32_e32 v3, v2
	v_mov_b32_e32 v4, v2
	;; [unrolled: 1-line block ×3, first 2 shown]
	ds_write_b128 v24, v[2:5]
; %bb.7:                                ;   in Loop: Header=BB1215_3 Depth=1
	s_andn2_saveexec_b64 s[2:3], s[2:3]
	s_cbranch_execz .LBB1215_2
; %bb.8:                                ;   in Loop: Header=BB1215_3 Depth=1
	global_load_dwordx4 v[3:6], v[9:10], off
	s_waitcnt vmcnt(0)
	ds_write2_b64 v24, v[3:4], v[5:6] offset1:1
	s_branch .LBB1215_2
.LBB1215_9:
	v_mov_b32_e32 v15, 0
	v_mov_b32_e32 v17, 0
	;; [unrolled: 1-line block ×4, first 2 shown]
.LBB1215_10:
	v_cmp_le_i32_e32 vcc, v7, v19
	v_cmp_gt_i32_e64 s[0:1], s9, v19
	s_and_b64 s[0:1], vcc, s[0:1]
	s_and_saveexec_b64 s[2:3], s[0:1]
	s_cbranch_execz .LBB1215_12
; %bb.11:
	v_mul_lo_u32 v2, s29, v19
	v_mul_lo_u32 v3, s28, v20
	v_mad_u64_u32 v[0:1], s[2:3], s28, v19, 0
	s_mul_i32 s0, s31, s8
	s_mul_hi_u32 s1, s30, s8
	s_add_i32 s1, s1, s0
	s_mul_i32 s0, s30, s8
	s_lshl_b64 s[0:1], s[0:1], 4
	v_add3_u32 v1, v1, v3, v2
	s_add_u32 s0, s42, s0
	v_lshlrev_b64 v[0:1], 4, v[0:1]
	s_addc_u32 s1, s43, s1
	v_mov_b32_e32 v2, s1
	v_add_co_u32_e32 v3, vcc, s0, v0
	v_addc_co_u32_e32 v2, vcc, v2, v1, vcc
	v_lshlrev_b64 v[0:1], 4, v[7:8]
	v_mul_f64 v[6:7], s[16:17], v[15:16]
	v_add_co_u32_e32 v4, vcc, v3, v0
	v_addc_co_u32_e32 v5, vcc, v2, v1, vcc
	global_load_dwordx4 v[0:3], v[4:5], off
	v_mul_f64 v[8:9], s[14:15], v[15:16]
	v_fma_f64 v[6:7], s[14:15], v[17:18], -v[6:7]
	v_fma_f64 v[8:9], s[16:17], v[17:18], v[8:9]
	s_waitcnt vmcnt(0)
	v_mul_f64 v[10:11], s[40:41], v[2:3]
	v_mul_f64 v[2:3], s[38:39], v[2:3]
	v_fma_f64 v[10:11], s[38:39], v[0:1], -v[10:11]
	v_fma_f64 v[2:3], s[40:41], v[0:1], v[2:3]
	v_add_f64 v[0:1], v[6:7], v[10:11]
	v_add_f64 v[2:3], v[8:9], v[2:3]
	global_store_dwordx4 v[4:5], v[0:3], off
.LBB1215_12:
	s_endpgm
	.section	.rodata,"a",@progbits
	.p2align	6, 0x0
	.amdhsa_kernel _ZL32rocblas_syrkx_herkx_small_kernelIl19rocblas_complex_numIdELi16ELb0ELb0ELc67ELc85EKS1_S1_EviT_T0_PT6_S3_lS6_S3_lS4_PT7_S3_li
		.amdhsa_group_segment_fixed_size 8192
		.amdhsa_private_segment_fixed_size 0
		.amdhsa_kernarg_size 124
		.amdhsa_user_sgpr_count 6
		.amdhsa_user_sgpr_private_segment_buffer 1
		.amdhsa_user_sgpr_dispatch_ptr 0
		.amdhsa_user_sgpr_queue_ptr 0
		.amdhsa_user_sgpr_kernarg_segment_ptr 1
		.amdhsa_user_sgpr_dispatch_id 0
		.amdhsa_user_sgpr_flat_scratch_init 0
		.amdhsa_user_sgpr_private_segment_size 0
		.amdhsa_uses_dynamic_stack 0
		.amdhsa_system_sgpr_private_segment_wavefront_offset 0
		.amdhsa_system_sgpr_workgroup_id_x 1
		.amdhsa_system_sgpr_workgroup_id_y 1
		.amdhsa_system_sgpr_workgroup_id_z 1
		.amdhsa_system_sgpr_workgroup_info 0
		.amdhsa_system_vgpr_workitem_id 1
		.amdhsa_next_free_vgpr 53
		.amdhsa_next_free_sgpr 61
		.amdhsa_reserve_vcc 1
		.amdhsa_reserve_flat_scratch 0
		.amdhsa_float_round_mode_32 0
		.amdhsa_float_round_mode_16_64 0
		.amdhsa_float_denorm_mode_32 3
		.amdhsa_float_denorm_mode_16_64 3
		.amdhsa_dx10_clamp 1
		.amdhsa_ieee_mode 1
		.amdhsa_fp16_overflow 0
		.amdhsa_exception_fp_ieee_invalid_op 0
		.amdhsa_exception_fp_denorm_src 0
		.amdhsa_exception_fp_ieee_div_zero 0
		.amdhsa_exception_fp_ieee_overflow 0
		.amdhsa_exception_fp_ieee_underflow 0
		.amdhsa_exception_fp_ieee_inexact 0
		.amdhsa_exception_int_div_zero 0
	.end_amdhsa_kernel
	.section	.text._ZL32rocblas_syrkx_herkx_small_kernelIl19rocblas_complex_numIdELi16ELb0ELb0ELc67ELc85EKS1_S1_EviT_T0_PT6_S3_lS6_S3_lS4_PT7_S3_li,"axG",@progbits,_ZL32rocblas_syrkx_herkx_small_kernelIl19rocblas_complex_numIdELi16ELb0ELb0ELc67ELc85EKS1_S1_EviT_T0_PT6_S3_lS6_S3_lS4_PT7_S3_li,comdat
.Lfunc_end1215:
	.size	_ZL32rocblas_syrkx_herkx_small_kernelIl19rocblas_complex_numIdELi16ELb0ELb0ELc67ELc85EKS1_S1_EviT_T0_PT6_S3_lS6_S3_lS4_PT7_S3_li, .Lfunc_end1215-_ZL32rocblas_syrkx_herkx_small_kernelIl19rocblas_complex_numIdELi16ELb0ELb0ELc67ELc85EKS1_S1_EviT_T0_PT6_S3_lS6_S3_lS4_PT7_S3_li
                                        ; -- End function
	.set _ZL32rocblas_syrkx_herkx_small_kernelIl19rocblas_complex_numIdELi16ELb0ELb0ELc67ELc85EKS1_S1_EviT_T0_PT6_S3_lS6_S3_lS4_PT7_S3_li.num_vgpr, 53
	.set _ZL32rocblas_syrkx_herkx_small_kernelIl19rocblas_complex_numIdELi16ELb0ELb0ELc67ELc85EKS1_S1_EviT_T0_PT6_S3_lS6_S3_lS4_PT7_S3_li.num_agpr, 0
	.set _ZL32rocblas_syrkx_herkx_small_kernelIl19rocblas_complex_numIdELi16ELb0ELb0ELc67ELc85EKS1_S1_EviT_T0_PT6_S3_lS6_S3_lS4_PT7_S3_li.numbered_sgpr, 44
	.set _ZL32rocblas_syrkx_herkx_small_kernelIl19rocblas_complex_numIdELi16ELb0ELb0ELc67ELc85EKS1_S1_EviT_T0_PT6_S3_lS6_S3_lS4_PT7_S3_li.num_named_barrier, 0
	.set _ZL32rocblas_syrkx_herkx_small_kernelIl19rocblas_complex_numIdELi16ELb0ELb0ELc67ELc85EKS1_S1_EviT_T0_PT6_S3_lS6_S3_lS4_PT7_S3_li.private_seg_size, 0
	.set _ZL32rocblas_syrkx_herkx_small_kernelIl19rocblas_complex_numIdELi16ELb0ELb0ELc67ELc85EKS1_S1_EviT_T0_PT6_S3_lS6_S3_lS4_PT7_S3_li.uses_vcc, 1
	.set _ZL32rocblas_syrkx_herkx_small_kernelIl19rocblas_complex_numIdELi16ELb0ELb0ELc67ELc85EKS1_S1_EviT_T0_PT6_S3_lS6_S3_lS4_PT7_S3_li.uses_flat_scratch, 0
	.set _ZL32rocblas_syrkx_herkx_small_kernelIl19rocblas_complex_numIdELi16ELb0ELb0ELc67ELc85EKS1_S1_EviT_T0_PT6_S3_lS6_S3_lS4_PT7_S3_li.has_dyn_sized_stack, 0
	.set _ZL32rocblas_syrkx_herkx_small_kernelIl19rocblas_complex_numIdELi16ELb0ELb0ELc67ELc85EKS1_S1_EviT_T0_PT6_S3_lS6_S3_lS4_PT7_S3_li.has_recursion, 0
	.set _ZL32rocblas_syrkx_herkx_small_kernelIl19rocblas_complex_numIdELi16ELb0ELb0ELc67ELc85EKS1_S1_EviT_T0_PT6_S3_lS6_S3_lS4_PT7_S3_li.has_indirect_call, 0
	.section	.AMDGPU.csdata,"",@progbits
; Kernel info:
; codeLenInByte = 1892
; TotalNumSgprs: 48
; NumVgprs: 53
; ScratchSize: 0
; MemoryBound: 1
; FloatMode: 240
; IeeeMode: 1
; LDSByteSize: 8192 bytes/workgroup (compile time only)
; SGPRBlocks: 8
; VGPRBlocks: 13
; NumSGPRsForWavesPerEU: 65
; NumVGPRsForWavesPerEU: 53
; Occupancy: 4
; WaveLimiterHint : 0
; COMPUTE_PGM_RSRC2:SCRATCH_EN: 0
; COMPUTE_PGM_RSRC2:USER_SGPR: 6
; COMPUTE_PGM_RSRC2:TRAP_HANDLER: 0
; COMPUTE_PGM_RSRC2:TGID_X_EN: 1
; COMPUTE_PGM_RSRC2:TGID_Y_EN: 1
; COMPUTE_PGM_RSRC2:TGID_Z_EN: 1
; COMPUTE_PGM_RSRC2:TIDIG_COMP_CNT: 1
	.section	.text._ZL32rocblas_syrkx_herkx_small_kernelIl19rocblas_complex_numIdELi16ELb0ELb0ELc78ELc85EKS1_S1_EviT_T0_PT6_S3_lS6_S3_lS4_PT7_S3_li,"axG",@progbits,_ZL32rocblas_syrkx_herkx_small_kernelIl19rocblas_complex_numIdELi16ELb0ELb0ELc78ELc85EKS1_S1_EviT_T0_PT6_S3_lS6_S3_lS4_PT7_S3_li,comdat
	.globl	_ZL32rocblas_syrkx_herkx_small_kernelIl19rocblas_complex_numIdELi16ELb0ELb0ELc78ELc85EKS1_S1_EviT_T0_PT6_S3_lS6_S3_lS4_PT7_S3_li ; -- Begin function _ZL32rocblas_syrkx_herkx_small_kernelIl19rocblas_complex_numIdELi16ELb0ELb0ELc78ELc85EKS1_S1_EviT_T0_PT6_S3_lS6_S3_lS4_PT7_S3_li
	.p2align	8
	.type	_ZL32rocblas_syrkx_herkx_small_kernelIl19rocblas_complex_numIdELi16ELb0ELb0ELc78ELc85EKS1_S1_EviT_T0_PT6_S3_lS6_S3_lS4_PT7_S3_li,@function
_ZL32rocblas_syrkx_herkx_small_kernelIl19rocblas_complex_numIdELi16ELb0ELb0ELc78ELc85EKS1_S1_EviT_T0_PT6_S3_lS6_S3_lS4_PT7_S3_li: ; @_ZL32rocblas_syrkx_herkx_small_kernelIl19rocblas_complex_numIdELi16ELb0ELb0ELc78ELc85EKS1_S1_EviT_T0_PT6_S3_lS6_S3_lS4_PT7_S3_li
; %bb.0:
	s_load_dwordx16 s[12:27], s[4:5], 0x8
	s_load_dword s9, s[4:5], 0x0
	s_load_dwordx4 s[28:31], s[4:5], 0x68
	s_load_dwordx8 s[36:43], s[4:5], 0x48
	v_lshl_add_u32 v7, s6, 4, v0
	s_waitcnt lgkmcnt(0)
	v_cmp_lt_i64_e64 s[0:1], s[12:13], 1
	v_lshl_add_u32 v9, s7, 4, v1
	s_and_b64 vcc, exec, s[0:1]
	v_ashrrev_i32_e32 v8, 31, v7
	v_cmp_gt_i32_e64 s[0:1], s9, v9
	v_ashrrev_i32_e32 v10, 31, v9
	s_cbranch_vccnz .LBB1216_9
; %bb.1:
	v_lshlrev_b32_e32 v3, 8, v1
	v_lshlrev_b32_e32 v21, 4, v0
	v_add_u32_e32 v22, v21, v3
	v_add_u32_e32 v23, 0x1000, v3
	v_mad_u64_u32 v[3:4], s[2:3], s26, v0, 0
	s_mul_i32 s4, s37, s8
	s_mul_hi_u32 s5, s36, s8
	v_mad_u64_u32 v[4:5], s[2:3], s27, v0, v[4:5]
	s_add_i32 s3, s5, s4
	s_mul_i32 s2, s36, s8
	v_lshlrev_b64 v[3:4], 4, v[3:4]
	s_lshl_b64 s[2:3], s[2:3], 4
	v_mov_b32_e32 v5, s3
	v_add_co_u32_e64 v6, s[2:3], s2, v3
	v_addc_co_u32_e64 v5, s[2:3], v5, v4, s[2:3]
	v_lshlrev_b64 v[3:4], 4, v[9:10]
	s_mul_i32 s6, s23, s8
	v_add_co_u32_e64 v3, s[2:3], v6, v3
	v_addc_co_u32_e64 v4, s[2:3], v5, v4, s[2:3]
	v_mov_b32_e32 v5, s25
	v_add_co_u32_e64 v3, s[2:3], s24, v3
	v_addc_co_u32_e64 v4, s[2:3], v5, v4, s[2:3]
	v_add_co_u32_e64 v11, s[2:3], 8, v3
	v_addc_co_u32_e64 v12, s[2:3], 0, v4, s[2:3]
	v_mad_u64_u32 v[3:4], s[2:3], s20, v1, 0
	s_mul_hi_u32 s7, s22, s8
	v_cmp_gt_i32_e32 vcc, s9, v7
	v_mad_u64_u32 v[4:5], s[2:3], s21, v1, v[4:5]
	s_add_i32 s3, s7, s6
	s_mul_i32 s2, s22, s8
	v_lshlrev_b64 v[3:4], 4, v[3:4]
	s_lshl_b64 s[2:3], s[2:3], 4
	v_mov_b32_e32 v5, s3
	v_add_co_u32_e64 v6, s[2:3], s2, v3
	v_addc_co_u32_e64 v5, s[2:3], v5, v4, s[2:3]
	v_lshlrev_b64 v[3:4], 4, v[7:8]
	s_lshl_b64 s[4:5], s[26:27], 8
	v_add_co_u32_e64 v3, s[2:3], v6, v3
	v_addc_co_u32_e64 v4, s[2:3], v5, v4, s[2:3]
	v_mov_b32_e32 v5, s19
	v_add_co_u32_e64 v13, s[2:3], s18, v3
	s_lshl_b64 s[6:7], s[20:21], 8
	v_mov_b32_e32 v17, 0
	v_mov_b32_e32 v19, 0
	;; [unrolled: 1-line block ×4, first 2 shown]
	v_add_u32_e32 v24, v23, v21
	v_addc_co_u32_e64 v14, s[2:3], v5, v4, s[2:3]
	v_mov_b32_e32 v18, 0
	s_mov_b64 s[10:11], 0
	s_xor_b64 s[18:19], vcc, -1
	v_mov_b32_e32 v25, s5
	v_mov_b32_e32 v26, s7
	;; [unrolled: 1-line block ×4, first 2 shown]
	s_branch .LBB1216_3
.LBB1216_2:                             ;   in Loop: Header=BB1216_3 Depth=1
	s_or_b64 exec, exec, s[2:3]
	s_waitcnt vmcnt(0)
	ds_write_b128 v24, v[3:6]
	s_waitcnt lgkmcnt(0)
	s_barrier
	ds_read_b128 v[3:6], v21
	ds_read_b128 v[27:30], v23
	ds_read_b128 v[31:34], v23 offset:16
	ds_read_b128 v[35:38], v21 offset:256
	s_add_u32 s10, s10, 16
	v_add_co_u32_e32 v11, vcc, s4, v11
	s_waitcnt lgkmcnt(2)
	v_mul_f64 v[39:40], v[29:30], v[5:6]
	v_mul_f64 v[5:6], v[27:28], v[5:6]
	s_waitcnt lgkmcnt(0)
	v_mul_f64 v[41:42], v[33:34], v[37:38]
	v_mul_f64 v[43:44], v[31:32], v[37:38]
	v_addc_co_u32_e32 v12, vcc, v12, v25, vcc
	s_addc_u32 s11, s11, 0
	v_cmp_ge_i64_e32 vcc, s[10:11], v[15:16]
	v_fma_f64 v[45:46], v[27:28], v[3:4], -v[39:40]
	v_fma_f64 v[47:48], v[29:30], v[3:4], v[5:6]
	ds_read_b128 v[3:6], v21 offset:512
	ds_read_b128 v[27:30], v23 offset:32
	;; [unrolled: 1-line block ×3, first 2 shown]
	v_fma_f64 v[41:42], v[31:32], v[35:36], -v[41:42]
	v_fma_f64 v[35:36], v[33:34], v[35:36], v[43:44]
	ds_read_b128 v[31:34], v21 offset:768
	s_waitcnt lgkmcnt(2)
	v_mul_f64 v[43:44], v[29:30], v[5:6]
	v_mul_f64 v[5:6], v[27:28], v[5:6]
	v_add_f64 v[19:20], v[19:20], v[45:46]
	v_add_f64 v[17:18], v[17:18], v[47:48]
	s_waitcnt lgkmcnt(0)
	v_mul_f64 v[45:46], v[39:40], v[33:34]
	v_mul_f64 v[33:34], v[37:38], v[33:34]
	v_add_co_u32_e64 v13, s[2:3], s6, v13
	v_fma_f64 v[43:44], v[27:28], v[3:4], -v[43:44]
	v_fma_f64 v[47:48], v[29:30], v[3:4], v[5:6]
	v_add_f64 v[41:42], v[19:20], v[41:42]
	v_add_f64 v[35:36], v[17:18], v[35:36]
	ds_read_b128 v[3:6], v23 offset:64
	ds_read_b128 v[17:20], v21 offset:1024
	v_fma_f64 v[37:38], v[37:38], v[31:32], -v[45:46]
	v_fma_f64 v[39:40], v[39:40], v[31:32], v[33:34]
	ds_read_b128 v[27:30], v23 offset:80
	ds_read_b128 v[31:34], v21 offset:1280
	v_addc_co_u32_e64 v14, s[2:3], v14, v26, s[2:3]
	s_waitcnt lgkmcnt(2)
	v_mul_f64 v[45:46], v[5:6], v[19:20]
	v_mul_f64 v[19:20], v[3:4], v[19:20]
	v_add_f64 v[41:42], v[41:42], v[43:44]
	v_add_f64 v[35:36], v[35:36], v[47:48]
	s_waitcnt lgkmcnt(0)
	v_mul_f64 v[43:44], v[29:30], v[33:34]
	v_mul_f64 v[33:34], v[27:28], v[33:34]
	s_and_b64 vcc, exec, vcc
	v_fma_f64 v[45:46], v[3:4], v[17:18], -v[45:46]
	v_fma_f64 v[47:48], v[5:6], v[17:18], v[19:20]
	v_add_f64 v[37:38], v[41:42], v[37:38]
	v_add_f64 v[35:36], v[35:36], v[39:40]
	ds_read_b128 v[3:6], v23 offset:96
	ds_read_b128 v[17:20], v21 offset:1536
	v_fma_f64 v[39:40], v[27:28], v[31:32], -v[43:44]
	v_fma_f64 v[41:42], v[29:30], v[31:32], v[33:34]
	ds_read_b128 v[27:30], v23 offset:112
	ds_read_b128 v[31:34], v21 offset:1792
	s_waitcnt lgkmcnt(2)
	v_mul_f64 v[43:44], v[5:6], v[19:20]
	v_mul_f64 v[19:20], v[3:4], v[19:20]
	v_add_f64 v[37:38], v[37:38], v[45:46]
	v_add_f64 v[35:36], v[35:36], v[47:48]
	s_waitcnt lgkmcnt(0)
	v_mul_f64 v[45:46], v[29:30], v[33:34]
	v_mul_f64 v[33:34], v[27:28], v[33:34]
	v_fma_f64 v[43:44], v[3:4], v[17:18], -v[43:44]
	v_fma_f64 v[47:48], v[5:6], v[17:18], v[19:20]
	v_add_f64 v[37:38], v[37:38], v[39:40]
	v_add_f64 v[35:36], v[35:36], v[41:42]
	ds_read_b128 v[3:6], v23 offset:128
	ds_read_b128 v[17:20], v21 offset:2048
	v_fma_f64 v[39:40], v[27:28], v[31:32], -v[45:46]
	v_fma_f64 v[41:42], v[29:30], v[31:32], v[33:34]
	ds_read_b128 v[27:30], v23 offset:144
	ds_read_b128 v[31:34], v21 offset:2304
	s_waitcnt lgkmcnt(2)
	v_mul_f64 v[45:46], v[5:6], v[19:20]
	v_mul_f64 v[19:20], v[3:4], v[19:20]
	v_add_f64 v[37:38], v[37:38], v[43:44]
	v_add_f64 v[35:36], v[35:36], v[47:48]
	s_waitcnt lgkmcnt(0)
	v_mul_f64 v[43:44], v[29:30], v[33:34]
	v_mul_f64 v[33:34], v[27:28], v[33:34]
	;; [unrolled: 18-line block ×4, first 2 shown]
	v_fma_f64 v[45:46], v[3:4], v[17:18], -v[45:46]
	v_fma_f64 v[47:48], v[5:6], v[17:18], v[19:20]
	v_add_f64 v[37:38], v[37:38], v[39:40]
	v_add_f64 v[35:36], v[35:36], v[41:42]
	ds_read_b128 v[3:6], v23 offset:224
	ds_read_b128 v[17:20], v21 offset:3584
	v_fma_f64 v[39:40], v[27:28], v[31:32], -v[43:44]
	v_fma_f64 v[41:42], v[29:30], v[31:32], v[33:34]
	ds_read_b128 v[27:30], v23 offset:240
	ds_read_b128 v[31:34], v21 offset:3840
	s_waitcnt lgkmcnt(0)
	v_mul_f64 v[43:44], v[5:6], v[19:20]
	v_mul_f64 v[19:20], v[3:4], v[19:20]
	v_add_f64 v[37:38], v[37:38], v[45:46]
	v_add_f64 v[35:36], v[35:36], v[47:48]
	v_mul_f64 v[45:46], v[29:30], v[33:34]
	v_mul_f64 v[33:34], v[27:28], v[33:34]
	s_barrier
	v_fma_f64 v[3:4], v[3:4], v[17:18], -v[43:44]
	v_fma_f64 v[5:6], v[5:6], v[17:18], v[19:20]
	v_add_f64 v[17:18], v[37:38], v[39:40]
	v_add_f64 v[19:20], v[35:36], v[41:42]
	v_fma_f64 v[27:28], v[27:28], v[31:32], -v[45:46]
	v_fma_f64 v[29:30], v[29:30], v[31:32], v[33:34]
	v_add_f64 v[3:4], v[17:18], v[3:4]
	v_add_f64 v[5:6], v[19:20], v[5:6]
	;; [unrolled: 1-line block ×4, first 2 shown]
	s_cbranch_vccnz .LBB1216_10
.LBB1216_3:                             ; =>This Inner Loop Header: Depth=1
	v_mov_b32_e32 v4, s11
	v_add_co_u32_e32 v3, vcc, s10, v1
	v_addc_co_u32_e32 v4, vcc, 0, v4, vcc
	v_cmp_le_i64_e32 vcc, s[12:13], v[3:4]
	s_or_b64 s[2:3], s[18:19], vcc
	s_and_saveexec_b64 s[20:21], s[2:3]
	s_xor_b64 s[2:3], exec, s[20:21]
; %bb.4:                                ;   in Loop: Header=BB1216_3 Depth=1
	v_mov_b32_e32 v3, v2
	v_mov_b32_e32 v4, v2
	;; [unrolled: 1-line block ×3, first 2 shown]
	ds_write_b128 v22, v[2:5]
; %bb.5:                                ;   in Loop: Header=BB1216_3 Depth=1
	s_andn2_saveexec_b64 s[2:3], s[2:3]
	s_cbranch_execz .LBB1216_7
; %bb.6:                                ;   in Loop: Header=BB1216_3 Depth=1
	global_load_dwordx4 v[3:6], v[13:14], off
	s_waitcnt vmcnt(0)
	ds_write2_b64 v22, v[3:4], v[5:6] offset1:1
.LBB1216_7:                             ;   in Loop: Header=BB1216_3 Depth=1
	s_or_b64 exec, exec, s[2:3]
	v_mov_b32_e32 v4, s11
	v_add_co_u32_e32 v3, vcc, s10, v0
	v_addc_co_u32_e32 v4, vcc, 0, v4, vcc
	v_cmp_gt_i64_e32 vcc, s[12:13], v[3:4]
	v_mov_b32_e32 v3, 0
	v_mov_b32_e32 v5, 0
	;; [unrolled: 1-line block ×4, first 2 shown]
	s_and_b64 s[20:21], s[0:1], vcc
	s_and_saveexec_b64 s[2:3], s[20:21]
	s_cbranch_execz .LBB1216_2
; %bb.8:                                ;   in Loop: Header=BB1216_3 Depth=1
	global_load_dwordx4 v[3:6], v[11:12], off offset:-8
	s_branch .LBB1216_2
.LBB1216_9:
	v_mov_b32_e32 v17, 0
	v_mov_b32_e32 v19, 0
	;; [unrolled: 1-line block ×4, first 2 shown]
.LBB1216_10:
	v_cmp_le_i32_e32 vcc, v7, v9
	v_cmp_gt_i32_e64 s[0:1], s9, v9
	s_and_b64 s[0:1], vcc, s[0:1]
	s_and_saveexec_b64 s[2:3], s[0:1]
	s_cbranch_execz .LBB1216_12
; %bb.11:
	v_mul_lo_u32 v2, s29, v9
	v_mul_lo_u32 v3, s28, v10
	v_mad_u64_u32 v[0:1], s[2:3], s28, v9, 0
	s_mul_i32 s0, s31, s8
	s_mul_hi_u32 s1, s30, s8
	s_add_i32 s1, s1, s0
	s_mul_i32 s0, s30, s8
	s_lshl_b64 s[0:1], s[0:1], 4
	v_add3_u32 v1, v1, v3, v2
	s_add_u32 s0, s42, s0
	v_lshlrev_b64 v[0:1], 4, v[0:1]
	s_addc_u32 s1, s43, s1
	v_mov_b32_e32 v2, s1
	v_add_co_u32_e32 v3, vcc, s0, v0
	v_addc_co_u32_e32 v2, vcc, v2, v1, vcc
	v_lshlrev_b64 v[0:1], 4, v[7:8]
	v_mul_f64 v[6:7], s[16:17], v[17:18]
	v_add_co_u32_e32 v4, vcc, v3, v0
	v_addc_co_u32_e32 v5, vcc, v2, v1, vcc
	global_load_dwordx4 v[0:3], v[4:5], off
	v_mul_f64 v[8:9], s[14:15], v[17:18]
	v_fma_f64 v[6:7], s[14:15], v[19:20], -v[6:7]
	v_fma_f64 v[8:9], s[16:17], v[19:20], v[8:9]
	s_waitcnt vmcnt(0)
	v_mul_f64 v[10:11], s[40:41], v[2:3]
	v_mul_f64 v[2:3], s[38:39], v[2:3]
	v_fma_f64 v[10:11], s[38:39], v[0:1], -v[10:11]
	v_fma_f64 v[2:3], s[40:41], v[0:1], v[2:3]
	v_add_f64 v[0:1], v[6:7], v[10:11]
	v_add_f64 v[2:3], v[8:9], v[2:3]
	global_store_dwordx4 v[4:5], v[0:3], off
.LBB1216_12:
	s_endpgm
	.section	.rodata,"a",@progbits
	.p2align	6, 0x0
	.amdhsa_kernel _ZL32rocblas_syrkx_herkx_small_kernelIl19rocblas_complex_numIdELi16ELb0ELb0ELc78ELc85EKS1_S1_EviT_T0_PT6_S3_lS6_S3_lS4_PT7_S3_li
		.amdhsa_group_segment_fixed_size 8192
		.amdhsa_private_segment_fixed_size 0
		.amdhsa_kernarg_size 124
		.amdhsa_user_sgpr_count 6
		.amdhsa_user_sgpr_private_segment_buffer 1
		.amdhsa_user_sgpr_dispatch_ptr 0
		.amdhsa_user_sgpr_queue_ptr 0
		.amdhsa_user_sgpr_kernarg_segment_ptr 1
		.amdhsa_user_sgpr_dispatch_id 0
		.amdhsa_user_sgpr_flat_scratch_init 0
		.amdhsa_user_sgpr_private_segment_size 0
		.amdhsa_uses_dynamic_stack 0
		.amdhsa_system_sgpr_private_segment_wavefront_offset 0
		.amdhsa_system_sgpr_workgroup_id_x 1
		.amdhsa_system_sgpr_workgroup_id_y 1
		.amdhsa_system_sgpr_workgroup_id_z 1
		.amdhsa_system_sgpr_workgroup_info 0
		.amdhsa_system_vgpr_workitem_id 1
		.amdhsa_next_free_vgpr 49
		.amdhsa_next_free_sgpr 61
		.amdhsa_reserve_vcc 1
		.amdhsa_reserve_flat_scratch 0
		.amdhsa_float_round_mode_32 0
		.amdhsa_float_round_mode_16_64 0
		.amdhsa_float_denorm_mode_32 3
		.amdhsa_float_denorm_mode_16_64 3
		.amdhsa_dx10_clamp 1
		.amdhsa_ieee_mode 1
		.amdhsa_fp16_overflow 0
		.amdhsa_exception_fp_ieee_invalid_op 0
		.amdhsa_exception_fp_denorm_src 0
		.amdhsa_exception_fp_ieee_div_zero 0
		.amdhsa_exception_fp_ieee_overflow 0
		.amdhsa_exception_fp_ieee_underflow 0
		.amdhsa_exception_fp_ieee_inexact 0
		.amdhsa_exception_int_div_zero 0
	.end_amdhsa_kernel
	.section	.text._ZL32rocblas_syrkx_herkx_small_kernelIl19rocblas_complex_numIdELi16ELb0ELb0ELc78ELc85EKS1_S1_EviT_T0_PT6_S3_lS6_S3_lS4_PT7_S3_li,"axG",@progbits,_ZL32rocblas_syrkx_herkx_small_kernelIl19rocblas_complex_numIdELi16ELb0ELb0ELc78ELc85EKS1_S1_EviT_T0_PT6_S3_lS6_S3_lS4_PT7_S3_li,comdat
.Lfunc_end1216:
	.size	_ZL32rocblas_syrkx_herkx_small_kernelIl19rocblas_complex_numIdELi16ELb0ELb0ELc78ELc85EKS1_S1_EviT_T0_PT6_S3_lS6_S3_lS4_PT7_S3_li, .Lfunc_end1216-_ZL32rocblas_syrkx_herkx_small_kernelIl19rocblas_complex_numIdELi16ELb0ELb0ELc78ELc85EKS1_S1_EviT_T0_PT6_S3_lS6_S3_lS4_PT7_S3_li
                                        ; -- End function
	.set _ZL32rocblas_syrkx_herkx_small_kernelIl19rocblas_complex_numIdELi16ELb0ELb0ELc78ELc85EKS1_S1_EviT_T0_PT6_S3_lS6_S3_lS4_PT7_S3_li.num_vgpr, 49
	.set _ZL32rocblas_syrkx_herkx_small_kernelIl19rocblas_complex_numIdELi16ELb0ELb0ELc78ELc85EKS1_S1_EviT_T0_PT6_S3_lS6_S3_lS4_PT7_S3_li.num_agpr, 0
	.set _ZL32rocblas_syrkx_herkx_small_kernelIl19rocblas_complex_numIdELi16ELb0ELb0ELc78ELc85EKS1_S1_EviT_T0_PT6_S3_lS6_S3_lS4_PT7_S3_li.numbered_sgpr, 44
	.set _ZL32rocblas_syrkx_herkx_small_kernelIl19rocblas_complex_numIdELi16ELb0ELb0ELc78ELc85EKS1_S1_EviT_T0_PT6_S3_lS6_S3_lS4_PT7_S3_li.num_named_barrier, 0
	.set _ZL32rocblas_syrkx_herkx_small_kernelIl19rocblas_complex_numIdELi16ELb0ELb0ELc78ELc85EKS1_S1_EviT_T0_PT6_S3_lS6_S3_lS4_PT7_S3_li.private_seg_size, 0
	.set _ZL32rocblas_syrkx_herkx_small_kernelIl19rocblas_complex_numIdELi16ELb0ELb0ELc78ELc85EKS1_S1_EviT_T0_PT6_S3_lS6_S3_lS4_PT7_S3_li.uses_vcc, 1
	.set _ZL32rocblas_syrkx_herkx_small_kernelIl19rocblas_complex_numIdELi16ELb0ELb0ELc78ELc85EKS1_S1_EviT_T0_PT6_S3_lS6_S3_lS4_PT7_S3_li.uses_flat_scratch, 0
	.set _ZL32rocblas_syrkx_herkx_small_kernelIl19rocblas_complex_numIdELi16ELb0ELb0ELc78ELc85EKS1_S1_EviT_T0_PT6_S3_lS6_S3_lS4_PT7_S3_li.has_dyn_sized_stack, 0
	.set _ZL32rocblas_syrkx_herkx_small_kernelIl19rocblas_complex_numIdELi16ELb0ELb0ELc78ELc85EKS1_S1_EviT_T0_PT6_S3_lS6_S3_lS4_PT7_S3_li.has_recursion, 0
	.set _ZL32rocblas_syrkx_herkx_small_kernelIl19rocblas_complex_numIdELi16ELb0ELb0ELc78ELc85EKS1_S1_EviT_T0_PT6_S3_lS6_S3_lS4_PT7_S3_li.has_indirect_call, 0
	.section	.AMDGPU.csdata,"",@progbits
; Kernel info:
; codeLenInByte = 1932
; TotalNumSgprs: 48
; NumVgprs: 49
; ScratchSize: 0
; MemoryBound: 1
; FloatMode: 240
; IeeeMode: 1
; LDSByteSize: 8192 bytes/workgroup (compile time only)
; SGPRBlocks: 8
; VGPRBlocks: 12
; NumSGPRsForWavesPerEU: 65
; NumVGPRsForWavesPerEU: 49
; Occupancy: 4
; WaveLimiterHint : 0
; COMPUTE_PGM_RSRC2:SCRATCH_EN: 0
; COMPUTE_PGM_RSRC2:USER_SGPR: 6
; COMPUTE_PGM_RSRC2:TRAP_HANDLER: 0
; COMPUTE_PGM_RSRC2:TGID_X_EN: 1
; COMPUTE_PGM_RSRC2:TGID_Y_EN: 1
; COMPUTE_PGM_RSRC2:TGID_Z_EN: 1
; COMPUTE_PGM_RSRC2:TIDIG_COMP_CNT: 1
	.section	.text._ZL34rocblas_syrkx_herkx_general_kernelIl19rocblas_complex_numIdELi16ELi32ELi8ELb1ELb0ELc84ELc76EKS1_S1_EviT_T0_PT8_S3_lS6_S3_lS4_PT9_S3_li,"axG",@progbits,_ZL34rocblas_syrkx_herkx_general_kernelIl19rocblas_complex_numIdELi16ELi32ELi8ELb1ELb0ELc84ELc76EKS1_S1_EviT_T0_PT8_S3_lS6_S3_lS4_PT9_S3_li,comdat
	.globl	_ZL34rocblas_syrkx_herkx_general_kernelIl19rocblas_complex_numIdELi16ELi32ELi8ELb1ELb0ELc84ELc76EKS1_S1_EviT_T0_PT8_S3_lS6_S3_lS4_PT9_S3_li ; -- Begin function _ZL34rocblas_syrkx_herkx_general_kernelIl19rocblas_complex_numIdELi16ELi32ELi8ELb1ELb0ELc84ELc76EKS1_S1_EviT_T0_PT8_S3_lS6_S3_lS4_PT9_S3_li
	.p2align	8
	.type	_ZL34rocblas_syrkx_herkx_general_kernelIl19rocblas_complex_numIdELi16ELi32ELi8ELb1ELb0ELc84ELc76EKS1_S1_EviT_T0_PT8_S3_lS6_S3_lS4_PT9_S3_li,@function
_ZL34rocblas_syrkx_herkx_general_kernelIl19rocblas_complex_numIdELi16ELi32ELi8ELb1ELb0ELc84ELc76EKS1_S1_EviT_T0_PT8_S3_lS6_S3_lS4_PT9_S3_li: ; @_ZL34rocblas_syrkx_herkx_general_kernelIl19rocblas_complex_numIdELi16ELi32ELi8ELb1ELb0ELc84ELc76EKS1_S1_EviT_T0_PT8_S3_lS6_S3_lS4_PT9_S3_li
; %bb.0:
	s_load_dwordx16 s[12:27], s[4:5], 0x8
	s_load_dword s9, s[4:5], 0x0
	s_lshl_b32 s28, s6, 5
	s_lshl_b32 s29, s7, 5
	s_waitcnt lgkmcnt(0)
	v_cmp_lt_i64_e64 s[0:1], s[12:13], 1
	s_and_b64 vcc, exec, s[0:1]
	s_cbranch_vccnz .LBB1217_11
; %bb.1:
	v_lshl_add_u32 v2, v1, 4, v0
	v_and_b32_e32 v5, 31, v2
	v_and_b32_e32 v29, 7, v0
	v_lshrrev_b32_e32 v3, 3, v2
	v_lshrrev_b32_e32 v28, 5, v2
	v_lshlrev_b32_e32 v2, 4, v5
	v_lshlrev_b32_e32 v8, 4, v29
	v_lshl_or_b32 v30, v28, 9, v2
	v_lshl_or_b32 v2, v3, 7, v8
	v_add_u32_e32 v31, 0x1000, v2
	v_add_u32_e32 v2, s28, v5
	;; [unrolled: 1-line block ×3, first 2 shown]
	v_ashrrev_i32_e32 v3, 31, v2
	v_or_b32_e32 v6, s28, v5
	v_mul_lo_u32 v5, s20, v3
	v_mul_lo_u32 v7, s21, v2
	v_mad_u64_u32 v[2:3], s[2:3], s20, v2, 0
	s_mul_i32 s2, s23, s8
	s_mul_hi_u32 s3, s22, s8
	v_add3_u32 v3, v3, v5, v7
	v_lshlrev_b64 v[2:3], 4, v[2:3]
	s_add_i32 s3, s3, s2
	s_mul_i32 s2, s22, s8
	s_lshl_b64 s[2:3], s[2:3], 4
	v_mov_b32_e32 v5, s3
	v_add_co_u32_e64 v2, s[2:3], s2, v2
	v_addc_co_u32_e64 v3, s[2:3], v3, v5, s[2:3]
	v_lshlrev_b32_e32 v5, 4, v28
	s_load_dwordx2 s[6:7], s[4:5], 0x48
	v_cmp_gt_i32_e32 vcc, s9, v6
	v_ashrrev_i32_e32 v6, 31, v4
	v_add_co_u32_e64 v5, s[2:3], v2, v5
	v_addc_co_u32_e64 v7, s[2:3], 0, v3, s[2:3]
	v_mul_lo_u32 v10, s26, v6
	v_mul_lo_u32 v11, s27, v4
	v_mad_u64_u32 v[2:3], s[2:3], s26, v4, 0
	v_mov_b32_e32 v9, 0x1000
	v_lshl_add_u32 v33, v1, 7, v9
	v_mov_b32_e32 v9, s19
	v_add_co_u32_e64 v6, s[2:3], s18, v5
	v_addc_co_u32_e64 v7, s[2:3], v9, v7, s[2:3]
	v_add3_u32 v3, v3, v10, v11
	s_waitcnt lgkmcnt(0)
	s_mul_i32 s2, s7, s8
	s_mul_hi_u32 s3, s6, s8
	v_lshlrev_b64 v[2:3], 4, v[2:3]
	s_add_i32 s3, s3, s2
	s_mul_i32 s2, s6, s8
	s_lshl_b64 s[2:3], s[2:3], 4
	v_cmp_gt_i32_e64 s[0:1], s9, v4
	v_mov_b32_e32 v4, s3
	v_add_co_u32_e64 v2, s[2:3], s2, v2
	v_addc_co_u32_e64 v3, s[2:3], v3, v4, s[2:3]
	v_add_co_u32_e64 v2, s[2:3], v2, v8
	v_addc_co_u32_e64 v3, s[2:3], 0, v3, s[2:3]
	v_mov_b32_e32 v4, s25
	v_add_co_u32_e64 v8, s[2:3], s24, v2
	v_addc_co_u32_e64 v9, s[2:3], v4, v3, s[2:3]
	v_mov_b32_e32 v24, 0
	v_mov_b32_e32 v10, s12
	;; [unrolled: 1-line block ×9, first 2 shown]
	v_lshlrev_b32_e32 v32, 4, v0
	s_mov_b64 s[2:3], 0
	v_mov_b32_e32 v25, 0
	s_xor_b64 s[6:7], vcc, -1
	s_xor_b64 s[0:1], s[0:1], -1
	v_mov_b32_e32 v11, s13
	v_mov_b32_e32 v27, 0
	;; [unrolled: 1-line block ×9, first 2 shown]
	s_branch .LBB1217_3
.LBB1217_2:                             ;   in Loop: Header=BB1217_3 Depth=1
	s_or_b64 exec, exec, s[10:11]
	s_waitcnt lgkmcnt(0)
	s_barrier
	ds_read_b128 v[34:37], v33
	ds_read_b128 v[38:41], v33 offset:16
	ds_read_b128 v[42:45], v33 offset:32
	;; [unrolled: 1-line block ×3, first 2 shown]
	ds_read_b128 v[50:53], v32
	v_add_co_u32_e32 v6, vcc, 0x80, v6
	v_addc_co_u32_e32 v7, vcc, 0, v7, vcc
	s_waitcnt lgkmcnt(0)
	v_mul_f64 v[3:4], v[36:37], v[52:53]
	v_mul_f64 v[54:55], v[34:35], v[52:53]
	s_add_u32 s2, s2, 8
	v_add_co_u32_e32 v8, vcc, 0x80, v8
	s_addc_u32 s3, s3, 0
	v_addc_co_u32_e32 v9, vcc, 0, v9, vcc
	v_fma_f64 v[3:4], v[34:35], v[50:51], -v[3:4]
	v_fma_f64 v[54:55], v[36:37], v[50:51], v[54:55]
	v_cmp_ge_i64_e32 vcc, s[2:3], v[10:11]
	s_and_b64 vcc, exec, vcc
	v_add_f64 v[3:4], v[20:21], v[3:4]
	v_add_f64 v[54:55], v[54:55], v[22:23]
	ds_read_b128 v[20:23], v32 offset:256
	s_waitcnt lgkmcnt(0)
	v_mul_f64 v[56:57], v[36:37], v[22:23]
	v_fma_f64 v[56:57], v[34:35], v[20:21], -v[56:57]
	v_mul_f64 v[34:35], v[34:35], v[22:23]
	v_fma_f64 v[34:35], v[36:37], v[20:21], v[34:35]
	v_add_f64 v[36:37], v[12:13], v[56:57]
	v_add_f64 v[34:35], v[34:35], v[14:15]
	ds_read_b128 v[12:15], v33 offset:2048
	s_waitcnt lgkmcnt(0)
	v_mul_f64 v[56:57], v[14:15], v[52:53]
	v_mul_f64 v[52:53], v[12:13], v[52:53]
	v_fma_f64 v[56:57], v[12:13], v[50:51], -v[56:57]
	v_fma_f64 v[50:51], v[14:15], v[50:51], v[52:53]
	v_add_f64 v[52:53], v[16:17], v[56:57]
	v_mul_f64 v[16:17], v[14:15], v[22:23]
	v_add_f64 v[50:51], v[50:51], v[18:19]
	v_fma_f64 v[16:17], v[12:13], v[20:21], -v[16:17]
	v_mul_f64 v[12:13], v[12:13], v[22:23]
	v_add_f64 v[26:27], v[26:27], v[16:17]
	v_fma_f64 v[12:13], v[14:15], v[20:21], v[12:13]
	v_add_f64 v[24:25], v[12:13], v[24:25]
	ds_read_b128 v[12:15], v32 offset:512
	s_waitcnt lgkmcnt(0)
	v_mul_f64 v[16:17], v[40:41], v[14:15]
	v_mul_f64 v[18:19], v[38:39], v[14:15]
	v_fma_f64 v[16:17], v[38:39], v[12:13], -v[16:17]
	v_fma_f64 v[18:19], v[40:41], v[12:13], v[18:19]
	v_add_f64 v[3:4], v[3:4], v[16:17]
	v_add_f64 v[54:55], v[18:19], v[54:55]
	ds_read_b128 v[16:19], v32 offset:768
	s_waitcnt lgkmcnt(0)
	v_mul_f64 v[20:21], v[40:41], v[18:19]
	v_mul_f64 v[22:23], v[38:39], v[18:19]
	v_fma_f64 v[20:21], v[38:39], v[16:17], -v[20:21]
	v_fma_f64 v[22:23], v[40:41], v[16:17], v[22:23]
	v_add_f64 v[36:37], v[36:37], v[20:21]
	v_add_f64 v[34:35], v[22:23], v[34:35]
	ds_read_b128 v[20:23], v33 offset:2064
	s_waitcnt lgkmcnt(0)
	v_mul_f64 v[38:39], v[22:23], v[14:15]
	v_mul_f64 v[14:15], v[20:21], v[14:15]
	v_fma_f64 v[38:39], v[20:21], v[12:13], -v[38:39]
	v_fma_f64 v[12:13], v[22:23], v[12:13], v[14:15]
	v_mul_f64 v[14:15], v[20:21], v[18:19]
	v_add_f64 v[38:39], v[52:53], v[38:39]
	v_add_f64 v[40:41], v[12:13], v[50:51]
	v_mul_f64 v[12:13], v[22:23], v[18:19]
	v_fma_f64 v[14:15], v[22:23], v[16:17], v[14:15]
	v_fma_f64 v[12:13], v[20:21], v[16:17], -v[12:13]
	v_add_f64 v[24:25], v[14:15], v[24:25]
	v_add_f64 v[26:27], v[26:27], v[12:13]
	ds_read_b128 v[12:15], v32 offset:1024
	s_waitcnt lgkmcnt(0)
	v_mul_f64 v[16:17], v[44:45], v[14:15]
	v_mul_f64 v[18:19], v[42:43], v[14:15]
	v_fma_f64 v[16:17], v[42:43], v[12:13], -v[16:17]
	v_fma_f64 v[18:19], v[44:45], v[12:13], v[18:19]
	v_add_f64 v[3:4], v[3:4], v[16:17]
	v_add_f64 v[50:51], v[18:19], v[54:55]
	ds_read_b128 v[16:19], v32 offset:1280
	s_waitcnt lgkmcnt(0)
	v_mul_f64 v[20:21], v[44:45], v[18:19]
	v_mul_f64 v[22:23], v[42:43], v[18:19]
	v_fma_f64 v[20:21], v[42:43], v[16:17], -v[20:21]
	v_fma_f64 v[22:23], v[44:45], v[16:17], v[22:23]
	v_add_f64 v[36:37], v[36:37], v[20:21]
	v_add_f64 v[34:35], v[22:23], v[34:35]
	ds_read_b128 v[20:23], v33 offset:2080
	s_waitcnt lgkmcnt(0)
	v_mul_f64 v[42:43], v[22:23], v[14:15]
	v_mul_f64 v[14:15], v[20:21], v[14:15]
	v_fma_f64 v[42:43], v[20:21], v[12:13], -v[42:43]
	v_fma_f64 v[12:13], v[22:23], v[12:13], v[14:15]
	v_mul_f64 v[14:15], v[20:21], v[18:19]
	v_add_f64 v[38:39], v[38:39], v[42:43]
	v_add_f64 v[40:41], v[12:13], v[40:41]
	v_mul_f64 v[12:13], v[22:23], v[18:19]
	v_fma_f64 v[14:15], v[22:23], v[16:17], v[14:15]
	v_fma_f64 v[12:13], v[20:21], v[16:17], -v[12:13]
	v_add_f64 v[24:25], v[14:15], v[24:25]
	;; [unrolled: 30-line block ×3, first 2 shown]
	v_add_f64 v[26:27], v[26:27], v[12:13]
	ds_read_b128 v[12:15], v33 offset:64
	ds_read_b128 v[16:19], v32 offset:2048
	s_waitcnt lgkmcnt(0)
	v_mul_f64 v[20:21], v[14:15], v[18:19]
	v_mul_f64 v[22:23], v[12:13], v[18:19]
	v_fma_f64 v[20:21], v[12:13], v[16:17], -v[20:21]
	v_fma_f64 v[22:23], v[14:15], v[16:17], v[22:23]
	v_add_f64 v[3:4], v[3:4], v[20:21]
	v_add_f64 v[42:43], v[22:23], v[42:43]
	ds_read_b128 v[20:23], v32 offset:2304
	s_waitcnt lgkmcnt(0)
	v_mul_f64 v[44:45], v[14:15], v[22:23]
	v_fma_f64 v[44:45], v[12:13], v[20:21], -v[44:45]
	v_mul_f64 v[12:13], v[12:13], v[22:23]
	v_add_f64 v[36:37], v[36:37], v[44:45]
	v_fma_f64 v[12:13], v[14:15], v[20:21], v[12:13]
	v_add_f64 v[34:35], v[12:13], v[34:35]
	ds_read_b128 v[12:15], v33 offset:2112
	s_waitcnt lgkmcnt(0)
	v_mul_f64 v[44:45], v[14:15], v[18:19]
	v_mul_f64 v[18:19], v[12:13], v[18:19]
	v_fma_f64 v[44:45], v[12:13], v[16:17], -v[44:45]
	v_fma_f64 v[16:17], v[14:15], v[16:17], v[18:19]
	v_add_f64 v[38:39], v[38:39], v[44:45]
	v_add_f64 v[40:41], v[16:17], v[40:41]
	v_mul_f64 v[16:17], v[14:15], v[22:23]
	v_fma_f64 v[16:17], v[12:13], v[20:21], -v[16:17]
	v_mul_f64 v[12:13], v[12:13], v[22:23]
	v_add_f64 v[26:27], v[26:27], v[16:17]
	v_fma_f64 v[12:13], v[14:15], v[20:21], v[12:13]
	v_add_f64 v[24:25], v[12:13], v[24:25]
	ds_read_b128 v[12:15], v33 offset:80
	ds_read_b128 v[16:19], v32 offset:2560
	s_waitcnt lgkmcnt(0)
	v_mul_f64 v[20:21], v[14:15], v[18:19]
	v_mul_f64 v[22:23], v[12:13], v[18:19]
	v_fma_f64 v[20:21], v[12:13], v[16:17], -v[20:21]
	v_fma_f64 v[22:23], v[14:15], v[16:17], v[22:23]
	v_add_f64 v[3:4], v[3:4], v[20:21]
	v_add_f64 v[42:43], v[22:23], v[42:43]
	ds_read_b128 v[20:23], v32 offset:2816
	s_waitcnt lgkmcnt(0)
	v_mul_f64 v[44:45], v[14:15], v[22:23]
	v_fma_f64 v[44:45], v[12:13], v[20:21], -v[44:45]
	v_mul_f64 v[12:13], v[12:13], v[22:23]
	v_add_f64 v[36:37], v[36:37], v[44:45]
	v_fma_f64 v[12:13], v[14:15], v[20:21], v[12:13]
	v_add_f64 v[34:35], v[12:13], v[34:35]
	ds_read_b128 v[12:15], v33 offset:2128
	s_waitcnt lgkmcnt(0)
	v_mul_f64 v[44:45], v[14:15], v[18:19]
	v_mul_f64 v[18:19], v[12:13], v[18:19]
	v_fma_f64 v[44:45], v[12:13], v[16:17], -v[44:45]
	v_fma_f64 v[16:17], v[14:15], v[16:17], v[18:19]
	v_add_f64 v[38:39], v[38:39], v[44:45]
	v_add_f64 v[40:41], v[16:17], v[40:41]
	v_mul_f64 v[16:17], v[14:15], v[22:23]
	v_fma_f64 v[16:17], v[12:13], v[20:21], -v[16:17]
	v_mul_f64 v[12:13], v[12:13], v[22:23]
	v_add_f64 v[26:27], v[26:27], v[16:17]
	v_fma_f64 v[12:13], v[14:15], v[20:21], v[12:13]
	v_add_f64 v[24:25], v[12:13], v[24:25]
	ds_read_b128 v[12:15], v33 offset:96
	ds_read_b128 v[16:19], v32 offset:3072
	s_waitcnt lgkmcnt(0)
	v_mul_f64 v[20:21], v[14:15], v[18:19]
	v_mul_f64 v[22:23], v[12:13], v[18:19]
	v_fma_f64 v[20:21], v[12:13], v[16:17], -v[20:21]
	v_fma_f64 v[22:23], v[14:15], v[16:17], v[22:23]
	v_add_f64 v[3:4], v[3:4], v[20:21]
	v_add_f64 v[42:43], v[22:23], v[42:43]
	ds_read_b128 v[20:23], v32 offset:3328
	s_waitcnt lgkmcnt(0)
	v_mul_f64 v[44:45], v[14:15], v[22:23]
	v_fma_f64 v[44:45], v[12:13], v[20:21], -v[44:45]
	v_mul_f64 v[12:13], v[12:13], v[22:23]
	v_add_f64 v[36:37], v[36:37], v[44:45]
	v_fma_f64 v[12:13], v[14:15], v[20:21], v[12:13]
	v_add_f64 v[34:35], v[12:13], v[34:35]
	ds_read_b128 v[12:15], v33 offset:2144
	s_waitcnt lgkmcnt(0)
	v_mul_f64 v[44:45], v[14:15], v[18:19]
	v_mul_f64 v[18:19], v[12:13], v[18:19]
	v_fma_f64 v[44:45], v[12:13], v[16:17], -v[44:45]
	v_fma_f64 v[16:17], v[14:15], v[16:17], v[18:19]
	v_add_f64 v[38:39], v[38:39], v[44:45]
	v_add_f64 v[40:41], v[16:17], v[40:41]
	v_mul_f64 v[16:17], v[14:15], v[22:23]
	v_fma_f64 v[16:17], v[12:13], v[20:21], -v[16:17]
	v_mul_f64 v[12:13], v[12:13], v[22:23]
	v_add_f64 v[44:45], v[26:27], v[16:17]
	v_fma_f64 v[12:13], v[14:15], v[20:21], v[12:13]
	v_add_f64 v[46:47], v[12:13], v[24:25]
	ds_read_b128 v[12:15], v33 offset:112
	ds_read_b128 v[16:19], v32 offset:3584
	;; [unrolled: 1-line block ×3, first 2 shown]
	s_waitcnt lgkmcnt(1)
	v_mul_f64 v[20:21], v[14:15], v[18:19]
	v_mul_f64 v[22:23], v[12:13], v[18:19]
	v_fma_f64 v[20:21], v[12:13], v[16:17], -v[20:21]
	v_fma_f64 v[22:23], v[14:15], v[16:17], v[22:23]
	v_add_f64 v[20:21], v[3:4], v[20:21]
	s_waitcnt lgkmcnt(0)
	v_mul_f64 v[3:4], v[14:15], v[26:27]
	v_add_f64 v[22:23], v[22:23], v[42:43]
	v_fma_f64 v[3:4], v[12:13], v[24:25], -v[3:4]
	v_mul_f64 v[12:13], v[12:13], v[26:27]
	v_fma_f64 v[14:15], v[14:15], v[24:25], v[12:13]
	v_add_f64 v[12:13], v[36:37], v[3:4]
	v_add_f64 v[14:15], v[14:15], v[34:35]
	ds_read_b128 v[34:37], v33 offset:2160
	s_waitcnt lgkmcnt(0)
	s_barrier
	v_mul_f64 v[3:4], v[36:37], v[18:19]
	v_mul_f64 v[18:19], v[34:35], v[18:19]
	v_fma_f64 v[3:4], v[34:35], v[16:17], -v[3:4]
	v_fma_f64 v[18:19], v[36:37], v[16:17], v[18:19]
	v_add_f64 v[16:17], v[38:39], v[3:4]
	v_mul_f64 v[3:4], v[36:37], v[26:27]
	v_mul_f64 v[26:27], v[34:35], v[26:27]
	v_add_f64 v[18:19], v[18:19], v[40:41]
	v_fma_f64 v[3:4], v[34:35], v[24:25], -v[3:4]
	v_fma_f64 v[24:25], v[36:37], v[24:25], v[26:27]
	v_add_f64 v[26:27], v[44:45], v[3:4]
	v_add_f64 v[24:25], v[24:25], v[46:47]
	s_cbranch_vccnz .LBB1217_12
.LBB1217_3:                             ; =>This Inner Loop Header: Depth=1
	v_mov_b32_e32 v4, s3
	v_add_co_u32_e32 v3, vcc, s2, v28
	v_addc_co_u32_e32 v4, vcc, 0, v4, vcc
	v_cmp_le_i64_e32 vcc, s[12:13], v[3:4]
	s_or_b64 s[10:11], s[6:7], vcc
	s_and_saveexec_b64 s[18:19], s[10:11]
	s_xor_b64 s[10:11], exec, s[18:19]
; %bb.4:                                ;   in Loop: Header=BB1217_3 Depth=1
	v_mov_b32_e32 v3, v2
	v_mov_b32_e32 v4, v2
	v_mov_b32_e32 v5, v2
	ds_write_b128 v30, v[2:5]
; %bb.5:                                ;   in Loop: Header=BB1217_3 Depth=1
	s_andn2_saveexec_b64 s[10:11], s[10:11]
	s_cbranch_execz .LBB1217_7
; %bb.6:                                ;   in Loop: Header=BB1217_3 Depth=1
	global_load_dwordx4 v[34:37], v[6:7], off
	s_waitcnt vmcnt(0)
	ds_write2_b64 v30, v[34:35], v[36:37] offset1:1
.LBB1217_7:                             ;   in Loop: Header=BB1217_3 Depth=1
	s_or_b64 exec, exec, s[10:11]
	v_mov_b32_e32 v4, s3
	v_add_co_u32_e32 v3, vcc, s2, v29
	v_addc_co_u32_e32 v4, vcc, 0, v4, vcc
	v_cmp_le_i64_e32 vcc, s[12:13], v[3:4]
	s_or_b64 s[10:11], vcc, s[0:1]
	s_and_saveexec_b64 s[18:19], s[10:11]
	s_xor_b64 s[10:11], exec, s[18:19]
; %bb.8:                                ;   in Loop: Header=BB1217_3 Depth=1
	v_mov_b32_e32 v3, v2
	v_mov_b32_e32 v4, v2
	;; [unrolled: 1-line block ×3, first 2 shown]
	ds_write_b128 v31, v[2:5]
; %bb.9:                                ;   in Loop: Header=BB1217_3 Depth=1
	s_andn2_saveexec_b64 s[10:11], s[10:11]
	s_cbranch_execz .LBB1217_2
; %bb.10:                               ;   in Loop: Header=BB1217_3 Depth=1
	global_load_dwordx4 v[34:37], v[8:9], off
	s_waitcnt vmcnt(0)
	ds_write2_b64 v31, v[34:35], v[36:37] offset1:1
	s_branch .LBB1217_2
.LBB1217_11:
	v_mov_b32_e32 v20, 0
	v_mov_b32_e32 v22, 0
	v_mov_b32_e32 v12, 0
	v_mov_b32_e32 v14, 0
	v_mov_b32_e32 v16, 0
	v_mov_b32_e32 v18, 0
	v_mov_b32_e32 v26, 0
	v_mov_b32_e32 v24, 0
	v_mov_b32_e32 v21, 0
	v_mov_b32_e32 v23, 0
	v_mov_b32_e32 v13, 0
	v_mov_b32_e32 v15, 0
	v_mov_b32_e32 v17, 0
	v_mov_b32_e32 v19, 0
	v_mov_b32_e32 v27, 0
	v_mov_b32_e32 v25, 0
.LBB1217_12:
	s_load_dwordx2 s[0:1], s[4:5], 0x70
	s_load_dwordx4 s[20:23], s[4:5], 0x60
	v_add_u32_e32 v4, s29, v1
	v_ashrrev_i32_e32 v1, 31, v4
	v_add_u32_e32 v0, s28, v0
	s_waitcnt lgkmcnt(0)
	s_mul_i32 s1, s1, s8
	s_mul_hi_u32 s2, s0, s8
	s_add_i32 s1, s2, s1
	v_mul_lo_u32 v3, s22, v1
	v_mul_lo_u32 v5, s23, v4
	v_mad_u64_u32 v[1:2], s[2:3], s22, v4, 0
	s_mul_i32 s0, s0, s8
	s_lshl_b64 s[0:1], s[0:1], 4
	v_add3_u32 v2, v2, v3, v5
	s_add_u32 s6, s20, s0
	v_lshlrev_b64 v[1:2], 4, v[1:2]
	s_addc_u32 s7, s21, s1
	v_mov_b32_e32 v3, s7
	v_add_co_u32_e32 v5, vcc, s6, v1
	v_addc_co_u32_e32 v6, vcc, v3, v2, vcc
	v_cmp_le_i32_e64 s[0:1], v4, v0
	v_cmp_gt_i32_e32 vcc, s9, v0
	s_and_b64 s[0:1], s[0:1], vcc
	s_and_saveexec_b64 s[2:3], s[0:1]
	s_cbranch_execz .LBB1217_14
; %bb.13:
	v_mul_f64 v[1:2], s[16:17], v[22:23]
	v_mul_f64 v[9:10], s[14:15], v[22:23]
	v_fma_f64 v[7:8], s[14:15], v[20:21], -v[1:2]
	v_fma_f64 v[9:10], s[16:17], v[20:21], v[9:10]
	v_ashrrev_i32_e32 v1, 31, v0
	v_lshlrev_b64 v[1:2], 4, v[0:1]
	v_add_co_u32_e64 v1, s[0:1], v5, v1
	v_addc_co_u32_e64 v2, s[0:1], v6, v2, s[0:1]
	global_store_dwordx4 v[1:2], v[7:10], off
.LBB1217_14:
	s_or_b64 exec, exec, s[2:3]
	v_add_u32_e32 v2, 16, v0
	v_cmp_le_i32_e64 s[2:3], v4, v2
	v_cmp_gt_i32_e64 s[0:1], s9, v2
	s_and_b64 s[2:3], s[2:3], s[0:1]
	s_and_saveexec_b64 s[4:5], s[2:3]
	s_cbranch_execz .LBB1217_16
; %bb.15:
	v_mul_f64 v[7:8], s[16:17], v[14:15]
	v_mul_f64 v[9:10], s[14:15], v[14:15]
	v_ashrrev_i32_e32 v3, 31, v2
	v_fma_f64 v[7:8], s[14:15], v[12:13], -v[7:8]
	v_fma_f64 v[9:10], s[16:17], v[12:13], v[9:10]
	v_lshlrev_b64 v[11:12], 4, v[2:3]
	v_add_co_u32_e64 v5, s[2:3], v5, v11
	v_addc_co_u32_e64 v6, s[2:3], v6, v12, s[2:3]
	global_store_dwordx4 v[5:6], v[7:10], off
.LBB1217_16:
	s_or_b64 exec, exec, s[4:5]
	v_add_u32_e32 v3, 16, v4
	v_ashrrev_i32_e32 v1, 31, v3
	v_mul_lo_u32 v6, s23, v3
	v_mad_u64_u32 v[4:5], s[2:3], s22, v3, 0
	v_mul_lo_u32 v1, s22, v1
	v_add3_u32 v5, v5, v1, v6
	v_lshlrev_b64 v[4:5], 4, v[4:5]
	v_mov_b32_e32 v1, s7
	v_add_co_u32_e64 v4, s[2:3], s6, v4
	v_addc_co_u32_e64 v5, s[2:3], v1, v5, s[2:3]
	v_cmp_le_i32_e64 s[2:3], v3, v0
	s_and_b64 s[4:5], s[2:3], vcc
	s_and_saveexec_b64 s[2:3], s[4:5]
	s_cbranch_execz .LBB1217_18
; %bb.17:
	v_mul_f64 v[6:7], s[16:17], v[18:19]
	v_mul_f64 v[8:9], s[14:15], v[18:19]
	v_ashrrev_i32_e32 v1, 31, v0
	v_lshlrev_b64 v[0:1], 4, v[0:1]
	v_add_co_u32_e32 v0, vcc, v4, v0
	v_addc_co_u32_e32 v1, vcc, v5, v1, vcc
	v_fma_f64 v[6:7], s[14:15], v[16:17], -v[6:7]
	v_fma_f64 v[8:9], s[16:17], v[16:17], v[8:9]
	global_store_dwordx4 v[0:1], v[6:9], off
.LBB1217_18:
	s_or_b64 exec, exec, s[2:3]
	v_cmp_le_i32_e32 vcc, v3, v2
	s_and_b64 s[0:1], vcc, s[0:1]
	s_and_saveexec_b64 s[2:3], s[0:1]
	s_cbranch_execz .LBB1217_20
; %bb.19:
	v_mul_f64 v[0:1], s[16:17], v[24:25]
	v_mul_f64 v[8:9], s[14:15], v[24:25]
	v_ashrrev_i32_e32 v3, 31, v2
	v_fma_f64 v[6:7], s[14:15], v[26:27], -v[0:1]
	v_fma_f64 v[8:9], s[16:17], v[26:27], v[8:9]
	v_lshlrev_b64 v[0:1], 4, v[2:3]
	v_add_co_u32_e32 v0, vcc, v4, v0
	v_addc_co_u32_e32 v1, vcc, v5, v1, vcc
	global_store_dwordx4 v[0:1], v[6:9], off
.LBB1217_20:
	s_endpgm
	.section	.rodata,"a",@progbits
	.p2align	6, 0x0
	.amdhsa_kernel _ZL34rocblas_syrkx_herkx_general_kernelIl19rocblas_complex_numIdELi16ELi32ELi8ELb1ELb0ELc84ELc76EKS1_S1_EviT_T0_PT8_S3_lS6_S3_lS4_PT9_S3_li
		.amdhsa_group_segment_fixed_size 8192
		.amdhsa_private_segment_fixed_size 0
		.amdhsa_kernarg_size 124
		.amdhsa_user_sgpr_count 6
		.amdhsa_user_sgpr_private_segment_buffer 1
		.amdhsa_user_sgpr_dispatch_ptr 0
		.amdhsa_user_sgpr_queue_ptr 0
		.amdhsa_user_sgpr_kernarg_segment_ptr 1
		.amdhsa_user_sgpr_dispatch_id 0
		.amdhsa_user_sgpr_flat_scratch_init 0
		.amdhsa_user_sgpr_private_segment_size 0
		.amdhsa_uses_dynamic_stack 0
		.amdhsa_system_sgpr_private_segment_wavefront_offset 0
		.amdhsa_system_sgpr_workgroup_id_x 1
		.amdhsa_system_sgpr_workgroup_id_y 1
		.amdhsa_system_sgpr_workgroup_id_z 1
		.amdhsa_system_sgpr_workgroup_info 0
		.amdhsa_system_vgpr_workitem_id 1
		.amdhsa_next_free_vgpr 58
		.amdhsa_next_free_sgpr 61
		.amdhsa_reserve_vcc 1
		.amdhsa_reserve_flat_scratch 0
		.amdhsa_float_round_mode_32 0
		.amdhsa_float_round_mode_16_64 0
		.amdhsa_float_denorm_mode_32 3
		.amdhsa_float_denorm_mode_16_64 3
		.amdhsa_dx10_clamp 1
		.amdhsa_ieee_mode 1
		.amdhsa_fp16_overflow 0
		.amdhsa_exception_fp_ieee_invalid_op 0
		.amdhsa_exception_fp_denorm_src 0
		.amdhsa_exception_fp_ieee_div_zero 0
		.amdhsa_exception_fp_ieee_overflow 0
		.amdhsa_exception_fp_ieee_underflow 0
		.amdhsa_exception_fp_ieee_inexact 0
		.amdhsa_exception_int_div_zero 0
	.end_amdhsa_kernel
	.section	.text._ZL34rocblas_syrkx_herkx_general_kernelIl19rocblas_complex_numIdELi16ELi32ELi8ELb1ELb0ELc84ELc76EKS1_S1_EviT_T0_PT8_S3_lS6_S3_lS4_PT9_S3_li,"axG",@progbits,_ZL34rocblas_syrkx_herkx_general_kernelIl19rocblas_complex_numIdELi16ELi32ELi8ELb1ELb0ELc84ELc76EKS1_S1_EviT_T0_PT8_S3_lS6_S3_lS4_PT9_S3_li,comdat
.Lfunc_end1217:
	.size	_ZL34rocblas_syrkx_herkx_general_kernelIl19rocblas_complex_numIdELi16ELi32ELi8ELb1ELb0ELc84ELc76EKS1_S1_EviT_T0_PT8_S3_lS6_S3_lS4_PT9_S3_li, .Lfunc_end1217-_ZL34rocblas_syrkx_herkx_general_kernelIl19rocblas_complex_numIdELi16ELi32ELi8ELb1ELb0ELc84ELc76EKS1_S1_EviT_T0_PT8_S3_lS6_S3_lS4_PT9_S3_li
                                        ; -- End function
	.set _ZL34rocblas_syrkx_herkx_general_kernelIl19rocblas_complex_numIdELi16ELi32ELi8ELb1ELb0ELc84ELc76EKS1_S1_EviT_T0_PT8_S3_lS6_S3_lS4_PT9_S3_li.num_vgpr, 58
	.set _ZL34rocblas_syrkx_herkx_general_kernelIl19rocblas_complex_numIdELi16ELi32ELi8ELb1ELb0ELc84ELc76EKS1_S1_EviT_T0_PT8_S3_lS6_S3_lS4_PT9_S3_li.num_agpr, 0
	.set _ZL34rocblas_syrkx_herkx_general_kernelIl19rocblas_complex_numIdELi16ELi32ELi8ELb1ELb0ELc84ELc76EKS1_S1_EviT_T0_PT8_S3_lS6_S3_lS4_PT9_S3_li.numbered_sgpr, 30
	.set _ZL34rocblas_syrkx_herkx_general_kernelIl19rocblas_complex_numIdELi16ELi32ELi8ELb1ELb0ELc84ELc76EKS1_S1_EviT_T0_PT8_S3_lS6_S3_lS4_PT9_S3_li.num_named_barrier, 0
	.set _ZL34rocblas_syrkx_herkx_general_kernelIl19rocblas_complex_numIdELi16ELi32ELi8ELb1ELb0ELc84ELc76EKS1_S1_EviT_T0_PT8_S3_lS6_S3_lS4_PT9_S3_li.private_seg_size, 0
	.set _ZL34rocblas_syrkx_herkx_general_kernelIl19rocblas_complex_numIdELi16ELi32ELi8ELb1ELb0ELc84ELc76EKS1_S1_EviT_T0_PT8_S3_lS6_S3_lS4_PT9_S3_li.uses_vcc, 1
	.set _ZL34rocblas_syrkx_herkx_general_kernelIl19rocblas_complex_numIdELi16ELi32ELi8ELb1ELb0ELc84ELc76EKS1_S1_EviT_T0_PT8_S3_lS6_S3_lS4_PT9_S3_li.uses_flat_scratch, 0
	.set _ZL34rocblas_syrkx_herkx_general_kernelIl19rocblas_complex_numIdELi16ELi32ELi8ELb1ELb0ELc84ELc76EKS1_S1_EviT_T0_PT8_S3_lS6_S3_lS4_PT9_S3_li.has_dyn_sized_stack, 0
	.set _ZL34rocblas_syrkx_herkx_general_kernelIl19rocblas_complex_numIdELi16ELi32ELi8ELb1ELb0ELc84ELc76EKS1_S1_EviT_T0_PT8_S3_lS6_S3_lS4_PT9_S3_li.has_recursion, 0
	.set _ZL34rocblas_syrkx_herkx_general_kernelIl19rocblas_complex_numIdELi16ELi32ELi8ELb1ELb0ELc84ELc76EKS1_S1_EviT_T0_PT8_S3_lS6_S3_lS4_PT9_S3_li.has_indirect_call, 0
	.section	.AMDGPU.csdata,"",@progbits
; Kernel info:
; codeLenInByte = 3208
; TotalNumSgprs: 34
; NumVgprs: 58
; ScratchSize: 0
; MemoryBound: 0
; FloatMode: 240
; IeeeMode: 1
; LDSByteSize: 8192 bytes/workgroup (compile time only)
; SGPRBlocks: 8
; VGPRBlocks: 14
; NumSGPRsForWavesPerEU: 65
; NumVGPRsForWavesPerEU: 58
; Occupancy: 4
; WaveLimiterHint : 0
; COMPUTE_PGM_RSRC2:SCRATCH_EN: 0
; COMPUTE_PGM_RSRC2:USER_SGPR: 6
; COMPUTE_PGM_RSRC2:TRAP_HANDLER: 0
; COMPUTE_PGM_RSRC2:TGID_X_EN: 1
; COMPUTE_PGM_RSRC2:TGID_Y_EN: 1
; COMPUTE_PGM_RSRC2:TGID_Z_EN: 1
; COMPUTE_PGM_RSRC2:TIDIG_COMP_CNT: 1
	.section	.text._ZL34rocblas_syrkx_herkx_general_kernelIl19rocblas_complex_numIdELi16ELi32ELi8ELb1ELb0ELc67ELc76EKS1_S1_EviT_T0_PT8_S3_lS6_S3_lS4_PT9_S3_li,"axG",@progbits,_ZL34rocblas_syrkx_herkx_general_kernelIl19rocblas_complex_numIdELi16ELi32ELi8ELb1ELb0ELc67ELc76EKS1_S1_EviT_T0_PT8_S3_lS6_S3_lS4_PT9_S3_li,comdat
	.globl	_ZL34rocblas_syrkx_herkx_general_kernelIl19rocblas_complex_numIdELi16ELi32ELi8ELb1ELb0ELc67ELc76EKS1_S1_EviT_T0_PT8_S3_lS6_S3_lS4_PT9_S3_li ; -- Begin function _ZL34rocblas_syrkx_herkx_general_kernelIl19rocblas_complex_numIdELi16ELi32ELi8ELb1ELb0ELc67ELc76EKS1_S1_EviT_T0_PT8_S3_lS6_S3_lS4_PT9_S3_li
	.p2align	8
	.type	_ZL34rocblas_syrkx_herkx_general_kernelIl19rocblas_complex_numIdELi16ELi32ELi8ELb1ELb0ELc67ELc76EKS1_S1_EviT_T0_PT8_S3_lS6_S3_lS4_PT9_S3_li,@function
_ZL34rocblas_syrkx_herkx_general_kernelIl19rocblas_complex_numIdELi16ELi32ELi8ELb1ELb0ELc67ELc76EKS1_S1_EviT_T0_PT8_S3_lS6_S3_lS4_PT9_S3_li: ; @_ZL34rocblas_syrkx_herkx_general_kernelIl19rocblas_complex_numIdELi16ELi32ELi8ELb1ELb0ELc67ELc76EKS1_S1_EviT_T0_PT8_S3_lS6_S3_lS4_PT9_S3_li
; %bb.0:
	s_load_dwordx16 s[12:27], s[4:5], 0x8
	s_load_dword s9, s[4:5], 0x0
	s_lshl_b32 s28, s6, 5
	s_lshl_b32 s29, s7, 5
	s_waitcnt lgkmcnt(0)
	v_cmp_lt_i64_e64 s[0:1], s[12:13], 1
	s_and_b64 vcc, exec, s[0:1]
	s_cbranch_vccnz .LBB1218_9
; %bb.1:
	v_lshl_add_u32 v2, v1, 4, v0
	v_and_b32_e32 v5, 31, v2
	v_or_b32_e32 v6, s28, v5
	v_and_b32_e32 v30, 7, v0
	v_lshrrev_b32_e32 v3, 3, v2
	v_lshrrev_b32_e32 v29, 5, v2
	v_cmp_gt_i32_e64 s[0:1], s9, v6
	v_lshlrev_b32_e32 v2, 4, v5
	v_lshlrev_b32_e32 v6, 4, v30
	v_lshl_or_b32 v31, v29, 9, v2
	v_lshl_or_b32 v2, v3, 7, v6
	v_add_u32_e32 v32, 0x1000, v2
	v_add_u32_e32 v2, s28, v5
	;; [unrolled: 1-line block ×3, first 2 shown]
	v_ashrrev_i32_e32 v3, 31, v2
	v_mul_lo_u32 v5, s20, v3
	v_mul_lo_u32 v8, s21, v2
	v_mad_u64_u32 v[2:3], s[2:3], s20, v2, 0
	s_mul_i32 s2, s23, s8
	s_mul_hi_u32 s3, s22, s8
	v_add3_u32 v3, v3, v5, v8
	v_lshlrev_b64 v[2:3], 4, v[2:3]
	s_add_i32 s3, s3, s2
	s_mul_i32 s2, s22, s8
	s_lshl_b64 s[2:3], s[2:3], 4
	v_mov_b32_e32 v5, s3
	v_add_co_u32_e64 v2, s[2:3], s2, v2
	v_addc_co_u32_e64 v3, s[2:3], v3, v5, s[2:3]
	v_lshlrev_b32_e32 v5, 4, v29
	v_add_co_u32_e64 v2, s[2:3], v2, v5
	v_addc_co_u32_e64 v3, s[2:3], 0, v3, s[2:3]
	s_load_dwordx2 s[6:7], s[4:5], 0x48
	v_ashrrev_i32_e32 v7, 31, v4
	v_mov_b32_e32 v9, 0x1000
	v_mov_b32_e32 v5, s19
	v_add_co_u32_e64 v8, s[2:3], s18, v2
	v_lshl_add_u32 v34, v1, 7, v9
	v_addc_co_u32_e64 v5, s[2:3], v5, v3, s[2:3]
	v_mul_lo_u32 v9, s26, v7
	v_mul_lo_u32 v10, s27, v4
	v_mad_u64_u32 v[2:3], s[2:3], s26, v4, 0
	v_add_co_u32_e64 v7, s[2:3], 8, v8
	v_addc_co_u32_e64 v8, s[2:3], 0, v5, s[2:3]
	v_add3_u32 v3, v3, v9, v10
	s_waitcnt lgkmcnt(0)
	s_mul_i32 s2, s7, s8
	s_mul_hi_u32 s3, s6, s8
	v_lshlrev_b64 v[2:3], 4, v[2:3]
	s_add_i32 s3, s3, s2
	s_mul_i32 s2, s6, s8
	s_lshl_b64 s[2:3], s[2:3], 4
	v_cmp_gt_i32_e32 vcc, s9, v4
	v_mov_b32_e32 v4, s3
	v_add_co_u32_e64 v2, s[2:3], s2, v2
	v_addc_co_u32_e64 v3, s[2:3], v3, v4, s[2:3]
	v_add_co_u32_e64 v2, s[2:3], v2, v6
	v_addc_co_u32_e64 v3, s[2:3], 0, v3, s[2:3]
	v_mov_b32_e32 v4, s25
	v_add_co_u32_e64 v9, s[2:3], s24, v2
	v_addc_co_u32_e64 v10, s[2:3], v4, v3, s[2:3]
	v_mov_b32_e32 v25, 0
	v_mov_b32_e32 v11, s12
	;; [unrolled: 1-line block ×9, first 2 shown]
	v_lshlrev_b32_e32 v33, 4, v0
	s_mov_b64 s[2:3], 0
	v_mov_b32_e32 v26, 0
	s_xor_b64 s[6:7], vcc, -1
	v_mov_b32_e32 v12, s13
	v_mov_b32_e32 v28, 0
	;; [unrolled: 1-line block ×9, first 2 shown]
	s_branch .LBB1218_3
.LBB1218_2:                             ;   in Loop: Header=BB1218_3 Depth=1
	s_or_b64 exec, exec, s[10:11]
	s_waitcnt lgkmcnt(0)
	s_barrier
	ds_read_b128 v[3:6], v34
	ds_read_b128 v[35:38], v34 offset:16
	ds_read_b128 v[39:42], v34 offset:32
	;; [unrolled: 1-line block ×3, first 2 shown]
	ds_read_b128 v[47:50], v33
	v_add_co_u32_e32 v7, vcc, 0x80, v7
	v_addc_co_u32_e32 v8, vcc, 0, v8, vcc
	s_waitcnt lgkmcnt(0)
	v_mul_f64 v[51:52], v[5:6], v[49:50]
	v_mul_f64 v[53:54], v[3:4], v[49:50]
	s_add_u32 s2, s2, 8
	v_add_co_u32_e32 v9, vcc, 0x80, v9
	s_addc_u32 s3, s3, 0
	v_addc_co_u32_e32 v10, vcc, 0, v10, vcc
	v_fma_f64 v[51:52], v[3:4], v[47:48], -v[51:52]
	v_fma_f64 v[53:54], v[5:6], v[47:48], v[53:54]
	v_cmp_ge_i64_e32 vcc, s[2:3], v[11:12]
	s_and_b64 vcc, exec, vcc
	v_add_f64 v[51:52], v[21:22], v[51:52]
	v_add_f64 v[53:54], v[53:54], v[23:24]
	ds_read_b128 v[21:24], v33 offset:256
	s_waitcnt lgkmcnt(0)
	v_mul_f64 v[55:56], v[5:6], v[23:24]
	v_fma_f64 v[55:56], v[3:4], v[21:22], -v[55:56]
	v_mul_f64 v[3:4], v[3:4], v[23:24]
	v_add_f64 v[55:56], v[13:14], v[55:56]
	v_fma_f64 v[3:4], v[5:6], v[21:22], v[3:4]
	v_add_f64 v[57:58], v[3:4], v[15:16]
	ds_read_b128 v[3:6], v34 offset:2048
	s_waitcnt lgkmcnt(0)
	v_mul_f64 v[13:14], v[5:6], v[49:50]
	v_mul_f64 v[15:16], v[3:4], v[49:50]
	v_fma_f64 v[13:14], v[3:4], v[47:48], -v[13:14]
	v_fma_f64 v[15:16], v[5:6], v[47:48], v[15:16]
	v_add_f64 v[47:48], v[17:18], v[13:14]
	v_mul_f64 v[13:14], v[5:6], v[23:24]
	v_add_f64 v[49:50], v[15:16], v[19:20]
	v_fma_f64 v[13:14], v[3:4], v[21:22], -v[13:14]
	v_mul_f64 v[3:4], v[3:4], v[23:24]
	v_fma_f64 v[3:4], v[5:6], v[21:22], v[3:4]
	v_add_f64 v[21:22], v[27:28], v[13:14]
	v_add_f64 v[23:24], v[3:4], v[25:26]
	ds_read_b128 v[3:6], v33 offset:512
	s_waitcnt lgkmcnt(0)
	v_mul_f64 v[13:14], v[37:38], v[5:6]
	v_mul_f64 v[15:16], v[35:36], v[5:6]
	v_fma_f64 v[13:14], v[35:36], v[3:4], -v[13:14]
	v_fma_f64 v[15:16], v[37:38], v[3:4], v[15:16]
	v_add_f64 v[25:26], v[51:52], v[13:14]
	v_add_f64 v[27:28], v[15:16], v[53:54]
	ds_read_b128 v[13:16], v33 offset:768
	s_waitcnt lgkmcnt(0)
	v_mul_f64 v[17:18], v[37:38], v[15:16]
	v_mul_f64 v[19:20], v[35:36], v[15:16]
	v_fma_f64 v[17:18], v[35:36], v[13:14], -v[17:18]
	;; [unrolled: 8-line block ×3, first 2 shown]
	v_fma_f64 v[3:4], v[19:20], v[3:4], v[5:6]
	v_mul_f64 v[5:6], v[17:18], v[15:16]
	v_add_f64 v[47:48], v[47:48], v[51:52]
	v_add_f64 v[49:50], v[3:4], v[49:50]
	v_mul_f64 v[3:4], v[19:20], v[15:16]
	v_fma_f64 v[5:6], v[19:20], v[13:14], v[5:6]
	v_fma_f64 v[3:4], v[17:18], v[13:14], -v[3:4]
	v_add_f64 v[23:24], v[5:6], v[23:24]
	v_add_f64 v[21:22], v[21:22], v[3:4]
	ds_read_b128 v[3:6], v33 offset:1024
	s_waitcnt lgkmcnt(0)
	v_mul_f64 v[13:14], v[41:42], v[5:6]
	v_mul_f64 v[15:16], v[39:40], v[5:6]
	v_fma_f64 v[13:14], v[39:40], v[3:4], -v[13:14]
	v_fma_f64 v[15:16], v[41:42], v[3:4], v[15:16]
	v_add_f64 v[25:26], v[25:26], v[13:14]
	v_add_f64 v[27:28], v[15:16], v[27:28]
	ds_read_b128 v[13:16], v33 offset:1280
	s_waitcnt lgkmcnt(0)
	v_mul_f64 v[17:18], v[41:42], v[15:16]
	v_mul_f64 v[19:20], v[39:40], v[15:16]
	v_fma_f64 v[17:18], v[39:40], v[13:14], -v[17:18]
	v_fma_f64 v[19:20], v[41:42], v[13:14], v[19:20]
	;; [unrolled: 8-line block ×3, first 2 shown]
	v_mul_f64 v[5:6], v[17:18], v[15:16]
	v_add_f64 v[39:40], v[47:48], v[39:40]
	v_add_f64 v[41:42], v[3:4], v[49:50]
	v_mul_f64 v[3:4], v[19:20], v[15:16]
	v_fma_f64 v[5:6], v[19:20], v[13:14], v[5:6]
	v_fma_f64 v[3:4], v[17:18], v[13:14], -v[3:4]
	v_add_f64 v[23:24], v[5:6], v[23:24]
	v_add_f64 v[21:22], v[21:22], v[3:4]
	ds_read_b128 v[3:6], v33 offset:1536
	s_waitcnt lgkmcnt(0)
	v_mul_f64 v[13:14], v[45:46], v[5:6]
	v_mul_f64 v[15:16], v[43:44], v[5:6]
	v_fma_f64 v[13:14], v[43:44], v[3:4], -v[13:14]
	v_fma_f64 v[15:16], v[45:46], v[3:4], v[15:16]
	v_add_f64 v[25:26], v[25:26], v[13:14]
	v_add_f64 v[27:28], v[15:16], v[27:28]
	ds_read_b128 v[13:16], v33 offset:1792
	s_waitcnt lgkmcnt(0)
	v_mul_f64 v[17:18], v[45:46], v[15:16]
	v_mul_f64 v[19:20], v[43:44], v[15:16]
	v_fma_f64 v[17:18], v[43:44], v[13:14], -v[17:18]
	v_fma_f64 v[19:20], v[45:46], v[13:14], v[19:20]
	v_add_f64 v[35:36], v[35:36], v[17:18]
	v_add_f64 v[37:38], v[19:20], v[37:38]
	ds_read_b128 v[17:20], v34 offset:2096
	s_waitcnt lgkmcnt(0)
	v_mul_f64 v[43:44], v[19:20], v[5:6]
	v_mul_f64 v[5:6], v[17:18], v[5:6]
	v_fma_f64 v[43:44], v[17:18], v[3:4], -v[43:44]
	v_fma_f64 v[3:4], v[19:20], v[3:4], v[5:6]
	v_mul_f64 v[5:6], v[17:18], v[15:16]
	v_add_f64 v[39:40], v[39:40], v[43:44]
	v_add_f64 v[41:42], v[3:4], v[41:42]
	v_mul_f64 v[3:4], v[19:20], v[15:16]
	v_fma_f64 v[5:6], v[19:20], v[13:14], v[5:6]
	v_fma_f64 v[3:4], v[17:18], v[13:14], -v[3:4]
	v_add_f64 v[23:24], v[5:6], v[23:24]
	v_add_f64 v[21:22], v[21:22], v[3:4]
	ds_read_b128 v[3:6], v34 offset:64
	ds_read_b128 v[13:16], v33 offset:2048
	s_waitcnt lgkmcnt(0)
	v_mul_f64 v[17:18], v[5:6], v[15:16]
	v_mul_f64 v[19:20], v[3:4], v[15:16]
	v_fma_f64 v[17:18], v[3:4], v[13:14], -v[17:18]
	v_fma_f64 v[19:20], v[5:6], v[13:14], v[19:20]
	v_add_f64 v[25:26], v[25:26], v[17:18]
	v_add_f64 v[27:28], v[19:20], v[27:28]
	ds_read_b128 v[17:20], v33 offset:2304
	s_waitcnt lgkmcnt(0)
	v_mul_f64 v[43:44], v[5:6], v[19:20]
	v_fma_f64 v[43:44], v[3:4], v[17:18], -v[43:44]
	v_mul_f64 v[3:4], v[3:4], v[19:20]
	v_add_f64 v[35:36], v[35:36], v[43:44]
	v_fma_f64 v[3:4], v[5:6], v[17:18], v[3:4]
	v_add_f64 v[37:38], v[3:4], v[37:38]
	ds_read_b128 v[3:6], v34 offset:2112
	s_waitcnt lgkmcnt(0)
	v_mul_f64 v[43:44], v[5:6], v[15:16]
	v_mul_f64 v[15:16], v[3:4], v[15:16]
	v_fma_f64 v[43:44], v[3:4], v[13:14], -v[43:44]
	v_fma_f64 v[13:14], v[5:6], v[13:14], v[15:16]
	v_add_f64 v[39:40], v[39:40], v[43:44]
	v_add_f64 v[41:42], v[13:14], v[41:42]
	v_mul_f64 v[13:14], v[5:6], v[19:20]
	v_fma_f64 v[13:14], v[3:4], v[17:18], -v[13:14]
	v_mul_f64 v[3:4], v[3:4], v[19:20]
	v_add_f64 v[21:22], v[21:22], v[13:14]
	v_fma_f64 v[3:4], v[5:6], v[17:18], v[3:4]
	v_add_f64 v[23:24], v[3:4], v[23:24]
	ds_read_b128 v[3:6], v34 offset:80
	ds_read_b128 v[13:16], v33 offset:2560
	s_waitcnt lgkmcnt(0)
	v_mul_f64 v[17:18], v[5:6], v[15:16]
	v_mul_f64 v[19:20], v[3:4], v[15:16]
	v_fma_f64 v[17:18], v[3:4], v[13:14], -v[17:18]
	v_fma_f64 v[19:20], v[5:6], v[13:14], v[19:20]
	v_add_f64 v[25:26], v[25:26], v[17:18]
	v_add_f64 v[27:28], v[19:20], v[27:28]
	ds_read_b128 v[17:20], v33 offset:2816
	s_waitcnt lgkmcnt(0)
	v_mul_f64 v[43:44], v[5:6], v[19:20]
	v_fma_f64 v[43:44], v[3:4], v[17:18], -v[43:44]
	v_mul_f64 v[3:4], v[3:4], v[19:20]
	v_add_f64 v[35:36], v[35:36], v[43:44]
	v_fma_f64 v[3:4], v[5:6], v[17:18], v[3:4]
	v_add_f64 v[37:38], v[3:4], v[37:38]
	ds_read_b128 v[3:6], v34 offset:2128
	s_waitcnt lgkmcnt(0)
	v_mul_f64 v[43:44], v[5:6], v[15:16]
	v_mul_f64 v[15:16], v[3:4], v[15:16]
	v_fma_f64 v[43:44], v[3:4], v[13:14], -v[43:44]
	v_fma_f64 v[13:14], v[5:6], v[13:14], v[15:16]
	v_add_f64 v[39:40], v[39:40], v[43:44]
	v_add_f64 v[41:42], v[13:14], v[41:42]
	v_mul_f64 v[13:14], v[5:6], v[19:20]
	v_fma_f64 v[13:14], v[3:4], v[17:18], -v[13:14]
	v_mul_f64 v[3:4], v[3:4], v[19:20]
	v_add_f64 v[21:22], v[21:22], v[13:14]
	v_fma_f64 v[3:4], v[5:6], v[17:18], v[3:4]
	;; [unrolled: 31-line block ×3, first 2 shown]
	v_add_f64 v[45:46], v[3:4], v[23:24]
	ds_read_b128 v[3:6], v34 offset:112
	ds_read_b128 v[17:20], v33 offset:3584
	s_waitcnt lgkmcnt(0)
	v_mul_f64 v[13:14], v[5:6], v[19:20]
	v_mul_f64 v[15:16], v[3:4], v[19:20]
	v_fma_f64 v[13:14], v[3:4], v[17:18], -v[13:14]
	v_fma_f64 v[15:16], v[5:6], v[17:18], v[15:16]
	v_add_f64 v[21:22], v[25:26], v[13:14]
	v_add_f64 v[23:24], v[15:16], v[27:28]
	ds_read_b128 v[25:28], v33 offset:3840
	s_waitcnt lgkmcnt(0)
	v_mul_f64 v[13:14], v[5:6], v[27:28]
	v_fma_f64 v[13:14], v[3:4], v[25:26], -v[13:14]
	v_mul_f64 v[3:4], v[3:4], v[27:28]
	v_add_f64 v[13:14], v[35:36], v[13:14]
	v_fma_f64 v[3:4], v[5:6], v[25:26], v[3:4]
	v_add_f64 v[15:16], v[3:4], v[37:38]
	ds_read_b128 v[3:6], v34 offset:2160
	s_waitcnt lgkmcnt(0)
	s_barrier
	v_mul_f64 v[35:36], v[5:6], v[19:20]
	v_mul_f64 v[19:20], v[3:4], v[19:20]
	v_fma_f64 v[35:36], v[3:4], v[17:18], -v[35:36]
	v_fma_f64 v[19:20], v[5:6], v[17:18], v[19:20]
	v_add_f64 v[17:18], v[39:40], v[35:36]
	v_mul_f64 v[35:36], v[5:6], v[27:28]
	v_add_f64 v[19:20], v[19:20], v[41:42]
	v_fma_f64 v[35:36], v[3:4], v[25:26], -v[35:36]
	v_mul_f64 v[3:4], v[3:4], v[27:28]
	v_add_f64 v[27:28], v[43:44], v[35:36]
	v_fma_f64 v[3:4], v[5:6], v[25:26], v[3:4]
	v_add_f64 v[25:26], v[3:4], v[45:46]
	s_cbranch_vccnz .LBB1218_10
.LBB1218_3:                             ; =>This Inner Loop Header: Depth=1
	v_mov_b32_e32 v4, s3
	v_add_co_u32_e32 v3, vcc, s2, v29
	v_addc_co_u32_e32 v4, vcc, 0, v4, vcc
	v_cmp_gt_i64_e32 vcc, s[12:13], v[3:4]
	v_mov_b32_e32 v3, 0
	v_mov_b32_e32 v5, 0
	;; [unrolled: 1-line block ×4, first 2 shown]
	s_and_b64 s[18:19], s[0:1], vcc
	s_and_saveexec_b64 s[10:11], s[18:19]
	s_cbranch_execz .LBB1218_5
; %bb.4:                                ;   in Loop: Header=BB1218_3 Depth=1
	global_load_dwordx4 v[3:6], v[7:8], off offset:-8
.LBB1218_5:                             ;   in Loop: Header=BB1218_3 Depth=1
	s_or_b64 exec, exec, s[10:11]
	v_mov_b32_e32 v36, s3
	v_add_co_u32_e32 v35, vcc, s2, v30
	v_addc_co_u32_e32 v36, vcc, 0, v36, vcc
	v_cmp_le_i64_e32 vcc, s[12:13], v[35:36]
	s_waitcnt vmcnt(0)
	ds_write_b128 v31, v[3:6]
	s_or_b64 s[10:11], vcc, s[6:7]
	s_and_saveexec_b64 s[18:19], s[10:11]
	s_xor_b64 s[10:11], exec, s[18:19]
; %bb.6:                                ;   in Loop: Header=BB1218_3 Depth=1
	v_mov_b32_e32 v3, v2
	v_mov_b32_e32 v4, v2
	v_mov_b32_e32 v5, v2
	ds_write_b128 v32, v[2:5]
; %bb.7:                                ;   in Loop: Header=BB1218_3 Depth=1
	s_andn2_saveexec_b64 s[10:11], s[10:11]
	s_cbranch_execz .LBB1218_2
; %bb.8:                                ;   in Loop: Header=BB1218_3 Depth=1
	global_load_dwordx4 v[3:6], v[9:10], off
	s_waitcnt vmcnt(0)
	ds_write2_b64 v32, v[3:4], v[5:6] offset1:1
	s_branch .LBB1218_2
.LBB1218_9:
	v_mov_b32_e32 v21, 0
	v_mov_b32_e32 v23, 0
	;; [unrolled: 1-line block ×16, first 2 shown]
.LBB1218_10:
	s_load_dwordx2 s[0:1], s[4:5], 0x70
	s_load_dwordx4 s[20:23], s[4:5], 0x60
	v_add_u32_e32 v4, s29, v1
	v_ashrrev_i32_e32 v1, 31, v4
	v_add_u32_e32 v0, s28, v0
	s_waitcnt lgkmcnt(0)
	s_mul_i32 s1, s1, s8
	s_mul_hi_u32 s2, s0, s8
	s_add_i32 s1, s2, s1
	v_mul_lo_u32 v3, s22, v1
	v_mul_lo_u32 v5, s23, v4
	v_mad_u64_u32 v[1:2], s[2:3], s22, v4, 0
	s_mul_i32 s0, s0, s8
	s_lshl_b64 s[0:1], s[0:1], 4
	v_add3_u32 v2, v2, v3, v5
	s_add_u32 s6, s20, s0
	v_lshlrev_b64 v[1:2], 4, v[1:2]
	s_addc_u32 s7, s21, s1
	v_mov_b32_e32 v3, s7
	v_add_co_u32_e32 v5, vcc, s6, v1
	v_addc_co_u32_e32 v6, vcc, v3, v2, vcc
	v_cmp_le_i32_e64 s[0:1], v4, v0
	v_cmp_gt_i32_e32 vcc, s9, v0
	s_and_b64 s[0:1], s[0:1], vcc
	s_and_saveexec_b64 s[2:3], s[0:1]
	s_cbranch_execz .LBB1218_12
; %bb.11:
	v_mul_f64 v[1:2], s[16:17], v[23:24]
	v_mul_f64 v[9:10], s[14:15], v[23:24]
	v_fma_f64 v[7:8], s[14:15], v[21:22], -v[1:2]
	v_fma_f64 v[9:10], s[16:17], v[21:22], v[9:10]
	v_ashrrev_i32_e32 v1, 31, v0
	v_lshlrev_b64 v[1:2], 4, v[0:1]
	v_add_co_u32_e64 v1, s[0:1], v5, v1
	v_addc_co_u32_e64 v2, s[0:1], v6, v2, s[0:1]
	global_store_dwordx4 v[1:2], v[7:10], off
.LBB1218_12:
	s_or_b64 exec, exec, s[2:3]
	v_add_u32_e32 v2, 16, v0
	v_cmp_le_i32_e64 s[2:3], v4, v2
	v_cmp_gt_i32_e64 s[0:1], s9, v2
	s_and_b64 s[2:3], s[2:3], s[0:1]
	s_and_saveexec_b64 s[4:5], s[2:3]
	s_cbranch_execz .LBB1218_14
; %bb.13:
	v_mul_f64 v[7:8], s[16:17], v[15:16]
	v_mul_f64 v[9:10], s[14:15], v[15:16]
	v_ashrrev_i32_e32 v3, 31, v2
	v_lshlrev_b64 v[11:12], 4, v[2:3]
	v_add_co_u32_e64 v5, s[2:3], v5, v11
	v_addc_co_u32_e64 v6, s[2:3], v6, v12, s[2:3]
	v_fma_f64 v[7:8], s[14:15], v[13:14], -v[7:8]
	v_fma_f64 v[9:10], s[16:17], v[13:14], v[9:10]
	global_store_dwordx4 v[5:6], v[7:10], off
.LBB1218_14:
	s_or_b64 exec, exec, s[4:5]
	v_add_u32_e32 v3, 16, v4
	v_ashrrev_i32_e32 v1, 31, v3
	v_mul_lo_u32 v6, s23, v3
	v_mad_u64_u32 v[4:5], s[2:3], s22, v3, 0
	v_mul_lo_u32 v1, s22, v1
	v_add3_u32 v5, v5, v1, v6
	v_lshlrev_b64 v[4:5], 4, v[4:5]
	v_mov_b32_e32 v1, s7
	v_add_co_u32_e64 v4, s[2:3], s6, v4
	v_addc_co_u32_e64 v5, s[2:3], v1, v5, s[2:3]
	v_cmp_le_i32_e64 s[2:3], v3, v0
	s_and_b64 s[4:5], s[2:3], vcc
	s_and_saveexec_b64 s[2:3], s[4:5]
	s_cbranch_execz .LBB1218_16
; %bb.15:
	v_mul_f64 v[6:7], s[16:17], v[19:20]
	v_mul_f64 v[8:9], s[14:15], v[19:20]
	v_ashrrev_i32_e32 v1, 31, v0
	v_lshlrev_b64 v[0:1], 4, v[0:1]
	v_add_co_u32_e32 v0, vcc, v4, v0
	v_addc_co_u32_e32 v1, vcc, v5, v1, vcc
	v_fma_f64 v[6:7], s[14:15], v[17:18], -v[6:7]
	v_fma_f64 v[8:9], s[16:17], v[17:18], v[8:9]
	global_store_dwordx4 v[0:1], v[6:9], off
.LBB1218_16:
	s_or_b64 exec, exec, s[2:3]
	v_cmp_le_i32_e32 vcc, v3, v2
	s_and_b64 s[0:1], vcc, s[0:1]
	s_and_saveexec_b64 s[2:3], s[0:1]
	s_cbranch_execz .LBB1218_18
; %bb.17:
	v_mul_f64 v[0:1], s[16:17], v[25:26]
	v_mul_f64 v[8:9], s[14:15], v[25:26]
	v_ashrrev_i32_e32 v3, 31, v2
	v_fma_f64 v[6:7], s[14:15], v[27:28], -v[0:1]
	v_fma_f64 v[8:9], s[16:17], v[27:28], v[8:9]
	v_lshlrev_b64 v[0:1], 4, v[2:3]
	v_add_co_u32_e32 v0, vcc, v4, v0
	v_addc_co_u32_e32 v1, vcc, v5, v1, vcc
	global_store_dwordx4 v[0:1], v[6:9], off
.LBB1218_18:
	s_endpgm
	.section	.rodata,"a",@progbits
	.p2align	6, 0x0
	.amdhsa_kernel _ZL34rocblas_syrkx_herkx_general_kernelIl19rocblas_complex_numIdELi16ELi32ELi8ELb1ELb0ELc67ELc76EKS1_S1_EviT_T0_PT8_S3_lS6_S3_lS4_PT9_S3_li
		.amdhsa_group_segment_fixed_size 8192
		.amdhsa_private_segment_fixed_size 0
		.amdhsa_kernarg_size 124
		.amdhsa_user_sgpr_count 6
		.amdhsa_user_sgpr_private_segment_buffer 1
		.amdhsa_user_sgpr_dispatch_ptr 0
		.amdhsa_user_sgpr_queue_ptr 0
		.amdhsa_user_sgpr_kernarg_segment_ptr 1
		.amdhsa_user_sgpr_dispatch_id 0
		.amdhsa_user_sgpr_flat_scratch_init 0
		.amdhsa_user_sgpr_private_segment_size 0
		.amdhsa_uses_dynamic_stack 0
		.amdhsa_system_sgpr_private_segment_wavefront_offset 0
		.amdhsa_system_sgpr_workgroup_id_x 1
		.amdhsa_system_sgpr_workgroup_id_y 1
		.amdhsa_system_sgpr_workgroup_id_z 1
		.amdhsa_system_sgpr_workgroup_info 0
		.amdhsa_system_vgpr_workitem_id 1
		.amdhsa_next_free_vgpr 59
		.amdhsa_next_free_sgpr 61
		.amdhsa_reserve_vcc 1
		.amdhsa_reserve_flat_scratch 0
		.amdhsa_float_round_mode_32 0
		.amdhsa_float_round_mode_16_64 0
		.amdhsa_float_denorm_mode_32 3
		.amdhsa_float_denorm_mode_16_64 3
		.amdhsa_dx10_clamp 1
		.amdhsa_ieee_mode 1
		.amdhsa_fp16_overflow 0
		.amdhsa_exception_fp_ieee_invalid_op 0
		.amdhsa_exception_fp_denorm_src 0
		.amdhsa_exception_fp_ieee_div_zero 0
		.amdhsa_exception_fp_ieee_overflow 0
		.amdhsa_exception_fp_ieee_underflow 0
		.amdhsa_exception_fp_ieee_inexact 0
		.amdhsa_exception_int_div_zero 0
	.end_amdhsa_kernel
	.section	.text._ZL34rocblas_syrkx_herkx_general_kernelIl19rocblas_complex_numIdELi16ELi32ELi8ELb1ELb0ELc67ELc76EKS1_S1_EviT_T0_PT8_S3_lS6_S3_lS4_PT9_S3_li,"axG",@progbits,_ZL34rocblas_syrkx_herkx_general_kernelIl19rocblas_complex_numIdELi16ELi32ELi8ELb1ELb0ELc67ELc76EKS1_S1_EviT_T0_PT8_S3_lS6_S3_lS4_PT9_S3_li,comdat
.Lfunc_end1218:
	.size	_ZL34rocblas_syrkx_herkx_general_kernelIl19rocblas_complex_numIdELi16ELi32ELi8ELb1ELb0ELc67ELc76EKS1_S1_EviT_T0_PT8_S3_lS6_S3_lS4_PT9_S3_li, .Lfunc_end1218-_ZL34rocblas_syrkx_herkx_general_kernelIl19rocblas_complex_numIdELi16ELi32ELi8ELb1ELb0ELc67ELc76EKS1_S1_EviT_T0_PT8_S3_lS6_S3_lS4_PT9_S3_li
                                        ; -- End function
	.set _ZL34rocblas_syrkx_herkx_general_kernelIl19rocblas_complex_numIdELi16ELi32ELi8ELb1ELb0ELc67ELc76EKS1_S1_EviT_T0_PT8_S3_lS6_S3_lS4_PT9_S3_li.num_vgpr, 59
	.set _ZL34rocblas_syrkx_herkx_general_kernelIl19rocblas_complex_numIdELi16ELi32ELi8ELb1ELb0ELc67ELc76EKS1_S1_EviT_T0_PT8_S3_lS6_S3_lS4_PT9_S3_li.num_agpr, 0
	.set _ZL34rocblas_syrkx_herkx_general_kernelIl19rocblas_complex_numIdELi16ELi32ELi8ELb1ELb0ELc67ELc76EKS1_S1_EviT_T0_PT8_S3_lS6_S3_lS4_PT9_S3_li.numbered_sgpr, 30
	.set _ZL34rocblas_syrkx_herkx_general_kernelIl19rocblas_complex_numIdELi16ELi32ELi8ELb1ELb0ELc67ELc76EKS1_S1_EviT_T0_PT8_S3_lS6_S3_lS4_PT9_S3_li.num_named_barrier, 0
	.set _ZL34rocblas_syrkx_herkx_general_kernelIl19rocblas_complex_numIdELi16ELi32ELi8ELb1ELb0ELc67ELc76EKS1_S1_EviT_T0_PT8_S3_lS6_S3_lS4_PT9_S3_li.private_seg_size, 0
	.set _ZL34rocblas_syrkx_herkx_general_kernelIl19rocblas_complex_numIdELi16ELi32ELi8ELb1ELb0ELc67ELc76EKS1_S1_EviT_T0_PT8_S3_lS6_S3_lS4_PT9_S3_li.uses_vcc, 1
	.set _ZL34rocblas_syrkx_herkx_general_kernelIl19rocblas_complex_numIdELi16ELi32ELi8ELb1ELb0ELc67ELc76EKS1_S1_EviT_T0_PT8_S3_lS6_S3_lS4_PT9_S3_li.uses_flat_scratch, 0
	.set _ZL34rocblas_syrkx_herkx_general_kernelIl19rocblas_complex_numIdELi16ELi32ELi8ELb1ELb0ELc67ELc76EKS1_S1_EviT_T0_PT8_S3_lS6_S3_lS4_PT9_S3_li.has_dyn_sized_stack, 0
	.set _ZL34rocblas_syrkx_herkx_general_kernelIl19rocblas_complex_numIdELi16ELi32ELi8ELb1ELb0ELc67ELc76EKS1_S1_EviT_T0_PT8_S3_lS6_S3_lS4_PT9_S3_li.has_recursion, 0
	.set _ZL34rocblas_syrkx_herkx_general_kernelIl19rocblas_complex_numIdELi16ELi32ELi8ELb1ELb0ELc67ELc76EKS1_S1_EviT_T0_PT8_S3_lS6_S3_lS4_PT9_S3_li.has_indirect_call, 0
	.section	.AMDGPU.csdata,"",@progbits
; Kernel info:
; codeLenInByte = 3208
; TotalNumSgprs: 34
; NumVgprs: 59
; ScratchSize: 0
; MemoryBound: 1
; FloatMode: 240
; IeeeMode: 1
; LDSByteSize: 8192 bytes/workgroup (compile time only)
; SGPRBlocks: 8
; VGPRBlocks: 14
; NumSGPRsForWavesPerEU: 65
; NumVGPRsForWavesPerEU: 59
; Occupancy: 4
; WaveLimiterHint : 0
; COMPUTE_PGM_RSRC2:SCRATCH_EN: 0
; COMPUTE_PGM_RSRC2:USER_SGPR: 6
; COMPUTE_PGM_RSRC2:TRAP_HANDLER: 0
; COMPUTE_PGM_RSRC2:TGID_X_EN: 1
; COMPUTE_PGM_RSRC2:TGID_Y_EN: 1
; COMPUTE_PGM_RSRC2:TGID_Z_EN: 1
; COMPUTE_PGM_RSRC2:TIDIG_COMP_CNT: 1
	.section	.text._ZL34rocblas_syrkx_herkx_general_kernelIl19rocblas_complex_numIdELi16ELi32ELi8ELb1ELb0ELc78ELc76EKS1_S1_EviT_T0_PT8_S3_lS6_S3_lS4_PT9_S3_li,"axG",@progbits,_ZL34rocblas_syrkx_herkx_general_kernelIl19rocblas_complex_numIdELi16ELi32ELi8ELb1ELb0ELc78ELc76EKS1_S1_EviT_T0_PT8_S3_lS6_S3_lS4_PT9_S3_li,comdat
	.globl	_ZL34rocblas_syrkx_herkx_general_kernelIl19rocblas_complex_numIdELi16ELi32ELi8ELb1ELb0ELc78ELc76EKS1_S1_EviT_T0_PT8_S3_lS6_S3_lS4_PT9_S3_li ; -- Begin function _ZL34rocblas_syrkx_herkx_general_kernelIl19rocblas_complex_numIdELi16ELi32ELi8ELb1ELb0ELc78ELc76EKS1_S1_EviT_T0_PT8_S3_lS6_S3_lS4_PT9_S3_li
	.p2align	8
	.type	_ZL34rocblas_syrkx_herkx_general_kernelIl19rocblas_complex_numIdELi16ELi32ELi8ELb1ELb0ELc78ELc76EKS1_S1_EviT_T0_PT8_S3_lS6_S3_lS4_PT9_S3_li,@function
_ZL34rocblas_syrkx_herkx_general_kernelIl19rocblas_complex_numIdELi16ELi32ELi8ELb1ELb0ELc78ELc76EKS1_S1_EviT_T0_PT8_S3_lS6_S3_lS4_PT9_S3_li: ; @_ZL34rocblas_syrkx_herkx_general_kernelIl19rocblas_complex_numIdELi16ELi32ELi8ELb1ELb0ELc78ELc76EKS1_S1_EviT_T0_PT8_S3_lS6_S3_lS4_PT9_S3_li
; %bb.0:
	s_load_dwordx16 s[12:27], s[4:5], 0x8
	s_load_dword s9, s[4:5], 0x0
	s_lshl_b32 s28, s6, 5
	s_lshl_b32 s29, s7, 5
	s_waitcnt lgkmcnt(0)
	v_cmp_lt_i64_e64 s[0:1], s[12:13], 1
	s_and_b64 vcc, exec, s[0:1]
	s_cbranch_vccnz .LBB1219_9
; %bb.1:
	v_lshl_add_u32 v3, v1, 4, v0
	v_and_b32_e32 v7, 31, v3
	v_or_b32_e32 v4, s28, v7
	v_lshrrev_b32_e32 v29, 5, v3
	v_cmp_gt_i32_e32 vcc, s9, v4
	v_mad_u64_u32 v[4:5], s[2:3], s20, v29, 0
	v_lshrrev_b32_e32 v6, 3, v3
	v_and_b32_e32 v30, 7, v0
	v_lshlrev_b32_e32 v3, 4, v7
	v_lshl_or_b32 v31, v29, 9, v3
	v_lshlrev_b32_e32 v3, 4, v30
	v_add_u32_e32 v2, s29, v6
	v_lshl_or_b32 v3, v6, 7, v3
	v_mad_u64_u32 v[5:6], s[2:3], s21, v29, v[5:6]
	s_mul_i32 s2, s23, s8
	s_mul_hi_u32 s3, s22, s8
	v_lshlrev_b64 v[4:5], 4, v[4:5]
	s_add_i32 s3, s3, s2
	s_mul_i32 s2, s22, s8
	v_mov_b32_e32 v6, 0x1000
	s_lshl_b64 s[2:3], s[2:3], 4
	v_lshl_add_u32 v34, v1, 7, v6
	v_mov_b32_e32 v6, s3
	v_add_co_u32_e64 v8, s[2:3], s2, v4
	v_add_u32_e32 v4, s28, v7
	v_addc_co_u32_e64 v6, s[2:3], v5, v6, s[2:3]
	v_ashrrev_i32_e32 v5, 31, v4
	v_lshlrev_b64 v[4:5], 4, v[4:5]
	s_load_dwordx2 s[10:11], s[4:5], 0x48
	v_add_co_u32_e64 v4, s[2:3], v8, v4
	v_addc_co_u32_e64 v5, s[2:3], v6, v5, s[2:3]
	v_mov_b32_e32 v6, s19
	v_add_co_u32_e64 v7, s[2:3], s18, v4
	v_addc_co_u32_e64 v8, s[2:3], v6, v5, s[2:3]
	v_mad_u64_u32 v[4:5], s[2:3], s26, v30, 0
	s_waitcnt lgkmcnt(0)
	s_mul_i32 s11, s11, s8
	s_mul_hi_u32 s18, s10, s8
	v_mad_u64_u32 v[5:6], s[2:3], s27, v30, v[5:6]
	s_add_i32 s3, s18, s11
	s_mul_i32 s2, s10, s8
	v_lshlrev_b64 v[4:5], 4, v[4:5]
	v_add_u32_e32 v32, 0x1000, v3
	v_ashrrev_i32_e32 v3, 31, v2
	s_lshl_b64 s[2:3], s[2:3], 4
	v_cmp_gt_i32_e64 s[0:1], s9, v2
	v_mov_b32_e32 v6, s3
	v_add_co_u32_e64 v4, s[2:3], s2, v4
	v_lshlrev_b64 v[2:3], 4, v[2:3]
	v_addc_co_u32_e64 v5, s[2:3], v6, v5, s[2:3]
	v_add_co_u32_e64 v2, s[2:3], v4, v2
	v_addc_co_u32_e64 v3, s[2:3], v5, v3, s[2:3]
	v_mov_b32_e32 v4, s25
	v_add_co_u32_e64 v2, s[2:3], s24, v2
	v_addc_co_u32_e64 v3, s[2:3], v4, v3, s[2:3]
	v_add_co_u32_e64 v9, s[2:3], 8, v2
	v_addc_co_u32_e64 v10, s[2:3], 0, v3, s[2:3]
	s_lshl_b64 s[6:7], s[20:21], 7
	s_lshl_b64 s[2:3], s[26:27], 7
	v_mov_b32_e32 v25, 0
	v_mov_b32_e32 v11, s12
	;; [unrolled: 1-line block ×9, first 2 shown]
	v_lshlrev_b32_e32 v33, 4, v0
	s_mov_b64 s[10:11], 0
	v_mov_b32_e32 v26, 0
	s_xor_b64 s[18:19], vcc, -1
	v_mov_b32_e32 v35, s7
	v_mov_b32_e32 v36, s3
	;; [unrolled: 1-line block ×11, first 2 shown]
	s_branch .LBB1219_3
.LBB1219_2:                             ;   in Loop: Header=BB1219_3 Depth=1
	s_or_b64 exec, exec, s[20:21]
	s_waitcnt vmcnt(0)
	ds_write_b128 v32, v[3:6]
	s_waitcnt lgkmcnt(0)
	s_barrier
	ds_read_b128 v[3:6], v34
	ds_read_b128 v[37:40], v34 offset:16
	ds_read_b128 v[41:44], v34 offset:32
	ds_read_b128 v[45:48], v34 offset:48
	ds_read_b128 v[49:52], v33
	v_add_co_u32_e32 v7, vcc, s6, v7
	v_addc_co_u32_e32 v8, vcc, v8, v35, vcc
	s_waitcnt lgkmcnt(0)
	v_mul_f64 v[53:54], v[5:6], v[51:52]
	v_mul_f64 v[55:56], v[3:4], v[51:52]
	s_add_u32 s10, s10, 8
	v_add_co_u32_e32 v9, vcc, s2, v9
	s_addc_u32 s11, s11, 0
	v_addc_co_u32_e32 v10, vcc, v10, v36, vcc
	v_fma_f64 v[53:54], v[3:4], v[49:50], -v[53:54]
	v_fma_f64 v[55:56], v[5:6], v[49:50], v[55:56]
	v_cmp_ge_i64_e32 vcc, s[10:11], v[11:12]
	s_and_b64 vcc, exec, vcc
	v_add_f64 v[19:20], v[19:20], v[53:54]
	v_add_f64 v[23:24], v[55:56], v[23:24]
	ds_read_b128 v[53:56], v33 offset:256
	s_waitcnt lgkmcnt(0)
	v_mul_f64 v[57:58], v[5:6], v[55:56]
	v_fma_f64 v[57:58], v[3:4], v[53:54], -v[57:58]
	v_mul_f64 v[3:4], v[3:4], v[55:56]
	v_add_f64 v[57:58], v[13:14], v[57:58]
	v_fma_f64 v[3:4], v[5:6], v[53:54], v[3:4]
	v_add_f64 v[59:60], v[3:4], v[15:16]
	ds_read_b128 v[3:6], v34 offset:2048
	s_waitcnt lgkmcnt(0)
	v_mul_f64 v[13:14], v[5:6], v[51:52]
	v_mul_f64 v[15:16], v[3:4], v[51:52]
	v_fma_f64 v[13:14], v[3:4], v[49:50], -v[13:14]
	v_fma_f64 v[15:16], v[5:6], v[49:50], v[15:16]
	v_add_f64 v[49:50], v[17:18], v[13:14]
	v_mul_f64 v[13:14], v[5:6], v[55:56]
	v_add_f64 v[21:22], v[15:16], v[21:22]
	v_fma_f64 v[13:14], v[3:4], v[53:54], -v[13:14]
	v_mul_f64 v[3:4], v[3:4], v[55:56]
	v_add_f64 v[27:28], v[27:28], v[13:14]
	v_fma_f64 v[3:4], v[5:6], v[53:54], v[3:4]
	v_add_f64 v[25:26], v[3:4], v[25:26]
	ds_read_b128 v[3:6], v33 offset:512
	s_waitcnt lgkmcnt(0)
	v_mul_f64 v[13:14], v[39:40], v[5:6]
	v_mul_f64 v[15:16], v[37:38], v[5:6]
	v_fma_f64 v[13:14], v[37:38], v[3:4], -v[13:14]
	v_fma_f64 v[15:16], v[39:40], v[3:4], v[15:16]
	v_add_f64 v[51:52], v[19:20], v[13:14]
	v_add_f64 v[23:24], v[15:16], v[23:24]
	ds_read_b128 v[13:16], v33 offset:768
	s_waitcnt lgkmcnt(0)
	v_mul_f64 v[17:18], v[39:40], v[15:16]
	v_mul_f64 v[19:20], v[37:38], v[15:16]
	v_fma_f64 v[17:18], v[37:38], v[13:14], -v[17:18]
	v_fma_f64 v[19:20], v[39:40], v[13:14], v[19:20]
	v_add_f64 v[37:38], v[57:58], v[17:18]
	v_add_f64 v[39:40], v[19:20], v[59:60]
	ds_read_b128 v[17:20], v34 offset:2064
	s_waitcnt lgkmcnt(0)
	v_mul_f64 v[53:54], v[19:20], v[5:6]
	v_mul_f64 v[5:6], v[17:18], v[5:6]
	v_fma_f64 v[53:54], v[17:18], v[3:4], -v[53:54]
	v_fma_f64 v[3:4], v[19:20], v[3:4], v[5:6]
	v_mul_f64 v[5:6], v[17:18], v[15:16]
	v_add_f64 v[49:50], v[49:50], v[53:54]
	v_add_f64 v[21:22], v[3:4], v[21:22]
	v_mul_f64 v[3:4], v[19:20], v[15:16]
	v_fma_f64 v[5:6], v[19:20], v[13:14], v[5:6]
	v_fma_f64 v[3:4], v[17:18], v[13:14], -v[3:4]
	v_add_f64 v[25:26], v[5:6], v[25:26]
	v_add_f64 v[27:28], v[27:28], v[3:4]
	ds_read_b128 v[3:6], v33 offset:1024
	s_waitcnt lgkmcnt(0)
	v_mul_f64 v[13:14], v[43:44], v[5:6]
	v_mul_f64 v[15:16], v[41:42], v[5:6]
	v_fma_f64 v[13:14], v[41:42], v[3:4], -v[13:14]
	v_fma_f64 v[15:16], v[43:44], v[3:4], v[15:16]
	v_add_f64 v[51:52], v[51:52], v[13:14]
	v_add_f64 v[23:24], v[15:16], v[23:24]
	ds_read_b128 v[13:16], v33 offset:1280
	s_waitcnt lgkmcnt(0)
	v_mul_f64 v[17:18], v[43:44], v[15:16]
	v_mul_f64 v[19:20], v[41:42], v[15:16]
	v_fma_f64 v[17:18], v[41:42], v[13:14], -v[17:18]
	v_fma_f64 v[19:20], v[43:44], v[13:14], v[19:20]
	v_add_f64 v[37:38], v[37:38], v[17:18]
	v_add_f64 v[39:40], v[19:20], v[39:40]
	ds_read_b128 v[17:20], v34 offset:2080
	s_waitcnt lgkmcnt(0)
	v_mul_f64 v[41:42], v[19:20], v[5:6]
	v_mul_f64 v[5:6], v[17:18], v[5:6]
	v_fma_f64 v[41:42], v[17:18], v[3:4], -v[41:42]
	v_fma_f64 v[3:4], v[19:20], v[3:4], v[5:6]
	v_mul_f64 v[5:6], v[17:18], v[15:16]
	v_add_f64 v[41:42], v[49:50], v[41:42]
	v_add_f64 v[21:22], v[3:4], v[21:22]
	v_mul_f64 v[3:4], v[19:20], v[15:16]
	v_fma_f64 v[5:6], v[19:20], v[13:14], v[5:6]
	v_fma_f64 v[3:4], v[17:18], v[13:14], -v[3:4]
	v_add_f64 v[25:26], v[5:6], v[25:26]
	;; [unrolled: 30-line block ×3, first 2 shown]
	v_add_f64 v[27:28], v[27:28], v[3:4]
	ds_read_b128 v[3:6], v34 offset:64
	ds_read_b128 v[13:16], v33 offset:2048
	s_waitcnt lgkmcnt(0)
	v_mul_f64 v[17:18], v[5:6], v[15:16]
	v_mul_f64 v[19:20], v[3:4], v[15:16]
	v_fma_f64 v[17:18], v[3:4], v[13:14], -v[17:18]
	v_fma_f64 v[19:20], v[5:6], v[13:14], v[19:20]
	v_add_f64 v[43:44], v[43:44], v[17:18]
	v_add_f64 v[23:24], v[19:20], v[23:24]
	ds_read_b128 v[17:20], v33 offset:2304
	s_waitcnt lgkmcnt(0)
	v_mul_f64 v[45:46], v[5:6], v[19:20]
	v_fma_f64 v[45:46], v[3:4], v[17:18], -v[45:46]
	v_mul_f64 v[3:4], v[3:4], v[19:20]
	v_add_f64 v[37:38], v[37:38], v[45:46]
	v_fma_f64 v[3:4], v[5:6], v[17:18], v[3:4]
	v_add_f64 v[39:40], v[3:4], v[39:40]
	ds_read_b128 v[3:6], v34 offset:2112
	s_waitcnt lgkmcnt(0)
	v_mul_f64 v[45:46], v[5:6], v[15:16]
	v_mul_f64 v[15:16], v[3:4], v[15:16]
	v_fma_f64 v[45:46], v[3:4], v[13:14], -v[45:46]
	v_fma_f64 v[13:14], v[5:6], v[13:14], v[15:16]
	v_add_f64 v[41:42], v[41:42], v[45:46]
	v_add_f64 v[21:22], v[13:14], v[21:22]
	v_mul_f64 v[13:14], v[5:6], v[19:20]
	v_fma_f64 v[13:14], v[3:4], v[17:18], -v[13:14]
	v_mul_f64 v[3:4], v[3:4], v[19:20]
	v_add_f64 v[27:28], v[27:28], v[13:14]
	v_fma_f64 v[3:4], v[5:6], v[17:18], v[3:4]
	v_add_f64 v[25:26], v[3:4], v[25:26]
	ds_read_b128 v[3:6], v34 offset:80
	ds_read_b128 v[13:16], v33 offset:2560
	s_waitcnt lgkmcnt(0)
	v_mul_f64 v[17:18], v[5:6], v[15:16]
	v_mul_f64 v[19:20], v[3:4], v[15:16]
	v_fma_f64 v[17:18], v[3:4], v[13:14], -v[17:18]
	v_fma_f64 v[19:20], v[5:6], v[13:14], v[19:20]
	v_add_f64 v[43:44], v[43:44], v[17:18]
	v_add_f64 v[23:24], v[19:20], v[23:24]
	ds_read_b128 v[17:20], v33 offset:2816
	s_waitcnt lgkmcnt(0)
	v_mul_f64 v[45:46], v[5:6], v[19:20]
	v_fma_f64 v[45:46], v[3:4], v[17:18], -v[45:46]
	v_mul_f64 v[3:4], v[3:4], v[19:20]
	v_add_f64 v[37:38], v[37:38], v[45:46]
	v_fma_f64 v[3:4], v[5:6], v[17:18], v[3:4]
	v_add_f64 v[39:40], v[3:4], v[39:40]
	ds_read_b128 v[3:6], v34 offset:2128
	s_waitcnt lgkmcnt(0)
	v_mul_f64 v[45:46], v[5:6], v[15:16]
	v_mul_f64 v[15:16], v[3:4], v[15:16]
	v_fma_f64 v[45:46], v[3:4], v[13:14], -v[45:46]
	v_fma_f64 v[13:14], v[5:6], v[13:14], v[15:16]
	v_add_f64 v[41:42], v[41:42], v[45:46]
	v_add_f64 v[21:22], v[13:14], v[21:22]
	v_mul_f64 v[13:14], v[5:6], v[19:20]
	v_fma_f64 v[13:14], v[3:4], v[17:18], -v[13:14]
	v_mul_f64 v[3:4], v[3:4], v[19:20]
	v_add_f64 v[27:28], v[27:28], v[13:14]
	v_fma_f64 v[3:4], v[5:6], v[17:18], v[3:4]
	;; [unrolled: 31-line block ×3, first 2 shown]
	v_add_f64 v[51:52], v[3:4], v[25:26]
	ds_read_b128 v[3:6], v34 offset:112
	ds_read_b128 v[25:28], v33 offset:3584
	;; [unrolled: 1-line block ×3, first 2 shown]
	s_waitcnt lgkmcnt(1)
	v_mul_f64 v[13:14], v[5:6], v[27:28]
	v_mul_f64 v[15:16], v[3:4], v[27:28]
	v_fma_f64 v[13:14], v[3:4], v[25:26], -v[13:14]
	v_fma_f64 v[15:16], v[5:6], v[25:26], v[15:16]
	v_add_f64 v[19:20], v[43:44], v[13:14]
	s_waitcnt lgkmcnt(0)
	v_mul_f64 v[13:14], v[5:6], v[39:40]
	v_add_f64 v[23:24], v[15:16], v[23:24]
	v_fma_f64 v[13:14], v[3:4], v[37:38], -v[13:14]
	v_mul_f64 v[3:4], v[3:4], v[39:40]
	v_add_f64 v[13:14], v[45:46], v[13:14]
	v_fma_f64 v[3:4], v[5:6], v[37:38], v[3:4]
	v_add_f64 v[15:16], v[3:4], v[47:48]
	ds_read_b128 v[3:6], v34 offset:2160
	s_waitcnt lgkmcnt(0)
	s_barrier
	v_mul_f64 v[17:18], v[5:6], v[27:28]
	v_mul_f64 v[27:28], v[3:4], v[27:28]
	v_fma_f64 v[17:18], v[3:4], v[25:26], -v[17:18]
	v_fma_f64 v[25:26], v[5:6], v[25:26], v[27:28]
	v_add_f64 v[17:18], v[41:42], v[17:18]
	v_add_f64 v[21:22], v[25:26], v[21:22]
	v_mul_f64 v[25:26], v[5:6], v[39:40]
	v_fma_f64 v[25:26], v[3:4], v[37:38], -v[25:26]
	v_mul_f64 v[3:4], v[3:4], v[39:40]
	v_add_f64 v[27:28], v[49:50], v[25:26]
	v_fma_f64 v[3:4], v[5:6], v[37:38], v[3:4]
	v_add_f64 v[25:26], v[3:4], v[51:52]
	s_cbranch_vccnz .LBB1219_10
.LBB1219_3:                             ; =>This Inner Loop Header: Depth=1
	v_mov_b32_e32 v4, s11
	v_add_co_u32_e32 v3, vcc, s10, v29
	v_addc_co_u32_e32 v4, vcc, 0, v4, vcc
	v_cmp_le_i64_e32 vcc, s[12:13], v[3:4]
	s_or_b64 s[20:21], s[18:19], vcc
	s_and_saveexec_b64 s[22:23], s[20:21]
	s_xor_b64 s[20:21], exec, s[22:23]
; %bb.4:                                ;   in Loop: Header=BB1219_3 Depth=1
	v_mov_b32_e32 v3, v2
	v_mov_b32_e32 v4, v2
	;; [unrolled: 1-line block ×3, first 2 shown]
	ds_write_b128 v31, v[2:5]
; %bb.5:                                ;   in Loop: Header=BB1219_3 Depth=1
	s_andn2_saveexec_b64 s[20:21], s[20:21]
	s_cbranch_execz .LBB1219_7
; %bb.6:                                ;   in Loop: Header=BB1219_3 Depth=1
	global_load_dwordx4 v[3:6], v[7:8], off
	s_waitcnt vmcnt(0)
	ds_write2_b64 v31, v[3:4], v[5:6] offset1:1
.LBB1219_7:                             ;   in Loop: Header=BB1219_3 Depth=1
	s_or_b64 exec, exec, s[20:21]
	v_mov_b32_e32 v4, s11
	v_add_co_u32_e32 v3, vcc, s10, v30
	v_addc_co_u32_e32 v4, vcc, 0, v4, vcc
	v_cmp_gt_i64_e32 vcc, s[12:13], v[3:4]
	v_mov_b32_e32 v3, 0
	v_mov_b32_e32 v5, 0
	;; [unrolled: 1-line block ×4, first 2 shown]
	s_and_b64 s[22:23], vcc, s[0:1]
	s_and_saveexec_b64 s[20:21], s[22:23]
	s_cbranch_execz .LBB1219_2
; %bb.8:                                ;   in Loop: Header=BB1219_3 Depth=1
	global_load_dwordx4 v[3:6], v[9:10], off offset:-8
	s_branch .LBB1219_2
.LBB1219_9:
	v_mov_b32_e32 v19, 0
	v_mov_b32_e32 v23, 0
	;; [unrolled: 1-line block ×16, first 2 shown]
.LBB1219_10:
	s_load_dwordx2 s[0:1], s[4:5], 0x70
	s_load_dwordx4 s[20:23], s[4:5], 0x60
	v_add_u32_e32 v4, s29, v1
	v_ashrrev_i32_e32 v1, 31, v4
	v_add_u32_e32 v0, s28, v0
	s_waitcnt lgkmcnt(0)
	s_mul_i32 s1, s1, s8
	s_mul_hi_u32 s2, s0, s8
	s_add_i32 s1, s2, s1
	v_mul_lo_u32 v3, s22, v1
	v_mul_lo_u32 v5, s23, v4
	v_mad_u64_u32 v[1:2], s[2:3], s22, v4, 0
	s_mul_i32 s0, s0, s8
	s_lshl_b64 s[0:1], s[0:1], 4
	v_add3_u32 v2, v2, v3, v5
	s_add_u32 s6, s20, s0
	v_lshlrev_b64 v[1:2], 4, v[1:2]
	s_addc_u32 s7, s21, s1
	v_mov_b32_e32 v3, s7
	v_add_co_u32_e32 v5, vcc, s6, v1
	v_addc_co_u32_e32 v6, vcc, v3, v2, vcc
	v_cmp_le_i32_e64 s[0:1], v4, v0
	v_cmp_gt_i32_e32 vcc, s9, v0
	s_and_b64 s[0:1], s[0:1], vcc
	s_and_saveexec_b64 s[2:3], s[0:1]
	s_cbranch_execz .LBB1219_12
; %bb.11:
	v_mul_f64 v[1:2], s[16:17], v[23:24]
	v_mul_f64 v[9:10], s[14:15], v[23:24]
	v_fma_f64 v[7:8], s[14:15], v[19:20], -v[1:2]
	v_fma_f64 v[9:10], s[16:17], v[19:20], v[9:10]
	v_ashrrev_i32_e32 v1, 31, v0
	v_lshlrev_b64 v[1:2], 4, v[0:1]
	v_add_co_u32_e64 v1, s[0:1], v5, v1
	v_addc_co_u32_e64 v2, s[0:1], v6, v2, s[0:1]
	global_store_dwordx4 v[1:2], v[7:10], off
.LBB1219_12:
	s_or_b64 exec, exec, s[2:3]
	v_add_u32_e32 v2, 16, v0
	v_cmp_le_i32_e64 s[2:3], v4, v2
	v_cmp_gt_i32_e64 s[0:1], s9, v2
	s_and_b64 s[2:3], s[2:3], s[0:1]
	s_and_saveexec_b64 s[4:5], s[2:3]
	s_cbranch_execz .LBB1219_14
; %bb.13:
	v_mul_f64 v[7:8], s[16:17], v[15:16]
	v_mul_f64 v[9:10], s[14:15], v[15:16]
	v_ashrrev_i32_e32 v3, 31, v2
	v_lshlrev_b64 v[11:12], 4, v[2:3]
	v_add_co_u32_e64 v5, s[2:3], v5, v11
	v_addc_co_u32_e64 v6, s[2:3], v6, v12, s[2:3]
	v_fma_f64 v[7:8], s[14:15], v[13:14], -v[7:8]
	v_fma_f64 v[9:10], s[16:17], v[13:14], v[9:10]
	global_store_dwordx4 v[5:6], v[7:10], off
.LBB1219_14:
	s_or_b64 exec, exec, s[4:5]
	v_add_u32_e32 v3, 16, v4
	v_ashrrev_i32_e32 v1, 31, v3
	v_mul_lo_u32 v6, s23, v3
	v_mad_u64_u32 v[4:5], s[2:3], s22, v3, 0
	v_mul_lo_u32 v1, s22, v1
	v_add3_u32 v5, v5, v1, v6
	v_lshlrev_b64 v[4:5], 4, v[4:5]
	v_mov_b32_e32 v1, s7
	v_add_co_u32_e64 v4, s[2:3], s6, v4
	v_addc_co_u32_e64 v5, s[2:3], v1, v5, s[2:3]
	v_cmp_le_i32_e64 s[2:3], v3, v0
	s_and_b64 s[4:5], s[2:3], vcc
	s_and_saveexec_b64 s[2:3], s[4:5]
	s_cbranch_execz .LBB1219_16
; %bb.15:
	v_mul_f64 v[6:7], s[16:17], v[21:22]
	v_mul_f64 v[8:9], s[14:15], v[21:22]
	v_ashrrev_i32_e32 v1, 31, v0
	v_lshlrev_b64 v[0:1], 4, v[0:1]
	v_add_co_u32_e32 v0, vcc, v4, v0
	v_addc_co_u32_e32 v1, vcc, v5, v1, vcc
	v_fma_f64 v[6:7], s[14:15], v[17:18], -v[6:7]
	v_fma_f64 v[8:9], s[16:17], v[17:18], v[8:9]
	global_store_dwordx4 v[0:1], v[6:9], off
.LBB1219_16:
	s_or_b64 exec, exec, s[2:3]
	v_cmp_le_i32_e32 vcc, v3, v2
	s_and_b64 s[0:1], vcc, s[0:1]
	s_and_saveexec_b64 s[2:3], s[0:1]
	s_cbranch_execz .LBB1219_18
; %bb.17:
	v_mul_f64 v[0:1], s[16:17], v[25:26]
	v_mul_f64 v[8:9], s[14:15], v[25:26]
	v_ashrrev_i32_e32 v3, 31, v2
	v_fma_f64 v[6:7], s[14:15], v[27:28], -v[0:1]
	v_fma_f64 v[8:9], s[16:17], v[27:28], v[8:9]
	v_lshlrev_b64 v[0:1], 4, v[2:3]
	v_add_co_u32_e32 v0, vcc, v4, v0
	v_addc_co_u32_e32 v1, vcc, v5, v1, vcc
	global_store_dwordx4 v[0:1], v[6:9], off
.LBB1219_18:
	s_endpgm
	.section	.rodata,"a",@progbits
	.p2align	6, 0x0
	.amdhsa_kernel _ZL34rocblas_syrkx_herkx_general_kernelIl19rocblas_complex_numIdELi16ELi32ELi8ELb1ELb0ELc78ELc76EKS1_S1_EviT_T0_PT8_S3_lS6_S3_lS4_PT9_S3_li
		.amdhsa_group_segment_fixed_size 8192
		.amdhsa_private_segment_fixed_size 0
		.amdhsa_kernarg_size 124
		.amdhsa_user_sgpr_count 6
		.amdhsa_user_sgpr_private_segment_buffer 1
		.amdhsa_user_sgpr_dispatch_ptr 0
		.amdhsa_user_sgpr_queue_ptr 0
		.amdhsa_user_sgpr_kernarg_segment_ptr 1
		.amdhsa_user_sgpr_dispatch_id 0
		.amdhsa_user_sgpr_flat_scratch_init 0
		.amdhsa_user_sgpr_private_segment_size 0
		.amdhsa_uses_dynamic_stack 0
		.amdhsa_system_sgpr_private_segment_wavefront_offset 0
		.amdhsa_system_sgpr_workgroup_id_x 1
		.amdhsa_system_sgpr_workgroup_id_y 1
		.amdhsa_system_sgpr_workgroup_id_z 1
		.amdhsa_system_sgpr_workgroup_info 0
		.amdhsa_system_vgpr_workitem_id 1
		.amdhsa_next_free_vgpr 61
		.amdhsa_next_free_sgpr 61
		.amdhsa_reserve_vcc 1
		.amdhsa_reserve_flat_scratch 0
		.amdhsa_float_round_mode_32 0
		.amdhsa_float_round_mode_16_64 0
		.amdhsa_float_denorm_mode_32 3
		.amdhsa_float_denorm_mode_16_64 3
		.amdhsa_dx10_clamp 1
		.amdhsa_ieee_mode 1
		.amdhsa_fp16_overflow 0
		.amdhsa_exception_fp_ieee_invalid_op 0
		.amdhsa_exception_fp_denorm_src 0
		.amdhsa_exception_fp_ieee_div_zero 0
		.amdhsa_exception_fp_ieee_overflow 0
		.amdhsa_exception_fp_ieee_underflow 0
		.amdhsa_exception_fp_ieee_inexact 0
		.amdhsa_exception_int_div_zero 0
	.end_amdhsa_kernel
	.section	.text._ZL34rocblas_syrkx_herkx_general_kernelIl19rocblas_complex_numIdELi16ELi32ELi8ELb1ELb0ELc78ELc76EKS1_S1_EviT_T0_PT8_S3_lS6_S3_lS4_PT9_S3_li,"axG",@progbits,_ZL34rocblas_syrkx_herkx_general_kernelIl19rocblas_complex_numIdELi16ELi32ELi8ELb1ELb0ELc78ELc76EKS1_S1_EviT_T0_PT8_S3_lS6_S3_lS4_PT9_S3_li,comdat
.Lfunc_end1219:
	.size	_ZL34rocblas_syrkx_herkx_general_kernelIl19rocblas_complex_numIdELi16ELi32ELi8ELb1ELb0ELc78ELc76EKS1_S1_EviT_T0_PT8_S3_lS6_S3_lS4_PT9_S3_li, .Lfunc_end1219-_ZL34rocblas_syrkx_herkx_general_kernelIl19rocblas_complex_numIdELi16ELi32ELi8ELb1ELb0ELc78ELc76EKS1_S1_EviT_T0_PT8_S3_lS6_S3_lS4_PT9_S3_li
                                        ; -- End function
	.set _ZL34rocblas_syrkx_herkx_general_kernelIl19rocblas_complex_numIdELi16ELi32ELi8ELb1ELb0ELc78ELc76EKS1_S1_EviT_T0_PT8_S3_lS6_S3_lS4_PT9_S3_li.num_vgpr, 61
	.set _ZL34rocblas_syrkx_herkx_general_kernelIl19rocblas_complex_numIdELi16ELi32ELi8ELb1ELb0ELc78ELc76EKS1_S1_EviT_T0_PT8_S3_lS6_S3_lS4_PT9_S3_li.num_agpr, 0
	.set _ZL34rocblas_syrkx_herkx_general_kernelIl19rocblas_complex_numIdELi16ELi32ELi8ELb1ELb0ELc78ELc76EKS1_S1_EviT_T0_PT8_S3_lS6_S3_lS4_PT9_S3_li.numbered_sgpr, 30
	.set _ZL34rocblas_syrkx_herkx_general_kernelIl19rocblas_complex_numIdELi16ELi32ELi8ELb1ELb0ELc78ELc76EKS1_S1_EviT_T0_PT8_S3_lS6_S3_lS4_PT9_S3_li.num_named_barrier, 0
	.set _ZL34rocblas_syrkx_herkx_general_kernelIl19rocblas_complex_numIdELi16ELi32ELi8ELb1ELb0ELc78ELc76EKS1_S1_EviT_T0_PT8_S3_lS6_S3_lS4_PT9_S3_li.private_seg_size, 0
	.set _ZL34rocblas_syrkx_herkx_general_kernelIl19rocblas_complex_numIdELi16ELi32ELi8ELb1ELb0ELc78ELc76EKS1_S1_EviT_T0_PT8_S3_lS6_S3_lS4_PT9_S3_li.uses_vcc, 1
	.set _ZL34rocblas_syrkx_herkx_general_kernelIl19rocblas_complex_numIdELi16ELi32ELi8ELb1ELb0ELc78ELc76EKS1_S1_EviT_T0_PT8_S3_lS6_S3_lS4_PT9_S3_li.uses_flat_scratch, 0
	.set _ZL34rocblas_syrkx_herkx_general_kernelIl19rocblas_complex_numIdELi16ELi32ELi8ELb1ELb0ELc78ELc76EKS1_S1_EviT_T0_PT8_S3_lS6_S3_lS4_PT9_S3_li.has_dyn_sized_stack, 0
	.set _ZL34rocblas_syrkx_herkx_general_kernelIl19rocblas_complex_numIdELi16ELi32ELi8ELb1ELb0ELc78ELc76EKS1_S1_EviT_T0_PT8_S3_lS6_S3_lS4_PT9_S3_li.has_recursion, 0
	.set _ZL34rocblas_syrkx_herkx_general_kernelIl19rocblas_complex_numIdELi16ELi32ELi8ELb1ELb0ELc78ELc76EKS1_S1_EviT_T0_PT8_S3_lS6_S3_lS4_PT9_S3_li.has_indirect_call, 0
	.section	.AMDGPU.csdata,"",@progbits
; Kernel info:
; codeLenInByte = 3196
; TotalNumSgprs: 34
; NumVgprs: 61
; ScratchSize: 0
; MemoryBound: 1
; FloatMode: 240
; IeeeMode: 1
; LDSByteSize: 8192 bytes/workgroup (compile time only)
; SGPRBlocks: 8
; VGPRBlocks: 15
; NumSGPRsForWavesPerEU: 65
; NumVGPRsForWavesPerEU: 61
; Occupancy: 4
; WaveLimiterHint : 0
; COMPUTE_PGM_RSRC2:SCRATCH_EN: 0
; COMPUTE_PGM_RSRC2:USER_SGPR: 6
; COMPUTE_PGM_RSRC2:TRAP_HANDLER: 0
; COMPUTE_PGM_RSRC2:TGID_X_EN: 1
; COMPUTE_PGM_RSRC2:TGID_Y_EN: 1
; COMPUTE_PGM_RSRC2:TGID_Z_EN: 1
; COMPUTE_PGM_RSRC2:TIDIG_COMP_CNT: 1
	.section	.text._ZL34rocblas_syrkx_herkx_general_kernelIl19rocblas_complex_numIdELi16ELi32ELi8ELb1ELb0ELc84ELc85EKS1_S1_EviT_T0_PT8_S3_lS6_S3_lS4_PT9_S3_li,"axG",@progbits,_ZL34rocblas_syrkx_herkx_general_kernelIl19rocblas_complex_numIdELi16ELi32ELi8ELb1ELb0ELc84ELc85EKS1_S1_EviT_T0_PT8_S3_lS6_S3_lS4_PT9_S3_li,comdat
	.globl	_ZL34rocblas_syrkx_herkx_general_kernelIl19rocblas_complex_numIdELi16ELi32ELi8ELb1ELb0ELc84ELc85EKS1_S1_EviT_T0_PT8_S3_lS6_S3_lS4_PT9_S3_li ; -- Begin function _ZL34rocblas_syrkx_herkx_general_kernelIl19rocblas_complex_numIdELi16ELi32ELi8ELb1ELb0ELc84ELc85EKS1_S1_EviT_T0_PT8_S3_lS6_S3_lS4_PT9_S3_li
	.p2align	8
	.type	_ZL34rocblas_syrkx_herkx_general_kernelIl19rocblas_complex_numIdELi16ELi32ELi8ELb1ELb0ELc84ELc85EKS1_S1_EviT_T0_PT8_S3_lS6_S3_lS4_PT9_S3_li,@function
_ZL34rocblas_syrkx_herkx_general_kernelIl19rocblas_complex_numIdELi16ELi32ELi8ELb1ELb0ELc84ELc85EKS1_S1_EviT_T0_PT8_S3_lS6_S3_lS4_PT9_S3_li: ; @_ZL34rocblas_syrkx_herkx_general_kernelIl19rocblas_complex_numIdELi16ELi32ELi8ELb1ELb0ELc84ELc85EKS1_S1_EviT_T0_PT8_S3_lS6_S3_lS4_PT9_S3_li
; %bb.0:
	s_load_dwordx16 s[12:27], s[4:5], 0x8
	s_load_dword s9, s[4:5], 0x0
	s_lshl_b32 s28, s6, 5
	s_lshl_b32 s29, s7, 5
	s_waitcnt lgkmcnt(0)
	v_cmp_lt_i64_e64 s[0:1], s[12:13], 1
	s_and_b64 vcc, exec, s[0:1]
	s_cbranch_vccnz .LBB1220_11
; %bb.1:
	v_lshl_add_u32 v2, v1, 4, v0
	v_and_b32_e32 v5, 31, v2
	v_and_b32_e32 v29, 7, v0
	v_lshrrev_b32_e32 v3, 3, v2
	v_lshrrev_b32_e32 v28, 5, v2
	v_lshlrev_b32_e32 v2, 4, v5
	v_lshlrev_b32_e32 v8, 4, v29
	v_lshl_or_b32 v30, v28, 9, v2
	v_lshl_or_b32 v2, v3, 7, v8
	v_add_u32_e32 v31, 0x1000, v2
	v_add_u32_e32 v2, s28, v5
	;; [unrolled: 1-line block ×3, first 2 shown]
	v_ashrrev_i32_e32 v3, 31, v2
	v_or_b32_e32 v6, s28, v5
	v_mul_lo_u32 v5, s20, v3
	v_mul_lo_u32 v7, s21, v2
	v_mad_u64_u32 v[2:3], s[2:3], s20, v2, 0
	s_mul_i32 s2, s23, s8
	s_mul_hi_u32 s3, s22, s8
	v_add3_u32 v3, v3, v5, v7
	v_lshlrev_b64 v[2:3], 4, v[2:3]
	s_add_i32 s3, s3, s2
	s_mul_i32 s2, s22, s8
	s_lshl_b64 s[2:3], s[2:3], 4
	v_mov_b32_e32 v5, s3
	v_add_co_u32_e64 v2, s[2:3], s2, v2
	v_addc_co_u32_e64 v3, s[2:3], v3, v5, s[2:3]
	v_lshlrev_b32_e32 v5, 4, v28
	s_load_dwordx2 s[6:7], s[4:5], 0x48
	v_cmp_gt_i32_e32 vcc, s9, v6
	v_ashrrev_i32_e32 v6, 31, v4
	v_add_co_u32_e64 v5, s[2:3], v2, v5
	v_addc_co_u32_e64 v7, s[2:3], 0, v3, s[2:3]
	v_mul_lo_u32 v10, s26, v6
	v_mul_lo_u32 v11, s27, v4
	v_mad_u64_u32 v[2:3], s[2:3], s26, v4, 0
	v_mov_b32_e32 v9, 0x1000
	v_lshl_add_u32 v33, v1, 7, v9
	v_mov_b32_e32 v9, s19
	v_add_co_u32_e64 v6, s[2:3], s18, v5
	v_addc_co_u32_e64 v7, s[2:3], v9, v7, s[2:3]
	v_add3_u32 v3, v3, v10, v11
	s_waitcnt lgkmcnt(0)
	s_mul_i32 s2, s7, s8
	s_mul_hi_u32 s3, s6, s8
	v_lshlrev_b64 v[2:3], 4, v[2:3]
	s_add_i32 s3, s3, s2
	s_mul_i32 s2, s6, s8
	s_lshl_b64 s[2:3], s[2:3], 4
	v_cmp_gt_i32_e64 s[0:1], s9, v4
	v_mov_b32_e32 v4, s3
	v_add_co_u32_e64 v2, s[2:3], s2, v2
	v_addc_co_u32_e64 v3, s[2:3], v3, v4, s[2:3]
	v_add_co_u32_e64 v2, s[2:3], v2, v8
	v_addc_co_u32_e64 v3, s[2:3], 0, v3, s[2:3]
	v_mov_b32_e32 v4, s25
	v_add_co_u32_e64 v8, s[2:3], s24, v2
	v_addc_co_u32_e64 v9, s[2:3], v4, v3, s[2:3]
	v_mov_b32_e32 v24, 0
	v_mov_b32_e32 v10, s12
	;; [unrolled: 1-line block ×9, first 2 shown]
	v_lshlrev_b32_e32 v32, 4, v0
	s_mov_b64 s[2:3], 0
	v_mov_b32_e32 v25, 0
	s_xor_b64 s[6:7], vcc, -1
	s_xor_b64 s[0:1], s[0:1], -1
	v_mov_b32_e32 v11, s13
	v_mov_b32_e32 v27, 0
	;; [unrolled: 1-line block ×9, first 2 shown]
	s_branch .LBB1220_3
.LBB1220_2:                             ;   in Loop: Header=BB1220_3 Depth=1
	s_or_b64 exec, exec, s[10:11]
	s_waitcnt lgkmcnt(0)
	s_barrier
	ds_read_b128 v[34:37], v33
	ds_read_b128 v[38:41], v33 offset:16
	ds_read_b128 v[42:45], v33 offset:32
	;; [unrolled: 1-line block ×3, first 2 shown]
	ds_read_b128 v[50:53], v32
	v_add_co_u32_e32 v6, vcc, 0x80, v6
	v_addc_co_u32_e32 v7, vcc, 0, v7, vcc
	s_waitcnt lgkmcnt(0)
	v_mul_f64 v[3:4], v[36:37], v[52:53]
	v_mul_f64 v[54:55], v[34:35], v[52:53]
	s_add_u32 s2, s2, 8
	v_add_co_u32_e32 v8, vcc, 0x80, v8
	s_addc_u32 s3, s3, 0
	v_addc_co_u32_e32 v9, vcc, 0, v9, vcc
	v_fma_f64 v[3:4], v[34:35], v[50:51], -v[3:4]
	v_fma_f64 v[54:55], v[36:37], v[50:51], v[54:55]
	v_cmp_ge_i64_e32 vcc, s[2:3], v[10:11]
	s_and_b64 vcc, exec, vcc
	v_add_f64 v[3:4], v[20:21], v[3:4]
	v_add_f64 v[54:55], v[54:55], v[22:23]
	ds_read_b128 v[20:23], v32 offset:256
	s_waitcnt lgkmcnt(0)
	v_mul_f64 v[56:57], v[36:37], v[22:23]
	v_fma_f64 v[56:57], v[34:35], v[20:21], -v[56:57]
	v_mul_f64 v[34:35], v[34:35], v[22:23]
	v_fma_f64 v[34:35], v[36:37], v[20:21], v[34:35]
	v_add_f64 v[36:37], v[12:13], v[56:57]
	v_add_f64 v[34:35], v[34:35], v[14:15]
	ds_read_b128 v[12:15], v33 offset:2048
	s_waitcnt lgkmcnt(0)
	v_mul_f64 v[56:57], v[14:15], v[52:53]
	v_mul_f64 v[52:53], v[12:13], v[52:53]
	v_fma_f64 v[56:57], v[12:13], v[50:51], -v[56:57]
	v_fma_f64 v[50:51], v[14:15], v[50:51], v[52:53]
	v_add_f64 v[52:53], v[16:17], v[56:57]
	v_mul_f64 v[16:17], v[14:15], v[22:23]
	v_add_f64 v[50:51], v[50:51], v[18:19]
	v_fma_f64 v[16:17], v[12:13], v[20:21], -v[16:17]
	v_mul_f64 v[12:13], v[12:13], v[22:23]
	v_add_f64 v[26:27], v[26:27], v[16:17]
	v_fma_f64 v[12:13], v[14:15], v[20:21], v[12:13]
	v_add_f64 v[24:25], v[12:13], v[24:25]
	ds_read_b128 v[12:15], v32 offset:512
	s_waitcnt lgkmcnt(0)
	v_mul_f64 v[16:17], v[40:41], v[14:15]
	v_mul_f64 v[18:19], v[38:39], v[14:15]
	v_fma_f64 v[16:17], v[38:39], v[12:13], -v[16:17]
	v_fma_f64 v[18:19], v[40:41], v[12:13], v[18:19]
	v_add_f64 v[3:4], v[3:4], v[16:17]
	v_add_f64 v[54:55], v[18:19], v[54:55]
	ds_read_b128 v[16:19], v32 offset:768
	s_waitcnt lgkmcnt(0)
	v_mul_f64 v[20:21], v[40:41], v[18:19]
	v_mul_f64 v[22:23], v[38:39], v[18:19]
	v_fma_f64 v[20:21], v[38:39], v[16:17], -v[20:21]
	v_fma_f64 v[22:23], v[40:41], v[16:17], v[22:23]
	v_add_f64 v[36:37], v[36:37], v[20:21]
	v_add_f64 v[34:35], v[22:23], v[34:35]
	ds_read_b128 v[20:23], v33 offset:2064
	s_waitcnt lgkmcnt(0)
	v_mul_f64 v[38:39], v[22:23], v[14:15]
	v_mul_f64 v[14:15], v[20:21], v[14:15]
	v_fma_f64 v[38:39], v[20:21], v[12:13], -v[38:39]
	v_fma_f64 v[12:13], v[22:23], v[12:13], v[14:15]
	v_mul_f64 v[14:15], v[20:21], v[18:19]
	v_add_f64 v[38:39], v[52:53], v[38:39]
	v_add_f64 v[40:41], v[12:13], v[50:51]
	v_mul_f64 v[12:13], v[22:23], v[18:19]
	v_fma_f64 v[14:15], v[22:23], v[16:17], v[14:15]
	v_fma_f64 v[12:13], v[20:21], v[16:17], -v[12:13]
	v_add_f64 v[24:25], v[14:15], v[24:25]
	v_add_f64 v[26:27], v[26:27], v[12:13]
	ds_read_b128 v[12:15], v32 offset:1024
	s_waitcnt lgkmcnt(0)
	v_mul_f64 v[16:17], v[44:45], v[14:15]
	v_mul_f64 v[18:19], v[42:43], v[14:15]
	v_fma_f64 v[16:17], v[42:43], v[12:13], -v[16:17]
	v_fma_f64 v[18:19], v[44:45], v[12:13], v[18:19]
	v_add_f64 v[3:4], v[3:4], v[16:17]
	v_add_f64 v[50:51], v[18:19], v[54:55]
	ds_read_b128 v[16:19], v32 offset:1280
	s_waitcnt lgkmcnt(0)
	v_mul_f64 v[20:21], v[44:45], v[18:19]
	v_mul_f64 v[22:23], v[42:43], v[18:19]
	v_fma_f64 v[20:21], v[42:43], v[16:17], -v[20:21]
	v_fma_f64 v[22:23], v[44:45], v[16:17], v[22:23]
	v_add_f64 v[36:37], v[36:37], v[20:21]
	v_add_f64 v[34:35], v[22:23], v[34:35]
	ds_read_b128 v[20:23], v33 offset:2080
	s_waitcnt lgkmcnt(0)
	v_mul_f64 v[42:43], v[22:23], v[14:15]
	v_mul_f64 v[14:15], v[20:21], v[14:15]
	v_fma_f64 v[42:43], v[20:21], v[12:13], -v[42:43]
	v_fma_f64 v[12:13], v[22:23], v[12:13], v[14:15]
	v_mul_f64 v[14:15], v[20:21], v[18:19]
	v_add_f64 v[38:39], v[38:39], v[42:43]
	v_add_f64 v[40:41], v[12:13], v[40:41]
	v_mul_f64 v[12:13], v[22:23], v[18:19]
	v_fma_f64 v[14:15], v[22:23], v[16:17], v[14:15]
	v_fma_f64 v[12:13], v[20:21], v[16:17], -v[12:13]
	v_add_f64 v[24:25], v[14:15], v[24:25]
	;; [unrolled: 30-line block ×3, first 2 shown]
	v_add_f64 v[26:27], v[26:27], v[12:13]
	ds_read_b128 v[12:15], v33 offset:64
	ds_read_b128 v[16:19], v32 offset:2048
	s_waitcnt lgkmcnt(0)
	v_mul_f64 v[20:21], v[14:15], v[18:19]
	v_mul_f64 v[22:23], v[12:13], v[18:19]
	v_fma_f64 v[20:21], v[12:13], v[16:17], -v[20:21]
	v_fma_f64 v[22:23], v[14:15], v[16:17], v[22:23]
	v_add_f64 v[3:4], v[3:4], v[20:21]
	v_add_f64 v[42:43], v[22:23], v[42:43]
	ds_read_b128 v[20:23], v32 offset:2304
	s_waitcnt lgkmcnt(0)
	v_mul_f64 v[44:45], v[14:15], v[22:23]
	v_fma_f64 v[44:45], v[12:13], v[20:21], -v[44:45]
	v_mul_f64 v[12:13], v[12:13], v[22:23]
	v_add_f64 v[36:37], v[36:37], v[44:45]
	v_fma_f64 v[12:13], v[14:15], v[20:21], v[12:13]
	v_add_f64 v[34:35], v[12:13], v[34:35]
	ds_read_b128 v[12:15], v33 offset:2112
	s_waitcnt lgkmcnt(0)
	v_mul_f64 v[44:45], v[14:15], v[18:19]
	v_mul_f64 v[18:19], v[12:13], v[18:19]
	v_fma_f64 v[44:45], v[12:13], v[16:17], -v[44:45]
	v_fma_f64 v[16:17], v[14:15], v[16:17], v[18:19]
	v_add_f64 v[38:39], v[38:39], v[44:45]
	v_add_f64 v[40:41], v[16:17], v[40:41]
	v_mul_f64 v[16:17], v[14:15], v[22:23]
	v_fma_f64 v[16:17], v[12:13], v[20:21], -v[16:17]
	v_mul_f64 v[12:13], v[12:13], v[22:23]
	v_add_f64 v[26:27], v[26:27], v[16:17]
	v_fma_f64 v[12:13], v[14:15], v[20:21], v[12:13]
	v_add_f64 v[24:25], v[12:13], v[24:25]
	ds_read_b128 v[12:15], v33 offset:80
	ds_read_b128 v[16:19], v32 offset:2560
	s_waitcnt lgkmcnt(0)
	v_mul_f64 v[20:21], v[14:15], v[18:19]
	v_mul_f64 v[22:23], v[12:13], v[18:19]
	v_fma_f64 v[20:21], v[12:13], v[16:17], -v[20:21]
	v_fma_f64 v[22:23], v[14:15], v[16:17], v[22:23]
	v_add_f64 v[3:4], v[3:4], v[20:21]
	v_add_f64 v[42:43], v[22:23], v[42:43]
	ds_read_b128 v[20:23], v32 offset:2816
	s_waitcnt lgkmcnt(0)
	v_mul_f64 v[44:45], v[14:15], v[22:23]
	v_fma_f64 v[44:45], v[12:13], v[20:21], -v[44:45]
	v_mul_f64 v[12:13], v[12:13], v[22:23]
	v_add_f64 v[36:37], v[36:37], v[44:45]
	v_fma_f64 v[12:13], v[14:15], v[20:21], v[12:13]
	v_add_f64 v[34:35], v[12:13], v[34:35]
	ds_read_b128 v[12:15], v33 offset:2128
	s_waitcnt lgkmcnt(0)
	v_mul_f64 v[44:45], v[14:15], v[18:19]
	v_mul_f64 v[18:19], v[12:13], v[18:19]
	v_fma_f64 v[44:45], v[12:13], v[16:17], -v[44:45]
	v_fma_f64 v[16:17], v[14:15], v[16:17], v[18:19]
	v_add_f64 v[38:39], v[38:39], v[44:45]
	v_add_f64 v[40:41], v[16:17], v[40:41]
	v_mul_f64 v[16:17], v[14:15], v[22:23]
	v_fma_f64 v[16:17], v[12:13], v[20:21], -v[16:17]
	v_mul_f64 v[12:13], v[12:13], v[22:23]
	v_add_f64 v[26:27], v[26:27], v[16:17]
	v_fma_f64 v[12:13], v[14:15], v[20:21], v[12:13]
	;; [unrolled: 31-line block ×3, first 2 shown]
	v_add_f64 v[46:47], v[12:13], v[24:25]
	ds_read_b128 v[12:15], v33 offset:112
	ds_read_b128 v[16:19], v32 offset:3584
	;; [unrolled: 1-line block ×3, first 2 shown]
	s_waitcnt lgkmcnt(1)
	v_mul_f64 v[20:21], v[14:15], v[18:19]
	v_mul_f64 v[22:23], v[12:13], v[18:19]
	v_fma_f64 v[20:21], v[12:13], v[16:17], -v[20:21]
	v_fma_f64 v[22:23], v[14:15], v[16:17], v[22:23]
	v_add_f64 v[20:21], v[3:4], v[20:21]
	s_waitcnt lgkmcnt(0)
	v_mul_f64 v[3:4], v[14:15], v[26:27]
	v_add_f64 v[22:23], v[22:23], v[42:43]
	v_fma_f64 v[3:4], v[12:13], v[24:25], -v[3:4]
	v_mul_f64 v[12:13], v[12:13], v[26:27]
	v_fma_f64 v[14:15], v[14:15], v[24:25], v[12:13]
	v_add_f64 v[12:13], v[36:37], v[3:4]
	v_add_f64 v[14:15], v[14:15], v[34:35]
	ds_read_b128 v[34:37], v33 offset:2160
	s_waitcnt lgkmcnt(0)
	s_barrier
	v_mul_f64 v[3:4], v[36:37], v[18:19]
	v_mul_f64 v[18:19], v[34:35], v[18:19]
	v_fma_f64 v[3:4], v[34:35], v[16:17], -v[3:4]
	v_fma_f64 v[18:19], v[36:37], v[16:17], v[18:19]
	v_add_f64 v[16:17], v[38:39], v[3:4]
	v_mul_f64 v[3:4], v[36:37], v[26:27]
	v_mul_f64 v[26:27], v[34:35], v[26:27]
	v_add_f64 v[18:19], v[18:19], v[40:41]
	v_fma_f64 v[3:4], v[34:35], v[24:25], -v[3:4]
	v_fma_f64 v[24:25], v[36:37], v[24:25], v[26:27]
	v_add_f64 v[26:27], v[44:45], v[3:4]
	v_add_f64 v[24:25], v[24:25], v[46:47]
	s_cbranch_vccnz .LBB1220_12
.LBB1220_3:                             ; =>This Inner Loop Header: Depth=1
	v_mov_b32_e32 v4, s3
	v_add_co_u32_e32 v3, vcc, s2, v28
	v_addc_co_u32_e32 v4, vcc, 0, v4, vcc
	v_cmp_le_i64_e32 vcc, s[12:13], v[3:4]
	s_or_b64 s[10:11], s[6:7], vcc
	s_and_saveexec_b64 s[18:19], s[10:11]
	s_xor_b64 s[10:11], exec, s[18:19]
; %bb.4:                                ;   in Loop: Header=BB1220_3 Depth=1
	v_mov_b32_e32 v3, v2
	v_mov_b32_e32 v4, v2
	;; [unrolled: 1-line block ×3, first 2 shown]
	ds_write_b128 v30, v[2:5]
; %bb.5:                                ;   in Loop: Header=BB1220_3 Depth=1
	s_andn2_saveexec_b64 s[10:11], s[10:11]
	s_cbranch_execz .LBB1220_7
; %bb.6:                                ;   in Loop: Header=BB1220_3 Depth=1
	global_load_dwordx4 v[34:37], v[6:7], off
	s_waitcnt vmcnt(0)
	ds_write2_b64 v30, v[34:35], v[36:37] offset1:1
.LBB1220_7:                             ;   in Loop: Header=BB1220_3 Depth=1
	s_or_b64 exec, exec, s[10:11]
	v_mov_b32_e32 v4, s3
	v_add_co_u32_e32 v3, vcc, s2, v29
	v_addc_co_u32_e32 v4, vcc, 0, v4, vcc
	v_cmp_le_i64_e32 vcc, s[12:13], v[3:4]
	s_or_b64 s[10:11], vcc, s[0:1]
	s_and_saveexec_b64 s[18:19], s[10:11]
	s_xor_b64 s[10:11], exec, s[18:19]
; %bb.8:                                ;   in Loop: Header=BB1220_3 Depth=1
	v_mov_b32_e32 v3, v2
	v_mov_b32_e32 v4, v2
	;; [unrolled: 1-line block ×3, first 2 shown]
	ds_write_b128 v31, v[2:5]
; %bb.9:                                ;   in Loop: Header=BB1220_3 Depth=1
	s_andn2_saveexec_b64 s[10:11], s[10:11]
	s_cbranch_execz .LBB1220_2
; %bb.10:                               ;   in Loop: Header=BB1220_3 Depth=1
	global_load_dwordx4 v[34:37], v[8:9], off
	s_waitcnt vmcnt(0)
	ds_write2_b64 v31, v[34:35], v[36:37] offset1:1
	s_branch .LBB1220_2
.LBB1220_11:
	v_mov_b32_e32 v20, 0
	v_mov_b32_e32 v22, 0
	;; [unrolled: 1-line block ×16, first 2 shown]
.LBB1220_12:
	s_load_dwordx2 s[6:7], s[4:5], 0x70
	s_load_dwordx4 s[0:3], s[4:5], 0x60
	v_add_u32_e32 v4, s29, v1
	v_ashrrev_i32_e32 v1, 31, v4
	v_add_u32_e32 v0, s28, v0
	s_waitcnt lgkmcnt(0)
	s_mul_i32 s5, s7, s8
	v_mul_lo_u32 v3, s2, v1
	v_mul_lo_u32 v5, s3, v4
	v_mad_u64_u32 v[1:2], s[10:11], s2, v4, 0
	s_mul_hi_u32 s7, s6, s8
	s_mul_i32 s4, s6, s8
	s_add_i32 s5, s7, s5
	s_lshl_b64 s[4:5], s[4:5], 4
	v_add3_u32 v2, v2, v3, v5
	s_add_u32 s6, s0, s4
	v_lshlrev_b64 v[1:2], 4, v[1:2]
	s_addc_u32 s7, s1, s5
	v_mov_b32_e32 v3, s7
	v_add_co_u32_e64 v5, s[0:1], s6, v1
	v_addc_co_u32_e64 v6, s[0:1], v3, v2, s[0:1]
	v_cmp_gt_i32_e32 vcc, s9, v4
	v_cmp_le_i32_e64 s[0:1], v0, v4
	s_and_b64 s[0:1], vcc, s[0:1]
	s_and_saveexec_b64 s[4:5], s[0:1]
	s_cbranch_execz .LBB1220_14
; %bb.13:
	v_mul_f64 v[1:2], s[16:17], v[22:23]
	v_mul_f64 v[9:10], s[14:15], v[22:23]
	v_fma_f64 v[7:8], s[14:15], v[20:21], -v[1:2]
	v_fma_f64 v[9:10], s[16:17], v[20:21], v[9:10]
	v_ashrrev_i32_e32 v1, 31, v0
	v_lshlrev_b64 v[1:2], 4, v[0:1]
	v_add_co_u32_e64 v1, s[0:1], v5, v1
	v_addc_co_u32_e64 v2, s[0:1], v6, v2, s[0:1]
	global_store_dwordx4 v[1:2], v[7:10], off
.LBB1220_14:
	s_or_b64 exec, exec, s[4:5]
	v_add_u32_e32 v2, 16, v0
	v_cmp_le_i32_e64 s[0:1], v2, v4
	s_and_b64 s[4:5], vcc, s[0:1]
	s_and_saveexec_b64 s[0:1], s[4:5]
	s_cbranch_execz .LBB1220_16
; %bb.15:
	v_mul_f64 v[7:8], s[16:17], v[14:15]
	v_mul_f64 v[9:10], s[14:15], v[14:15]
	v_ashrrev_i32_e32 v3, 31, v2
	v_fma_f64 v[7:8], s[14:15], v[12:13], -v[7:8]
	v_fma_f64 v[9:10], s[16:17], v[12:13], v[9:10]
	v_lshlrev_b64 v[11:12], 4, v[2:3]
	v_add_co_u32_e32 v5, vcc, v5, v11
	v_addc_co_u32_e32 v6, vcc, v6, v12, vcc
	global_store_dwordx4 v[5:6], v[7:10], off
.LBB1220_16:
	s_or_b64 exec, exec, s[0:1]
	v_add_u32_e32 v3, 16, v4
	v_ashrrev_i32_e32 v1, 31, v3
	v_mul_lo_u32 v1, s2, v1
	v_mul_lo_u32 v6, s3, v3
	v_mad_u64_u32 v[4:5], s[0:1], s2, v3, 0
	v_cmp_gt_i32_e32 vcc, s9, v3
	v_add3_u32 v5, v5, v1, v6
	v_lshlrev_b64 v[4:5], 4, v[4:5]
	v_mov_b32_e32 v1, s7
	v_add_co_u32_e64 v4, s[0:1], s6, v4
	v_addc_co_u32_e64 v5, s[0:1], v1, v5, s[0:1]
	v_cmp_le_i32_e64 s[0:1], v0, v3
	s_and_b64 s[0:1], vcc, s[0:1]
	s_and_saveexec_b64 s[2:3], s[0:1]
	s_cbranch_execz .LBB1220_18
; %bb.17:
	v_mul_f64 v[6:7], s[16:17], v[18:19]
	v_mul_f64 v[8:9], s[14:15], v[18:19]
	v_ashrrev_i32_e32 v1, 31, v0
	v_lshlrev_b64 v[0:1], 4, v[0:1]
	v_add_co_u32_e64 v0, s[0:1], v4, v0
	v_addc_co_u32_e64 v1, s[0:1], v5, v1, s[0:1]
	v_fma_f64 v[6:7], s[14:15], v[16:17], -v[6:7]
	v_fma_f64 v[8:9], s[16:17], v[16:17], v[8:9]
	global_store_dwordx4 v[0:1], v[6:9], off
.LBB1220_18:
	s_or_b64 exec, exec, s[2:3]
	v_cmp_le_i32_e64 s[0:1], v2, v3
	s_and_b64 s[0:1], vcc, s[0:1]
	s_and_saveexec_b64 s[2:3], s[0:1]
	s_cbranch_execz .LBB1220_20
; %bb.19:
	v_mul_f64 v[0:1], s[16:17], v[24:25]
	v_mul_f64 v[8:9], s[14:15], v[24:25]
	v_ashrrev_i32_e32 v3, 31, v2
	v_fma_f64 v[6:7], s[14:15], v[26:27], -v[0:1]
	v_fma_f64 v[8:9], s[16:17], v[26:27], v[8:9]
	v_lshlrev_b64 v[0:1], 4, v[2:3]
	v_add_co_u32_e32 v0, vcc, v4, v0
	v_addc_co_u32_e32 v1, vcc, v5, v1, vcc
	global_store_dwordx4 v[0:1], v[6:9], off
.LBB1220_20:
	s_endpgm
	.section	.rodata,"a",@progbits
	.p2align	6, 0x0
	.amdhsa_kernel _ZL34rocblas_syrkx_herkx_general_kernelIl19rocblas_complex_numIdELi16ELi32ELi8ELb1ELb0ELc84ELc85EKS1_S1_EviT_T0_PT8_S3_lS6_S3_lS4_PT9_S3_li
		.amdhsa_group_segment_fixed_size 8192
		.amdhsa_private_segment_fixed_size 0
		.amdhsa_kernarg_size 124
		.amdhsa_user_sgpr_count 6
		.amdhsa_user_sgpr_private_segment_buffer 1
		.amdhsa_user_sgpr_dispatch_ptr 0
		.amdhsa_user_sgpr_queue_ptr 0
		.amdhsa_user_sgpr_kernarg_segment_ptr 1
		.amdhsa_user_sgpr_dispatch_id 0
		.amdhsa_user_sgpr_flat_scratch_init 0
		.amdhsa_user_sgpr_private_segment_size 0
		.amdhsa_uses_dynamic_stack 0
		.amdhsa_system_sgpr_private_segment_wavefront_offset 0
		.amdhsa_system_sgpr_workgroup_id_x 1
		.amdhsa_system_sgpr_workgroup_id_y 1
		.amdhsa_system_sgpr_workgroup_id_z 1
		.amdhsa_system_sgpr_workgroup_info 0
		.amdhsa_system_vgpr_workitem_id 1
		.amdhsa_next_free_vgpr 58
		.amdhsa_next_free_sgpr 61
		.amdhsa_reserve_vcc 1
		.amdhsa_reserve_flat_scratch 0
		.amdhsa_float_round_mode_32 0
		.amdhsa_float_round_mode_16_64 0
		.amdhsa_float_denorm_mode_32 3
		.amdhsa_float_denorm_mode_16_64 3
		.amdhsa_dx10_clamp 1
		.amdhsa_ieee_mode 1
		.amdhsa_fp16_overflow 0
		.amdhsa_exception_fp_ieee_invalid_op 0
		.amdhsa_exception_fp_denorm_src 0
		.amdhsa_exception_fp_ieee_div_zero 0
		.amdhsa_exception_fp_ieee_overflow 0
		.amdhsa_exception_fp_ieee_underflow 0
		.amdhsa_exception_fp_ieee_inexact 0
		.amdhsa_exception_int_div_zero 0
	.end_amdhsa_kernel
	.section	.text._ZL34rocblas_syrkx_herkx_general_kernelIl19rocblas_complex_numIdELi16ELi32ELi8ELb1ELb0ELc84ELc85EKS1_S1_EviT_T0_PT8_S3_lS6_S3_lS4_PT9_S3_li,"axG",@progbits,_ZL34rocblas_syrkx_herkx_general_kernelIl19rocblas_complex_numIdELi16ELi32ELi8ELb1ELb0ELc84ELc85EKS1_S1_EviT_T0_PT8_S3_lS6_S3_lS4_PT9_S3_li,comdat
.Lfunc_end1220:
	.size	_ZL34rocblas_syrkx_herkx_general_kernelIl19rocblas_complex_numIdELi16ELi32ELi8ELb1ELb0ELc84ELc85EKS1_S1_EviT_T0_PT8_S3_lS6_S3_lS4_PT9_S3_li, .Lfunc_end1220-_ZL34rocblas_syrkx_herkx_general_kernelIl19rocblas_complex_numIdELi16ELi32ELi8ELb1ELb0ELc84ELc85EKS1_S1_EviT_T0_PT8_S3_lS6_S3_lS4_PT9_S3_li
                                        ; -- End function
	.set _ZL34rocblas_syrkx_herkx_general_kernelIl19rocblas_complex_numIdELi16ELi32ELi8ELb1ELb0ELc84ELc85EKS1_S1_EviT_T0_PT8_S3_lS6_S3_lS4_PT9_S3_li.num_vgpr, 58
	.set _ZL34rocblas_syrkx_herkx_general_kernelIl19rocblas_complex_numIdELi16ELi32ELi8ELb1ELb0ELc84ELc85EKS1_S1_EviT_T0_PT8_S3_lS6_S3_lS4_PT9_S3_li.num_agpr, 0
	.set _ZL34rocblas_syrkx_herkx_general_kernelIl19rocblas_complex_numIdELi16ELi32ELi8ELb1ELb0ELc84ELc85EKS1_S1_EviT_T0_PT8_S3_lS6_S3_lS4_PT9_S3_li.numbered_sgpr, 30
	.set _ZL34rocblas_syrkx_herkx_general_kernelIl19rocblas_complex_numIdELi16ELi32ELi8ELb1ELb0ELc84ELc85EKS1_S1_EviT_T0_PT8_S3_lS6_S3_lS4_PT9_S3_li.num_named_barrier, 0
	.set _ZL34rocblas_syrkx_herkx_general_kernelIl19rocblas_complex_numIdELi16ELi32ELi8ELb1ELb0ELc84ELc85EKS1_S1_EviT_T0_PT8_S3_lS6_S3_lS4_PT9_S3_li.private_seg_size, 0
	.set _ZL34rocblas_syrkx_herkx_general_kernelIl19rocblas_complex_numIdELi16ELi32ELi8ELb1ELb0ELc84ELc85EKS1_S1_EviT_T0_PT8_S3_lS6_S3_lS4_PT9_S3_li.uses_vcc, 1
	.set _ZL34rocblas_syrkx_herkx_general_kernelIl19rocblas_complex_numIdELi16ELi32ELi8ELb1ELb0ELc84ELc85EKS1_S1_EviT_T0_PT8_S3_lS6_S3_lS4_PT9_S3_li.uses_flat_scratch, 0
	.set _ZL34rocblas_syrkx_herkx_general_kernelIl19rocblas_complex_numIdELi16ELi32ELi8ELb1ELb0ELc84ELc85EKS1_S1_EviT_T0_PT8_S3_lS6_S3_lS4_PT9_S3_li.has_dyn_sized_stack, 0
	.set _ZL34rocblas_syrkx_herkx_general_kernelIl19rocblas_complex_numIdELi16ELi32ELi8ELb1ELb0ELc84ELc85EKS1_S1_EviT_T0_PT8_S3_lS6_S3_lS4_PT9_S3_li.has_recursion, 0
	.set _ZL34rocblas_syrkx_herkx_general_kernelIl19rocblas_complex_numIdELi16ELi32ELi8ELb1ELb0ELc84ELc85EKS1_S1_EviT_T0_PT8_S3_lS6_S3_lS4_PT9_S3_li.has_indirect_call, 0
	.section	.AMDGPU.csdata,"",@progbits
; Kernel info:
; codeLenInByte = 3216
; TotalNumSgprs: 34
; NumVgprs: 58
; ScratchSize: 0
; MemoryBound: 0
; FloatMode: 240
; IeeeMode: 1
; LDSByteSize: 8192 bytes/workgroup (compile time only)
; SGPRBlocks: 8
; VGPRBlocks: 14
; NumSGPRsForWavesPerEU: 65
; NumVGPRsForWavesPerEU: 58
; Occupancy: 4
; WaveLimiterHint : 0
; COMPUTE_PGM_RSRC2:SCRATCH_EN: 0
; COMPUTE_PGM_RSRC2:USER_SGPR: 6
; COMPUTE_PGM_RSRC2:TRAP_HANDLER: 0
; COMPUTE_PGM_RSRC2:TGID_X_EN: 1
; COMPUTE_PGM_RSRC2:TGID_Y_EN: 1
; COMPUTE_PGM_RSRC2:TGID_Z_EN: 1
; COMPUTE_PGM_RSRC2:TIDIG_COMP_CNT: 1
	.section	.text._ZL34rocblas_syrkx_herkx_general_kernelIl19rocblas_complex_numIdELi16ELi32ELi8ELb1ELb0ELc67ELc85EKS1_S1_EviT_T0_PT8_S3_lS6_S3_lS4_PT9_S3_li,"axG",@progbits,_ZL34rocblas_syrkx_herkx_general_kernelIl19rocblas_complex_numIdELi16ELi32ELi8ELb1ELb0ELc67ELc85EKS1_S1_EviT_T0_PT8_S3_lS6_S3_lS4_PT9_S3_li,comdat
	.globl	_ZL34rocblas_syrkx_herkx_general_kernelIl19rocblas_complex_numIdELi16ELi32ELi8ELb1ELb0ELc67ELc85EKS1_S1_EviT_T0_PT8_S3_lS6_S3_lS4_PT9_S3_li ; -- Begin function _ZL34rocblas_syrkx_herkx_general_kernelIl19rocblas_complex_numIdELi16ELi32ELi8ELb1ELb0ELc67ELc85EKS1_S1_EviT_T0_PT8_S3_lS6_S3_lS4_PT9_S3_li
	.p2align	8
	.type	_ZL34rocblas_syrkx_herkx_general_kernelIl19rocblas_complex_numIdELi16ELi32ELi8ELb1ELb0ELc67ELc85EKS1_S1_EviT_T0_PT8_S3_lS6_S3_lS4_PT9_S3_li,@function
_ZL34rocblas_syrkx_herkx_general_kernelIl19rocblas_complex_numIdELi16ELi32ELi8ELb1ELb0ELc67ELc85EKS1_S1_EviT_T0_PT8_S3_lS6_S3_lS4_PT9_S3_li: ; @_ZL34rocblas_syrkx_herkx_general_kernelIl19rocblas_complex_numIdELi16ELi32ELi8ELb1ELb0ELc67ELc85EKS1_S1_EviT_T0_PT8_S3_lS6_S3_lS4_PT9_S3_li
; %bb.0:
	s_load_dwordx16 s[12:27], s[4:5], 0x8
	s_load_dword s9, s[4:5], 0x0
	s_lshl_b32 s28, s6, 5
	s_lshl_b32 s29, s7, 5
	s_waitcnt lgkmcnt(0)
	v_cmp_lt_i64_e64 s[0:1], s[12:13], 1
	s_and_b64 vcc, exec, s[0:1]
	s_cbranch_vccnz .LBB1221_9
; %bb.1:
	v_lshl_add_u32 v2, v1, 4, v0
	v_and_b32_e32 v5, 31, v2
	v_or_b32_e32 v6, s28, v5
	v_and_b32_e32 v30, 7, v0
	v_lshrrev_b32_e32 v3, 3, v2
	v_lshrrev_b32_e32 v29, 5, v2
	v_cmp_gt_i32_e64 s[0:1], s9, v6
	v_lshlrev_b32_e32 v2, 4, v5
	v_lshlrev_b32_e32 v6, 4, v30
	v_lshl_or_b32 v31, v29, 9, v2
	v_lshl_or_b32 v2, v3, 7, v6
	v_add_u32_e32 v32, 0x1000, v2
	v_add_u32_e32 v2, s28, v5
	;; [unrolled: 1-line block ×3, first 2 shown]
	v_ashrrev_i32_e32 v3, 31, v2
	v_mul_lo_u32 v5, s20, v3
	v_mul_lo_u32 v8, s21, v2
	v_mad_u64_u32 v[2:3], s[2:3], s20, v2, 0
	s_mul_i32 s2, s23, s8
	s_mul_hi_u32 s3, s22, s8
	v_add3_u32 v3, v3, v5, v8
	v_lshlrev_b64 v[2:3], 4, v[2:3]
	s_add_i32 s3, s3, s2
	s_mul_i32 s2, s22, s8
	s_lshl_b64 s[2:3], s[2:3], 4
	v_mov_b32_e32 v5, s3
	v_add_co_u32_e64 v2, s[2:3], s2, v2
	v_addc_co_u32_e64 v3, s[2:3], v3, v5, s[2:3]
	v_lshlrev_b32_e32 v5, 4, v29
	v_add_co_u32_e64 v2, s[2:3], v2, v5
	v_addc_co_u32_e64 v3, s[2:3], 0, v3, s[2:3]
	s_load_dwordx2 s[6:7], s[4:5], 0x48
	v_ashrrev_i32_e32 v7, 31, v4
	v_mov_b32_e32 v9, 0x1000
	v_mov_b32_e32 v5, s19
	v_add_co_u32_e64 v8, s[2:3], s18, v2
	v_lshl_add_u32 v34, v1, 7, v9
	v_addc_co_u32_e64 v5, s[2:3], v5, v3, s[2:3]
	v_mul_lo_u32 v9, s26, v7
	v_mul_lo_u32 v10, s27, v4
	v_mad_u64_u32 v[2:3], s[2:3], s26, v4, 0
	v_add_co_u32_e64 v7, s[2:3], 8, v8
	v_addc_co_u32_e64 v8, s[2:3], 0, v5, s[2:3]
	v_add3_u32 v3, v3, v9, v10
	s_waitcnt lgkmcnt(0)
	s_mul_i32 s2, s7, s8
	s_mul_hi_u32 s3, s6, s8
	v_lshlrev_b64 v[2:3], 4, v[2:3]
	s_add_i32 s3, s3, s2
	s_mul_i32 s2, s6, s8
	s_lshl_b64 s[2:3], s[2:3], 4
	v_cmp_gt_i32_e32 vcc, s9, v4
	v_mov_b32_e32 v4, s3
	v_add_co_u32_e64 v2, s[2:3], s2, v2
	v_addc_co_u32_e64 v3, s[2:3], v3, v4, s[2:3]
	v_add_co_u32_e64 v2, s[2:3], v2, v6
	v_addc_co_u32_e64 v3, s[2:3], 0, v3, s[2:3]
	v_mov_b32_e32 v4, s25
	v_add_co_u32_e64 v9, s[2:3], s24, v2
	v_addc_co_u32_e64 v10, s[2:3], v4, v3, s[2:3]
	v_mov_b32_e32 v25, 0
	v_mov_b32_e32 v11, s12
	;; [unrolled: 1-line block ×9, first 2 shown]
	v_lshlrev_b32_e32 v33, 4, v0
	s_mov_b64 s[2:3], 0
	v_mov_b32_e32 v26, 0
	s_xor_b64 s[6:7], vcc, -1
	v_mov_b32_e32 v12, s13
	v_mov_b32_e32 v28, 0
	;; [unrolled: 1-line block ×9, first 2 shown]
	s_branch .LBB1221_3
.LBB1221_2:                             ;   in Loop: Header=BB1221_3 Depth=1
	s_or_b64 exec, exec, s[10:11]
	s_waitcnt lgkmcnt(0)
	s_barrier
	ds_read_b128 v[3:6], v34
	ds_read_b128 v[35:38], v34 offset:16
	ds_read_b128 v[39:42], v34 offset:32
	;; [unrolled: 1-line block ×3, first 2 shown]
	ds_read_b128 v[47:50], v33
	v_add_co_u32_e32 v7, vcc, 0x80, v7
	v_addc_co_u32_e32 v8, vcc, 0, v8, vcc
	s_waitcnt lgkmcnt(0)
	v_mul_f64 v[51:52], v[5:6], v[49:50]
	v_mul_f64 v[53:54], v[3:4], v[49:50]
	s_add_u32 s2, s2, 8
	v_add_co_u32_e32 v9, vcc, 0x80, v9
	s_addc_u32 s3, s3, 0
	v_addc_co_u32_e32 v10, vcc, 0, v10, vcc
	v_fma_f64 v[51:52], v[3:4], v[47:48], -v[51:52]
	v_fma_f64 v[53:54], v[5:6], v[47:48], v[53:54]
	v_cmp_ge_i64_e32 vcc, s[2:3], v[11:12]
	s_and_b64 vcc, exec, vcc
	v_add_f64 v[51:52], v[21:22], v[51:52]
	v_add_f64 v[53:54], v[53:54], v[23:24]
	ds_read_b128 v[21:24], v33 offset:256
	s_waitcnt lgkmcnt(0)
	v_mul_f64 v[55:56], v[5:6], v[23:24]
	v_fma_f64 v[55:56], v[3:4], v[21:22], -v[55:56]
	v_mul_f64 v[3:4], v[3:4], v[23:24]
	v_add_f64 v[55:56], v[13:14], v[55:56]
	v_fma_f64 v[3:4], v[5:6], v[21:22], v[3:4]
	v_add_f64 v[57:58], v[3:4], v[15:16]
	ds_read_b128 v[3:6], v34 offset:2048
	s_waitcnt lgkmcnt(0)
	v_mul_f64 v[13:14], v[5:6], v[49:50]
	v_mul_f64 v[15:16], v[3:4], v[49:50]
	v_fma_f64 v[13:14], v[3:4], v[47:48], -v[13:14]
	v_fma_f64 v[15:16], v[5:6], v[47:48], v[15:16]
	v_add_f64 v[47:48], v[17:18], v[13:14]
	v_mul_f64 v[13:14], v[5:6], v[23:24]
	v_add_f64 v[49:50], v[15:16], v[19:20]
	v_fma_f64 v[13:14], v[3:4], v[21:22], -v[13:14]
	v_mul_f64 v[3:4], v[3:4], v[23:24]
	v_fma_f64 v[3:4], v[5:6], v[21:22], v[3:4]
	v_add_f64 v[21:22], v[27:28], v[13:14]
	v_add_f64 v[23:24], v[3:4], v[25:26]
	ds_read_b128 v[3:6], v33 offset:512
	s_waitcnt lgkmcnt(0)
	v_mul_f64 v[13:14], v[37:38], v[5:6]
	v_mul_f64 v[15:16], v[35:36], v[5:6]
	v_fma_f64 v[13:14], v[35:36], v[3:4], -v[13:14]
	v_fma_f64 v[15:16], v[37:38], v[3:4], v[15:16]
	v_add_f64 v[25:26], v[51:52], v[13:14]
	v_add_f64 v[27:28], v[15:16], v[53:54]
	ds_read_b128 v[13:16], v33 offset:768
	s_waitcnt lgkmcnt(0)
	v_mul_f64 v[17:18], v[37:38], v[15:16]
	v_mul_f64 v[19:20], v[35:36], v[15:16]
	v_fma_f64 v[17:18], v[35:36], v[13:14], -v[17:18]
	;; [unrolled: 8-line block ×3, first 2 shown]
	v_fma_f64 v[3:4], v[19:20], v[3:4], v[5:6]
	v_mul_f64 v[5:6], v[17:18], v[15:16]
	v_add_f64 v[47:48], v[47:48], v[51:52]
	v_add_f64 v[49:50], v[3:4], v[49:50]
	v_mul_f64 v[3:4], v[19:20], v[15:16]
	v_fma_f64 v[5:6], v[19:20], v[13:14], v[5:6]
	v_fma_f64 v[3:4], v[17:18], v[13:14], -v[3:4]
	v_add_f64 v[23:24], v[5:6], v[23:24]
	v_add_f64 v[21:22], v[21:22], v[3:4]
	ds_read_b128 v[3:6], v33 offset:1024
	s_waitcnt lgkmcnt(0)
	v_mul_f64 v[13:14], v[41:42], v[5:6]
	v_mul_f64 v[15:16], v[39:40], v[5:6]
	v_fma_f64 v[13:14], v[39:40], v[3:4], -v[13:14]
	v_fma_f64 v[15:16], v[41:42], v[3:4], v[15:16]
	v_add_f64 v[25:26], v[25:26], v[13:14]
	v_add_f64 v[27:28], v[15:16], v[27:28]
	ds_read_b128 v[13:16], v33 offset:1280
	s_waitcnt lgkmcnt(0)
	v_mul_f64 v[17:18], v[41:42], v[15:16]
	v_mul_f64 v[19:20], v[39:40], v[15:16]
	v_fma_f64 v[17:18], v[39:40], v[13:14], -v[17:18]
	v_fma_f64 v[19:20], v[41:42], v[13:14], v[19:20]
	;; [unrolled: 8-line block ×3, first 2 shown]
	v_mul_f64 v[5:6], v[17:18], v[15:16]
	v_add_f64 v[39:40], v[47:48], v[39:40]
	v_add_f64 v[41:42], v[3:4], v[49:50]
	v_mul_f64 v[3:4], v[19:20], v[15:16]
	v_fma_f64 v[5:6], v[19:20], v[13:14], v[5:6]
	v_fma_f64 v[3:4], v[17:18], v[13:14], -v[3:4]
	v_add_f64 v[23:24], v[5:6], v[23:24]
	v_add_f64 v[21:22], v[21:22], v[3:4]
	ds_read_b128 v[3:6], v33 offset:1536
	s_waitcnt lgkmcnt(0)
	v_mul_f64 v[13:14], v[45:46], v[5:6]
	v_mul_f64 v[15:16], v[43:44], v[5:6]
	v_fma_f64 v[13:14], v[43:44], v[3:4], -v[13:14]
	v_fma_f64 v[15:16], v[45:46], v[3:4], v[15:16]
	v_add_f64 v[25:26], v[25:26], v[13:14]
	v_add_f64 v[27:28], v[15:16], v[27:28]
	ds_read_b128 v[13:16], v33 offset:1792
	s_waitcnt lgkmcnt(0)
	v_mul_f64 v[17:18], v[45:46], v[15:16]
	v_mul_f64 v[19:20], v[43:44], v[15:16]
	v_fma_f64 v[17:18], v[43:44], v[13:14], -v[17:18]
	v_fma_f64 v[19:20], v[45:46], v[13:14], v[19:20]
	;; [unrolled: 8-line block ×3, first 2 shown]
	v_mul_f64 v[5:6], v[17:18], v[15:16]
	v_add_f64 v[39:40], v[39:40], v[43:44]
	v_add_f64 v[41:42], v[3:4], v[41:42]
	v_mul_f64 v[3:4], v[19:20], v[15:16]
	v_fma_f64 v[5:6], v[19:20], v[13:14], v[5:6]
	v_fma_f64 v[3:4], v[17:18], v[13:14], -v[3:4]
	v_add_f64 v[23:24], v[5:6], v[23:24]
	v_add_f64 v[21:22], v[21:22], v[3:4]
	ds_read_b128 v[3:6], v34 offset:64
	ds_read_b128 v[13:16], v33 offset:2048
	s_waitcnt lgkmcnt(0)
	v_mul_f64 v[17:18], v[5:6], v[15:16]
	v_mul_f64 v[19:20], v[3:4], v[15:16]
	v_fma_f64 v[17:18], v[3:4], v[13:14], -v[17:18]
	v_fma_f64 v[19:20], v[5:6], v[13:14], v[19:20]
	v_add_f64 v[25:26], v[25:26], v[17:18]
	v_add_f64 v[27:28], v[19:20], v[27:28]
	ds_read_b128 v[17:20], v33 offset:2304
	s_waitcnt lgkmcnt(0)
	v_mul_f64 v[43:44], v[5:6], v[19:20]
	v_fma_f64 v[43:44], v[3:4], v[17:18], -v[43:44]
	v_mul_f64 v[3:4], v[3:4], v[19:20]
	v_add_f64 v[35:36], v[35:36], v[43:44]
	v_fma_f64 v[3:4], v[5:6], v[17:18], v[3:4]
	v_add_f64 v[37:38], v[3:4], v[37:38]
	ds_read_b128 v[3:6], v34 offset:2112
	s_waitcnt lgkmcnt(0)
	v_mul_f64 v[43:44], v[5:6], v[15:16]
	v_mul_f64 v[15:16], v[3:4], v[15:16]
	v_fma_f64 v[43:44], v[3:4], v[13:14], -v[43:44]
	v_fma_f64 v[13:14], v[5:6], v[13:14], v[15:16]
	v_add_f64 v[39:40], v[39:40], v[43:44]
	v_add_f64 v[41:42], v[13:14], v[41:42]
	v_mul_f64 v[13:14], v[5:6], v[19:20]
	v_fma_f64 v[13:14], v[3:4], v[17:18], -v[13:14]
	v_mul_f64 v[3:4], v[3:4], v[19:20]
	v_add_f64 v[21:22], v[21:22], v[13:14]
	v_fma_f64 v[3:4], v[5:6], v[17:18], v[3:4]
	v_add_f64 v[23:24], v[3:4], v[23:24]
	ds_read_b128 v[3:6], v34 offset:80
	ds_read_b128 v[13:16], v33 offset:2560
	s_waitcnt lgkmcnt(0)
	v_mul_f64 v[17:18], v[5:6], v[15:16]
	v_mul_f64 v[19:20], v[3:4], v[15:16]
	v_fma_f64 v[17:18], v[3:4], v[13:14], -v[17:18]
	v_fma_f64 v[19:20], v[5:6], v[13:14], v[19:20]
	v_add_f64 v[25:26], v[25:26], v[17:18]
	v_add_f64 v[27:28], v[19:20], v[27:28]
	ds_read_b128 v[17:20], v33 offset:2816
	s_waitcnt lgkmcnt(0)
	v_mul_f64 v[43:44], v[5:6], v[19:20]
	v_fma_f64 v[43:44], v[3:4], v[17:18], -v[43:44]
	v_mul_f64 v[3:4], v[3:4], v[19:20]
	v_add_f64 v[35:36], v[35:36], v[43:44]
	v_fma_f64 v[3:4], v[5:6], v[17:18], v[3:4]
	v_add_f64 v[37:38], v[3:4], v[37:38]
	ds_read_b128 v[3:6], v34 offset:2128
	s_waitcnt lgkmcnt(0)
	v_mul_f64 v[43:44], v[5:6], v[15:16]
	v_mul_f64 v[15:16], v[3:4], v[15:16]
	v_fma_f64 v[43:44], v[3:4], v[13:14], -v[43:44]
	v_fma_f64 v[13:14], v[5:6], v[13:14], v[15:16]
	v_add_f64 v[39:40], v[39:40], v[43:44]
	v_add_f64 v[41:42], v[13:14], v[41:42]
	v_mul_f64 v[13:14], v[5:6], v[19:20]
	v_fma_f64 v[13:14], v[3:4], v[17:18], -v[13:14]
	v_mul_f64 v[3:4], v[3:4], v[19:20]
	v_add_f64 v[21:22], v[21:22], v[13:14]
	v_fma_f64 v[3:4], v[5:6], v[17:18], v[3:4]
	;; [unrolled: 31-line block ×3, first 2 shown]
	v_add_f64 v[45:46], v[3:4], v[23:24]
	ds_read_b128 v[3:6], v34 offset:112
	ds_read_b128 v[17:20], v33 offset:3584
	s_waitcnt lgkmcnt(0)
	v_mul_f64 v[13:14], v[5:6], v[19:20]
	v_mul_f64 v[15:16], v[3:4], v[19:20]
	v_fma_f64 v[13:14], v[3:4], v[17:18], -v[13:14]
	v_fma_f64 v[15:16], v[5:6], v[17:18], v[15:16]
	v_add_f64 v[21:22], v[25:26], v[13:14]
	v_add_f64 v[23:24], v[15:16], v[27:28]
	ds_read_b128 v[25:28], v33 offset:3840
	s_waitcnt lgkmcnt(0)
	v_mul_f64 v[13:14], v[5:6], v[27:28]
	v_fma_f64 v[13:14], v[3:4], v[25:26], -v[13:14]
	v_mul_f64 v[3:4], v[3:4], v[27:28]
	v_add_f64 v[13:14], v[35:36], v[13:14]
	v_fma_f64 v[3:4], v[5:6], v[25:26], v[3:4]
	v_add_f64 v[15:16], v[3:4], v[37:38]
	ds_read_b128 v[3:6], v34 offset:2160
	s_waitcnt lgkmcnt(0)
	s_barrier
	v_mul_f64 v[35:36], v[5:6], v[19:20]
	v_mul_f64 v[19:20], v[3:4], v[19:20]
	v_fma_f64 v[35:36], v[3:4], v[17:18], -v[35:36]
	v_fma_f64 v[19:20], v[5:6], v[17:18], v[19:20]
	v_add_f64 v[17:18], v[39:40], v[35:36]
	v_mul_f64 v[35:36], v[5:6], v[27:28]
	v_add_f64 v[19:20], v[19:20], v[41:42]
	v_fma_f64 v[35:36], v[3:4], v[25:26], -v[35:36]
	v_mul_f64 v[3:4], v[3:4], v[27:28]
	v_add_f64 v[27:28], v[43:44], v[35:36]
	v_fma_f64 v[3:4], v[5:6], v[25:26], v[3:4]
	v_add_f64 v[25:26], v[3:4], v[45:46]
	s_cbranch_vccnz .LBB1221_10
.LBB1221_3:                             ; =>This Inner Loop Header: Depth=1
	v_mov_b32_e32 v4, s3
	v_add_co_u32_e32 v3, vcc, s2, v29
	v_addc_co_u32_e32 v4, vcc, 0, v4, vcc
	v_cmp_gt_i64_e32 vcc, s[12:13], v[3:4]
	v_mov_b32_e32 v3, 0
	v_mov_b32_e32 v5, 0
	;; [unrolled: 1-line block ×4, first 2 shown]
	s_and_b64 s[18:19], s[0:1], vcc
	s_and_saveexec_b64 s[10:11], s[18:19]
	s_cbranch_execz .LBB1221_5
; %bb.4:                                ;   in Loop: Header=BB1221_3 Depth=1
	global_load_dwordx4 v[3:6], v[7:8], off offset:-8
.LBB1221_5:                             ;   in Loop: Header=BB1221_3 Depth=1
	s_or_b64 exec, exec, s[10:11]
	v_mov_b32_e32 v36, s3
	v_add_co_u32_e32 v35, vcc, s2, v30
	v_addc_co_u32_e32 v36, vcc, 0, v36, vcc
	v_cmp_le_i64_e32 vcc, s[12:13], v[35:36]
	s_waitcnt vmcnt(0)
	ds_write_b128 v31, v[3:6]
	s_or_b64 s[10:11], vcc, s[6:7]
	s_and_saveexec_b64 s[18:19], s[10:11]
	s_xor_b64 s[10:11], exec, s[18:19]
; %bb.6:                                ;   in Loop: Header=BB1221_3 Depth=1
	v_mov_b32_e32 v3, v2
	v_mov_b32_e32 v4, v2
	;; [unrolled: 1-line block ×3, first 2 shown]
	ds_write_b128 v32, v[2:5]
; %bb.7:                                ;   in Loop: Header=BB1221_3 Depth=1
	s_andn2_saveexec_b64 s[10:11], s[10:11]
	s_cbranch_execz .LBB1221_2
; %bb.8:                                ;   in Loop: Header=BB1221_3 Depth=1
	global_load_dwordx4 v[3:6], v[9:10], off
	s_waitcnt vmcnt(0)
	ds_write2_b64 v32, v[3:4], v[5:6] offset1:1
	s_branch .LBB1221_2
.LBB1221_9:
	v_mov_b32_e32 v21, 0
	v_mov_b32_e32 v23, 0
	v_mov_b32_e32 v13, 0
	v_mov_b32_e32 v15, 0
	v_mov_b32_e32 v17, 0
	v_mov_b32_e32 v19, 0
	v_mov_b32_e32 v27, 0
	v_mov_b32_e32 v25, 0
	v_mov_b32_e32 v22, 0
	v_mov_b32_e32 v24, 0
	v_mov_b32_e32 v14, 0
	v_mov_b32_e32 v16, 0
	v_mov_b32_e32 v18, 0
	v_mov_b32_e32 v20, 0
	v_mov_b32_e32 v28, 0
	v_mov_b32_e32 v26, 0
.LBB1221_10:
	s_load_dwordx2 s[6:7], s[4:5], 0x70
	s_load_dwordx4 s[0:3], s[4:5], 0x60
	v_add_u32_e32 v4, s29, v1
	v_ashrrev_i32_e32 v1, 31, v4
	v_add_u32_e32 v0, s28, v0
	s_waitcnt lgkmcnt(0)
	s_mul_i32 s5, s7, s8
	v_mul_lo_u32 v3, s2, v1
	v_mul_lo_u32 v5, s3, v4
	v_mad_u64_u32 v[1:2], s[10:11], s2, v4, 0
	s_mul_hi_u32 s7, s6, s8
	s_mul_i32 s4, s6, s8
	s_add_i32 s5, s7, s5
	s_lshl_b64 s[4:5], s[4:5], 4
	v_add3_u32 v2, v2, v3, v5
	s_add_u32 s6, s0, s4
	v_lshlrev_b64 v[1:2], 4, v[1:2]
	s_addc_u32 s7, s1, s5
	v_mov_b32_e32 v3, s7
	v_add_co_u32_e64 v5, s[0:1], s6, v1
	v_addc_co_u32_e64 v6, s[0:1], v3, v2, s[0:1]
	v_cmp_gt_i32_e32 vcc, s9, v4
	v_cmp_le_i32_e64 s[0:1], v0, v4
	s_and_b64 s[0:1], vcc, s[0:1]
	s_and_saveexec_b64 s[4:5], s[0:1]
	s_cbranch_execz .LBB1221_12
; %bb.11:
	v_mul_f64 v[1:2], s[16:17], v[23:24]
	v_mul_f64 v[9:10], s[14:15], v[23:24]
	v_fma_f64 v[7:8], s[14:15], v[21:22], -v[1:2]
	v_fma_f64 v[9:10], s[16:17], v[21:22], v[9:10]
	v_ashrrev_i32_e32 v1, 31, v0
	v_lshlrev_b64 v[1:2], 4, v[0:1]
	v_add_co_u32_e64 v1, s[0:1], v5, v1
	v_addc_co_u32_e64 v2, s[0:1], v6, v2, s[0:1]
	global_store_dwordx4 v[1:2], v[7:10], off
.LBB1221_12:
	s_or_b64 exec, exec, s[4:5]
	v_add_u32_e32 v2, 16, v0
	v_cmp_le_i32_e64 s[0:1], v2, v4
	s_and_b64 s[4:5], vcc, s[0:1]
	s_and_saveexec_b64 s[0:1], s[4:5]
	s_cbranch_execz .LBB1221_14
; %bb.13:
	v_mul_f64 v[7:8], s[16:17], v[15:16]
	v_mul_f64 v[9:10], s[14:15], v[15:16]
	v_ashrrev_i32_e32 v3, 31, v2
	v_lshlrev_b64 v[11:12], 4, v[2:3]
	v_add_co_u32_e32 v5, vcc, v5, v11
	v_addc_co_u32_e32 v6, vcc, v6, v12, vcc
	v_fma_f64 v[7:8], s[14:15], v[13:14], -v[7:8]
	v_fma_f64 v[9:10], s[16:17], v[13:14], v[9:10]
	global_store_dwordx4 v[5:6], v[7:10], off
.LBB1221_14:
	s_or_b64 exec, exec, s[0:1]
	v_add_u32_e32 v3, 16, v4
	v_ashrrev_i32_e32 v1, 31, v3
	v_mul_lo_u32 v1, s2, v1
	v_mul_lo_u32 v6, s3, v3
	v_mad_u64_u32 v[4:5], s[0:1], s2, v3, 0
	v_cmp_gt_i32_e32 vcc, s9, v3
	v_add3_u32 v5, v5, v1, v6
	v_lshlrev_b64 v[4:5], 4, v[4:5]
	v_mov_b32_e32 v1, s7
	v_add_co_u32_e64 v4, s[0:1], s6, v4
	v_addc_co_u32_e64 v5, s[0:1], v1, v5, s[0:1]
	v_cmp_le_i32_e64 s[0:1], v0, v3
	s_and_b64 s[0:1], vcc, s[0:1]
	s_and_saveexec_b64 s[2:3], s[0:1]
	s_cbranch_execz .LBB1221_16
; %bb.15:
	v_mul_f64 v[6:7], s[16:17], v[19:20]
	v_mul_f64 v[8:9], s[14:15], v[19:20]
	v_ashrrev_i32_e32 v1, 31, v0
	v_lshlrev_b64 v[0:1], 4, v[0:1]
	v_add_co_u32_e64 v0, s[0:1], v4, v0
	v_addc_co_u32_e64 v1, s[0:1], v5, v1, s[0:1]
	v_fma_f64 v[6:7], s[14:15], v[17:18], -v[6:7]
	v_fma_f64 v[8:9], s[16:17], v[17:18], v[8:9]
	global_store_dwordx4 v[0:1], v[6:9], off
.LBB1221_16:
	s_or_b64 exec, exec, s[2:3]
	v_cmp_le_i32_e64 s[0:1], v2, v3
	s_and_b64 s[0:1], vcc, s[0:1]
	s_and_saveexec_b64 s[2:3], s[0:1]
	s_cbranch_execz .LBB1221_18
; %bb.17:
	v_mul_f64 v[0:1], s[16:17], v[25:26]
	v_mul_f64 v[8:9], s[14:15], v[25:26]
	v_ashrrev_i32_e32 v3, 31, v2
	v_fma_f64 v[6:7], s[14:15], v[27:28], -v[0:1]
	v_fma_f64 v[8:9], s[16:17], v[27:28], v[8:9]
	v_lshlrev_b64 v[0:1], 4, v[2:3]
	v_add_co_u32_e32 v0, vcc, v4, v0
	v_addc_co_u32_e32 v1, vcc, v5, v1, vcc
	global_store_dwordx4 v[0:1], v[6:9], off
.LBB1221_18:
	s_endpgm
	.section	.rodata,"a",@progbits
	.p2align	6, 0x0
	.amdhsa_kernel _ZL34rocblas_syrkx_herkx_general_kernelIl19rocblas_complex_numIdELi16ELi32ELi8ELb1ELb0ELc67ELc85EKS1_S1_EviT_T0_PT8_S3_lS6_S3_lS4_PT9_S3_li
		.amdhsa_group_segment_fixed_size 8192
		.amdhsa_private_segment_fixed_size 0
		.amdhsa_kernarg_size 124
		.amdhsa_user_sgpr_count 6
		.amdhsa_user_sgpr_private_segment_buffer 1
		.amdhsa_user_sgpr_dispatch_ptr 0
		.amdhsa_user_sgpr_queue_ptr 0
		.amdhsa_user_sgpr_kernarg_segment_ptr 1
		.amdhsa_user_sgpr_dispatch_id 0
		.amdhsa_user_sgpr_flat_scratch_init 0
		.amdhsa_user_sgpr_private_segment_size 0
		.amdhsa_uses_dynamic_stack 0
		.amdhsa_system_sgpr_private_segment_wavefront_offset 0
		.amdhsa_system_sgpr_workgroup_id_x 1
		.amdhsa_system_sgpr_workgroup_id_y 1
		.amdhsa_system_sgpr_workgroup_id_z 1
		.amdhsa_system_sgpr_workgroup_info 0
		.amdhsa_system_vgpr_workitem_id 1
		.amdhsa_next_free_vgpr 59
		.amdhsa_next_free_sgpr 61
		.amdhsa_reserve_vcc 1
		.amdhsa_reserve_flat_scratch 0
		.amdhsa_float_round_mode_32 0
		.amdhsa_float_round_mode_16_64 0
		.amdhsa_float_denorm_mode_32 3
		.amdhsa_float_denorm_mode_16_64 3
		.amdhsa_dx10_clamp 1
		.amdhsa_ieee_mode 1
		.amdhsa_fp16_overflow 0
		.amdhsa_exception_fp_ieee_invalid_op 0
		.amdhsa_exception_fp_denorm_src 0
		.amdhsa_exception_fp_ieee_div_zero 0
		.amdhsa_exception_fp_ieee_overflow 0
		.amdhsa_exception_fp_ieee_underflow 0
		.amdhsa_exception_fp_ieee_inexact 0
		.amdhsa_exception_int_div_zero 0
	.end_amdhsa_kernel
	.section	.text._ZL34rocblas_syrkx_herkx_general_kernelIl19rocblas_complex_numIdELi16ELi32ELi8ELb1ELb0ELc67ELc85EKS1_S1_EviT_T0_PT8_S3_lS6_S3_lS4_PT9_S3_li,"axG",@progbits,_ZL34rocblas_syrkx_herkx_general_kernelIl19rocblas_complex_numIdELi16ELi32ELi8ELb1ELb0ELc67ELc85EKS1_S1_EviT_T0_PT8_S3_lS6_S3_lS4_PT9_S3_li,comdat
.Lfunc_end1221:
	.size	_ZL34rocblas_syrkx_herkx_general_kernelIl19rocblas_complex_numIdELi16ELi32ELi8ELb1ELb0ELc67ELc85EKS1_S1_EviT_T0_PT8_S3_lS6_S3_lS4_PT9_S3_li, .Lfunc_end1221-_ZL34rocblas_syrkx_herkx_general_kernelIl19rocblas_complex_numIdELi16ELi32ELi8ELb1ELb0ELc67ELc85EKS1_S1_EviT_T0_PT8_S3_lS6_S3_lS4_PT9_S3_li
                                        ; -- End function
	.set _ZL34rocblas_syrkx_herkx_general_kernelIl19rocblas_complex_numIdELi16ELi32ELi8ELb1ELb0ELc67ELc85EKS1_S1_EviT_T0_PT8_S3_lS6_S3_lS4_PT9_S3_li.num_vgpr, 59
	.set _ZL34rocblas_syrkx_herkx_general_kernelIl19rocblas_complex_numIdELi16ELi32ELi8ELb1ELb0ELc67ELc85EKS1_S1_EviT_T0_PT8_S3_lS6_S3_lS4_PT9_S3_li.num_agpr, 0
	.set _ZL34rocblas_syrkx_herkx_general_kernelIl19rocblas_complex_numIdELi16ELi32ELi8ELb1ELb0ELc67ELc85EKS1_S1_EviT_T0_PT8_S3_lS6_S3_lS4_PT9_S3_li.numbered_sgpr, 30
	.set _ZL34rocblas_syrkx_herkx_general_kernelIl19rocblas_complex_numIdELi16ELi32ELi8ELb1ELb0ELc67ELc85EKS1_S1_EviT_T0_PT8_S3_lS6_S3_lS4_PT9_S3_li.num_named_barrier, 0
	.set _ZL34rocblas_syrkx_herkx_general_kernelIl19rocblas_complex_numIdELi16ELi32ELi8ELb1ELb0ELc67ELc85EKS1_S1_EviT_T0_PT8_S3_lS6_S3_lS4_PT9_S3_li.private_seg_size, 0
	.set _ZL34rocblas_syrkx_herkx_general_kernelIl19rocblas_complex_numIdELi16ELi32ELi8ELb1ELb0ELc67ELc85EKS1_S1_EviT_T0_PT8_S3_lS6_S3_lS4_PT9_S3_li.uses_vcc, 1
	.set _ZL34rocblas_syrkx_herkx_general_kernelIl19rocblas_complex_numIdELi16ELi32ELi8ELb1ELb0ELc67ELc85EKS1_S1_EviT_T0_PT8_S3_lS6_S3_lS4_PT9_S3_li.uses_flat_scratch, 0
	.set _ZL34rocblas_syrkx_herkx_general_kernelIl19rocblas_complex_numIdELi16ELi32ELi8ELb1ELb0ELc67ELc85EKS1_S1_EviT_T0_PT8_S3_lS6_S3_lS4_PT9_S3_li.has_dyn_sized_stack, 0
	.set _ZL34rocblas_syrkx_herkx_general_kernelIl19rocblas_complex_numIdELi16ELi32ELi8ELb1ELb0ELc67ELc85EKS1_S1_EviT_T0_PT8_S3_lS6_S3_lS4_PT9_S3_li.has_recursion, 0
	.set _ZL34rocblas_syrkx_herkx_general_kernelIl19rocblas_complex_numIdELi16ELi32ELi8ELb1ELb0ELc67ELc85EKS1_S1_EviT_T0_PT8_S3_lS6_S3_lS4_PT9_S3_li.has_indirect_call, 0
	.section	.AMDGPU.csdata,"",@progbits
; Kernel info:
; codeLenInByte = 3216
; TotalNumSgprs: 34
; NumVgprs: 59
; ScratchSize: 0
; MemoryBound: 1
; FloatMode: 240
; IeeeMode: 1
; LDSByteSize: 8192 bytes/workgroup (compile time only)
; SGPRBlocks: 8
; VGPRBlocks: 14
; NumSGPRsForWavesPerEU: 65
; NumVGPRsForWavesPerEU: 59
; Occupancy: 4
; WaveLimiterHint : 0
; COMPUTE_PGM_RSRC2:SCRATCH_EN: 0
; COMPUTE_PGM_RSRC2:USER_SGPR: 6
; COMPUTE_PGM_RSRC2:TRAP_HANDLER: 0
; COMPUTE_PGM_RSRC2:TGID_X_EN: 1
; COMPUTE_PGM_RSRC2:TGID_Y_EN: 1
; COMPUTE_PGM_RSRC2:TGID_Z_EN: 1
; COMPUTE_PGM_RSRC2:TIDIG_COMP_CNT: 1
	.section	.text._ZL34rocblas_syrkx_herkx_general_kernelIl19rocblas_complex_numIdELi16ELi32ELi8ELb1ELb0ELc78ELc85EKS1_S1_EviT_T0_PT8_S3_lS6_S3_lS4_PT9_S3_li,"axG",@progbits,_ZL34rocblas_syrkx_herkx_general_kernelIl19rocblas_complex_numIdELi16ELi32ELi8ELb1ELb0ELc78ELc85EKS1_S1_EviT_T0_PT8_S3_lS6_S3_lS4_PT9_S3_li,comdat
	.globl	_ZL34rocblas_syrkx_herkx_general_kernelIl19rocblas_complex_numIdELi16ELi32ELi8ELb1ELb0ELc78ELc85EKS1_S1_EviT_T0_PT8_S3_lS6_S3_lS4_PT9_S3_li ; -- Begin function _ZL34rocblas_syrkx_herkx_general_kernelIl19rocblas_complex_numIdELi16ELi32ELi8ELb1ELb0ELc78ELc85EKS1_S1_EviT_T0_PT8_S3_lS6_S3_lS4_PT9_S3_li
	.p2align	8
	.type	_ZL34rocblas_syrkx_herkx_general_kernelIl19rocblas_complex_numIdELi16ELi32ELi8ELb1ELb0ELc78ELc85EKS1_S1_EviT_T0_PT8_S3_lS6_S3_lS4_PT9_S3_li,@function
_ZL34rocblas_syrkx_herkx_general_kernelIl19rocblas_complex_numIdELi16ELi32ELi8ELb1ELb0ELc78ELc85EKS1_S1_EviT_T0_PT8_S3_lS6_S3_lS4_PT9_S3_li: ; @_ZL34rocblas_syrkx_herkx_general_kernelIl19rocblas_complex_numIdELi16ELi32ELi8ELb1ELb0ELc78ELc85EKS1_S1_EviT_T0_PT8_S3_lS6_S3_lS4_PT9_S3_li
; %bb.0:
	s_load_dwordx16 s[12:27], s[4:5], 0x8
	s_load_dword s9, s[4:5], 0x0
	s_lshl_b32 s28, s6, 5
	s_lshl_b32 s29, s7, 5
	s_waitcnt lgkmcnt(0)
	v_cmp_lt_i64_e64 s[0:1], s[12:13], 1
	s_and_b64 vcc, exec, s[0:1]
	s_cbranch_vccnz .LBB1222_9
; %bb.1:
	v_lshl_add_u32 v3, v1, 4, v0
	v_and_b32_e32 v7, 31, v3
	v_or_b32_e32 v4, s28, v7
	v_lshrrev_b32_e32 v29, 5, v3
	v_cmp_gt_i32_e32 vcc, s9, v4
	v_mad_u64_u32 v[4:5], s[2:3], s20, v29, 0
	v_lshrrev_b32_e32 v6, 3, v3
	v_and_b32_e32 v30, 7, v0
	v_lshlrev_b32_e32 v3, 4, v7
	v_lshl_or_b32 v31, v29, 9, v3
	v_lshlrev_b32_e32 v3, 4, v30
	v_add_u32_e32 v2, s29, v6
	v_lshl_or_b32 v3, v6, 7, v3
	v_mad_u64_u32 v[5:6], s[2:3], s21, v29, v[5:6]
	s_mul_i32 s2, s23, s8
	s_mul_hi_u32 s3, s22, s8
	v_lshlrev_b64 v[4:5], 4, v[4:5]
	s_add_i32 s3, s3, s2
	s_mul_i32 s2, s22, s8
	v_mov_b32_e32 v6, 0x1000
	s_lshl_b64 s[2:3], s[2:3], 4
	v_lshl_add_u32 v34, v1, 7, v6
	v_mov_b32_e32 v6, s3
	v_add_co_u32_e64 v8, s[2:3], s2, v4
	v_add_u32_e32 v4, s28, v7
	v_addc_co_u32_e64 v6, s[2:3], v5, v6, s[2:3]
	v_ashrrev_i32_e32 v5, 31, v4
	v_lshlrev_b64 v[4:5], 4, v[4:5]
	s_load_dwordx2 s[10:11], s[4:5], 0x48
	v_add_co_u32_e64 v4, s[2:3], v8, v4
	v_addc_co_u32_e64 v5, s[2:3], v6, v5, s[2:3]
	v_mov_b32_e32 v6, s19
	v_add_co_u32_e64 v7, s[2:3], s18, v4
	v_addc_co_u32_e64 v8, s[2:3], v6, v5, s[2:3]
	v_mad_u64_u32 v[4:5], s[2:3], s26, v30, 0
	s_waitcnt lgkmcnt(0)
	s_mul_i32 s11, s11, s8
	s_mul_hi_u32 s18, s10, s8
	v_mad_u64_u32 v[5:6], s[2:3], s27, v30, v[5:6]
	s_add_i32 s3, s18, s11
	s_mul_i32 s2, s10, s8
	v_lshlrev_b64 v[4:5], 4, v[4:5]
	v_add_u32_e32 v32, 0x1000, v3
	v_ashrrev_i32_e32 v3, 31, v2
	s_lshl_b64 s[2:3], s[2:3], 4
	v_cmp_gt_i32_e64 s[0:1], s9, v2
	v_mov_b32_e32 v6, s3
	v_add_co_u32_e64 v4, s[2:3], s2, v4
	v_lshlrev_b64 v[2:3], 4, v[2:3]
	v_addc_co_u32_e64 v5, s[2:3], v6, v5, s[2:3]
	v_add_co_u32_e64 v2, s[2:3], v4, v2
	v_addc_co_u32_e64 v3, s[2:3], v5, v3, s[2:3]
	v_mov_b32_e32 v4, s25
	v_add_co_u32_e64 v2, s[2:3], s24, v2
	v_addc_co_u32_e64 v3, s[2:3], v4, v3, s[2:3]
	v_add_co_u32_e64 v9, s[2:3], 8, v2
	v_addc_co_u32_e64 v10, s[2:3], 0, v3, s[2:3]
	s_lshl_b64 s[6:7], s[20:21], 7
	s_lshl_b64 s[2:3], s[26:27], 7
	v_mov_b32_e32 v25, 0
	v_mov_b32_e32 v11, s12
	;; [unrolled: 1-line block ×9, first 2 shown]
	v_lshlrev_b32_e32 v33, 4, v0
	s_mov_b64 s[10:11], 0
	v_mov_b32_e32 v26, 0
	s_xor_b64 s[18:19], vcc, -1
	v_mov_b32_e32 v35, s7
	v_mov_b32_e32 v36, s3
	;; [unrolled: 1-line block ×11, first 2 shown]
	s_branch .LBB1222_3
.LBB1222_2:                             ;   in Loop: Header=BB1222_3 Depth=1
	s_or_b64 exec, exec, s[20:21]
	s_waitcnt vmcnt(0)
	ds_write_b128 v32, v[3:6]
	s_waitcnt lgkmcnt(0)
	s_barrier
	ds_read_b128 v[3:6], v34
	ds_read_b128 v[37:40], v34 offset:16
	ds_read_b128 v[41:44], v34 offset:32
	;; [unrolled: 1-line block ×3, first 2 shown]
	ds_read_b128 v[49:52], v33
	v_add_co_u32_e32 v7, vcc, s6, v7
	v_addc_co_u32_e32 v8, vcc, v8, v35, vcc
	s_waitcnt lgkmcnt(0)
	v_mul_f64 v[53:54], v[5:6], v[51:52]
	v_mul_f64 v[55:56], v[3:4], v[51:52]
	s_add_u32 s10, s10, 8
	v_add_co_u32_e32 v9, vcc, s2, v9
	s_addc_u32 s11, s11, 0
	v_addc_co_u32_e32 v10, vcc, v10, v36, vcc
	v_fma_f64 v[53:54], v[3:4], v[49:50], -v[53:54]
	v_fma_f64 v[55:56], v[5:6], v[49:50], v[55:56]
	v_cmp_ge_i64_e32 vcc, s[10:11], v[11:12]
	s_and_b64 vcc, exec, vcc
	v_add_f64 v[19:20], v[19:20], v[53:54]
	v_add_f64 v[23:24], v[55:56], v[23:24]
	ds_read_b128 v[53:56], v33 offset:256
	s_waitcnt lgkmcnt(0)
	v_mul_f64 v[57:58], v[5:6], v[55:56]
	v_fma_f64 v[57:58], v[3:4], v[53:54], -v[57:58]
	v_mul_f64 v[3:4], v[3:4], v[55:56]
	v_add_f64 v[57:58], v[13:14], v[57:58]
	v_fma_f64 v[3:4], v[5:6], v[53:54], v[3:4]
	v_add_f64 v[59:60], v[3:4], v[15:16]
	ds_read_b128 v[3:6], v34 offset:2048
	s_waitcnt lgkmcnt(0)
	v_mul_f64 v[13:14], v[5:6], v[51:52]
	v_mul_f64 v[15:16], v[3:4], v[51:52]
	v_fma_f64 v[13:14], v[3:4], v[49:50], -v[13:14]
	v_fma_f64 v[15:16], v[5:6], v[49:50], v[15:16]
	v_add_f64 v[49:50], v[17:18], v[13:14]
	v_mul_f64 v[13:14], v[5:6], v[55:56]
	v_add_f64 v[21:22], v[15:16], v[21:22]
	v_fma_f64 v[13:14], v[3:4], v[53:54], -v[13:14]
	v_mul_f64 v[3:4], v[3:4], v[55:56]
	v_add_f64 v[27:28], v[27:28], v[13:14]
	v_fma_f64 v[3:4], v[5:6], v[53:54], v[3:4]
	v_add_f64 v[25:26], v[3:4], v[25:26]
	ds_read_b128 v[3:6], v33 offset:512
	s_waitcnt lgkmcnt(0)
	v_mul_f64 v[13:14], v[39:40], v[5:6]
	v_mul_f64 v[15:16], v[37:38], v[5:6]
	v_fma_f64 v[13:14], v[37:38], v[3:4], -v[13:14]
	v_fma_f64 v[15:16], v[39:40], v[3:4], v[15:16]
	v_add_f64 v[51:52], v[19:20], v[13:14]
	v_add_f64 v[23:24], v[15:16], v[23:24]
	ds_read_b128 v[13:16], v33 offset:768
	s_waitcnt lgkmcnt(0)
	v_mul_f64 v[17:18], v[39:40], v[15:16]
	v_mul_f64 v[19:20], v[37:38], v[15:16]
	v_fma_f64 v[17:18], v[37:38], v[13:14], -v[17:18]
	v_fma_f64 v[19:20], v[39:40], v[13:14], v[19:20]
	v_add_f64 v[37:38], v[57:58], v[17:18]
	v_add_f64 v[39:40], v[19:20], v[59:60]
	ds_read_b128 v[17:20], v34 offset:2064
	s_waitcnt lgkmcnt(0)
	v_mul_f64 v[53:54], v[19:20], v[5:6]
	v_mul_f64 v[5:6], v[17:18], v[5:6]
	v_fma_f64 v[53:54], v[17:18], v[3:4], -v[53:54]
	v_fma_f64 v[3:4], v[19:20], v[3:4], v[5:6]
	v_mul_f64 v[5:6], v[17:18], v[15:16]
	v_add_f64 v[49:50], v[49:50], v[53:54]
	v_add_f64 v[21:22], v[3:4], v[21:22]
	v_mul_f64 v[3:4], v[19:20], v[15:16]
	v_fma_f64 v[5:6], v[19:20], v[13:14], v[5:6]
	v_fma_f64 v[3:4], v[17:18], v[13:14], -v[3:4]
	v_add_f64 v[25:26], v[5:6], v[25:26]
	v_add_f64 v[27:28], v[27:28], v[3:4]
	ds_read_b128 v[3:6], v33 offset:1024
	s_waitcnt lgkmcnt(0)
	v_mul_f64 v[13:14], v[43:44], v[5:6]
	v_mul_f64 v[15:16], v[41:42], v[5:6]
	v_fma_f64 v[13:14], v[41:42], v[3:4], -v[13:14]
	v_fma_f64 v[15:16], v[43:44], v[3:4], v[15:16]
	v_add_f64 v[51:52], v[51:52], v[13:14]
	v_add_f64 v[23:24], v[15:16], v[23:24]
	ds_read_b128 v[13:16], v33 offset:1280
	s_waitcnt lgkmcnt(0)
	v_mul_f64 v[17:18], v[43:44], v[15:16]
	v_mul_f64 v[19:20], v[41:42], v[15:16]
	v_fma_f64 v[17:18], v[41:42], v[13:14], -v[17:18]
	v_fma_f64 v[19:20], v[43:44], v[13:14], v[19:20]
	v_add_f64 v[37:38], v[37:38], v[17:18]
	v_add_f64 v[39:40], v[19:20], v[39:40]
	ds_read_b128 v[17:20], v34 offset:2080
	s_waitcnt lgkmcnt(0)
	v_mul_f64 v[41:42], v[19:20], v[5:6]
	v_mul_f64 v[5:6], v[17:18], v[5:6]
	v_fma_f64 v[41:42], v[17:18], v[3:4], -v[41:42]
	v_fma_f64 v[3:4], v[19:20], v[3:4], v[5:6]
	v_mul_f64 v[5:6], v[17:18], v[15:16]
	v_add_f64 v[41:42], v[49:50], v[41:42]
	v_add_f64 v[21:22], v[3:4], v[21:22]
	v_mul_f64 v[3:4], v[19:20], v[15:16]
	v_fma_f64 v[5:6], v[19:20], v[13:14], v[5:6]
	v_fma_f64 v[3:4], v[17:18], v[13:14], -v[3:4]
	v_add_f64 v[25:26], v[5:6], v[25:26]
	;; [unrolled: 30-line block ×3, first 2 shown]
	v_add_f64 v[27:28], v[27:28], v[3:4]
	ds_read_b128 v[3:6], v34 offset:64
	ds_read_b128 v[13:16], v33 offset:2048
	s_waitcnt lgkmcnt(0)
	v_mul_f64 v[17:18], v[5:6], v[15:16]
	v_mul_f64 v[19:20], v[3:4], v[15:16]
	v_fma_f64 v[17:18], v[3:4], v[13:14], -v[17:18]
	v_fma_f64 v[19:20], v[5:6], v[13:14], v[19:20]
	v_add_f64 v[43:44], v[43:44], v[17:18]
	v_add_f64 v[23:24], v[19:20], v[23:24]
	ds_read_b128 v[17:20], v33 offset:2304
	s_waitcnt lgkmcnt(0)
	v_mul_f64 v[45:46], v[5:6], v[19:20]
	v_fma_f64 v[45:46], v[3:4], v[17:18], -v[45:46]
	v_mul_f64 v[3:4], v[3:4], v[19:20]
	v_add_f64 v[37:38], v[37:38], v[45:46]
	v_fma_f64 v[3:4], v[5:6], v[17:18], v[3:4]
	v_add_f64 v[39:40], v[3:4], v[39:40]
	ds_read_b128 v[3:6], v34 offset:2112
	s_waitcnt lgkmcnt(0)
	v_mul_f64 v[45:46], v[5:6], v[15:16]
	v_mul_f64 v[15:16], v[3:4], v[15:16]
	v_fma_f64 v[45:46], v[3:4], v[13:14], -v[45:46]
	v_fma_f64 v[13:14], v[5:6], v[13:14], v[15:16]
	v_add_f64 v[41:42], v[41:42], v[45:46]
	v_add_f64 v[21:22], v[13:14], v[21:22]
	v_mul_f64 v[13:14], v[5:6], v[19:20]
	v_fma_f64 v[13:14], v[3:4], v[17:18], -v[13:14]
	v_mul_f64 v[3:4], v[3:4], v[19:20]
	v_add_f64 v[27:28], v[27:28], v[13:14]
	v_fma_f64 v[3:4], v[5:6], v[17:18], v[3:4]
	v_add_f64 v[25:26], v[3:4], v[25:26]
	ds_read_b128 v[3:6], v34 offset:80
	ds_read_b128 v[13:16], v33 offset:2560
	s_waitcnt lgkmcnt(0)
	v_mul_f64 v[17:18], v[5:6], v[15:16]
	v_mul_f64 v[19:20], v[3:4], v[15:16]
	v_fma_f64 v[17:18], v[3:4], v[13:14], -v[17:18]
	v_fma_f64 v[19:20], v[5:6], v[13:14], v[19:20]
	v_add_f64 v[43:44], v[43:44], v[17:18]
	v_add_f64 v[23:24], v[19:20], v[23:24]
	ds_read_b128 v[17:20], v33 offset:2816
	s_waitcnt lgkmcnt(0)
	v_mul_f64 v[45:46], v[5:6], v[19:20]
	v_fma_f64 v[45:46], v[3:4], v[17:18], -v[45:46]
	v_mul_f64 v[3:4], v[3:4], v[19:20]
	v_add_f64 v[37:38], v[37:38], v[45:46]
	v_fma_f64 v[3:4], v[5:6], v[17:18], v[3:4]
	v_add_f64 v[39:40], v[3:4], v[39:40]
	ds_read_b128 v[3:6], v34 offset:2128
	s_waitcnt lgkmcnt(0)
	v_mul_f64 v[45:46], v[5:6], v[15:16]
	v_mul_f64 v[15:16], v[3:4], v[15:16]
	v_fma_f64 v[45:46], v[3:4], v[13:14], -v[45:46]
	v_fma_f64 v[13:14], v[5:6], v[13:14], v[15:16]
	v_add_f64 v[41:42], v[41:42], v[45:46]
	v_add_f64 v[21:22], v[13:14], v[21:22]
	v_mul_f64 v[13:14], v[5:6], v[19:20]
	v_fma_f64 v[13:14], v[3:4], v[17:18], -v[13:14]
	v_mul_f64 v[3:4], v[3:4], v[19:20]
	v_add_f64 v[27:28], v[27:28], v[13:14]
	v_fma_f64 v[3:4], v[5:6], v[17:18], v[3:4]
	;; [unrolled: 31-line block ×3, first 2 shown]
	v_add_f64 v[51:52], v[3:4], v[25:26]
	ds_read_b128 v[3:6], v34 offset:112
	ds_read_b128 v[25:28], v33 offset:3584
	;; [unrolled: 1-line block ×3, first 2 shown]
	s_waitcnt lgkmcnt(1)
	v_mul_f64 v[13:14], v[5:6], v[27:28]
	v_mul_f64 v[15:16], v[3:4], v[27:28]
	v_fma_f64 v[13:14], v[3:4], v[25:26], -v[13:14]
	v_fma_f64 v[15:16], v[5:6], v[25:26], v[15:16]
	v_add_f64 v[19:20], v[43:44], v[13:14]
	s_waitcnt lgkmcnt(0)
	v_mul_f64 v[13:14], v[5:6], v[39:40]
	v_add_f64 v[23:24], v[15:16], v[23:24]
	v_fma_f64 v[13:14], v[3:4], v[37:38], -v[13:14]
	v_mul_f64 v[3:4], v[3:4], v[39:40]
	v_add_f64 v[13:14], v[45:46], v[13:14]
	v_fma_f64 v[3:4], v[5:6], v[37:38], v[3:4]
	v_add_f64 v[15:16], v[3:4], v[47:48]
	ds_read_b128 v[3:6], v34 offset:2160
	s_waitcnt lgkmcnt(0)
	s_barrier
	v_mul_f64 v[17:18], v[5:6], v[27:28]
	v_mul_f64 v[27:28], v[3:4], v[27:28]
	v_fma_f64 v[17:18], v[3:4], v[25:26], -v[17:18]
	v_fma_f64 v[25:26], v[5:6], v[25:26], v[27:28]
	v_add_f64 v[17:18], v[41:42], v[17:18]
	v_add_f64 v[21:22], v[25:26], v[21:22]
	v_mul_f64 v[25:26], v[5:6], v[39:40]
	v_fma_f64 v[25:26], v[3:4], v[37:38], -v[25:26]
	v_mul_f64 v[3:4], v[3:4], v[39:40]
	v_add_f64 v[27:28], v[49:50], v[25:26]
	v_fma_f64 v[3:4], v[5:6], v[37:38], v[3:4]
	v_add_f64 v[25:26], v[3:4], v[51:52]
	s_cbranch_vccnz .LBB1222_10
.LBB1222_3:                             ; =>This Inner Loop Header: Depth=1
	v_mov_b32_e32 v4, s11
	v_add_co_u32_e32 v3, vcc, s10, v29
	v_addc_co_u32_e32 v4, vcc, 0, v4, vcc
	v_cmp_le_i64_e32 vcc, s[12:13], v[3:4]
	s_or_b64 s[20:21], s[18:19], vcc
	s_and_saveexec_b64 s[22:23], s[20:21]
	s_xor_b64 s[20:21], exec, s[22:23]
; %bb.4:                                ;   in Loop: Header=BB1222_3 Depth=1
	v_mov_b32_e32 v3, v2
	v_mov_b32_e32 v4, v2
	;; [unrolled: 1-line block ×3, first 2 shown]
	ds_write_b128 v31, v[2:5]
; %bb.5:                                ;   in Loop: Header=BB1222_3 Depth=1
	s_andn2_saveexec_b64 s[20:21], s[20:21]
	s_cbranch_execz .LBB1222_7
; %bb.6:                                ;   in Loop: Header=BB1222_3 Depth=1
	global_load_dwordx4 v[3:6], v[7:8], off
	s_waitcnt vmcnt(0)
	ds_write2_b64 v31, v[3:4], v[5:6] offset1:1
.LBB1222_7:                             ;   in Loop: Header=BB1222_3 Depth=1
	s_or_b64 exec, exec, s[20:21]
	v_mov_b32_e32 v4, s11
	v_add_co_u32_e32 v3, vcc, s10, v30
	v_addc_co_u32_e32 v4, vcc, 0, v4, vcc
	v_cmp_gt_i64_e32 vcc, s[12:13], v[3:4]
	v_mov_b32_e32 v3, 0
	v_mov_b32_e32 v5, 0
	;; [unrolled: 1-line block ×4, first 2 shown]
	s_and_b64 s[22:23], vcc, s[0:1]
	s_and_saveexec_b64 s[20:21], s[22:23]
	s_cbranch_execz .LBB1222_2
; %bb.8:                                ;   in Loop: Header=BB1222_3 Depth=1
	global_load_dwordx4 v[3:6], v[9:10], off offset:-8
	s_branch .LBB1222_2
.LBB1222_9:
	v_mov_b32_e32 v19, 0
	v_mov_b32_e32 v23, 0
	;; [unrolled: 1-line block ×16, first 2 shown]
.LBB1222_10:
	s_load_dwordx2 s[6:7], s[4:5], 0x70
	s_load_dwordx4 s[0:3], s[4:5], 0x60
	v_add_u32_e32 v4, s29, v1
	v_ashrrev_i32_e32 v1, 31, v4
	v_add_u32_e32 v0, s28, v0
	s_waitcnt lgkmcnt(0)
	s_mul_i32 s5, s7, s8
	v_mul_lo_u32 v3, s2, v1
	v_mul_lo_u32 v5, s3, v4
	v_mad_u64_u32 v[1:2], s[10:11], s2, v4, 0
	s_mul_hi_u32 s7, s6, s8
	s_mul_i32 s4, s6, s8
	s_add_i32 s5, s7, s5
	s_lshl_b64 s[4:5], s[4:5], 4
	v_add3_u32 v2, v2, v3, v5
	s_add_u32 s6, s0, s4
	v_lshlrev_b64 v[1:2], 4, v[1:2]
	s_addc_u32 s7, s1, s5
	v_mov_b32_e32 v3, s7
	v_add_co_u32_e64 v5, s[0:1], s6, v1
	v_addc_co_u32_e64 v6, s[0:1], v3, v2, s[0:1]
	v_cmp_gt_i32_e32 vcc, s9, v4
	v_cmp_le_i32_e64 s[0:1], v0, v4
	s_and_b64 s[0:1], vcc, s[0:1]
	s_and_saveexec_b64 s[4:5], s[0:1]
	s_cbranch_execz .LBB1222_12
; %bb.11:
	v_mul_f64 v[1:2], s[16:17], v[23:24]
	v_mul_f64 v[9:10], s[14:15], v[23:24]
	v_fma_f64 v[7:8], s[14:15], v[19:20], -v[1:2]
	v_fma_f64 v[9:10], s[16:17], v[19:20], v[9:10]
	v_ashrrev_i32_e32 v1, 31, v0
	v_lshlrev_b64 v[1:2], 4, v[0:1]
	v_add_co_u32_e64 v1, s[0:1], v5, v1
	v_addc_co_u32_e64 v2, s[0:1], v6, v2, s[0:1]
	global_store_dwordx4 v[1:2], v[7:10], off
.LBB1222_12:
	s_or_b64 exec, exec, s[4:5]
	v_add_u32_e32 v2, 16, v0
	v_cmp_le_i32_e64 s[0:1], v2, v4
	s_and_b64 s[4:5], vcc, s[0:1]
	s_and_saveexec_b64 s[0:1], s[4:5]
	s_cbranch_execz .LBB1222_14
; %bb.13:
	v_mul_f64 v[7:8], s[16:17], v[15:16]
	v_mul_f64 v[9:10], s[14:15], v[15:16]
	v_ashrrev_i32_e32 v3, 31, v2
	v_lshlrev_b64 v[11:12], 4, v[2:3]
	v_add_co_u32_e32 v5, vcc, v5, v11
	v_addc_co_u32_e32 v6, vcc, v6, v12, vcc
	v_fma_f64 v[7:8], s[14:15], v[13:14], -v[7:8]
	v_fma_f64 v[9:10], s[16:17], v[13:14], v[9:10]
	global_store_dwordx4 v[5:6], v[7:10], off
.LBB1222_14:
	s_or_b64 exec, exec, s[0:1]
	v_add_u32_e32 v3, 16, v4
	v_ashrrev_i32_e32 v1, 31, v3
	v_mul_lo_u32 v1, s2, v1
	v_mul_lo_u32 v6, s3, v3
	v_mad_u64_u32 v[4:5], s[0:1], s2, v3, 0
	v_cmp_gt_i32_e32 vcc, s9, v3
	v_add3_u32 v5, v5, v1, v6
	v_lshlrev_b64 v[4:5], 4, v[4:5]
	v_mov_b32_e32 v1, s7
	v_add_co_u32_e64 v4, s[0:1], s6, v4
	v_addc_co_u32_e64 v5, s[0:1], v1, v5, s[0:1]
	v_cmp_le_i32_e64 s[0:1], v0, v3
	s_and_b64 s[0:1], vcc, s[0:1]
	s_and_saveexec_b64 s[2:3], s[0:1]
	s_cbranch_execz .LBB1222_16
; %bb.15:
	v_mul_f64 v[6:7], s[16:17], v[21:22]
	v_mul_f64 v[8:9], s[14:15], v[21:22]
	v_ashrrev_i32_e32 v1, 31, v0
	v_lshlrev_b64 v[0:1], 4, v[0:1]
	v_add_co_u32_e64 v0, s[0:1], v4, v0
	v_addc_co_u32_e64 v1, s[0:1], v5, v1, s[0:1]
	v_fma_f64 v[6:7], s[14:15], v[17:18], -v[6:7]
	v_fma_f64 v[8:9], s[16:17], v[17:18], v[8:9]
	global_store_dwordx4 v[0:1], v[6:9], off
.LBB1222_16:
	s_or_b64 exec, exec, s[2:3]
	v_cmp_le_i32_e64 s[0:1], v2, v3
	s_and_b64 s[0:1], vcc, s[0:1]
	s_and_saveexec_b64 s[2:3], s[0:1]
	s_cbranch_execz .LBB1222_18
; %bb.17:
	v_mul_f64 v[0:1], s[16:17], v[25:26]
	v_mul_f64 v[8:9], s[14:15], v[25:26]
	v_ashrrev_i32_e32 v3, 31, v2
	v_fma_f64 v[6:7], s[14:15], v[27:28], -v[0:1]
	v_fma_f64 v[8:9], s[16:17], v[27:28], v[8:9]
	v_lshlrev_b64 v[0:1], 4, v[2:3]
	v_add_co_u32_e32 v0, vcc, v4, v0
	v_addc_co_u32_e32 v1, vcc, v5, v1, vcc
	global_store_dwordx4 v[0:1], v[6:9], off
.LBB1222_18:
	s_endpgm
	.section	.rodata,"a",@progbits
	.p2align	6, 0x0
	.amdhsa_kernel _ZL34rocblas_syrkx_herkx_general_kernelIl19rocblas_complex_numIdELi16ELi32ELi8ELb1ELb0ELc78ELc85EKS1_S1_EviT_T0_PT8_S3_lS6_S3_lS4_PT9_S3_li
		.amdhsa_group_segment_fixed_size 8192
		.amdhsa_private_segment_fixed_size 0
		.amdhsa_kernarg_size 124
		.amdhsa_user_sgpr_count 6
		.amdhsa_user_sgpr_private_segment_buffer 1
		.amdhsa_user_sgpr_dispatch_ptr 0
		.amdhsa_user_sgpr_queue_ptr 0
		.amdhsa_user_sgpr_kernarg_segment_ptr 1
		.amdhsa_user_sgpr_dispatch_id 0
		.amdhsa_user_sgpr_flat_scratch_init 0
		.amdhsa_user_sgpr_private_segment_size 0
		.amdhsa_uses_dynamic_stack 0
		.amdhsa_system_sgpr_private_segment_wavefront_offset 0
		.amdhsa_system_sgpr_workgroup_id_x 1
		.amdhsa_system_sgpr_workgroup_id_y 1
		.amdhsa_system_sgpr_workgroup_id_z 1
		.amdhsa_system_sgpr_workgroup_info 0
		.amdhsa_system_vgpr_workitem_id 1
		.amdhsa_next_free_vgpr 61
		.amdhsa_next_free_sgpr 61
		.amdhsa_reserve_vcc 1
		.amdhsa_reserve_flat_scratch 0
		.amdhsa_float_round_mode_32 0
		.amdhsa_float_round_mode_16_64 0
		.amdhsa_float_denorm_mode_32 3
		.amdhsa_float_denorm_mode_16_64 3
		.amdhsa_dx10_clamp 1
		.amdhsa_ieee_mode 1
		.amdhsa_fp16_overflow 0
		.amdhsa_exception_fp_ieee_invalid_op 0
		.amdhsa_exception_fp_denorm_src 0
		.amdhsa_exception_fp_ieee_div_zero 0
		.amdhsa_exception_fp_ieee_overflow 0
		.amdhsa_exception_fp_ieee_underflow 0
		.amdhsa_exception_fp_ieee_inexact 0
		.amdhsa_exception_int_div_zero 0
	.end_amdhsa_kernel
	.section	.text._ZL34rocblas_syrkx_herkx_general_kernelIl19rocblas_complex_numIdELi16ELi32ELi8ELb1ELb0ELc78ELc85EKS1_S1_EviT_T0_PT8_S3_lS6_S3_lS4_PT9_S3_li,"axG",@progbits,_ZL34rocblas_syrkx_herkx_general_kernelIl19rocblas_complex_numIdELi16ELi32ELi8ELb1ELb0ELc78ELc85EKS1_S1_EviT_T0_PT8_S3_lS6_S3_lS4_PT9_S3_li,comdat
.Lfunc_end1222:
	.size	_ZL34rocblas_syrkx_herkx_general_kernelIl19rocblas_complex_numIdELi16ELi32ELi8ELb1ELb0ELc78ELc85EKS1_S1_EviT_T0_PT8_S3_lS6_S3_lS4_PT9_S3_li, .Lfunc_end1222-_ZL34rocblas_syrkx_herkx_general_kernelIl19rocblas_complex_numIdELi16ELi32ELi8ELb1ELb0ELc78ELc85EKS1_S1_EviT_T0_PT8_S3_lS6_S3_lS4_PT9_S3_li
                                        ; -- End function
	.set _ZL34rocblas_syrkx_herkx_general_kernelIl19rocblas_complex_numIdELi16ELi32ELi8ELb1ELb0ELc78ELc85EKS1_S1_EviT_T0_PT8_S3_lS6_S3_lS4_PT9_S3_li.num_vgpr, 61
	.set _ZL34rocblas_syrkx_herkx_general_kernelIl19rocblas_complex_numIdELi16ELi32ELi8ELb1ELb0ELc78ELc85EKS1_S1_EviT_T0_PT8_S3_lS6_S3_lS4_PT9_S3_li.num_agpr, 0
	.set _ZL34rocblas_syrkx_herkx_general_kernelIl19rocblas_complex_numIdELi16ELi32ELi8ELb1ELb0ELc78ELc85EKS1_S1_EviT_T0_PT8_S3_lS6_S3_lS4_PT9_S3_li.numbered_sgpr, 30
	.set _ZL34rocblas_syrkx_herkx_general_kernelIl19rocblas_complex_numIdELi16ELi32ELi8ELb1ELb0ELc78ELc85EKS1_S1_EviT_T0_PT8_S3_lS6_S3_lS4_PT9_S3_li.num_named_barrier, 0
	.set _ZL34rocblas_syrkx_herkx_general_kernelIl19rocblas_complex_numIdELi16ELi32ELi8ELb1ELb0ELc78ELc85EKS1_S1_EviT_T0_PT8_S3_lS6_S3_lS4_PT9_S3_li.private_seg_size, 0
	.set _ZL34rocblas_syrkx_herkx_general_kernelIl19rocblas_complex_numIdELi16ELi32ELi8ELb1ELb0ELc78ELc85EKS1_S1_EviT_T0_PT8_S3_lS6_S3_lS4_PT9_S3_li.uses_vcc, 1
	.set _ZL34rocblas_syrkx_herkx_general_kernelIl19rocblas_complex_numIdELi16ELi32ELi8ELb1ELb0ELc78ELc85EKS1_S1_EviT_T0_PT8_S3_lS6_S3_lS4_PT9_S3_li.uses_flat_scratch, 0
	.set _ZL34rocblas_syrkx_herkx_general_kernelIl19rocblas_complex_numIdELi16ELi32ELi8ELb1ELb0ELc78ELc85EKS1_S1_EviT_T0_PT8_S3_lS6_S3_lS4_PT9_S3_li.has_dyn_sized_stack, 0
	.set _ZL34rocblas_syrkx_herkx_general_kernelIl19rocblas_complex_numIdELi16ELi32ELi8ELb1ELb0ELc78ELc85EKS1_S1_EviT_T0_PT8_S3_lS6_S3_lS4_PT9_S3_li.has_recursion, 0
	.set _ZL34rocblas_syrkx_herkx_general_kernelIl19rocblas_complex_numIdELi16ELi32ELi8ELb1ELb0ELc78ELc85EKS1_S1_EviT_T0_PT8_S3_lS6_S3_lS4_PT9_S3_li.has_indirect_call, 0
	.section	.AMDGPU.csdata,"",@progbits
; Kernel info:
; codeLenInByte = 3204
; TotalNumSgprs: 34
; NumVgprs: 61
; ScratchSize: 0
; MemoryBound: 1
; FloatMode: 240
; IeeeMode: 1
; LDSByteSize: 8192 bytes/workgroup (compile time only)
; SGPRBlocks: 8
; VGPRBlocks: 15
; NumSGPRsForWavesPerEU: 65
; NumVGPRsForWavesPerEU: 61
; Occupancy: 4
; WaveLimiterHint : 0
; COMPUTE_PGM_RSRC2:SCRATCH_EN: 0
; COMPUTE_PGM_RSRC2:USER_SGPR: 6
; COMPUTE_PGM_RSRC2:TRAP_HANDLER: 0
; COMPUTE_PGM_RSRC2:TGID_X_EN: 1
; COMPUTE_PGM_RSRC2:TGID_Y_EN: 1
; COMPUTE_PGM_RSRC2:TGID_Z_EN: 1
; COMPUTE_PGM_RSRC2:TIDIG_COMP_CNT: 1
	.section	.text._ZL34rocblas_syrkx_herkx_general_kernelIl19rocblas_complex_numIdELi16ELi32ELi8ELb0ELb0ELc84ELc76EKS1_S1_EviT_T0_PT8_S3_lS6_S3_lS4_PT9_S3_li,"axG",@progbits,_ZL34rocblas_syrkx_herkx_general_kernelIl19rocblas_complex_numIdELi16ELi32ELi8ELb0ELb0ELc84ELc76EKS1_S1_EviT_T0_PT8_S3_lS6_S3_lS4_PT9_S3_li,comdat
	.globl	_ZL34rocblas_syrkx_herkx_general_kernelIl19rocblas_complex_numIdELi16ELi32ELi8ELb0ELb0ELc84ELc76EKS1_S1_EviT_T0_PT8_S3_lS6_S3_lS4_PT9_S3_li ; -- Begin function _ZL34rocblas_syrkx_herkx_general_kernelIl19rocblas_complex_numIdELi16ELi32ELi8ELb0ELb0ELc84ELc76EKS1_S1_EviT_T0_PT8_S3_lS6_S3_lS4_PT9_S3_li
	.p2align	8
	.type	_ZL34rocblas_syrkx_herkx_general_kernelIl19rocblas_complex_numIdELi16ELi32ELi8ELb0ELb0ELc84ELc76EKS1_S1_EviT_T0_PT8_S3_lS6_S3_lS4_PT9_S3_li,@function
_ZL34rocblas_syrkx_herkx_general_kernelIl19rocblas_complex_numIdELi16ELi32ELi8ELb0ELb0ELc84ELc76EKS1_S1_EviT_T0_PT8_S3_lS6_S3_lS4_PT9_S3_li: ; @_ZL34rocblas_syrkx_herkx_general_kernelIl19rocblas_complex_numIdELi16ELi32ELi8ELb0ELb0ELc84ELc76EKS1_S1_EviT_T0_PT8_S3_lS6_S3_lS4_PT9_S3_li
; %bb.0:
	s_load_dwordx16 s[12:27], s[4:5], 0x8
	s_load_dword s9, s[4:5], 0x0
	s_load_dwordx4 s[28:31], s[4:5], 0x68
	s_load_dwordx8 s[36:43], s[4:5], 0x48
	s_lshl_b32 s10, s6, 5
	s_waitcnt lgkmcnt(0)
	v_cmp_lt_i64_e64 s[0:1], s[12:13], 1
	s_lshl_b32 s11, s7, 5
	s_and_b64 vcc, exec, s[0:1]
	s_cbranch_vccnz .LBB1223_11
; %bb.1:
	v_lshl_add_u32 v2, v1, 4, v0
	v_and_b32_e32 v5, 31, v2
	v_and_b32_e32 v29, 7, v0
	v_lshrrev_b32_e32 v3, 3, v2
	v_lshrrev_b32_e32 v28, 5, v2
	v_lshlrev_b32_e32 v2, 4, v5
	v_lshlrev_b32_e32 v8, 4, v29
	v_lshl_or_b32 v30, v28, 9, v2
	v_lshl_or_b32 v2, v3, 7, v8
	v_add_u32_e32 v31, 0x1000, v2
	v_add_u32_e32 v2, s10, v5
	;; [unrolled: 1-line block ×3, first 2 shown]
	v_ashrrev_i32_e32 v3, 31, v2
	v_or_b32_e32 v6, s10, v5
	v_mul_lo_u32 v5, s20, v3
	v_mul_lo_u32 v7, s21, v2
	v_mad_u64_u32 v[2:3], s[2:3], s20, v2, 0
	s_mul_i32 s2, s23, s8
	s_mul_hi_u32 s3, s22, s8
	v_add3_u32 v3, v3, v5, v7
	v_lshlrev_b64 v[2:3], 4, v[2:3]
	s_add_i32 s3, s3, s2
	s_mul_i32 s2, s22, s8
	s_lshl_b64 s[2:3], s[2:3], 4
	v_mov_b32_e32 v5, s3
	v_add_co_u32_e64 v2, s[2:3], s2, v2
	v_addc_co_u32_e64 v3, s[2:3], v3, v5, s[2:3]
	v_lshlrev_b32_e32 v5, 4, v28
	v_cmp_gt_i32_e32 vcc, s9, v6
	v_ashrrev_i32_e32 v6, 31, v4
	v_add_co_u32_e64 v5, s[2:3], v2, v5
	v_addc_co_u32_e64 v7, s[2:3], 0, v3, s[2:3]
	v_mul_lo_u32 v10, s26, v6
	v_mul_lo_u32 v11, s27, v4
	v_mad_u64_u32 v[2:3], s[2:3], s26, v4, 0
	v_mov_b32_e32 v9, 0x1000
	v_lshl_add_u32 v33, v1, 7, v9
	v_mov_b32_e32 v9, s19
	v_add_co_u32_e64 v6, s[2:3], s18, v5
	v_addc_co_u32_e64 v7, s[2:3], v9, v7, s[2:3]
	v_add3_u32 v3, v3, v10, v11
	s_mul_i32 s2, s37, s8
	s_mul_hi_u32 s3, s36, s8
	v_lshlrev_b64 v[2:3], 4, v[2:3]
	s_add_i32 s3, s3, s2
	s_mul_i32 s2, s36, s8
	s_lshl_b64 s[2:3], s[2:3], 4
	v_cmp_gt_i32_e64 s[0:1], s9, v4
	v_mov_b32_e32 v4, s3
	v_add_co_u32_e64 v2, s[2:3], s2, v2
	v_addc_co_u32_e64 v3, s[2:3], v3, v4, s[2:3]
	v_add_co_u32_e64 v2, s[2:3], v2, v8
	v_addc_co_u32_e64 v3, s[2:3], 0, v3, s[2:3]
	v_mov_b32_e32 v4, s25
	v_add_co_u32_e64 v8, s[2:3], s24, v2
	v_addc_co_u32_e64 v9, s[2:3], v4, v3, s[2:3]
	v_mov_b32_e32 v26, 0
	v_mov_b32_e32 v10, s12
	;; [unrolled: 1-line block ×9, first 2 shown]
	v_lshlrev_b32_e32 v32, 4, v0
	s_mov_b64 s[2:3], 0
	v_mov_b32_e32 v27, 0
	s_xor_b64 s[4:5], vcc, -1
	s_xor_b64 s[0:1], s[0:1], -1
	v_mov_b32_e32 v11, s13
	v_mov_b32_e32 v25, 0
	;; [unrolled: 1-line block ×9, first 2 shown]
	s_branch .LBB1223_3
.LBB1223_2:                             ;   in Loop: Header=BB1223_3 Depth=1
	s_or_b64 exec, exec, s[6:7]
	s_waitcnt lgkmcnt(0)
	s_barrier
	ds_read_b128 v[34:37], v33
	ds_read_b128 v[38:41], v33 offset:16
	ds_read_b128 v[42:45], v33 offset:32
	;; [unrolled: 1-line block ×3, first 2 shown]
	ds_read_b128 v[50:53], v32
	v_add_co_u32_e32 v6, vcc, 0x80, v6
	v_addc_co_u32_e32 v7, vcc, 0, v7, vcc
	s_waitcnt lgkmcnt(0)
	v_mul_f64 v[3:4], v[36:37], v[52:53]
	v_mul_f64 v[54:55], v[34:35], v[52:53]
	s_add_u32 s2, s2, 8
	v_add_co_u32_e32 v8, vcc, 0x80, v8
	s_addc_u32 s3, s3, 0
	v_addc_co_u32_e32 v9, vcc, 0, v9, vcc
	v_fma_f64 v[3:4], v[34:35], v[50:51], -v[3:4]
	v_fma_f64 v[54:55], v[36:37], v[50:51], v[54:55]
	v_cmp_ge_i64_e32 vcc, s[2:3], v[10:11]
	s_and_b64 vcc, exec, vcc
	v_add_f64 v[3:4], v[20:21], v[3:4]
	v_add_f64 v[54:55], v[54:55], v[22:23]
	ds_read_b128 v[20:23], v32 offset:256
	s_waitcnt lgkmcnt(0)
	v_mul_f64 v[56:57], v[36:37], v[22:23]
	v_fma_f64 v[56:57], v[34:35], v[20:21], -v[56:57]
	v_mul_f64 v[34:35], v[34:35], v[22:23]
	v_fma_f64 v[34:35], v[36:37], v[20:21], v[34:35]
	v_add_f64 v[36:37], v[12:13], v[56:57]
	v_add_f64 v[34:35], v[34:35], v[14:15]
	ds_read_b128 v[12:15], v33 offset:2048
	s_waitcnt lgkmcnt(0)
	v_mul_f64 v[56:57], v[14:15], v[52:53]
	v_mul_f64 v[52:53], v[12:13], v[52:53]
	v_fma_f64 v[56:57], v[12:13], v[50:51], -v[56:57]
	v_fma_f64 v[50:51], v[14:15], v[50:51], v[52:53]
	v_add_f64 v[52:53], v[16:17], v[56:57]
	v_mul_f64 v[16:17], v[14:15], v[22:23]
	v_add_f64 v[50:51], v[50:51], v[18:19]
	v_fma_f64 v[16:17], v[12:13], v[20:21], -v[16:17]
	v_mul_f64 v[12:13], v[12:13], v[22:23]
	v_add_f64 v[24:25], v[24:25], v[16:17]
	v_fma_f64 v[12:13], v[14:15], v[20:21], v[12:13]
	v_add_f64 v[26:27], v[12:13], v[26:27]
	ds_read_b128 v[12:15], v32 offset:512
	s_waitcnt lgkmcnt(0)
	v_mul_f64 v[16:17], v[40:41], v[14:15]
	v_mul_f64 v[18:19], v[38:39], v[14:15]
	v_fma_f64 v[16:17], v[38:39], v[12:13], -v[16:17]
	v_fma_f64 v[18:19], v[40:41], v[12:13], v[18:19]
	v_add_f64 v[3:4], v[3:4], v[16:17]
	v_add_f64 v[54:55], v[18:19], v[54:55]
	ds_read_b128 v[16:19], v32 offset:768
	s_waitcnt lgkmcnt(0)
	v_mul_f64 v[20:21], v[40:41], v[18:19]
	v_mul_f64 v[22:23], v[38:39], v[18:19]
	v_fma_f64 v[20:21], v[38:39], v[16:17], -v[20:21]
	v_fma_f64 v[22:23], v[40:41], v[16:17], v[22:23]
	v_add_f64 v[36:37], v[36:37], v[20:21]
	v_add_f64 v[34:35], v[22:23], v[34:35]
	ds_read_b128 v[20:23], v33 offset:2064
	s_waitcnt lgkmcnt(0)
	v_mul_f64 v[38:39], v[22:23], v[14:15]
	v_mul_f64 v[14:15], v[20:21], v[14:15]
	v_fma_f64 v[38:39], v[20:21], v[12:13], -v[38:39]
	v_fma_f64 v[12:13], v[22:23], v[12:13], v[14:15]
	v_mul_f64 v[14:15], v[20:21], v[18:19]
	v_add_f64 v[38:39], v[52:53], v[38:39]
	v_add_f64 v[40:41], v[12:13], v[50:51]
	v_mul_f64 v[12:13], v[22:23], v[18:19]
	v_fma_f64 v[14:15], v[22:23], v[16:17], v[14:15]
	v_fma_f64 v[12:13], v[20:21], v[16:17], -v[12:13]
	v_add_f64 v[26:27], v[14:15], v[26:27]
	v_add_f64 v[24:25], v[24:25], v[12:13]
	ds_read_b128 v[12:15], v32 offset:1024
	s_waitcnt lgkmcnt(0)
	v_mul_f64 v[16:17], v[44:45], v[14:15]
	v_mul_f64 v[18:19], v[42:43], v[14:15]
	v_fma_f64 v[16:17], v[42:43], v[12:13], -v[16:17]
	v_fma_f64 v[18:19], v[44:45], v[12:13], v[18:19]
	v_add_f64 v[3:4], v[3:4], v[16:17]
	v_add_f64 v[50:51], v[18:19], v[54:55]
	ds_read_b128 v[16:19], v32 offset:1280
	s_waitcnt lgkmcnt(0)
	v_mul_f64 v[20:21], v[44:45], v[18:19]
	v_mul_f64 v[22:23], v[42:43], v[18:19]
	v_fma_f64 v[20:21], v[42:43], v[16:17], -v[20:21]
	v_fma_f64 v[22:23], v[44:45], v[16:17], v[22:23]
	v_add_f64 v[36:37], v[36:37], v[20:21]
	v_add_f64 v[34:35], v[22:23], v[34:35]
	ds_read_b128 v[20:23], v33 offset:2080
	s_waitcnt lgkmcnt(0)
	v_mul_f64 v[42:43], v[22:23], v[14:15]
	v_mul_f64 v[14:15], v[20:21], v[14:15]
	v_fma_f64 v[42:43], v[20:21], v[12:13], -v[42:43]
	v_fma_f64 v[12:13], v[22:23], v[12:13], v[14:15]
	v_mul_f64 v[14:15], v[20:21], v[18:19]
	v_add_f64 v[38:39], v[38:39], v[42:43]
	v_add_f64 v[40:41], v[12:13], v[40:41]
	v_mul_f64 v[12:13], v[22:23], v[18:19]
	v_fma_f64 v[14:15], v[22:23], v[16:17], v[14:15]
	v_fma_f64 v[12:13], v[20:21], v[16:17], -v[12:13]
	v_add_f64 v[26:27], v[14:15], v[26:27]
	;; [unrolled: 30-line block ×3, first 2 shown]
	v_add_f64 v[24:25], v[24:25], v[12:13]
	ds_read_b128 v[12:15], v33 offset:64
	ds_read_b128 v[16:19], v32 offset:2048
	s_waitcnt lgkmcnt(0)
	v_mul_f64 v[20:21], v[14:15], v[18:19]
	v_mul_f64 v[22:23], v[12:13], v[18:19]
	v_fma_f64 v[20:21], v[12:13], v[16:17], -v[20:21]
	v_fma_f64 v[22:23], v[14:15], v[16:17], v[22:23]
	v_add_f64 v[3:4], v[3:4], v[20:21]
	v_add_f64 v[42:43], v[22:23], v[42:43]
	ds_read_b128 v[20:23], v32 offset:2304
	s_waitcnt lgkmcnt(0)
	v_mul_f64 v[44:45], v[14:15], v[22:23]
	v_fma_f64 v[44:45], v[12:13], v[20:21], -v[44:45]
	v_mul_f64 v[12:13], v[12:13], v[22:23]
	v_add_f64 v[36:37], v[36:37], v[44:45]
	v_fma_f64 v[12:13], v[14:15], v[20:21], v[12:13]
	v_add_f64 v[34:35], v[12:13], v[34:35]
	ds_read_b128 v[12:15], v33 offset:2112
	s_waitcnt lgkmcnt(0)
	v_mul_f64 v[44:45], v[14:15], v[18:19]
	v_mul_f64 v[18:19], v[12:13], v[18:19]
	v_fma_f64 v[44:45], v[12:13], v[16:17], -v[44:45]
	v_fma_f64 v[16:17], v[14:15], v[16:17], v[18:19]
	v_add_f64 v[38:39], v[38:39], v[44:45]
	v_add_f64 v[40:41], v[16:17], v[40:41]
	v_mul_f64 v[16:17], v[14:15], v[22:23]
	v_fma_f64 v[16:17], v[12:13], v[20:21], -v[16:17]
	v_mul_f64 v[12:13], v[12:13], v[22:23]
	v_add_f64 v[24:25], v[24:25], v[16:17]
	v_fma_f64 v[12:13], v[14:15], v[20:21], v[12:13]
	v_add_f64 v[26:27], v[12:13], v[26:27]
	ds_read_b128 v[12:15], v33 offset:80
	ds_read_b128 v[16:19], v32 offset:2560
	s_waitcnt lgkmcnt(0)
	v_mul_f64 v[20:21], v[14:15], v[18:19]
	v_mul_f64 v[22:23], v[12:13], v[18:19]
	v_fma_f64 v[20:21], v[12:13], v[16:17], -v[20:21]
	v_fma_f64 v[22:23], v[14:15], v[16:17], v[22:23]
	v_add_f64 v[3:4], v[3:4], v[20:21]
	v_add_f64 v[42:43], v[22:23], v[42:43]
	ds_read_b128 v[20:23], v32 offset:2816
	s_waitcnt lgkmcnt(0)
	v_mul_f64 v[44:45], v[14:15], v[22:23]
	v_fma_f64 v[44:45], v[12:13], v[20:21], -v[44:45]
	v_mul_f64 v[12:13], v[12:13], v[22:23]
	v_add_f64 v[36:37], v[36:37], v[44:45]
	v_fma_f64 v[12:13], v[14:15], v[20:21], v[12:13]
	v_add_f64 v[34:35], v[12:13], v[34:35]
	ds_read_b128 v[12:15], v33 offset:2128
	s_waitcnt lgkmcnt(0)
	v_mul_f64 v[44:45], v[14:15], v[18:19]
	v_mul_f64 v[18:19], v[12:13], v[18:19]
	v_fma_f64 v[44:45], v[12:13], v[16:17], -v[44:45]
	v_fma_f64 v[16:17], v[14:15], v[16:17], v[18:19]
	v_add_f64 v[38:39], v[38:39], v[44:45]
	v_add_f64 v[40:41], v[16:17], v[40:41]
	v_mul_f64 v[16:17], v[14:15], v[22:23]
	v_fma_f64 v[16:17], v[12:13], v[20:21], -v[16:17]
	v_mul_f64 v[12:13], v[12:13], v[22:23]
	v_add_f64 v[24:25], v[24:25], v[16:17]
	v_fma_f64 v[12:13], v[14:15], v[20:21], v[12:13]
	;; [unrolled: 31-line block ×3, first 2 shown]
	v_add_f64 v[46:47], v[12:13], v[26:27]
	ds_read_b128 v[12:15], v33 offset:112
	ds_read_b128 v[16:19], v32 offset:3584
	;; [unrolled: 1-line block ×3, first 2 shown]
	s_waitcnt lgkmcnt(1)
	v_mul_f64 v[20:21], v[14:15], v[18:19]
	v_mul_f64 v[22:23], v[12:13], v[18:19]
	v_fma_f64 v[20:21], v[12:13], v[16:17], -v[20:21]
	v_fma_f64 v[22:23], v[14:15], v[16:17], v[22:23]
	v_add_f64 v[20:21], v[3:4], v[20:21]
	s_waitcnt lgkmcnt(0)
	v_mul_f64 v[3:4], v[14:15], v[26:27]
	v_add_f64 v[22:23], v[22:23], v[42:43]
	v_fma_f64 v[3:4], v[12:13], v[24:25], -v[3:4]
	v_mul_f64 v[12:13], v[12:13], v[26:27]
	v_fma_f64 v[14:15], v[14:15], v[24:25], v[12:13]
	v_add_f64 v[12:13], v[36:37], v[3:4]
	v_add_f64 v[14:15], v[14:15], v[34:35]
	ds_read_b128 v[34:37], v33 offset:2160
	s_waitcnt lgkmcnt(0)
	s_barrier
	v_mul_f64 v[3:4], v[36:37], v[18:19]
	v_mul_f64 v[18:19], v[34:35], v[18:19]
	v_fma_f64 v[3:4], v[34:35], v[16:17], -v[3:4]
	v_fma_f64 v[18:19], v[36:37], v[16:17], v[18:19]
	v_add_f64 v[16:17], v[38:39], v[3:4]
	v_mul_f64 v[3:4], v[36:37], v[26:27]
	v_mul_f64 v[26:27], v[34:35], v[26:27]
	v_add_f64 v[18:19], v[18:19], v[40:41]
	v_fma_f64 v[3:4], v[34:35], v[24:25], -v[3:4]
	v_fma_f64 v[26:27], v[36:37], v[24:25], v[26:27]
	v_add_f64 v[24:25], v[44:45], v[3:4]
	v_add_f64 v[26:27], v[26:27], v[46:47]
	s_cbranch_vccnz .LBB1223_12
.LBB1223_3:                             ; =>This Inner Loop Header: Depth=1
	v_mov_b32_e32 v4, s3
	v_add_co_u32_e32 v3, vcc, s2, v28
	v_addc_co_u32_e32 v4, vcc, 0, v4, vcc
	v_cmp_le_i64_e32 vcc, s[12:13], v[3:4]
	s_or_b64 s[6:7], s[4:5], vcc
	s_and_saveexec_b64 s[18:19], s[6:7]
	s_xor_b64 s[6:7], exec, s[18:19]
; %bb.4:                                ;   in Loop: Header=BB1223_3 Depth=1
	v_mov_b32_e32 v3, v2
	v_mov_b32_e32 v4, v2
	;; [unrolled: 1-line block ×3, first 2 shown]
	ds_write_b128 v30, v[2:5]
; %bb.5:                                ;   in Loop: Header=BB1223_3 Depth=1
	s_andn2_saveexec_b64 s[6:7], s[6:7]
	s_cbranch_execz .LBB1223_7
; %bb.6:                                ;   in Loop: Header=BB1223_3 Depth=1
	global_load_dwordx4 v[34:37], v[6:7], off
	s_waitcnt vmcnt(0)
	ds_write2_b64 v30, v[34:35], v[36:37] offset1:1
.LBB1223_7:                             ;   in Loop: Header=BB1223_3 Depth=1
	s_or_b64 exec, exec, s[6:7]
	v_mov_b32_e32 v4, s3
	v_add_co_u32_e32 v3, vcc, s2, v29
	v_addc_co_u32_e32 v4, vcc, 0, v4, vcc
	v_cmp_le_i64_e32 vcc, s[12:13], v[3:4]
	s_or_b64 s[6:7], vcc, s[0:1]
	s_and_saveexec_b64 s[18:19], s[6:7]
	s_xor_b64 s[6:7], exec, s[18:19]
; %bb.8:                                ;   in Loop: Header=BB1223_3 Depth=1
	v_mov_b32_e32 v3, v2
	v_mov_b32_e32 v4, v2
	;; [unrolled: 1-line block ×3, first 2 shown]
	ds_write_b128 v31, v[2:5]
; %bb.9:                                ;   in Loop: Header=BB1223_3 Depth=1
	s_andn2_saveexec_b64 s[6:7], s[6:7]
	s_cbranch_execz .LBB1223_2
; %bb.10:                               ;   in Loop: Header=BB1223_3 Depth=1
	global_load_dwordx4 v[34:37], v[8:9], off
	s_waitcnt vmcnt(0)
	ds_write2_b64 v31, v[34:35], v[36:37] offset1:1
	s_branch .LBB1223_2
.LBB1223_11:
	v_mov_b32_e32 v20, 0
	v_mov_b32_e32 v22, 0
	;; [unrolled: 1-line block ×16, first 2 shown]
.LBB1223_12:
	v_add_u32_e32 v4, s11, v1
	v_ashrrev_i32_e32 v1, 31, v4
	v_mul_lo_u32 v3, s28, v1
	v_mul_lo_u32 v5, s29, v4
	v_mad_u64_u32 v[1:2], s[2:3], s28, v4, 0
	s_mul_i32 s0, s31, s8
	s_mul_hi_u32 s1, s30, s8
	s_add_i32 s1, s1, s0
	s_mul_i32 s0, s30, s8
	s_lshl_b64 s[0:1], s[0:1], 4
	v_add3_u32 v2, v2, v3, v5
	s_add_u32 s6, s42, s0
	v_lshlrev_b64 v[1:2], 4, v[1:2]
	s_addc_u32 s7, s43, s1
	v_mov_b32_e32 v3, s7
	v_add_co_u32_e32 v5, vcc, s6, v1
	v_add_u32_e32 v0, s10, v0
	v_addc_co_u32_e32 v6, vcc, v3, v2, vcc
	v_cmp_le_i32_e64 s[0:1], v4, v0
	v_cmp_gt_i32_e32 vcc, s9, v0
	s_and_b64 s[0:1], s[0:1], vcc
	s_and_saveexec_b64 s[2:3], s[0:1]
	s_cbranch_execz .LBB1223_14
; %bb.13:
	v_ashrrev_i32_e32 v1, 31, v0
	v_lshlrev_b64 v[1:2], 4, v[0:1]
	v_mul_f64 v[28:29], s[16:17], v[22:23]
	v_add_co_u32_e64 v1, s[0:1], v5, v1
	v_addc_co_u32_e64 v2, s[0:1], v6, v2, s[0:1]
	global_load_dwordx4 v[7:10], v[1:2], off
	v_mul_f64 v[22:23], s[14:15], v[22:23]
	v_fma_f64 v[28:29], s[14:15], v[20:21], -v[28:29]
	v_fma_f64 v[20:21], s[16:17], v[20:21], v[22:23]
	s_waitcnt vmcnt(0)
	v_mul_f64 v[30:31], s[40:41], v[9:10]
	v_mul_f64 v[9:10], s[38:39], v[9:10]
	v_fma_f64 v[22:23], s[38:39], v[7:8], -v[30:31]
	v_fma_f64 v[9:10], s[40:41], v[7:8], v[9:10]
	v_add_f64 v[7:8], v[28:29], v[22:23]
	v_add_f64 v[9:10], v[20:21], v[9:10]
	global_store_dwordx4 v[1:2], v[7:10], off
.LBB1223_14:
	s_or_b64 exec, exec, s[2:3]
	v_add_u32_e32 v2, 16, v0
	v_cmp_le_i32_e64 s[2:3], v4, v2
	v_cmp_gt_i32_e64 s[0:1], s9, v2
	s_and_b64 s[2:3], s[2:3], s[0:1]
	s_and_saveexec_b64 s[4:5], s[2:3]
	s_cbranch_execz .LBB1223_16
; %bb.15:
	v_ashrrev_i32_e32 v3, 31, v2
	v_lshlrev_b64 v[7:8], 4, v[2:3]
	v_mul_f64 v[20:21], s[16:17], v[14:15]
	v_add_co_u32_e64 v9, s[2:3], v5, v7
	v_addc_co_u32_e64 v10, s[2:3], v6, v8, s[2:3]
	global_load_dwordx4 v[5:8], v[9:10], off
	v_mul_f64 v[14:15], s[14:15], v[14:15]
	v_fma_f64 v[20:21], s[14:15], v[12:13], -v[20:21]
	v_fma_f64 v[11:12], s[16:17], v[12:13], v[14:15]
	s_waitcnt vmcnt(0)
	v_mul_f64 v[22:23], s[40:41], v[7:8]
	v_mul_f64 v[7:8], s[38:39], v[7:8]
	v_fma_f64 v[13:14], s[38:39], v[5:6], -v[22:23]
	v_fma_f64 v[7:8], s[40:41], v[5:6], v[7:8]
	v_add_f64 v[5:6], v[20:21], v[13:14]
	v_add_f64 v[7:8], v[11:12], v[7:8]
	global_store_dwordx4 v[9:10], v[5:8], off
.LBB1223_16:
	s_or_b64 exec, exec, s[4:5]
	v_add_u32_e32 v3, 16, v4
	v_ashrrev_i32_e32 v1, 31, v3
	v_mul_lo_u32 v6, s29, v3
	v_mad_u64_u32 v[4:5], s[2:3], s28, v3, 0
	v_mul_lo_u32 v1, s28, v1
	v_add3_u32 v5, v5, v1, v6
	v_lshlrev_b64 v[4:5], 4, v[4:5]
	v_mov_b32_e32 v1, s7
	v_add_co_u32_e64 v4, s[2:3], s6, v4
	v_addc_co_u32_e64 v5, s[2:3], v1, v5, s[2:3]
	v_cmp_le_i32_e64 s[2:3], v3, v0
	s_and_b64 s[4:5], s[2:3], vcc
	s_and_saveexec_b64 s[2:3], s[4:5]
	s_cbranch_execz .LBB1223_18
; %bb.17:
	v_ashrrev_i32_e32 v1, 31, v0
	v_lshlrev_b64 v[0:1], 4, v[0:1]
	v_mul_f64 v[10:11], s[16:17], v[18:19]
	v_add_co_u32_e32 v0, vcc, v4, v0
	v_addc_co_u32_e32 v1, vcc, v5, v1, vcc
	global_load_dwordx4 v[6:9], v[0:1], off
	v_mul_f64 v[12:13], s[14:15], v[18:19]
	v_fma_f64 v[10:11], s[14:15], v[16:17], -v[10:11]
	v_fma_f64 v[12:13], s[16:17], v[16:17], v[12:13]
	s_waitcnt vmcnt(0)
	v_mul_f64 v[14:15], s[40:41], v[8:9]
	v_mul_f64 v[8:9], s[38:39], v[8:9]
	v_fma_f64 v[14:15], s[38:39], v[6:7], -v[14:15]
	v_fma_f64 v[8:9], s[40:41], v[6:7], v[8:9]
	v_add_f64 v[6:7], v[10:11], v[14:15]
	v_add_f64 v[8:9], v[12:13], v[8:9]
	global_store_dwordx4 v[0:1], v[6:9], off
.LBB1223_18:
	s_or_b64 exec, exec, s[2:3]
	v_cmp_le_i32_e32 vcc, v3, v2
	s_and_b64 s[0:1], vcc, s[0:1]
	s_and_saveexec_b64 s[2:3], s[0:1]
	s_cbranch_execz .LBB1223_20
; %bb.19:
	v_ashrrev_i32_e32 v3, 31, v2
	v_lshlrev_b64 v[0:1], 4, v[2:3]
	v_mul_f64 v[6:7], s[16:17], v[26:27]
	v_add_co_u32_e32 v4, vcc, v4, v0
	v_addc_co_u32_e32 v5, vcc, v5, v1, vcc
	global_load_dwordx4 v[0:3], v[4:5], off
	v_mul_f64 v[8:9], s[14:15], v[26:27]
	v_fma_f64 v[6:7], s[14:15], v[24:25], -v[6:7]
	v_fma_f64 v[8:9], s[16:17], v[24:25], v[8:9]
	s_waitcnt vmcnt(0)
	v_mul_f64 v[10:11], s[40:41], v[2:3]
	v_mul_f64 v[2:3], s[38:39], v[2:3]
	v_fma_f64 v[10:11], s[38:39], v[0:1], -v[10:11]
	v_fma_f64 v[2:3], s[40:41], v[0:1], v[2:3]
	v_add_f64 v[0:1], v[6:7], v[10:11]
	v_add_f64 v[2:3], v[8:9], v[2:3]
	global_store_dwordx4 v[4:5], v[0:3], off
.LBB1223_20:
	s_endpgm
	.section	.rodata,"a",@progbits
	.p2align	6, 0x0
	.amdhsa_kernel _ZL34rocblas_syrkx_herkx_general_kernelIl19rocblas_complex_numIdELi16ELi32ELi8ELb0ELb0ELc84ELc76EKS1_S1_EviT_T0_PT8_S3_lS6_S3_lS4_PT9_S3_li
		.amdhsa_group_segment_fixed_size 8192
		.amdhsa_private_segment_fixed_size 0
		.amdhsa_kernarg_size 124
		.amdhsa_user_sgpr_count 6
		.amdhsa_user_sgpr_private_segment_buffer 1
		.amdhsa_user_sgpr_dispatch_ptr 0
		.amdhsa_user_sgpr_queue_ptr 0
		.amdhsa_user_sgpr_kernarg_segment_ptr 1
		.amdhsa_user_sgpr_dispatch_id 0
		.amdhsa_user_sgpr_flat_scratch_init 0
		.amdhsa_user_sgpr_private_segment_size 0
		.amdhsa_uses_dynamic_stack 0
		.amdhsa_system_sgpr_private_segment_wavefront_offset 0
		.amdhsa_system_sgpr_workgroup_id_x 1
		.amdhsa_system_sgpr_workgroup_id_y 1
		.amdhsa_system_sgpr_workgroup_id_z 1
		.amdhsa_system_sgpr_workgroup_info 0
		.amdhsa_system_vgpr_workitem_id 1
		.amdhsa_next_free_vgpr 58
		.amdhsa_next_free_sgpr 61
		.amdhsa_reserve_vcc 1
		.amdhsa_reserve_flat_scratch 0
		.amdhsa_float_round_mode_32 0
		.amdhsa_float_round_mode_16_64 0
		.amdhsa_float_denorm_mode_32 3
		.amdhsa_float_denorm_mode_16_64 3
		.amdhsa_dx10_clamp 1
		.amdhsa_ieee_mode 1
		.amdhsa_fp16_overflow 0
		.amdhsa_exception_fp_ieee_invalid_op 0
		.amdhsa_exception_fp_denorm_src 0
		.amdhsa_exception_fp_ieee_div_zero 0
		.amdhsa_exception_fp_ieee_overflow 0
		.amdhsa_exception_fp_ieee_underflow 0
		.amdhsa_exception_fp_ieee_inexact 0
		.amdhsa_exception_int_div_zero 0
	.end_amdhsa_kernel
	.section	.text._ZL34rocblas_syrkx_herkx_general_kernelIl19rocblas_complex_numIdELi16ELi32ELi8ELb0ELb0ELc84ELc76EKS1_S1_EviT_T0_PT8_S3_lS6_S3_lS4_PT9_S3_li,"axG",@progbits,_ZL34rocblas_syrkx_herkx_general_kernelIl19rocblas_complex_numIdELi16ELi32ELi8ELb0ELb0ELc84ELc76EKS1_S1_EviT_T0_PT8_S3_lS6_S3_lS4_PT9_S3_li,comdat
.Lfunc_end1223:
	.size	_ZL34rocblas_syrkx_herkx_general_kernelIl19rocblas_complex_numIdELi16ELi32ELi8ELb0ELb0ELc84ELc76EKS1_S1_EviT_T0_PT8_S3_lS6_S3_lS4_PT9_S3_li, .Lfunc_end1223-_ZL34rocblas_syrkx_herkx_general_kernelIl19rocblas_complex_numIdELi16ELi32ELi8ELb0ELb0ELc84ELc76EKS1_S1_EviT_T0_PT8_S3_lS6_S3_lS4_PT9_S3_li
                                        ; -- End function
	.set _ZL34rocblas_syrkx_herkx_general_kernelIl19rocblas_complex_numIdELi16ELi32ELi8ELb0ELb0ELc84ELc76EKS1_S1_EviT_T0_PT8_S3_lS6_S3_lS4_PT9_S3_li.num_vgpr, 58
	.set _ZL34rocblas_syrkx_herkx_general_kernelIl19rocblas_complex_numIdELi16ELi32ELi8ELb0ELb0ELc84ELc76EKS1_S1_EviT_T0_PT8_S3_lS6_S3_lS4_PT9_S3_li.num_agpr, 0
	.set _ZL34rocblas_syrkx_herkx_general_kernelIl19rocblas_complex_numIdELi16ELi32ELi8ELb0ELb0ELc84ELc76EKS1_S1_EviT_T0_PT8_S3_lS6_S3_lS4_PT9_S3_li.numbered_sgpr, 44
	.set _ZL34rocblas_syrkx_herkx_general_kernelIl19rocblas_complex_numIdELi16ELi32ELi8ELb0ELb0ELc84ELc76EKS1_S1_EviT_T0_PT8_S3_lS6_S3_lS4_PT9_S3_li.num_named_barrier, 0
	.set _ZL34rocblas_syrkx_herkx_general_kernelIl19rocblas_complex_numIdELi16ELi32ELi8ELb0ELb0ELc84ELc76EKS1_S1_EviT_T0_PT8_S3_lS6_S3_lS4_PT9_S3_li.private_seg_size, 0
	.set _ZL34rocblas_syrkx_herkx_general_kernelIl19rocblas_complex_numIdELi16ELi32ELi8ELb0ELb0ELc84ELc76EKS1_S1_EviT_T0_PT8_S3_lS6_S3_lS4_PT9_S3_li.uses_vcc, 1
	.set _ZL34rocblas_syrkx_herkx_general_kernelIl19rocblas_complex_numIdELi16ELi32ELi8ELb0ELb0ELc84ELc76EKS1_S1_EviT_T0_PT8_S3_lS6_S3_lS4_PT9_S3_li.uses_flat_scratch, 0
	.set _ZL34rocblas_syrkx_herkx_general_kernelIl19rocblas_complex_numIdELi16ELi32ELi8ELb0ELb0ELc84ELc76EKS1_S1_EviT_T0_PT8_S3_lS6_S3_lS4_PT9_S3_li.has_dyn_sized_stack, 0
	.set _ZL34rocblas_syrkx_herkx_general_kernelIl19rocblas_complex_numIdELi16ELi32ELi8ELb0ELb0ELc84ELc76EKS1_S1_EviT_T0_PT8_S3_lS6_S3_lS4_PT9_S3_li.has_recursion, 0
	.set _ZL34rocblas_syrkx_herkx_general_kernelIl19rocblas_complex_numIdELi16ELi32ELi8ELb0ELb0ELc84ELc76EKS1_S1_EviT_T0_PT8_S3_lS6_S3_lS4_PT9_S3_li.has_indirect_call, 0
	.section	.AMDGPU.csdata,"",@progbits
; Kernel info:
; codeLenInByte = 3432
; TotalNumSgprs: 48
; NumVgprs: 58
; ScratchSize: 0
; MemoryBound: 0
; FloatMode: 240
; IeeeMode: 1
; LDSByteSize: 8192 bytes/workgroup (compile time only)
; SGPRBlocks: 8
; VGPRBlocks: 14
; NumSGPRsForWavesPerEU: 65
; NumVGPRsForWavesPerEU: 58
; Occupancy: 4
; WaveLimiterHint : 0
; COMPUTE_PGM_RSRC2:SCRATCH_EN: 0
; COMPUTE_PGM_RSRC2:USER_SGPR: 6
; COMPUTE_PGM_RSRC2:TRAP_HANDLER: 0
; COMPUTE_PGM_RSRC2:TGID_X_EN: 1
; COMPUTE_PGM_RSRC2:TGID_Y_EN: 1
; COMPUTE_PGM_RSRC2:TGID_Z_EN: 1
; COMPUTE_PGM_RSRC2:TIDIG_COMP_CNT: 1
	.section	.text._ZL34rocblas_syrkx_herkx_general_kernelIl19rocblas_complex_numIdELi16ELi32ELi8ELb0ELb0ELc67ELc76EKS1_S1_EviT_T0_PT8_S3_lS6_S3_lS4_PT9_S3_li,"axG",@progbits,_ZL34rocblas_syrkx_herkx_general_kernelIl19rocblas_complex_numIdELi16ELi32ELi8ELb0ELb0ELc67ELc76EKS1_S1_EviT_T0_PT8_S3_lS6_S3_lS4_PT9_S3_li,comdat
	.globl	_ZL34rocblas_syrkx_herkx_general_kernelIl19rocblas_complex_numIdELi16ELi32ELi8ELb0ELb0ELc67ELc76EKS1_S1_EviT_T0_PT8_S3_lS6_S3_lS4_PT9_S3_li ; -- Begin function _ZL34rocblas_syrkx_herkx_general_kernelIl19rocblas_complex_numIdELi16ELi32ELi8ELb0ELb0ELc67ELc76EKS1_S1_EviT_T0_PT8_S3_lS6_S3_lS4_PT9_S3_li
	.p2align	8
	.type	_ZL34rocblas_syrkx_herkx_general_kernelIl19rocblas_complex_numIdELi16ELi32ELi8ELb0ELb0ELc67ELc76EKS1_S1_EviT_T0_PT8_S3_lS6_S3_lS4_PT9_S3_li,@function
_ZL34rocblas_syrkx_herkx_general_kernelIl19rocblas_complex_numIdELi16ELi32ELi8ELb0ELb0ELc67ELc76EKS1_S1_EviT_T0_PT8_S3_lS6_S3_lS4_PT9_S3_li: ; @_ZL34rocblas_syrkx_herkx_general_kernelIl19rocblas_complex_numIdELi16ELi32ELi8ELb0ELb0ELc67ELc76EKS1_S1_EviT_T0_PT8_S3_lS6_S3_lS4_PT9_S3_li
; %bb.0:
	s_load_dwordx16 s[12:27], s[4:5], 0x8
	s_load_dword s9, s[4:5], 0x0
	s_load_dwordx4 s[28:31], s[4:5], 0x68
	s_load_dwordx8 s[36:43], s[4:5], 0x48
	s_lshl_b32 s10, s6, 5
	s_waitcnt lgkmcnt(0)
	v_cmp_lt_i64_e64 s[0:1], s[12:13], 1
	s_lshl_b32 s11, s7, 5
	s_and_b64 vcc, exec, s[0:1]
	s_cbranch_vccnz .LBB1224_9
; %bb.1:
	v_lshl_add_u32 v2, v1, 4, v0
	v_and_b32_e32 v5, 31, v2
	v_or_b32_e32 v6, s10, v5
	v_and_b32_e32 v30, 7, v0
	v_lshrrev_b32_e32 v3, 3, v2
	v_lshrrev_b32_e32 v29, 5, v2
	v_cmp_gt_i32_e64 s[0:1], s9, v6
	v_lshlrev_b32_e32 v2, 4, v5
	v_lshlrev_b32_e32 v6, 4, v30
	v_lshl_or_b32 v31, v29, 9, v2
	v_lshl_or_b32 v2, v3, 7, v6
	v_add_u32_e32 v32, 0x1000, v2
	v_add_u32_e32 v2, s10, v5
	;; [unrolled: 1-line block ×3, first 2 shown]
	v_ashrrev_i32_e32 v3, 31, v2
	v_mul_lo_u32 v5, s20, v3
	v_mul_lo_u32 v8, s21, v2
	v_mad_u64_u32 v[2:3], s[2:3], s20, v2, 0
	s_mul_i32 s2, s23, s8
	s_mul_hi_u32 s3, s22, s8
	v_add3_u32 v3, v3, v5, v8
	v_lshlrev_b64 v[2:3], 4, v[2:3]
	s_add_i32 s3, s3, s2
	s_mul_i32 s2, s22, s8
	s_lshl_b64 s[2:3], s[2:3], 4
	v_mov_b32_e32 v5, s3
	v_add_co_u32_e64 v2, s[2:3], s2, v2
	v_addc_co_u32_e64 v3, s[2:3], v3, v5, s[2:3]
	v_lshlrev_b32_e32 v5, 4, v29
	v_add_co_u32_e64 v2, s[2:3], v2, v5
	v_addc_co_u32_e64 v3, s[2:3], 0, v3, s[2:3]
	v_ashrrev_i32_e32 v7, 31, v4
	v_mov_b32_e32 v9, 0x1000
	v_mov_b32_e32 v5, s19
	v_add_co_u32_e64 v8, s[2:3], s18, v2
	v_lshl_add_u32 v34, v1, 7, v9
	v_addc_co_u32_e64 v5, s[2:3], v5, v3, s[2:3]
	v_mul_lo_u32 v9, s26, v7
	v_mul_lo_u32 v10, s27, v4
	v_mad_u64_u32 v[2:3], s[2:3], s26, v4, 0
	v_add_co_u32_e64 v7, s[2:3], 8, v8
	v_addc_co_u32_e64 v8, s[2:3], 0, v5, s[2:3]
	v_add3_u32 v3, v3, v9, v10
	s_mul_i32 s2, s37, s8
	s_mul_hi_u32 s3, s36, s8
	v_lshlrev_b64 v[2:3], 4, v[2:3]
	s_add_i32 s3, s3, s2
	s_mul_i32 s2, s36, s8
	s_lshl_b64 s[2:3], s[2:3], 4
	v_cmp_gt_i32_e32 vcc, s9, v4
	v_mov_b32_e32 v4, s3
	v_add_co_u32_e64 v2, s[2:3], s2, v2
	v_addc_co_u32_e64 v3, s[2:3], v3, v4, s[2:3]
	v_add_co_u32_e64 v2, s[2:3], v2, v6
	v_addc_co_u32_e64 v3, s[2:3], 0, v3, s[2:3]
	v_mov_b32_e32 v4, s25
	v_add_co_u32_e64 v9, s[2:3], s24, v2
	v_addc_co_u32_e64 v10, s[2:3], v4, v3, s[2:3]
	v_mov_b32_e32 v27, 0
	v_mov_b32_e32 v11, s12
	v_mov_b32_e32 v25, 0
	v_mov_b32_e32 v19, 0
	v_mov_b32_e32 v17, 0
	v_mov_b32_e32 v15, 0
	v_mov_b32_e32 v13, 0
	v_mov_b32_e32 v23, 0
	v_mov_b32_e32 v21, 0
	v_lshlrev_b32_e32 v33, 4, v0
	s_mov_b64 s[2:3], 0
	v_mov_b32_e32 v28, 0
	s_xor_b64 s[4:5], vcc, -1
	v_mov_b32_e32 v12, s13
	v_mov_b32_e32 v26, 0
	;; [unrolled: 1-line block ×9, first 2 shown]
	s_branch .LBB1224_3
.LBB1224_2:                             ;   in Loop: Header=BB1224_3 Depth=1
	s_or_b64 exec, exec, s[6:7]
	s_waitcnt lgkmcnt(0)
	s_barrier
	ds_read_b128 v[3:6], v34
	ds_read_b128 v[35:38], v34 offset:16
	ds_read_b128 v[39:42], v34 offset:32
	;; [unrolled: 1-line block ×3, first 2 shown]
	ds_read_b128 v[47:50], v33
	v_add_co_u32_e32 v7, vcc, 0x80, v7
	v_addc_co_u32_e32 v8, vcc, 0, v8, vcc
	s_waitcnt lgkmcnt(0)
	v_mul_f64 v[51:52], v[5:6], v[49:50]
	v_mul_f64 v[53:54], v[3:4], v[49:50]
	s_add_u32 s2, s2, 8
	v_add_co_u32_e32 v9, vcc, 0x80, v9
	s_addc_u32 s3, s3, 0
	v_addc_co_u32_e32 v10, vcc, 0, v10, vcc
	v_fma_f64 v[51:52], v[3:4], v[47:48], -v[51:52]
	v_fma_f64 v[53:54], v[5:6], v[47:48], v[53:54]
	v_cmp_ge_i64_e32 vcc, s[2:3], v[11:12]
	s_and_b64 vcc, exec, vcc
	v_add_f64 v[51:52], v[21:22], v[51:52]
	v_add_f64 v[53:54], v[53:54], v[23:24]
	ds_read_b128 v[21:24], v33 offset:256
	s_waitcnt lgkmcnt(0)
	v_mul_f64 v[55:56], v[5:6], v[23:24]
	v_fma_f64 v[55:56], v[3:4], v[21:22], -v[55:56]
	v_mul_f64 v[3:4], v[3:4], v[23:24]
	v_add_f64 v[55:56], v[13:14], v[55:56]
	v_fma_f64 v[3:4], v[5:6], v[21:22], v[3:4]
	v_add_f64 v[57:58], v[3:4], v[15:16]
	ds_read_b128 v[3:6], v34 offset:2048
	s_waitcnt lgkmcnt(0)
	v_mul_f64 v[13:14], v[5:6], v[49:50]
	v_mul_f64 v[15:16], v[3:4], v[49:50]
	v_fma_f64 v[13:14], v[3:4], v[47:48], -v[13:14]
	v_fma_f64 v[15:16], v[5:6], v[47:48], v[15:16]
	v_add_f64 v[47:48], v[17:18], v[13:14]
	v_mul_f64 v[13:14], v[5:6], v[23:24]
	v_add_f64 v[49:50], v[15:16], v[19:20]
	v_fma_f64 v[13:14], v[3:4], v[21:22], -v[13:14]
	v_mul_f64 v[3:4], v[3:4], v[23:24]
	v_fma_f64 v[3:4], v[5:6], v[21:22], v[3:4]
	v_add_f64 v[21:22], v[25:26], v[13:14]
	v_add_f64 v[23:24], v[3:4], v[27:28]
	ds_read_b128 v[3:6], v33 offset:512
	s_waitcnt lgkmcnt(0)
	v_mul_f64 v[13:14], v[37:38], v[5:6]
	v_mul_f64 v[15:16], v[35:36], v[5:6]
	v_fma_f64 v[13:14], v[35:36], v[3:4], -v[13:14]
	v_fma_f64 v[15:16], v[37:38], v[3:4], v[15:16]
	v_add_f64 v[25:26], v[51:52], v[13:14]
	v_add_f64 v[27:28], v[15:16], v[53:54]
	ds_read_b128 v[13:16], v33 offset:768
	s_waitcnt lgkmcnt(0)
	v_mul_f64 v[17:18], v[37:38], v[15:16]
	v_mul_f64 v[19:20], v[35:36], v[15:16]
	v_fma_f64 v[17:18], v[35:36], v[13:14], -v[17:18]
	;; [unrolled: 8-line block ×3, first 2 shown]
	v_fma_f64 v[3:4], v[19:20], v[3:4], v[5:6]
	v_mul_f64 v[5:6], v[17:18], v[15:16]
	v_add_f64 v[47:48], v[47:48], v[51:52]
	v_add_f64 v[49:50], v[3:4], v[49:50]
	v_mul_f64 v[3:4], v[19:20], v[15:16]
	v_fma_f64 v[5:6], v[19:20], v[13:14], v[5:6]
	v_fma_f64 v[3:4], v[17:18], v[13:14], -v[3:4]
	v_add_f64 v[23:24], v[5:6], v[23:24]
	v_add_f64 v[21:22], v[21:22], v[3:4]
	ds_read_b128 v[3:6], v33 offset:1024
	s_waitcnt lgkmcnt(0)
	v_mul_f64 v[13:14], v[41:42], v[5:6]
	v_mul_f64 v[15:16], v[39:40], v[5:6]
	v_fma_f64 v[13:14], v[39:40], v[3:4], -v[13:14]
	v_fma_f64 v[15:16], v[41:42], v[3:4], v[15:16]
	v_add_f64 v[25:26], v[25:26], v[13:14]
	v_add_f64 v[27:28], v[15:16], v[27:28]
	ds_read_b128 v[13:16], v33 offset:1280
	s_waitcnt lgkmcnt(0)
	v_mul_f64 v[17:18], v[41:42], v[15:16]
	v_mul_f64 v[19:20], v[39:40], v[15:16]
	v_fma_f64 v[17:18], v[39:40], v[13:14], -v[17:18]
	v_fma_f64 v[19:20], v[41:42], v[13:14], v[19:20]
	;; [unrolled: 8-line block ×3, first 2 shown]
	v_mul_f64 v[5:6], v[17:18], v[15:16]
	v_add_f64 v[39:40], v[47:48], v[39:40]
	v_add_f64 v[41:42], v[3:4], v[49:50]
	v_mul_f64 v[3:4], v[19:20], v[15:16]
	v_fma_f64 v[5:6], v[19:20], v[13:14], v[5:6]
	v_fma_f64 v[3:4], v[17:18], v[13:14], -v[3:4]
	v_add_f64 v[23:24], v[5:6], v[23:24]
	v_add_f64 v[21:22], v[21:22], v[3:4]
	ds_read_b128 v[3:6], v33 offset:1536
	s_waitcnt lgkmcnt(0)
	v_mul_f64 v[13:14], v[45:46], v[5:6]
	v_mul_f64 v[15:16], v[43:44], v[5:6]
	v_fma_f64 v[13:14], v[43:44], v[3:4], -v[13:14]
	v_fma_f64 v[15:16], v[45:46], v[3:4], v[15:16]
	v_add_f64 v[25:26], v[25:26], v[13:14]
	v_add_f64 v[27:28], v[15:16], v[27:28]
	ds_read_b128 v[13:16], v33 offset:1792
	s_waitcnt lgkmcnt(0)
	v_mul_f64 v[17:18], v[45:46], v[15:16]
	v_mul_f64 v[19:20], v[43:44], v[15:16]
	v_fma_f64 v[17:18], v[43:44], v[13:14], -v[17:18]
	v_fma_f64 v[19:20], v[45:46], v[13:14], v[19:20]
	;; [unrolled: 8-line block ×3, first 2 shown]
	v_mul_f64 v[5:6], v[17:18], v[15:16]
	v_add_f64 v[39:40], v[39:40], v[43:44]
	v_add_f64 v[41:42], v[3:4], v[41:42]
	v_mul_f64 v[3:4], v[19:20], v[15:16]
	v_fma_f64 v[5:6], v[19:20], v[13:14], v[5:6]
	v_fma_f64 v[3:4], v[17:18], v[13:14], -v[3:4]
	v_add_f64 v[23:24], v[5:6], v[23:24]
	v_add_f64 v[21:22], v[21:22], v[3:4]
	ds_read_b128 v[3:6], v34 offset:64
	ds_read_b128 v[13:16], v33 offset:2048
	s_waitcnt lgkmcnt(0)
	v_mul_f64 v[17:18], v[5:6], v[15:16]
	v_mul_f64 v[19:20], v[3:4], v[15:16]
	v_fma_f64 v[17:18], v[3:4], v[13:14], -v[17:18]
	v_fma_f64 v[19:20], v[5:6], v[13:14], v[19:20]
	v_add_f64 v[25:26], v[25:26], v[17:18]
	v_add_f64 v[27:28], v[19:20], v[27:28]
	ds_read_b128 v[17:20], v33 offset:2304
	s_waitcnt lgkmcnt(0)
	v_mul_f64 v[43:44], v[5:6], v[19:20]
	v_fma_f64 v[43:44], v[3:4], v[17:18], -v[43:44]
	v_mul_f64 v[3:4], v[3:4], v[19:20]
	v_add_f64 v[35:36], v[35:36], v[43:44]
	v_fma_f64 v[3:4], v[5:6], v[17:18], v[3:4]
	v_add_f64 v[37:38], v[3:4], v[37:38]
	ds_read_b128 v[3:6], v34 offset:2112
	s_waitcnt lgkmcnt(0)
	v_mul_f64 v[43:44], v[5:6], v[15:16]
	v_mul_f64 v[15:16], v[3:4], v[15:16]
	v_fma_f64 v[43:44], v[3:4], v[13:14], -v[43:44]
	v_fma_f64 v[13:14], v[5:6], v[13:14], v[15:16]
	v_add_f64 v[39:40], v[39:40], v[43:44]
	v_add_f64 v[41:42], v[13:14], v[41:42]
	v_mul_f64 v[13:14], v[5:6], v[19:20]
	v_fma_f64 v[13:14], v[3:4], v[17:18], -v[13:14]
	v_mul_f64 v[3:4], v[3:4], v[19:20]
	v_add_f64 v[21:22], v[21:22], v[13:14]
	v_fma_f64 v[3:4], v[5:6], v[17:18], v[3:4]
	v_add_f64 v[23:24], v[3:4], v[23:24]
	ds_read_b128 v[3:6], v34 offset:80
	ds_read_b128 v[13:16], v33 offset:2560
	s_waitcnt lgkmcnt(0)
	v_mul_f64 v[17:18], v[5:6], v[15:16]
	v_mul_f64 v[19:20], v[3:4], v[15:16]
	v_fma_f64 v[17:18], v[3:4], v[13:14], -v[17:18]
	v_fma_f64 v[19:20], v[5:6], v[13:14], v[19:20]
	v_add_f64 v[25:26], v[25:26], v[17:18]
	v_add_f64 v[27:28], v[19:20], v[27:28]
	ds_read_b128 v[17:20], v33 offset:2816
	s_waitcnt lgkmcnt(0)
	v_mul_f64 v[43:44], v[5:6], v[19:20]
	v_fma_f64 v[43:44], v[3:4], v[17:18], -v[43:44]
	v_mul_f64 v[3:4], v[3:4], v[19:20]
	v_add_f64 v[35:36], v[35:36], v[43:44]
	v_fma_f64 v[3:4], v[5:6], v[17:18], v[3:4]
	v_add_f64 v[37:38], v[3:4], v[37:38]
	ds_read_b128 v[3:6], v34 offset:2128
	s_waitcnt lgkmcnt(0)
	v_mul_f64 v[43:44], v[5:6], v[15:16]
	v_mul_f64 v[15:16], v[3:4], v[15:16]
	v_fma_f64 v[43:44], v[3:4], v[13:14], -v[43:44]
	v_fma_f64 v[13:14], v[5:6], v[13:14], v[15:16]
	v_add_f64 v[39:40], v[39:40], v[43:44]
	v_add_f64 v[41:42], v[13:14], v[41:42]
	v_mul_f64 v[13:14], v[5:6], v[19:20]
	v_fma_f64 v[13:14], v[3:4], v[17:18], -v[13:14]
	v_mul_f64 v[3:4], v[3:4], v[19:20]
	v_add_f64 v[21:22], v[21:22], v[13:14]
	v_fma_f64 v[3:4], v[5:6], v[17:18], v[3:4]
	;; [unrolled: 31-line block ×3, first 2 shown]
	v_add_f64 v[45:46], v[3:4], v[23:24]
	ds_read_b128 v[3:6], v34 offset:112
	ds_read_b128 v[17:20], v33 offset:3584
	s_waitcnt lgkmcnt(0)
	v_mul_f64 v[13:14], v[5:6], v[19:20]
	v_mul_f64 v[15:16], v[3:4], v[19:20]
	v_fma_f64 v[13:14], v[3:4], v[17:18], -v[13:14]
	v_fma_f64 v[15:16], v[5:6], v[17:18], v[15:16]
	v_add_f64 v[21:22], v[25:26], v[13:14]
	v_add_f64 v[23:24], v[15:16], v[27:28]
	ds_read_b128 v[25:28], v33 offset:3840
	s_waitcnt lgkmcnt(0)
	v_mul_f64 v[13:14], v[5:6], v[27:28]
	v_fma_f64 v[13:14], v[3:4], v[25:26], -v[13:14]
	v_mul_f64 v[3:4], v[3:4], v[27:28]
	v_add_f64 v[13:14], v[35:36], v[13:14]
	v_fma_f64 v[3:4], v[5:6], v[25:26], v[3:4]
	v_add_f64 v[15:16], v[3:4], v[37:38]
	ds_read_b128 v[3:6], v34 offset:2160
	s_waitcnt lgkmcnt(0)
	s_barrier
	v_mul_f64 v[35:36], v[5:6], v[19:20]
	v_mul_f64 v[19:20], v[3:4], v[19:20]
	v_fma_f64 v[35:36], v[3:4], v[17:18], -v[35:36]
	v_fma_f64 v[19:20], v[5:6], v[17:18], v[19:20]
	v_add_f64 v[17:18], v[39:40], v[35:36]
	v_mul_f64 v[35:36], v[5:6], v[27:28]
	v_add_f64 v[19:20], v[19:20], v[41:42]
	v_fma_f64 v[35:36], v[3:4], v[25:26], -v[35:36]
	v_mul_f64 v[3:4], v[3:4], v[27:28]
	v_fma_f64 v[3:4], v[5:6], v[25:26], v[3:4]
	v_add_f64 v[25:26], v[43:44], v[35:36]
	v_add_f64 v[27:28], v[3:4], v[45:46]
	s_cbranch_vccnz .LBB1224_10
.LBB1224_3:                             ; =>This Inner Loop Header: Depth=1
	v_mov_b32_e32 v4, s3
	v_add_co_u32_e32 v3, vcc, s2, v29
	v_addc_co_u32_e32 v4, vcc, 0, v4, vcc
	v_cmp_gt_i64_e32 vcc, s[12:13], v[3:4]
	v_mov_b32_e32 v3, 0
	v_mov_b32_e32 v5, 0
	;; [unrolled: 1-line block ×4, first 2 shown]
	s_and_b64 s[18:19], s[0:1], vcc
	s_and_saveexec_b64 s[6:7], s[18:19]
	s_cbranch_execz .LBB1224_5
; %bb.4:                                ;   in Loop: Header=BB1224_3 Depth=1
	global_load_dwordx4 v[3:6], v[7:8], off offset:-8
.LBB1224_5:                             ;   in Loop: Header=BB1224_3 Depth=1
	s_or_b64 exec, exec, s[6:7]
	v_mov_b32_e32 v36, s3
	v_add_co_u32_e32 v35, vcc, s2, v30
	v_addc_co_u32_e32 v36, vcc, 0, v36, vcc
	v_cmp_le_i64_e32 vcc, s[12:13], v[35:36]
	s_waitcnt vmcnt(0)
	ds_write_b128 v31, v[3:6]
	s_or_b64 s[6:7], vcc, s[4:5]
	s_and_saveexec_b64 s[18:19], s[6:7]
	s_xor_b64 s[6:7], exec, s[18:19]
; %bb.6:                                ;   in Loop: Header=BB1224_3 Depth=1
	v_mov_b32_e32 v3, v2
	v_mov_b32_e32 v4, v2
	v_mov_b32_e32 v5, v2
	ds_write_b128 v32, v[2:5]
; %bb.7:                                ;   in Loop: Header=BB1224_3 Depth=1
	s_andn2_saveexec_b64 s[6:7], s[6:7]
	s_cbranch_execz .LBB1224_2
; %bb.8:                                ;   in Loop: Header=BB1224_3 Depth=1
	global_load_dwordx4 v[3:6], v[9:10], off
	s_waitcnt vmcnt(0)
	ds_write2_b64 v32, v[3:4], v[5:6] offset1:1
	s_branch .LBB1224_2
.LBB1224_9:
	v_mov_b32_e32 v21, 0
	v_mov_b32_e32 v23, 0
	;; [unrolled: 1-line block ×16, first 2 shown]
.LBB1224_10:
	v_add_u32_e32 v4, s11, v1
	v_ashrrev_i32_e32 v1, 31, v4
	v_mul_lo_u32 v3, s28, v1
	v_mul_lo_u32 v5, s29, v4
	v_mad_u64_u32 v[1:2], s[2:3], s28, v4, 0
	s_mul_i32 s0, s31, s8
	s_mul_hi_u32 s1, s30, s8
	s_add_i32 s1, s1, s0
	s_mul_i32 s0, s30, s8
	s_lshl_b64 s[0:1], s[0:1], 4
	v_add3_u32 v2, v2, v3, v5
	s_add_u32 s6, s42, s0
	v_lshlrev_b64 v[1:2], 4, v[1:2]
	s_addc_u32 s7, s43, s1
	v_mov_b32_e32 v3, s7
	v_add_co_u32_e32 v5, vcc, s6, v1
	v_add_u32_e32 v0, s10, v0
	v_addc_co_u32_e32 v6, vcc, v3, v2, vcc
	v_cmp_le_i32_e64 s[0:1], v4, v0
	v_cmp_gt_i32_e32 vcc, s9, v0
	s_and_b64 s[0:1], s[0:1], vcc
	s_and_saveexec_b64 s[2:3], s[0:1]
	s_cbranch_execz .LBB1224_12
; %bb.11:
	v_ashrrev_i32_e32 v1, 31, v0
	v_lshlrev_b64 v[1:2], 4, v[0:1]
	v_mul_f64 v[11:12], s[16:17], v[23:24]
	v_add_co_u32_e64 v1, s[0:1], v5, v1
	v_addc_co_u32_e64 v2, s[0:1], v6, v2, s[0:1]
	global_load_dwordx4 v[7:10], v[1:2], off
	v_mul_f64 v[23:24], s[14:15], v[23:24]
	v_fma_f64 v[11:12], s[14:15], v[21:22], -v[11:12]
	v_fma_f64 v[21:22], s[16:17], v[21:22], v[23:24]
	s_waitcnt vmcnt(0)
	v_mul_f64 v[29:30], s[40:41], v[9:10]
	v_mul_f64 v[9:10], s[38:39], v[9:10]
	v_fma_f64 v[23:24], s[38:39], v[7:8], -v[29:30]
	v_fma_f64 v[9:10], s[40:41], v[7:8], v[9:10]
	v_add_f64 v[7:8], v[11:12], v[23:24]
	v_add_f64 v[9:10], v[21:22], v[9:10]
	global_store_dwordx4 v[1:2], v[7:10], off
.LBB1224_12:
	s_or_b64 exec, exec, s[2:3]
	v_add_u32_e32 v2, 16, v0
	v_cmp_le_i32_e64 s[2:3], v4, v2
	v_cmp_gt_i32_e64 s[0:1], s9, v2
	s_and_b64 s[2:3], s[2:3], s[0:1]
	s_and_saveexec_b64 s[4:5], s[2:3]
	s_cbranch_execz .LBB1224_14
; %bb.13:
	v_ashrrev_i32_e32 v3, 31, v2
	v_lshlrev_b64 v[7:8], 4, v[2:3]
	v_mul_f64 v[11:12], s[16:17], v[15:16]
	v_add_co_u32_e64 v9, s[2:3], v5, v7
	v_addc_co_u32_e64 v10, s[2:3], v6, v8, s[2:3]
	global_load_dwordx4 v[5:8], v[9:10], off
	v_mul_f64 v[15:16], s[14:15], v[15:16]
	v_fma_f64 v[11:12], s[14:15], v[13:14], -v[11:12]
	v_fma_f64 v[13:14], s[16:17], v[13:14], v[15:16]
	s_waitcnt vmcnt(0)
	v_mul_f64 v[21:22], s[40:41], v[7:8]
	v_mul_f64 v[7:8], s[38:39], v[7:8]
	v_fma_f64 v[15:16], s[38:39], v[5:6], -v[21:22]
	v_fma_f64 v[7:8], s[40:41], v[5:6], v[7:8]
	v_add_f64 v[5:6], v[11:12], v[15:16]
	v_add_f64 v[7:8], v[13:14], v[7:8]
	global_store_dwordx4 v[9:10], v[5:8], off
.LBB1224_14:
	s_or_b64 exec, exec, s[4:5]
	v_add_u32_e32 v3, 16, v4
	v_ashrrev_i32_e32 v1, 31, v3
	v_mul_lo_u32 v6, s29, v3
	v_mad_u64_u32 v[4:5], s[2:3], s28, v3, 0
	v_mul_lo_u32 v1, s28, v1
	v_add3_u32 v5, v5, v1, v6
	v_lshlrev_b64 v[4:5], 4, v[4:5]
	v_mov_b32_e32 v1, s7
	v_add_co_u32_e64 v4, s[2:3], s6, v4
	v_addc_co_u32_e64 v5, s[2:3], v1, v5, s[2:3]
	v_cmp_le_i32_e64 s[2:3], v3, v0
	s_and_b64 s[4:5], s[2:3], vcc
	s_and_saveexec_b64 s[2:3], s[4:5]
	s_cbranch_execz .LBB1224_16
; %bb.15:
	v_ashrrev_i32_e32 v1, 31, v0
	v_lshlrev_b64 v[0:1], 4, v[0:1]
	v_mul_f64 v[10:11], s[16:17], v[19:20]
	v_add_co_u32_e32 v0, vcc, v4, v0
	v_addc_co_u32_e32 v1, vcc, v5, v1, vcc
	global_load_dwordx4 v[6:9], v[0:1], off
	v_mul_f64 v[12:13], s[14:15], v[19:20]
	v_fma_f64 v[10:11], s[14:15], v[17:18], -v[10:11]
	v_fma_f64 v[12:13], s[16:17], v[17:18], v[12:13]
	s_waitcnt vmcnt(0)
	v_mul_f64 v[14:15], s[40:41], v[8:9]
	v_mul_f64 v[8:9], s[38:39], v[8:9]
	v_fma_f64 v[14:15], s[38:39], v[6:7], -v[14:15]
	v_fma_f64 v[8:9], s[40:41], v[6:7], v[8:9]
	v_add_f64 v[6:7], v[10:11], v[14:15]
	v_add_f64 v[8:9], v[12:13], v[8:9]
	global_store_dwordx4 v[0:1], v[6:9], off
.LBB1224_16:
	s_or_b64 exec, exec, s[2:3]
	v_cmp_le_i32_e32 vcc, v3, v2
	s_and_b64 s[0:1], vcc, s[0:1]
	s_and_saveexec_b64 s[2:3], s[0:1]
	s_cbranch_execz .LBB1224_18
; %bb.17:
	v_ashrrev_i32_e32 v3, 31, v2
	v_lshlrev_b64 v[0:1], 4, v[2:3]
	v_mul_f64 v[6:7], s[16:17], v[27:28]
	v_add_co_u32_e32 v4, vcc, v4, v0
	v_addc_co_u32_e32 v5, vcc, v5, v1, vcc
	global_load_dwordx4 v[0:3], v[4:5], off
	v_mul_f64 v[8:9], s[14:15], v[27:28]
	v_fma_f64 v[6:7], s[14:15], v[25:26], -v[6:7]
	v_fma_f64 v[8:9], s[16:17], v[25:26], v[8:9]
	s_waitcnt vmcnt(0)
	v_mul_f64 v[10:11], s[40:41], v[2:3]
	v_mul_f64 v[2:3], s[38:39], v[2:3]
	v_fma_f64 v[10:11], s[38:39], v[0:1], -v[10:11]
	v_fma_f64 v[2:3], s[40:41], v[0:1], v[2:3]
	v_add_f64 v[0:1], v[6:7], v[10:11]
	v_add_f64 v[2:3], v[8:9], v[2:3]
	global_store_dwordx4 v[4:5], v[0:3], off
.LBB1224_18:
	s_endpgm
	.section	.rodata,"a",@progbits
	.p2align	6, 0x0
	.amdhsa_kernel _ZL34rocblas_syrkx_herkx_general_kernelIl19rocblas_complex_numIdELi16ELi32ELi8ELb0ELb0ELc67ELc76EKS1_S1_EviT_T0_PT8_S3_lS6_S3_lS4_PT9_S3_li
		.amdhsa_group_segment_fixed_size 8192
		.amdhsa_private_segment_fixed_size 0
		.amdhsa_kernarg_size 124
		.amdhsa_user_sgpr_count 6
		.amdhsa_user_sgpr_private_segment_buffer 1
		.amdhsa_user_sgpr_dispatch_ptr 0
		.amdhsa_user_sgpr_queue_ptr 0
		.amdhsa_user_sgpr_kernarg_segment_ptr 1
		.amdhsa_user_sgpr_dispatch_id 0
		.amdhsa_user_sgpr_flat_scratch_init 0
		.amdhsa_user_sgpr_private_segment_size 0
		.amdhsa_uses_dynamic_stack 0
		.amdhsa_system_sgpr_private_segment_wavefront_offset 0
		.amdhsa_system_sgpr_workgroup_id_x 1
		.amdhsa_system_sgpr_workgroup_id_y 1
		.amdhsa_system_sgpr_workgroup_id_z 1
		.amdhsa_system_sgpr_workgroup_info 0
		.amdhsa_system_vgpr_workitem_id 1
		.amdhsa_next_free_vgpr 59
		.amdhsa_next_free_sgpr 61
		.amdhsa_reserve_vcc 1
		.amdhsa_reserve_flat_scratch 0
		.amdhsa_float_round_mode_32 0
		.amdhsa_float_round_mode_16_64 0
		.amdhsa_float_denorm_mode_32 3
		.amdhsa_float_denorm_mode_16_64 3
		.amdhsa_dx10_clamp 1
		.amdhsa_ieee_mode 1
		.amdhsa_fp16_overflow 0
		.amdhsa_exception_fp_ieee_invalid_op 0
		.amdhsa_exception_fp_denorm_src 0
		.amdhsa_exception_fp_ieee_div_zero 0
		.amdhsa_exception_fp_ieee_overflow 0
		.amdhsa_exception_fp_ieee_underflow 0
		.amdhsa_exception_fp_ieee_inexact 0
		.amdhsa_exception_int_div_zero 0
	.end_amdhsa_kernel
	.section	.text._ZL34rocblas_syrkx_herkx_general_kernelIl19rocblas_complex_numIdELi16ELi32ELi8ELb0ELb0ELc67ELc76EKS1_S1_EviT_T0_PT8_S3_lS6_S3_lS4_PT9_S3_li,"axG",@progbits,_ZL34rocblas_syrkx_herkx_general_kernelIl19rocblas_complex_numIdELi16ELi32ELi8ELb0ELb0ELc67ELc76EKS1_S1_EviT_T0_PT8_S3_lS6_S3_lS4_PT9_S3_li,comdat
.Lfunc_end1224:
	.size	_ZL34rocblas_syrkx_herkx_general_kernelIl19rocblas_complex_numIdELi16ELi32ELi8ELb0ELb0ELc67ELc76EKS1_S1_EviT_T0_PT8_S3_lS6_S3_lS4_PT9_S3_li, .Lfunc_end1224-_ZL34rocblas_syrkx_herkx_general_kernelIl19rocblas_complex_numIdELi16ELi32ELi8ELb0ELb0ELc67ELc76EKS1_S1_EviT_T0_PT8_S3_lS6_S3_lS4_PT9_S3_li
                                        ; -- End function
	.set _ZL34rocblas_syrkx_herkx_general_kernelIl19rocblas_complex_numIdELi16ELi32ELi8ELb0ELb0ELc67ELc76EKS1_S1_EviT_T0_PT8_S3_lS6_S3_lS4_PT9_S3_li.num_vgpr, 59
	.set _ZL34rocblas_syrkx_herkx_general_kernelIl19rocblas_complex_numIdELi16ELi32ELi8ELb0ELb0ELc67ELc76EKS1_S1_EviT_T0_PT8_S3_lS6_S3_lS4_PT9_S3_li.num_agpr, 0
	.set _ZL34rocblas_syrkx_herkx_general_kernelIl19rocblas_complex_numIdELi16ELi32ELi8ELb0ELb0ELc67ELc76EKS1_S1_EviT_T0_PT8_S3_lS6_S3_lS4_PT9_S3_li.numbered_sgpr, 44
	.set _ZL34rocblas_syrkx_herkx_general_kernelIl19rocblas_complex_numIdELi16ELi32ELi8ELb0ELb0ELc67ELc76EKS1_S1_EviT_T0_PT8_S3_lS6_S3_lS4_PT9_S3_li.num_named_barrier, 0
	.set _ZL34rocblas_syrkx_herkx_general_kernelIl19rocblas_complex_numIdELi16ELi32ELi8ELb0ELb0ELc67ELc76EKS1_S1_EviT_T0_PT8_S3_lS6_S3_lS4_PT9_S3_li.private_seg_size, 0
	.set _ZL34rocblas_syrkx_herkx_general_kernelIl19rocblas_complex_numIdELi16ELi32ELi8ELb0ELb0ELc67ELc76EKS1_S1_EviT_T0_PT8_S3_lS6_S3_lS4_PT9_S3_li.uses_vcc, 1
	.set _ZL34rocblas_syrkx_herkx_general_kernelIl19rocblas_complex_numIdELi16ELi32ELi8ELb0ELb0ELc67ELc76EKS1_S1_EviT_T0_PT8_S3_lS6_S3_lS4_PT9_S3_li.uses_flat_scratch, 0
	.set _ZL34rocblas_syrkx_herkx_general_kernelIl19rocblas_complex_numIdELi16ELi32ELi8ELb0ELb0ELc67ELc76EKS1_S1_EviT_T0_PT8_S3_lS6_S3_lS4_PT9_S3_li.has_dyn_sized_stack, 0
	.set _ZL34rocblas_syrkx_herkx_general_kernelIl19rocblas_complex_numIdELi16ELi32ELi8ELb0ELb0ELc67ELc76EKS1_S1_EviT_T0_PT8_S3_lS6_S3_lS4_PT9_S3_li.has_recursion, 0
	.set _ZL34rocblas_syrkx_herkx_general_kernelIl19rocblas_complex_numIdELi16ELi32ELi8ELb0ELb0ELc67ELc76EKS1_S1_EviT_T0_PT8_S3_lS6_S3_lS4_PT9_S3_li.has_indirect_call, 0
	.section	.AMDGPU.csdata,"",@progbits
; Kernel info:
; codeLenInByte = 3432
; TotalNumSgprs: 48
; NumVgprs: 59
; ScratchSize: 0
; MemoryBound: 1
; FloatMode: 240
; IeeeMode: 1
; LDSByteSize: 8192 bytes/workgroup (compile time only)
; SGPRBlocks: 8
; VGPRBlocks: 14
; NumSGPRsForWavesPerEU: 65
; NumVGPRsForWavesPerEU: 59
; Occupancy: 4
; WaveLimiterHint : 0
; COMPUTE_PGM_RSRC2:SCRATCH_EN: 0
; COMPUTE_PGM_RSRC2:USER_SGPR: 6
; COMPUTE_PGM_RSRC2:TRAP_HANDLER: 0
; COMPUTE_PGM_RSRC2:TGID_X_EN: 1
; COMPUTE_PGM_RSRC2:TGID_Y_EN: 1
; COMPUTE_PGM_RSRC2:TGID_Z_EN: 1
; COMPUTE_PGM_RSRC2:TIDIG_COMP_CNT: 1
	.section	.text._ZL34rocblas_syrkx_herkx_general_kernelIl19rocblas_complex_numIdELi16ELi32ELi8ELb0ELb0ELc78ELc76EKS1_S1_EviT_T0_PT8_S3_lS6_S3_lS4_PT9_S3_li,"axG",@progbits,_ZL34rocblas_syrkx_herkx_general_kernelIl19rocblas_complex_numIdELi16ELi32ELi8ELb0ELb0ELc78ELc76EKS1_S1_EviT_T0_PT8_S3_lS6_S3_lS4_PT9_S3_li,comdat
	.globl	_ZL34rocblas_syrkx_herkx_general_kernelIl19rocblas_complex_numIdELi16ELi32ELi8ELb0ELb0ELc78ELc76EKS1_S1_EviT_T0_PT8_S3_lS6_S3_lS4_PT9_S3_li ; -- Begin function _ZL34rocblas_syrkx_herkx_general_kernelIl19rocblas_complex_numIdELi16ELi32ELi8ELb0ELb0ELc78ELc76EKS1_S1_EviT_T0_PT8_S3_lS6_S3_lS4_PT9_S3_li
	.p2align	8
	.type	_ZL34rocblas_syrkx_herkx_general_kernelIl19rocblas_complex_numIdELi16ELi32ELi8ELb0ELb0ELc78ELc76EKS1_S1_EviT_T0_PT8_S3_lS6_S3_lS4_PT9_S3_li,@function
_ZL34rocblas_syrkx_herkx_general_kernelIl19rocblas_complex_numIdELi16ELi32ELi8ELb0ELb0ELc78ELc76EKS1_S1_EviT_T0_PT8_S3_lS6_S3_lS4_PT9_S3_li: ; @_ZL34rocblas_syrkx_herkx_general_kernelIl19rocblas_complex_numIdELi16ELi32ELi8ELb0ELb0ELc78ELc76EKS1_S1_EviT_T0_PT8_S3_lS6_S3_lS4_PT9_S3_li
; %bb.0:
	s_load_dwordx16 s[12:27], s[4:5], 0x8
	s_load_dword s9, s[4:5], 0x0
	s_load_dwordx4 s[28:31], s[4:5], 0x68
	s_load_dwordx8 s[36:43], s[4:5], 0x48
	s_lshl_b32 s33, s6, 5
	s_waitcnt lgkmcnt(0)
	v_cmp_lt_i64_e64 s[0:1], s[12:13], 1
	s_lshl_b32 s34, s7, 5
	s_and_b64 vcc, exec, s[0:1]
	s_cbranch_vccnz .LBB1225_9
; %bb.1:
	v_lshl_add_u32 v3, v1, 4, v0
	v_and_b32_e32 v7, 31, v3
	v_or_b32_e32 v4, s33, v7
	v_lshrrev_b32_e32 v29, 5, v3
	v_cmp_gt_i32_e32 vcc, s9, v4
	v_mad_u64_u32 v[4:5], s[2:3], s20, v29, 0
	v_lshrrev_b32_e32 v6, 3, v3
	v_and_b32_e32 v30, 7, v0
	v_lshlrev_b32_e32 v3, 4, v7
	v_lshl_or_b32 v31, v29, 9, v3
	v_lshlrev_b32_e32 v3, 4, v30
	v_add_u32_e32 v2, s34, v6
	v_lshl_or_b32 v3, v6, 7, v3
	v_mad_u64_u32 v[5:6], s[2:3], s21, v29, v[5:6]
	s_mul_i32 s2, s23, s8
	s_mul_hi_u32 s3, s22, s8
	v_lshlrev_b64 v[4:5], 4, v[4:5]
	s_add_i32 s3, s3, s2
	s_mul_i32 s2, s22, s8
	v_mov_b32_e32 v6, 0x1000
	s_lshl_b64 s[2:3], s[2:3], 4
	v_lshl_add_u32 v34, v1, 7, v6
	v_mov_b32_e32 v6, s3
	v_add_co_u32_e64 v8, s[2:3], s2, v4
	v_add_u32_e32 v4, s33, v7
	v_addc_co_u32_e64 v6, s[2:3], v5, v6, s[2:3]
	v_ashrrev_i32_e32 v5, 31, v4
	v_lshlrev_b64 v[4:5], 4, v[4:5]
	s_mul_i32 s6, s37, s8
	v_add_co_u32_e64 v4, s[2:3], v8, v4
	v_addc_co_u32_e64 v5, s[2:3], v6, v5, s[2:3]
	v_mov_b32_e32 v6, s19
	v_add_co_u32_e64 v7, s[2:3], s18, v4
	v_addc_co_u32_e64 v8, s[2:3], v6, v5, s[2:3]
	v_mad_u64_u32 v[4:5], s[2:3], s26, v30, 0
	s_mul_hi_u32 s7, s36, s8
	v_add_u32_e32 v32, 0x1000, v3
	v_mad_u64_u32 v[5:6], s[2:3], s27, v30, v[5:6]
	s_add_i32 s3, s7, s6
	s_mul_i32 s2, s36, s8
	v_lshlrev_b64 v[4:5], 4, v[4:5]
	v_ashrrev_i32_e32 v3, 31, v2
	s_lshl_b64 s[2:3], s[2:3], 4
	v_cmp_gt_i32_e64 s[0:1], s9, v2
	v_mov_b32_e32 v6, s3
	v_add_co_u32_e64 v4, s[2:3], s2, v4
	v_lshlrev_b64 v[2:3], 4, v[2:3]
	v_addc_co_u32_e64 v5, s[2:3], v6, v5, s[2:3]
	v_add_co_u32_e64 v2, s[2:3], v4, v2
	v_addc_co_u32_e64 v3, s[2:3], v5, v3, s[2:3]
	v_mov_b32_e32 v4, s25
	v_add_co_u32_e64 v2, s[2:3], s24, v2
	v_addc_co_u32_e64 v3, s[2:3], v4, v3, s[2:3]
	v_add_co_u32_e64 v9, s[2:3], 8, v2
	v_addc_co_u32_e64 v10, s[2:3], 0, v3, s[2:3]
	s_lshl_b64 s[4:5], s[20:21], 7
	s_lshl_b64 s[2:3], s[26:27], 7
	v_mov_b32_e32 v27, 0
	v_mov_b32_e32 v11, s12
	;; [unrolled: 1-line block ×9, first 2 shown]
	v_lshlrev_b32_e32 v33, 4, v0
	s_mov_b64 s[6:7], 0
	v_mov_b32_e32 v28, 0
	s_xor_b64 s[10:11], vcc, -1
	v_mov_b32_e32 v35, s5
	v_mov_b32_e32 v36, s3
	;; [unrolled: 1-line block ×11, first 2 shown]
	s_branch .LBB1225_3
.LBB1225_2:                             ;   in Loop: Header=BB1225_3 Depth=1
	s_or_b64 exec, exec, s[18:19]
	s_waitcnt vmcnt(0)
	ds_write_b128 v32, v[3:6]
	s_waitcnt lgkmcnt(0)
	s_barrier
	ds_read_b128 v[3:6], v34
	ds_read_b128 v[37:40], v34 offset:16
	ds_read_b128 v[41:44], v34 offset:32
	ds_read_b128 v[45:48], v34 offset:48
	ds_read_b128 v[49:52], v33
	v_add_co_u32_e32 v7, vcc, s4, v7
	v_addc_co_u32_e32 v8, vcc, v8, v35, vcc
	s_waitcnt lgkmcnt(0)
	v_mul_f64 v[53:54], v[5:6], v[51:52]
	v_mul_f64 v[55:56], v[3:4], v[51:52]
	s_add_u32 s6, s6, 8
	v_add_co_u32_e32 v9, vcc, s2, v9
	s_addc_u32 s7, s7, 0
	v_addc_co_u32_e32 v10, vcc, v10, v36, vcc
	v_fma_f64 v[53:54], v[3:4], v[49:50], -v[53:54]
	v_fma_f64 v[55:56], v[5:6], v[49:50], v[55:56]
	v_cmp_ge_i64_e32 vcc, s[6:7], v[11:12]
	s_and_b64 vcc, exec, vcc
	v_add_f64 v[53:54], v[21:22], v[53:54]
	v_add_f64 v[55:56], v[55:56], v[23:24]
	ds_read_b128 v[21:24], v33 offset:256
	s_waitcnt lgkmcnt(0)
	v_mul_f64 v[57:58], v[5:6], v[23:24]
	v_fma_f64 v[57:58], v[3:4], v[21:22], -v[57:58]
	v_mul_f64 v[3:4], v[3:4], v[23:24]
	v_add_f64 v[57:58], v[13:14], v[57:58]
	v_fma_f64 v[3:4], v[5:6], v[21:22], v[3:4]
	v_add_f64 v[59:60], v[3:4], v[15:16]
	ds_read_b128 v[3:6], v34 offset:2048
	s_waitcnt lgkmcnt(0)
	v_mul_f64 v[13:14], v[5:6], v[51:52]
	v_mul_f64 v[15:16], v[3:4], v[51:52]
	v_fma_f64 v[13:14], v[3:4], v[49:50], -v[13:14]
	v_fma_f64 v[15:16], v[5:6], v[49:50], v[15:16]
	v_add_f64 v[49:50], v[17:18], v[13:14]
	v_mul_f64 v[13:14], v[5:6], v[23:24]
	v_add_f64 v[51:52], v[15:16], v[19:20]
	v_fma_f64 v[13:14], v[3:4], v[21:22], -v[13:14]
	v_mul_f64 v[3:4], v[3:4], v[23:24]
	v_fma_f64 v[3:4], v[5:6], v[21:22], v[3:4]
	v_add_f64 v[21:22], v[25:26], v[13:14]
	v_add_f64 v[23:24], v[3:4], v[27:28]
	ds_read_b128 v[3:6], v33 offset:512
	s_waitcnt lgkmcnt(0)
	v_mul_f64 v[13:14], v[39:40], v[5:6]
	v_mul_f64 v[15:16], v[37:38], v[5:6]
	v_fma_f64 v[13:14], v[37:38], v[3:4], -v[13:14]
	v_fma_f64 v[15:16], v[39:40], v[3:4], v[15:16]
	v_add_f64 v[25:26], v[53:54], v[13:14]
	v_add_f64 v[27:28], v[15:16], v[55:56]
	ds_read_b128 v[13:16], v33 offset:768
	s_waitcnt lgkmcnt(0)
	v_mul_f64 v[17:18], v[39:40], v[15:16]
	v_mul_f64 v[19:20], v[37:38], v[15:16]
	v_fma_f64 v[17:18], v[37:38], v[13:14], -v[17:18]
	;; [unrolled: 8-line block ×3, first 2 shown]
	v_fma_f64 v[3:4], v[19:20], v[3:4], v[5:6]
	v_mul_f64 v[5:6], v[17:18], v[15:16]
	v_add_f64 v[49:50], v[49:50], v[53:54]
	v_add_f64 v[51:52], v[3:4], v[51:52]
	v_mul_f64 v[3:4], v[19:20], v[15:16]
	v_fma_f64 v[5:6], v[19:20], v[13:14], v[5:6]
	v_fma_f64 v[3:4], v[17:18], v[13:14], -v[3:4]
	v_add_f64 v[23:24], v[5:6], v[23:24]
	v_add_f64 v[21:22], v[21:22], v[3:4]
	ds_read_b128 v[3:6], v33 offset:1024
	s_waitcnt lgkmcnt(0)
	v_mul_f64 v[13:14], v[43:44], v[5:6]
	v_mul_f64 v[15:16], v[41:42], v[5:6]
	v_fma_f64 v[13:14], v[41:42], v[3:4], -v[13:14]
	v_fma_f64 v[15:16], v[43:44], v[3:4], v[15:16]
	v_add_f64 v[25:26], v[25:26], v[13:14]
	v_add_f64 v[27:28], v[15:16], v[27:28]
	ds_read_b128 v[13:16], v33 offset:1280
	s_waitcnt lgkmcnt(0)
	v_mul_f64 v[17:18], v[43:44], v[15:16]
	v_mul_f64 v[19:20], v[41:42], v[15:16]
	v_fma_f64 v[17:18], v[41:42], v[13:14], -v[17:18]
	v_fma_f64 v[19:20], v[43:44], v[13:14], v[19:20]
	v_add_f64 v[37:38], v[37:38], v[17:18]
	v_add_f64 v[39:40], v[19:20], v[39:40]
	ds_read_b128 v[17:20], v34 offset:2080
	s_waitcnt lgkmcnt(0)
	v_mul_f64 v[41:42], v[19:20], v[5:6]
	v_mul_f64 v[5:6], v[17:18], v[5:6]
	v_fma_f64 v[41:42], v[17:18], v[3:4], -v[41:42]
	v_fma_f64 v[3:4], v[19:20], v[3:4], v[5:6]
	v_mul_f64 v[5:6], v[17:18], v[15:16]
	v_add_f64 v[41:42], v[49:50], v[41:42]
	v_add_f64 v[43:44], v[3:4], v[51:52]
	v_mul_f64 v[3:4], v[19:20], v[15:16]
	v_fma_f64 v[5:6], v[19:20], v[13:14], v[5:6]
	v_fma_f64 v[3:4], v[17:18], v[13:14], -v[3:4]
	v_add_f64 v[23:24], v[5:6], v[23:24]
	v_add_f64 v[21:22], v[21:22], v[3:4]
	ds_read_b128 v[3:6], v33 offset:1536
	s_waitcnt lgkmcnt(0)
	v_mul_f64 v[13:14], v[47:48], v[5:6]
	v_mul_f64 v[15:16], v[45:46], v[5:6]
	v_fma_f64 v[13:14], v[45:46], v[3:4], -v[13:14]
	v_fma_f64 v[15:16], v[47:48], v[3:4], v[15:16]
	v_add_f64 v[25:26], v[25:26], v[13:14]
	v_add_f64 v[27:28], v[15:16], v[27:28]
	ds_read_b128 v[13:16], v33 offset:1792
	s_waitcnt lgkmcnt(0)
	v_mul_f64 v[17:18], v[47:48], v[15:16]
	v_mul_f64 v[19:20], v[45:46], v[15:16]
	v_fma_f64 v[17:18], v[45:46], v[13:14], -v[17:18]
	v_fma_f64 v[19:20], v[47:48], v[13:14], v[19:20]
	;; [unrolled: 8-line block ×3, first 2 shown]
	v_mul_f64 v[5:6], v[17:18], v[15:16]
	v_add_f64 v[41:42], v[41:42], v[45:46]
	v_add_f64 v[43:44], v[3:4], v[43:44]
	v_mul_f64 v[3:4], v[19:20], v[15:16]
	v_fma_f64 v[5:6], v[19:20], v[13:14], v[5:6]
	v_fma_f64 v[3:4], v[17:18], v[13:14], -v[3:4]
	v_add_f64 v[23:24], v[5:6], v[23:24]
	v_add_f64 v[21:22], v[21:22], v[3:4]
	ds_read_b128 v[3:6], v34 offset:64
	ds_read_b128 v[13:16], v33 offset:2048
	s_waitcnt lgkmcnt(0)
	v_mul_f64 v[17:18], v[5:6], v[15:16]
	v_mul_f64 v[19:20], v[3:4], v[15:16]
	v_fma_f64 v[17:18], v[3:4], v[13:14], -v[17:18]
	v_fma_f64 v[19:20], v[5:6], v[13:14], v[19:20]
	v_add_f64 v[25:26], v[25:26], v[17:18]
	v_add_f64 v[27:28], v[19:20], v[27:28]
	ds_read_b128 v[17:20], v33 offset:2304
	s_waitcnt lgkmcnt(0)
	v_mul_f64 v[45:46], v[5:6], v[19:20]
	v_fma_f64 v[45:46], v[3:4], v[17:18], -v[45:46]
	v_mul_f64 v[3:4], v[3:4], v[19:20]
	v_add_f64 v[37:38], v[37:38], v[45:46]
	v_fma_f64 v[3:4], v[5:6], v[17:18], v[3:4]
	v_add_f64 v[39:40], v[3:4], v[39:40]
	ds_read_b128 v[3:6], v34 offset:2112
	s_waitcnt lgkmcnt(0)
	v_mul_f64 v[45:46], v[5:6], v[15:16]
	v_mul_f64 v[15:16], v[3:4], v[15:16]
	v_fma_f64 v[45:46], v[3:4], v[13:14], -v[45:46]
	v_fma_f64 v[13:14], v[5:6], v[13:14], v[15:16]
	v_add_f64 v[41:42], v[41:42], v[45:46]
	v_add_f64 v[43:44], v[13:14], v[43:44]
	v_mul_f64 v[13:14], v[5:6], v[19:20]
	v_fma_f64 v[13:14], v[3:4], v[17:18], -v[13:14]
	v_mul_f64 v[3:4], v[3:4], v[19:20]
	v_add_f64 v[21:22], v[21:22], v[13:14]
	v_fma_f64 v[3:4], v[5:6], v[17:18], v[3:4]
	v_add_f64 v[23:24], v[3:4], v[23:24]
	ds_read_b128 v[3:6], v34 offset:80
	ds_read_b128 v[13:16], v33 offset:2560
	s_waitcnt lgkmcnt(0)
	v_mul_f64 v[17:18], v[5:6], v[15:16]
	v_mul_f64 v[19:20], v[3:4], v[15:16]
	v_fma_f64 v[17:18], v[3:4], v[13:14], -v[17:18]
	v_fma_f64 v[19:20], v[5:6], v[13:14], v[19:20]
	v_add_f64 v[25:26], v[25:26], v[17:18]
	v_add_f64 v[27:28], v[19:20], v[27:28]
	ds_read_b128 v[17:20], v33 offset:2816
	s_waitcnt lgkmcnt(0)
	v_mul_f64 v[45:46], v[5:6], v[19:20]
	v_fma_f64 v[45:46], v[3:4], v[17:18], -v[45:46]
	v_mul_f64 v[3:4], v[3:4], v[19:20]
	v_add_f64 v[37:38], v[37:38], v[45:46]
	v_fma_f64 v[3:4], v[5:6], v[17:18], v[3:4]
	v_add_f64 v[39:40], v[3:4], v[39:40]
	ds_read_b128 v[3:6], v34 offset:2128
	s_waitcnt lgkmcnt(0)
	v_mul_f64 v[45:46], v[5:6], v[15:16]
	v_mul_f64 v[15:16], v[3:4], v[15:16]
	v_fma_f64 v[45:46], v[3:4], v[13:14], -v[45:46]
	v_fma_f64 v[13:14], v[5:6], v[13:14], v[15:16]
	v_add_f64 v[41:42], v[41:42], v[45:46]
	v_add_f64 v[43:44], v[13:14], v[43:44]
	v_mul_f64 v[13:14], v[5:6], v[19:20]
	v_fma_f64 v[13:14], v[3:4], v[17:18], -v[13:14]
	v_mul_f64 v[3:4], v[3:4], v[19:20]
	v_add_f64 v[21:22], v[21:22], v[13:14]
	v_fma_f64 v[3:4], v[5:6], v[17:18], v[3:4]
	;; [unrolled: 31-line block ×3, first 2 shown]
	v_add_f64 v[47:48], v[3:4], v[23:24]
	ds_read_b128 v[3:6], v34 offset:112
	ds_read_b128 v[17:20], v33 offset:3584
	s_waitcnt lgkmcnt(0)
	v_mul_f64 v[13:14], v[5:6], v[19:20]
	v_mul_f64 v[15:16], v[3:4], v[19:20]
	v_fma_f64 v[13:14], v[3:4], v[17:18], -v[13:14]
	v_fma_f64 v[15:16], v[5:6], v[17:18], v[15:16]
	v_add_f64 v[21:22], v[25:26], v[13:14]
	v_add_f64 v[23:24], v[15:16], v[27:28]
	ds_read_b128 v[25:28], v33 offset:3840
	s_waitcnt lgkmcnt(0)
	v_mul_f64 v[13:14], v[5:6], v[27:28]
	v_fma_f64 v[13:14], v[3:4], v[25:26], -v[13:14]
	v_mul_f64 v[3:4], v[3:4], v[27:28]
	v_add_f64 v[13:14], v[37:38], v[13:14]
	v_fma_f64 v[3:4], v[5:6], v[25:26], v[3:4]
	v_add_f64 v[15:16], v[3:4], v[39:40]
	ds_read_b128 v[3:6], v34 offset:2160
	s_waitcnt lgkmcnt(0)
	s_barrier
	v_mul_f64 v[37:38], v[5:6], v[19:20]
	v_mul_f64 v[19:20], v[3:4], v[19:20]
	v_fma_f64 v[37:38], v[3:4], v[17:18], -v[37:38]
	v_fma_f64 v[19:20], v[5:6], v[17:18], v[19:20]
	v_add_f64 v[17:18], v[41:42], v[37:38]
	v_mul_f64 v[37:38], v[5:6], v[27:28]
	v_add_f64 v[19:20], v[19:20], v[43:44]
	v_fma_f64 v[37:38], v[3:4], v[25:26], -v[37:38]
	v_mul_f64 v[3:4], v[3:4], v[27:28]
	v_fma_f64 v[3:4], v[5:6], v[25:26], v[3:4]
	v_add_f64 v[25:26], v[45:46], v[37:38]
	v_add_f64 v[27:28], v[3:4], v[47:48]
	s_cbranch_vccnz .LBB1225_10
.LBB1225_3:                             ; =>This Inner Loop Header: Depth=1
	v_mov_b32_e32 v4, s7
	v_add_co_u32_e32 v3, vcc, s6, v29
	v_addc_co_u32_e32 v4, vcc, 0, v4, vcc
	v_cmp_le_i64_e32 vcc, s[12:13], v[3:4]
	s_or_b64 s[18:19], s[10:11], vcc
	s_and_saveexec_b64 s[20:21], s[18:19]
	s_xor_b64 s[18:19], exec, s[20:21]
; %bb.4:                                ;   in Loop: Header=BB1225_3 Depth=1
	v_mov_b32_e32 v3, v2
	v_mov_b32_e32 v4, v2
	;; [unrolled: 1-line block ×3, first 2 shown]
	ds_write_b128 v31, v[2:5]
; %bb.5:                                ;   in Loop: Header=BB1225_3 Depth=1
	s_andn2_saveexec_b64 s[18:19], s[18:19]
	s_cbranch_execz .LBB1225_7
; %bb.6:                                ;   in Loop: Header=BB1225_3 Depth=1
	global_load_dwordx4 v[3:6], v[7:8], off
	s_waitcnt vmcnt(0)
	ds_write2_b64 v31, v[3:4], v[5:6] offset1:1
.LBB1225_7:                             ;   in Loop: Header=BB1225_3 Depth=1
	s_or_b64 exec, exec, s[18:19]
	v_mov_b32_e32 v4, s7
	v_add_co_u32_e32 v3, vcc, s6, v30
	v_addc_co_u32_e32 v4, vcc, 0, v4, vcc
	v_cmp_gt_i64_e32 vcc, s[12:13], v[3:4]
	v_mov_b32_e32 v3, 0
	v_mov_b32_e32 v5, 0
	;; [unrolled: 1-line block ×4, first 2 shown]
	s_and_b64 s[20:21], vcc, s[0:1]
	s_and_saveexec_b64 s[18:19], s[20:21]
	s_cbranch_execz .LBB1225_2
; %bb.8:                                ;   in Loop: Header=BB1225_3 Depth=1
	global_load_dwordx4 v[3:6], v[9:10], off offset:-8
	s_branch .LBB1225_2
.LBB1225_9:
	v_mov_b32_e32 v21, 0
	v_mov_b32_e32 v23, 0
	v_mov_b32_e32 v13, 0
	v_mov_b32_e32 v15, 0
	v_mov_b32_e32 v17, 0
	v_mov_b32_e32 v19, 0
	v_mov_b32_e32 v25, 0
	v_mov_b32_e32 v27, 0
	v_mov_b32_e32 v22, 0
	v_mov_b32_e32 v24, 0
	v_mov_b32_e32 v14, 0
	v_mov_b32_e32 v16, 0
	v_mov_b32_e32 v18, 0
	v_mov_b32_e32 v20, 0
	v_mov_b32_e32 v26, 0
	v_mov_b32_e32 v28, 0
.LBB1225_10:
	v_add_u32_e32 v4, s34, v1
	v_ashrrev_i32_e32 v1, 31, v4
	v_mul_lo_u32 v3, s28, v1
	v_mul_lo_u32 v5, s29, v4
	v_mad_u64_u32 v[1:2], s[2:3], s28, v4, 0
	s_mul_i32 s0, s31, s8
	s_mul_hi_u32 s1, s30, s8
	s_add_i32 s1, s1, s0
	s_mul_i32 s0, s30, s8
	s_lshl_b64 s[0:1], s[0:1], 4
	v_add3_u32 v2, v2, v3, v5
	s_add_u32 s6, s42, s0
	v_lshlrev_b64 v[1:2], 4, v[1:2]
	s_addc_u32 s7, s43, s1
	v_mov_b32_e32 v3, s7
	v_add_co_u32_e32 v5, vcc, s6, v1
	v_add_u32_e32 v0, s33, v0
	v_addc_co_u32_e32 v6, vcc, v3, v2, vcc
	v_cmp_le_i32_e64 s[0:1], v4, v0
	v_cmp_gt_i32_e32 vcc, s9, v0
	s_and_b64 s[0:1], s[0:1], vcc
	s_and_saveexec_b64 s[2:3], s[0:1]
	s_cbranch_execz .LBB1225_12
; %bb.11:
	v_ashrrev_i32_e32 v1, 31, v0
	v_lshlrev_b64 v[1:2], 4, v[0:1]
	v_mul_f64 v[11:12], s[16:17], v[23:24]
	v_add_co_u32_e64 v1, s[0:1], v5, v1
	v_addc_co_u32_e64 v2, s[0:1], v6, v2, s[0:1]
	global_load_dwordx4 v[7:10], v[1:2], off
	v_mul_f64 v[23:24], s[14:15], v[23:24]
	v_fma_f64 v[11:12], s[14:15], v[21:22], -v[11:12]
	v_fma_f64 v[21:22], s[16:17], v[21:22], v[23:24]
	s_waitcnt vmcnt(0)
	v_mul_f64 v[29:30], s[40:41], v[9:10]
	v_mul_f64 v[9:10], s[38:39], v[9:10]
	v_fma_f64 v[23:24], s[38:39], v[7:8], -v[29:30]
	v_fma_f64 v[9:10], s[40:41], v[7:8], v[9:10]
	v_add_f64 v[7:8], v[11:12], v[23:24]
	v_add_f64 v[9:10], v[21:22], v[9:10]
	global_store_dwordx4 v[1:2], v[7:10], off
.LBB1225_12:
	s_or_b64 exec, exec, s[2:3]
	v_add_u32_e32 v2, 16, v0
	v_cmp_le_i32_e64 s[2:3], v4, v2
	v_cmp_gt_i32_e64 s[0:1], s9, v2
	s_and_b64 s[2:3], s[2:3], s[0:1]
	s_and_saveexec_b64 s[4:5], s[2:3]
	s_cbranch_execz .LBB1225_14
; %bb.13:
	v_ashrrev_i32_e32 v3, 31, v2
	v_lshlrev_b64 v[7:8], 4, v[2:3]
	v_mul_f64 v[11:12], s[16:17], v[15:16]
	v_add_co_u32_e64 v9, s[2:3], v5, v7
	v_addc_co_u32_e64 v10, s[2:3], v6, v8, s[2:3]
	global_load_dwordx4 v[5:8], v[9:10], off
	v_mul_f64 v[15:16], s[14:15], v[15:16]
	v_fma_f64 v[11:12], s[14:15], v[13:14], -v[11:12]
	v_fma_f64 v[13:14], s[16:17], v[13:14], v[15:16]
	s_waitcnt vmcnt(0)
	v_mul_f64 v[21:22], s[40:41], v[7:8]
	v_mul_f64 v[7:8], s[38:39], v[7:8]
	v_fma_f64 v[15:16], s[38:39], v[5:6], -v[21:22]
	v_fma_f64 v[7:8], s[40:41], v[5:6], v[7:8]
	v_add_f64 v[5:6], v[11:12], v[15:16]
	v_add_f64 v[7:8], v[13:14], v[7:8]
	global_store_dwordx4 v[9:10], v[5:8], off
.LBB1225_14:
	s_or_b64 exec, exec, s[4:5]
	v_add_u32_e32 v3, 16, v4
	v_ashrrev_i32_e32 v1, 31, v3
	v_mul_lo_u32 v6, s29, v3
	v_mad_u64_u32 v[4:5], s[2:3], s28, v3, 0
	v_mul_lo_u32 v1, s28, v1
	v_add3_u32 v5, v5, v1, v6
	v_lshlrev_b64 v[4:5], 4, v[4:5]
	v_mov_b32_e32 v1, s7
	v_add_co_u32_e64 v4, s[2:3], s6, v4
	v_addc_co_u32_e64 v5, s[2:3], v1, v5, s[2:3]
	v_cmp_le_i32_e64 s[2:3], v3, v0
	s_and_b64 s[4:5], s[2:3], vcc
	s_and_saveexec_b64 s[2:3], s[4:5]
	s_cbranch_execz .LBB1225_16
; %bb.15:
	v_ashrrev_i32_e32 v1, 31, v0
	v_lshlrev_b64 v[0:1], 4, v[0:1]
	v_mul_f64 v[10:11], s[16:17], v[19:20]
	v_add_co_u32_e32 v0, vcc, v4, v0
	v_addc_co_u32_e32 v1, vcc, v5, v1, vcc
	global_load_dwordx4 v[6:9], v[0:1], off
	v_mul_f64 v[12:13], s[14:15], v[19:20]
	v_fma_f64 v[10:11], s[14:15], v[17:18], -v[10:11]
	v_fma_f64 v[12:13], s[16:17], v[17:18], v[12:13]
	s_waitcnt vmcnt(0)
	v_mul_f64 v[14:15], s[40:41], v[8:9]
	v_mul_f64 v[8:9], s[38:39], v[8:9]
	v_fma_f64 v[14:15], s[38:39], v[6:7], -v[14:15]
	v_fma_f64 v[8:9], s[40:41], v[6:7], v[8:9]
	v_add_f64 v[6:7], v[10:11], v[14:15]
	v_add_f64 v[8:9], v[12:13], v[8:9]
	global_store_dwordx4 v[0:1], v[6:9], off
.LBB1225_16:
	s_or_b64 exec, exec, s[2:3]
	v_cmp_le_i32_e32 vcc, v3, v2
	s_and_b64 s[0:1], vcc, s[0:1]
	s_and_saveexec_b64 s[2:3], s[0:1]
	s_cbranch_execz .LBB1225_18
; %bb.17:
	v_ashrrev_i32_e32 v3, 31, v2
	v_lshlrev_b64 v[0:1], 4, v[2:3]
	v_mul_f64 v[6:7], s[16:17], v[27:28]
	v_add_co_u32_e32 v4, vcc, v4, v0
	v_addc_co_u32_e32 v5, vcc, v5, v1, vcc
	global_load_dwordx4 v[0:3], v[4:5], off
	v_mul_f64 v[8:9], s[14:15], v[27:28]
	v_fma_f64 v[6:7], s[14:15], v[25:26], -v[6:7]
	v_fma_f64 v[8:9], s[16:17], v[25:26], v[8:9]
	s_waitcnt vmcnt(0)
	v_mul_f64 v[10:11], s[40:41], v[2:3]
	v_mul_f64 v[2:3], s[38:39], v[2:3]
	v_fma_f64 v[10:11], s[38:39], v[0:1], -v[10:11]
	v_fma_f64 v[2:3], s[40:41], v[0:1], v[2:3]
	v_add_f64 v[0:1], v[6:7], v[10:11]
	v_add_f64 v[2:3], v[8:9], v[2:3]
	global_store_dwordx4 v[4:5], v[0:3], off
.LBB1225_18:
	s_endpgm
	.section	.rodata,"a",@progbits
	.p2align	6, 0x0
	.amdhsa_kernel _ZL34rocblas_syrkx_herkx_general_kernelIl19rocblas_complex_numIdELi16ELi32ELi8ELb0ELb0ELc78ELc76EKS1_S1_EviT_T0_PT8_S3_lS6_S3_lS4_PT9_S3_li
		.amdhsa_group_segment_fixed_size 8192
		.amdhsa_private_segment_fixed_size 0
		.amdhsa_kernarg_size 124
		.amdhsa_user_sgpr_count 6
		.amdhsa_user_sgpr_private_segment_buffer 1
		.amdhsa_user_sgpr_dispatch_ptr 0
		.amdhsa_user_sgpr_queue_ptr 0
		.amdhsa_user_sgpr_kernarg_segment_ptr 1
		.amdhsa_user_sgpr_dispatch_id 0
		.amdhsa_user_sgpr_flat_scratch_init 0
		.amdhsa_user_sgpr_private_segment_size 0
		.amdhsa_uses_dynamic_stack 0
		.amdhsa_system_sgpr_private_segment_wavefront_offset 0
		.amdhsa_system_sgpr_workgroup_id_x 1
		.amdhsa_system_sgpr_workgroup_id_y 1
		.amdhsa_system_sgpr_workgroup_id_z 1
		.amdhsa_system_sgpr_workgroup_info 0
		.amdhsa_system_vgpr_workitem_id 1
		.amdhsa_next_free_vgpr 61
		.amdhsa_next_free_sgpr 61
		.amdhsa_reserve_vcc 1
		.amdhsa_reserve_flat_scratch 0
		.amdhsa_float_round_mode_32 0
		.amdhsa_float_round_mode_16_64 0
		.amdhsa_float_denorm_mode_32 3
		.amdhsa_float_denorm_mode_16_64 3
		.amdhsa_dx10_clamp 1
		.amdhsa_ieee_mode 1
		.amdhsa_fp16_overflow 0
		.amdhsa_exception_fp_ieee_invalid_op 0
		.amdhsa_exception_fp_denorm_src 0
		.amdhsa_exception_fp_ieee_div_zero 0
		.amdhsa_exception_fp_ieee_overflow 0
		.amdhsa_exception_fp_ieee_underflow 0
		.amdhsa_exception_fp_ieee_inexact 0
		.amdhsa_exception_int_div_zero 0
	.end_amdhsa_kernel
	.section	.text._ZL34rocblas_syrkx_herkx_general_kernelIl19rocblas_complex_numIdELi16ELi32ELi8ELb0ELb0ELc78ELc76EKS1_S1_EviT_T0_PT8_S3_lS6_S3_lS4_PT9_S3_li,"axG",@progbits,_ZL34rocblas_syrkx_herkx_general_kernelIl19rocblas_complex_numIdELi16ELi32ELi8ELb0ELb0ELc78ELc76EKS1_S1_EviT_T0_PT8_S3_lS6_S3_lS4_PT9_S3_li,comdat
.Lfunc_end1225:
	.size	_ZL34rocblas_syrkx_herkx_general_kernelIl19rocblas_complex_numIdELi16ELi32ELi8ELb0ELb0ELc78ELc76EKS1_S1_EviT_T0_PT8_S3_lS6_S3_lS4_PT9_S3_li, .Lfunc_end1225-_ZL34rocblas_syrkx_herkx_general_kernelIl19rocblas_complex_numIdELi16ELi32ELi8ELb0ELb0ELc78ELc76EKS1_S1_EviT_T0_PT8_S3_lS6_S3_lS4_PT9_S3_li
                                        ; -- End function
	.set _ZL34rocblas_syrkx_herkx_general_kernelIl19rocblas_complex_numIdELi16ELi32ELi8ELb0ELb0ELc78ELc76EKS1_S1_EviT_T0_PT8_S3_lS6_S3_lS4_PT9_S3_li.num_vgpr, 61
	.set _ZL34rocblas_syrkx_herkx_general_kernelIl19rocblas_complex_numIdELi16ELi32ELi8ELb0ELb0ELc78ELc76EKS1_S1_EviT_T0_PT8_S3_lS6_S3_lS4_PT9_S3_li.num_agpr, 0
	.set _ZL34rocblas_syrkx_herkx_general_kernelIl19rocblas_complex_numIdELi16ELi32ELi8ELb0ELb0ELc78ELc76EKS1_S1_EviT_T0_PT8_S3_lS6_S3_lS4_PT9_S3_li.numbered_sgpr, 44
	.set _ZL34rocblas_syrkx_herkx_general_kernelIl19rocblas_complex_numIdELi16ELi32ELi8ELb0ELb0ELc78ELc76EKS1_S1_EviT_T0_PT8_S3_lS6_S3_lS4_PT9_S3_li.num_named_barrier, 0
	.set _ZL34rocblas_syrkx_herkx_general_kernelIl19rocblas_complex_numIdELi16ELi32ELi8ELb0ELb0ELc78ELc76EKS1_S1_EviT_T0_PT8_S3_lS6_S3_lS4_PT9_S3_li.private_seg_size, 0
	.set _ZL34rocblas_syrkx_herkx_general_kernelIl19rocblas_complex_numIdELi16ELi32ELi8ELb0ELb0ELc78ELc76EKS1_S1_EviT_T0_PT8_S3_lS6_S3_lS4_PT9_S3_li.uses_vcc, 1
	.set _ZL34rocblas_syrkx_herkx_general_kernelIl19rocblas_complex_numIdELi16ELi32ELi8ELb0ELb0ELc78ELc76EKS1_S1_EviT_T0_PT8_S3_lS6_S3_lS4_PT9_S3_li.uses_flat_scratch, 0
	.set _ZL34rocblas_syrkx_herkx_general_kernelIl19rocblas_complex_numIdELi16ELi32ELi8ELb0ELb0ELc78ELc76EKS1_S1_EviT_T0_PT8_S3_lS6_S3_lS4_PT9_S3_li.has_dyn_sized_stack, 0
	.set _ZL34rocblas_syrkx_herkx_general_kernelIl19rocblas_complex_numIdELi16ELi32ELi8ELb0ELb0ELc78ELc76EKS1_S1_EviT_T0_PT8_S3_lS6_S3_lS4_PT9_S3_li.has_recursion, 0
	.set _ZL34rocblas_syrkx_herkx_general_kernelIl19rocblas_complex_numIdELi16ELi32ELi8ELb0ELb0ELc78ELc76EKS1_S1_EviT_T0_PT8_S3_lS6_S3_lS4_PT9_S3_li.has_indirect_call, 0
	.section	.AMDGPU.csdata,"",@progbits
; Kernel info:
; codeLenInByte = 3420
; TotalNumSgprs: 48
; NumVgprs: 61
; ScratchSize: 0
; MemoryBound: 1
; FloatMode: 240
; IeeeMode: 1
; LDSByteSize: 8192 bytes/workgroup (compile time only)
; SGPRBlocks: 8
; VGPRBlocks: 15
; NumSGPRsForWavesPerEU: 65
; NumVGPRsForWavesPerEU: 61
; Occupancy: 4
; WaveLimiterHint : 0
; COMPUTE_PGM_RSRC2:SCRATCH_EN: 0
; COMPUTE_PGM_RSRC2:USER_SGPR: 6
; COMPUTE_PGM_RSRC2:TRAP_HANDLER: 0
; COMPUTE_PGM_RSRC2:TGID_X_EN: 1
; COMPUTE_PGM_RSRC2:TGID_Y_EN: 1
; COMPUTE_PGM_RSRC2:TGID_Z_EN: 1
; COMPUTE_PGM_RSRC2:TIDIG_COMP_CNT: 1
	.section	.text._ZL34rocblas_syrkx_herkx_general_kernelIl19rocblas_complex_numIdELi16ELi32ELi8ELb0ELb0ELc84ELc85EKS1_S1_EviT_T0_PT8_S3_lS6_S3_lS4_PT9_S3_li,"axG",@progbits,_ZL34rocblas_syrkx_herkx_general_kernelIl19rocblas_complex_numIdELi16ELi32ELi8ELb0ELb0ELc84ELc85EKS1_S1_EviT_T0_PT8_S3_lS6_S3_lS4_PT9_S3_li,comdat
	.globl	_ZL34rocblas_syrkx_herkx_general_kernelIl19rocblas_complex_numIdELi16ELi32ELi8ELb0ELb0ELc84ELc85EKS1_S1_EviT_T0_PT8_S3_lS6_S3_lS4_PT9_S3_li ; -- Begin function _ZL34rocblas_syrkx_herkx_general_kernelIl19rocblas_complex_numIdELi16ELi32ELi8ELb0ELb0ELc84ELc85EKS1_S1_EviT_T0_PT8_S3_lS6_S3_lS4_PT9_S3_li
	.p2align	8
	.type	_ZL34rocblas_syrkx_herkx_general_kernelIl19rocblas_complex_numIdELi16ELi32ELi8ELb0ELb0ELc84ELc85EKS1_S1_EviT_T0_PT8_S3_lS6_S3_lS4_PT9_S3_li,@function
_ZL34rocblas_syrkx_herkx_general_kernelIl19rocblas_complex_numIdELi16ELi32ELi8ELb0ELb0ELc84ELc85EKS1_S1_EviT_T0_PT8_S3_lS6_S3_lS4_PT9_S3_li: ; @_ZL34rocblas_syrkx_herkx_general_kernelIl19rocblas_complex_numIdELi16ELi32ELi8ELb0ELb0ELc84ELc85EKS1_S1_EviT_T0_PT8_S3_lS6_S3_lS4_PT9_S3_li
; %bb.0:
	s_load_dwordx16 s[12:27], s[4:5], 0x8
	s_load_dword s9, s[4:5], 0x0
	s_load_dwordx4 s[28:31], s[4:5], 0x68
	s_load_dwordx8 s[36:43], s[4:5], 0x48
	s_lshl_b32 s10, s6, 5
	s_waitcnt lgkmcnt(0)
	v_cmp_lt_i64_e64 s[0:1], s[12:13], 1
	s_lshl_b32 s11, s7, 5
	s_and_b64 vcc, exec, s[0:1]
	s_cbranch_vccnz .LBB1226_11
; %bb.1:
	v_lshl_add_u32 v2, v1, 4, v0
	v_and_b32_e32 v5, 31, v2
	v_and_b32_e32 v29, 7, v0
	v_lshrrev_b32_e32 v3, 3, v2
	v_lshrrev_b32_e32 v28, 5, v2
	v_lshlrev_b32_e32 v2, 4, v5
	v_lshlrev_b32_e32 v8, 4, v29
	v_lshl_or_b32 v30, v28, 9, v2
	v_lshl_or_b32 v2, v3, 7, v8
	v_add_u32_e32 v31, 0x1000, v2
	v_add_u32_e32 v2, s10, v5
	v_add_u32_e32 v4, s11, v3
	v_ashrrev_i32_e32 v3, 31, v2
	v_or_b32_e32 v6, s10, v5
	v_mul_lo_u32 v5, s20, v3
	v_mul_lo_u32 v7, s21, v2
	v_mad_u64_u32 v[2:3], s[2:3], s20, v2, 0
	s_mul_i32 s2, s23, s8
	s_mul_hi_u32 s3, s22, s8
	v_add3_u32 v3, v3, v5, v7
	v_lshlrev_b64 v[2:3], 4, v[2:3]
	s_add_i32 s3, s3, s2
	s_mul_i32 s2, s22, s8
	s_lshl_b64 s[2:3], s[2:3], 4
	v_mov_b32_e32 v5, s3
	v_add_co_u32_e64 v2, s[2:3], s2, v2
	v_addc_co_u32_e64 v3, s[2:3], v3, v5, s[2:3]
	v_lshlrev_b32_e32 v5, 4, v28
	v_cmp_gt_i32_e32 vcc, s9, v6
	v_ashrrev_i32_e32 v6, 31, v4
	v_add_co_u32_e64 v5, s[2:3], v2, v5
	v_addc_co_u32_e64 v7, s[2:3], 0, v3, s[2:3]
	v_mul_lo_u32 v10, s26, v6
	v_mul_lo_u32 v11, s27, v4
	v_mad_u64_u32 v[2:3], s[2:3], s26, v4, 0
	v_mov_b32_e32 v9, 0x1000
	v_lshl_add_u32 v33, v1, 7, v9
	v_mov_b32_e32 v9, s19
	v_add_co_u32_e64 v6, s[2:3], s18, v5
	v_addc_co_u32_e64 v7, s[2:3], v9, v7, s[2:3]
	v_add3_u32 v3, v3, v10, v11
	s_mul_i32 s2, s37, s8
	s_mul_hi_u32 s3, s36, s8
	v_lshlrev_b64 v[2:3], 4, v[2:3]
	s_add_i32 s3, s3, s2
	s_mul_i32 s2, s36, s8
	s_lshl_b64 s[2:3], s[2:3], 4
	v_cmp_gt_i32_e64 s[0:1], s9, v4
	v_mov_b32_e32 v4, s3
	v_add_co_u32_e64 v2, s[2:3], s2, v2
	v_addc_co_u32_e64 v3, s[2:3], v3, v4, s[2:3]
	v_add_co_u32_e64 v2, s[2:3], v2, v8
	v_addc_co_u32_e64 v3, s[2:3], 0, v3, s[2:3]
	v_mov_b32_e32 v4, s25
	v_add_co_u32_e64 v8, s[2:3], s24, v2
	v_addc_co_u32_e64 v9, s[2:3], v4, v3, s[2:3]
	v_mov_b32_e32 v26, 0
	v_mov_b32_e32 v10, s12
	;; [unrolled: 1-line block ×9, first 2 shown]
	v_lshlrev_b32_e32 v32, 4, v0
	s_mov_b64 s[2:3], 0
	v_mov_b32_e32 v27, 0
	s_xor_b64 s[4:5], vcc, -1
	s_xor_b64 s[0:1], s[0:1], -1
	v_mov_b32_e32 v11, s13
	v_mov_b32_e32 v25, 0
	;; [unrolled: 1-line block ×9, first 2 shown]
	s_branch .LBB1226_3
.LBB1226_2:                             ;   in Loop: Header=BB1226_3 Depth=1
	s_or_b64 exec, exec, s[6:7]
	s_waitcnt lgkmcnt(0)
	s_barrier
	ds_read_b128 v[34:37], v33
	ds_read_b128 v[38:41], v33 offset:16
	ds_read_b128 v[42:45], v33 offset:32
	;; [unrolled: 1-line block ×3, first 2 shown]
	ds_read_b128 v[50:53], v32
	v_add_co_u32_e32 v6, vcc, 0x80, v6
	v_addc_co_u32_e32 v7, vcc, 0, v7, vcc
	s_waitcnt lgkmcnt(0)
	v_mul_f64 v[3:4], v[36:37], v[52:53]
	v_mul_f64 v[54:55], v[34:35], v[52:53]
	s_add_u32 s2, s2, 8
	v_add_co_u32_e32 v8, vcc, 0x80, v8
	s_addc_u32 s3, s3, 0
	v_addc_co_u32_e32 v9, vcc, 0, v9, vcc
	v_fma_f64 v[3:4], v[34:35], v[50:51], -v[3:4]
	v_fma_f64 v[54:55], v[36:37], v[50:51], v[54:55]
	v_cmp_ge_i64_e32 vcc, s[2:3], v[10:11]
	s_and_b64 vcc, exec, vcc
	v_add_f64 v[3:4], v[20:21], v[3:4]
	v_add_f64 v[54:55], v[54:55], v[22:23]
	ds_read_b128 v[20:23], v32 offset:256
	s_waitcnt lgkmcnt(0)
	v_mul_f64 v[56:57], v[36:37], v[22:23]
	v_fma_f64 v[56:57], v[34:35], v[20:21], -v[56:57]
	v_mul_f64 v[34:35], v[34:35], v[22:23]
	v_fma_f64 v[34:35], v[36:37], v[20:21], v[34:35]
	v_add_f64 v[36:37], v[12:13], v[56:57]
	v_add_f64 v[34:35], v[34:35], v[14:15]
	ds_read_b128 v[12:15], v33 offset:2048
	s_waitcnt lgkmcnt(0)
	v_mul_f64 v[56:57], v[14:15], v[52:53]
	v_mul_f64 v[52:53], v[12:13], v[52:53]
	v_fma_f64 v[56:57], v[12:13], v[50:51], -v[56:57]
	v_fma_f64 v[50:51], v[14:15], v[50:51], v[52:53]
	v_add_f64 v[52:53], v[16:17], v[56:57]
	v_mul_f64 v[16:17], v[14:15], v[22:23]
	v_add_f64 v[50:51], v[50:51], v[18:19]
	v_fma_f64 v[16:17], v[12:13], v[20:21], -v[16:17]
	v_mul_f64 v[12:13], v[12:13], v[22:23]
	v_add_f64 v[24:25], v[24:25], v[16:17]
	v_fma_f64 v[12:13], v[14:15], v[20:21], v[12:13]
	v_add_f64 v[26:27], v[12:13], v[26:27]
	ds_read_b128 v[12:15], v32 offset:512
	s_waitcnt lgkmcnt(0)
	v_mul_f64 v[16:17], v[40:41], v[14:15]
	v_mul_f64 v[18:19], v[38:39], v[14:15]
	v_fma_f64 v[16:17], v[38:39], v[12:13], -v[16:17]
	v_fma_f64 v[18:19], v[40:41], v[12:13], v[18:19]
	v_add_f64 v[3:4], v[3:4], v[16:17]
	v_add_f64 v[54:55], v[18:19], v[54:55]
	ds_read_b128 v[16:19], v32 offset:768
	s_waitcnt lgkmcnt(0)
	v_mul_f64 v[20:21], v[40:41], v[18:19]
	v_mul_f64 v[22:23], v[38:39], v[18:19]
	v_fma_f64 v[20:21], v[38:39], v[16:17], -v[20:21]
	v_fma_f64 v[22:23], v[40:41], v[16:17], v[22:23]
	v_add_f64 v[36:37], v[36:37], v[20:21]
	v_add_f64 v[34:35], v[22:23], v[34:35]
	ds_read_b128 v[20:23], v33 offset:2064
	s_waitcnt lgkmcnt(0)
	v_mul_f64 v[38:39], v[22:23], v[14:15]
	v_mul_f64 v[14:15], v[20:21], v[14:15]
	v_fma_f64 v[38:39], v[20:21], v[12:13], -v[38:39]
	v_fma_f64 v[12:13], v[22:23], v[12:13], v[14:15]
	v_mul_f64 v[14:15], v[20:21], v[18:19]
	v_add_f64 v[38:39], v[52:53], v[38:39]
	v_add_f64 v[40:41], v[12:13], v[50:51]
	v_mul_f64 v[12:13], v[22:23], v[18:19]
	v_fma_f64 v[14:15], v[22:23], v[16:17], v[14:15]
	v_fma_f64 v[12:13], v[20:21], v[16:17], -v[12:13]
	v_add_f64 v[26:27], v[14:15], v[26:27]
	v_add_f64 v[24:25], v[24:25], v[12:13]
	ds_read_b128 v[12:15], v32 offset:1024
	s_waitcnt lgkmcnt(0)
	v_mul_f64 v[16:17], v[44:45], v[14:15]
	v_mul_f64 v[18:19], v[42:43], v[14:15]
	v_fma_f64 v[16:17], v[42:43], v[12:13], -v[16:17]
	v_fma_f64 v[18:19], v[44:45], v[12:13], v[18:19]
	v_add_f64 v[3:4], v[3:4], v[16:17]
	v_add_f64 v[50:51], v[18:19], v[54:55]
	ds_read_b128 v[16:19], v32 offset:1280
	s_waitcnt lgkmcnt(0)
	v_mul_f64 v[20:21], v[44:45], v[18:19]
	v_mul_f64 v[22:23], v[42:43], v[18:19]
	v_fma_f64 v[20:21], v[42:43], v[16:17], -v[20:21]
	v_fma_f64 v[22:23], v[44:45], v[16:17], v[22:23]
	v_add_f64 v[36:37], v[36:37], v[20:21]
	v_add_f64 v[34:35], v[22:23], v[34:35]
	ds_read_b128 v[20:23], v33 offset:2080
	s_waitcnt lgkmcnt(0)
	v_mul_f64 v[42:43], v[22:23], v[14:15]
	v_mul_f64 v[14:15], v[20:21], v[14:15]
	v_fma_f64 v[42:43], v[20:21], v[12:13], -v[42:43]
	v_fma_f64 v[12:13], v[22:23], v[12:13], v[14:15]
	v_mul_f64 v[14:15], v[20:21], v[18:19]
	v_add_f64 v[38:39], v[38:39], v[42:43]
	v_add_f64 v[40:41], v[12:13], v[40:41]
	v_mul_f64 v[12:13], v[22:23], v[18:19]
	v_fma_f64 v[14:15], v[22:23], v[16:17], v[14:15]
	v_fma_f64 v[12:13], v[20:21], v[16:17], -v[12:13]
	v_add_f64 v[26:27], v[14:15], v[26:27]
	v_add_f64 v[24:25], v[24:25], v[12:13]
	ds_read_b128 v[12:15], v32 offset:1536
	s_waitcnt lgkmcnt(0)
	v_mul_f64 v[16:17], v[48:49], v[14:15]
	v_mul_f64 v[18:19], v[46:47], v[14:15]
	v_fma_f64 v[16:17], v[46:47], v[12:13], -v[16:17]
	v_fma_f64 v[18:19], v[48:49], v[12:13], v[18:19]
	v_add_f64 v[3:4], v[3:4], v[16:17]
	v_add_f64 v[42:43], v[18:19], v[50:51]
	ds_read_b128 v[16:19], v32 offset:1792
	s_waitcnt lgkmcnt(0)
	v_mul_f64 v[20:21], v[48:49], v[18:19]
	v_mul_f64 v[22:23], v[46:47], v[18:19]
	v_fma_f64 v[20:21], v[46:47], v[16:17], -v[20:21]
	v_fma_f64 v[22:23], v[48:49], v[16:17], v[22:23]
	v_add_f64 v[36:37], v[36:37], v[20:21]
	v_add_f64 v[34:35], v[22:23], v[34:35]
	ds_read_b128 v[20:23], v33 offset:2096
	s_waitcnt lgkmcnt(0)
	v_mul_f64 v[44:45], v[22:23], v[14:15]
	v_mul_f64 v[14:15], v[20:21], v[14:15]
	v_fma_f64 v[44:45], v[20:21], v[12:13], -v[44:45]
	v_fma_f64 v[12:13], v[22:23], v[12:13], v[14:15]
	v_mul_f64 v[14:15], v[20:21], v[18:19]
	v_add_f64 v[38:39], v[38:39], v[44:45]
	v_add_f64 v[40:41], v[12:13], v[40:41]
	v_mul_f64 v[12:13], v[22:23], v[18:19]
	v_fma_f64 v[14:15], v[22:23], v[16:17], v[14:15]
	v_fma_f64 v[12:13], v[20:21], v[16:17], -v[12:13]
	v_add_f64 v[26:27], v[14:15], v[26:27]
	v_add_f64 v[24:25], v[24:25], v[12:13]
	ds_read_b128 v[12:15], v33 offset:64
	ds_read_b128 v[16:19], v32 offset:2048
	s_waitcnt lgkmcnt(0)
	v_mul_f64 v[20:21], v[14:15], v[18:19]
	v_mul_f64 v[22:23], v[12:13], v[18:19]
	v_fma_f64 v[20:21], v[12:13], v[16:17], -v[20:21]
	v_fma_f64 v[22:23], v[14:15], v[16:17], v[22:23]
	v_add_f64 v[3:4], v[3:4], v[20:21]
	v_add_f64 v[42:43], v[22:23], v[42:43]
	ds_read_b128 v[20:23], v32 offset:2304
	s_waitcnt lgkmcnt(0)
	v_mul_f64 v[44:45], v[14:15], v[22:23]
	v_fma_f64 v[44:45], v[12:13], v[20:21], -v[44:45]
	v_mul_f64 v[12:13], v[12:13], v[22:23]
	v_add_f64 v[36:37], v[36:37], v[44:45]
	v_fma_f64 v[12:13], v[14:15], v[20:21], v[12:13]
	v_add_f64 v[34:35], v[12:13], v[34:35]
	ds_read_b128 v[12:15], v33 offset:2112
	s_waitcnt lgkmcnt(0)
	v_mul_f64 v[44:45], v[14:15], v[18:19]
	v_mul_f64 v[18:19], v[12:13], v[18:19]
	v_fma_f64 v[44:45], v[12:13], v[16:17], -v[44:45]
	v_fma_f64 v[16:17], v[14:15], v[16:17], v[18:19]
	v_add_f64 v[38:39], v[38:39], v[44:45]
	v_add_f64 v[40:41], v[16:17], v[40:41]
	v_mul_f64 v[16:17], v[14:15], v[22:23]
	v_fma_f64 v[16:17], v[12:13], v[20:21], -v[16:17]
	v_mul_f64 v[12:13], v[12:13], v[22:23]
	v_add_f64 v[24:25], v[24:25], v[16:17]
	v_fma_f64 v[12:13], v[14:15], v[20:21], v[12:13]
	v_add_f64 v[26:27], v[12:13], v[26:27]
	ds_read_b128 v[12:15], v33 offset:80
	ds_read_b128 v[16:19], v32 offset:2560
	s_waitcnt lgkmcnt(0)
	v_mul_f64 v[20:21], v[14:15], v[18:19]
	v_mul_f64 v[22:23], v[12:13], v[18:19]
	v_fma_f64 v[20:21], v[12:13], v[16:17], -v[20:21]
	v_fma_f64 v[22:23], v[14:15], v[16:17], v[22:23]
	v_add_f64 v[3:4], v[3:4], v[20:21]
	v_add_f64 v[42:43], v[22:23], v[42:43]
	ds_read_b128 v[20:23], v32 offset:2816
	s_waitcnt lgkmcnt(0)
	v_mul_f64 v[44:45], v[14:15], v[22:23]
	v_fma_f64 v[44:45], v[12:13], v[20:21], -v[44:45]
	v_mul_f64 v[12:13], v[12:13], v[22:23]
	v_add_f64 v[36:37], v[36:37], v[44:45]
	v_fma_f64 v[12:13], v[14:15], v[20:21], v[12:13]
	v_add_f64 v[34:35], v[12:13], v[34:35]
	ds_read_b128 v[12:15], v33 offset:2128
	s_waitcnt lgkmcnt(0)
	v_mul_f64 v[44:45], v[14:15], v[18:19]
	v_mul_f64 v[18:19], v[12:13], v[18:19]
	v_fma_f64 v[44:45], v[12:13], v[16:17], -v[44:45]
	v_fma_f64 v[16:17], v[14:15], v[16:17], v[18:19]
	v_add_f64 v[38:39], v[38:39], v[44:45]
	v_add_f64 v[40:41], v[16:17], v[40:41]
	v_mul_f64 v[16:17], v[14:15], v[22:23]
	v_fma_f64 v[16:17], v[12:13], v[20:21], -v[16:17]
	v_mul_f64 v[12:13], v[12:13], v[22:23]
	v_add_f64 v[24:25], v[24:25], v[16:17]
	v_fma_f64 v[12:13], v[14:15], v[20:21], v[12:13]
	;; [unrolled: 31-line block ×3, first 2 shown]
	v_add_f64 v[46:47], v[12:13], v[26:27]
	ds_read_b128 v[12:15], v33 offset:112
	ds_read_b128 v[16:19], v32 offset:3584
	;; [unrolled: 1-line block ×3, first 2 shown]
	s_waitcnt lgkmcnt(1)
	v_mul_f64 v[20:21], v[14:15], v[18:19]
	v_mul_f64 v[22:23], v[12:13], v[18:19]
	v_fma_f64 v[20:21], v[12:13], v[16:17], -v[20:21]
	v_fma_f64 v[22:23], v[14:15], v[16:17], v[22:23]
	v_add_f64 v[20:21], v[3:4], v[20:21]
	s_waitcnt lgkmcnt(0)
	v_mul_f64 v[3:4], v[14:15], v[26:27]
	v_add_f64 v[22:23], v[22:23], v[42:43]
	v_fma_f64 v[3:4], v[12:13], v[24:25], -v[3:4]
	v_mul_f64 v[12:13], v[12:13], v[26:27]
	v_fma_f64 v[14:15], v[14:15], v[24:25], v[12:13]
	v_add_f64 v[12:13], v[36:37], v[3:4]
	v_add_f64 v[14:15], v[14:15], v[34:35]
	ds_read_b128 v[34:37], v33 offset:2160
	s_waitcnt lgkmcnt(0)
	s_barrier
	v_mul_f64 v[3:4], v[36:37], v[18:19]
	v_mul_f64 v[18:19], v[34:35], v[18:19]
	v_fma_f64 v[3:4], v[34:35], v[16:17], -v[3:4]
	v_fma_f64 v[18:19], v[36:37], v[16:17], v[18:19]
	v_add_f64 v[16:17], v[38:39], v[3:4]
	v_mul_f64 v[3:4], v[36:37], v[26:27]
	v_mul_f64 v[26:27], v[34:35], v[26:27]
	v_add_f64 v[18:19], v[18:19], v[40:41]
	v_fma_f64 v[3:4], v[34:35], v[24:25], -v[3:4]
	v_fma_f64 v[26:27], v[36:37], v[24:25], v[26:27]
	v_add_f64 v[24:25], v[44:45], v[3:4]
	v_add_f64 v[26:27], v[26:27], v[46:47]
	s_cbranch_vccnz .LBB1226_12
.LBB1226_3:                             ; =>This Inner Loop Header: Depth=1
	v_mov_b32_e32 v4, s3
	v_add_co_u32_e32 v3, vcc, s2, v28
	v_addc_co_u32_e32 v4, vcc, 0, v4, vcc
	v_cmp_le_i64_e32 vcc, s[12:13], v[3:4]
	s_or_b64 s[6:7], s[4:5], vcc
	s_and_saveexec_b64 s[18:19], s[6:7]
	s_xor_b64 s[6:7], exec, s[18:19]
; %bb.4:                                ;   in Loop: Header=BB1226_3 Depth=1
	v_mov_b32_e32 v3, v2
	v_mov_b32_e32 v4, v2
	;; [unrolled: 1-line block ×3, first 2 shown]
	ds_write_b128 v30, v[2:5]
; %bb.5:                                ;   in Loop: Header=BB1226_3 Depth=1
	s_andn2_saveexec_b64 s[6:7], s[6:7]
	s_cbranch_execz .LBB1226_7
; %bb.6:                                ;   in Loop: Header=BB1226_3 Depth=1
	global_load_dwordx4 v[34:37], v[6:7], off
	s_waitcnt vmcnt(0)
	ds_write2_b64 v30, v[34:35], v[36:37] offset1:1
.LBB1226_7:                             ;   in Loop: Header=BB1226_3 Depth=1
	s_or_b64 exec, exec, s[6:7]
	v_mov_b32_e32 v4, s3
	v_add_co_u32_e32 v3, vcc, s2, v29
	v_addc_co_u32_e32 v4, vcc, 0, v4, vcc
	v_cmp_le_i64_e32 vcc, s[12:13], v[3:4]
	s_or_b64 s[6:7], vcc, s[0:1]
	s_and_saveexec_b64 s[18:19], s[6:7]
	s_xor_b64 s[6:7], exec, s[18:19]
; %bb.8:                                ;   in Loop: Header=BB1226_3 Depth=1
	v_mov_b32_e32 v3, v2
	v_mov_b32_e32 v4, v2
	;; [unrolled: 1-line block ×3, first 2 shown]
	ds_write_b128 v31, v[2:5]
; %bb.9:                                ;   in Loop: Header=BB1226_3 Depth=1
	s_andn2_saveexec_b64 s[6:7], s[6:7]
	s_cbranch_execz .LBB1226_2
; %bb.10:                               ;   in Loop: Header=BB1226_3 Depth=1
	global_load_dwordx4 v[34:37], v[8:9], off
	s_waitcnt vmcnt(0)
	ds_write2_b64 v31, v[34:35], v[36:37] offset1:1
	s_branch .LBB1226_2
.LBB1226_11:
	v_mov_b32_e32 v20, 0
	v_mov_b32_e32 v22, 0
	;; [unrolled: 1-line block ×16, first 2 shown]
.LBB1226_12:
	v_add_u32_e32 v4, s11, v1
	v_ashrrev_i32_e32 v1, 31, v4
	v_mul_lo_u32 v3, s28, v1
	v_mul_lo_u32 v5, s29, v4
	v_mad_u64_u32 v[1:2], s[2:3], s28, v4, 0
	s_mul_i32 s0, s31, s8
	s_mul_hi_u32 s1, s30, s8
	s_add_i32 s1, s1, s0
	s_mul_i32 s0, s30, s8
	s_lshl_b64 s[0:1], s[0:1], 4
	v_add3_u32 v2, v2, v3, v5
	s_add_u32 s4, s42, s0
	v_lshlrev_b64 v[1:2], 4, v[1:2]
	s_addc_u32 s5, s43, s1
	v_mov_b32_e32 v3, s5
	v_add_co_u32_e64 v5, s[0:1], s4, v1
	v_add_u32_e32 v0, s10, v0
	v_addc_co_u32_e64 v6, s[0:1], v3, v2, s[0:1]
	v_cmp_gt_i32_e32 vcc, s9, v4
	v_cmp_le_i32_e64 s[0:1], v0, v4
	s_and_b64 s[0:1], vcc, s[0:1]
	s_and_saveexec_b64 s[2:3], s[0:1]
	s_cbranch_execz .LBB1226_14
; %bb.13:
	v_ashrrev_i32_e32 v1, 31, v0
	v_lshlrev_b64 v[1:2], 4, v[0:1]
	v_mul_f64 v[28:29], s[16:17], v[22:23]
	v_add_co_u32_e64 v1, s[0:1], v5, v1
	v_addc_co_u32_e64 v2, s[0:1], v6, v2, s[0:1]
	global_load_dwordx4 v[7:10], v[1:2], off
	v_mul_f64 v[22:23], s[14:15], v[22:23]
	v_fma_f64 v[28:29], s[14:15], v[20:21], -v[28:29]
	v_fma_f64 v[20:21], s[16:17], v[20:21], v[22:23]
	s_waitcnt vmcnt(0)
	v_mul_f64 v[30:31], s[40:41], v[9:10]
	v_mul_f64 v[9:10], s[38:39], v[9:10]
	v_fma_f64 v[22:23], s[38:39], v[7:8], -v[30:31]
	v_fma_f64 v[9:10], s[40:41], v[7:8], v[9:10]
	v_add_f64 v[7:8], v[28:29], v[22:23]
	v_add_f64 v[9:10], v[20:21], v[9:10]
	global_store_dwordx4 v[1:2], v[7:10], off
.LBB1226_14:
	s_or_b64 exec, exec, s[2:3]
	v_add_u32_e32 v2, 16, v0
	v_cmp_le_i32_e64 s[0:1], v2, v4
	s_and_b64 s[2:3], vcc, s[0:1]
	s_and_saveexec_b64 s[0:1], s[2:3]
	s_cbranch_execz .LBB1226_16
; %bb.15:
	v_ashrrev_i32_e32 v3, 31, v2
	v_lshlrev_b64 v[7:8], 4, v[2:3]
	v_mul_f64 v[20:21], s[16:17], v[14:15]
	v_add_co_u32_e32 v9, vcc, v5, v7
	v_addc_co_u32_e32 v10, vcc, v6, v8, vcc
	global_load_dwordx4 v[5:8], v[9:10], off
	v_mul_f64 v[14:15], s[14:15], v[14:15]
	v_fma_f64 v[20:21], s[14:15], v[12:13], -v[20:21]
	v_fma_f64 v[11:12], s[16:17], v[12:13], v[14:15]
	s_waitcnt vmcnt(0)
	v_mul_f64 v[22:23], s[40:41], v[7:8]
	v_mul_f64 v[7:8], s[38:39], v[7:8]
	v_fma_f64 v[13:14], s[38:39], v[5:6], -v[22:23]
	v_fma_f64 v[7:8], s[40:41], v[5:6], v[7:8]
	v_add_f64 v[5:6], v[20:21], v[13:14]
	v_add_f64 v[7:8], v[11:12], v[7:8]
	global_store_dwordx4 v[9:10], v[5:8], off
.LBB1226_16:
	s_or_b64 exec, exec, s[0:1]
	v_add_u32_e32 v3, 16, v4
	v_ashrrev_i32_e32 v1, 31, v3
	v_mul_lo_u32 v1, s28, v1
	v_mul_lo_u32 v6, s29, v3
	v_mad_u64_u32 v[4:5], s[0:1], s28, v3, 0
	v_cmp_gt_i32_e32 vcc, s9, v3
	v_add3_u32 v5, v5, v1, v6
	v_lshlrev_b64 v[4:5], 4, v[4:5]
	v_mov_b32_e32 v1, s5
	v_add_co_u32_e64 v4, s[0:1], s4, v4
	v_addc_co_u32_e64 v5, s[0:1], v1, v5, s[0:1]
	v_cmp_le_i32_e64 s[0:1], v0, v3
	s_and_b64 s[0:1], vcc, s[0:1]
	s_and_saveexec_b64 s[2:3], s[0:1]
	s_cbranch_execz .LBB1226_18
; %bb.17:
	v_ashrrev_i32_e32 v1, 31, v0
	v_lshlrev_b64 v[0:1], 4, v[0:1]
	v_mul_f64 v[10:11], s[16:17], v[18:19]
	v_add_co_u32_e64 v0, s[0:1], v4, v0
	v_addc_co_u32_e64 v1, s[0:1], v5, v1, s[0:1]
	global_load_dwordx4 v[6:9], v[0:1], off
	v_mul_f64 v[12:13], s[14:15], v[18:19]
	v_fma_f64 v[10:11], s[14:15], v[16:17], -v[10:11]
	v_fma_f64 v[12:13], s[16:17], v[16:17], v[12:13]
	s_waitcnt vmcnt(0)
	v_mul_f64 v[14:15], s[40:41], v[8:9]
	v_mul_f64 v[8:9], s[38:39], v[8:9]
	v_fma_f64 v[14:15], s[38:39], v[6:7], -v[14:15]
	v_fma_f64 v[8:9], s[40:41], v[6:7], v[8:9]
	v_add_f64 v[6:7], v[10:11], v[14:15]
	v_add_f64 v[8:9], v[12:13], v[8:9]
	global_store_dwordx4 v[0:1], v[6:9], off
.LBB1226_18:
	s_or_b64 exec, exec, s[2:3]
	v_cmp_le_i32_e64 s[0:1], v2, v3
	s_and_b64 s[0:1], vcc, s[0:1]
	s_and_saveexec_b64 s[2:3], s[0:1]
	s_cbranch_execz .LBB1226_20
; %bb.19:
	v_ashrrev_i32_e32 v3, 31, v2
	v_lshlrev_b64 v[0:1], 4, v[2:3]
	v_mul_f64 v[6:7], s[16:17], v[26:27]
	v_add_co_u32_e32 v4, vcc, v4, v0
	v_addc_co_u32_e32 v5, vcc, v5, v1, vcc
	global_load_dwordx4 v[0:3], v[4:5], off
	v_mul_f64 v[8:9], s[14:15], v[26:27]
	v_fma_f64 v[6:7], s[14:15], v[24:25], -v[6:7]
	v_fma_f64 v[8:9], s[16:17], v[24:25], v[8:9]
	s_waitcnt vmcnt(0)
	v_mul_f64 v[10:11], s[40:41], v[2:3]
	v_mul_f64 v[2:3], s[38:39], v[2:3]
	v_fma_f64 v[10:11], s[38:39], v[0:1], -v[10:11]
	v_fma_f64 v[2:3], s[40:41], v[0:1], v[2:3]
	v_add_f64 v[0:1], v[6:7], v[10:11]
	v_add_f64 v[2:3], v[8:9], v[2:3]
	global_store_dwordx4 v[4:5], v[0:3], off
.LBB1226_20:
	s_endpgm
	.section	.rodata,"a",@progbits
	.p2align	6, 0x0
	.amdhsa_kernel _ZL34rocblas_syrkx_herkx_general_kernelIl19rocblas_complex_numIdELi16ELi32ELi8ELb0ELb0ELc84ELc85EKS1_S1_EviT_T0_PT8_S3_lS6_S3_lS4_PT9_S3_li
		.amdhsa_group_segment_fixed_size 8192
		.amdhsa_private_segment_fixed_size 0
		.amdhsa_kernarg_size 124
		.amdhsa_user_sgpr_count 6
		.amdhsa_user_sgpr_private_segment_buffer 1
		.amdhsa_user_sgpr_dispatch_ptr 0
		.amdhsa_user_sgpr_queue_ptr 0
		.amdhsa_user_sgpr_kernarg_segment_ptr 1
		.amdhsa_user_sgpr_dispatch_id 0
		.amdhsa_user_sgpr_flat_scratch_init 0
		.amdhsa_user_sgpr_private_segment_size 0
		.amdhsa_uses_dynamic_stack 0
		.amdhsa_system_sgpr_private_segment_wavefront_offset 0
		.amdhsa_system_sgpr_workgroup_id_x 1
		.amdhsa_system_sgpr_workgroup_id_y 1
		.amdhsa_system_sgpr_workgroup_id_z 1
		.amdhsa_system_sgpr_workgroup_info 0
		.amdhsa_system_vgpr_workitem_id 1
		.amdhsa_next_free_vgpr 58
		.amdhsa_next_free_sgpr 61
		.amdhsa_reserve_vcc 1
		.amdhsa_reserve_flat_scratch 0
		.amdhsa_float_round_mode_32 0
		.amdhsa_float_round_mode_16_64 0
		.amdhsa_float_denorm_mode_32 3
		.amdhsa_float_denorm_mode_16_64 3
		.amdhsa_dx10_clamp 1
		.amdhsa_ieee_mode 1
		.amdhsa_fp16_overflow 0
		.amdhsa_exception_fp_ieee_invalid_op 0
		.amdhsa_exception_fp_denorm_src 0
		.amdhsa_exception_fp_ieee_div_zero 0
		.amdhsa_exception_fp_ieee_overflow 0
		.amdhsa_exception_fp_ieee_underflow 0
		.amdhsa_exception_fp_ieee_inexact 0
		.amdhsa_exception_int_div_zero 0
	.end_amdhsa_kernel
	.section	.text._ZL34rocblas_syrkx_herkx_general_kernelIl19rocblas_complex_numIdELi16ELi32ELi8ELb0ELb0ELc84ELc85EKS1_S1_EviT_T0_PT8_S3_lS6_S3_lS4_PT9_S3_li,"axG",@progbits,_ZL34rocblas_syrkx_herkx_general_kernelIl19rocblas_complex_numIdELi16ELi32ELi8ELb0ELb0ELc84ELc85EKS1_S1_EviT_T0_PT8_S3_lS6_S3_lS4_PT9_S3_li,comdat
.Lfunc_end1226:
	.size	_ZL34rocblas_syrkx_herkx_general_kernelIl19rocblas_complex_numIdELi16ELi32ELi8ELb0ELb0ELc84ELc85EKS1_S1_EviT_T0_PT8_S3_lS6_S3_lS4_PT9_S3_li, .Lfunc_end1226-_ZL34rocblas_syrkx_herkx_general_kernelIl19rocblas_complex_numIdELi16ELi32ELi8ELb0ELb0ELc84ELc85EKS1_S1_EviT_T0_PT8_S3_lS6_S3_lS4_PT9_S3_li
                                        ; -- End function
	.set _ZL34rocblas_syrkx_herkx_general_kernelIl19rocblas_complex_numIdELi16ELi32ELi8ELb0ELb0ELc84ELc85EKS1_S1_EviT_T0_PT8_S3_lS6_S3_lS4_PT9_S3_li.num_vgpr, 58
	.set _ZL34rocblas_syrkx_herkx_general_kernelIl19rocblas_complex_numIdELi16ELi32ELi8ELb0ELb0ELc84ELc85EKS1_S1_EviT_T0_PT8_S3_lS6_S3_lS4_PT9_S3_li.num_agpr, 0
	.set _ZL34rocblas_syrkx_herkx_general_kernelIl19rocblas_complex_numIdELi16ELi32ELi8ELb0ELb0ELc84ELc85EKS1_S1_EviT_T0_PT8_S3_lS6_S3_lS4_PT9_S3_li.numbered_sgpr, 44
	.set _ZL34rocblas_syrkx_herkx_general_kernelIl19rocblas_complex_numIdELi16ELi32ELi8ELb0ELb0ELc84ELc85EKS1_S1_EviT_T0_PT8_S3_lS6_S3_lS4_PT9_S3_li.num_named_barrier, 0
	.set _ZL34rocblas_syrkx_herkx_general_kernelIl19rocblas_complex_numIdELi16ELi32ELi8ELb0ELb0ELc84ELc85EKS1_S1_EviT_T0_PT8_S3_lS6_S3_lS4_PT9_S3_li.private_seg_size, 0
	.set _ZL34rocblas_syrkx_herkx_general_kernelIl19rocblas_complex_numIdELi16ELi32ELi8ELb0ELb0ELc84ELc85EKS1_S1_EviT_T0_PT8_S3_lS6_S3_lS4_PT9_S3_li.uses_vcc, 1
	.set _ZL34rocblas_syrkx_herkx_general_kernelIl19rocblas_complex_numIdELi16ELi32ELi8ELb0ELb0ELc84ELc85EKS1_S1_EviT_T0_PT8_S3_lS6_S3_lS4_PT9_S3_li.uses_flat_scratch, 0
	.set _ZL34rocblas_syrkx_herkx_general_kernelIl19rocblas_complex_numIdELi16ELi32ELi8ELb0ELb0ELc84ELc85EKS1_S1_EviT_T0_PT8_S3_lS6_S3_lS4_PT9_S3_li.has_dyn_sized_stack, 0
	.set _ZL34rocblas_syrkx_herkx_general_kernelIl19rocblas_complex_numIdELi16ELi32ELi8ELb0ELb0ELc84ELc85EKS1_S1_EviT_T0_PT8_S3_lS6_S3_lS4_PT9_S3_li.has_recursion, 0
	.set _ZL34rocblas_syrkx_herkx_general_kernelIl19rocblas_complex_numIdELi16ELi32ELi8ELb0ELb0ELc84ELc85EKS1_S1_EviT_T0_PT8_S3_lS6_S3_lS4_PT9_S3_li.has_indirect_call, 0
	.section	.AMDGPU.csdata,"",@progbits
; Kernel info:
; codeLenInByte = 3440
; TotalNumSgprs: 48
; NumVgprs: 58
; ScratchSize: 0
; MemoryBound: 0
; FloatMode: 240
; IeeeMode: 1
; LDSByteSize: 8192 bytes/workgroup (compile time only)
; SGPRBlocks: 8
; VGPRBlocks: 14
; NumSGPRsForWavesPerEU: 65
; NumVGPRsForWavesPerEU: 58
; Occupancy: 4
; WaveLimiterHint : 0
; COMPUTE_PGM_RSRC2:SCRATCH_EN: 0
; COMPUTE_PGM_RSRC2:USER_SGPR: 6
; COMPUTE_PGM_RSRC2:TRAP_HANDLER: 0
; COMPUTE_PGM_RSRC2:TGID_X_EN: 1
; COMPUTE_PGM_RSRC2:TGID_Y_EN: 1
; COMPUTE_PGM_RSRC2:TGID_Z_EN: 1
; COMPUTE_PGM_RSRC2:TIDIG_COMP_CNT: 1
	.section	.text._ZL34rocblas_syrkx_herkx_general_kernelIl19rocblas_complex_numIdELi16ELi32ELi8ELb0ELb0ELc67ELc85EKS1_S1_EviT_T0_PT8_S3_lS6_S3_lS4_PT9_S3_li,"axG",@progbits,_ZL34rocblas_syrkx_herkx_general_kernelIl19rocblas_complex_numIdELi16ELi32ELi8ELb0ELb0ELc67ELc85EKS1_S1_EviT_T0_PT8_S3_lS6_S3_lS4_PT9_S3_li,comdat
	.globl	_ZL34rocblas_syrkx_herkx_general_kernelIl19rocblas_complex_numIdELi16ELi32ELi8ELb0ELb0ELc67ELc85EKS1_S1_EviT_T0_PT8_S3_lS6_S3_lS4_PT9_S3_li ; -- Begin function _ZL34rocblas_syrkx_herkx_general_kernelIl19rocblas_complex_numIdELi16ELi32ELi8ELb0ELb0ELc67ELc85EKS1_S1_EviT_T0_PT8_S3_lS6_S3_lS4_PT9_S3_li
	.p2align	8
	.type	_ZL34rocblas_syrkx_herkx_general_kernelIl19rocblas_complex_numIdELi16ELi32ELi8ELb0ELb0ELc67ELc85EKS1_S1_EviT_T0_PT8_S3_lS6_S3_lS4_PT9_S3_li,@function
_ZL34rocblas_syrkx_herkx_general_kernelIl19rocblas_complex_numIdELi16ELi32ELi8ELb0ELb0ELc67ELc85EKS1_S1_EviT_T0_PT8_S3_lS6_S3_lS4_PT9_S3_li: ; @_ZL34rocblas_syrkx_herkx_general_kernelIl19rocblas_complex_numIdELi16ELi32ELi8ELb0ELb0ELc67ELc85EKS1_S1_EviT_T0_PT8_S3_lS6_S3_lS4_PT9_S3_li
; %bb.0:
	s_load_dwordx16 s[12:27], s[4:5], 0x8
	s_load_dword s9, s[4:5], 0x0
	s_load_dwordx4 s[28:31], s[4:5], 0x68
	s_load_dwordx8 s[36:43], s[4:5], 0x48
	s_lshl_b32 s10, s6, 5
	s_waitcnt lgkmcnt(0)
	v_cmp_lt_i64_e64 s[0:1], s[12:13], 1
	s_lshl_b32 s11, s7, 5
	s_and_b64 vcc, exec, s[0:1]
	s_cbranch_vccnz .LBB1227_9
; %bb.1:
	v_lshl_add_u32 v2, v1, 4, v0
	v_and_b32_e32 v5, 31, v2
	v_or_b32_e32 v6, s10, v5
	v_and_b32_e32 v30, 7, v0
	v_lshrrev_b32_e32 v3, 3, v2
	v_lshrrev_b32_e32 v29, 5, v2
	v_cmp_gt_i32_e64 s[0:1], s9, v6
	v_lshlrev_b32_e32 v2, 4, v5
	v_lshlrev_b32_e32 v6, 4, v30
	v_lshl_or_b32 v31, v29, 9, v2
	v_lshl_or_b32 v2, v3, 7, v6
	v_add_u32_e32 v32, 0x1000, v2
	v_add_u32_e32 v2, s10, v5
	;; [unrolled: 1-line block ×3, first 2 shown]
	v_ashrrev_i32_e32 v3, 31, v2
	v_mul_lo_u32 v5, s20, v3
	v_mul_lo_u32 v8, s21, v2
	v_mad_u64_u32 v[2:3], s[2:3], s20, v2, 0
	s_mul_i32 s2, s23, s8
	s_mul_hi_u32 s3, s22, s8
	v_add3_u32 v3, v3, v5, v8
	v_lshlrev_b64 v[2:3], 4, v[2:3]
	s_add_i32 s3, s3, s2
	s_mul_i32 s2, s22, s8
	s_lshl_b64 s[2:3], s[2:3], 4
	v_mov_b32_e32 v5, s3
	v_add_co_u32_e64 v2, s[2:3], s2, v2
	v_addc_co_u32_e64 v3, s[2:3], v3, v5, s[2:3]
	v_lshlrev_b32_e32 v5, 4, v29
	v_add_co_u32_e64 v2, s[2:3], v2, v5
	v_addc_co_u32_e64 v3, s[2:3], 0, v3, s[2:3]
	v_ashrrev_i32_e32 v7, 31, v4
	v_mov_b32_e32 v9, 0x1000
	v_mov_b32_e32 v5, s19
	v_add_co_u32_e64 v8, s[2:3], s18, v2
	v_lshl_add_u32 v34, v1, 7, v9
	v_addc_co_u32_e64 v5, s[2:3], v5, v3, s[2:3]
	v_mul_lo_u32 v9, s26, v7
	v_mul_lo_u32 v10, s27, v4
	v_mad_u64_u32 v[2:3], s[2:3], s26, v4, 0
	v_add_co_u32_e64 v7, s[2:3], 8, v8
	v_addc_co_u32_e64 v8, s[2:3], 0, v5, s[2:3]
	v_add3_u32 v3, v3, v9, v10
	s_mul_i32 s2, s37, s8
	s_mul_hi_u32 s3, s36, s8
	v_lshlrev_b64 v[2:3], 4, v[2:3]
	s_add_i32 s3, s3, s2
	s_mul_i32 s2, s36, s8
	s_lshl_b64 s[2:3], s[2:3], 4
	v_cmp_gt_i32_e32 vcc, s9, v4
	v_mov_b32_e32 v4, s3
	v_add_co_u32_e64 v2, s[2:3], s2, v2
	v_addc_co_u32_e64 v3, s[2:3], v3, v4, s[2:3]
	v_add_co_u32_e64 v2, s[2:3], v2, v6
	v_addc_co_u32_e64 v3, s[2:3], 0, v3, s[2:3]
	v_mov_b32_e32 v4, s25
	v_add_co_u32_e64 v9, s[2:3], s24, v2
	v_addc_co_u32_e64 v10, s[2:3], v4, v3, s[2:3]
	v_mov_b32_e32 v27, 0
	v_mov_b32_e32 v11, s12
	;; [unrolled: 1-line block ×9, first 2 shown]
	v_lshlrev_b32_e32 v33, 4, v0
	s_mov_b64 s[2:3], 0
	v_mov_b32_e32 v28, 0
	s_xor_b64 s[4:5], vcc, -1
	v_mov_b32_e32 v12, s13
	v_mov_b32_e32 v26, 0
	;; [unrolled: 1-line block ×9, first 2 shown]
	s_branch .LBB1227_3
.LBB1227_2:                             ;   in Loop: Header=BB1227_3 Depth=1
	s_or_b64 exec, exec, s[6:7]
	s_waitcnt lgkmcnt(0)
	s_barrier
	ds_read_b128 v[3:6], v34
	ds_read_b128 v[35:38], v34 offset:16
	ds_read_b128 v[39:42], v34 offset:32
	;; [unrolled: 1-line block ×3, first 2 shown]
	ds_read_b128 v[47:50], v33
	v_add_co_u32_e32 v7, vcc, 0x80, v7
	v_addc_co_u32_e32 v8, vcc, 0, v8, vcc
	s_waitcnt lgkmcnt(0)
	v_mul_f64 v[51:52], v[5:6], v[49:50]
	v_mul_f64 v[53:54], v[3:4], v[49:50]
	s_add_u32 s2, s2, 8
	v_add_co_u32_e32 v9, vcc, 0x80, v9
	s_addc_u32 s3, s3, 0
	v_addc_co_u32_e32 v10, vcc, 0, v10, vcc
	v_fma_f64 v[51:52], v[3:4], v[47:48], -v[51:52]
	v_fma_f64 v[53:54], v[5:6], v[47:48], v[53:54]
	v_cmp_ge_i64_e32 vcc, s[2:3], v[11:12]
	s_and_b64 vcc, exec, vcc
	v_add_f64 v[51:52], v[21:22], v[51:52]
	v_add_f64 v[53:54], v[53:54], v[23:24]
	ds_read_b128 v[21:24], v33 offset:256
	s_waitcnt lgkmcnt(0)
	v_mul_f64 v[55:56], v[5:6], v[23:24]
	v_fma_f64 v[55:56], v[3:4], v[21:22], -v[55:56]
	v_mul_f64 v[3:4], v[3:4], v[23:24]
	v_add_f64 v[55:56], v[13:14], v[55:56]
	v_fma_f64 v[3:4], v[5:6], v[21:22], v[3:4]
	v_add_f64 v[57:58], v[3:4], v[15:16]
	ds_read_b128 v[3:6], v34 offset:2048
	s_waitcnt lgkmcnt(0)
	v_mul_f64 v[13:14], v[5:6], v[49:50]
	v_mul_f64 v[15:16], v[3:4], v[49:50]
	v_fma_f64 v[13:14], v[3:4], v[47:48], -v[13:14]
	v_fma_f64 v[15:16], v[5:6], v[47:48], v[15:16]
	v_add_f64 v[47:48], v[17:18], v[13:14]
	v_mul_f64 v[13:14], v[5:6], v[23:24]
	v_add_f64 v[49:50], v[15:16], v[19:20]
	v_fma_f64 v[13:14], v[3:4], v[21:22], -v[13:14]
	v_mul_f64 v[3:4], v[3:4], v[23:24]
	v_fma_f64 v[3:4], v[5:6], v[21:22], v[3:4]
	v_add_f64 v[21:22], v[25:26], v[13:14]
	v_add_f64 v[23:24], v[3:4], v[27:28]
	ds_read_b128 v[3:6], v33 offset:512
	s_waitcnt lgkmcnt(0)
	v_mul_f64 v[13:14], v[37:38], v[5:6]
	v_mul_f64 v[15:16], v[35:36], v[5:6]
	v_fma_f64 v[13:14], v[35:36], v[3:4], -v[13:14]
	v_fma_f64 v[15:16], v[37:38], v[3:4], v[15:16]
	v_add_f64 v[25:26], v[51:52], v[13:14]
	v_add_f64 v[27:28], v[15:16], v[53:54]
	ds_read_b128 v[13:16], v33 offset:768
	s_waitcnt lgkmcnt(0)
	v_mul_f64 v[17:18], v[37:38], v[15:16]
	v_mul_f64 v[19:20], v[35:36], v[15:16]
	v_fma_f64 v[17:18], v[35:36], v[13:14], -v[17:18]
	;; [unrolled: 8-line block ×3, first 2 shown]
	v_fma_f64 v[3:4], v[19:20], v[3:4], v[5:6]
	v_mul_f64 v[5:6], v[17:18], v[15:16]
	v_add_f64 v[47:48], v[47:48], v[51:52]
	v_add_f64 v[49:50], v[3:4], v[49:50]
	v_mul_f64 v[3:4], v[19:20], v[15:16]
	v_fma_f64 v[5:6], v[19:20], v[13:14], v[5:6]
	v_fma_f64 v[3:4], v[17:18], v[13:14], -v[3:4]
	v_add_f64 v[23:24], v[5:6], v[23:24]
	v_add_f64 v[21:22], v[21:22], v[3:4]
	ds_read_b128 v[3:6], v33 offset:1024
	s_waitcnt lgkmcnt(0)
	v_mul_f64 v[13:14], v[41:42], v[5:6]
	v_mul_f64 v[15:16], v[39:40], v[5:6]
	v_fma_f64 v[13:14], v[39:40], v[3:4], -v[13:14]
	v_fma_f64 v[15:16], v[41:42], v[3:4], v[15:16]
	v_add_f64 v[25:26], v[25:26], v[13:14]
	v_add_f64 v[27:28], v[15:16], v[27:28]
	ds_read_b128 v[13:16], v33 offset:1280
	s_waitcnt lgkmcnt(0)
	v_mul_f64 v[17:18], v[41:42], v[15:16]
	v_mul_f64 v[19:20], v[39:40], v[15:16]
	v_fma_f64 v[17:18], v[39:40], v[13:14], -v[17:18]
	v_fma_f64 v[19:20], v[41:42], v[13:14], v[19:20]
	v_add_f64 v[35:36], v[35:36], v[17:18]
	v_add_f64 v[37:38], v[19:20], v[37:38]
	ds_read_b128 v[17:20], v34 offset:2080
	s_waitcnt lgkmcnt(0)
	v_mul_f64 v[39:40], v[19:20], v[5:6]
	v_mul_f64 v[5:6], v[17:18], v[5:6]
	v_fma_f64 v[39:40], v[17:18], v[3:4], -v[39:40]
	v_fma_f64 v[3:4], v[19:20], v[3:4], v[5:6]
	v_mul_f64 v[5:6], v[17:18], v[15:16]
	v_add_f64 v[39:40], v[47:48], v[39:40]
	v_add_f64 v[41:42], v[3:4], v[49:50]
	v_mul_f64 v[3:4], v[19:20], v[15:16]
	v_fma_f64 v[5:6], v[19:20], v[13:14], v[5:6]
	v_fma_f64 v[3:4], v[17:18], v[13:14], -v[3:4]
	v_add_f64 v[23:24], v[5:6], v[23:24]
	v_add_f64 v[21:22], v[21:22], v[3:4]
	ds_read_b128 v[3:6], v33 offset:1536
	s_waitcnt lgkmcnt(0)
	v_mul_f64 v[13:14], v[45:46], v[5:6]
	v_mul_f64 v[15:16], v[43:44], v[5:6]
	v_fma_f64 v[13:14], v[43:44], v[3:4], -v[13:14]
	v_fma_f64 v[15:16], v[45:46], v[3:4], v[15:16]
	v_add_f64 v[25:26], v[25:26], v[13:14]
	v_add_f64 v[27:28], v[15:16], v[27:28]
	ds_read_b128 v[13:16], v33 offset:1792
	s_waitcnt lgkmcnt(0)
	v_mul_f64 v[17:18], v[45:46], v[15:16]
	v_mul_f64 v[19:20], v[43:44], v[15:16]
	v_fma_f64 v[17:18], v[43:44], v[13:14], -v[17:18]
	v_fma_f64 v[19:20], v[45:46], v[13:14], v[19:20]
	;; [unrolled: 8-line block ×3, first 2 shown]
	v_mul_f64 v[5:6], v[17:18], v[15:16]
	v_add_f64 v[39:40], v[39:40], v[43:44]
	v_add_f64 v[41:42], v[3:4], v[41:42]
	v_mul_f64 v[3:4], v[19:20], v[15:16]
	v_fma_f64 v[5:6], v[19:20], v[13:14], v[5:6]
	v_fma_f64 v[3:4], v[17:18], v[13:14], -v[3:4]
	v_add_f64 v[23:24], v[5:6], v[23:24]
	v_add_f64 v[21:22], v[21:22], v[3:4]
	ds_read_b128 v[3:6], v34 offset:64
	ds_read_b128 v[13:16], v33 offset:2048
	s_waitcnt lgkmcnt(0)
	v_mul_f64 v[17:18], v[5:6], v[15:16]
	v_mul_f64 v[19:20], v[3:4], v[15:16]
	v_fma_f64 v[17:18], v[3:4], v[13:14], -v[17:18]
	v_fma_f64 v[19:20], v[5:6], v[13:14], v[19:20]
	v_add_f64 v[25:26], v[25:26], v[17:18]
	v_add_f64 v[27:28], v[19:20], v[27:28]
	ds_read_b128 v[17:20], v33 offset:2304
	s_waitcnt lgkmcnt(0)
	v_mul_f64 v[43:44], v[5:6], v[19:20]
	v_fma_f64 v[43:44], v[3:4], v[17:18], -v[43:44]
	v_mul_f64 v[3:4], v[3:4], v[19:20]
	v_add_f64 v[35:36], v[35:36], v[43:44]
	v_fma_f64 v[3:4], v[5:6], v[17:18], v[3:4]
	v_add_f64 v[37:38], v[3:4], v[37:38]
	ds_read_b128 v[3:6], v34 offset:2112
	s_waitcnt lgkmcnt(0)
	v_mul_f64 v[43:44], v[5:6], v[15:16]
	v_mul_f64 v[15:16], v[3:4], v[15:16]
	v_fma_f64 v[43:44], v[3:4], v[13:14], -v[43:44]
	v_fma_f64 v[13:14], v[5:6], v[13:14], v[15:16]
	v_add_f64 v[39:40], v[39:40], v[43:44]
	v_add_f64 v[41:42], v[13:14], v[41:42]
	v_mul_f64 v[13:14], v[5:6], v[19:20]
	v_fma_f64 v[13:14], v[3:4], v[17:18], -v[13:14]
	v_mul_f64 v[3:4], v[3:4], v[19:20]
	v_add_f64 v[21:22], v[21:22], v[13:14]
	v_fma_f64 v[3:4], v[5:6], v[17:18], v[3:4]
	v_add_f64 v[23:24], v[3:4], v[23:24]
	ds_read_b128 v[3:6], v34 offset:80
	ds_read_b128 v[13:16], v33 offset:2560
	s_waitcnt lgkmcnt(0)
	v_mul_f64 v[17:18], v[5:6], v[15:16]
	v_mul_f64 v[19:20], v[3:4], v[15:16]
	v_fma_f64 v[17:18], v[3:4], v[13:14], -v[17:18]
	v_fma_f64 v[19:20], v[5:6], v[13:14], v[19:20]
	v_add_f64 v[25:26], v[25:26], v[17:18]
	v_add_f64 v[27:28], v[19:20], v[27:28]
	ds_read_b128 v[17:20], v33 offset:2816
	s_waitcnt lgkmcnt(0)
	v_mul_f64 v[43:44], v[5:6], v[19:20]
	v_fma_f64 v[43:44], v[3:4], v[17:18], -v[43:44]
	v_mul_f64 v[3:4], v[3:4], v[19:20]
	v_add_f64 v[35:36], v[35:36], v[43:44]
	v_fma_f64 v[3:4], v[5:6], v[17:18], v[3:4]
	v_add_f64 v[37:38], v[3:4], v[37:38]
	ds_read_b128 v[3:6], v34 offset:2128
	s_waitcnt lgkmcnt(0)
	v_mul_f64 v[43:44], v[5:6], v[15:16]
	v_mul_f64 v[15:16], v[3:4], v[15:16]
	v_fma_f64 v[43:44], v[3:4], v[13:14], -v[43:44]
	v_fma_f64 v[13:14], v[5:6], v[13:14], v[15:16]
	v_add_f64 v[39:40], v[39:40], v[43:44]
	v_add_f64 v[41:42], v[13:14], v[41:42]
	v_mul_f64 v[13:14], v[5:6], v[19:20]
	v_fma_f64 v[13:14], v[3:4], v[17:18], -v[13:14]
	v_mul_f64 v[3:4], v[3:4], v[19:20]
	v_add_f64 v[21:22], v[21:22], v[13:14]
	v_fma_f64 v[3:4], v[5:6], v[17:18], v[3:4]
	;; [unrolled: 31-line block ×3, first 2 shown]
	v_add_f64 v[45:46], v[3:4], v[23:24]
	ds_read_b128 v[3:6], v34 offset:112
	ds_read_b128 v[17:20], v33 offset:3584
	s_waitcnt lgkmcnt(0)
	v_mul_f64 v[13:14], v[5:6], v[19:20]
	v_mul_f64 v[15:16], v[3:4], v[19:20]
	v_fma_f64 v[13:14], v[3:4], v[17:18], -v[13:14]
	v_fma_f64 v[15:16], v[5:6], v[17:18], v[15:16]
	v_add_f64 v[21:22], v[25:26], v[13:14]
	v_add_f64 v[23:24], v[15:16], v[27:28]
	ds_read_b128 v[25:28], v33 offset:3840
	s_waitcnt lgkmcnt(0)
	v_mul_f64 v[13:14], v[5:6], v[27:28]
	v_fma_f64 v[13:14], v[3:4], v[25:26], -v[13:14]
	v_mul_f64 v[3:4], v[3:4], v[27:28]
	v_add_f64 v[13:14], v[35:36], v[13:14]
	v_fma_f64 v[3:4], v[5:6], v[25:26], v[3:4]
	v_add_f64 v[15:16], v[3:4], v[37:38]
	ds_read_b128 v[3:6], v34 offset:2160
	s_waitcnt lgkmcnt(0)
	s_barrier
	v_mul_f64 v[35:36], v[5:6], v[19:20]
	v_mul_f64 v[19:20], v[3:4], v[19:20]
	v_fma_f64 v[35:36], v[3:4], v[17:18], -v[35:36]
	v_fma_f64 v[19:20], v[5:6], v[17:18], v[19:20]
	v_add_f64 v[17:18], v[39:40], v[35:36]
	v_mul_f64 v[35:36], v[5:6], v[27:28]
	v_add_f64 v[19:20], v[19:20], v[41:42]
	v_fma_f64 v[35:36], v[3:4], v[25:26], -v[35:36]
	v_mul_f64 v[3:4], v[3:4], v[27:28]
	v_fma_f64 v[3:4], v[5:6], v[25:26], v[3:4]
	v_add_f64 v[25:26], v[43:44], v[35:36]
	v_add_f64 v[27:28], v[3:4], v[45:46]
	s_cbranch_vccnz .LBB1227_10
.LBB1227_3:                             ; =>This Inner Loop Header: Depth=1
	v_mov_b32_e32 v4, s3
	v_add_co_u32_e32 v3, vcc, s2, v29
	v_addc_co_u32_e32 v4, vcc, 0, v4, vcc
	v_cmp_gt_i64_e32 vcc, s[12:13], v[3:4]
	v_mov_b32_e32 v3, 0
	v_mov_b32_e32 v5, 0
	;; [unrolled: 1-line block ×4, first 2 shown]
	s_and_b64 s[18:19], s[0:1], vcc
	s_and_saveexec_b64 s[6:7], s[18:19]
	s_cbranch_execz .LBB1227_5
; %bb.4:                                ;   in Loop: Header=BB1227_3 Depth=1
	global_load_dwordx4 v[3:6], v[7:8], off offset:-8
.LBB1227_5:                             ;   in Loop: Header=BB1227_3 Depth=1
	s_or_b64 exec, exec, s[6:7]
	v_mov_b32_e32 v36, s3
	v_add_co_u32_e32 v35, vcc, s2, v30
	v_addc_co_u32_e32 v36, vcc, 0, v36, vcc
	v_cmp_le_i64_e32 vcc, s[12:13], v[35:36]
	s_waitcnt vmcnt(0)
	ds_write_b128 v31, v[3:6]
	s_or_b64 s[6:7], vcc, s[4:5]
	s_and_saveexec_b64 s[18:19], s[6:7]
	s_xor_b64 s[6:7], exec, s[18:19]
; %bb.6:                                ;   in Loop: Header=BB1227_3 Depth=1
	v_mov_b32_e32 v3, v2
	v_mov_b32_e32 v4, v2
	;; [unrolled: 1-line block ×3, first 2 shown]
	ds_write_b128 v32, v[2:5]
; %bb.7:                                ;   in Loop: Header=BB1227_3 Depth=1
	s_andn2_saveexec_b64 s[6:7], s[6:7]
	s_cbranch_execz .LBB1227_2
; %bb.8:                                ;   in Loop: Header=BB1227_3 Depth=1
	global_load_dwordx4 v[3:6], v[9:10], off
	s_waitcnt vmcnt(0)
	ds_write2_b64 v32, v[3:4], v[5:6] offset1:1
	s_branch .LBB1227_2
.LBB1227_9:
	v_mov_b32_e32 v21, 0
	v_mov_b32_e32 v23, 0
	;; [unrolled: 1-line block ×16, first 2 shown]
.LBB1227_10:
	v_add_u32_e32 v4, s11, v1
	v_ashrrev_i32_e32 v1, 31, v4
	v_mul_lo_u32 v3, s28, v1
	v_mul_lo_u32 v5, s29, v4
	v_mad_u64_u32 v[1:2], s[2:3], s28, v4, 0
	s_mul_i32 s0, s31, s8
	s_mul_hi_u32 s1, s30, s8
	s_add_i32 s1, s1, s0
	s_mul_i32 s0, s30, s8
	s_lshl_b64 s[0:1], s[0:1], 4
	v_add3_u32 v2, v2, v3, v5
	s_add_u32 s4, s42, s0
	v_lshlrev_b64 v[1:2], 4, v[1:2]
	s_addc_u32 s5, s43, s1
	v_mov_b32_e32 v3, s5
	v_add_co_u32_e64 v5, s[0:1], s4, v1
	v_add_u32_e32 v0, s10, v0
	v_addc_co_u32_e64 v6, s[0:1], v3, v2, s[0:1]
	v_cmp_gt_i32_e32 vcc, s9, v4
	v_cmp_le_i32_e64 s[0:1], v0, v4
	s_and_b64 s[0:1], vcc, s[0:1]
	s_and_saveexec_b64 s[2:3], s[0:1]
	s_cbranch_execz .LBB1227_12
; %bb.11:
	v_ashrrev_i32_e32 v1, 31, v0
	v_lshlrev_b64 v[1:2], 4, v[0:1]
	v_mul_f64 v[11:12], s[16:17], v[23:24]
	v_add_co_u32_e64 v1, s[0:1], v5, v1
	v_addc_co_u32_e64 v2, s[0:1], v6, v2, s[0:1]
	global_load_dwordx4 v[7:10], v[1:2], off
	v_mul_f64 v[23:24], s[14:15], v[23:24]
	v_fma_f64 v[11:12], s[14:15], v[21:22], -v[11:12]
	v_fma_f64 v[21:22], s[16:17], v[21:22], v[23:24]
	s_waitcnt vmcnt(0)
	v_mul_f64 v[29:30], s[40:41], v[9:10]
	v_mul_f64 v[9:10], s[38:39], v[9:10]
	v_fma_f64 v[23:24], s[38:39], v[7:8], -v[29:30]
	v_fma_f64 v[9:10], s[40:41], v[7:8], v[9:10]
	v_add_f64 v[7:8], v[11:12], v[23:24]
	v_add_f64 v[9:10], v[21:22], v[9:10]
	global_store_dwordx4 v[1:2], v[7:10], off
.LBB1227_12:
	s_or_b64 exec, exec, s[2:3]
	v_add_u32_e32 v2, 16, v0
	v_cmp_le_i32_e64 s[0:1], v2, v4
	s_and_b64 s[2:3], vcc, s[0:1]
	s_and_saveexec_b64 s[0:1], s[2:3]
	s_cbranch_execz .LBB1227_14
; %bb.13:
	v_ashrrev_i32_e32 v3, 31, v2
	v_lshlrev_b64 v[7:8], 4, v[2:3]
	v_mul_f64 v[11:12], s[16:17], v[15:16]
	v_add_co_u32_e32 v9, vcc, v5, v7
	v_addc_co_u32_e32 v10, vcc, v6, v8, vcc
	global_load_dwordx4 v[5:8], v[9:10], off
	v_mul_f64 v[15:16], s[14:15], v[15:16]
	v_fma_f64 v[11:12], s[14:15], v[13:14], -v[11:12]
	v_fma_f64 v[13:14], s[16:17], v[13:14], v[15:16]
	s_waitcnt vmcnt(0)
	v_mul_f64 v[21:22], s[40:41], v[7:8]
	v_mul_f64 v[7:8], s[38:39], v[7:8]
	v_fma_f64 v[15:16], s[38:39], v[5:6], -v[21:22]
	v_fma_f64 v[7:8], s[40:41], v[5:6], v[7:8]
	v_add_f64 v[5:6], v[11:12], v[15:16]
	v_add_f64 v[7:8], v[13:14], v[7:8]
	global_store_dwordx4 v[9:10], v[5:8], off
.LBB1227_14:
	s_or_b64 exec, exec, s[0:1]
	v_add_u32_e32 v3, 16, v4
	v_ashrrev_i32_e32 v1, 31, v3
	v_mul_lo_u32 v1, s28, v1
	v_mul_lo_u32 v6, s29, v3
	v_mad_u64_u32 v[4:5], s[0:1], s28, v3, 0
	v_cmp_gt_i32_e32 vcc, s9, v3
	v_add3_u32 v5, v5, v1, v6
	v_lshlrev_b64 v[4:5], 4, v[4:5]
	v_mov_b32_e32 v1, s5
	v_add_co_u32_e64 v4, s[0:1], s4, v4
	v_addc_co_u32_e64 v5, s[0:1], v1, v5, s[0:1]
	v_cmp_le_i32_e64 s[0:1], v0, v3
	s_and_b64 s[0:1], vcc, s[0:1]
	s_and_saveexec_b64 s[2:3], s[0:1]
	s_cbranch_execz .LBB1227_16
; %bb.15:
	v_ashrrev_i32_e32 v1, 31, v0
	v_lshlrev_b64 v[0:1], 4, v[0:1]
	v_mul_f64 v[10:11], s[16:17], v[19:20]
	v_add_co_u32_e64 v0, s[0:1], v4, v0
	v_addc_co_u32_e64 v1, s[0:1], v5, v1, s[0:1]
	global_load_dwordx4 v[6:9], v[0:1], off
	v_mul_f64 v[12:13], s[14:15], v[19:20]
	v_fma_f64 v[10:11], s[14:15], v[17:18], -v[10:11]
	v_fma_f64 v[12:13], s[16:17], v[17:18], v[12:13]
	s_waitcnt vmcnt(0)
	v_mul_f64 v[14:15], s[40:41], v[8:9]
	v_mul_f64 v[8:9], s[38:39], v[8:9]
	v_fma_f64 v[14:15], s[38:39], v[6:7], -v[14:15]
	v_fma_f64 v[8:9], s[40:41], v[6:7], v[8:9]
	v_add_f64 v[6:7], v[10:11], v[14:15]
	v_add_f64 v[8:9], v[12:13], v[8:9]
	global_store_dwordx4 v[0:1], v[6:9], off
.LBB1227_16:
	s_or_b64 exec, exec, s[2:3]
	v_cmp_le_i32_e64 s[0:1], v2, v3
	s_and_b64 s[0:1], vcc, s[0:1]
	s_and_saveexec_b64 s[2:3], s[0:1]
	s_cbranch_execz .LBB1227_18
; %bb.17:
	v_ashrrev_i32_e32 v3, 31, v2
	v_lshlrev_b64 v[0:1], 4, v[2:3]
	v_mul_f64 v[6:7], s[16:17], v[27:28]
	v_add_co_u32_e32 v4, vcc, v4, v0
	v_addc_co_u32_e32 v5, vcc, v5, v1, vcc
	global_load_dwordx4 v[0:3], v[4:5], off
	v_mul_f64 v[8:9], s[14:15], v[27:28]
	v_fma_f64 v[6:7], s[14:15], v[25:26], -v[6:7]
	v_fma_f64 v[8:9], s[16:17], v[25:26], v[8:9]
	s_waitcnt vmcnt(0)
	v_mul_f64 v[10:11], s[40:41], v[2:3]
	v_mul_f64 v[2:3], s[38:39], v[2:3]
	v_fma_f64 v[10:11], s[38:39], v[0:1], -v[10:11]
	v_fma_f64 v[2:3], s[40:41], v[0:1], v[2:3]
	v_add_f64 v[0:1], v[6:7], v[10:11]
	v_add_f64 v[2:3], v[8:9], v[2:3]
	global_store_dwordx4 v[4:5], v[0:3], off
.LBB1227_18:
	s_endpgm
	.section	.rodata,"a",@progbits
	.p2align	6, 0x0
	.amdhsa_kernel _ZL34rocblas_syrkx_herkx_general_kernelIl19rocblas_complex_numIdELi16ELi32ELi8ELb0ELb0ELc67ELc85EKS1_S1_EviT_T0_PT8_S3_lS6_S3_lS4_PT9_S3_li
		.amdhsa_group_segment_fixed_size 8192
		.amdhsa_private_segment_fixed_size 0
		.amdhsa_kernarg_size 124
		.amdhsa_user_sgpr_count 6
		.amdhsa_user_sgpr_private_segment_buffer 1
		.amdhsa_user_sgpr_dispatch_ptr 0
		.amdhsa_user_sgpr_queue_ptr 0
		.amdhsa_user_sgpr_kernarg_segment_ptr 1
		.amdhsa_user_sgpr_dispatch_id 0
		.amdhsa_user_sgpr_flat_scratch_init 0
		.amdhsa_user_sgpr_private_segment_size 0
		.amdhsa_uses_dynamic_stack 0
		.amdhsa_system_sgpr_private_segment_wavefront_offset 0
		.amdhsa_system_sgpr_workgroup_id_x 1
		.amdhsa_system_sgpr_workgroup_id_y 1
		.amdhsa_system_sgpr_workgroup_id_z 1
		.amdhsa_system_sgpr_workgroup_info 0
		.amdhsa_system_vgpr_workitem_id 1
		.amdhsa_next_free_vgpr 59
		.amdhsa_next_free_sgpr 61
		.amdhsa_reserve_vcc 1
		.amdhsa_reserve_flat_scratch 0
		.amdhsa_float_round_mode_32 0
		.amdhsa_float_round_mode_16_64 0
		.amdhsa_float_denorm_mode_32 3
		.amdhsa_float_denorm_mode_16_64 3
		.amdhsa_dx10_clamp 1
		.amdhsa_ieee_mode 1
		.amdhsa_fp16_overflow 0
		.amdhsa_exception_fp_ieee_invalid_op 0
		.amdhsa_exception_fp_denorm_src 0
		.amdhsa_exception_fp_ieee_div_zero 0
		.amdhsa_exception_fp_ieee_overflow 0
		.amdhsa_exception_fp_ieee_underflow 0
		.amdhsa_exception_fp_ieee_inexact 0
		.amdhsa_exception_int_div_zero 0
	.end_amdhsa_kernel
	.section	.text._ZL34rocblas_syrkx_herkx_general_kernelIl19rocblas_complex_numIdELi16ELi32ELi8ELb0ELb0ELc67ELc85EKS1_S1_EviT_T0_PT8_S3_lS6_S3_lS4_PT9_S3_li,"axG",@progbits,_ZL34rocblas_syrkx_herkx_general_kernelIl19rocblas_complex_numIdELi16ELi32ELi8ELb0ELb0ELc67ELc85EKS1_S1_EviT_T0_PT8_S3_lS6_S3_lS4_PT9_S3_li,comdat
.Lfunc_end1227:
	.size	_ZL34rocblas_syrkx_herkx_general_kernelIl19rocblas_complex_numIdELi16ELi32ELi8ELb0ELb0ELc67ELc85EKS1_S1_EviT_T0_PT8_S3_lS6_S3_lS4_PT9_S3_li, .Lfunc_end1227-_ZL34rocblas_syrkx_herkx_general_kernelIl19rocblas_complex_numIdELi16ELi32ELi8ELb0ELb0ELc67ELc85EKS1_S1_EviT_T0_PT8_S3_lS6_S3_lS4_PT9_S3_li
                                        ; -- End function
	.set _ZL34rocblas_syrkx_herkx_general_kernelIl19rocblas_complex_numIdELi16ELi32ELi8ELb0ELb0ELc67ELc85EKS1_S1_EviT_T0_PT8_S3_lS6_S3_lS4_PT9_S3_li.num_vgpr, 59
	.set _ZL34rocblas_syrkx_herkx_general_kernelIl19rocblas_complex_numIdELi16ELi32ELi8ELb0ELb0ELc67ELc85EKS1_S1_EviT_T0_PT8_S3_lS6_S3_lS4_PT9_S3_li.num_agpr, 0
	.set _ZL34rocblas_syrkx_herkx_general_kernelIl19rocblas_complex_numIdELi16ELi32ELi8ELb0ELb0ELc67ELc85EKS1_S1_EviT_T0_PT8_S3_lS6_S3_lS4_PT9_S3_li.numbered_sgpr, 44
	.set _ZL34rocblas_syrkx_herkx_general_kernelIl19rocblas_complex_numIdELi16ELi32ELi8ELb0ELb0ELc67ELc85EKS1_S1_EviT_T0_PT8_S3_lS6_S3_lS4_PT9_S3_li.num_named_barrier, 0
	.set _ZL34rocblas_syrkx_herkx_general_kernelIl19rocblas_complex_numIdELi16ELi32ELi8ELb0ELb0ELc67ELc85EKS1_S1_EviT_T0_PT8_S3_lS6_S3_lS4_PT9_S3_li.private_seg_size, 0
	.set _ZL34rocblas_syrkx_herkx_general_kernelIl19rocblas_complex_numIdELi16ELi32ELi8ELb0ELb0ELc67ELc85EKS1_S1_EviT_T0_PT8_S3_lS6_S3_lS4_PT9_S3_li.uses_vcc, 1
	.set _ZL34rocblas_syrkx_herkx_general_kernelIl19rocblas_complex_numIdELi16ELi32ELi8ELb0ELb0ELc67ELc85EKS1_S1_EviT_T0_PT8_S3_lS6_S3_lS4_PT9_S3_li.uses_flat_scratch, 0
	.set _ZL34rocblas_syrkx_herkx_general_kernelIl19rocblas_complex_numIdELi16ELi32ELi8ELb0ELb0ELc67ELc85EKS1_S1_EviT_T0_PT8_S3_lS6_S3_lS4_PT9_S3_li.has_dyn_sized_stack, 0
	.set _ZL34rocblas_syrkx_herkx_general_kernelIl19rocblas_complex_numIdELi16ELi32ELi8ELb0ELb0ELc67ELc85EKS1_S1_EviT_T0_PT8_S3_lS6_S3_lS4_PT9_S3_li.has_recursion, 0
	.set _ZL34rocblas_syrkx_herkx_general_kernelIl19rocblas_complex_numIdELi16ELi32ELi8ELb0ELb0ELc67ELc85EKS1_S1_EviT_T0_PT8_S3_lS6_S3_lS4_PT9_S3_li.has_indirect_call, 0
	.section	.AMDGPU.csdata,"",@progbits
; Kernel info:
; codeLenInByte = 3440
; TotalNumSgprs: 48
; NumVgprs: 59
; ScratchSize: 0
; MemoryBound: 1
; FloatMode: 240
; IeeeMode: 1
; LDSByteSize: 8192 bytes/workgroup (compile time only)
; SGPRBlocks: 8
; VGPRBlocks: 14
; NumSGPRsForWavesPerEU: 65
; NumVGPRsForWavesPerEU: 59
; Occupancy: 4
; WaveLimiterHint : 0
; COMPUTE_PGM_RSRC2:SCRATCH_EN: 0
; COMPUTE_PGM_RSRC2:USER_SGPR: 6
; COMPUTE_PGM_RSRC2:TRAP_HANDLER: 0
; COMPUTE_PGM_RSRC2:TGID_X_EN: 1
; COMPUTE_PGM_RSRC2:TGID_Y_EN: 1
; COMPUTE_PGM_RSRC2:TGID_Z_EN: 1
; COMPUTE_PGM_RSRC2:TIDIG_COMP_CNT: 1
	.section	.text._ZL34rocblas_syrkx_herkx_general_kernelIl19rocblas_complex_numIdELi16ELi32ELi8ELb0ELb0ELc78ELc85EKS1_S1_EviT_T0_PT8_S3_lS6_S3_lS4_PT9_S3_li,"axG",@progbits,_ZL34rocblas_syrkx_herkx_general_kernelIl19rocblas_complex_numIdELi16ELi32ELi8ELb0ELb0ELc78ELc85EKS1_S1_EviT_T0_PT8_S3_lS6_S3_lS4_PT9_S3_li,comdat
	.globl	_ZL34rocblas_syrkx_herkx_general_kernelIl19rocblas_complex_numIdELi16ELi32ELi8ELb0ELb0ELc78ELc85EKS1_S1_EviT_T0_PT8_S3_lS6_S3_lS4_PT9_S3_li ; -- Begin function _ZL34rocblas_syrkx_herkx_general_kernelIl19rocblas_complex_numIdELi16ELi32ELi8ELb0ELb0ELc78ELc85EKS1_S1_EviT_T0_PT8_S3_lS6_S3_lS4_PT9_S3_li
	.p2align	8
	.type	_ZL34rocblas_syrkx_herkx_general_kernelIl19rocblas_complex_numIdELi16ELi32ELi8ELb0ELb0ELc78ELc85EKS1_S1_EviT_T0_PT8_S3_lS6_S3_lS4_PT9_S3_li,@function
_ZL34rocblas_syrkx_herkx_general_kernelIl19rocblas_complex_numIdELi16ELi32ELi8ELb0ELb0ELc78ELc85EKS1_S1_EviT_T0_PT8_S3_lS6_S3_lS4_PT9_S3_li: ; @_ZL34rocblas_syrkx_herkx_general_kernelIl19rocblas_complex_numIdELi16ELi32ELi8ELb0ELb0ELc78ELc85EKS1_S1_EviT_T0_PT8_S3_lS6_S3_lS4_PT9_S3_li
; %bb.0:
	s_load_dwordx16 s[12:27], s[4:5], 0x8
	s_load_dword s9, s[4:5], 0x0
	s_load_dwordx4 s[28:31], s[4:5], 0x68
	s_load_dwordx8 s[36:43], s[4:5], 0x48
	s_lshl_b32 s33, s6, 5
	s_waitcnt lgkmcnt(0)
	v_cmp_lt_i64_e64 s[0:1], s[12:13], 1
	s_lshl_b32 s34, s7, 5
	s_and_b64 vcc, exec, s[0:1]
	s_cbranch_vccnz .LBB1228_9
; %bb.1:
	v_lshl_add_u32 v3, v1, 4, v0
	v_and_b32_e32 v7, 31, v3
	v_or_b32_e32 v4, s33, v7
	v_lshrrev_b32_e32 v29, 5, v3
	v_cmp_gt_i32_e32 vcc, s9, v4
	v_mad_u64_u32 v[4:5], s[2:3], s20, v29, 0
	v_lshrrev_b32_e32 v6, 3, v3
	v_and_b32_e32 v30, 7, v0
	v_lshlrev_b32_e32 v3, 4, v7
	v_lshl_or_b32 v31, v29, 9, v3
	v_lshlrev_b32_e32 v3, 4, v30
	v_add_u32_e32 v2, s34, v6
	v_lshl_or_b32 v3, v6, 7, v3
	v_mad_u64_u32 v[5:6], s[2:3], s21, v29, v[5:6]
	s_mul_i32 s2, s23, s8
	s_mul_hi_u32 s3, s22, s8
	v_lshlrev_b64 v[4:5], 4, v[4:5]
	s_add_i32 s3, s3, s2
	s_mul_i32 s2, s22, s8
	v_mov_b32_e32 v6, 0x1000
	s_lshl_b64 s[2:3], s[2:3], 4
	v_lshl_add_u32 v34, v1, 7, v6
	v_mov_b32_e32 v6, s3
	v_add_co_u32_e64 v8, s[2:3], s2, v4
	v_add_u32_e32 v4, s33, v7
	v_addc_co_u32_e64 v6, s[2:3], v5, v6, s[2:3]
	v_ashrrev_i32_e32 v5, 31, v4
	v_lshlrev_b64 v[4:5], 4, v[4:5]
	s_mul_i32 s6, s37, s8
	v_add_co_u32_e64 v4, s[2:3], v8, v4
	v_addc_co_u32_e64 v5, s[2:3], v6, v5, s[2:3]
	v_mov_b32_e32 v6, s19
	v_add_co_u32_e64 v7, s[2:3], s18, v4
	v_addc_co_u32_e64 v8, s[2:3], v6, v5, s[2:3]
	v_mad_u64_u32 v[4:5], s[2:3], s26, v30, 0
	s_mul_hi_u32 s7, s36, s8
	v_add_u32_e32 v32, 0x1000, v3
	v_mad_u64_u32 v[5:6], s[2:3], s27, v30, v[5:6]
	s_add_i32 s3, s7, s6
	s_mul_i32 s2, s36, s8
	v_lshlrev_b64 v[4:5], 4, v[4:5]
	v_ashrrev_i32_e32 v3, 31, v2
	s_lshl_b64 s[2:3], s[2:3], 4
	v_cmp_gt_i32_e64 s[0:1], s9, v2
	v_mov_b32_e32 v6, s3
	v_add_co_u32_e64 v4, s[2:3], s2, v4
	v_lshlrev_b64 v[2:3], 4, v[2:3]
	v_addc_co_u32_e64 v5, s[2:3], v6, v5, s[2:3]
	v_add_co_u32_e64 v2, s[2:3], v4, v2
	v_addc_co_u32_e64 v3, s[2:3], v5, v3, s[2:3]
	v_mov_b32_e32 v4, s25
	v_add_co_u32_e64 v2, s[2:3], s24, v2
	v_addc_co_u32_e64 v3, s[2:3], v4, v3, s[2:3]
	v_add_co_u32_e64 v9, s[2:3], 8, v2
	v_addc_co_u32_e64 v10, s[2:3], 0, v3, s[2:3]
	s_lshl_b64 s[4:5], s[20:21], 7
	s_lshl_b64 s[2:3], s[26:27], 7
	v_mov_b32_e32 v27, 0
	v_mov_b32_e32 v11, s12
	;; [unrolled: 1-line block ×9, first 2 shown]
	v_lshlrev_b32_e32 v33, 4, v0
	s_mov_b64 s[6:7], 0
	v_mov_b32_e32 v28, 0
	s_xor_b64 s[10:11], vcc, -1
	v_mov_b32_e32 v35, s5
	v_mov_b32_e32 v36, s3
	v_mov_b32_e32 v12, s13
	v_mov_b32_e32 v26, 0
	v_mov_b32_e32 v20, 0
	v_mov_b32_e32 v18, 0
	v_mov_b32_e32 v16, 0
	v_mov_b32_e32 v14, 0
	v_mov_b32_e32 v24, 0
	v_mov_b32_e32 v22, 0
	v_mov_b32_e32 v2, 0
	s_branch .LBB1228_3
.LBB1228_2:                             ;   in Loop: Header=BB1228_3 Depth=1
	s_or_b64 exec, exec, s[18:19]
	s_waitcnt vmcnt(0)
	ds_write_b128 v32, v[3:6]
	s_waitcnt lgkmcnt(0)
	s_barrier
	ds_read_b128 v[3:6], v34
	ds_read_b128 v[37:40], v34 offset:16
	ds_read_b128 v[41:44], v34 offset:32
	;; [unrolled: 1-line block ×3, first 2 shown]
	ds_read_b128 v[49:52], v33
	v_add_co_u32_e32 v7, vcc, s4, v7
	v_addc_co_u32_e32 v8, vcc, v8, v35, vcc
	s_waitcnt lgkmcnt(0)
	v_mul_f64 v[53:54], v[5:6], v[51:52]
	v_mul_f64 v[55:56], v[3:4], v[51:52]
	s_add_u32 s6, s6, 8
	v_add_co_u32_e32 v9, vcc, s2, v9
	s_addc_u32 s7, s7, 0
	v_addc_co_u32_e32 v10, vcc, v10, v36, vcc
	v_fma_f64 v[53:54], v[3:4], v[49:50], -v[53:54]
	v_fma_f64 v[55:56], v[5:6], v[49:50], v[55:56]
	v_cmp_ge_i64_e32 vcc, s[6:7], v[11:12]
	s_and_b64 vcc, exec, vcc
	v_add_f64 v[53:54], v[21:22], v[53:54]
	v_add_f64 v[55:56], v[55:56], v[23:24]
	ds_read_b128 v[21:24], v33 offset:256
	s_waitcnt lgkmcnt(0)
	v_mul_f64 v[57:58], v[5:6], v[23:24]
	v_fma_f64 v[57:58], v[3:4], v[21:22], -v[57:58]
	v_mul_f64 v[3:4], v[3:4], v[23:24]
	v_add_f64 v[57:58], v[13:14], v[57:58]
	v_fma_f64 v[3:4], v[5:6], v[21:22], v[3:4]
	v_add_f64 v[59:60], v[3:4], v[15:16]
	ds_read_b128 v[3:6], v34 offset:2048
	s_waitcnt lgkmcnt(0)
	v_mul_f64 v[13:14], v[5:6], v[51:52]
	v_mul_f64 v[15:16], v[3:4], v[51:52]
	v_fma_f64 v[13:14], v[3:4], v[49:50], -v[13:14]
	v_fma_f64 v[15:16], v[5:6], v[49:50], v[15:16]
	v_add_f64 v[49:50], v[17:18], v[13:14]
	v_mul_f64 v[13:14], v[5:6], v[23:24]
	v_add_f64 v[51:52], v[15:16], v[19:20]
	v_fma_f64 v[13:14], v[3:4], v[21:22], -v[13:14]
	v_mul_f64 v[3:4], v[3:4], v[23:24]
	v_fma_f64 v[3:4], v[5:6], v[21:22], v[3:4]
	v_add_f64 v[21:22], v[25:26], v[13:14]
	v_add_f64 v[23:24], v[3:4], v[27:28]
	ds_read_b128 v[3:6], v33 offset:512
	s_waitcnt lgkmcnt(0)
	v_mul_f64 v[13:14], v[39:40], v[5:6]
	v_mul_f64 v[15:16], v[37:38], v[5:6]
	v_fma_f64 v[13:14], v[37:38], v[3:4], -v[13:14]
	v_fma_f64 v[15:16], v[39:40], v[3:4], v[15:16]
	v_add_f64 v[25:26], v[53:54], v[13:14]
	v_add_f64 v[27:28], v[15:16], v[55:56]
	ds_read_b128 v[13:16], v33 offset:768
	s_waitcnt lgkmcnt(0)
	v_mul_f64 v[17:18], v[39:40], v[15:16]
	v_mul_f64 v[19:20], v[37:38], v[15:16]
	v_fma_f64 v[17:18], v[37:38], v[13:14], -v[17:18]
	;; [unrolled: 8-line block ×3, first 2 shown]
	v_fma_f64 v[3:4], v[19:20], v[3:4], v[5:6]
	v_mul_f64 v[5:6], v[17:18], v[15:16]
	v_add_f64 v[49:50], v[49:50], v[53:54]
	v_add_f64 v[51:52], v[3:4], v[51:52]
	v_mul_f64 v[3:4], v[19:20], v[15:16]
	v_fma_f64 v[5:6], v[19:20], v[13:14], v[5:6]
	v_fma_f64 v[3:4], v[17:18], v[13:14], -v[3:4]
	v_add_f64 v[23:24], v[5:6], v[23:24]
	v_add_f64 v[21:22], v[21:22], v[3:4]
	ds_read_b128 v[3:6], v33 offset:1024
	s_waitcnt lgkmcnt(0)
	v_mul_f64 v[13:14], v[43:44], v[5:6]
	v_mul_f64 v[15:16], v[41:42], v[5:6]
	v_fma_f64 v[13:14], v[41:42], v[3:4], -v[13:14]
	v_fma_f64 v[15:16], v[43:44], v[3:4], v[15:16]
	v_add_f64 v[25:26], v[25:26], v[13:14]
	v_add_f64 v[27:28], v[15:16], v[27:28]
	ds_read_b128 v[13:16], v33 offset:1280
	s_waitcnt lgkmcnt(0)
	v_mul_f64 v[17:18], v[43:44], v[15:16]
	v_mul_f64 v[19:20], v[41:42], v[15:16]
	v_fma_f64 v[17:18], v[41:42], v[13:14], -v[17:18]
	v_fma_f64 v[19:20], v[43:44], v[13:14], v[19:20]
	;; [unrolled: 8-line block ×3, first 2 shown]
	v_mul_f64 v[5:6], v[17:18], v[15:16]
	v_add_f64 v[41:42], v[49:50], v[41:42]
	v_add_f64 v[43:44], v[3:4], v[51:52]
	v_mul_f64 v[3:4], v[19:20], v[15:16]
	v_fma_f64 v[5:6], v[19:20], v[13:14], v[5:6]
	v_fma_f64 v[3:4], v[17:18], v[13:14], -v[3:4]
	v_add_f64 v[23:24], v[5:6], v[23:24]
	v_add_f64 v[21:22], v[21:22], v[3:4]
	ds_read_b128 v[3:6], v33 offset:1536
	s_waitcnt lgkmcnt(0)
	v_mul_f64 v[13:14], v[47:48], v[5:6]
	v_mul_f64 v[15:16], v[45:46], v[5:6]
	v_fma_f64 v[13:14], v[45:46], v[3:4], -v[13:14]
	v_fma_f64 v[15:16], v[47:48], v[3:4], v[15:16]
	v_add_f64 v[25:26], v[25:26], v[13:14]
	v_add_f64 v[27:28], v[15:16], v[27:28]
	ds_read_b128 v[13:16], v33 offset:1792
	s_waitcnt lgkmcnt(0)
	v_mul_f64 v[17:18], v[47:48], v[15:16]
	v_mul_f64 v[19:20], v[45:46], v[15:16]
	v_fma_f64 v[17:18], v[45:46], v[13:14], -v[17:18]
	v_fma_f64 v[19:20], v[47:48], v[13:14], v[19:20]
	;; [unrolled: 8-line block ×3, first 2 shown]
	v_mul_f64 v[5:6], v[17:18], v[15:16]
	v_add_f64 v[41:42], v[41:42], v[45:46]
	v_add_f64 v[43:44], v[3:4], v[43:44]
	v_mul_f64 v[3:4], v[19:20], v[15:16]
	v_fma_f64 v[5:6], v[19:20], v[13:14], v[5:6]
	v_fma_f64 v[3:4], v[17:18], v[13:14], -v[3:4]
	v_add_f64 v[23:24], v[5:6], v[23:24]
	v_add_f64 v[21:22], v[21:22], v[3:4]
	ds_read_b128 v[3:6], v34 offset:64
	ds_read_b128 v[13:16], v33 offset:2048
	s_waitcnt lgkmcnt(0)
	v_mul_f64 v[17:18], v[5:6], v[15:16]
	v_mul_f64 v[19:20], v[3:4], v[15:16]
	v_fma_f64 v[17:18], v[3:4], v[13:14], -v[17:18]
	v_fma_f64 v[19:20], v[5:6], v[13:14], v[19:20]
	v_add_f64 v[25:26], v[25:26], v[17:18]
	v_add_f64 v[27:28], v[19:20], v[27:28]
	ds_read_b128 v[17:20], v33 offset:2304
	s_waitcnt lgkmcnt(0)
	v_mul_f64 v[45:46], v[5:6], v[19:20]
	v_fma_f64 v[45:46], v[3:4], v[17:18], -v[45:46]
	v_mul_f64 v[3:4], v[3:4], v[19:20]
	v_add_f64 v[37:38], v[37:38], v[45:46]
	v_fma_f64 v[3:4], v[5:6], v[17:18], v[3:4]
	v_add_f64 v[39:40], v[3:4], v[39:40]
	ds_read_b128 v[3:6], v34 offset:2112
	s_waitcnt lgkmcnt(0)
	v_mul_f64 v[45:46], v[5:6], v[15:16]
	v_mul_f64 v[15:16], v[3:4], v[15:16]
	v_fma_f64 v[45:46], v[3:4], v[13:14], -v[45:46]
	v_fma_f64 v[13:14], v[5:6], v[13:14], v[15:16]
	v_add_f64 v[41:42], v[41:42], v[45:46]
	v_add_f64 v[43:44], v[13:14], v[43:44]
	v_mul_f64 v[13:14], v[5:6], v[19:20]
	v_fma_f64 v[13:14], v[3:4], v[17:18], -v[13:14]
	v_mul_f64 v[3:4], v[3:4], v[19:20]
	v_add_f64 v[21:22], v[21:22], v[13:14]
	v_fma_f64 v[3:4], v[5:6], v[17:18], v[3:4]
	v_add_f64 v[23:24], v[3:4], v[23:24]
	ds_read_b128 v[3:6], v34 offset:80
	ds_read_b128 v[13:16], v33 offset:2560
	s_waitcnt lgkmcnt(0)
	v_mul_f64 v[17:18], v[5:6], v[15:16]
	v_mul_f64 v[19:20], v[3:4], v[15:16]
	v_fma_f64 v[17:18], v[3:4], v[13:14], -v[17:18]
	v_fma_f64 v[19:20], v[5:6], v[13:14], v[19:20]
	v_add_f64 v[25:26], v[25:26], v[17:18]
	v_add_f64 v[27:28], v[19:20], v[27:28]
	ds_read_b128 v[17:20], v33 offset:2816
	s_waitcnt lgkmcnt(0)
	v_mul_f64 v[45:46], v[5:6], v[19:20]
	v_fma_f64 v[45:46], v[3:4], v[17:18], -v[45:46]
	v_mul_f64 v[3:4], v[3:4], v[19:20]
	v_add_f64 v[37:38], v[37:38], v[45:46]
	v_fma_f64 v[3:4], v[5:6], v[17:18], v[3:4]
	v_add_f64 v[39:40], v[3:4], v[39:40]
	ds_read_b128 v[3:6], v34 offset:2128
	s_waitcnt lgkmcnt(0)
	v_mul_f64 v[45:46], v[5:6], v[15:16]
	v_mul_f64 v[15:16], v[3:4], v[15:16]
	v_fma_f64 v[45:46], v[3:4], v[13:14], -v[45:46]
	v_fma_f64 v[13:14], v[5:6], v[13:14], v[15:16]
	v_add_f64 v[41:42], v[41:42], v[45:46]
	v_add_f64 v[43:44], v[13:14], v[43:44]
	v_mul_f64 v[13:14], v[5:6], v[19:20]
	v_fma_f64 v[13:14], v[3:4], v[17:18], -v[13:14]
	v_mul_f64 v[3:4], v[3:4], v[19:20]
	v_add_f64 v[21:22], v[21:22], v[13:14]
	v_fma_f64 v[3:4], v[5:6], v[17:18], v[3:4]
	;; [unrolled: 31-line block ×3, first 2 shown]
	v_add_f64 v[47:48], v[3:4], v[23:24]
	ds_read_b128 v[3:6], v34 offset:112
	ds_read_b128 v[17:20], v33 offset:3584
	s_waitcnt lgkmcnt(0)
	v_mul_f64 v[13:14], v[5:6], v[19:20]
	v_mul_f64 v[15:16], v[3:4], v[19:20]
	v_fma_f64 v[13:14], v[3:4], v[17:18], -v[13:14]
	v_fma_f64 v[15:16], v[5:6], v[17:18], v[15:16]
	v_add_f64 v[21:22], v[25:26], v[13:14]
	v_add_f64 v[23:24], v[15:16], v[27:28]
	ds_read_b128 v[25:28], v33 offset:3840
	s_waitcnt lgkmcnt(0)
	v_mul_f64 v[13:14], v[5:6], v[27:28]
	v_fma_f64 v[13:14], v[3:4], v[25:26], -v[13:14]
	v_mul_f64 v[3:4], v[3:4], v[27:28]
	v_add_f64 v[13:14], v[37:38], v[13:14]
	v_fma_f64 v[3:4], v[5:6], v[25:26], v[3:4]
	v_add_f64 v[15:16], v[3:4], v[39:40]
	ds_read_b128 v[3:6], v34 offset:2160
	s_waitcnt lgkmcnt(0)
	s_barrier
	v_mul_f64 v[37:38], v[5:6], v[19:20]
	v_mul_f64 v[19:20], v[3:4], v[19:20]
	v_fma_f64 v[37:38], v[3:4], v[17:18], -v[37:38]
	v_fma_f64 v[19:20], v[5:6], v[17:18], v[19:20]
	v_add_f64 v[17:18], v[41:42], v[37:38]
	v_mul_f64 v[37:38], v[5:6], v[27:28]
	v_add_f64 v[19:20], v[19:20], v[43:44]
	v_fma_f64 v[37:38], v[3:4], v[25:26], -v[37:38]
	v_mul_f64 v[3:4], v[3:4], v[27:28]
	v_fma_f64 v[3:4], v[5:6], v[25:26], v[3:4]
	v_add_f64 v[25:26], v[45:46], v[37:38]
	v_add_f64 v[27:28], v[3:4], v[47:48]
	s_cbranch_vccnz .LBB1228_10
.LBB1228_3:                             ; =>This Inner Loop Header: Depth=1
	v_mov_b32_e32 v4, s7
	v_add_co_u32_e32 v3, vcc, s6, v29
	v_addc_co_u32_e32 v4, vcc, 0, v4, vcc
	v_cmp_le_i64_e32 vcc, s[12:13], v[3:4]
	s_or_b64 s[18:19], s[10:11], vcc
	s_and_saveexec_b64 s[20:21], s[18:19]
	s_xor_b64 s[18:19], exec, s[20:21]
; %bb.4:                                ;   in Loop: Header=BB1228_3 Depth=1
	v_mov_b32_e32 v3, v2
	v_mov_b32_e32 v4, v2
	;; [unrolled: 1-line block ×3, first 2 shown]
	ds_write_b128 v31, v[2:5]
; %bb.5:                                ;   in Loop: Header=BB1228_3 Depth=1
	s_andn2_saveexec_b64 s[18:19], s[18:19]
	s_cbranch_execz .LBB1228_7
; %bb.6:                                ;   in Loop: Header=BB1228_3 Depth=1
	global_load_dwordx4 v[3:6], v[7:8], off
	s_waitcnt vmcnt(0)
	ds_write2_b64 v31, v[3:4], v[5:6] offset1:1
.LBB1228_7:                             ;   in Loop: Header=BB1228_3 Depth=1
	s_or_b64 exec, exec, s[18:19]
	v_mov_b32_e32 v4, s7
	v_add_co_u32_e32 v3, vcc, s6, v30
	v_addc_co_u32_e32 v4, vcc, 0, v4, vcc
	v_cmp_gt_i64_e32 vcc, s[12:13], v[3:4]
	v_mov_b32_e32 v3, 0
	v_mov_b32_e32 v5, 0
	;; [unrolled: 1-line block ×4, first 2 shown]
	s_and_b64 s[20:21], vcc, s[0:1]
	s_and_saveexec_b64 s[18:19], s[20:21]
	s_cbranch_execz .LBB1228_2
; %bb.8:                                ;   in Loop: Header=BB1228_3 Depth=1
	global_load_dwordx4 v[3:6], v[9:10], off offset:-8
	s_branch .LBB1228_2
.LBB1228_9:
	v_mov_b32_e32 v21, 0
	v_mov_b32_e32 v23, 0
	v_mov_b32_e32 v13, 0
	v_mov_b32_e32 v15, 0
	v_mov_b32_e32 v17, 0
	v_mov_b32_e32 v19, 0
	v_mov_b32_e32 v25, 0
	v_mov_b32_e32 v27, 0
	v_mov_b32_e32 v22, 0
	v_mov_b32_e32 v24, 0
	v_mov_b32_e32 v14, 0
	v_mov_b32_e32 v16, 0
	v_mov_b32_e32 v18, 0
	v_mov_b32_e32 v20, 0
	v_mov_b32_e32 v26, 0
	v_mov_b32_e32 v28, 0
.LBB1228_10:
	v_add_u32_e32 v4, s34, v1
	v_ashrrev_i32_e32 v1, 31, v4
	v_mul_lo_u32 v3, s28, v1
	v_mul_lo_u32 v5, s29, v4
	v_mad_u64_u32 v[1:2], s[2:3], s28, v4, 0
	s_mul_i32 s0, s31, s8
	s_mul_hi_u32 s1, s30, s8
	s_add_i32 s1, s1, s0
	s_mul_i32 s0, s30, s8
	s_lshl_b64 s[0:1], s[0:1], 4
	v_add3_u32 v2, v2, v3, v5
	s_add_u32 s4, s42, s0
	v_lshlrev_b64 v[1:2], 4, v[1:2]
	s_addc_u32 s5, s43, s1
	v_mov_b32_e32 v3, s5
	v_add_co_u32_e64 v5, s[0:1], s4, v1
	v_add_u32_e32 v0, s33, v0
	v_addc_co_u32_e64 v6, s[0:1], v3, v2, s[0:1]
	v_cmp_gt_i32_e32 vcc, s9, v4
	v_cmp_le_i32_e64 s[0:1], v0, v4
	s_and_b64 s[0:1], vcc, s[0:1]
	s_and_saveexec_b64 s[2:3], s[0:1]
	s_cbranch_execz .LBB1228_12
; %bb.11:
	v_ashrrev_i32_e32 v1, 31, v0
	v_lshlrev_b64 v[1:2], 4, v[0:1]
	v_mul_f64 v[11:12], s[16:17], v[23:24]
	v_add_co_u32_e64 v1, s[0:1], v5, v1
	v_addc_co_u32_e64 v2, s[0:1], v6, v2, s[0:1]
	global_load_dwordx4 v[7:10], v[1:2], off
	v_mul_f64 v[23:24], s[14:15], v[23:24]
	v_fma_f64 v[11:12], s[14:15], v[21:22], -v[11:12]
	v_fma_f64 v[21:22], s[16:17], v[21:22], v[23:24]
	s_waitcnt vmcnt(0)
	v_mul_f64 v[29:30], s[40:41], v[9:10]
	v_mul_f64 v[9:10], s[38:39], v[9:10]
	v_fma_f64 v[23:24], s[38:39], v[7:8], -v[29:30]
	v_fma_f64 v[9:10], s[40:41], v[7:8], v[9:10]
	v_add_f64 v[7:8], v[11:12], v[23:24]
	v_add_f64 v[9:10], v[21:22], v[9:10]
	global_store_dwordx4 v[1:2], v[7:10], off
.LBB1228_12:
	s_or_b64 exec, exec, s[2:3]
	v_add_u32_e32 v2, 16, v0
	v_cmp_le_i32_e64 s[0:1], v2, v4
	s_and_b64 s[2:3], vcc, s[0:1]
	s_and_saveexec_b64 s[0:1], s[2:3]
	s_cbranch_execz .LBB1228_14
; %bb.13:
	v_ashrrev_i32_e32 v3, 31, v2
	v_lshlrev_b64 v[7:8], 4, v[2:3]
	v_mul_f64 v[11:12], s[16:17], v[15:16]
	v_add_co_u32_e32 v9, vcc, v5, v7
	v_addc_co_u32_e32 v10, vcc, v6, v8, vcc
	global_load_dwordx4 v[5:8], v[9:10], off
	v_mul_f64 v[15:16], s[14:15], v[15:16]
	v_fma_f64 v[11:12], s[14:15], v[13:14], -v[11:12]
	v_fma_f64 v[13:14], s[16:17], v[13:14], v[15:16]
	s_waitcnt vmcnt(0)
	v_mul_f64 v[21:22], s[40:41], v[7:8]
	v_mul_f64 v[7:8], s[38:39], v[7:8]
	v_fma_f64 v[15:16], s[38:39], v[5:6], -v[21:22]
	v_fma_f64 v[7:8], s[40:41], v[5:6], v[7:8]
	v_add_f64 v[5:6], v[11:12], v[15:16]
	v_add_f64 v[7:8], v[13:14], v[7:8]
	global_store_dwordx4 v[9:10], v[5:8], off
.LBB1228_14:
	s_or_b64 exec, exec, s[0:1]
	v_add_u32_e32 v3, 16, v4
	v_ashrrev_i32_e32 v1, 31, v3
	v_mul_lo_u32 v1, s28, v1
	v_mul_lo_u32 v6, s29, v3
	v_mad_u64_u32 v[4:5], s[0:1], s28, v3, 0
	v_cmp_gt_i32_e32 vcc, s9, v3
	v_add3_u32 v5, v5, v1, v6
	v_lshlrev_b64 v[4:5], 4, v[4:5]
	v_mov_b32_e32 v1, s5
	v_add_co_u32_e64 v4, s[0:1], s4, v4
	v_addc_co_u32_e64 v5, s[0:1], v1, v5, s[0:1]
	v_cmp_le_i32_e64 s[0:1], v0, v3
	s_and_b64 s[0:1], vcc, s[0:1]
	s_and_saveexec_b64 s[2:3], s[0:1]
	s_cbranch_execz .LBB1228_16
; %bb.15:
	v_ashrrev_i32_e32 v1, 31, v0
	v_lshlrev_b64 v[0:1], 4, v[0:1]
	v_mul_f64 v[10:11], s[16:17], v[19:20]
	v_add_co_u32_e64 v0, s[0:1], v4, v0
	v_addc_co_u32_e64 v1, s[0:1], v5, v1, s[0:1]
	global_load_dwordx4 v[6:9], v[0:1], off
	v_mul_f64 v[12:13], s[14:15], v[19:20]
	v_fma_f64 v[10:11], s[14:15], v[17:18], -v[10:11]
	v_fma_f64 v[12:13], s[16:17], v[17:18], v[12:13]
	s_waitcnt vmcnt(0)
	v_mul_f64 v[14:15], s[40:41], v[8:9]
	v_mul_f64 v[8:9], s[38:39], v[8:9]
	v_fma_f64 v[14:15], s[38:39], v[6:7], -v[14:15]
	v_fma_f64 v[8:9], s[40:41], v[6:7], v[8:9]
	v_add_f64 v[6:7], v[10:11], v[14:15]
	v_add_f64 v[8:9], v[12:13], v[8:9]
	global_store_dwordx4 v[0:1], v[6:9], off
.LBB1228_16:
	s_or_b64 exec, exec, s[2:3]
	v_cmp_le_i32_e64 s[0:1], v2, v3
	s_and_b64 s[0:1], vcc, s[0:1]
	s_and_saveexec_b64 s[2:3], s[0:1]
	s_cbranch_execz .LBB1228_18
; %bb.17:
	v_ashrrev_i32_e32 v3, 31, v2
	v_lshlrev_b64 v[0:1], 4, v[2:3]
	v_mul_f64 v[6:7], s[16:17], v[27:28]
	v_add_co_u32_e32 v4, vcc, v4, v0
	v_addc_co_u32_e32 v5, vcc, v5, v1, vcc
	global_load_dwordx4 v[0:3], v[4:5], off
	v_mul_f64 v[8:9], s[14:15], v[27:28]
	v_fma_f64 v[6:7], s[14:15], v[25:26], -v[6:7]
	v_fma_f64 v[8:9], s[16:17], v[25:26], v[8:9]
	s_waitcnt vmcnt(0)
	v_mul_f64 v[10:11], s[40:41], v[2:3]
	v_mul_f64 v[2:3], s[38:39], v[2:3]
	v_fma_f64 v[10:11], s[38:39], v[0:1], -v[10:11]
	v_fma_f64 v[2:3], s[40:41], v[0:1], v[2:3]
	v_add_f64 v[0:1], v[6:7], v[10:11]
	v_add_f64 v[2:3], v[8:9], v[2:3]
	global_store_dwordx4 v[4:5], v[0:3], off
.LBB1228_18:
	s_endpgm
	.section	.rodata,"a",@progbits
	.p2align	6, 0x0
	.amdhsa_kernel _ZL34rocblas_syrkx_herkx_general_kernelIl19rocblas_complex_numIdELi16ELi32ELi8ELb0ELb0ELc78ELc85EKS1_S1_EviT_T0_PT8_S3_lS6_S3_lS4_PT9_S3_li
		.amdhsa_group_segment_fixed_size 8192
		.amdhsa_private_segment_fixed_size 0
		.amdhsa_kernarg_size 124
		.amdhsa_user_sgpr_count 6
		.amdhsa_user_sgpr_private_segment_buffer 1
		.amdhsa_user_sgpr_dispatch_ptr 0
		.amdhsa_user_sgpr_queue_ptr 0
		.amdhsa_user_sgpr_kernarg_segment_ptr 1
		.amdhsa_user_sgpr_dispatch_id 0
		.amdhsa_user_sgpr_flat_scratch_init 0
		.amdhsa_user_sgpr_private_segment_size 0
		.amdhsa_uses_dynamic_stack 0
		.amdhsa_system_sgpr_private_segment_wavefront_offset 0
		.amdhsa_system_sgpr_workgroup_id_x 1
		.amdhsa_system_sgpr_workgroup_id_y 1
		.amdhsa_system_sgpr_workgroup_id_z 1
		.amdhsa_system_sgpr_workgroup_info 0
		.amdhsa_system_vgpr_workitem_id 1
		.amdhsa_next_free_vgpr 61
		.amdhsa_next_free_sgpr 61
		.amdhsa_reserve_vcc 1
		.amdhsa_reserve_flat_scratch 0
		.amdhsa_float_round_mode_32 0
		.amdhsa_float_round_mode_16_64 0
		.amdhsa_float_denorm_mode_32 3
		.amdhsa_float_denorm_mode_16_64 3
		.amdhsa_dx10_clamp 1
		.amdhsa_ieee_mode 1
		.amdhsa_fp16_overflow 0
		.amdhsa_exception_fp_ieee_invalid_op 0
		.amdhsa_exception_fp_denorm_src 0
		.amdhsa_exception_fp_ieee_div_zero 0
		.amdhsa_exception_fp_ieee_overflow 0
		.amdhsa_exception_fp_ieee_underflow 0
		.amdhsa_exception_fp_ieee_inexact 0
		.amdhsa_exception_int_div_zero 0
	.end_amdhsa_kernel
	.section	.text._ZL34rocblas_syrkx_herkx_general_kernelIl19rocblas_complex_numIdELi16ELi32ELi8ELb0ELb0ELc78ELc85EKS1_S1_EviT_T0_PT8_S3_lS6_S3_lS4_PT9_S3_li,"axG",@progbits,_ZL34rocblas_syrkx_herkx_general_kernelIl19rocblas_complex_numIdELi16ELi32ELi8ELb0ELb0ELc78ELc85EKS1_S1_EviT_T0_PT8_S3_lS6_S3_lS4_PT9_S3_li,comdat
.Lfunc_end1228:
	.size	_ZL34rocblas_syrkx_herkx_general_kernelIl19rocblas_complex_numIdELi16ELi32ELi8ELb0ELb0ELc78ELc85EKS1_S1_EviT_T0_PT8_S3_lS6_S3_lS4_PT9_S3_li, .Lfunc_end1228-_ZL34rocblas_syrkx_herkx_general_kernelIl19rocblas_complex_numIdELi16ELi32ELi8ELb0ELb0ELc78ELc85EKS1_S1_EviT_T0_PT8_S3_lS6_S3_lS4_PT9_S3_li
                                        ; -- End function
	.set _ZL34rocblas_syrkx_herkx_general_kernelIl19rocblas_complex_numIdELi16ELi32ELi8ELb0ELb0ELc78ELc85EKS1_S1_EviT_T0_PT8_S3_lS6_S3_lS4_PT9_S3_li.num_vgpr, 61
	.set _ZL34rocblas_syrkx_herkx_general_kernelIl19rocblas_complex_numIdELi16ELi32ELi8ELb0ELb0ELc78ELc85EKS1_S1_EviT_T0_PT8_S3_lS6_S3_lS4_PT9_S3_li.num_agpr, 0
	.set _ZL34rocblas_syrkx_herkx_general_kernelIl19rocblas_complex_numIdELi16ELi32ELi8ELb0ELb0ELc78ELc85EKS1_S1_EviT_T0_PT8_S3_lS6_S3_lS4_PT9_S3_li.numbered_sgpr, 44
	.set _ZL34rocblas_syrkx_herkx_general_kernelIl19rocblas_complex_numIdELi16ELi32ELi8ELb0ELb0ELc78ELc85EKS1_S1_EviT_T0_PT8_S3_lS6_S3_lS4_PT9_S3_li.num_named_barrier, 0
	.set _ZL34rocblas_syrkx_herkx_general_kernelIl19rocblas_complex_numIdELi16ELi32ELi8ELb0ELb0ELc78ELc85EKS1_S1_EviT_T0_PT8_S3_lS6_S3_lS4_PT9_S3_li.private_seg_size, 0
	.set _ZL34rocblas_syrkx_herkx_general_kernelIl19rocblas_complex_numIdELi16ELi32ELi8ELb0ELb0ELc78ELc85EKS1_S1_EviT_T0_PT8_S3_lS6_S3_lS4_PT9_S3_li.uses_vcc, 1
	.set _ZL34rocblas_syrkx_herkx_general_kernelIl19rocblas_complex_numIdELi16ELi32ELi8ELb0ELb0ELc78ELc85EKS1_S1_EviT_T0_PT8_S3_lS6_S3_lS4_PT9_S3_li.uses_flat_scratch, 0
	.set _ZL34rocblas_syrkx_herkx_general_kernelIl19rocblas_complex_numIdELi16ELi32ELi8ELb0ELb0ELc78ELc85EKS1_S1_EviT_T0_PT8_S3_lS6_S3_lS4_PT9_S3_li.has_dyn_sized_stack, 0
	.set _ZL34rocblas_syrkx_herkx_general_kernelIl19rocblas_complex_numIdELi16ELi32ELi8ELb0ELb0ELc78ELc85EKS1_S1_EviT_T0_PT8_S3_lS6_S3_lS4_PT9_S3_li.has_recursion, 0
	.set _ZL34rocblas_syrkx_herkx_general_kernelIl19rocblas_complex_numIdELi16ELi32ELi8ELb0ELb0ELc78ELc85EKS1_S1_EviT_T0_PT8_S3_lS6_S3_lS4_PT9_S3_li.has_indirect_call, 0
	.section	.AMDGPU.csdata,"",@progbits
; Kernel info:
; codeLenInByte = 3428
; TotalNumSgprs: 48
; NumVgprs: 61
; ScratchSize: 0
; MemoryBound: 1
; FloatMode: 240
; IeeeMode: 1
; LDSByteSize: 8192 bytes/workgroup (compile time only)
; SGPRBlocks: 8
; VGPRBlocks: 15
; NumSGPRsForWavesPerEU: 65
; NumVGPRsForWavesPerEU: 61
; Occupancy: 4
; WaveLimiterHint : 0
; COMPUTE_PGM_RSRC2:SCRATCH_EN: 0
; COMPUTE_PGM_RSRC2:USER_SGPR: 6
; COMPUTE_PGM_RSRC2:TRAP_HANDLER: 0
; COMPUTE_PGM_RSRC2:TGID_X_EN: 1
; COMPUTE_PGM_RSRC2:TGID_Y_EN: 1
; COMPUTE_PGM_RSRC2:TGID_Z_EN: 1
; COMPUTE_PGM_RSRC2:TIDIG_COMP_CNT: 1
	.section	.text._ZL26rocblas_syr2k_scale_kernelIlLi128ELi8ELb0E19rocblas_complex_numIdES1_PS1_EvbiT_T3_T4_T5_S3_li,"axG",@progbits,_ZL26rocblas_syr2k_scale_kernelIlLi128ELi8ELb0E19rocblas_complex_numIdES1_PS1_EvbiT_T3_T4_T5_S3_li,comdat
	.globl	_ZL26rocblas_syr2k_scale_kernelIlLi128ELi8ELb0E19rocblas_complex_numIdES1_PS1_EvbiT_T3_T4_T5_S3_li ; -- Begin function _ZL26rocblas_syr2k_scale_kernelIlLi128ELi8ELb0E19rocblas_complex_numIdES1_PS1_EvbiT_T3_T4_T5_S3_li
	.p2align	8
	.type	_ZL26rocblas_syr2k_scale_kernelIlLi128ELi8ELb0E19rocblas_complex_numIdES1_PS1_EvbiT_T3_T4_T5_S3_li,@function
_ZL26rocblas_syr2k_scale_kernelIlLi128ELi8ELb0E19rocblas_complex_numIdES1_PS1_EvbiT_T3_T4_T5_S3_li: ; @_ZL26rocblas_syr2k_scale_kernelIlLi128ELi8ELb0E19rocblas_complex_numIdES1_PS1_EvbiT_T3_T4_T5_S3_li
; %bb.0:
	s_load_dwordx8 s[12:19], s[4:5], 0x20
	s_waitcnt lgkmcnt(0)
	v_cmp_eq_f64_e64 s[0:1], s[12:13], 1.0
	v_cmp_eq_f64_e64 s[2:3], s[14:15], 0
	s_and_b64 s[0:1], s[0:1], s[2:3]
	s_and_b64 vcc, exec, s[0:1]
	s_cbranch_vccnz .LBB1229_5
; %bb.1:
	s_load_dwordx2 s[0:1], s[4:5], 0x0
	s_load_dword s2, s[4:5], 0x5c
	s_waitcnt lgkmcnt(0)
	s_bitcmp1_b32 s0, 0
	s_cselect_b64 vcc, -1, 0
	s_lshr_b32 s0, s2, 16
	s_and_b32 s2, s2, 0xffff
	s_mul_i32 s6, s6, s2
	s_mul_i32 s7, s7, s0
	v_add_u32_e32 v0, s6, v0
	v_add_u32_e32 v1, s7, v1
	v_cndmask_b32_e32 v2, v1, v0, vcc
	v_cndmask_b32_e32 v3, v0, v1, vcc
	v_max_u32_e32 v4, v0, v1
	v_cmp_gt_u32_e32 vcc, s1, v4
	v_cmp_le_i32_e64 s[0:1], v2, v3
	s_and_b64 s[0:1], vcc, s[0:1]
	s_and_saveexec_b64 s[2:3], s[0:1]
	s_cbranch_execz .LBB1229_5
; %bb.2:
	s_load_dwordx2 s[0:1], s[4:5], 0x40
	v_mad_u64_u32 v[2:3], s[2:3], s18, v1, 0
	s_waitcnt lgkmcnt(0)
	s_mul_i32 s1, s1, s8
	s_mul_hi_u32 s2, s0, s8
	s_mul_i32 s0, s0, s8
	s_add_i32 s1, s2, s1
	s_lshl_b64 s[0:1], s[0:1], 4
	v_mad_u64_u32 v[3:4], s[2:3], s19, v1, v[3:4]
	s_add_u32 s4, s16, s0
	s_addc_u32 s5, s17, s1
	v_cmp_neq_f64_e64 s[0:1], s[12:13], 0
	v_cmp_neq_f64_e64 s[2:3], s[14:15], 0
	v_lshlrev_b64 v[2:3], 4, v[2:3]
	v_mov_b32_e32 v1, 0
	v_mov_b32_e32 v4, s5
	v_add_co_u32_e32 v6, vcc, s4, v2
	v_addc_co_u32_e32 v7, vcc, v4, v3, vcc
	v_lshlrev_b64 v[4:5], 4, v[0:1]
	s_or_b64 s[0:1], s[0:1], s[2:3]
	v_mov_b32_e32 v2, 0
	s_andn2_b64 vcc, exec, s[0:1]
	v_mov_b32_e32 v0, 0
	v_add_co_u32_e64 v4, s[0:1], v6, v4
	v_mov_b32_e32 v3, 0
	v_mov_b32_e32 v1, 0
	v_addc_co_u32_e64 v5, s[0:1], v7, v5, s[0:1]
	s_cbranch_vccnz .LBB1229_4
; %bb.3:
	global_load_dwordx4 v[6:9], v[4:5], off
	s_waitcnt vmcnt(0)
	v_mul_f64 v[0:1], s[14:15], v[8:9]
	v_mul_f64 v[2:3], s[12:13], v[8:9]
	v_fma_f64 v[0:1], s[12:13], v[6:7], -v[0:1]
	v_fma_f64 v[2:3], s[14:15], v[6:7], v[2:3]
.LBB1229_4:
	global_store_dwordx4 v[4:5], v[0:3], off
.LBB1229_5:
	s_endpgm
	.section	.rodata,"a",@progbits
	.p2align	6, 0x0
	.amdhsa_kernel _ZL26rocblas_syr2k_scale_kernelIlLi128ELi8ELb0E19rocblas_complex_numIdES1_PS1_EvbiT_T3_T4_T5_S3_li
		.amdhsa_group_segment_fixed_size 0
		.amdhsa_private_segment_fixed_size 0
		.amdhsa_kernarg_size 336
		.amdhsa_user_sgpr_count 6
		.amdhsa_user_sgpr_private_segment_buffer 1
		.amdhsa_user_sgpr_dispatch_ptr 0
		.amdhsa_user_sgpr_queue_ptr 0
		.amdhsa_user_sgpr_kernarg_segment_ptr 1
		.amdhsa_user_sgpr_dispatch_id 0
		.amdhsa_user_sgpr_flat_scratch_init 0
		.amdhsa_user_sgpr_private_segment_size 0
		.amdhsa_uses_dynamic_stack 0
		.amdhsa_system_sgpr_private_segment_wavefront_offset 0
		.amdhsa_system_sgpr_workgroup_id_x 1
		.amdhsa_system_sgpr_workgroup_id_y 1
		.amdhsa_system_sgpr_workgroup_id_z 1
		.amdhsa_system_sgpr_workgroup_info 0
		.amdhsa_system_vgpr_workitem_id 1
		.amdhsa_next_free_vgpr 10
		.amdhsa_next_free_sgpr 20
		.amdhsa_reserve_vcc 1
		.amdhsa_reserve_flat_scratch 0
		.amdhsa_float_round_mode_32 0
		.amdhsa_float_round_mode_16_64 0
		.amdhsa_float_denorm_mode_32 3
		.amdhsa_float_denorm_mode_16_64 3
		.amdhsa_dx10_clamp 1
		.amdhsa_ieee_mode 1
		.amdhsa_fp16_overflow 0
		.amdhsa_exception_fp_ieee_invalid_op 0
		.amdhsa_exception_fp_denorm_src 0
		.amdhsa_exception_fp_ieee_div_zero 0
		.amdhsa_exception_fp_ieee_overflow 0
		.amdhsa_exception_fp_ieee_underflow 0
		.amdhsa_exception_fp_ieee_inexact 0
		.amdhsa_exception_int_div_zero 0
	.end_amdhsa_kernel
	.section	.text._ZL26rocblas_syr2k_scale_kernelIlLi128ELi8ELb0E19rocblas_complex_numIdES1_PS1_EvbiT_T3_T4_T5_S3_li,"axG",@progbits,_ZL26rocblas_syr2k_scale_kernelIlLi128ELi8ELb0E19rocblas_complex_numIdES1_PS1_EvbiT_T3_T4_T5_S3_li,comdat
.Lfunc_end1229:
	.size	_ZL26rocblas_syr2k_scale_kernelIlLi128ELi8ELb0E19rocblas_complex_numIdES1_PS1_EvbiT_T3_T4_T5_S3_li, .Lfunc_end1229-_ZL26rocblas_syr2k_scale_kernelIlLi128ELi8ELb0E19rocblas_complex_numIdES1_PS1_EvbiT_T3_T4_T5_S3_li
                                        ; -- End function
	.set _ZL26rocblas_syr2k_scale_kernelIlLi128ELi8ELb0E19rocblas_complex_numIdES1_PS1_EvbiT_T3_T4_T5_S3_li.num_vgpr, 10
	.set _ZL26rocblas_syr2k_scale_kernelIlLi128ELi8ELb0E19rocblas_complex_numIdES1_PS1_EvbiT_T3_T4_T5_S3_li.num_agpr, 0
	.set _ZL26rocblas_syr2k_scale_kernelIlLi128ELi8ELb0E19rocblas_complex_numIdES1_PS1_EvbiT_T3_T4_T5_S3_li.numbered_sgpr, 20
	.set _ZL26rocblas_syr2k_scale_kernelIlLi128ELi8ELb0E19rocblas_complex_numIdES1_PS1_EvbiT_T3_T4_T5_S3_li.num_named_barrier, 0
	.set _ZL26rocblas_syr2k_scale_kernelIlLi128ELi8ELb0E19rocblas_complex_numIdES1_PS1_EvbiT_T3_T4_T5_S3_li.private_seg_size, 0
	.set _ZL26rocblas_syr2k_scale_kernelIlLi128ELi8ELb0E19rocblas_complex_numIdES1_PS1_EvbiT_T3_T4_T5_S3_li.uses_vcc, 1
	.set _ZL26rocblas_syr2k_scale_kernelIlLi128ELi8ELb0E19rocblas_complex_numIdES1_PS1_EvbiT_T3_T4_T5_S3_li.uses_flat_scratch, 0
	.set _ZL26rocblas_syr2k_scale_kernelIlLi128ELi8ELb0E19rocblas_complex_numIdES1_PS1_EvbiT_T3_T4_T5_S3_li.has_dyn_sized_stack, 0
	.set _ZL26rocblas_syr2k_scale_kernelIlLi128ELi8ELb0E19rocblas_complex_numIdES1_PS1_EvbiT_T3_T4_T5_S3_li.has_recursion, 0
	.set _ZL26rocblas_syr2k_scale_kernelIlLi128ELi8ELb0E19rocblas_complex_numIdES1_PS1_EvbiT_T3_T4_T5_S3_li.has_indirect_call, 0
	.section	.AMDGPU.csdata,"",@progbits
; Kernel info:
; codeLenInByte = 336
; TotalNumSgprs: 24
; NumVgprs: 10
; ScratchSize: 0
; MemoryBound: 0
; FloatMode: 240
; IeeeMode: 1
; LDSByteSize: 0 bytes/workgroup (compile time only)
; SGPRBlocks: 2
; VGPRBlocks: 2
; NumSGPRsForWavesPerEU: 24
; NumVGPRsForWavesPerEU: 10
; Occupancy: 10
; WaveLimiterHint : 0
; COMPUTE_PGM_RSRC2:SCRATCH_EN: 0
; COMPUTE_PGM_RSRC2:USER_SGPR: 6
; COMPUTE_PGM_RSRC2:TRAP_HANDLER: 0
; COMPUTE_PGM_RSRC2:TGID_X_EN: 1
; COMPUTE_PGM_RSRC2:TGID_Y_EN: 1
; COMPUTE_PGM_RSRC2:TGID_Z_EN: 1
; COMPUTE_PGM_RSRC2:TIDIG_COMP_CNT: 1
	.section	.text._ZL26rocblas_syr2k_her2k_kernelIlLb0ELb0ELb0ELi32EPK19rocblas_complex_numIdES3_PS1_EvbiT_T4_T5_S5_lS7_S5_lT6_S5_li,"axG",@progbits,_ZL26rocblas_syr2k_her2k_kernelIlLb0ELb0ELb0ELi32EPK19rocblas_complex_numIdES3_PS1_EvbiT_T4_T5_S5_lS7_S5_lT6_S5_li,comdat
	.globl	_ZL26rocblas_syr2k_her2k_kernelIlLb0ELb0ELb0ELi32EPK19rocblas_complex_numIdES3_PS1_EvbiT_T4_T5_S5_lS7_S5_lT6_S5_li ; -- Begin function _ZL26rocblas_syr2k_her2k_kernelIlLb0ELb0ELb0ELi32EPK19rocblas_complex_numIdES3_PS1_EvbiT_T4_T5_S5_lS7_S5_lT6_S5_li
	.p2align	8
	.type	_ZL26rocblas_syr2k_her2k_kernelIlLb0ELb0ELb0ELi32EPK19rocblas_complex_numIdES3_PS1_EvbiT_T4_T5_S5_lS7_S5_lT6_S5_li,@function
_ZL26rocblas_syr2k_her2k_kernelIlLb0ELb0ELb0ELi32EPK19rocblas_complex_numIdES3_PS1_EvbiT_T4_T5_S5_lS7_S5_lT6_S5_li: ; @_ZL26rocblas_syr2k_her2k_kernelIlLb0ELb0ELb0ELi32EPK19rocblas_complex_numIdES3_PS1_EvbiT_T4_T5_S5_lS7_S5_lT6_S5_li
; %bb.0:
	s_load_dwordx16 s[12:27], s[4:5], 0x8
	s_waitcnt lgkmcnt(0)
	s_load_dwordx4 s[28:31], s[14:15], 0x0
	s_waitcnt lgkmcnt(0)
	v_cmp_eq_f64_e64 s[0:1], s[28:29], 0
	v_cmp_eq_f64_e64 s[2:3], s[30:31], 0
	s_and_b64 s[0:1], s[0:1], s[2:3]
	s_and_b64 vcc, exec, s[0:1]
	s_cbranch_vccnz .LBB1230_10
; %bb.1:
	s_load_dwordx2 s[10:11], s[4:5], 0x0
	s_lshl_b32 s3, s7, 5
	s_lshl_b32 s2, s6, 5
	s_waitcnt lgkmcnt(0)
	s_and_b32 s0, 1, s10
	s_cmp_eq_u32 s0, 1
	s_cselect_b64 s[0:1], -1, 0
	s_and_b64 s[6:7], s[0:1], exec
	s_cselect_b32 s6, s2, s3
	s_cselect_b32 s7, s3, s2
	s_cmp_gt_i32 s6, s7
	v_cmp_lt_i64_e64 s[6:7], s[12:13], 1
	s_cselect_b64 s[14:15], -1, 0
	s_or_b64 s[6:7], s[14:15], s[6:7]
	s_and_b64 vcc, exec, s[6:7]
	s_cbranch_vccnz .LBB1230_10
; %bb.2:
	s_load_dwordx2 s[6:7], s[4:5], 0x58
	s_load_dwordx4 s[36:39], s[4:5], 0x48
	v_add_u32_e32 v2, s3, v1
	v_lshlrev_b32_e32 v14, 9, v0
	v_lshlrev_b32_e32 v6, 4, v1
	s_waitcnt lgkmcnt(0)
	s_mul_i32 s3, s7, s8
	s_mul_hi_u32 s5, s6, s8
	s_mul_i32 s4, s6, s8
	s_add_i32 s5, s5, s3
	s_lshl_b64 s[4:5], s[4:5], 4
	s_add_u32 s9, s36, s4
	v_add_u32_e32 v15, v14, v6
	v_or_b32_e32 v16, 0x4000, v6
	v_ashrrev_i32_e32 v6, 31, v2
	s_addc_u32 s10, s37, s5
	v_mul_lo_u32 v11, s38, v6
	v_mul_lo_u32 v12, s39, v2
	v_mad_u64_u32 v[6:7], s[4:5], s38, v2, 0
	v_add_u32_e32 v4, s2, v0
	v_cndmask_b32_e64 v8, v4, v2, s[0:1]
	v_add3_u32 v7, v7, v11, v12
	v_cndmask_b32_e64 v9, v2, v4, s[0:1]
	v_max_i32_e32 v10, v4, v2
	v_lshlrev_b64 v[6:7], 4, v[6:7]
	v_cmp_gt_i32_e32 vcc, s11, v10
	v_cmp_le_i32_e64 s[4:5], v9, v8
	s_and_b64 s[6:7], s[4:5], vcc
	v_mov_b32_e32 v10, s10
	v_add_co_u32_e32 v12, vcc, s9, v6
	v_addc_co_u32_e32 v13, vcc, v10, v7, vcc
	v_mad_u64_u32 v[10:11], s[4:5], s24, v0, 0
	v_ashrrev_i32_e32 v9, 31, v4
	v_mov_b32_e32 v8, v4
	v_lshlrev_b64 v[6:7], 4, v[8:9]
	s_mul_i32 s9, s27, s8
	v_add_co_u32_e32 v8, vcc, v12, v6
	v_mov_b32_e32 v6, v11
	v_addc_co_u32_e32 v9, vcc, v13, v7, vcc
	v_mad_u64_u32 v[6:7], s[4:5], s25, v0, v[6:7]
	s_mul_hi_u32 s10, s26, s8
	v_mov_b32_e32 v5, 0
	v_mov_b32_e32 v11, v6
	s_add_i32 s5, s10, s9
	s_mul_i32 s4, s26, s8
	v_lshlrev_b64 v[6:7], 4, v[10:11]
	s_ashr_i32 s3, s11, 31
	s_mov_b32 s2, s11
	v_mov_b32_e32 v3, v5
	s_lshl_b64 s[4:5], s[4:5], 4
	v_cmp_gt_i64_e64 s[0:1], s[2:3], v[4:5]
	v_cmp_gt_i64_e64 s[2:3], s[2:3], v[2:3]
	v_mov_b32_e32 v10, s5
	v_add_co_u32_e32 v6, vcc, s4, v6
	v_lshlrev_b64 v[2:3], 4, v[2:3]
	v_addc_co_u32_e32 v7, vcc, v10, v7, vcc
	v_add_co_u32_e32 v2, vcc, v6, v2
	v_addc_co_u32_e32 v3, vcc, v7, v3, vcc
	v_mov_b32_e32 v6, s23
	v_add_co_u32_e32 v2, vcc, s22, v2
	v_addc_co_u32_e32 v3, vcc, v6, v3, vcc
	v_add_co_u32_e32 v10, vcc, 8, v2
	v_addc_co_u32_e32 v11, vcc, 0, v3, vcc
	v_mad_u64_u32 v[2:3], s[4:5], s18, v1, 0
	s_mul_i32 s9, s21, s8
	s_mul_hi_u32 s14, s20, s8
	v_mad_u64_u32 v[6:7], s[4:5], s19, v1, v[3:4]
	s_add_i32 s5, s14, s9
	s_mul_i32 s4, s20, s8
	v_mov_b32_e32 v3, v6
	v_lshlrev_b64 v[2:3], 4, v[2:3]
	s_lshl_b64 s[4:5], s[4:5], 4
	v_mov_b32_e32 v6, s5
	v_add_co_u32_e32 v7, vcc, s4, v2
	v_addc_co_u32_e32 v6, vcc, v6, v3, vcc
	v_lshlrev_b64 v[2:3], 4, v[4:5]
	v_mov_b32_e32 v4, s17
	v_add_co_u32_e32 v2, vcc, v7, v2
	v_addc_co_u32_e32 v3, vcc, v6, v3, vcc
	v_add_co_u32_e32 v2, vcc, s16, v2
	v_addc_co_u32_e32 v3, vcc, v4, v3, vcc
	v_add_co_u32_e32 v12, vcc, 8, v2
	v_add_u32_e32 v17, v16, v14
	s_lshl_b64 s[10:11], s[24:25], 9
	v_addc_co_u32_e32 v13, vcc, 0, v3, vcc
	s_lshl_b64 s[8:9], s[18:19], 9
	s_mov_b64 s[14:15], 0
	s_branch .LBB1230_4
.LBB1230_3:                             ;   in Loop: Header=BB1230_4 Depth=1
	s_or_b64 exec, exec, s[4:5]
	v_mov_b32_e32 v2, s11
	v_add_co_u32_e32 v10, vcc, s10, v10
	s_add_u32 s14, s14, 32
	v_addc_co_u32_e32 v11, vcc, v11, v2, vcc
	v_mov_b32_e32 v2, s12
	s_addc_u32 s15, s15, 0
	v_mov_b32_e32 v3, s13
	v_cmp_lt_i64_e32 vcc, s[14:15], v[2:3]
	v_mov_b32_e32 v4, s9
	v_add_co_u32_e64 v12, s[4:5], s8, v12
	v_addc_co_u32_e64 v13, s[4:5], v13, v4, s[4:5]
	s_waitcnt vmcnt(0)
	s_barrier
	s_cbranch_vccz .LBB1230_10
.LBB1230_4:                             ; =>This Inner Loop Header: Depth=1
	v_mov_b32_e32 v3, s15
	v_add_co_u32_e32 v2, vcc, s14, v1
	v_addc_co_u32_e32 v3, vcc, 0, v3, vcc
	v_cmp_gt_i64_e32 vcc, s[12:13], v[2:3]
	v_mov_b32_e32 v2, 0
	v_mov_b32_e32 v4, 0
	;; [unrolled: 1-line block ×6, first 2 shown]
	s_and_b64 s[16:17], s[0:1], vcc
	s_and_saveexec_b64 s[4:5], s[16:17]
	s_cbranch_execz .LBB1230_6
; %bb.5:                                ;   in Loop: Header=BB1230_4 Depth=1
	global_load_dwordx4 v[4:7], v[12:13], off offset:-8
.LBB1230_6:                             ;   in Loop: Header=BB1230_4 Depth=1
	s_or_b64 exec, exec, s[4:5]
	s_waitcnt vmcnt(0)
	ds_write_b128 v15, v[4:7]
	v_mov_b32_e32 v5, s15
	v_add_co_u32_e32 v4, vcc, s14, v0
	v_addc_co_u32_e32 v5, vcc, 0, v5, vcc
	v_cmp_gt_i64_e32 vcc, s[12:13], v[4:5]
	v_mov_b32_e32 v4, 0
	v_mov_b32_e32 v5, 0
	s_and_b64 s[16:17], s[2:3], vcc
	s_and_saveexec_b64 s[4:5], s[16:17]
	s_cbranch_execz .LBB1230_8
; %bb.7:                                ;   in Loop: Header=BB1230_4 Depth=1
	global_load_dwordx4 v[2:5], v[10:11], off offset:-8
.LBB1230_8:                             ;   in Loop: Header=BB1230_4 Depth=1
	s_or_b64 exec, exec, s[4:5]
	s_waitcnt vmcnt(0)
	ds_write_b128 v17, v[2:5]
	s_waitcnt lgkmcnt(0)
	s_barrier
	s_and_saveexec_b64 s[4:5], s[6:7]
	s_cbranch_execz .LBB1230_3
; %bb.9:                                ;   in Loop: Header=BB1230_4 Depth=1
	ds_read_b128 v[18:21], v16
	ds_read_b128 v[22:25], v14
	ds_read_b128 v[26:29], v14 offset:16
	ds_read_b128 v[30:33], v14 offset:32
	;; [unrolled: 1-line block ×3, first 2 shown]
	s_waitcnt lgkmcnt(3)
	v_mul_f64 v[6:7], v[20:21], v[24:25]
	v_fma_f64 v[6:7], v[18:19], v[22:23], -v[6:7]
	v_mul_f64 v[18:19], v[18:19], v[24:25]
	v_add_f64 v[6:7], v[6:7], 0
	v_fma_f64 v[18:19], v[20:21], v[22:23], v[18:19]
	v_add_f64 v[22:23], v[18:19], 0
	ds_read_b128 v[18:21], v16 offset:512
	s_waitcnt lgkmcnt(0)
	v_mul_f64 v[24:25], v[20:21], v[28:29]
	v_fma_f64 v[24:25], v[18:19], v[26:27], -v[24:25]
	v_mul_f64 v[18:19], v[18:19], v[28:29]
	v_add_f64 v[6:7], v[6:7], v[24:25]
	v_fma_f64 v[18:19], v[20:21], v[26:27], v[18:19]
	v_add_f64 v[22:23], v[22:23], v[18:19]
	ds_read_b128 v[18:21], v16 offset:1024
	;; [unrolled: 8-line block ×3, first 2 shown]
	s_waitcnt lgkmcnt(0)
	v_mul_f64 v[24:25], v[20:21], v[4:5]
	v_mul_f64 v[4:5], v[18:19], v[4:5]
	v_fma_f64 v[24:25], v[18:19], v[2:3], -v[24:25]
	v_fma_f64 v[2:3], v[20:21], v[2:3], v[4:5]
	v_add_f64 v[6:7], v[6:7], v[24:25]
	v_add_f64 v[22:23], v[22:23], v[2:3]
	ds_read_b128 v[2:5], v16 offset:2048
	ds_read_b128 v[18:21], v14 offset:64
	s_waitcnt lgkmcnt(0)
	v_mul_f64 v[24:25], v[4:5], v[20:21]
	v_fma_f64 v[24:25], v[2:3], v[18:19], -v[24:25]
	v_mul_f64 v[2:3], v[2:3], v[20:21]
	v_add_f64 v[6:7], v[6:7], v[24:25]
	v_fma_f64 v[2:3], v[4:5], v[18:19], v[2:3]
	v_add_f64 v[22:23], v[22:23], v[2:3]
	ds_read_b128 v[2:5], v16 offset:2560
	ds_read_b128 v[18:21], v14 offset:80
	s_waitcnt lgkmcnt(0)
	v_mul_f64 v[24:25], v[4:5], v[20:21]
	v_fma_f64 v[24:25], v[2:3], v[18:19], -v[24:25]
	v_mul_f64 v[2:3], v[2:3], v[20:21]
	v_add_f64 v[6:7], v[6:7], v[24:25]
	v_fma_f64 v[2:3], v[4:5], v[18:19], v[2:3]
	;; [unrolled: 9-line block ×27, first 2 shown]
	v_add_f64 v[22:23], v[22:23], v[2:3]
	ds_read_b128 v[2:5], v16 offset:15872
	ds_read_b128 v[18:21], v14 offset:496
	s_waitcnt lgkmcnt(0)
	v_mul_f64 v[24:25], v[4:5], v[20:21]
	v_fma_f64 v[24:25], v[2:3], v[18:19], -v[24:25]
	v_mul_f64 v[2:3], v[2:3], v[20:21]
	v_fma_f64 v[2:3], v[4:5], v[18:19], v[2:3]
	global_load_dwordx4 v[18:21], v[8:9], off
	v_add_f64 v[4:5], v[6:7], v[24:25]
	v_add_f64 v[6:7], v[22:23], v[2:3]
	v_mul_f64 v[2:3], s[30:31], v[6:7]
	v_fma_f64 v[2:3], s[28:29], v[4:5], -v[2:3]
	v_mul_f64 v[4:5], s[30:31], v[4:5]
	v_fma_f64 v[4:5], s[28:29], v[6:7], v[4:5]
	s_waitcnt vmcnt(0)
	v_add_f64 v[2:3], v[18:19], v[2:3]
	v_add_f64 v[4:5], v[20:21], v[4:5]
	global_store_dwordx4 v[8:9], v[2:5], off
	s_branch .LBB1230_3
.LBB1230_10:
	s_endpgm
	.section	.rodata,"a",@progbits
	.p2align	6, 0x0
	.amdhsa_kernel _ZL26rocblas_syr2k_her2k_kernelIlLb0ELb0ELb0ELi32EPK19rocblas_complex_numIdES3_PS1_EvbiT_T4_T5_S5_lS7_S5_lT6_S5_li
		.amdhsa_group_segment_fixed_size 32768
		.amdhsa_private_segment_fixed_size 0
		.amdhsa_kernarg_size 100
		.amdhsa_user_sgpr_count 6
		.amdhsa_user_sgpr_private_segment_buffer 1
		.amdhsa_user_sgpr_dispatch_ptr 0
		.amdhsa_user_sgpr_queue_ptr 0
		.amdhsa_user_sgpr_kernarg_segment_ptr 1
		.amdhsa_user_sgpr_dispatch_id 0
		.amdhsa_user_sgpr_flat_scratch_init 0
		.amdhsa_user_sgpr_private_segment_size 0
		.amdhsa_uses_dynamic_stack 0
		.amdhsa_system_sgpr_private_segment_wavefront_offset 0
		.amdhsa_system_sgpr_workgroup_id_x 1
		.amdhsa_system_sgpr_workgroup_id_y 1
		.amdhsa_system_sgpr_workgroup_id_z 1
		.amdhsa_system_sgpr_workgroup_info 0
		.amdhsa_system_vgpr_workitem_id 1
		.amdhsa_next_free_vgpr 34
		.amdhsa_next_free_sgpr 61
		.amdhsa_reserve_vcc 1
		.amdhsa_reserve_flat_scratch 0
		.amdhsa_float_round_mode_32 0
		.amdhsa_float_round_mode_16_64 0
		.amdhsa_float_denorm_mode_32 3
		.amdhsa_float_denorm_mode_16_64 3
		.amdhsa_dx10_clamp 1
		.amdhsa_ieee_mode 1
		.amdhsa_fp16_overflow 0
		.amdhsa_exception_fp_ieee_invalid_op 0
		.amdhsa_exception_fp_denorm_src 0
		.amdhsa_exception_fp_ieee_div_zero 0
		.amdhsa_exception_fp_ieee_overflow 0
		.amdhsa_exception_fp_ieee_underflow 0
		.amdhsa_exception_fp_ieee_inexact 0
		.amdhsa_exception_int_div_zero 0
	.end_amdhsa_kernel
	.section	.text._ZL26rocblas_syr2k_her2k_kernelIlLb0ELb0ELb0ELi32EPK19rocblas_complex_numIdES3_PS1_EvbiT_T4_T5_S5_lS7_S5_lT6_S5_li,"axG",@progbits,_ZL26rocblas_syr2k_her2k_kernelIlLb0ELb0ELb0ELi32EPK19rocblas_complex_numIdES3_PS1_EvbiT_T4_T5_S5_lS7_S5_lT6_S5_li,comdat
.Lfunc_end1230:
	.size	_ZL26rocblas_syr2k_her2k_kernelIlLb0ELb0ELb0ELi32EPK19rocblas_complex_numIdES3_PS1_EvbiT_T4_T5_S5_lS7_S5_lT6_S5_li, .Lfunc_end1230-_ZL26rocblas_syr2k_her2k_kernelIlLb0ELb0ELb0ELi32EPK19rocblas_complex_numIdES3_PS1_EvbiT_T4_T5_S5_lS7_S5_lT6_S5_li
                                        ; -- End function
	.set _ZL26rocblas_syr2k_her2k_kernelIlLb0ELb0ELb0ELi32EPK19rocblas_complex_numIdES3_PS1_EvbiT_T4_T5_S5_lS7_S5_lT6_S5_li.num_vgpr, 34
	.set _ZL26rocblas_syr2k_her2k_kernelIlLb0ELb0ELb0ELi32EPK19rocblas_complex_numIdES3_PS1_EvbiT_T4_T5_S5_lS7_S5_lT6_S5_li.num_agpr, 0
	.set _ZL26rocblas_syr2k_her2k_kernelIlLb0ELb0ELb0ELi32EPK19rocblas_complex_numIdES3_PS1_EvbiT_T4_T5_S5_lS7_S5_lT6_S5_li.numbered_sgpr, 40
	.set _ZL26rocblas_syr2k_her2k_kernelIlLb0ELb0ELb0ELi32EPK19rocblas_complex_numIdES3_PS1_EvbiT_T4_T5_S5_lS7_S5_lT6_S5_li.num_named_barrier, 0
	.set _ZL26rocblas_syr2k_her2k_kernelIlLb0ELb0ELb0ELi32EPK19rocblas_complex_numIdES3_PS1_EvbiT_T4_T5_S5_lS7_S5_lT6_S5_li.private_seg_size, 0
	.set _ZL26rocblas_syr2k_her2k_kernelIlLb0ELb0ELb0ELi32EPK19rocblas_complex_numIdES3_PS1_EvbiT_T4_T5_S5_lS7_S5_lT6_S5_li.uses_vcc, 1
	.set _ZL26rocblas_syr2k_her2k_kernelIlLb0ELb0ELb0ELi32EPK19rocblas_complex_numIdES3_PS1_EvbiT_T4_T5_S5_lS7_S5_lT6_S5_li.uses_flat_scratch, 0
	.set _ZL26rocblas_syr2k_her2k_kernelIlLb0ELb0ELb0ELi32EPK19rocblas_complex_numIdES3_PS1_EvbiT_T4_T5_S5_lS7_S5_lT6_S5_li.has_dyn_sized_stack, 0
	.set _ZL26rocblas_syr2k_her2k_kernelIlLb0ELb0ELb0ELi32EPK19rocblas_complex_numIdES3_PS1_EvbiT_T4_T5_S5_lS7_S5_lT6_S5_li.has_recursion, 0
	.set _ZL26rocblas_syr2k_her2k_kernelIlLb0ELb0ELb0ELi32EPK19rocblas_complex_numIdES3_PS1_EvbiT_T4_T5_S5_lS7_S5_lT6_S5_li.has_indirect_call, 0
	.section	.AMDGPU.csdata,"",@progbits
; Kernel info:
; codeLenInByte = 3036
; TotalNumSgprs: 44
; NumVgprs: 34
; ScratchSize: 0
; MemoryBound: 1
; FloatMode: 240
; IeeeMode: 1
; LDSByteSize: 32768 bytes/workgroup (compile time only)
; SGPRBlocks: 8
; VGPRBlocks: 8
; NumSGPRsForWavesPerEU: 65
; NumVGPRsForWavesPerEU: 34
; Occupancy: 7
; WaveLimiterHint : 0
; COMPUTE_PGM_RSRC2:SCRATCH_EN: 0
; COMPUTE_PGM_RSRC2:USER_SGPR: 6
; COMPUTE_PGM_RSRC2:TRAP_HANDLER: 0
; COMPUTE_PGM_RSRC2:TGID_X_EN: 1
; COMPUTE_PGM_RSRC2:TGID_Y_EN: 1
; COMPUTE_PGM_RSRC2:TGID_Z_EN: 1
; COMPUTE_PGM_RSRC2:TIDIG_COMP_CNT: 1
	.section	.text._ZL26rocblas_syr2k_her2k_kernelIlLb0ELb0ELb1ELi32EPK19rocblas_complex_numIdES3_PS1_EvbiT_T4_T5_S5_lS7_S5_lT6_S5_li,"axG",@progbits,_ZL26rocblas_syr2k_her2k_kernelIlLb0ELb0ELb1ELi32EPK19rocblas_complex_numIdES3_PS1_EvbiT_T4_T5_S5_lS7_S5_lT6_S5_li,comdat
	.globl	_ZL26rocblas_syr2k_her2k_kernelIlLb0ELb0ELb1ELi32EPK19rocblas_complex_numIdES3_PS1_EvbiT_T4_T5_S5_lS7_S5_lT6_S5_li ; -- Begin function _ZL26rocblas_syr2k_her2k_kernelIlLb0ELb0ELb1ELi32EPK19rocblas_complex_numIdES3_PS1_EvbiT_T4_T5_S5_lS7_S5_lT6_S5_li
	.p2align	8
	.type	_ZL26rocblas_syr2k_her2k_kernelIlLb0ELb0ELb1ELi32EPK19rocblas_complex_numIdES3_PS1_EvbiT_T4_T5_S5_lS7_S5_lT6_S5_li,@function
_ZL26rocblas_syr2k_her2k_kernelIlLb0ELb0ELb1ELi32EPK19rocblas_complex_numIdES3_PS1_EvbiT_T4_T5_S5_lS7_S5_lT6_S5_li: ; @_ZL26rocblas_syr2k_her2k_kernelIlLb0ELb0ELb1ELi32EPK19rocblas_complex_numIdES3_PS1_EvbiT_T4_T5_S5_lS7_S5_lT6_S5_li
; %bb.0:
	s_load_dwordx16 s[12:27], s[4:5], 0x8
	s_waitcnt lgkmcnt(0)
	s_load_dwordx4 s[28:31], s[14:15], 0x0
	s_waitcnt lgkmcnt(0)
	v_cmp_eq_f64_e64 s[0:1], s[28:29], 0
	v_cmp_eq_f64_e64 s[2:3], s[30:31], 0
	s_and_b64 s[0:1], s[0:1], s[2:3]
	s_and_b64 vcc, exec, s[0:1]
	s_cbranch_vccnz .LBB1231_10
; %bb.1:
	s_load_dwordx2 s[10:11], s[4:5], 0x0
	s_lshl_b32 s3, s7, 5
	s_lshl_b32 s2, s6, 5
	s_waitcnt lgkmcnt(0)
	s_and_b32 s0, 1, s10
	s_cmp_eq_u32 s0, 1
	s_cselect_b64 s[0:1], -1, 0
	s_and_b64 s[6:7], s[0:1], exec
	s_cselect_b32 s6, s2, s3
	s_cselect_b32 s7, s3, s2
	s_cmp_gt_i32 s6, s7
	v_cmp_lt_i64_e64 s[6:7], s[12:13], 1
	s_cselect_b64 s[14:15], -1, 0
	s_or_b64 s[6:7], s[14:15], s[6:7]
	s_and_b64 vcc, exec, s[6:7]
	s_cbranch_vccnz .LBB1231_10
; %bb.2:
	s_load_dwordx2 s[6:7], s[4:5], 0x58
	s_load_dwordx4 s[36:39], s[4:5], 0x48
	v_add_u32_e32 v2, s3, v1
	v_add_u32_e32 v4, s2, v0
	s_mov_b32 s2, s11
	s_waitcnt lgkmcnt(0)
	s_mul_i32 s3, s7, s8
	s_mul_hi_u32 s5, s6, s8
	s_mul_i32 s4, s6, s8
	s_add_i32 s5, s5, s3
	s_lshl_b64 s[4:5], s[4:5], 4
	s_add_u32 s9, s36, s4
	s_addc_u32 s10, s37, s5
	s_ashr_i32 s3, s11, 31
	v_mov_b32_e32 v5, 0
	v_cndmask_b32_e64 v8, v4, v2, s[0:1]
	v_cndmask_b32_e64 v9, v2, v4, s[0:1]
	v_cmp_gt_i64_e64 s[0:1], s[2:3], v[4:5]
	v_mov_b32_e32 v3, v5
	v_ashrrev_i32_e32 v5, 31, v2
	v_mul_lo_u32 v5, s38, v5
	v_mul_lo_u32 v10, s39, v2
	v_mad_u64_u32 v[6:7], s[4:5], s38, v2, 0
	v_cmp_gt_i64_e64 s[2:3], s[2:3], v[2:3]
	v_max_i32_e32 v3, v4, v2
	v_add3_u32 v7, v7, v5, v10
	v_cmp_gt_i32_e32 vcc, s11, v3
	v_cmp_le_i32_e64 s[4:5], v9, v8
	v_lshlrev_b64 v[6:7], 4, v[6:7]
	s_and_b64 s[6:7], s[4:5], vcc
	v_ashrrev_i32_e32 v5, 31, v4
	v_mad_u64_u32 v[10:11], s[4:5], s24, v2, 0
	v_mov_b32_e32 v3, s10
	v_add_co_u32_e32 v8, vcc, s9, v6
	v_lshlrev_b64 v[5:6], 4, v[4:5]
	v_addc_co_u32_e32 v3, vcc, v3, v7, vcc
	v_add_co_u32_e32 v8, vcc, v8, v5
	v_addc_co_u32_e32 v9, vcc, v3, v6, vcc
	v_mov_b32_e32 v3, v11
	v_mad_u64_u32 v[2:3], s[4:5], s25, v2, v[3:4]
	s_mul_i32 s9, s27, s8
	s_mul_hi_u32 s10, s26, s8
	v_mov_b32_e32 v11, v2
	s_add_i32 s5, s10, s9
	s_mul_i32 s4, s26, s8
	v_lshlrev_b64 v[2:3], 4, v[10:11]
	s_lshl_b64 s[4:5], s[4:5], 4
	v_mov_b32_e32 v5, s5
	v_add_co_u32_e32 v2, vcc, s4, v2
	v_addc_co_u32_e32 v3, vcc, v5, v3, vcc
	v_lshlrev_b32_e32 v5, 4, v0
	v_add_co_u32_e32 v2, vcc, v2, v5
	v_addc_co_u32_e32 v3, vcc, 0, v3, vcc
	v_mov_b32_e32 v5, s23
	v_add_co_u32_e32 v6, vcc, s22, v2
	v_addc_co_u32_e32 v5, vcc, v5, v3, vcc
	v_mad_u64_u32 v[2:3], s[4:5], s18, v4, 0
	s_mul_i32 s9, s21, s8
	s_mul_hi_u32 s10, s20, s8
	v_mad_u64_u32 v[3:4], s[4:5], s19, v4, v[3:4]
	v_add_co_u32_e32 v10, vcc, 8, v6
	s_add_i32 s5, s10, s9
	s_mul_i32 s4, s20, s8
	v_lshlrev_b64 v[2:3], 4, v[2:3]
	v_addc_co_u32_e32 v11, vcc, 0, v5, vcc
	s_lshl_b64 s[4:5], s[4:5], 4
	v_mov_b32_e32 v4, s5
	v_add_co_u32_e32 v2, vcc, s4, v2
	v_lshlrev_b32_e32 v12, 4, v1
	v_addc_co_u32_e32 v3, vcc, v4, v3, vcc
	v_add_co_u32_e32 v2, vcc, v2, v12
	v_addc_co_u32_e32 v3, vcc, 0, v3, vcc
	v_mov_b32_e32 v4, s17
	v_add_co_u32_e32 v2, vcc, s16, v2
	v_lshlrev_b32_e32 v14, 9, v0
	v_addc_co_u32_e32 v3, vcc, v4, v3, vcc
	v_add_u32_e32 v15, v14, v12
	v_or_b32_e32 v16, 0x4000, v12
	v_add_co_u32_e32 v12, vcc, 8, v2
	v_add_u32_e32 v17, v16, v14
	v_addc_co_u32_e32 v13, vcc, 0, v3, vcc
	s_mov_b64 s[8:9], 0
	s_branch .LBB1231_4
.LBB1231_3:                             ;   in Loop: Header=BB1231_4 Depth=1
	s_or_b64 exec, exec, s[4:5]
	s_add_u32 s8, s8, 32
	v_add_co_u32_e32 v10, vcc, 0x200, v10
	v_mov_b32_e32 v2, s12
	s_addc_u32 s9, s9, 0
	v_addc_co_u32_e32 v11, vcc, 0, v11, vcc
	v_mov_b32_e32 v3, s13
	v_add_co_u32_e32 v12, vcc, 0x200, v12
	v_cmp_lt_i64_e64 s[4:5], s[8:9], v[2:3]
	v_addc_co_u32_e32 v13, vcc, 0, v13, vcc
	s_and_b64 vcc, exec, s[4:5]
	s_waitcnt vmcnt(0)
	s_barrier
	s_cbranch_vccz .LBB1231_10
.LBB1231_4:                             ; =>This Inner Loop Header: Depth=1
	v_mov_b32_e32 v3, s9
	v_add_co_u32_e32 v2, vcc, s8, v1
	v_addc_co_u32_e32 v3, vcc, 0, v3, vcc
	v_cmp_gt_i64_e32 vcc, s[12:13], v[2:3]
	v_mov_b32_e32 v2, 0
	v_mov_b32_e32 v4, 0
	;; [unrolled: 1-line block ×6, first 2 shown]
	s_and_b64 s[10:11], s[0:1], vcc
	s_and_saveexec_b64 s[4:5], s[10:11]
	s_cbranch_execz .LBB1231_6
; %bb.5:                                ;   in Loop: Header=BB1231_4 Depth=1
	global_load_dwordx4 v[4:7], v[12:13], off offset:-8
.LBB1231_6:                             ;   in Loop: Header=BB1231_4 Depth=1
	s_or_b64 exec, exec, s[4:5]
	s_waitcnt vmcnt(0)
	ds_write_b128 v15, v[4:7]
	v_mov_b32_e32 v5, s9
	v_add_co_u32_e32 v4, vcc, s8, v0
	v_addc_co_u32_e32 v5, vcc, 0, v5, vcc
	v_cmp_gt_i64_e32 vcc, s[12:13], v[4:5]
	v_mov_b32_e32 v4, 0
	v_mov_b32_e32 v5, 0
	s_and_b64 s[10:11], s[2:3], vcc
	s_and_saveexec_b64 s[4:5], s[10:11]
	s_cbranch_execz .LBB1231_8
; %bb.7:                                ;   in Loop: Header=BB1231_4 Depth=1
	global_load_dwordx4 v[2:5], v[10:11], off offset:-8
.LBB1231_8:                             ;   in Loop: Header=BB1231_4 Depth=1
	s_or_b64 exec, exec, s[4:5]
	s_waitcnt vmcnt(0)
	ds_write_b128 v17, v[2:5]
	s_waitcnt lgkmcnt(0)
	s_barrier
	s_and_saveexec_b64 s[4:5], s[6:7]
	s_cbranch_execz .LBB1231_3
; %bb.9:                                ;   in Loop: Header=BB1231_4 Depth=1
	ds_read_b128 v[18:21], v16
	ds_read_b128 v[22:25], v14
	ds_read_b128 v[26:29], v14 offset:16
	ds_read_b128 v[30:33], v14 offset:32
	;; [unrolled: 1-line block ×3, first 2 shown]
	s_waitcnt lgkmcnt(3)
	v_mul_f64 v[6:7], v[20:21], v[24:25]
	v_fma_f64 v[6:7], v[18:19], v[22:23], -v[6:7]
	v_mul_f64 v[18:19], v[18:19], v[24:25]
	v_add_f64 v[6:7], v[6:7], 0
	v_fma_f64 v[18:19], v[20:21], v[22:23], v[18:19]
	v_add_f64 v[22:23], v[18:19], 0
	ds_read_b128 v[18:21], v16 offset:512
	s_waitcnt lgkmcnt(0)
	v_mul_f64 v[24:25], v[20:21], v[28:29]
	v_fma_f64 v[24:25], v[18:19], v[26:27], -v[24:25]
	v_mul_f64 v[18:19], v[18:19], v[28:29]
	v_add_f64 v[6:7], v[6:7], v[24:25]
	v_fma_f64 v[18:19], v[20:21], v[26:27], v[18:19]
	v_add_f64 v[22:23], v[22:23], v[18:19]
	ds_read_b128 v[18:21], v16 offset:1024
	;; [unrolled: 8-line block ×3, first 2 shown]
	s_waitcnt lgkmcnt(0)
	v_mul_f64 v[24:25], v[20:21], v[4:5]
	v_mul_f64 v[4:5], v[18:19], v[4:5]
	v_fma_f64 v[24:25], v[18:19], v[2:3], -v[24:25]
	v_fma_f64 v[2:3], v[20:21], v[2:3], v[4:5]
	v_add_f64 v[6:7], v[6:7], v[24:25]
	v_add_f64 v[22:23], v[22:23], v[2:3]
	ds_read_b128 v[2:5], v16 offset:2048
	ds_read_b128 v[18:21], v14 offset:64
	s_waitcnt lgkmcnt(0)
	v_mul_f64 v[24:25], v[4:5], v[20:21]
	v_fma_f64 v[24:25], v[2:3], v[18:19], -v[24:25]
	v_mul_f64 v[2:3], v[2:3], v[20:21]
	v_add_f64 v[6:7], v[6:7], v[24:25]
	v_fma_f64 v[2:3], v[4:5], v[18:19], v[2:3]
	v_add_f64 v[22:23], v[22:23], v[2:3]
	ds_read_b128 v[2:5], v16 offset:2560
	ds_read_b128 v[18:21], v14 offset:80
	s_waitcnt lgkmcnt(0)
	v_mul_f64 v[24:25], v[4:5], v[20:21]
	v_fma_f64 v[24:25], v[2:3], v[18:19], -v[24:25]
	v_mul_f64 v[2:3], v[2:3], v[20:21]
	v_add_f64 v[6:7], v[6:7], v[24:25]
	v_fma_f64 v[2:3], v[4:5], v[18:19], v[2:3]
	;; [unrolled: 9-line block ×27, first 2 shown]
	v_add_f64 v[22:23], v[22:23], v[2:3]
	ds_read_b128 v[2:5], v16 offset:15872
	ds_read_b128 v[18:21], v14 offset:496
	s_waitcnt lgkmcnt(0)
	v_mul_f64 v[24:25], v[4:5], v[20:21]
	v_fma_f64 v[24:25], v[2:3], v[18:19], -v[24:25]
	v_mul_f64 v[2:3], v[2:3], v[20:21]
	v_fma_f64 v[2:3], v[4:5], v[18:19], v[2:3]
	global_load_dwordx4 v[18:21], v[8:9], off
	v_add_f64 v[4:5], v[6:7], v[24:25]
	v_add_f64 v[6:7], v[22:23], v[2:3]
	v_mul_f64 v[2:3], s[30:31], v[6:7]
	v_fma_f64 v[2:3], s[28:29], v[4:5], -v[2:3]
	v_mul_f64 v[4:5], s[30:31], v[4:5]
	v_fma_f64 v[4:5], s[28:29], v[6:7], v[4:5]
	s_waitcnt vmcnt(0)
	v_add_f64 v[2:3], v[18:19], v[2:3]
	v_add_f64 v[4:5], v[20:21], v[4:5]
	global_store_dwordx4 v[8:9], v[2:5], off
	s_branch .LBB1231_3
.LBB1231_10:
	s_endpgm
	.section	.rodata,"a",@progbits
	.p2align	6, 0x0
	.amdhsa_kernel _ZL26rocblas_syr2k_her2k_kernelIlLb0ELb0ELb1ELi32EPK19rocblas_complex_numIdES3_PS1_EvbiT_T4_T5_S5_lS7_S5_lT6_S5_li
		.amdhsa_group_segment_fixed_size 32768
		.amdhsa_private_segment_fixed_size 0
		.amdhsa_kernarg_size 100
		.amdhsa_user_sgpr_count 6
		.amdhsa_user_sgpr_private_segment_buffer 1
		.amdhsa_user_sgpr_dispatch_ptr 0
		.amdhsa_user_sgpr_queue_ptr 0
		.amdhsa_user_sgpr_kernarg_segment_ptr 1
		.amdhsa_user_sgpr_dispatch_id 0
		.amdhsa_user_sgpr_flat_scratch_init 0
		.amdhsa_user_sgpr_private_segment_size 0
		.amdhsa_uses_dynamic_stack 0
		.amdhsa_system_sgpr_private_segment_wavefront_offset 0
		.amdhsa_system_sgpr_workgroup_id_x 1
		.amdhsa_system_sgpr_workgroup_id_y 1
		.amdhsa_system_sgpr_workgroup_id_z 1
		.amdhsa_system_sgpr_workgroup_info 0
		.amdhsa_system_vgpr_workitem_id 1
		.amdhsa_next_free_vgpr 34
		.amdhsa_next_free_sgpr 61
		.amdhsa_reserve_vcc 1
		.amdhsa_reserve_flat_scratch 0
		.amdhsa_float_round_mode_32 0
		.amdhsa_float_round_mode_16_64 0
		.amdhsa_float_denorm_mode_32 3
		.amdhsa_float_denorm_mode_16_64 3
		.amdhsa_dx10_clamp 1
		.amdhsa_ieee_mode 1
		.amdhsa_fp16_overflow 0
		.amdhsa_exception_fp_ieee_invalid_op 0
		.amdhsa_exception_fp_denorm_src 0
		.amdhsa_exception_fp_ieee_div_zero 0
		.amdhsa_exception_fp_ieee_overflow 0
		.amdhsa_exception_fp_ieee_underflow 0
		.amdhsa_exception_fp_ieee_inexact 0
		.amdhsa_exception_int_div_zero 0
	.end_amdhsa_kernel
	.section	.text._ZL26rocblas_syr2k_her2k_kernelIlLb0ELb0ELb1ELi32EPK19rocblas_complex_numIdES3_PS1_EvbiT_T4_T5_S5_lS7_S5_lT6_S5_li,"axG",@progbits,_ZL26rocblas_syr2k_her2k_kernelIlLb0ELb0ELb1ELi32EPK19rocblas_complex_numIdES3_PS1_EvbiT_T4_T5_S5_lS7_S5_lT6_S5_li,comdat
.Lfunc_end1231:
	.size	_ZL26rocblas_syr2k_her2k_kernelIlLb0ELb0ELb1ELi32EPK19rocblas_complex_numIdES3_PS1_EvbiT_T4_T5_S5_lS7_S5_lT6_S5_li, .Lfunc_end1231-_ZL26rocblas_syr2k_her2k_kernelIlLb0ELb0ELb1ELi32EPK19rocblas_complex_numIdES3_PS1_EvbiT_T4_T5_S5_lS7_S5_lT6_S5_li
                                        ; -- End function
	.set _ZL26rocblas_syr2k_her2k_kernelIlLb0ELb0ELb1ELi32EPK19rocblas_complex_numIdES3_PS1_EvbiT_T4_T5_S5_lS7_S5_lT6_S5_li.num_vgpr, 34
	.set _ZL26rocblas_syr2k_her2k_kernelIlLb0ELb0ELb1ELi32EPK19rocblas_complex_numIdES3_PS1_EvbiT_T4_T5_S5_lS7_S5_lT6_S5_li.num_agpr, 0
	.set _ZL26rocblas_syr2k_her2k_kernelIlLb0ELb0ELb1ELi32EPK19rocblas_complex_numIdES3_PS1_EvbiT_T4_T5_S5_lS7_S5_lT6_S5_li.numbered_sgpr, 40
	.set _ZL26rocblas_syr2k_her2k_kernelIlLb0ELb0ELb1ELi32EPK19rocblas_complex_numIdES3_PS1_EvbiT_T4_T5_S5_lS7_S5_lT6_S5_li.num_named_barrier, 0
	.set _ZL26rocblas_syr2k_her2k_kernelIlLb0ELb0ELb1ELi32EPK19rocblas_complex_numIdES3_PS1_EvbiT_T4_T5_S5_lS7_S5_lT6_S5_li.private_seg_size, 0
	.set _ZL26rocblas_syr2k_her2k_kernelIlLb0ELb0ELb1ELi32EPK19rocblas_complex_numIdES3_PS1_EvbiT_T4_T5_S5_lS7_S5_lT6_S5_li.uses_vcc, 1
	.set _ZL26rocblas_syr2k_her2k_kernelIlLb0ELb0ELb1ELi32EPK19rocblas_complex_numIdES3_PS1_EvbiT_T4_T5_S5_lS7_S5_lT6_S5_li.uses_flat_scratch, 0
	.set _ZL26rocblas_syr2k_her2k_kernelIlLb0ELb0ELb1ELi32EPK19rocblas_complex_numIdES3_PS1_EvbiT_T4_T5_S5_lS7_S5_lT6_S5_li.has_dyn_sized_stack, 0
	.set _ZL26rocblas_syr2k_her2k_kernelIlLb0ELb0ELb1ELi32EPK19rocblas_complex_numIdES3_PS1_EvbiT_T4_T5_S5_lS7_S5_lT6_S5_li.has_recursion, 0
	.set _ZL26rocblas_syr2k_her2k_kernelIlLb0ELb0ELb1ELi32EPK19rocblas_complex_numIdES3_PS1_EvbiT_T4_T5_S5_lS7_S5_lT6_S5_li.has_indirect_call, 0
	.section	.AMDGPU.csdata,"",@progbits
; Kernel info:
; codeLenInByte = 3008
; TotalNumSgprs: 44
; NumVgprs: 34
; ScratchSize: 0
; MemoryBound: 1
; FloatMode: 240
; IeeeMode: 1
; LDSByteSize: 32768 bytes/workgroup (compile time only)
; SGPRBlocks: 8
; VGPRBlocks: 8
; NumSGPRsForWavesPerEU: 65
; NumVGPRsForWavesPerEU: 34
; Occupancy: 7
; WaveLimiterHint : 0
; COMPUTE_PGM_RSRC2:SCRATCH_EN: 0
; COMPUTE_PGM_RSRC2:USER_SGPR: 6
; COMPUTE_PGM_RSRC2:TRAP_HANDLER: 0
; COMPUTE_PGM_RSRC2:TGID_X_EN: 1
; COMPUTE_PGM_RSRC2:TGID_Y_EN: 1
; COMPUTE_PGM_RSRC2:TGID_Z_EN: 1
; COMPUTE_PGM_RSRC2:TIDIG_COMP_CNT: 1
	.section	.text._ZL26rocblas_syr2k_her2k_kernelIlLb0ELb1ELb0ELi32E19rocblas_complex_numIfEPKS1_PS1_EvbiT_T4_T5_S5_lS7_S5_lT6_S5_li,"axG",@progbits,_ZL26rocblas_syr2k_her2k_kernelIlLb0ELb1ELb0ELi32E19rocblas_complex_numIfEPKS1_PS1_EvbiT_T4_T5_S5_lS7_S5_lT6_S5_li,comdat
	.globl	_ZL26rocblas_syr2k_her2k_kernelIlLb0ELb1ELb0ELi32E19rocblas_complex_numIfEPKS1_PS1_EvbiT_T4_T5_S5_lS7_S5_lT6_S5_li ; -- Begin function _ZL26rocblas_syr2k_her2k_kernelIlLb0ELb1ELb0ELi32E19rocblas_complex_numIfEPKS1_PS1_EvbiT_T4_T5_S5_lS7_S5_lT6_S5_li
	.p2align	8
	.type	_ZL26rocblas_syr2k_her2k_kernelIlLb0ELb1ELb0ELi32E19rocblas_complex_numIfEPKS1_PS1_EvbiT_T4_T5_S5_lS7_S5_lT6_S5_li,@function
_ZL26rocblas_syr2k_her2k_kernelIlLb0ELb1ELb0ELi32E19rocblas_complex_numIfEPKS1_PS1_EvbiT_T4_T5_S5_lS7_S5_lT6_S5_li: ; @_ZL26rocblas_syr2k_her2k_kernelIlLb0ELb1ELb0ELi32E19rocblas_complex_numIfEPKS1_PS1_EvbiT_T4_T5_S5_lS7_S5_lT6_S5_li
; %bb.0:
	s_load_dwordx2 s[10:11], s[4:5], 0x10
	s_waitcnt lgkmcnt(0)
	v_cmp_eq_f32_e64 s[0:1], s10, 0
	v_cmp_eq_f32_e64 s[2:3], s11, 0
	s_and_b64 s[0:1], s[0:1], s[2:3]
	s_and_b64 vcc, exec, s[0:1]
	s_cbranch_vccnz .LBB1232_13
; %bb.1:
	s_load_dwordx2 s[28:29], s[4:5], 0x0
	s_lshl_b32 s2, s7, 5
	s_lshl_b32 s3, s6, 5
	s_waitcnt lgkmcnt(0)
	s_and_b32 s0, 1, s28
	s_cmp_eq_u32 s0, 1
	s_cselect_b64 s[0:1], -1, 0
	s_and_b64 s[6:7], s[0:1], exec
	s_cselect_b32 s6, s3, s2
	s_cselect_b32 s7, s2, s3
	s_cmp_gt_i32 s6, s7
	s_cbranch_scc1 .LBB1232_13
; %bb.2:
	s_load_dwordx2 s[30:31], s[4:5], 0x58
	s_load_dwordx2 s[6:7], s[4:5], 0x8
	s_load_dwordx16 s[12:27], s[4:5], 0x18
	v_add_u32_e32 v14, s3, v0
	v_add_u32_e32 v18, s2, v1
	s_waitcnt lgkmcnt(0)
	s_mul_i32 s5, s31, s8
	s_mul_hi_u32 s9, s30, s8
	s_mul_i32 s4, s30, s8
	s_add_i32 s5, s9, s5
	s_lshl_b64 s[4:5], s[4:5], 3
	s_add_u32 s28, s24, s4
	s_addc_u32 s30, s25, s5
	v_cmp_lt_i64_e64 s[4:5], s[6:7], 1
	v_ashrrev_i32_e32 v17, 31, v14
	s_and_b64 vcc, exec, s[4:5]
	s_cbranch_vccnz .LBB1232_11
; %bb.3:
	v_lshlrev_b32_e32 v24, 8, v0
	v_lshlrev_b32_e32 v2, 3, v1
	v_add_u32_e32 v25, v24, v2
	v_or_b32_e32 v26, 0x2000, v2
	v_ashrrev_i32_e32 v2, 31, v18
	v_mul_lo_u32 v7, s27, v18
	v_mul_lo_u32 v8, s26, v2
	v_mad_u64_u32 v[2:3], s[4:5], s26, v18, 0
	v_cndmask_b32_e64 v4, v14, v18, s[0:1]
	v_cndmask_b32_e64 v5, v18, v14, s[0:1]
	v_add3_u32 v3, v3, v8, v7
	v_max_i32_e32 v6, v14, v18
	v_lshlrev_b64 v[2:3], 3, v[2:3]
	v_cmp_gt_i32_e32 vcc, s29, v6
	v_cmp_le_i32_e64 s[4:5], v5, v4
	s_and_b64 s[24:25], s[4:5], vcc
	v_mov_b32_e32 v4, s30
	v_add_co_u32_e32 v6, vcc, s28, v2
	v_addc_co_u32_e32 v7, vcc, v4, v3, vcc
	v_mad_u64_u32 v[4:5], s[4:5], s20, v0, 0
	v_mov_b32_e32 v16, v14
	v_lshlrev_b64 v[2:3], 3, v[16:17]
	s_mul_i32 s9, s23, s8
	v_add_co_u32_e32 v20, vcc, v6, v2
	v_mov_b32_e32 v2, v5
	v_addc_co_u32_e32 v21, vcc, v7, v3, vcc
	v_mad_u64_u32 v[2:3], s[4:5], s21, v0, v[2:3]
	s_mul_hi_u32 s23, s22, s8
	s_add_i32 s5, s23, s9
	v_mov_b32_e32 v5, v2
	s_mul_i32 s4, s22, s8
	v_lshlrev_b64 v[2:3], 3, v[4:5]
	v_mov_b32_e32 v15, 0
	s_lshl_b64 s[4:5], s[4:5], 3
	v_mov_b32_e32 v19, v15
	v_mov_b32_e32 v4, s5
	v_add_co_u32_e32 v5, vcc, s4, v2
	v_addc_co_u32_e32 v4, vcc, v4, v3, vcc
	v_lshlrev_b64 v[2:3], 3, v[18:19]
	s_mul_i32 s9, s17, s8
	v_add_co_u32_e32 v2, vcc, v5, v2
	v_addc_co_u32_e32 v3, vcc, v4, v3, vcc
	v_mov_b32_e32 v4, s19
	v_add_co_u32_e32 v2, vcc, s18, v2
	v_addc_co_u32_e32 v3, vcc, v4, v3, vcc
	v_add_co_u32_e32 v22, vcc, 4, v2
	v_addc_co_u32_e32 v23, vcc, 0, v3, vcc
	v_mad_u64_u32 v[2:3], s[4:5], s14, v1, 0
	s_mul_hi_u32 s17, s16, s8
	s_ashr_i32 s3, s29, 31
	v_mad_u64_u32 v[3:4], s[4:5], s15, v1, v[3:4]
	s_add_i32 s5, s17, s9
	s_mul_i32 s4, s16, s8
	v_lshlrev_b64 v[2:3], 3, v[2:3]
	s_lshl_b64 s[4:5], s[4:5], 3
	v_mov_b32_e32 v4, s5
	v_add_co_u32_e32 v5, vcc, s4, v2
	v_addc_co_u32_e32 v4, vcc, v4, v3, vcc
	v_lshlrev_b64 v[2:3], 3, v[14:15]
	s_mov_b32 s2, s29
	v_add_co_u32_e32 v2, vcc, v5, v2
	v_addc_co_u32_e32 v3, vcc, v4, v3, vcc
	v_mov_b32_e32 v4, s13
	v_add_co_u32_e32 v2, vcc, s12, v2
	v_addc_co_u32_e32 v3, vcc, v4, v3, vcc
	v_cmp_gt_i64_e64 s[0:1], s[2:3], v[14:15]
	v_cmp_gt_i64_e64 s[2:3], s[2:3], v[18:19]
	v_add_co_u32_e32 v15, vcc, 4, v2
	v_add_u32_e32 v27, v26, v24
	s_lshl_b64 s[18:19], s[20:21], 8
	v_addc_co_u32_e32 v16, vcc, 0, v3, vcc
	s_lshl_b64 s[8:9], s[14:15], 8
	s_mov_b64 s[12:13], 0
	s_branch .LBB1232_5
.LBB1232_4:                             ;   in Loop: Header=BB1232_5 Depth=1
	s_or_b64 exec, exec, s[4:5]
	v_mov_b32_e32 v2, s19
	v_add_co_u32_e32 v22, vcc, s18, v22
	s_add_u32 s12, s12, 32
	v_addc_co_u32_e32 v23, vcc, v23, v2, vcc
	v_mov_b32_e32 v2, s6
	s_addc_u32 s13, s13, 0
	v_mov_b32_e32 v3, s7
	v_cmp_ge_i64_e32 vcc, s[12:13], v[2:3]
	v_mov_b32_e32 v4, s9
	v_add_co_u32_e64 v15, s[4:5], s8, v15
	v_addc_co_u32_e64 v16, s[4:5], v16, v4, s[4:5]
	s_waitcnt vmcnt(0)
	s_barrier
	s_cbranch_vccnz .LBB1232_11
.LBB1232_5:                             ; =>This Inner Loop Header: Depth=1
	v_mov_b32_e32 v3, s13
	v_add_co_u32_e32 v2, vcc, s12, v1
	v_addc_co_u32_e32 v3, vcc, 0, v3, vcc
	v_cmp_gt_i64_e32 vcc, s[6:7], v[2:3]
	v_mov_b32_e32 v2, 0
	s_and_b64 s[14:15], s[0:1], vcc
	v_mov_b32_e32 v3, 0
	s_and_saveexec_b64 s[4:5], s[14:15]
	s_cbranch_execz .LBB1232_7
; %bb.6:                                ;   in Loop: Header=BB1232_5 Depth=1
	global_load_dwordx2 v[2:3], v[15:16], off offset:-4
.LBB1232_7:                             ;   in Loop: Header=BB1232_5 Depth=1
	s_or_b64 exec, exec, s[4:5]
	v_mov_b32_e32 v5, s13
	v_add_co_u32_e32 v4, vcc, s12, v0
	v_addc_co_u32_e32 v5, vcc, 0, v5, vcc
	v_cmp_gt_i64_e32 vcc, s[6:7], v[4:5]
	s_waitcnt vmcnt(0)
	ds_write_b64 v25, v[2:3]
	s_and_b64 s[14:15], s[2:3], vcc
	v_mov_b32_e32 v3, 0
	v_mov_b32_e32 v2, 0
	s_and_saveexec_b64 s[4:5], s[14:15]
	s_cbranch_execz .LBB1232_9
; %bb.8:                                ;   in Loop: Header=BB1232_5 Depth=1
	global_load_dwordx2 v[2:3], v[22:23], off offset:-4
	s_waitcnt vmcnt(0)
	v_xor_b32_e32 v3, 0x80000000, v3
.LBB1232_9:                             ;   in Loop: Header=BB1232_5 Depth=1
	s_or_b64 exec, exec, s[4:5]
	ds_write_b64 v27, v[2:3]
	s_waitcnt lgkmcnt(0)
	s_barrier
	s_and_saveexec_b64 s[4:5], s[24:25]
	s_cbranch_execz .LBB1232_4
; %bb.10:                               ;   in Loop: Header=BB1232_5 Depth=1
	ds_read2_b64 v[2:5], v26 offset1:32
	ds_read_b128 v[6:9], v24
	ds_read_b128 v[10:13], v24 offset:16
	ds_read2_b64 v[28:31], v26 offset0:64 offset1:96
	s_waitcnt lgkmcnt(2)
	v_mul_f32_e32 v19, v3, v7
	v_mul_f32_e32 v32, v2, v7
	v_fma_f32 v19, v2, v6, -v19
	v_mul_f32_e32 v2, v5, v9
	v_fma_f32 v33, v4, v8, -v2
	s_waitcnt lgkmcnt(0)
	v_mul_f32_e32 v2, v29, v11
	v_fmac_f32_e32 v32, v3, v6
	v_mul_f32_e32 v34, v4, v9
	v_fma_f32 v35, v28, v10, -v2
	v_mul_f32_e32 v28, v28, v11
	v_mul_f32_e32 v2, v31, v13
	v_fmac_f32_e32 v34, v5, v8
	v_fmac_f32_e32 v28, v29, v10
	v_fma_f32 v29, v30, v12, -v2
	v_mul_f32_e32 v30, v30, v13
	v_add_f32_e32 v10, 0, v19
	v_add_f32_e32 v11, 0, v32
	v_fmac_f32_e32 v30, v31, v12
	ds_read_b128 v[2:5], v24 offset:32
	ds_read_b128 v[6:9], v24 offset:48
	v_add_f32_e32 v19, v10, v33
	v_add_f32_e32 v31, v11, v34
	ds_read2_b64 v[10:13], v26 offset0:128 offset1:160
	v_add_f32_e32 v19, v19, v35
	v_add_f32_e32 v28, v31, v28
	;; [unrolled: 1-line block ×4, first 2 shown]
	s_waitcnt lgkmcnt(0)
	v_mul_f32_e32 v29, v11, v3
	v_mul_f32_e32 v3, v10, v3
	v_fma_f32 v29, v10, v2, -v29
	v_fmac_f32_e32 v3, v11, v2
	v_add_f32_e32 v2, v19, v29
	v_add_f32_e32 v3, v28, v3
	ds_read2_b64 v[28:31], v26 offset0:192 offset1:224
	v_mul_f32_e32 v10, v13, v5
	v_mul_f32_e32 v5, v12, v5
	v_fma_f32 v10, v12, v4, -v10
	v_fmac_f32_e32 v5, v13, v4
	s_waitcnt lgkmcnt(0)
	v_mul_f32_e32 v4, v29, v7
	v_add_f32_e32 v2, v2, v10
	v_add_f32_e32 v3, v3, v5
	v_fma_f32 v4, v28, v6, -v4
	v_mul_f32_e32 v5, v28, v7
	v_fmac_f32_e32 v5, v29, v6
	v_add_f32_e32 v6, v2, v4
	v_mul_f32_e32 v2, v31, v9
	v_add_u32_e32 v32, 0x800, v26
	v_add_f32_e32 v7, v3, v5
	v_fma_f32 v13, v30, v8, -v2
	v_mul_f32_e32 v19, v30, v9
	ds_read_b128 v[2:5], v24 offset:64
	ds_read2_b64 v[9:12], v32 offset1:32
	v_fmac_f32_e32 v19, v31, v8
	ds_read_b128 v[28:31], v24 offset:80
	v_add_f32_e32 v6, v6, v13
	v_add_f32_e32 v7, v7, v19
	s_waitcnt lgkmcnt(1)
	v_mul_f32_e32 v8, v10, v3
	v_fma_f32 v8, v9, v2, -v8
	v_mul_f32_e32 v3, v9, v3
	v_fmac_f32_e32 v3, v10, v2
	v_add_f32_e32 v2, v6, v8
	v_mul_f32_e32 v6, v12, v5
	v_add_f32_e32 v3, v7, v3
	v_fma_f32 v10, v11, v4, -v6
	ds_read2_b64 v[6:9], v32 offset0:64 offset1:96
	v_mul_f32_e32 v5, v11, v5
	v_fmac_f32_e32 v5, v12, v4
	v_add_f32_e32 v2, v2, v10
	v_add_f32_e32 v3, v3, v5
	s_waitcnt lgkmcnt(0)
	v_mul_f32_e32 v4, v7, v29
	v_fma_f32 v4, v6, v28, -v4
	v_mul_f32_e32 v5, v6, v29
	v_fmac_f32_e32 v5, v7, v28
	v_add_f32_e32 v6, v2, v4
	v_mul_f32_e32 v2, v9, v31
	v_add_f32_e32 v7, v3, v5
	v_fma_f32 v19, v8, v30, -v2
	ds_read_b128 v[2:5], v24 offset:96
	ds_read2_b64 v[10:13], v32 offset0:128 offset1:160
	v_mul_f32_e32 v8, v8, v31
	v_fmac_f32_e32 v8, v9, v30
	v_add_f32_e32 v19, v6, v19
	v_add_f32_e32 v28, v7, v8
	s_waitcnt lgkmcnt(0)
	v_mul_f32_e32 v29, v11, v3
	v_mul_f32_e32 v3, v10, v3
	v_fma_f32 v29, v10, v2, -v29
	v_fmac_f32_e32 v3, v11, v2
	ds_read_b128 v[6:9], v24 offset:112
	v_add_f32_e32 v2, v19, v29
	v_add_f32_e32 v3, v28, v3
	ds_read2_b64 v[28:31], v32 offset0:192 offset1:224
	v_mul_f32_e32 v10, v13, v5
	v_mul_f32_e32 v5, v12, v5
	v_fma_f32 v10, v12, v4, -v10
	v_fmac_f32_e32 v5, v13, v4
	s_waitcnt lgkmcnt(0)
	v_mul_f32_e32 v4, v29, v7
	v_add_f32_e32 v2, v2, v10
	v_add_f32_e32 v3, v3, v5
	v_fma_f32 v4, v28, v6, -v4
	v_mul_f32_e32 v5, v28, v7
	v_fmac_f32_e32 v5, v29, v6
	v_add_f32_e32 v6, v2, v4
	v_mul_f32_e32 v2, v31, v9
	v_add_u32_e32 v19, 0x1000, v26
	v_add_f32_e32 v7, v3, v5
	v_fma_f32 v13, v30, v8, -v2
	v_mul_f32_e32 v28, v30, v9
	ds_read_b128 v[2:5], v24 offset:128
	ds_read2_b64 v[9:12], v19 offset1:32
	v_fmac_f32_e32 v28, v31, v8
	v_add_f32_e32 v7, v7, v28
	ds_read_b128 v[28:31], v24 offset:144
	v_add_f32_e32 v6, v6, v13
	s_waitcnt lgkmcnt(1)
	v_mul_f32_e32 v8, v10, v3
	v_mul_f32_e32 v3, v9, v3
	v_fma_f32 v8, v9, v2, -v8
	v_fmac_f32_e32 v3, v10, v2
	v_add_f32_e32 v2, v6, v8
	v_add_f32_e32 v3, v7, v3
	ds_read2_b64 v[7:10], v19 offset0:64 offset1:96
	v_mul_f32_e32 v6, v12, v5
	v_mul_f32_e32 v5, v11, v5
	v_fma_f32 v6, v11, v4, -v6
	v_fmac_f32_e32 v5, v12, v4
	s_waitcnt lgkmcnt(0)
	v_mul_f32_e32 v4, v8, v29
	v_add_f32_e32 v2, v2, v6
	v_add_f32_e32 v3, v3, v5
	v_fma_f32 v4, v7, v28, -v4
	v_mul_f32_e32 v5, v7, v29
	v_fmac_f32_e32 v5, v8, v28
	v_add_f32_e32 v11, v2, v4
	v_mul_f32_e32 v2, v10, v31
	v_add_f32_e32 v12, v3, v5
	v_fma_f32 v13, v9, v30, -v2
	v_mul_f32_e32 v28, v9, v31
	ds_read_b128 v[2:5], v24 offset:160
	ds_read2_b64 v[6:9], v19 offset0:128 offset1:160
	v_fmac_f32_e32 v28, v10, v30
	v_add_f32_e32 v31, v12, v28
	v_add_f32_e32 v30, v11, v13
	ds_read_b128 v[10:13], v24 offset:176
	s_waitcnt lgkmcnt(1)
	v_mul_f32_e32 v28, v7, v3
	v_fma_f32 v32, v6, v2, -v28
	global_load_dwordx2 v[28:29], v[20:21], off
	v_mul_f32_e32 v6, v6, v3
	v_fmac_f32_e32 v6, v7, v2
	v_mul_f32_e32 v2, v9, v5
	v_fma_f32 v7, v8, v4, -v2
	v_mul_f32_e32 v8, v8, v5
	v_fmac_f32_e32 v8, v9, v4
	ds_read2_b64 v[2:5], v19 offset0:192 offset1:224
	v_add_f32_e32 v6, v31, v6
	v_add_f32_e32 v9, v30, v32
	;; [unrolled: 1-line block ×4, first 2 shown]
	s_waitcnt lgkmcnt(0)
	v_mul_f32_e32 v6, v3, v11
	v_fma_f32 v6, v2, v10, -v6
	v_mul_f32_e32 v11, v2, v11
	v_mul_f32_e32 v2, v5, v13
	;; [unrolled: 1-line block ×3, first 2 shown]
	v_add_u32_e32 v31, 0x1800, v26
	v_fmac_f32_e32 v11, v3, v10
	v_add_f32_e32 v10, v7, v6
	v_fma_f32 v30, v4, v12, -v2
	ds_read_b128 v[6:9], v24 offset:192
	v_fmac_f32_e32 v13, v5, v12
	ds_read2_b64 v[2:5], v31 offset1:32
	v_add_f32_e32 v11, v19, v11
	v_add_f32_e32 v19, v10, v30
	;; [unrolled: 1-line block ×3, first 2 shown]
	ds_read_b128 v[10:13], v24 offset:208
	s_waitcnt lgkmcnt(1)
	v_mul_f32_e32 v32, v3, v7
	v_fma_f32 v32, v2, v6, -v32
	v_mul_f32_e32 v7, v2, v7
	v_mul_f32_e32 v2, v5, v9
	;; [unrolled: 1-line block ×3, first 2 shown]
	v_fmac_f32_e32 v7, v3, v6
	v_fma_f32 v6, v4, v8, -v2
	v_fmac_f32_e32 v9, v5, v8
	ds_read2_b64 v[2:5], v31 offset0:64 offset1:96
	v_add_f32_e32 v7, v30, v7
	v_add_f32_e32 v8, v19, v32
	;; [unrolled: 1-line block ×4, first 2 shown]
	s_waitcnt lgkmcnt(0)
	v_mul_f32_e32 v7, v3, v11
	v_fma_f32 v7, v2, v10, -v7
	v_mul_f32_e32 v11, v2, v11
	v_mul_f32_e32 v2, v5, v13
	;; [unrolled: 1-line block ×3, first 2 shown]
	v_fmac_f32_e32 v11, v3, v10
	v_add_f32_e32 v10, v6, v7
	v_fma_f32 v30, v4, v12, -v2
	ds_read_b128 v[6:9], v24 offset:224
	v_fmac_f32_e32 v13, v5, v12
	ds_read2_b64 v[2:5], v31 offset0:128 offset1:160
	v_add_f32_e32 v11, v19, v11
	v_add_f32_e32 v19, v10, v30
	;; [unrolled: 1-line block ×3, first 2 shown]
	ds_read_b128 v[10:13], v24 offset:240
	s_waitcnt lgkmcnt(1)
	v_mul_f32_e32 v32, v3, v7
	v_fma_f32 v32, v2, v6, -v32
	v_mul_f32_e32 v7, v2, v7
	v_mul_f32_e32 v2, v5, v9
	;; [unrolled: 1-line block ×3, first 2 shown]
	v_fmac_f32_e32 v7, v3, v6
	v_fma_f32 v6, v4, v8, -v2
	v_fmac_f32_e32 v9, v5, v8
	ds_read2_b64 v[2:5], v31 offset0:192 offset1:224
	v_add_f32_e32 v8, v19, v32
	v_add_f32_e32 v6, v8, v6
	;; [unrolled: 1-line block ×4, first 2 shown]
	s_waitcnt lgkmcnt(0)
	v_mul_f32_e32 v8, v3, v11
	v_fma_f32 v8, v2, v10, -v8
	v_mul_f32_e32 v2, v2, v11
	v_fmac_f32_e32 v2, v3, v10
	v_add_f32_e32 v3, v6, v8
	v_mul_f32_e32 v6, v5, v13
	v_fma_f32 v6, v4, v12, -v6
	v_mul_f32_e32 v4, v4, v13
	v_add_f32_e32 v2, v7, v2
	v_fmac_f32_e32 v4, v5, v12
	v_add_f32_e32 v2, v2, v4
	v_add_f32_e32 v3, v3, v6
	v_mul_f32_e32 v4, s11, v2
	v_mul_f32_e32 v5, s10, v2
	v_fma_f32 v4, s10, v3, -v4
	v_fmac_f32_e32 v5, s11, v3
	s_waitcnt vmcnt(0)
	v_add_f32_e32 v2, v28, v4
	v_add_f32_e32 v3, v29, v5
	global_store_dwordx2 v[20:21], v[2:3], off
	s_branch .LBB1232_4
.LBB1232_11:
	v_cmp_eq_u32_e32 vcc, v14, v18
	v_cmp_gt_i32_e64 s[0:1], s29, v14
	s_and_b64 s[0:1], vcc, s[0:1]
	s_and_saveexec_b64 s[2:3], s[0:1]
	s_cbranch_execz .LBB1232_13
; %bb.12:
	v_mul_lo_u32 v2, s27, v14
	v_mul_lo_u32 v3, s26, v17
	v_mad_u64_u32 v[0:1], s[0:1], s26, v14, 0
	v_mov_b32_e32 v15, v17
	v_add3_u32 v1, v1, v3, v2
	v_lshlrev_b64 v[0:1], 3, v[0:1]
	v_mov_b32_e32 v2, s30
	v_add_co_u32_e32 v3, vcc, s28, v0
	v_addc_co_u32_e32 v2, vcc, v2, v1, vcc
	v_lshlrev_b64 v[0:1], 3, v[14:15]
	v_add_co_u32_e32 v0, vcc, v3, v0
	v_addc_co_u32_e32 v1, vcc, v2, v1, vcc
	v_mov_b32_e32 v2, 0
	global_store_dword v[0:1], v2, off offset:4
.LBB1232_13:
	s_endpgm
	.section	.rodata,"a",@progbits
	.p2align	6, 0x0
	.amdhsa_kernel _ZL26rocblas_syr2k_her2k_kernelIlLb0ELb1ELb0ELi32E19rocblas_complex_numIfEPKS1_PS1_EvbiT_T4_T5_S5_lS7_S5_lT6_S5_li
		.amdhsa_group_segment_fixed_size 16384
		.amdhsa_private_segment_fixed_size 0
		.amdhsa_kernarg_size 100
		.amdhsa_user_sgpr_count 6
		.amdhsa_user_sgpr_private_segment_buffer 1
		.amdhsa_user_sgpr_dispatch_ptr 0
		.amdhsa_user_sgpr_queue_ptr 0
		.amdhsa_user_sgpr_kernarg_segment_ptr 1
		.amdhsa_user_sgpr_dispatch_id 0
		.amdhsa_user_sgpr_flat_scratch_init 0
		.amdhsa_user_sgpr_private_segment_size 0
		.amdhsa_uses_dynamic_stack 0
		.amdhsa_system_sgpr_private_segment_wavefront_offset 0
		.amdhsa_system_sgpr_workgroup_id_x 1
		.amdhsa_system_sgpr_workgroup_id_y 1
		.amdhsa_system_sgpr_workgroup_id_z 1
		.amdhsa_system_sgpr_workgroup_info 0
		.amdhsa_system_vgpr_workitem_id 1
		.amdhsa_next_free_vgpr 36
		.amdhsa_next_free_sgpr 61
		.amdhsa_reserve_vcc 1
		.amdhsa_reserve_flat_scratch 0
		.amdhsa_float_round_mode_32 0
		.amdhsa_float_round_mode_16_64 0
		.amdhsa_float_denorm_mode_32 3
		.amdhsa_float_denorm_mode_16_64 3
		.amdhsa_dx10_clamp 1
		.amdhsa_ieee_mode 1
		.amdhsa_fp16_overflow 0
		.amdhsa_exception_fp_ieee_invalid_op 0
		.amdhsa_exception_fp_denorm_src 0
		.amdhsa_exception_fp_ieee_div_zero 0
		.amdhsa_exception_fp_ieee_overflow 0
		.amdhsa_exception_fp_ieee_underflow 0
		.amdhsa_exception_fp_ieee_inexact 0
		.amdhsa_exception_int_div_zero 0
	.end_amdhsa_kernel
	.section	.text._ZL26rocblas_syr2k_her2k_kernelIlLb0ELb1ELb0ELi32E19rocblas_complex_numIfEPKS1_PS1_EvbiT_T4_T5_S5_lS7_S5_lT6_S5_li,"axG",@progbits,_ZL26rocblas_syr2k_her2k_kernelIlLb0ELb1ELb0ELi32E19rocblas_complex_numIfEPKS1_PS1_EvbiT_T4_T5_S5_lS7_S5_lT6_S5_li,comdat
.Lfunc_end1232:
	.size	_ZL26rocblas_syr2k_her2k_kernelIlLb0ELb1ELb0ELi32E19rocblas_complex_numIfEPKS1_PS1_EvbiT_T4_T5_S5_lS7_S5_lT6_S5_li, .Lfunc_end1232-_ZL26rocblas_syr2k_her2k_kernelIlLb0ELb1ELb0ELi32E19rocblas_complex_numIfEPKS1_PS1_EvbiT_T4_T5_S5_lS7_S5_lT6_S5_li
                                        ; -- End function
	.set _ZL26rocblas_syr2k_her2k_kernelIlLb0ELb1ELb0ELi32E19rocblas_complex_numIfEPKS1_PS1_EvbiT_T4_T5_S5_lS7_S5_lT6_S5_li.num_vgpr, 36
	.set _ZL26rocblas_syr2k_her2k_kernelIlLb0ELb1ELb0ELi32E19rocblas_complex_numIfEPKS1_PS1_EvbiT_T4_T5_S5_lS7_S5_lT6_S5_li.num_agpr, 0
	.set _ZL26rocblas_syr2k_her2k_kernelIlLb0ELb1ELb0ELi32E19rocblas_complex_numIfEPKS1_PS1_EvbiT_T4_T5_S5_lS7_S5_lT6_S5_li.numbered_sgpr, 32
	.set _ZL26rocblas_syr2k_her2k_kernelIlLb0ELb1ELb0ELi32E19rocblas_complex_numIfEPKS1_PS1_EvbiT_T4_T5_S5_lS7_S5_lT6_S5_li.num_named_barrier, 0
	.set _ZL26rocblas_syr2k_her2k_kernelIlLb0ELb1ELb0ELi32E19rocblas_complex_numIfEPKS1_PS1_EvbiT_T4_T5_S5_lS7_S5_lT6_S5_li.private_seg_size, 0
	.set _ZL26rocblas_syr2k_her2k_kernelIlLb0ELb1ELb0ELi32E19rocblas_complex_numIfEPKS1_PS1_EvbiT_T4_T5_S5_lS7_S5_lT6_S5_li.uses_vcc, 1
	.set _ZL26rocblas_syr2k_her2k_kernelIlLb0ELb1ELb0ELi32E19rocblas_complex_numIfEPKS1_PS1_EvbiT_T4_T5_S5_lS7_S5_lT6_S5_li.uses_flat_scratch, 0
	.set _ZL26rocblas_syr2k_her2k_kernelIlLb0ELb1ELb0ELi32E19rocblas_complex_numIfEPKS1_PS1_EvbiT_T4_T5_S5_lS7_S5_lT6_S5_li.has_dyn_sized_stack, 0
	.set _ZL26rocblas_syr2k_her2k_kernelIlLb0ELb1ELb0ELi32E19rocblas_complex_numIfEPKS1_PS1_EvbiT_T4_T5_S5_lS7_S5_lT6_S5_li.has_recursion, 0
	.set _ZL26rocblas_syr2k_her2k_kernelIlLb0ELb1ELb0ELi32E19rocblas_complex_numIfEPKS1_PS1_EvbiT_T4_T5_S5_lS7_S5_lT6_S5_li.has_indirect_call, 0
	.section	.AMDGPU.csdata,"",@progbits
; Kernel info:
; codeLenInByte = 2168
; TotalNumSgprs: 36
; NumVgprs: 36
; ScratchSize: 0
; MemoryBound: 0
; FloatMode: 240
; IeeeMode: 1
; LDSByteSize: 16384 bytes/workgroup (compile time only)
; SGPRBlocks: 8
; VGPRBlocks: 8
; NumSGPRsForWavesPerEU: 65
; NumVGPRsForWavesPerEU: 36
; Occupancy: 7
; WaveLimiterHint : 1
; COMPUTE_PGM_RSRC2:SCRATCH_EN: 0
; COMPUTE_PGM_RSRC2:USER_SGPR: 6
; COMPUTE_PGM_RSRC2:TRAP_HANDLER: 0
; COMPUTE_PGM_RSRC2:TGID_X_EN: 1
; COMPUTE_PGM_RSRC2:TGID_Y_EN: 1
; COMPUTE_PGM_RSRC2:TGID_Z_EN: 1
; COMPUTE_PGM_RSRC2:TIDIG_COMP_CNT: 1
	.section	.text._ZL26rocblas_syr2k_her2k_kernelIlLb0ELb1ELb1ELi32E19rocblas_complex_numIfEPKS1_PS1_EvbiT_T4_T5_S5_lS7_S5_lT6_S5_li,"axG",@progbits,_ZL26rocblas_syr2k_her2k_kernelIlLb0ELb1ELb1ELi32E19rocblas_complex_numIfEPKS1_PS1_EvbiT_T4_T5_S5_lS7_S5_lT6_S5_li,comdat
	.globl	_ZL26rocblas_syr2k_her2k_kernelIlLb0ELb1ELb1ELi32E19rocblas_complex_numIfEPKS1_PS1_EvbiT_T4_T5_S5_lS7_S5_lT6_S5_li ; -- Begin function _ZL26rocblas_syr2k_her2k_kernelIlLb0ELb1ELb1ELi32E19rocblas_complex_numIfEPKS1_PS1_EvbiT_T4_T5_S5_lS7_S5_lT6_S5_li
	.p2align	8
	.type	_ZL26rocblas_syr2k_her2k_kernelIlLb0ELb1ELb1ELi32E19rocblas_complex_numIfEPKS1_PS1_EvbiT_T4_T5_S5_lS7_S5_lT6_S5_li,@function
_ZL26rocblas_syr2k_her2k_kernelIlLb0ELb1ELb1ELi32E19rocblas_complex_numIfEPKS1_PS1_EvbiT_T4_T5_S5_lS7_S5_lT6_S5_li: ; @_ZL26rocblas_syr2k_her2k_kernelIlLb0ELb1ELb1ELi32E19rocblas_complex_numIfEPKS1_PS1_EvbiT_T4_T5_S5_lS7_S5_lT6_S5_li
; %bb.0:
	s_load_dwordx2 s[10:11], s[4:5], 0x10
	s_waitcnt lgkmcnt(0)
	v_cmp_eq_f32_e64 s[0:1], s10, 0
	v_cmp_eq_f32_e64 s[2:3], s11, 0
	s_and_b64 s[0:1], s[0:1], s[2:3]
	s_and_b64 vcc, exec, s[0:1]
	s_cbranch_vccnz .LBB1233_13
; %bb.1:
	s_load_dwordx2 s[28:29], s[4:5], 0x0
	s_lshl_b32 s2, s7, 5
	s_lshl_b32 s3, s6, 5
	s_waitcnt lgkmcnt(0)
	s_and_b32 s0, 1, s28
	s_cmp_eq_u32 s0, 1
	s_cselect_b64 s[0:1], -1, 0
	s_and_b64 s[6:7], s[0:1], exec
	s_cselect_b32 s6, s3, s2
	s_cselect_b32 s7, s2, s3
	s_cmp_gt_i32 s6, s7
	s_cbranch_scc1 .LBB1233_13
; %bb.2:
	s_load_dwordx2 s[30:31], s[4:5], 0x58
	s_load_dwordx2 s[6:7], s[4:5], 0x8
	s_load_dwordx16 s[12:27], s[4:5], 0x18
	v_add_u32_e32 v10, s3, v0
	v_add_u32_e32 v12, s2, v1
	s_waitcnt lgkmcnt(0)
	s_mul_i32 s5, s31, s8
	s_mul_hi_u32 s9, s30, s8
	s_mul_i32 s4, s30, s8
	s_add_i32 s5, s9, s5
	s_lshl_b64 s[4:5], s[4:5], 3
	s_add_u32 s28, s24, s4
	s_addc_u32 s30, s25, s5
	v_cmp_lt_i64_e64 s[4:5], s[6:7], 1
	v_ashrrev_i32_e32 v19, 31, v10
	s_and_b64 vcc, exec, s[4:5]
	s_cbranch_vccnz .LBB1233_11
; %bb.3:
	v_ashrrev_i32_e32 v2, 31, v12
	v_mul_lo_u32 v8, s27, v12
	v_mul_lo_u32 v9, s26, v2
	v_mad_u64_u32 v[2:3], s[4:5], s26, v12, 0
	v_cndmask_b32_e64 v4, v10, v12, s[0:1]
	v_cndmask_b32_e64 v5, v12, v10, s[0:1]
	v_add3_u32 v3, v3, v9, v8
	v_max_i32_e32 v7, v10, v12
	v_lshlrev_b64 v[2:3], 3, v[2:3]
	v_cmp_gt_i32_e32 vcc, s29, v7
	v_cmp_le_i32_e64 s[4:5], v5, v4
	s_and_b64 s[24:25], s[4:5], vcc
	v_mov_b32_e32 v4, s30
	v_add_co_u32_e32 v7, vcc, s28, v2
	s_ashr_i32 s3, s29, 31
	s_mov_b32 s2, s29
	v_mov_b32_e32 v11, 0
	v_addc_co_u32_e32 v8, vcc, v4, v3, vcc
	v_mad_u64_u32 v[4:5], s[4:5], s20, v12, 0
	v_cmp_gt_i64_e64 s[0:1], s[2:3], v[10:11]
	v_mov_b32_e32 v13, v11
	v_mov_b32_e32 v11, v19
	v_lshlrev_b64 v[2:3], 3, v[10:11]
	v_cmp_gt_i64_e64 s[2:3], s[2:3], v[12:13]
	v_add_co_u32_e32 v13, vcc, v7, v2
	v_mov_b32_e32 v2, v5
	v_addc_co_u32_e32 v14, vcc, v8, v3, vcc
	v_mad_u64_u32 v[2:3], s[4:5], s21, v12, v[2:3]
	s_mul_i32 s9, s23, s8
	s_mul_hi_u32 s20, s22, s8
	v_mov_b32_e32 v5, v2
	s_add_i32 s5, s20, s9
	s_mul_i32 s4, s22, s8
	v_lshlrev_b64 v[2:3], 3, v[4:5]
	s_lshl_b64 s[4:5], s[4:5], 3
	v_mov_b32_e32 v4, s5
	v_add_co_u32_e32 v2, vcc, s4, v2
	v_addc_co_u32_e32 v3, vcc, v4, v3, vcc
	v_lshlrev_b32_e32 v4, 3, v0
	v_add_co_u32_e32 v2, vcc, v2, v4
	v_addc_co_u32_e32 v3, vcc, 0, v3, vcc
	v_mov_b32_e32 v4, s19
	v_add_co_u32_e32 v5, vcc, s18, v2
	v_addc_co_u32_e32 v4, vcc, v4, v3, vcc
	v_mad_u64_u32 v[2:3], s[4:5], s14, v10, 0
	v_add_co_u32_e32 v15, vcc, 4, v5
	v_addc_co_u32_e32 v16, vcc, 0, v4, vcc
	v_mad_u64_u32 v[3:4], s[4:5], s15, v10, v[3:4]
	s_mul_i32 s9, s17, s8
	s_mul_hi_u32 s14, s16, s8
	s_add_i32 s5, s14, s9
	s_mul_i32 s4, s16, s8
	v_lshlrev_b64 v[2:3], 3, v[2:3]
	s_lshl_b64 s[4:5], s[4:5], 3
	v_mov_b32_e32 v4, s5
	v_add_co_u32_e32 v2, vcc, s4, v2
	v_lshlrev_b32_e32 v6, 3, v1
	v_addc_co_u32_e32 v3, vcc, v4, v3, vcc
	v_add_co_u32_e32 v2, vcc, v2, v6
	v_addc_co_u32_e32 v3, vcc, 0, v3, vcc
	v_mov_b32_e32 v4, s13
	v_add_co_u32_e32 v2, vcc, s12, v2
	v_addc_co_u32_e32 v3, vcc, v4, v3, vcc
	v_lshlrev_b32_e32 v20, 8, v0
	v_or_b32_e32 v22, 0x2000, v6
	v_add_co_u32_e32 v17, vcc, 4, v2
	v_add_u32_e32 v21, v20, v6
	v_addc_co_u32_e32 v18, vcc, 0, v3, vcc
	s_mov_b64 s[8:9], 0
	v_add_u32_e32 v11, 0x800, v22
	v_add_u32_e32 v23, 0x1000, v22
	;; [unrolled: 1-line block ×3, first 2 shown]
	s_branch .LBB1233_5
.LBB1233_4:                             ;   in Loop: Header=BB1233_5 Depth=1
	s_or_b64 exec, exec, s[4:5]
	s_add_u32 s8, s8, 32
	v_add_co_u32_e32 v15, vcc, 0x100, v15
	v_mov_b32_e32 v2, s6
	s_addc_u32 s9, s9, 0
	v_addc_co_u32_e32 v16, vcc, 0, v16, vcc
	v_mov_b32_e32 v3, s7
	v_add_co_u32_e32 v17, vcc, 0x100, v17
	v_cmp_ge_i64_e64 s[4:5], s[8:9], v[2:3]
	v_addc_co_u32_e32 v18, vcc, 0, v18, vcc
	s_and_b64 vcc, exec, s[4:5]
	s_waitcnt vmcnt(0)
	s_barrier
	s_cbranch_vccnz .LBB1233_11
.LBB1233_5:                             ; =>This Inner Loop Header: Depth=1
	v_mov_b32_e32 v3, s9
	v_add_co_u32_e32 v2, vcc, s8, v1
	v_addc_co_u32_e32 v3, vcc, 0, v3, vcc
	v_cmp_gt_i64_e32 vcc, s[6:7], v[2:3]
	v_mov_b32_e32 v2, 0
	s_and_b64 s[12:13], s[0:1], vcc
	v_mov_b32_e32 v3, 0
	v_mov_b32_e32 v4, 0
	s_and_saveexec_b64 s[4:5], s[12:13]
	s_cbranch_execz .LBB1233_7
; %bb.6:                                ;   in Loop: Header=BB1233_5 Depth=1
	global_load_dwordx2 v[3:4], v[17:18], off offset:-4
	s_waitcnt vmcnt(0)
	v_xor_b32_e32 v4, 0x80000000, v4
.LBB1233_7:                             ;   in Loop: Header=BB1233_5 Depth=1
	s_or_b64 exec, exec, s[4:5]
	v_mov_b32_e32 v6, s9
	v_add_co_u32_e32 v5, vcc, s8, v0
	v_addc_co_u32_e32 v6, vcc, 0, v6, vcc
	v_cmp_gt_i64_e32 vcc, s[6:7], v[5:6]
	ds_write_b64 v21, v[3:4]
	s_and_b64 s[12:13], s[2:3], vcc
	v_mov_b32_e32 v3, 0
	s_and_saveexec_b64 s[4:5], s[12:13]
	s_cbranch_execz .LBB1233_9
; %bb.8:                                ;   in Loop: Header=BB1233_5 Depth=1
	global_load_dwordx2 v[2:3], v[15:16], off offset:-4
.LBB1233_9:                             ;   in Loop: Header=BB1233_5 Depth=1
	s_or_b64 exec, exec, s[4:5]
	v_add_u32_e32 v4, v22, v20
	s_waitcnt vmcnt(0)
	ds_write_b64 v4, v[2:3]
	s_waitcnt lgkmcnt(0)
	s_barrier
	s_and_saveexec_b64 s[4:5], s[24:25]
	s_cbranch_execz .LBB1233_4
; %bb.10:                               ;   in Loop: Header=BB1233_5 Depth=1
	ds_read2_b64 v[2:5], v22 offset1:32
	ds_read_b128 v[6:9], v20
	ds_read_b128 v[25:28], v20 offset:16
	s_waitcnt lgkmcnt(1)
	v_mul_f32_e32 v29, v3, v7
	v_fma_f32 v34, v2, v6, -v29
	ds_read2_b64 v[29:32], v22 offset0:64 offset1:96
	v_mul_f32_e32 v33, v2, v7
	v_mul_f32_e32 v2, v5, v9
	v_fma_f32 v35, v4, v8, -v2
	v_fmac_f32_e32 v33, v3, v6
	s_waitcnt lgkmcnt(0)
	v_mul_f32_e32 v2, v30, v26
	v_mul_f32_e32 v36, v4, v9
	v_fma_f32 v37, v29, v25, -v2
	v_mul_f32_e32 v29, v29, v26
	v_mul_f32_e32 v2, v32, v28
	v_fmac_f32_e32 v36, v5, v8
	v_fmac_f32_e32 v29, v30, v25
	v_fma_f32 v30, v31, v27, -v2
	v_mul_f32_e32 v31, v31, v28
	v_add_f32_e32 v25, 0, v34
	v_add_f32_e32 v26, 0, v33
	v_fmac_f32_e32 v31, v32, v27
	ds_read_b128 v[2:5], v20 offset:32
	ds_read_b128 v[6:9], v20 offset:48
	v_add_f32_e32 v32, v25, v35
	v_add_f32_e32 v33, v26, v36
	ds_read2_b64 v[25:28], v22 offset0:128 offset1:160
	v_add_f32_e32 v29, v33, v29
	v_add_f32_e32 v29, v29, v31
	;; [unrolled: 1-line block ×4, first 2 shown]
	s_waitcnt lgkmcnt(0)
	v_mul_f32_e32 v31, v26, v3
	v_fma_f32 v31, v25, v2, -v31
	v_mul_f32_e32 v25, v25, v3
	v_fmac_f32_e32 v25, v26, v2
	v_mul_f32_e32 v2, v28, v5
	v_fma_f32 v26, v27, v4, -v2
	v_mul_f32_e32 v27, v27, v5
	v_fmac_f32_e32 v27, v28, v4
	ds_read2_b64 v[2:5], v22 offset0:192 offset1:224
	v_add_f32_e32 v25, v29, v25
	v_add_f32_e32 v28, v30, v31
	;; [unrolled: 1-line block ×4, first 2 shown]
	s_waitcnt lgkmcnt(0)
	v_mul_f32_e32 v25, v3, v7
	v_fma_f32 v25, v2, v6, -v25
	v_mul_f32_e32 v7, v2, v7
	v_mul_f32_e32 v2, v5, v9
	;; [unrolled: 1-line block ×3, first 2 shown]
	v_fmac_f32_e32 v7, v3, v6
	v_add_f32_e32 v6, v26, v25
	v_fma_f32 v30, v4, v8, -v2
	ds_read_b128 v[25:28], v20 offset:64
	v_fmac_f32_e32 v9, v5, v8
	ds_read2_b64 v[2:5], v11 offset1:32
	v_add_f32_e32 v7, v29, v7
	v_add_f32_e32 v29, v6, v30
	;; [unrolled: 1-line block ×3, first 2 shown]
	ds_read_b128 v[6:9], v20 offset:80
	s_waitcnt lgkmcnt(1)
	v_mul_f32_e32 v31, v3, v26
	v_fma_f32 v31, v2, v25, -v31
	v_mul_f32_e32 v26, v2, v26
	v_mul_f32_e32 v2, v5, v28
	;; [unrolled: 1-line block ×3, first 2 shown]
	v_fmac_f32_e32 v26, v3, v25
	v_fma_f32 v25, v4, v27, -v2
	v_fmac_f32_e32 v28, v5, v27
	ds_read2_b64 v[2:5], v11 offset0:64 offset1:96
	v_add_f32_e32 v26, v30, v26
	v_add_f32_e32 v27, v29, v31
	;; [unrolled: 1-line block ×4, first 2 shown]
	s_waitcnt lgkmcnt(0)
	v_mul_f32_e32 v26, v3, v7
	v_fma_f32 v26, v2, v6, -v26
	v_mul_f32_e32 v7, v2, v7
	v_mul_f32_e32 v2, v5, v9
	;; [unrolled: 1-line block ×3, first 2 shown]
	v_fmac_f32_e32 v7, v3, v6
	v_add_f32_e32 v6, v25, v26
	v_fma_f32 v30, v4, v8, -v2
	ds_read_b128 v[25:28], v20 offset:96
	v_fmac_f32_e32 v9, v5, v8
	ds_read2_b64 v[2:5], v11 offset0:128 offset1:160
	v_add_f32_e32 v7, v29, v7
	v_add_f32_e32 v29, v6, v30
	;; [unrolled: 1-line block ×3, first 2 shown]
	ds_read_b128 v[6:9], v20 offset:112
	s_waitcnt lgkmcnt(1)
	v_mul_f32_e32 v31, v3, v26
	v_fma_f32 v31, v2, v25, -v31
	v_mul_f32_e32 v26, v2, v26
	v_mul_f32_e32 v2, v5, v28
	;; [unrolled: 1-line block ×3, first 2 shown]
	v_fmac_f32_e32 v26, v3, v25
	v_fma_f32 v25, v4, v27, -v2
	v_fmac_f32_e32 v28, v5, v27
	ds_read2_b64 v[2:5], v11 offset0:192 offset1:224
	v_add_f32_e32 v26, v30, v26
	v_add_f32_e32 v27, v29, v31
	;; [unrolled: 1-line block ×4, first 2 shown]
	s_waitcnt lgkmcnt(0)
	v_mul_f32_e32 v26, v3, v7
	v_fma_f32 v26, v2, v6, -v26
	v_mul_f32_e32 v7, v2, v7
	v_mul_f32_e32 v2, v5, v9
	;; [unrolled: 1-line block ×3, first 2 shown]
	v_fmac_f32_e32 v7, v3, v6
	v_add_f32_e32 v6, v25, v26
	v_fma_f32 v30, v4, v8, -v2
	ds_read_b128 v[25:28], v20 offset:128
	v_fmac_f32_e32 v9, v5, v8
	ds_read2_b64 v[2:5], v23 offset1:32
	v_add_f32_e32 v7, v29, v7
	v_add_f32_e32 v29, v6, v30
	;; [unrolled: 1-line block ×3, first 2 shown]
	ds_read_b128 v[6:9], v20 offset:144
	s_waitcnt lgkmcnt(1)
	v_mul_f32_e32 v31, v3, v26
	v_fma_f32 v31, v2, v25, -v31
	v_mul_f32_e32 v2, v2, v26
	v_fmac_f32_e32 v2, v3, v25
	v_mul_f32_e32 v3, v5, v28
	v_fma_f32 v3, v4, v27, -v3
	v_mul_f32_e32 v4, v4, v28
	v_fmac_f32_e32 v4, v5, v27
	ds_read2_b64 v[25:28], v23 offset0:64 offset1:96
	v_add_f32_e32 v2, v30, v2
	v_add_f32_e32 v30, v2, v4
	;; [unrolled: 1-line block ×4, first 2 shown]
	s_waitcnt lgkmcnt(0)
	v_mul_f32_e32 v2, v26, v7
	v_fma_f32 v31, v25, v6, -v2
	v_mul_f32_e32 v25, v25, v7
	v_mul_f32_e32 v2, v28, v9
	v_fmac_f32_e32 v25, v26, v6
	v_fma_f32 v26, v27, v8, -v2
	v_mul_f32_e32 v27, v27, v9
	ds_read_b128 v[2:5], v20 offset:160
	v_fmac_f32_e32 v27, v28, v8
	ds_read2_b64 v[6:9], v23 offset0:128 offset1:160
	v_add_f32_e32 v28, v29, v31
	v_add_f32_e32 v29, v30, v25
	;; [unrolled: 1-line block ×4, first 2 shown]
	ds_read_b128 v[27:30], v20 offset:176
	s_waitcnt lgkmcnt(1)
	v_mul_f32_e32 v31, v7, v3
	v_fma_f32 v33, v6, v2, -v31
	global_load_dwordx2 v[31:32], v[13:14], off
	v_mul_f32_e32 v6, v6, v3
	v_fmac_f32_e32 v6, v7, v2
	v_mul_f32_e32 v2, v9, v5
	v_fma_f32 v7, v8, v4, -v2
	v_mul_f32_e32 v8, v8, v5
	v_fmac_f32_e32 v8, v9, v4
	ds_read2_b64 v[2:5], v23 offset0:192 offset1:224
	v_add_f32_e32 v6, v26, v6
	v_add_f32_e32 v26, v6, v8
	;; [unrolled: 1-line block ×4, first 2 shown]
	s_waitcnt lgkmcnt(0)
	v_mul_f32_e32 v6, v3, v28
	v_fma_f32 v33, v2, v27, -v6
	v_mul_f32_e32 v28, v2, v28
	v_mul_f32_e32 v2, v5, v30
	;; [unrolled: 1-line block ×3, first 2 shown]
	v_fmac_f32_e32 v28, v3, v27
	v_fma_f32 v27, v4, v29, -v2
	v_fmac_f32_e32 v30, v5, v29
	ds_read_b128 v[2:5], v20 offset:192
	ds_read2_b64 v[6:9], v24 offset1:32
	v_add_f32_e32 v25, v25, v33
	v_add_f32_e32 v26, v26, v28
	;; [unrolled: 1-line block ×4, first 2 shown]
	s_waitcnt lgkmcnt(0)
	v_mul_f32_e32 v33, v7, v3
	v_fma_f32 v33, v6, v2, -v33
	v_mul_f32_e32 v6, v6, v3
	v_fmac_f32_e32 v6, v7, v2
	v_mul_f32_e32 v2, v9, v5
	v_fma_f32 v7, v8, v4, -v2
	v_mul_f32_e32 v8, v8, v5
	ds_read_b128 v[25:28], v20 offset:208
	v_fmac_f32_e32 v8, v9, v4
	ds_read2_b64 v[2:5], v24 offset0:64 offset1:96
	v_add_f32_e32 v6, v30, v6
	v_add_f32_e32 v30, v6, v8
	;; [unrolled: 1-line block ×4, first 2 shown]
	s_waitcnt lgkmcnt(0)
	v_mul_f32_e32 v6, v3, v26
	v_fma_f32 v33, v2, v25, -v6
	v_mul_f32_e32 v26, v2, v26
	v_mul_f32_e32 v2, v5, v28
	;; [unrolled: 1-line block ×3, first 2 shown]
	v_fmac_f32_e32 v26, v3, v25
	v_fma_f32 v25, v4, v27, -v2
	v_fmac_f32_e32 v28, v5, v27
	ds_read_b128 v[2:5], v20 offset:224
	ds_read2_b64 v[6:9], v24 offset0:128 offset1:160
	v_add_f32_e32 v27, v29, v33
	v_add_f32_e32 v26, v30, v26
	v_add_f32_e32 v29, v27, v25
	v_add_f32_e32 v30, v26, v28
	s_waitcnt lgkmcnt(0)
	v_mul_f32_e32 v33, v7, v3
	v_fma_f32 v33, v6, v2, -v33
	v_mul_f32_e32 v6, v6, v3
	v_fmac_f32_e32 v6, v7, v2
	v_mul_f32_e32 v2, v9, v5
	v_fma_f32 v7, v8, v4, -v2
	v_mul_f32_e32 v8, v8, v5
	ds_read_b128 v[25:28], v20 offset:240
	v_fmac_f32_e32 v8, v9, v4
	ds_read2_b64 v[2:5], v24 offset0:192 offset1:224
	v_add_f32_e32 v6, v30, v6
	v_add_f32_e32 v6, v6, v8
	;; [unrolled: 1-line block ×4, first 2 shown]
	s_waitcnt lgkmcnt(0)
	v_mul_f32_e32 v8, v3, v26
	v_fma_f32 v8, v2, v25, -v8
	v_mul_f32_e32 v2, v2, v26
	v_fmac_f32_e32 v2, v3, v25
	v_add_f32_e32 v2, v6, v2
	v_mul_f32_e32 v6, v5, v28
	v_fma_f32 v6, v4, v27, -v6
	v_mul_f32_e32 v4, v4, v28
	v_fmac_f32_e32 v4, v5, v27
	v_add_f32_e32 v3, v7, v8
	v_add_f32_e32 v2, v2, v4
	;; [unrolled: 1-line block ×3, first 2 shown]
	v_mul_f32_e32 v4, s11, v2
	v_mul_f32_e32 v5, s10, v2
	v_fma_f32 v4, s10, v3, -v4
	v_fmac_f32_e32 v5, s11, v3
	s_waitcnt vmcnt(0)
	v_add_f32_e32 v2, v31, v4
	v_add_f32_e32 v3, v32, v5
	global_store_dwordx2 v[13:14], v[2:3], off
	s_branch .LBB1233_4
.LBB1233_11:
	v_cmp_eq_u32_e32 vcc, v10, v12
	v_cmp_gt_i32_e64 s[0:1], s29, v10
	s_and_b64 s[0:1], vcc, s[0:1]
	s_and_saveexec_b64 s[2:3], s[0:1]
	s_cbranch_execz .LBB1233_13
; %bb.12:
	v_mul_lo_u32 v2, s27, v10
	v_mul_lo_u32 v3, s26, v19
	v_mad_u64_u32 v[0:1], s[0:1], s26, v10, 0
	v_mov_b32_e32 v11, v19
	v_add3_u32 v1, v1, v3, v2
	v_lshlrev_b64 v[0:1], 3, v[0:1]
	v_mov_b32_e32 v2, s30
	v_add_co_u32_e32 v3, vcc, s28, v0
	v_addc_co_u32_e32 v2, vcc, v2, v1, vcc
	v_lshlrev_b64 v[0:1], 3, v[10:11]
	v_add_co_u32_e32 v0, vcc, v3, v0
	v_addc_co_u32_e32 v1, vcc, v2, v1, vcc
	v_mov_b32_e32 v2, 0
	global_store_dword v[0:1], v2, off offset:4
.LBB1233_13:
	s_endpgm
	.section	.rodata,"a",@progbits
	.p2align	6, 0x0
	.amdhsa_kernel _ZL26rocblas_syr2k_her2k_kernelIlLb0ELb1ELb1ELi32E19rocblas_complex_numIfEPKS1_PS1_EvbiT_T4_T5_S5_lS7_S5_lT6_S5_li
		.amdhsa_group_segment_fixed_size 16384
		.amdhsa_private_segment_fixed_size 0
		.amdhsa_kernarg_size 100
		.amdhsa_user_sgpr_count 6
		.amdhsa_user_sgpr_private_segment_buffer 1
		.amdhsa_user_sgpr_dispatch_ptr 0
		.amdhsa_user_sgpr_queue_ptr 0
		.amdhsa_user_sgpr_kernarg_segment_ptr 1
		.amdhsa_user_sgpr_dispatch_id 0
		.amdhsa_user_sgpr_flat_scratch_init 0
		.amdhsa_user_sgpr_private_segment_size 0
		.amdhsa_uses_dynamic_stack 0
		.amdhsa_system_sgpr_private_segment_wavefront_offset 0
		.amdhsa_system_sgpr_workgroup_id_x 1
		.amdhsa_system_sgpr_workgroup_id_y 1
		.amdhsa_system_sgpr_workgroup_id_z 1
		.amdhsa_system_sgpr_workgroup_info 0
		.amdhsa_system_vgpr_workitem_id 1
		.amdhsa_next_free_vgpr 38
		.amdhsa_next_free_sgpr 61
		.amdhsa_reserve_vcc 1
		.amdhsa_reserve_flat_scratch 0
		.amdhsa_float_round_mode_32 0
		.amdhsa_float_round_mode_16_64 0
		.amdhsa_float_denorm_mode_32 3
		.amdhsa_float_denorm_mode_16_64 3
		.amdhsa_dx10_clamp 1
		.amdhsa_ieee_mode 1
		.amdhsa_fp16_overflow 0
		.amdhsa_exception_fp_ieee_invalid_op 0
		.amdhsa_exception_fp_denorm_src 0
		.amdhsa_exception_fp_ieee_div_zero 0
		.amdhsa_exception_fp_ieee_overflow 0
		.amdhsa_exception_fp_ieee_underflow 0
		.amdhsa_exception_fp_ieee_inexact 0
		.amdhsa_exception_int_div_zero 0
	.end_amdhsa_kernel
	.section	.text._ZL26rocblas_syr2k_her2k_kernelIlLb0ELb1ELb1ELi32E19rocblas_complex_numIfEPKS1_PS1_EvbiT_T4_T5_S5_lS7_S5_lT6_S5_li,"axG",@progbits,_ZL26rocblas_syr2k_her2k_kernelIlLb0ELb1ELb1ELi32E19rocblas_complex_numIfEPKS1_PS1_EvbiT_T4_T5_S5_lS7_S5_lT6_S5_li,comdat
.Lfunc_end1233:
	.size	_ZL26rocblas_syr2k_her2k_kernelIlLb0ELb1ELb1ELi32E19rocblas_complex_numIfEPKS1_PS1_EvbiT_T4_T5_S5_lS7_S5_lT6_S5_li, .Lfunc_end1233-_ZL26rocblas_syr2k_her2k_kernelIlLb0ELb1ELb1ELi32E19rocblas_complex_numIfEPKS1_PS1_EvbiT_T4_T5_S5_lS7_S5_lT6_S5_li
                                        ; -- End function
	.set _ZL26rocblas_syr2k_her2k_kernelIlLb0ELb1ELb1ELi32E19rocblas_complex_numIfEPKS1_PS1_EvbiT_T4_T5_S5_lS7_S5_lT6_S5_li.num_vgpr, 38
	.set _ZL26rocblas_syr2k_her2k_kernelIlLb0ELb1ELb1ELi32E19rocblas_complex_numIfEPKS1_PS1_EvbiT_T4_T5_S5_lS7_S5_lT6_S5_li.num_agpr, 0
	.set _ZL26rocblas_syr2k_her2k_kernelIlLb0ELb1ELb1ELi32E19rocblas_complex_numIfEPKS1_PS1_EvbiT_T4_T5_S5_lS7_S5_lT6_S5_li.numbered_sgpr, 32
	.set _ZL26rocblas_syr2k_her2k_kernelIlLb0ELb1ELb1ELi32E19rocblas_complex_numIfEPKS1_PS1_EvbiT_T4_T5_S5_lS7_S5_lT6_S5_li.num_named_barrier, 0
	.set _ZL26rocblas_syr2k_her2k_kernelIlLb0ELb1ELb1ELi32E19rocblas_complex_numIfEPKS1_PS1_EvbiT_T4_T5_S5_lS7_S5_lT6_S5_li.private_seg_size, 0
	.set _ZL26rocblas_syr2k_her2k_kernelIlLb0ELb1ELb1ELi32E19rocblas_complex_numIfEPKS1_PS1_EvbiT_T4_T5_S5_lS7_S5_lT6_S5_li.uses_vcc, 1
	.set _ZL26rocblas_syr2k_her2k_kernelIlLb0ELb1ELb1ELi32E19rocblas_complex_numIfEPKS1_PS1_EvbiT_T4_T5_S5_lS7_S5_lT6_S5_li.uses_flat_scratch, 0
	.set _ZL26rocblas_syr2k_her2k_kernelIlLb0ELb1ELb1ELi32E19rocblas_complex_numIfEPKS1_PS1_EvbiT_T4_T5_S5_lS7_S5_lT6_S5_li.has_dyn_sized_stack, 0
	.set _ZL26rocblas_syr2k_her2k_kernelIlLb0ELb1ELb1ELi32E19rocblas_complex_numIfEPKS1_PS1_EvbiT_T4_T5_S5_lS7_S5_lT6_S5_li.has_recursion, 0
	.set _ZL26rocblas_syr2k_her2k_kernelIlLb0ELb1ELb1ELi32E19rocblas_complex_numIfEPKS1_PS1_EvbiT_T4_T5_S5_lS7_S5_lT6_S5_li.has_indirect_call, 0
	.section	.AMDGPU.csdata,"",@progbits
; Kernel info:
; codeLenInByte = 2148
; TotalNumSgprs: 36
; NumVgprs: 38
; ScratchSize: 0
; MemoryBound: 0
; FloatMode: 240
; IeeeMode: 1
; LDSByteSize: 16384 bytes/workgroup (compile time only)
; SGPRBlocks: 8
; VGPRBlocks: 9
; NumSGPRsForWavesPerEU: 65
; NumVGPRsForWavesPerEU: 38
; Occupancy: 6
; WaveLimiterHint : 1
; COMPUTE_PGM_RSRC2:SCRATCH_EN: 0
; COMPUTE_PGM_RSRC2:USER_SGPR: 6
; COMPUTE_PGM_RSRC2:TRAP_HANDLER: 0
; COMPUTE_PGM_RSRC2:TGID_X_EN: 1
; COMPUTE_PGM_RSRC2:TGID_Y_EN: 1
; COMPUTE_PGM_RSRC2:TGID_Z_EN: 1
; COMPUTE_PGM_RSRC2:TIDIG_COMP_CNT: 1
	.section	.text._ZL37rocblas_syrkx_herkx_restricted_kernelIl19rocblas_complex_numIfELi16ELi32ELi8ELi1ELi1ELb1ELc84ELc76EKS1_S1_EviT_PT9_S3_lS5_S3_lPT10_S3_li,"axG",@progbits,_ZL37rocblas_syrkx_herkx_restricted_kernelIl19rocblas_complex_numIfELi16ELi32ELi8ELi1ELi1ELb1ELc84ELc76EKS1_S1_EviT_PT9_S3_lS5_S3_lPT10_S3_li,comdat
	.globl	_ZL37rocblas_syrkx_herkx_restricted_kernelIl19rocblas_complex_numIfELi16ELi32ELi8ELi1ELi1ELb1ELc84ELc76EKS1_S1_EviT_PT9_S3_lS5_S3_lPT10_S3_li ; -- Begin function _ZL37rocblas_syrkx_herkx_restricted_kernelIl19rocblas_complex_numIfELi16ELi32ELi8ELi1ELi1ELb1ELc84ELc76EKS1_S1_EviT_PT9_S3_lS5_S3_lPT10_S3_li
	.p2align	8
	.type	_ZL37rocblas_syrkx_herkx_restricted_kernelIl19rocblas_complex_numIfELi16ELi32ELi8ELi1ELi1ELb1ELc84ELc76EKS1_S1_EviT_PT9_S3_lS5_S3_lPT10_S3_li,@function
_ZL37rocblas_syrkx_herkx_restricted_kernelIl19rocblas_complex_numIfELi16ELi32ELi8ELi1ELi1ELb1ELc84ELc76EKS1_S1_EviT_PT9_S3_lS5_S3_lPT10_S3_li: ; @_ZL37rocblas_syrkx_herkx_restricted_kernelIl19rocblas_complex_numIfELi16ELi32ELi8ELi1ELi1ELb1ELc84ELc76EKS1_S1_EviT_PT9_S3_lS5_S3_lPT10_S3_li
; %bb.0:
	s_load_dwordx16 s[12:27], s[4:5], 0x8
	s_lshl_b32 s2, s6, 5
	s_lshl_b32 s3, s7, 5
	s_waitcnt lgkmcnt(0)
	v_cmp_lt_i64_e64 s[0:1], s[12:13], 1
	s_and_b64 vcc, exec, s[0:1]
	s_cbranch_vccnz .LBB1234_3
; %bb.1:
	v_lshl_add_u32 v4, v1, 4, v0
	v_lshrrev_b32_e32 v6, 3, v4
	v_add_u32_e32 v2, s3, v6
	v_ashrrev_i32_e32 v3, 31, v2
	v_and_b32_e32 v9, 7, v0
	v_mov_b32_e32 v10, 0
	v_mul_lo_u32 v5, s22, v3
	v_mul_lo_u32 v7, s23, v2
	v_mad_u64_u32 v[2:3], s[0:1], s22, v2, v[9:10]
	s_mul_i32 s6, s19, s8
	s_mul_hi_u32 s7, s18, s8
	v_add3_u32 v3, v7, v3, v5
	v_and_b32_e32 v7, 31, v4
	v_lshrrev_b32_e32 v4, 5, v4
	v_lshlrev_b32_e32 v8, 3, v7
	v_lshl_or_b32 v11, v4, 8, v8
	v_lshlrev_b32_e32 v8, 3, v9
	v_lshl_or_b32 v6, v6, 6, v8
	v_add_u32_e32 v12, 0x800, v6
	v_mov_b32_e32 v6, 0x800
	v_lshl_add_u32 v14, v1, 6, v6
	v_add_u32_e32 v6, s2, v7
	v_mov_b32_e32 v5, v10
	v_ashrrev_i32_e32 v7, 31, v6
	v_mul_lo_u32 v7, s16, v7
	v_mad_u64_u32 v[4:5], s[0:1], s16, v6, v[4:5]
	v_mul_lo_u32 v6, s17, v6
	s_add_i32 s1, s7, s6
	s_mul_i32 s0, s18, s8
	s_lshl_b64 s[0:1], s[0:1], 3
	v_add3_u32 v5, v6, v5, v7
	v_lshlrev_b64 v[4:5], 3, v[4:5]
	s_add_u32 s0, s14, s0
	s_addc_u32 s1, s15, s1
	v_mov_b32_e32 v6, s1
	v_add_co_u32_e32 v4, vcc, s0, v4
	s_mul_i32 s0, s25, s8
	s_mul_hi_u32 s1, s24, s8
	s_add_i32 s1, s1, s0
	s_mul_i32 s0, s24, s8
	v_addc_co_u32_e32 v5, vcc, v6, v5, vcc
	s_lshl_b64 s[0:1], s[0:1], 3
	v_add_co_u32_e32 v6, vcc, 4, v4
	v_lshlrev_b64 v[2:3], 3, v[2:3]
	s_add_u32 s0, s20, s0
	v_addc_co_u32_e32 v7, vcc, 0, v5, vcc
	s_addc_u32 s1, s21, s1
	v_mov_b32_e32 v4, s1
	v_add_co_u32_e32 v2, vcc, s0, v2
	v_addc_co_u32_e32 v3, vcc, v4, v3, vcc
	v_add_co_u32_e32 v8, vcc, 4, v2
	v_lshlrev_b32_e32 v13, 3, v0
	v_addc_co_u32_e32 v9, vcc, 0, v3, vcc
	s_mov_b64 s[0:1], 0
	v_mov_b32_e32 v15, v10
	v_mov_b32_e32 v16, v10
	;; [unrolled: 1-line block ×7, first 2 shown]
.LBB1234_2:                             ; =>This Inner Loop Header: Depth=1
	global_load_dwordx2 v[2:3], v[6:7], off offset:-4
	s_add_u32 s0, s0, 8
	v_add_co_u32_e32 v6, vcc, 64, v6
	s_addc_u32 s1, s1, 0
	v_addc_co_u32_e32 v7, vcc, 0, v7, vcc
	s_waitcnt vmcnt(0)
	ds_write_b64 v11, v[2:3]
	global_load_dwordx2 v[2:3], v[8:9], off offset:-4
	v_add_co_u32_e32 v8, vcc, 64, v8
	v_addc_co_u32_e32 v9, vcc, 0, v9, vcc
	s_waitcnt vmcnt(0)
	ds_write_b64 v12, v[2:3]
	s_waitcnt lgkmcnt(0)
	s_barrier
	ds_read_b128 v[22:25], v14
	ds_read_b128 v[26:29], v14 offset:16
	ds_read_b128 v[30:33], v14 offset:32
	;; [unrolled: 1-line block ×3, first 2 shown]
	ds_read2_b64 v[34:37], v13 offset1:16
	s_waitcnt lgkmcnt(0)
	v_mul_f32_e32 v38, v23, v35
	v_mul_f32_e32 v39, v22, v35
	v_fma_f32 v38, v22, v34, -v38
	v_fmac_f32_e32 v39, v23, v34
	v_add_f32_e32 v38, v20, v38
	v_add_f32_e32 v39, v21, v39
	v_mul_f32_e32 v20, v23, v37
	v_mul_f32_e32 v21, v22, v37
	v_fma_f32 v20, v22, v36, -v20
	v_fmac_f32_e32 v21, v23, v36
	v_add_f32_e32 v22, v19, v20
	v_add_f32_e32 v23, v18, v21
	ds_read_b128 v[18:21], v14 offset:1024
	s_waitcnt lgkmcnt(0)
	v_mul_f32_e32 v40, v19, v35
	v_mul_f32_e32 v35, v18, v35
	v_fma_f32 v40, v18, v34, -v40
	v_fmac_f32_e32 v35, v19, v34
	v_add_f32_e32 v34, v17, v40
	v_add_f32_e32 v35, v16, v35
	v_mul_f32_e32 v16, v19, v37
	v_mul_f32_e32 v17, v18, v37
	v_fma_f32 v16, v18, v36, -v16
	v_fmac_f32_e32 v17, v19, v36
	v_add_f32_e32 v19, v15, v16
	v_add_f32_e32 v10, v10, v17
	ds_read2_b64 v[15:18], v13 offset0:32 offset1:48
	s_waitcnt lgkmcnt(0)
	v_mul_f32_e32 v36, v25, v16
	v_fma_f32 v36, v24, v15, -v36
	v_add_f32_e32 v36, v38, v36
	v_mul_f32_e32 v38, v25, v18
	v_mul_f32_e32 v37, v24, v16
	v_fma_f32 v38, v24, v17, -v38
	v_mul_f32_e32 v24, v24, v18
	v_fmac_f32_e32 v24, v25, v17
	v_add_f32_e32 v23, v23, v24
	v_mul_f32_e32 v24, v21, v16
	v_mul_f32_e32 v16, v20, v16
	v_fmac_f32_e32 v16, v21, v15
	v_fmac_f32_e32 v37, v25, v15
	v_fma_f32 v24, v20, v15, -v24
	v_add_f32_e32 v25, v35, v16
	v_mul_f32_e32 v15, v21, v18
	v_mul_f32_e32 v16, v20, v18
	v_fma_f32 v15, v20, v17, -v15
	v_fmac_f32_e32 v16, v21, v17
	v_add_f32_e32 v24, v34, v24
	v_add_f32_e32 v34, v19, v15
	;; [unrolled: 1-line block ×3, first 2 shown]
	ds_read2_b64 v[15:18], v13 offset0:64 offset1:80
	v_add_f32_e32 v37, v39, v37
	v_add_f32_e32 v22, v22, v38
	s_waitcnt lgkmcnt(0)
	v_mul_f32_e32 v19, v27, v16
	v_mul_f32_e32 v20, v26, v16
	v_fma_f32 v19, v26, v15, -v19
	v_fmac_f32_e32 v20, v27, v15
	v_add_f32_e32 v35, v36, v19
	v_add_f32_e32 v36, v37, v20
	v_mul_f32_e32 v19, v27, v18
	v_mul_f32_e32 v20, v26, v18
	v_fma_f32 v19, v26, v17, -v19
	v_fmac_f32_e32 v20, v27, v17
	v_add_f32_e32 v26, v22, v19
	v_add_f32_e32 v23, v23, v20
	ds_read_b128 v[19:22], v14 offset:1040
	s_waitcnt lgkmcnt(0)
	v_mul_f32_e32 v27, v20, v16
	v_mul_f32_e32 v16, v19, v16
	v_fmac_f32_e32 v16, v20, v15
	v_fma_f32 v27, v19, v15, -v27
	v_add_f32_e32 v25, v25, v16
	v_mul_f32_e32 v15, v20, v18
	v_mul_f32_e32 v16, v19, v18
	v_fma_f32 v15, v19, v17, -v15
	v_fmac_f32_e32 v16, v20, v17
	v_add_f32_e32 v19, v34, v15
	v_add_f32_e32 v10, v10, v16
	ds_read2_b64 v[15:18], v13 offset0:96 offset1:112
	v_add_f32_e32 v24, v24, v27
	s_waitcnt lgkmcnt(0)
	v_mul_f32_e32 v20, v29, v16
	v_mul_f32_e32 v34, v29, v18
	v_fma_f32 v20, v28, v15, -v20
	v_mul_f32_e32 v27, v28, v16
	v_fma_f32 v34, v28, v17, -v34
	v_mul_f32_e32 v28, v28, v18
	v_fmac_f32_e32 v28, v29, v17
	v_add_f32_e32 v23, v23, v28
	v_mul_f32_e32 v28, v22, v16
	v_mul_f32_e32 v16, v21, v16
	v_fmac_f32_e32 v16, v22, v15
	v_fmac_f32_e32 v27, v29, v15
	v_fma_f32 v28, v21, v15, -v28
	v_add_f32_e32 v25, v25, v16
	v_mul_f32_e32 v15, v22, v18
	v_mul_f32_e32 v16, v21, v18
	v_fma_f32 v15, v21, v17, -v15
	v_fmac_f32_e32 v16, v22, v17
	v_add_f32_e32 v24, v24, v28
	v_add_f32_e32 v28, v19, v15
	v_add_f32_e32 v10, v10, v16
	ds_read2_b64 v[15:18], v13 offset0:128 offset1:144
	v_add_f32_e32 v20, v35, v20
	v_add_f32_e32 v27, v36, v27
	;; [unrolled: 1-line block ×3, first 2 shown]
	s_waitcnt lgkmcnt(0)
	v_mul_f32_e32 v19, v31, v16
	v_fma_f32 v19, v30, v15, -v19
	v_mul_f32_e32 v21, v30, v16
	v_add_f32_e32 v29, v20, v19
	v_mul_f32_e32 v19, v31, v18
	v_mul_f32_e32 v20, v30, v18
	v_fmac_f32_e32 v21, v31, v15
	v_fma_f32 v19, v30, v17, -v19
	v_fmac_f32_e32 v20, v31, v17
	v_add_f32_e32 v27, v27, v21
	v_add_f32_e32 v26, v26, v19
	;; [unrolled: 1-line block ×3, first 2 shown]
	ds_read_b128 v[19:22], v14 offset:1056
	s_waitcnt lgkmcnt(0)
	v_mul_f32_e32 v30, v20, v16
	v_mul_f32_e32 v16, v19, v16
	v_fmac_f32_e32 v16, v20, v15
	v_fma_f32 v30, v19, v15, -v30
	v_add_f32_e32 v25, v25, v16
	v_mul_f32_e32 v15, v20, v18
	v_mul_f32_e32 v16, v19, v18
	v_fma_f32 v15, v19, v17, -v15
	v_fmac_f32_e32 v16, v20, v17
	v_add_f32_e32 v19, v28, v15
	v_add_f32_e32 v10, v10, v16
	ds_read2_b64 v[15:18], v13 offset0:160 offset1:176
	v_add_f32_e32 v24, v24, v30
	s_waitcnt lgkmcnt(0)
	v_mul_f32_e32 v28, v32, v16
	v_fmac_f32_e32 v28, v33, v15
	v_add_f32_e32 v27, v27, v28
	v_mul_f32_e32 v28, v33, v18
	v_fma_f32 v28, v32, v17, -v28
	v_mul_f32_e32 v20, v33, v16
	v_add_f32_e32 v26, v26, v28
	v_mul_f32_e32 v28, v22, v16
	v_mul_f32_e32 v16, v21, v16
	v_fmac_f32_e32 v16, v22, v15
	v_fma_f32 v20, v32, v15, -v20
	v_fma_f32 v28, v21, v15, -v28
	v_add_f32_e32 v25, v25, v16
	v_mul_f32_e32 v15, v22, v18
	v_mul_f32_e32 v16, v21, v18
	v_add_f32_e32 v20, v29, v20
	v_mul_f32_e32 v29, v32, v18
	v_fma_f32 v15, v21, v17, -v15
	v_fmac_f32_e32 v16, v22, v17
	v_fmac_f32_e32 v29, v33, v17
	v_add_f32_e32 v19, v19, v15
	v_add_f32_e32 v10, v10, v16
	ds_read2_b64 v[15:18], v13 offset0:192 offset1:208
	v_add_f32_e32 v24, v24, v28
	v_add_f32_e32 v23, v23, v29
	s_waitcnt lgkmcnt(0)
	v_mul_f32_e32 v21, v3, v16
	v_fma_f32 v21, v2, v15, -v21
	v_add_f32_e32 v28, v20, v21
	v_mul_f32_e32 v20, v3, v18
	v_mul_f32_e32 v22, v2, v16
	v_fma_f32 v20, v2, v17, -v20
	v_mul_f32_e32 v2, v2, v18
	v_fmac_f32_e32 v22, v3, v15
	v_fmac_f32_e32 v2, v3, v17
	v_add_f32_e32 v29, v27, v22
	v_add_f32_e32 v3, v26, v20
	;; [unrolled: 1-line block ×3, first 2 shown]
	ds_read_b128 v[20:23], v14 offset:1072
	s_waitcnt lgkmcnt(0)
	v_mul_f32_e32 v26, v21, v16
	v_fma_f32 v26, v20, v15, -v26
	v_mul_f32_e32 v16, v20, v16
	v_fmac_f32_e32 v16, v21, v15
	v_add_f32_e32 v15, v24, v26
	v_mul_f32_e32 v24, v21, v18
	v_fma_f32 v24, v20, v17, -v24
	v_add_f32_e32 v16, v25, v16
	v_add_f32_e32 v30, v19, v24
	ds_read2_b64 v[24:27], v13 offset0:224 offset1:240
	v_mul_f32_e32 v18, v20, v18
	v_fmac_f32_e32 v18, v21, v17
	v_add_f32_e32 v10, v10, v18
	s_waitcnt lgkmcnt(0)
	v_mul_f32_e32 v17, v5, v25
	v_fma_f32 v17, v4, v24, -v17
	v_add_f32_e32 v20, v28, v17
	v_mul_f32_e32 v17, v5, v27
	v_mul_f32_e32 v18, v4, v25
	v_fma_f32 v17, v4, v26, -v17
	v_mul_f32_e32 v4, v4, v27
	v_fmac_f32_e32 v18, v5, v24
	v_fmac_f32_e32 v4, v5, v26
	v_add_f32_e32 v21, v29, v18
	v_add_f32_e32 v19, v3, v17
	;; [unrolled: 1-line block ×3, first 2 shown]
	v_mul_f32_e32 v2, v23, v25
	v_mul_f32_e32 v3, v22, v25
	v_fma_f32 v2, v22, v24, -v2
	v_fmac_f32_e32 v3, v23, v24
	v_add_f32_e32 v17, v15, v2
	v_add_f32_e32 v16, v16, v3
	v_mul_f32_e32 v2, v23, v27
	v_mul_f32_e32 v3, v22, v27
	v_fma_f32 v2, v22, v26, -v2
	v_fmac_f32_e32 v3, v23, v26
	v_add_f32_e32 v15, v30, v2
	v_add_f32_e32 v10, v10, v3
	v_mov_b32_e32 v3, s1
	v_mov_b32_e32 v2, s0
	v_cmp_le_u64_e32 vcc, s[12:13], v[2:3]
	s_barrier
	s_cbranch_vccz .LBB1234_2
	s_branch .LBB1234_4
.LBB1234_3:
	v_mov_b32_e32 v20, 0
	v_mov_b32_e32 v21, 0
	;; [unrolled: 1-line block ×8, first 2 shown]
.LBB1234_4:
	s_load_dwordx4 s[12:15], s[4:5], 0x48
	s_load_dword s9, s[4:5], 0x0
	v_add_u32_e32 v5, s3, v1
	v_ashrrev_i32_e32 v1, 31, v5
	v_add_u32_e32 v0, s2, v0
	s_waitcnt lgkmcnt(0)
	v_mul_lo_u32 v3, s12, v1
	v_mul_lo_u32 v4, s13, v5
	v_mad_u64_u32 v[1:2], s[4:5], s12, v5, 0
	s_mul_i32 s1, s15, s8
	s_mul_hi_u32 s3, s14, s8
	s_mul_i32 s0, s14, s8
	s_add_i32 s1, s3, s1
	s_lshl_b64 s[0:1], s[0:1], 3
	v_add3_u32 v2, v2, v3, v4
	s_add_u32 s6, s26, s0
	v_lshlrev_b64 v[1:2], 3, v[1:2]
	s_addc_u32 s7, s27, s1
	v_mov_b32_e32 v3, s7
	v_add_co_u32_e32 v4, vcc, s6, v1
	v_addc_co_u32_e32 v6, vcc, v3, v2, vcc
	v_cmp_le_i32_e64 s[0:1], v5, v0
	v_cmp_gt_i32_e32 vcc, s9, v0
	s_and_b64 s[0:1], s[0:1], vcc
	s_and_saveexec_b64 s[2:3], s[0:1]
	s_cbranch_execz .LBB1234_7
; %bb.5:
	v_ashrrev_i32_e32 v1, 31, v0
	v_lshlrev_b64 v[1:2], 3, v[0:1]
	v_add_co_u32_e64 v1, s[0:1], v4, v1
	v_addc_co_u32_e64 v2, s[0:1], v6, v2, s[0:1]
	global_load_dwordx2 v[7:8], v[1:2], off
	v_cmp_eq_u32_e64 s[0:1], v5, v0
	s_waitcnt vmcnt(0)
	v_add_f32_e32 v7, v20, v7
	v_add_f32_e32 v8, v21, v8
	global_store_dwordx2 v[1:2], v[7:8], off
	s_and_b64 exec, exec, s[0:1]
	s_cbranch_execz .LBB1234_7
; %bb.6:
	v_mov_b32_e32 v3, 0
	global_store_dword v[1:2], v3, off offset:4
.LBB1234_7:
	s_or_b64 exec, exec, s[2:3]
	v_add_u32_e32 v2, 16, v0
	v_cmp_le_i32_e64 s[2:3], v5, v2
	v_cmp_gt_i32_e64 s[0:1], s9, v2
	s_and_b64 s[2:3], s[2:3], s[0:1]
	s_and_saveexec_b64 s[4:5], s[2:3]
	s_cbranch_execz .LBB1234_10
; %bb.8:
	v_ashrrev_i32_e32 v3, 31, v2
	v_lshlrev_b64 v[7:8], 3, v[2:3]
	v_add_co_u32_e64 v3, s[2:3], v4, v7
	v_addc_co_u32_e64 v4, s[2:3], v6, v8, s[2:3]
	global_load_dwordx2 v[6:7], v[3:4], off
	v_cmp_eq_u32_e64 s[2:3], v5, v2
	s_waitcnt vmcnt(0)
	v_add_f32_e32 v6, v19, v6
	v_add_f32_e32 v7, v18, v7
	global_store_dwordx2 v[3:4], v[6:7], off
	s_and_b64 exec, exec, s[2:3]
	s_cbranch_execz .LBB1234_10
; %bb.9:
	v_mov_b32_e32 v1, 0
	global_store_dword v[3:4], v1, off offset:4
.LBB1234_10:
	s_or_b64 exec, exec, s[4:5]
	v_add_u32_e32 v6, 16, v5
	v_ashrrev_i32_e32 v1, 31, v6
	v_mul_lo_u32 v7, s13, v6
	v_mad_u64_u32 v[3:4], s[2:3], s12, v6, 0
	v_mul_lo_u32 v1, s12, v1
	v_add3_u32 v4, v4, v1, v7
	v_lshlrev_b64 v[3:4], 3, v[3:4]
	v_mov_b32_e32 v1, s7
	v_add_co_u32_e64 v7, s[2:3], s6, v3
	v_addc_co_u32_e64 v8, s[2:3], v1, v4, s[2:3]
	v_cmp_le_i32_e64 s[2:3], v6, v0
	s_and_b64 s[4:5], s[2:3], vcc
	s_and_saveexec_b64 s[2:3], s[4:5]
	s_cbranch_execz .LBB1234_13
; %bb.11:
	v_ashrrev_i32_e32 v1, 31, v0
	v_lshlrev_b64 v[3:4], 3, v[0:1]
	v_add_co_u32_e32 v3, vcc, v7, v3
	v_addc_co_u32_e32 v4, vcc, v8, v4, vcc
	global_load_dwordx2 v[11:12], v[3:4], off
	v_cmp_eq_u32_e32 vcc, v6, v0
	s_waitcnt vmcnt(0)
	v_add_f32_e32 v11, v17, v11
	v_add_f32_e32 v12, v16, v12
	global_store_dwordx2 v[3:4], v[11:12], off
	s_and_b64 exec, exec, vcc
	s_cbranch_execz .LBB1234_13
; %bb.12:
	v_mov_b32_e32 v1, 0
	global_store_dword v[3:4], v1, off offset:4
.LBB1234_13:
	s_or_b64 exec, exec, s[2:3]
	v_cmp_le_i32_e32 vcc, v6, v2
	s_and_b64 s[0:1], vcc, s[0:1]
	s_and_saveexec_b64 s[2:3], s[0:1]
	s_cbranch_execz .LBB1234_16
; %bb.14:
	v_ashrrev_i32_e32 v3, 31, v2
	v_lshlrev_b64 v[1:2], 3, v[2:3]
	v_add_co_u32_e32 v1, vcc, v7, v1
	v_addc_co_u32_e32 v2, vcc, v8, v2, vcc
	global_load_dwordx2 v[3:4], v[1:2], off
	v_cmp_eq_u32_e32 vcc, v5, v0
	s_waitcnt vmcnt(0)
	v_add_f32_e32 v3, v15, v3
	v_add_f32_e32 v4, v10, v4
	global_store_dwordx2 v[1:2], v[3:4], off
	s_and_b64 exec, exec, vcc
	s_cbranch_execz .LBB1234_16
; %bb.15:
	v_mov_b32_e32 v0, 0
	global_store_dword v[1:2], v0, off offset:4
.LBB1234_16:
	s_endpgm
	.section	.rodata,"a",@progbits
	.p2align	6, 0x0
	.amdhsa_kernel _ZL37rocblas_syrkx_herkx_restricted_kernelIl19rocblas_complex_numIfELi16ELi32ELi8ELi1ELi1ELb1ELc84ELc76EKS1_S1_EviT_PT9_S3_lS5_S3_lPT10_S3_li
		.amdhsa_group_segment_fixed_size 4096
		.amdhsa_private_segment_fixed_size 0
		.amdhsa_kernarg_size 92
		.amdhsa_user_sgpr_count 6
		.amdhsa_user_sgpr_private_segment_buffer 1
		.amdhsa_user_sgpr_dispatch_ptr 0
		.amdhsa_user_sgpr_queue_ptr 0
		.amdhsa_user_sgpr_kernarg_segment_ptr 1
		.amdhsa_user_sgpr_dispatch_id 0
		.amdhsa_user_sgpr_flat_scratch_init 0
		.amdhsa_user_sgpr_private_segment_size 0
		.amdhsa_uses_dynamic_stack 0
		.amdhsa_system_sgpr_private_segment_wavefront_offset 0
		.amdhsa_system_sgpr_workgroup_id_x 1
		.amdhsa_system_sgpr_workgroup_id_y 1
		.amdhsa_system_sgpr_workgroup_id_z 1
		.amdhsa_system_sgpr_workgroup_info 0
		.amdhsa_system_vgpr_workitem_id 1
		.amdhsa_next_free_vgpr 41
		.amdhsa_next_free_sgpr 28
		.amdhsa_reserve_vcc 1
		.amdhsa_reserve_flat_scratch 0
		.amdhsa_float_round_mode_32 0
		.amdhsa_float_round_mode_16_64 0
		.amdhsa_float_denorm_mode_32 3
		.amdhsa_float_denorm_mode_16_64 3
		.amdhsa_dx10_clamp 1
		.amdhsa_ieee_mode 1
		.amdhsa_fp16_overflow 0
		.amdhsa_exception_fp_ieee_invalid_op 0
		.amdhsa_exception_fp_denorm_src 0
		.amdhsa_exception_fp_ieee_div_zero 0
		.amdhsa_exception_fp_ieee_overflow 0
		.amdhsa_exception_fp_ieee_underflow 0
		.amdhsa_exception_fp_ieee_inexact 0
		.amdhsa_exception_int_div_zero 0
	.end_amdhsa_kernel
	.section	.text._ZL37rocblas_syrkx_herkx_restricted_kernelIl19rocblas_complex_numIfELi16ELi32ELi8ELi1ELi1ELb1ELc84ELc76EKS1_S1_EviT_PT9_S3_lS5_S3_lPT10_S3_li,"axG",@progbits,_ZL37rocblas_syrkx_herkx_restricted_kernelIl19rocblas_complex_numIfELi16ELi32ELi8ELi1ELi1ELb1ELc84ELc76EKS1_S1_EviT_PT9_S3_lS5_S3_lPT10_S3_li,comdat
.Lfunc_end1234:
	.size	_ZL37rocblas_syrkx_herkx_restricted_kernelIl19rocblas_complex_numIfELi16ELi32ELi8ELi1ELi1ELb1ELc84ELc76EKS1_S1_EviT_PT9_S3_lS5_S3_lPT10_S3_li, .Lfunc_end1234-_ZL37rocblas_syrkx_herkx_restricted_kernelIl19rocblas_complex_numIfELi16ELi32ELi8ELi1ELi1ELb1ELc84ELc76EKS1_S1_EviT_PT9_S3_lS5_S3_lPT10_S3_li
                                        ; -- End function
	.set _ZL37rocblas_syrkx_herkx_restricted_kernelIl19rocblas_complex_numIfELi16ELi32ELi8ELi1ELi1ELb1ELc84ELc76EKS1_S1_EviT_PT9_S3_lS5_S3_lPT10_S3_li.num_vgpr, 41
	.set _ZL37rocblas_syrkx_herkx_restricted_kernelIl19rocblas_complex_numIfELi16ELi32ELi8ELi1ELi1ELb1ELc84ELc76EKS1_S1_EviT_PT9_S3_lS5_S3_lPT10_S3_li.num_agpr, 0
	.set _ZL37rocblas_syrkx_herkx_restricted_kernelIl19rocblas_complex_numIfELi16ELi32ELi8ELi1ELi1ELb1ELc84ELc76EKS1_S1_EviT_PT9_S3_lS5_S3_lPT10_S3_li.numbered_sgpr, 28
	.set _ZL37rocblas_syrkx_herkx_restricted_kernelIl19rocblas_complex_numIfELi16ELi32ELi8ELi1ELi1ELb1ELc84ELc76EKS1_S1_EviT_PT9_S3_lS5_S3_lPT10_S3_li.num_named_barrier, 0
	.set _ZL37rocblas_syrkx_herkx_restricted_kernelIl19rocblas_complex_numIfELi16ELi32ELi8ELi1ELi1ELb1ELc84ELc76EKS1_S1_EviT_PT9_S3_lS5_S3_lPT10_S3_li.private_seg_size, 0
	.set _ZL37rocblas_syrkx_herkx_restricted_kernelIl19rocblas_complex_numIfELi16ELi32ELi8ELi1ELi1ELb1ELc84ELc76EKS1_S1_EviT_PT9_S3_lS5_S3_lPT10_S3_li.uses_vcc, 1
	.set _ZL37rocblas_syrkx_herkx_restricted_kernelIl19rocblas_complex_numIfELi16ELi32ELi8ELi1ELi1ELb1ELc84ELc76EKS1_S1_EviT_PT9_S3_lS5_S3_lPT10_S3_li.uses_flat_scratch, 0
	.set _ZL37rocblas_syrkx_herkx_restricted_kernelIl19rocblas_complex_numIfELi16ELi32ELi8ELi1ELi1ELb1ELc84ELc76EKS1_S1_EviT_PT9_S3_lS5_S3_lPT10_S3_li.has_dyn_sized_stack, 0
	.set _ZL37rocblas_syrkx_herkx_restricted_kernelIl19rocblas_complex_numIfELi16ELi32ELi8ELi1ELi1ELb1ELc84ELc76EKS1_S1_EviT_PT9_S3_lS5_S3_lPT10_S3_li.has_recursion, 0
	.set _ZL37rocblas_syrkx_herkx_restricted_kernelIl19rocblas_complex_numIfELi16ELi32ELi8ELi1ELi1ELb1ELc84ELc76EKS1_S1_EviT_PT9_S3_lS5_S3_lPT10_S3_li.has_indirect_call, 0
	.section	.AMDGPU.csdata,"",@progbits
; Kernel info:
; codeLenInByte = 2144
; TotalNumSgprs: 32
; NumVgprs: 41
; ScratchSize: 0
; MemoryBound: 0
; FloatMode: 240
; IeeeMode: 1
; LDSByteSize: 4096 bytes/workgroup (compile time only)
; SGPRBlocks: 3
; VGPRBlocks: 10
; NumSGPRsForWavesPerEU: 32
; NumVGPRsForWavesPerEU: 41
; Occupancy: 5
; WaveLimiterHint : 1
; COMPUTE_PGM_RSRC2:SCRATCH_EN: 0
; COMPUTE_PGM_RSRC2:USER_SGPR: 6
; COMPUTE_PGM_RSRC2:TRAP_HANDLER: 0
; COMPUTE_PGM_RSRC2:TGID_X_EN: 1
; COMPUTE_PGM_RSRC2:TGID_Y_EN: 1
; COMPUTE_PGM_RSRC2:TGID_Z_EN: 1
; COMPUTE_PGM_RSRC2:TIDIG_COMP_CNT: 1
	.section	.text._ZL37rocblas_syrkx_herkx_restricted_kernelIl19rocblas_complex_numIfELi16ELi32ELi8ELi1ELi1ELb1ELc67ELc76EKS1_S1_EviT_PT9_S3_lS5_S3_lPT10_S3_li,"axG",@progbits,_ZL37rocblas_syrkx_herkx_restricted_kernelIl19rocblas_complex_numIfELi16ELi32ELi8ELi1ELi1ELb1ELc67ELc76EKS1_S1_EviT_PT9_S3_lS5_S3_lPT10_S3_li,comdat
	.globl	_ZL37rocblas_syrkx_herkx_restricted_kernelIl19rocblas_complex_numIfELi16ELi32ELi8ELi1ELi1ELb1ELc67ELc76EKS1_S1_EviT_PT9_S3_lS5_S3_lPT10_S3_li ; -- Begin function _ZL37rocblas_syrkx_herkx_restricted_kernelIl19rocblas_complex_numIfELi16ELi32ELi8ELi1ELi1ELb1ELc67ELc76EKS1_S1_EviT_PT9_S3_lS5_S3_lPT10_S3_li
	.p2align	8
	.type	_ZL37rocblas_syrkx_herkx_restricted_kernelIl19rocblas_complex_numIfELi16ELi32ELi8ELi1ELi1ELb1ELc67ELc76EKS1_S1_EviT_PT9_S3_lS5_S3_lPT10_S3_li,@function
_ZL37rocblas_syrkx_herkx_restricted_kernelIl19rocblas_complex_numIfELi16ELi32ELi8ELi1ELi1ELb1ELc67ELc76EKS1_S1_EviT_PT9_S3_lS5_S3_lPT10_S3_li: ; @_ZL37rocblas_syrkx_herkx_restricted_kernelIl19rocblas_complex_numIfELi16ELi32ELi8ELi1ELi1ELb1ELc67ELc76EKS1_S1_EviT_PT9_S3_lS5_S3_lPT10_S3_li
; %bb.0:
	s_load_dwordx16 s[12:27], s[4:5], 0x8
	s_lshl_b32 s2, s6, 5
	s_lshl_b32 s3, s7, 5
	s_waitcnt lgkmcnt(0)
	v_cmp_lt_i64_e64 s[0:1], s[12:13], 1
	s_and_b64 vcc, exec, s[0:1]
	s_cbranch_vccnz .LBB1235_3
; %bb.1:
	v_lshl_add_u32 v4, v1, 4, v0
	v_lshrrev_b32_e32 v6, 3, v4
	v_add_u32_e32 v2, s3, v6
	v_ashrrev_i32_e32 v3, 31, v2
	v_and_b32_e32 v9, 7, v0
	v_mov_b32_e32 v10, 0
	v_mul_lo_u32 v5, s22, v3
	v_mul_lo_u32 v7, s23, v2
	v_mad_u64_u32 v[2:3], s[0:1], s22, v2, v[9:10]
	s_mul_i32 s6, s19, s8
	s_mul_hi_u32 s7, s18, s8
	v_add3_u32 v3, v7, v3, v5
	v_and_b32_e32 v7, 31, v4
	v_lshrrev_b32_e32 v4, 5, v4
	v_lshlrev_b32_e32 v8, 3, v7
	v_lshl_or_b32 v11, v4, 8, v8
	v_lshlrev_b32_e32 v8, 3, v9
	v_lshl_or_b32 v6, v6, 6, v8
	v_add_u32_e32 v12, 0x800, v6
	v_mov_b32_e32 v6, 0x800
	v_lshl_add_u32 v14, v1, 6, v6
	v_add_u32_e32 v6, s2, v7
	v_mov_b32_e32 v5, v10
	v_ashrrev_i32_e32 v7, 31, v6
	v_mul_lo_u32 v7, s16, v7
	v_mad_u64_u32 v[4:5], s[0:1], s16, v6, v[4:5]
	v_mul_lo_u32 v6, s17, v6
	s_add_i32 s1, s7, s6
	s_mul_i32 s0, s18, s8
	s_lshl_b64 s[0:1], s[0:1], 3
	v_add3_u32 v5, v6, v5, v7
	v_lshlrev_b64 v[4:5], 3, v[4:5]
	s_add_u32 s0, s14, s0
	s_addc_u32 s1, s15, s1
	v_mov_b32_e32 v6, s1
	v_add_co_u32_e32 v4, vcc, s0, v4
	s_mul_i32 s0, s25, s8
	s_mul_hi_u32 s1, s24, s8
	s_add_i32 s1, s1, s0
	s_mul_i32 s0, s24, s8
	v_addc_co_u32_e32 v5, vcc, v6, v5, vcc
	s_lshl_b64 s[0:1], s[0:1], 3
	v_add_co_u32_e32 v6, vcc, 4, v4
	v_lshlrev_b64 v[2:3], 3, v[2:3]
	s_add_u32 s0, s20, s0
	v_addc_co_u32_e32 v7, vcc, 0, v5, vcc
	s_addc_u32 s1, s21, s1
	v_mov_b32_e32 v4, s1
	v_add_co_u32_e32 v2, vcc, s0, v2
	v_addc_co_u32_e32 v3, vcc, v4, v3, vcc
	v_add_co_u32_e32 v8, vcc, 4, v2
	v_lshlrev_b32_e32 v13, 3, v0
	v_addc_co_u32_e32 v9, vcc, 0, v3, vcc
	s_mov_b64 s[0:1], 0
	v_mov_b32_e32 v15, v10
	v_mov_b32_e32 v16, v10
	;; [unrolled: 1-line block ×7, first 2 shown]
.LBB1235_2:                             ; =>This Inner Loop Header: Depth=1
	global_load_dwordx2 v[2:3], v[6:7], off offset:-4
	v_add_co_u32_e32 v6, vcc, 64, v6
	s_add_u32 s0, s0, 8
	v_addc_co_u32_e32 v7, vcc, 0, v7, vcc
	s_addc_u32 s1, s1, 0
	s_waitcnt vmcnt(0)
	v_xor_b32_e32 v3, 0x80000000, v3
	ds_write_b64 v11, v[2:3]
	global_load_dwordx2 v[2:3], v[8:9], off offset:-4
	v_add_co_u32_e32 v8, vcc, 64, v8
	v_addc_co_u32_e32 v9, vcc, 0, v9, vcc
	s_waitcnt vmcnt(0)
	ds_write_b64 v12, v[2:3]
	s_waitcnt lgkmcnt(0)
	s_barrier
	ds_read_b128 v[22:25], v14
	ds_read_b128 v[26:29], v14 offset:16
	ds_read_b128 v[30:33], v14 offset:32
	;; [unrolled: 1-line block ×3, first 2 shown]
	ds_read2_b64 v[34:37], v13 offset1:16
	s_waitcnt lgkmcnt(0)
	v_mul_f32_e32 v38, v23, v35
	v_mul_f32_e32 v39, v22, v35
	v_fma_f32 v38, v22, v34, -v38
	v_fmac_f32_e32 v39, v23, v34
	v_add_f32_e32 v38, v20, v38
	v_add_f32_e32 v39, v21, v39
	v_mul_f32_e32 v20, v23, v37
	v_mul_f32_e32 v21, v22, v37
	v_fma_f32 v20, v22, v36, -v20
	v_fmac_f32_e32 v21, v23, v36
	v_add_f32_e32 v22, v19, v20
	v_add_f32_e32 v23, v18, v21
	ds_read_b128 v[18:21], v14 offset:1024
	s_waitcnt lgkmcnt(0)
	v_mul_f32_e32 v40, v19, v35
	v_mul_f32_e32 v35, v18, v35
	v_fma_f32 v40, v18, v34, -v40
	v_fmac_f32_e32 v35, v19, v34
	v_add_f32_e32 v34, v17, v40
	v_add_f32_e32 v35, v16, v35
	v_mul_f32_e32 v16, v19, v37
	v_mul_f32_e32 v17, v18, v37
	v_fma_f32 v16, v18, v36, -v16
	v_fmac_f32_e32 v17, v19, v36
	v_add_f32_e32 v19, v15, v16
	v_add_f32_e32 v10, v10, v17
	ds_read2_b64 v[15:18], v13 offset0:32 offset1:48
	s_waitcnt lgkmcnt(0)
	v_mul_f32_e32 v36, v25, v16
	v_fma_f32 v36, v24, v15, -v36
	v_add_f32_e32 v36, v38, v36
	v_mul_f32_e32 v38, v25, v18
	v_mul_f32_e32 v37, v24, v16
	v_fma_f32 v38, v24, v17, -v38
	v_mul_f32_e32 v24, v24, v18
	v_fmac_f32_e32 v24, v25, v17
	v_add_f32_e32 v23, v23, v24
	v_mul_f32_e32 v24, v21, v16
	v_mul_f32_e32 v16, v20, v16
	v_fmac_f32_e32 v16, v21, v15
	v_fmac_f32_e32 v37, v25, v15
	v_fma_f32 v24, v20, v15, -v24
	v_add_f32_e32 v25, v35, v16
	v_mul_f32_e32 v15, v21, v18
	v_mul_f32_e32 v16, v20, v18
	v_fma_f32 v15, v20, v17, -v15
	v_fmac_f32_e32 v16, v21, v17
	v_add_f32_e32 v24, v34, v24
	v_add_f32_e32 v34, v19, v15
	;; [unrolled: 1-line block ×3, first 2 shown]
	ds_read2_b64 v[15:18], v13 offset0:64 offset1:80
	v_add_f32_e32 v37, v39, v37
	v_add_f32_e32 v22, v22, v38
	s_waitcnt lgkmcnt(0)
	v_mul_f32_e32 v19, v27, v16
	v_mul_f32_e32 v20, v26, v16
	v_fma_f32 v19, v26, v15, -v19
	v_fmac_f32_e32 v20, v27, v15
	v_add_f32_e32 v35, v36, v19
	v_add_f32_e32 v36, v37, v20
	v_mul_f32_e32 v19, v27, v18
	v_mul_f32_e32 v20, v26, v18
	v_fma_f32 v19, v26, v17, -v19
	v_fmac_f32_e32 v20, v27, v17
	v_add_f32_e32 v26, v22, v19
	v_add_f32_e32 v23, v23, v20
	ds_read_b128 v[19:22], v14 offset:1040
	s_waitcnt lgkmcnt(0)
	v_mul_f32_e32 v27, v20, v16
	v_mul_f32_e32 v16, v19, v16
	v_fmac_f32_e32 v16, v20, v15
	v_fma_f32 v27, v19, v15, -v27
	v_add_f32_e32 v25, v25, v16
	v_mul_f32_e32 v15, v20, v18
	v_mul_f32_e32 v16, v19, v18
	v_fma_f32 v15, v19, v17, -v15
	v_fmac_f32_e32 v16, v20, v17
	v_add_f32_e32 v19, v34, v15
	v_add_f32_e32 v10, v10, v16
	ds_read2_b64 v[15:18], v13 offset0:96 offset1:112
	v_add_f32_e32 v24, v24, v27
	s_waitcnt lgkmcnt(0)
	v_mul_f32_e32 v20, v29, v16
	v_mul_f32_e32 v34, v29, v18
	v_fma_f32 v20, v28, v15, -v20
	v_mul_f32_e32 v27, v28, v16
	v_fma_f32 v34, v28, v17, -v34
	v_mul_f32_e32 v28, v28, v18
	v_fmac_f32_e32 v28, v29, v17
	v_add_f32_e32 v23, v23, v28
	v_mul_f32_e32 v28, v22, v16
	v_mul_f32_e32 v16, v21, v16
	v_fmac_f32_e32 v16, v22, v15
	v_fmac_f32_e32 v27, v29, v15
	v_fma_f32 v28, v21, v15, -v28
	v_add_f32_e32 v25, v25, v16
	v_mul_f32_e32 v15, v22, v18
	v_mul_f32_e32 v16, v21, v18
	v_fma_f32 v15, v21, v17, -v15
	v_fmac_f32_e32 v16, v22, v17
	v_add_f32_e32 v24, v24, v28
	v_add_f32_e32 v28, v19, v15
	;; [unrolled: 1-line block ×3, first 2 shown]
	ds_read2_b64 v[15:18], v13 offset0:128 offset1:144
	v_add_f32_e32 v20, v35, v20
	v_add_f32_e32 v27, v36, v27
	;; [unrolled: 1-line block ×3, first 2 shown]
	s_waitcnt lgkmcnt(0)
	v_mul_f32_e32 v19, v31, v16
	v_fma_f32 v19, v30, v15, -v19
	v_mul_f32_e32 v21, v30, v16
	v_add_f32_e32 v29, v20, v19
	v_mul_f32_e32 v19, v31, v18
	v_mul_f32_e32 v20, v30, v18
	v_fmac_f32_e32 v21, v31, v15
	v_fma_f32 v19, v30, v17, -v19
	v_fmac_f32_e32 v20, v31, v17
	v_add_f32_e32 v27, v27, v21
	v_add_f32_e32 v26, v26, v19
	;; [unrolled: 1-line block ×3, first 2 shown]
	ds_read_b128 v[19:22], v14 offset:1056
	s_waitcnt lgkmcnt(0)
	v_mul_f32_e32 v30, v20, v16
	v_mul_f32_e32 v16, v19, v16
	v_fmac_f32_e32 v16, v20, v15
	v_fma_f32 v30, v19, v15, -v30
	v_add_f32_e32 v25, v25, v16
	v_mul_f32_e32 v15, v20, v18
	v_mul_f32_e32 v16, v19, v18
	v_fma_f32 v15, v19, v17, -v15
	v_fmac_f32_e32 v16, v20, v17
	v_add_f32_e32 v19, v28, v15
	v_add_f32_e32 v10, v10, v16
	ds_read2_b64 v[15:18], v13 offset0:160 offset1:176
	v_add_f32_e32 v24, v24, v30
	s_waitcnt lgkmcnt(0)
	v_mul_f32_e32 v28, v32, v16
	v_fmac_f32_e32 v28, v33, v15
	v_add_f32_e32 v27, v27, v28
	v_mul_f32_e32 v28, v33, v18
	v_fma_f32 v28, v32, v17, -v28
	v_mul_f32_e32 v20, v33, v16
	v_add_f32_e32 v26, v26, v28
	v_mul_f32_e32 v28, v22, v16
	v_mul_f32_e32 v16, v21, v16
	v_fmac_f32_e32 v16, v22, v15
	v_fma_f32 v20, v32, v15, -v20
	v_fma_f32 v28, v21, v15, -v28
	v_add_f32_e32 v25, v25, v16
	v_mul_f32_e32 v15, v22, v18
	v_mul_f32_e32 v16, v21, v18
	v_add_f32_e32 v20, v29, v20
	v_mul_f32_e32 v29, v32, v18
	v_fma_f32 v15, v21, v17, -v15
	v_fmac_f32_e32 v16, v22, v17
	v_fmac_f32_e32 v29, v33, v17
	v_add_f32_e32 v19, v19, v15
	v_add_f32_e32 v10, v10, v16
	ds_read2_b64 v[15:18], v13 offset0:192 offset1:208
	v_add_f32_e32 v24, v24, v28
	v_add_f32_e32 v23, v23, v29
	s_waitcnt lgkmcnt(0)
	v_mul_f32_e32 v21, v3, v16
	v_fma_f32 v21, v2, v15, -v21
	v_add_f32_e32 v28, v20, v21
	v_mul_f32_e32 v20, v3, v18
	v_mul_f32_e32 v22, v2, v16
	v_fma_f32 v20, v2, v17, -v20
	v_mul_f32_e32 v2, v2, v18
	v_fmac_f32_e32 v22, v3, v15
	v_fmac_f32_e32 v2, v3, v17
	v_add_f32_e32 v29, v27, v22
	v_add_f32_e32 v3, v26, v20
	v_add_f32_e32 v2, v23, v2
	ds_read_b128 v[20:23], v14 offset:1072
	s_waitcnt lgkmcnt(0)
	v_mul_f32_e32 v26, v21, v16
	v_fma_f32 v26, v20, v15, -v26
	v_mul_f32_e32 v16, v20, v16
	v_fmac_f32_e32 v16, v21, v15
	v_add_f32_e32 v15, v24, v26
	v_mul_f32_e32 v24, v21, v18
	v_fma_f32 v24, v20, v17, -v24
	v_add_f32_e32 v16, v25, v16
	v_add_f32_e32 v30, v19, v24
	ds_read2_b64 v[24:27], v13 offset0:224 offset1:240
	v_mul_f32_e32 v18, v20, v18
	v_fmac_f32_e32 v18, v21, v17
	v_add_f32_e32 v10, v10, v18
	s_waitcnt lgkmcnt(0)
	v_mul_f32_e32 v17, v5, v25
	v_fma_f32 v17, v4, v24, -v17
	v_add_f32_e32 v20, v28, v17
	v_mul_f32_e32 v17, v5, v27
	v_mul_f32_e32 v18, v4, v25
	v_fma_f32 v17, v4, v26, -v17
	v_mul_f32_e32 v4, v4, v27
	v_fmac_f32_e32 v18, v5, v24
	v_fmac_f32_e32 v4, v5, v26
	v_add_f32_e32 v21, v29, v18
	v_add_f32_e32 v19, v3, v17
	;; [unrolled: 1-line block ×3, first 2 shown]
	v_mul_f32_e32 v2, v23, v25
	v_mul_f32_e32 v3, v22, v25
	v_fma_f32 v2, v22, v24, -v2
	v_fmac_f32_e32 v3, v23, v24
	v_add_f32_e32 v17, v15, v2
	v_add_f32_e32 v16, v16, v3
	v_mul_f32_e32 v2, v23, v27
	v_mul_f32_e32 v3, v22, v27
	v_fma_f32 v2, v22, v26, -v2
	v_fmac_f32_e32 v3, v23, v26
	v_add_f32_e32 v15, v30, v2
	v_add_f32_e32 v10, v10, v3
	v_mov_b32_e32 v3, s1
	v_mov_b32_e32 v2, s0
	v_cmp_le_u64_e32 vcc, s[12:13], v[2:3]
	s_barrier
	s_cbranch_vccz .LBB1235_2
	s_branch .LBB1235_4
.LBB1235_3:
	v_mov_b32_e32 v20, 0
	v_mov_b32_e32 v21, 0
	;; [unrolled: 1-line block ×8, first 2 shown]
.LBB1235_4:
	s_load_dwordx4 s[12:15], s[4:5], 0x48
	s_load_dword s9, s[4:5], 0x0
	v_add_u32_e32 v5, s3, v1
	v_ashrrev_i32_e32 v1, 31, v5
	v_add_u32_e32 v0, s2, v0
	s_waitcnt lgkmcnt(0)
	v_mul_lo_u32 v3, s12, v1
	v_mul_lo_u32 v4, s13, v5
	v_mad_u64_u32 v[1:2], s[4:5], s12, v5, 0
	s_mul_i32 s1, s15, s8
	s_mul_hi_u32 s3, s14, s8
	s_mul_i32 s0, s14, s8
	s_add_i32 s1, s3, s1
	s_lshl_b64 s[0:1], s[0:1], 3
	v_add3_u32 v2, v2, v3, v4
	s_add_u32 s6, s26, s0
	v_lshlrev_b64 v[1:2], 3, v[1:2]
	s_addc_u32 s7, s27, s1
	v_mov_b32_e32 v3, s7
	v_add_co_u32_e32 v4, vcc, s6, v1
	v_addc_co_u32_e32 v6, vcc, v3, v2, vcc
	v_cmp_le_i32_e64 s[0:1], v5, v0
	v_cmp_gt_i32_e32 vcc, s9, v0
	s_and_b64 s[0:1], s[0:1], vcc
	s_and_saveexec_b64 s[2:3], s[0:1]
	s_cbranch_execz .LBB1235_7
; %bb.5:
	v_ashrrev_i32_e32 v1, 31, v0
	v_lshlrev_b64 v[1:2], 3, v[0:1]
	v_add_co_u32_e64 v1, s[0:1], v4, v1
	v_addc_co_u32_e64 v2, s[0:1], v6, v2, s[0:1]
	global_load_dwordx2 v[7:8], v[1:2], off
	v_cmp_eq_u32_e64 s[0:1], v5, v0
	s_waitcnt vmcnt(0)
	v_add_f32_e32 v7, v20, v7
	v_add_f32_e32 v8, v21, v8
	global_store_dwordx2 v[1:2], v[7:8], off
	s_and_b64 exec, exec, s[0:1]
	s_cbranch_execz .LBB1235_7
; %bb.6:
	v_mov_b32_e32 v3, 0
	global_store_dword v[1:2], v3, off offset:4
.LBB1235_7:
	s_or_b64 exec, exec, s[2:3]
	v_add_u32_e32 v2, 16, v0
	v_cmp_le_i32_e64 s[2:3], v5, v2
	v_cmp_gt_i32_e64 s[0:1], s9, v2
	s_and_b64 s[2:3], s[2:3], s[0:1]
	s_and_saveexec_b64 s[4:5], s[2:3]
	s_cbranch_execz .LBB1235_10
; %bb.8:
	v_ashrrev_i32_e32 v3, 31, v2
	v_lshlrev_b64 v[7:8], 3, v[2:3]
	v_add_co_u32_e64 v3, s[2:3], v4, v7
	v_addc_co_u32_e64 v4, s[2:3], v6, v8, s[2:3]
	global_load_dwordx2 v[6:7], v[3:4], off
	v_cmp_eq_u32_e64 s[2:3], v5, v2
	s_waitcnt vmcnt(0)
	v_add_f32_e32 v6, v19, v6
	v_add_f32_e32 v7, v18, v7
	global_store_dwordx2 v[3:4], v[6:7], off
	s_and_b64 exec, exec, s[2:3]
	s_cbranch_execz .LBB1235_10
; %bb.9:
	v_mov_b32_e32 v1, 0
	global_store_dword v[3:4], v1, off offset:4
.LBB1235_10:
	s_or_b64 exec, exec, s[4:5]
	v_add_u32_e32 v6, 16, v5
	v_ashrrev_i32_e32 v1, 31, v6
	v_mul_lo_u32 v7, s13, v6
	v_mad_u64_u32 v[3:4], s[2:3], s12, v6, 0
	v_mul_lo_u32 v1, s12, v1
	v_add3_u32 v4, v4, v1, v7
	v_lshlrev_b64 v[3:4], 3, v[3:4]
	v_mov_b32_e32 v1, s7
	v_add_co_u32_e64 v7, s[2:3], s6, v3
	v_addc_co_u32_e64 v8, s[2:3], v1, v4, s[2:3]
	v_cmp_le_i32_e64 s[2:3], v6, v0
	s_and_b64 s[4:5], s[2:3], vcc
	s_and_saveexec_b64 s[2:3], s[4:5]
	s_cbranch_execz .LBB1235_13
; %bb.11:
	v_ashrrev_i32_e32 v1, 31, v0
	v_lshlrev_b64 v[3:4], 3, v[0:1]
	v_add_co_u32_e32 v3, vcc, v7, v3
	v_addc_co_u32_e32 v4, vcc, v8, v4, vcc
	global_load_dwordx2 v[11:12], v[3:4], off
	v_cmp_eq_u32_e32 vcc, v6, v0
	s_waitcnt vmcnt(0)
	v_add_f32_e32 v11, v17, v11
	v_add_f32_e32 v12, v16, v12
	global_store_dwordx2 v[3:4], v[11:12], off
	s_and_b64 exec, exec, vcc
	s_cbranch_execz .LBB1235_13
; %bb.12:
	v_mov_b32_e32 v1, 0
	global_store_dword v[3:4], v1, off offset:4
.LBB1235_13:
	s_or_b64 exec, exec, s[2:3]
	v_cmp_le_i32_e32 vcc, v6, v2
	s_and_b64 s[0:1], vcc, s[0:1]
	s_and_saveexec_b64 s[2:3], s[0:1]
	s_cbranch_execz .LBB1235_16
; %bb.14:
	v_ashrrev_i32_e32 v3, 31, v2
	v_lshlrev_b64 v[1:2], 3, v[2:3]
	v_add_co_u32_e32 v1, vcc, v7, v1
	v_addc_co_u32_e32 v2, vcc, v8, v2, vcc
	global_load_dwordx2 v[3:4], v[1:2], off
	v_cmp_eq_u32_e32 vcc, v5, v0
	s_waitcnt vmcnt(0)
	v_add_f32_e32 v3, v15, v3
	v_add_f32_e32 v4, v10, v4
	global_store_dwordx2 v[1:2], v[3:4], off
	s_and_b64 exec, exec, vcc
	s_cbranch_execz .LBB1235_16
; %bb.15:
	v_mov_b32_e32 v0, 0
	global_store_dword v[1:2], v0, off offset:4
.LBB1235_16:
	s_endpgm
	.section	.rodata,"a",@progbits
	.p2align	6, 0x0
	.amdhsa_kernel _ZL37rocblas_syrkx_herkx_restricted_kernelIl19rocblas_complex_numIfELi16ELi32ELi8ELi1ELi1ELb1ELc67ELc76EKS1_S1_EviT_PT9_S3_lS5_S3_lPT10_S3_li
		.amdhsa_group_segment_fixed_size 4096
		.amdhsa_private_segment_fixed_size 0
		.amdhsa_kernarg_size 92
		.amdhsa_user_sgpr_count 6
		.amdhsa_user_sgpr_private_segment_buffer 1
		.amdhsa_user_sgpr_dispatch_ptr 0
		.amdhsa_user_sgpr_queue_ptr 0
		.amdhsa_user_sgpr_kernarg_segment_ptr 1
		.amdhsa_user_sgpr_dispatch_id 0
		.amdhsa_user_sgpr_flat_scratch_init 0
		.amdhsa_user_sgpr_private_segment_size 0
		.amdhsa_uses_dynamic_stack 0
		.amdhsa_system_sgpr_private_segment_wavefront_offset 0
		.amdhsa_system_sgpr_workgroup_id_x 1
		.amdhsa_system_sgpr_workgroup_id_y 1
		.amdhsa_system_sgpr_workgroup_id_z 1
		.amdhsa_system_sgpr_workgroup_info 0
		.amdhsa_system_vgpr_workitem_id 1
		.amdhsa_next_free_vgpr 41
		.amdhsa_next_free_sgpr 28
		.amdhsa_reserve_vcc 1
		.amdhsa_reserve_flat_scratch 0
		.amdhsa_float_round_mode_32 0
		.amdhsa_float_round_mode_16_64 0
		.amdhsa_float_denorm_mode_32 3
		.amdhsa_float_denorm_mode_16_64 3
		.amdhsa_dx10_clamp 1
		.amdhsa_ieee_mode 1
		.amdhsa_fp16_overflow 0
		.amdhsa_exception_fp_ieee_invalid_op 0
		.amdhsa_exception_fp_denorm_src 0
		.amdhsa_exception_fp_ieee_div_zero 0
		.amdhsa_exception_fp_ieee_overflow 0
		.amdhsa_exception_fp_ieee_underflow 0
		.amdhsa_exception_fp_ieee_inexact 0
		.amdhsa_exception_int_div_zero 0
	.end_amdhsa_kernel
	.section	.text._ZL37rocblas_syrkx_herkx_restricted_kernelIl19rocblas_complex_numIfELi16ELi32ELi8ELi1ELi1ELb1ELc67ELc76EKS1_S1_EviT_PT9_S3_lS5_S3_lPT10_S3_li,"axG",@progbits,_ZL37rocblas_syrkx_herkx_restricted_kernelIl19rocblas_complex_numIfELi16ELi32ELi8ELi1ELi1ELb1ELc67ELc76EKS1_S1_EviT_PT9_S3_lS5_S3_lPT10_S3_li,comdat
.Lfunc_end1235:
	.size	_ZL37rocblas_syrkx_herkx_restricted_kernelIl19rocblas_complex_numIfELi16ELi32ELi8ELi1ELi1ELb1ELc67ELc76EKS1_S1_EviT_PT9_S3_lS5_S3_lPT10_S3_li, .Lfunc_end1235-_ZL37rocblas_syrkx_herkx_restricted_kernelIl19rocblas_complex_numIfELi16ELi32ELi8ELi1ELi1ELb1ELc67ELc76EKS1_S1_EviT_PT9_S3_lS5_S3_lPT10_S3_li
                                        ; -- End function
	.set _ZL37rocblas_syrkx_herkx_restricted_kernelIl19rocblas_complex_numIfELi16ELi32ELi8ELi1ELi1ELb1ELc67ELc76EKS1_S1_EviT_PT9_S3_lS5_S3_lPT10_S3_li.num_vgpr, 41
	.set _ZL37rocblas_syrkx_herkx_restricted_kernelIl19rocblas_complex_numIfELi16ELi32ELi8ELi1ELi1ELb1ELc67ELc76EKS1_S1_EviT_PT9_S3_lS5_S3_lPT10_S3_li.num_agpr, 0
	.set _ZL37rocblas_syrkx_herkx_restricted_kernelIl19rocblas_complex_numIfELi16ELi32ELi8ELi1ELi1ELb1ELc67ELc76EKS1_S1_EviT_PT9_S3_lS5_S3_lPT10_S3_li.numbered_sgpr, 28
	.set _ZL37rocblas_syrkx_herkx_restricted_kernelIl19rocblas_complex_numIfELi16ELi32ELi8ELi1ELi1ELb1ELc67ELc76EKS1_S1_EviT_PT9_S3_lS5_S3_lPT10_S3_li.num_named_barrier, 0
	.set _ZL37rocblas_syrkx_herkx_restricted_kernelIl19rocblas_complex_numIfELi16ELi32ELi8ELi1ELi1ELb1ELc67ELc76EKS1_S1_EviT_PT9_S3_lS5_S3_lPT10_S3_li.private_seg_size, 0
	.set _ZL37rocblas_syrkx_herkx_restricted_kernelIl19rocblas_complex_numIfELi16ELi32ELi8ELi1ELi1ELb1ELc67ELc76EKS1_S1_EviT_PT9_S3_lS5_S3_lPT10_S3_li.uses_vcc, 1
	.set _ZL37rocblas_syrkx_herkx_restricted_kernelIl19rocblas_complex_numIfELi16ELi32ELi8ELi1ELi1ELb1ELc67ELc76EKS1_S1_EviT_PT9_S3_lS5_S3_lPT10_S3_li.uses_flat_scratch, 0
	.set _ZL37rocblas_syrkx_herkx_restricted_kernelIl19rocblas_complex_numIfELi16ELi32ELi8ELi1ELi1ELb1ELc67ELc76EKS1_S1_EviT_PT9_S3_lS5_S3_lPT10_S3_li.has_dyn_sized_stack, 0
	.set _ZL37rocblas_syrkx_herkx_restricted_kernelIl19rocblas_complex_numIfELi16ELi32ELi8ELi1ELi1ELb1ELc67ELc76EKS1_S1_EviT_PT9_S3_lS5_S3_lPT10_S3_li.has_recursion, 0
	.set _ZL37rocblas_syrkx_herkx_restricted_kernelIl19rocblas_complex_numIfELi16ELi32ELi8ELi1ELi1ELb1ELc67ELc76EKS1_S1_EviT_PT9_S3_lS5_S3_lPT10_S3_li.has_indirect_call, 0
	.section	.AMDGPU.csdata,"",@progbits
; Kernel info:
; codeLenInByte = 2152
; TotalNumSgprs: 32
; NumVgprs: 41
; ScratchSize: 0
; MemoryBound: 0
; FloatMode: 240
; IeeeMode: 1
; LDSByteSize: 4096 bytes/workgroup (compile time only)
; SGPRBlocks: 3
; VGPRBlocks: 10
; NumSGPRsForWavesPerEU: 32
; NumVGPRsForWavesPerEU: 41
; Occupancy: 5
; WaveLimiterHint : 1
; COMPUTE_PGM_RSRC2:SCRATCH_EN: 0
; COMPUTE_PGM_RSRC2:USER_SGPR: 6
; COMPUTE_PGM_RSRC2:TRAP_HANDLER: 0
; COMPUTE_PGM_RSRC2:TGID_X_EN: 1
; COMPUTE_PGM_RSRC2:TGID_Y_EN: 1
; COMPUTE_PGM_RSRC2:TGID_Z_EN: 1
; COMPUTE_PGM_RSRC2:TIDIG_COMP_CNT: 1
	.section	.text._ZL37rocblas_syrkx_herkx_restricted_kernelIl19rocblas_complex_numIfELi16ELi32ELi8ELi1ELi1ELb1ELc78ELc76EKS1_S1_EviT_PT9_S3_lS5_S3_lPT10_S3_li,"axG",@progbits,_ZL37rocblas_syrkx_herkx_restricted_kernelIl19rocblas_complex_numIfELi16ELi32ELi8ELi1ELi1ELb1ELc78ELc76EKS1_S1_EviT_PT9_S3_lS5_S3_lPT10_S3_li,comdat
	.globl	_ZL37rocblas_syrkx_herkx_restricted_kernelIl19rocblas_complex_numIfELi16ELi32ELi8ELi1ELi1ELb1ELc78ELc76EKS1_S1_EviT_PT9_S3_lS5_S3_lPT10_S3_li ; -- Begin function _ZL37rocblas_syrkx_herkx_restricted_kernelIl19rocblas_complex_numIfELi16ELi32ELi8ELi1ELi1ELb1ELc78ELc76EKS1_S1_EviT_PT9_S3_lS5_S3_lPT10_S3_li
	.p2align	8
	.type	_ZL37rocblas_syrkx_herkx_restricted_kernelIl19rocblas_complex_numIfELi16ELi32ELi8ELi1ELi1ELb1ELc78ELc76EKS1_S1_EviT_PT9_S3_lS5_S3_lPT10_S3_li,@function
_ZL37rocblas_syrkx_herkx_restricted_kernelIl19rocblas_complex_numIfELi16ELi32ELi8ELi1ELi1ELb1ELc78ELc76EKS1_S1_EviT_PT9_S3_lS5_S3_lPT10_S3_li: ; @_ZL37rocblas_syrkx_herkx_restricted_kernelIl19rocblas_complex_numIfELi16ELi32ELi8ELi1ELi1ELb1ELc78ELc76EKS1_S1_EviT_PT9_S3_lS5_S3_lPT10_S3_li
; %bb.0:
	s_load_dwordx16 s[12:27], s[4:5], 0x8
	s_lshl_b32 s9, s6, 5
	s_lshl_b32 s10, s7, 5
	s_waitcnt lgkmcnt(0)
	v_cmp_lt_i64_e64 s[0:1], s[12:13], 1
	s_and_b64 vcc, exec, s[0:1]
	s_cbranch_vccnz .LBB1236_3
; %bb.1:
	v_lshl_add_u32 v6, v1, 4, v0
	v_lshrrev_b32_e32 v7, 3, v6
	v_add_u32_e32 v2, s10, v7
	v_and_b32_e32 v5, 7, v0
	v_ashrrev_i32_e32 v3, 31, v2
	v_mad_u64_u32 v[2:3], s[0:1], s22, v5, v[2:3]
	v_lshrrev_b32_e32 v8, 5, v6
	s_mul_i32 s2, s19, s8
	v_mad_u64_u32 v[3:4], s[0:1], s23, v5, v[3:4]
	v_and_b32_e32 v4, 31, v6
	v_lshlrev_b32_e32 v5, 3, v5
	v_lshlrev_b32_e32 v6, 3, v4
	v_lshl_or_b32 v5, v7, 6, v5
	v_add_u32_e32 v4, s9, v4
	v_add_u32_e32 v11, 0x800, v5
	v_ashrrev_i32_e32 v5, 31, v4
	v_mad_u64_u32 v[4:5], s[0:1], s16, v8, v[4:5]
	v_lshl_or_b32 v10, v8, 8, v6
	v_mov_b32_e32 v6, 0x800
	v_lshl_add_u32 v13, v1, 6, v6
	v_mad_u64_u32 v[5:6], s[0:1], s17, v8, v[5:6]
	s_mul_hi_u32 s3, s18, s8
	s_add_i32 s1, s3, s2
	s_mul_i32 s0, s18, s8
	s_lshl_b64 s[0:1], s[0:1], 3
	v_lshlrev_b64 v[4:5], 3, v[4:5]
	s_add_u32 s0, s14, s0
	s_addc_u32 s1, s15, s1
	s_mul_i32 s2, s25, s8
	s_mul_hi_u32 s3, s24, s8
	v_mov_b32_e32 v6, s1
	v_add_co_u32_e32 v4, vcc, s0, v4
	s_add_i32 s3, s3, s2
	s_mul_i32 s2, s24, s8
	v_addc_co_u32_e32 v5, vcc, v6, v5, vcc
	s_lshl_b64 s[0:1], s[16:17], 6
	s_lshl_b64 s[2:3], s[2:3], 3
	v_add_co_u32_e32 v6, vcc, 4, v4
	v_lshlrev_b64 v[2:3], 3, v[2:3]
	s_add_u32 s2, s20, s2
	v_addc_co_u32_e32 v7, vcc, 0, v5, vcc
	s_addc_u32 s3, s21, s3
	v_mov_b32_e32 v4, s3
	v_add_co_u32_e32 v2, vcc, s2, v2
	v_addc_co_u32_e32 v3, vcc, v4, v3, vcc
	v_add_co_u32_e32 v8, vcc, 4, v2
	s_lshl_b64 s[2:3], s[22:23], 6
	v_lshlrev_b32_e32 v12, 3, v0
	v_addc_co_u32_e32 v9, vcc, 0, v3, vcc
	v_mov_b32_e32 v16, 0
	s_mov_b64 s[6:7], 0
	v_mov_b32_e32 v14, s1
	v_mov_b32_e32 v15, s3
	;; [unrolled: 1-line block ×9, first 2 shown]
.LBB1236_2:                             ; =>This Inner Loop Header: Depth=1
	global_load_dwordx2 v[2:3], v[6:7], off offset:-4
	v_add_co_u32_e32 v6, vcc, s0, v6
	s_add_u32 s6, s6, 8
	v_addc_co_u32_e32 v7, vcc, v7, v14, vcc
	s_addc_u32 s7, s7, 0
	s_waitcnt vmcnt(0)
	ds_write_b64 v10, v[2:3]
	global_load_dwordx2 v[2:3], v[8:9], off offset:-4
	v_add_co_u32_e32 v8, vcc, s2, v8
	v_addc_co_u32_e32 v9, vcc, v9, v15, vcc
	s_waitcnt vmcnt(0)
	v_xor_b32_e32 v3, 0x80000000, v3
	ds_write_b64 v11, v[2:3]
	s_waitcnt lgkmcnt(0)
	s_barrier
	ds_read_b128 v[24:27], v13
	ds_read_b128 v[28:31], v13 offset:16
	ds_read_b128 v[32:35], v13 offset:32
	;; [unrolled: 1-line block ×3, first 2 shown]
	ds_read2_b64 v[36:39], v12 offset1:16
	s_waitcnt lgkmcnt(0)
	v_mul_f32_e32 v40, v25, v37
	v_mul_f32_e32 v41, v24, v37
	v_fma_f32 v40, v24, v36, -v40
	v_fmac_f32_e32 v41, v25, v36
	v_add_f32_e32 v40, v22, v40
	v_add_f32_e32 v41, v23, v41
	v_mul_f32_e32 v22, v25, v39
	v_mul_f32_e32 v23, v24, v39
	v_fma_f32 v22, v24, v38, -v22
	v_fmac_f32_e32 v23, v25, v38
	v_add_f32_e32 v24, v21, v22
	v_add_f32_e32 v25, v20, v23
	ds_read_b128 v[20:23], v13 offset:1024
	s_waitcnt lgkmcnt(0)
	v_mul_f32_e32 v42, v21, v37
	v_mul_f32_e32 v37, v20, v37
	v_fma_f32 v42, v20, v36, -v42
	v_fmac_f32_e32 v37, v21, v36
	v_add_f32_e32 v36, v19, v42
	v_add_f32_e32 v37, v18, v37
	v_mul_f32_e32 v18, v21, v39
	v_mul_f32_e32 v19, v20, v39
	v_fma_f32 v18, v20, v38, -v18
	v_fmac_f32_e32 v19, v21, v38
	v_add_f32_e32 v20, v17, v18
	v_add_f32_e32 v21, v16, v19
	ds_read2_b64 v[16:19], v12 offset0:32 offset1:48
	s_waitcnt lgkmcnt(0)
	v_mul_f32_e32 v38, v27, v17
	v_fma_f32 v38, v26, v16, -v38
	v_add_f32_e32 v38, v40, v38
	v_mul_f32_e32 v40, v27, v19
	v_mul_f32_e32 v39, v26, v17
	v_fma_f32 v40, v26, v18, -v40
	v_mul_f32_e32 v26, v26, v19
	v_fmac_f32_e32 v26, v27, v18
	v_add_f32_e32 v25, v25, v26
	v_mul_f32_e32 v26, v23, v17
	v_mul_f32_e32 v17, v22, v17
	v_fmac_f32_e32 v17, v23, v16
	v_fmac_f32_e32 v39, v27, v16
	v_fma_f32 v26, v22, v16, -v26
	v_add_f32_e32 v27, v37, v17
	v_mul_f32_e32 v16, v23, v19
	v_mul_f32_e32 v17, v22, v19
	v_fma_f32 v16, v22, v18, -v16
	v_fmac_f32_e32 v17, v23, v18
	v_add_f32_e32 v26, v36, v26
	v_add_f32_e32 v36, v20, v16
	;; [unrolled: 1-line block ×3, first 2 shown]
	ds_read2_b64 v[16:19], v12 offset0:64 offset1:80
	v_add_f32_e32 v39, v41, v39
	v_add_f32_e32 v24, v24, v40
	s_waitcnt lgkmcnt(0)
	v_mul_f32_e32 v20, v29, v17
	v_mul_f32_e32 v21, v28, v17
	v_fma_f32 v20, v28, v16, -v20
	v_fmac_f32_e32 v21, v29, v16
	v_add_f32_e32 v38, v38, v20
	v_add_f32_e32 v39, v39, v21
	v_mul_f32_e32 v20, v29, v19
	v_mul_f32_e32 v21, v28, v19
	v_fma_f32 v20, v28, v18, -v20
	v_fmac_f32_e32 v21, v29, v18
	v_add_f32_e32 v24, v24, v20
	v_add_f32_e32 v25, v25, v21
	ds_read_b128 v[20:23], v13 offset:1040
	s_waitcnt lgkmcnt(0)
	v_mul_f32_e32 v28, v21, v17
	v_mul_f32_e32 v17, v20, v17
	v_fmac_f32_e32 v17, v21, v16
	v_fma_f32 v28, v20, v16, -v28
	v_add_f32_e32 v27, v27, v17
	v_mul_f32_e32 v16, v21, v19
	v_mul_f32_e32 v17, v20, v19
	v_fma_f32 v16, v20, v18, -v16
	v_fmac_f32_e32 v17, v21, v18
	v_add_f32_e32 v20, v36, v16
	v_add_f32_e32 v21, v37, v17
	ds_read2_b64 v[16:19], v12 offset0:96 offset1:112
	v_add_f32_e32 v26, v26, v28
	s_waitcnt lgkmcnt(0)
	v_mul_f32_e32 v28, v31, v17
	v_mul_f32_e32 v36, v31, v19
	v_fma_f32 v28, v30, v16, -v28
	v_mul_f32_e32 v29, v30, v17
	v_fma_f32 v36, v30, v18, -v36
	v_mul_f32_e32 v30, v30, v19
	v_fmac_f32_e32 v30, v31, v18
	v_add_f32_e32 v25, v25, v30
	v_mul_f32_e32 v30, v23, v17
	v_mul_f32_e32 v17, v22, v17
	v_fmac_f32_e32 v17, v23, v16
	v_fmac_f32_e32 v29, v31, v16
	v_fma_f32 v30, v22, v16, -v30
	v_add_f32_e32 v27, v27, v17
	v_mul_f32_e32 v16, v23, v19
	v_mul_f32_e32 v17, v22, v19
	v_fma_f32 v16, v22, v18, -v16
	v_fmac_f32_e32 v17, v23, v18
	v_add_f32_e32 v26, v26, v30
	v_add_f32_e32 v30, v20, v16
	;; [unrolled: 1-line block ×3, first 2 shown]
	ds_read2_b64 v[16:19], v12 offset0:128 offset1:144
	v_add_f32_e32 v28, v38, v28
	v_add_f32_e32 v29, v39, v29
	;; [unrolled: 1-line block ×3, first 2 shown]
	s_waitcnt lgkmcnt(0)
	v_mul_f32_e32 v20, v33, v17
	v_mul_f32_e32 v21, v32, v17
	v_fma_f32 v20, v32, v16, -v20
	v_fmac_f32_e32 v21, v33, v16
	v_add_f32_e32 v28, v28, v20
	v_add_f32_e32 v29, v29, v21
	v_mul_f32_e32 v20, v33, v19
	v_mul_f32_e32 v21, v32, v19
	v_fma_f32 v20, v32, v18, -v20
	v_fmac_f32_e32 v21, v33, v18
	v_add_f32_e32 v24, v24, v20
	v_add_f32_e32 v25, v25, v21
	ds_read_b128 v[20:23], v13 offset:1056
	s_waitcnt lgkmcnt(0)
	v_mul_f32_e32 v32, v21, v17
	v_mul_f32_e32 v17, v20, v17
	v_fmac_f32_e32 v17, v21, v16
	v_fma_f32 v32, v20, v16, -v32
	v_add_f32_e32 v27, v27, v17
	v_mul_f32_e32 v16, v21, v19
	v_mul_f32_e32 v17, v20, v19
	v_fma_f32 v16, v20, v18, -v16
	v_fmac_f32_e32 v17, v21, v18
	v_add_f32_e32 v20, v30, v16
	v_add_f32_e32 v21, v31, v17
	ds_read2_b64 v[16:19], v12 offset0:160 offset1:176
	v_add_f32_e32 v26, v26, v32
	s_waitcnt lgkmcnt(0)
	v_mul_f32_e32 v30, v35, v17
	v_fma_f32 v30, v34, v16, -v30
	v_add_f32_e32 v28, v28, v30
	v_mul_f32_e32 v30, v35, v19
	v_fma_f32 v30, v34, v18, -v30
	v_mul_f32_e32 v31, v34, v17
	v_add_f32_e32 v24, v24, v30
	v_mul_f32_e32 v30, v23, v17
	v_mul_f32_e32 v17, v22, v17
	v_fmac_f32_e32 v17, v23, v16
	v_fmac_f32_e32 v31, v35, v16
	v_fma_f32 v30, v22, v16, -v30
	v_add_f32_e32 v27, v27, v17
	v_mul_f32_e32 v16, v23, v19
	v_mul_f32_e32 v17, v22, v19
	v_add_f32_e32 v29, v29, v31
	v_mul_f32_e32 v31, v34, v19
	v_fma_f32 v16, v22, v18, -v16
	v_fmac_f32_e32 v17, v23, v18
	v_fmac_f32_e32 v31, v35, v18
	v_add_f32_e32 v20, v20, v16
	v_add_f32_e32 v21, v21, v17
	ds_read2_b64 v[16:19], v12 offset0:192 offset1:208
	v_add_f32_e32 v26, v26, v30
	v_add_f32_e32 v25, v25, v31
	s_waitcnt lgkmcnt(0)
	v_mul_f32_e32 v22, v3, v17
	v_fma_f32 v22, v2, v16, -v22
	v_add_f32_e32 v30, v28, v22
	v_mul_f32_e32 v22, v3, v19
	v_mul_f32_e32 v23, v2, v17
	v_fma_f32 v22, v2, v18, -v22
	v_mul_f32_e32 v2, v2, v19
	v_fmac_f32_e32 v23, v3, v16
	v_fmac_f32_e32 v2, v3, v18
	v_add_f32_e32 v31, v29, v23
	v_add_f32_e32 v3, v24, v22
	;; [unrolled: 1-line block ×3, first 2 shown]
	ds_read_b128 v[22:25], v13 offset:1072
	s_waitcnt lgkmcnt(0)
	v_mul_f32_e32 v28, v23, v17
	v_fma_f32 v28, v22, v16, -v28
	v_mul_f32_e32 v17, v22, v17
	v_fmac_f32_e32 v17, v23, v16
	v_add_f32_e32 v16, v26, v28
	v_mul_f32_e32 v26, v23, v19
	v_fma_f32 v26, v22, v18, -v26
	v_add_f32_e32 v17, v27, v17
	v_add_f32_e32 v32, v20, v26
	ds_read2_b64 v[26:29], v12 offset0:224 offset1:240
	v_mul_f32_e32 v19, v22, v19
	v_fmac_f32_e32 v19, v23, v18
	v_add_f32_e32 v33, v21, v19
	s_waitcnt lgkmcnt(0)
	v_mul_f32_e32 v18, v5, v27
	v_fma_f32 v18, v4, v26, -v18
	v_add_f32_e32 v22, v30, v18
	v_mul_f32_e32 v18, v5, v29
	v_mul_f32_e32 v19, v4, v27
	v_fma_f32 v18, v4, v28, -v18
	v_mul_f32_e32 v4, v4, v29
	v_fmac_f32_e32 v4, v5, v28
	v_add_f32_e32 v21, v3, v18
	v_add_f32_e32 v20, v2, v4
	v_mul_f32_e32 v2, v25, v27
	v_mul_f32_e32 v3, v24, v27
	v_fmac_f32_e32 v19, v5, v26
	v_fma_f32 v2, v24, v26, -v2
	v_fmac_f32_e32 v3, v25, v26
	v_add_f32_e32 v23, v31, v19
	v_add_f32_e32 v19, v16, v2
	;; [unrolled: 1-line block ×3, first 2 shown]
	v_mul_f32_e32 v2, v25, v29
	v_mul_f32_e32 v3, v24, v29
	v_fma_f32 v2, v24, v28, -v2
	v_fmac_f32_e32 v3, v25, v28
	v_add_f32_e32 v17, v32, v2
	v_add_f32_e32 v16, v33, v3
	v_mov_b32_e32 v2, s6
	v_mov_b32_e32 v3, s7
	v_cmp_le_u64_e32 vcc, s[12:13], v[2:3]
	s_barrier
	s_cbranch_vccz .LBB1236_2
	s_branch .LBB1236_4
.LBB1236_3:
	v_mov_b32_e32 v22, 0
	v_mov_b32_e32 v23, 0
	;; [unrolled: 1-line block ×8, first 2 shown]
.LBB1236_4:
	s_load_dwordx4 s[12:15], s[4:5], 0x48
	s_load_dword s11, s[4:5], 0x0
	v_add_u32_e32 v5, s10, v1
	v_ashrrev_i32_e32 v1, 31, v5
	v_add_u32_e32 v0, s9, v0
	s_waitcnt lgkmcnt(0)
	s_mul_i32 s1, s15, s8
	s_mul_hi_u32 s2, s14, s8
	s_add_i32 s1, s2, s1
	v_mul_lo_u32 v3, s12, v1
	v_mul_lo_u32 v4, s13, v5
	v_mad_u64_u32 v[1:2], s[2:3], s12, v5, 0
	s_mul_i32 s0, s14, s8
	s_lshl_b64 s[0:1], s[0:1], 3
	v_add3_u32 v2, v2, v3, v4
	s_add_u32 s6, s26, s0
	v_lshlrev_b64 v[1:2], 3, v[1:2]
	s_addc_u32 s7, s27, s1
	v_mov_b32_e32 v3, s7
	v_add_co_u32_e32 v4, vcc, s6, v1
	v_addc_co_u32_e32 v6, vcc, v3, v2, vcc
	v_cmp_le_i32_e64 s[0:1], v5, v0
	v_cmp_gt_i32_e32 vcc, s11, v0
	s_and_b64 s[0:1], s[0:1], vcc
	s_and_saveexec_b64 s[2:3], s[0:1]
	s_cbranch_execz .LBB1236_7
; %bb.5:
	v_ashrrev_i32_e32 v1, 31, v0
	v_lshlrev_b64 v[1:2], 3, v[0:1]
	v_add_co_u32_e64 v1, s[0:1], v4, v1
	v_addc_co_u32_e64 v2, s[0:1], v6, v2, s[0:1]
	global_load_dwordx2 v[7:8], v[1:2], off
	v_cmp_eq_u32_e64 s[0:1], v5, v0
	s_waitcnt vmcnt(0)
	v_add_f32_e32 v7, v22, v7
	v_add_f32_e32 v8, v23, v8
	global_store_dwordx2 v[1:2], v[7:8], off
	s_and_b64 exec, exec, s[0:1]
	s_cbranch_execz .LBB1236_7
; %bb.6:
	v_mov_b32_e32 v3, 0
	global_store_dword v[1:2], v3, off offset:4
.LBB1236_7:
	s_or_b64 exec, exec, s[2:3]
	v_add_u32_e32 v2, 16, v0
	v_cmp_le_i32_e64 s[2:3], v5, v2
	v_cmp_gt_i32_e64 s[0:1], s11, v2
	s_and_b64 s[2:3], s[2:3], s[0:1]
	s_and_saveexec_b64 s[4:5], s[2:3]
	s_cbranch_execz .LBB1236_10
; %bb.8:
	v_ashrrev_i32_e32 v3, 31, v2
	v_lshlrev_b64 v[7:8], 3, v[2:3]
	v_add_co_u32_e64 v3, s[2:3], v4, v7
	v_addc_co_u32_e64 v4, s[2:3], v6, v8, s[2:3]
	global_load_dwordx2 v[6:7], v[3:4], off
	v_cmp_eq_u32_e64 s[2:3], v5, v2
	s_waitcnt vmcnt(0)
	v_add_f32_e32 v6, v21, v6
	v_add_f32_e32 v7, v20, v7
	global_store_dwordx2 v[3:4], v[6:7], off
	s_and_b64 exec, exec, s[2:3]
	s_cbranch_execz .LBB1236_10
; %bb.9:
	v_mov_b32_e32 v1, 0
	global_store_dword v[3:4], v1, off offset:4
.LBB1236_10:
	s_or_b64 exec, exec, s[4:5]
	v_add_u32_e32 v6, 16, v5
	v_ashrrev_i32_e32 v1, 31, v6
	v_mul_lo_u32 v7, s13, v6
	v_mad_u64_u32 v[3:4], s[2:3], s12, v6, 0
	v_mul_lo_u32 v1, s12, v1
	v_add3_u32 v4, v4, v1, v7
	v_lshlrev_b64 v[3:4], 3, v[3:4]
	v_mov_b32_e32 v1, s7
	v_add_co_u32_e64 v7, s[2:3], s6, v3
	v_addc_co_u32_e64 v8, s[2:3], v1, v4, s[2:3]
	v_cmp_le_i32_e64 s[2:3], v6, v0
	s_and_b64 s[4:5], s[2:3], vcc
	s_and_saveexec_b64 s[2:3], s[4:5]
	s_cbranch_execz .LBB1236_13
; %bb.11:
	v_ashrrev_i32_e32 v1, 31, v0
	v_lshlrev_b64 v[3:4], 3, v[0:1]
	v_add_co_u32_e32 v3, vcc, v7, v3
	v_addc_co_u32_e32 v4, vcc, v8, v4, vcc
	global_load_dwordx2 v[9:10], v[3:4], off
	v_cmp_eq_u32_e32 vcc, v6, v0
	s_waitcnt vmcnt(0)
	v_add_f32_e32 v9, v19, v9
	v_add_f32_e32 v10, v18, v10
	global_store_dwordx2 v[3:4], v[9:10], off
	s_and_b64 exec, exec, vcc
	s_cbranch_execz .LBB1236_13
; %bb.12:
	v_mov_b32_e32 v1, 0
	global_store_dword v[3:4], v1, off offset:4
.LBB1236_13:
	s_or_b64 exec, exec, s[2:3]
	v_cmp_le_i32_e32 vcc, v6, v2
	s_and_b64 s[0:1], vcc, s[0:1]
	s_and_saveexec_b64 s[2:3], s[0:1]
	s_cbranch_execz .LBB1236_16
; %bb.14:
	v_ashrrev_i32_e32 v3, 31, v2
	v_lshlrev_b64 v[1:2], 3, v[2:3]
	v_add_co_u32_e32 v1, vcc, v7, v1
	v_addc_co_u32_e32 v2, vcc, v8, v2, vcc
	global_load_dwordx2 v[3:4], v[1:2], off
	v_cmp_eq_u32_e32 vcc, v5, v0
	s_waitcnt vmcnt(0)
	v_add_f32_e32 v3, v17, v3
	v_add_f32_e32 v4, v16, v4
	global_store_dwordx2 v[1:2], v[3:4], off
	s_and_b64 exec, exec, vcc
	s_cbranch_execz .LBB1236_16
; %bb.15:
	v_mov_b32_e32 v0, 0
	global_store_dword v[1:2], v0, off offset:4
.LBB1236_16:
	s_endpgm
	.section	.rodata,"a",@progbits
	.p2align	6, 0x0
	.amdhsa_kernel _ZL37rocblas_syrkx_herkx_restricted_kernelIl19rocblas_complex_numIfELi16ELi32ELi8ELi1ELi1ELb1ELc78ELc76EKS1_S1_EviT_PT9_S3_lS5_S3_lPT10_S3_li
		.amdhsa_group_segment_fixed_size 4096
		.amdhsa_private_segment_fixed_size 0
		.amdhsa_kernarg_size 92
		.amdhsa_user_sgpr_count 6
		.amdhsa_user_sgpr_private_segment_buffer 1
		.amdhsa_user_sgpr_dispatch_ptr 0
		.amdhsa_user_sgpr_queue_ptr 0
		.amdhsa_user_sgpr_kernarg_segment_ptr 1
		.amdhsa_user_sgpr_dispatch_id 0
		.amdhsa_user_sgpr_flat_scratch_init 0
		.amdhsa_user_sgpr_private_segment_size 0
		.amdhsa_uses_dynamic_stack 0
		.amdhsa_system_sgpr_private_segment_wavefront_offset 0
		.amdhsa_system_sgpr_workgroup_id_x 1
		.amdhsa_system_sgpr_workgroup_id_y 1
		.amdhsa_system_sgpr_workgroup_id_z 1
		.amdhsa_system_sgpr_workgroup_info 0
		.amdhsa_system_vgpr_workitem_id 1
		.amdhsa_next_free_vgpr 43
		.amdhsa_next_free_sgpr 28
		.amdhsa_reserve_vcc 1
		.amdhsa_reserve_flat_scratch 0
		.amdhsa_float_round_mode_32 0
		.amdhsa_float_round_mode_16_64 0
		.amdhsa_float_denorm_mode_32 3
		.amdhsa_float_denorm_mode_16_64 3
		.amdhsa_dx10_clamp 1
		.amdhsa_ieee_mode 1
		.amdhsa_fp16_overflow 0
		.amdhsa_exception_fp_ieee_invalid_op 0
		.amdhsa_exception_fp_denorm_src 0
		.amdhsa_exception_fp_ieee_div_zero 0
		.amdhsa_exception_fp_ieee_overflow 0
		.amdhsa_exception_fp_ieee_underflow 0
		.amdhsa_exception_fp_ieee_inexact 0
		.amdhsa_exception_int_div_zero 0
	.end_amdhsa_kernel
	.section	.text._ZL37rocblas_syrkx_herkx_restricted_kernelIl19rocblas_complex_numIfELi16ELi32ELi8ELi1ELi1ELb1ELc78ELc76EKS1_S1_EviT_PT9_S3_lS5_S3_lPT10_S3_li,"axG",@progbits,_ZL37rocblas_syrkx_herkx_restricted_kernelIl19rocblas_complex_numIfELi16ELi32ELi8ELi1ELi1ELb1ELc78ELc76EKS1_S1_EviT_PT9_S3_lS5_S3_lPT10_S3_li,comdat
.Lfunc_end1236:
	.size	_ZL37rocblas_syrkx_herkx_restricted_kernelIl19rocblas_complex_numIfELi16ELi32ELi8ELi1ELi1ELb1ELc78ELc76EKS1_S1_EviT_PT9_S3_lS5_S3_lPT10_S3_li, .Lfunc_end1236-_ZL37rocblas_syrkx_herkx_restricted_kernelIl19rocblas_complex_numIfELi16ELi32ELi8ELi1ELi1ELb1ELc78ELc76EKS1_S1_EviT_PT9_S3_lS5_S3_lPT10_S3_li
                                        ; -- End function
	.set _ZL37rocblas_syrkx_herkx_restricted_kernelIl19rocblas_complex_numIfELi16ELi32ELi8ELi1ELi1ELb1ELc78ELc76EKS1_S1_EviT_PT9_S3_lS5_S3_lPT10_S3_li.num_vgpr, 43
	.set _ZL37rocblas_syrkx_herkx_restricted_kernelIl19rocblas_complex_numIfELi16ELi32ELi8ELi1ELi1ELb1ELc78ELc76EKS1_S1_EviT_PT9_S3_lS5_S3_lPT10_S3_li.num_agpr, 0
	.set _ZL37rocblas_syrkx_herkx_restricted_kernelIl19rocblas_complex_numIfELi16ELi32ELi8ELi1ELi1ELb1ELc78ELc76EKS1_S1_EviT_PT9_S3_lS5_S3_lPT10_S3_li.numbered_sgpr, 28
	.set _ZL37rocblas_syrkx_herkx_restricted_kernelIl19rocblas_complex_numIfELi16ELi32ELi8ELi1ELi1ELb1ELc78ELc76EKS1_S1_EviT_PT9_S3_lS5_S3_lPT10_S3_li.num_named_barrier, 0
	.set _ZL37rocblas_syrkx_herkx_restricted_kernelIl19rocblas_complex_numIfELi16ELi32ELi8ELi1ELi1ELb1ELc78ELc76EKS1_S1_EviT_PT9_S3_lS5_S3_lPT10_S3_li.private_seg_size, 0
	.set _ZL37rocblas_syrkx_herkx_restricted_kernelIl19rocblas_complex_numIfELi16ELi32ELi8ELi1ELi1ELb1ELc78ELc76EKS1_S1_EviT_PT9_S3_lS5_S3_lPT10_S3_li.uses_vcc, 1
	.set _ZL37rocblas_syrkx_herkx_restricted_kernelIl19rocblas_complex_numIfELi16ELi32ELi8ELi1ELi1ELb1ELc78ELc76EKS1_S1_EviT_PT9_S3_lS5_S3_lPT10_S3_li.uses_flat_scratch, 0
	.set _ZL37rocblas_syrkx_herkx_restricted_kernelIl19rocblas_complex_numIfELi16ELi32ELi8ELi1ELi1ELb1ELc78ELc76EKS1_S1_EviT_PT9_S3_lS5_S3_lPT10_S3_li.has_dyn_sized_stack, 0
	.set _ZL37rocblas_syrkx_herkx_restricted_kernelIl19rocblas_complex_numIfELi16ELi32ELi8ELi1ELi1ELb1ELc78ELc76EKS1_S1_EviT_PT9_S3_lS5_S3_lPT10_S3_li.has_recursion, 0
	.set _ZL37rocblas_syrkx_herkx_restricted_kernelIl19rocblas_complex_numIfELi16ELi32ELi8ELi1ELi1ELb1ELc78ELc76EKS1_S1_EviT_PT9_S3_lS5_S3_lPT10_S3_li.has_indirect_call, 0
	.section	.AMDGPU.csdata,"",@progbits
; Kernel info:
; codeLenInByte = 2132
; TotalNumSgprs: 32
; NumVgprs: 43
; ScratchSize: 0
; MemoryBound: 0
; FloatMode: 240
; IeeeMode: 1
; LDSByteSize: 4096 bytes/workgroup (compile time only)
; SGPRBlocks: 3
; VGPRBlocks: 10
; NumSGPRsForWavesPerEU: 32
; NumVGPRsForWavesPerEU: 43
; Occupancy: 5
; WaveLimiterHint : 1
; COMPUTE_PGM_RSRC2:SCRATCH_EN: 0
; COMPUTE_PGM_RSRC2:USER_SGPR: 6
; COMPUTE_PGM_RSRC2:TRAP_HANDLER: 0
; COMPUTE_PGM_RSRC2:TGID_X_EN: 1
; COMPUTE_PGM_RSRC2:TGID_Y_EN: 1
; COMPUTE_PGM_RSRC2:TGID_Z_EN: 1
; COMPUTE_PGM_RSRC2:TIDIG_COMP_CNT: 1
	.section	.text._ZL37rocblas_syrkx_herkx_restricted_kernelIl19rocblas_complex_numIfELi16ELi32ELi8ELi1ELi1ELb1ELc84ELc85EKS1_S1_EviT_PT9_S3_lS5_S3_lPT10_S3_li,"axG",@progbits,_ZL37rocblas_syrkx_herkx_restricted_kernelIl19rocblas_complex_numIfELi16ELi32ELi8ELi1ELi1ELb1ELc84ELc85EKS1_S1_EviT_PT9_S3_lS5_S3_lPT10_S3_li,comdat
	.globl	_ZL37rocblas_syrkx_herkx_restricted_kernelIl19rocblas_complex_numIfELi16ELi32ELi8ELi1ELi1ELb1ELc84ELc85EKS1_S1_EviT_PT9_S3_lS5_S3_lPT10_S3_li ; -- Begin function _ZL37rocblas_syrkx_herkx_restricted_kernelIl19rocblas_complex_numIfELi16ELi32ELi8ELi1ELi1ELb1ELc84ELc85EKS1_S1_EviT_PT9_S3_lS5_S3_lPT10_S3_li
	.p2align	8
	.type	_ZL37rocblas_syrkx_herkx_restricted_kernelIl19rocblas_complex_numIfELi16ELi32ELi8ELi1ELi1ELb1ELc84ELc85EKS1_S1_EviT_PT9_S3_lS5_S3_lPT10_S3_li,@function
_ZL37rocblas_syrkx_herkx_restricted_kernelIl19rocblas_complex_numIfELi16ELi32ELi8ELi1ELi1ELb1ELc84ELc85EKS1_S1_EviT_PT9_S3_lS5_S3_lPT10_S3_li: ; @_ZL37rocblas_syrkx_herkx_restricted_kernelIl19rocblas_complex_numIfELi16ELi32ELi8ELi1ELi1ELb1ELc84ELc85EKS1_S1_EviT_PT9_S3_lS5_S3_lPT10_S3_li
; %bb.0:
	s_load_dwordx16 s[12:27], s[4:5], 0x8
	s_lshl_b32 s2, s6, 5
	s_lshl_b32 s3, s7, 5
	s_waitcnt lgkmcnt(0)
	v_cmp_lt_i64_e64 s[0:1], s[12:13], 1
	s_and_b64 vcc, exec, s[0:1]
	s_cbranch_vccnz .LBB1237_3
; %bb.1:
	v_lshl_add_u32 v4, v1, 4, v0
	v_lshrrev_b32_e32 v6, 3, v4
	v_add_u32_e32 v2, s3, v6
	v_ashrrev_i32_e32 v3, 31, v2
	v_and_b32_e32 v9, 7, v0
	v_mov_b32_e32 v10, 0
	v_mul_lo_u32 v5, s22, v3
	v_mul_lo_u32 v7, s23, v2
	v_mad_u64_u32 v[2:3], s[0:1], s22, v2, v[9:10]
	s_mul_i32 s6, s19, s8
	s_mul_hi_u32 s7, s18, s8
	v_add3_u32 v3, v7, v3, v5
	v_and_b32_e32 v7, 31, v4
	v_lshrrev_b32_e32 v4, 5, v4
	v_lshlrev_b32_e32 v8, 3, v7
	v_lshl_or_b32 v11, v4, 8, v8
	v_lshlrev_b32_e32 v8, 3, v9
	v_lshl_or_b32 v6, v6, 6, v8
	v_add_u32_e32 v12, 0x800, v6
	v_mov_b32_e32 v6, 0x800
	v_lshl_add_u32 v14, v1, 6, v6
	v_add_u32_e32 v6, s2, v7
	v_mov_b32_e32 v5, v10
	v_ashrrev_i32_e32 v7, 31, v6
	v_mul_lo_u32 v7, s16, v7
	v_mad_u64_u32 v[4:5], s[0:1], s16, v6, v[4:5]
	v_mul_lo_u32 v6, s17, v6
	s_add_i32 s1, s7, s6
	s_mul_i32 s0, s18, s8
	s_lshl_b64 s[0:1], s[0:1], 3
	v_add3_u32 v5, v6, v5, v7
	v_lshlrev_b64 v[4:5], 3, v[4:5]
	s_add_u32 s0, s14, s0
	s_addc_u32 s1, s15, s1
	v_mov_b32_e32 v6, s1
	v_add_co_u32_e32 v4, vcc, s0, v4
	s_mul_i32 s0, s25, s8
	s_mul_hi_u32 s1, s24, s8
	s_add_i32 s1, s1, s0
	s_mul_i32 s0, s24, s8
	v_addc_co_u32_e32 v5, vcc, v6, v5, vcc
	s_lshl_b64 s[0:1], s[0:1], 3
	v_add_co_u32_e32 v6, vcc, 4, v4
	v_lshlrev_b64 v[2:3], 3, v[2:3]
	s_add_u32 s0, s20, s0
	v_addc_co_u32_e32 v7, vcc, 0, v5, vcc
	s_addc_u32 s1, s21, s1
	v_mov_b32_e32 v4, s1
	v_add_co_u32_e32 v2, vcc, s0, v2
	v_addc_co_u32_e32 v3, vcc, v4, v3, vcc
	v_add_co_u32_e32 v8, vcc, 4, v2
	v_lshlrev_b32_e32 v13, 3, v0
	v_addc_co_u32_e32 v9, vcc, 0, v3, vcc
	s_mov_b64 s[0:1], 0
	v_mov_b32_e32 v15, v10
	v_mov_b32_e32 v16, v10
	;; [unrolled: 1-line block ×7, first 2 shown]
.LBB1237_2:                             ; =>This Inner Loop Header: Depth=1
	global_load_dwordx2 v[2:3], v[6:7], off offset:-4
	s_add_u32 s0, s0, 8
	v_add_co_u32_e32 v6, vcc, 64, v6
	s_addc_u32 s1, s1, 0
	v_addc_co_u32_e32 v7, vcc, 0, v7, vcc
	s_waitcnt vmcnt(0)
	ds_write_b64 v11, v[2:3]
	global_load_dwordx2 v[2:3], v[8:9], off offset:-4
	v_add_co_u32_e32 v8, vcc, 64, v8
	v_addc_co_u32_e32 v9, vcc, 0, v9, vcc
	s_waitcnt vmcnt(0)
	ds_write_b64 v12, v[2:3]
	s_waitcnt lgkmcnt(0)
	s_barrier
	ds_read_b128 v[22:25], v14
	ds_read_b128 v[26:29], v14 offset:16
	ds_read_b128 v[30:33], v14 offset:32
	ds_read_b128 v[2:5], v14 offset:48
	ds_read2_b64 v[34:37], v13 offset1:16
	s_waitcnt lgkmcnt(0)
	v_mul_f32_e32 v38, v23, v35
	v_mul_f32_e32 v39, v22, v35
	v_fma_f32 v38, v22, v34, -v38
	v_fmac_f32_e32 v39, v23, v34
	v_add_f32_e32 v38, v20, v38
	v_add_f32_e32 v39, v21, v39
	v_mul_f32_e32 v20, v23, v37
	v_mul_f32_e32 v21, v22, v37
	v_fma_f32 v20, v22, v36, -v20
	v_fmac_f32_e32 v21, v23, v36
	v_add_f32_e32 v22, v19, v20
	v_add_f32_e32 v23, v18, v21
	ds_read_b128 v[18:21], v14 offset:1024
	s_waitcnt lgkmcnt(0)
	v_mul_f32_e32 v40, v19, v35
	v_mul_f32_e32 v35, v18, v35
	v_fma_f32 v40, v18, v34, -v40
	v_fmac_f32_e32 v35, v19, v34
	v_add_f32_e32 v34, v17, v40
	v_add_f32_e32 v35, v16, v35
	v_mul_f32_e32 v16, v19, v37
	v_mul_f32_e32 v17, v18, v37
	v_fma_f32 v16, v18, v36, -v16
	v_fmac_f32_e32 v17, v19, v36
	v_add_f32_e32 v19, v15, v16
	v_add_f32_e32 v10, v10, v17
	ds_read2_b64 v[15:18], v13 offset0:32 offset1:48
	s_waitcnt lgkmcnt(0)
	v_mul_f32_e32 v36, v25, v16
	v_fma_f32 v36, v24, v15, -v36
	v_add_f32_e32 v36, v38, v36
	v_mul_f32_e32 v38, v25, v18
	v_mul_f32_e32 v37, v24, v16
	v_fma_f32 v38, v24, v17, -v38
	v_mul_f32_e32 v24, v24, v18
	v_fmac_f32_e32 v24, v25, v17
	v_add_f32_e32 v23, v23, v24
	v_mul_f32_e32 v24, v21, v16
	v_mul_f32_e32 v16, v20, v16
	v_fmac_f32_e32 v16, v21, v15
	v_fmac_f32_e32 v37, v25, v15
	v_fma_f32 v24, v20, v15, -v24
	v_add_f32_e32 v25, v35, v16
	v_mul_f32_e32 v15, v21, v18
	v_mul_f32_e32 v16, v20, v18
	v_fma_f32 v15, v20, v17, -v15
	v_fmac_f32_e32 v16, v21, v17
	v_add_f32_e32 v24, v34, v24
	v_add_f32_e32 v34, v19, v15
	;; [unrolled: 1-line block ×3, first 2 shown]
	ds_read2_b64 v[15:18], v13 offset0:64 offset1:80
	v_add_f32_e32 v37, v39, v37
	v_add_f32_e32 v22, v22, v38
	s_waitcnt lgkmcnt(0)
	v_mul_f32_e32 v19, v27, v16
	v_mul_f32_e32 v20, v26, v16
	v_fma_f32 v19, v26, v15, -v19
	v_fmac_f32_e32 v20, v27, v15
	v_add_f32_e32 v35, v36, v19
	v_add_f32_e32 v36, v37, v20
	v_mul_f32_e32 v19, v27, v18
	v_mul_f32_e32 v20, v26, v18
	v_fma_f32 v19, v26, v17, -v19
	v_fmac_f32_e32 v20, v27, v17
	v_add_f32_e32 v26, v22, v19
	v_add_f32_e32 v23, v23, v20
	ds_read_b128 v[19:22], v14 offset:1040
	s_waitcnt lgkmcnt(0)
	v_mul_f32_e32 v27, v20, v16
	v_mul_f32_e32 v16, v19, v16
	v_fmac_f32_e32 v16, v20, v15
	v_fma_f32 v27, v19, v15, -v27
	v_add_f32_e32 v25, v25, v16
	v_mul_f32_e32 v15, v20, v18
	v_mul_f32_e32 v16, v19, v18
	v_fma_f32 v15, v19, v17, -v15
	v_fmac_f32_e32 v16, v20, v17
	v_add_f32_e32 v19, v34, v15
	v_add_f32_e32 v10, v10, v16
	ds_read2_b64 v[15:18], v13 offset0:96 offset1:112
	v_add_f32_e32 v24, v24, v27
	s_waitcnt lgkmcnt(0)
	v_mul_f32_e32 v20, v29, v16
	v_mul_f32_e32 v34, v29, v18
	v_fma_f32 v20, v28, v15, -v20
	v_mul_f32_e32 v27, v28, v16
	v_fma_f32 v34, v28, v17, -v34
	v_mul_f32_e32 v28, v28, v18
	v_fmac_f32_e32 v28, v29, v17
	v_add_f32_e32 v23, v23, v28
	v_mul_f32_e32 v28, v22, v16
	v_mul_f32_e32 v16, v21, v16
	v_fmac_f32_e32 v16, v22, v15
	v_fmac_f32_e32 v27, v29, v15
	v_fma_f32 v28, v21, v15, -v28
	v_add_f32_e32 v25, v25, v16
	v_mul_f32_e32 v15, v22, v18
	v_mul_f32_e32 v16, v21, v18
	v_fma_f32 v15, v21, v17, -v15
	v_fmac_f32_e32 v16, v22, v17
	v_add_f32_e32 v24, v24, v28
	v_add_f32_e32 v28, v19, v15
	;; [unrolled: 1-line block ×3, first 2 shown]
	ds_read2_b64 v[15:18], v13 offset0:128 offset1:144
	v_add_f32_e32 v20, v35, v20
	v_add_f32_e32 v27, v36, v27
	;; [unrolled: 1-line block ×3, first 2 shown]
	s_waitcnt lgkmcnt(0)
	v_mul_f32_e32 v19, v31, v16
	v_fma_f32 v19, v30, v15, -v19
	v_mul_f32_e32 v21, v30, v16
	v_add_f32_e32 v29, v20, v19
	v_mul_f32_e32 v19, v31, v18
	v_mul_f32_e32 v20, v30, v18
	v_fmac_f32_e32 v21, v31, v15
	v_fma_f32 v19, v30, v17, -v19
	v_fmac_f32_e32 v20, v31, v17
	v_add_f32_e32 v27, v27, v21
	v_add_f32_e32 v26, v26, v19
	;; [unrolled: 1-line block ×3, first 2 shown]
	ds_read_b128 v[19:22], v14 offset:1056
	s_waitcnt lgkmcnt(0)
	v_mul_f32_e32 v30, v20, v16
	v_mul_f32_e32 v16, v19, v16
	v_fmac_f32_e32 v16, v20, v15
	v_fma_f32 v30, v19, v15, -v30
	v_add_f32_e32 v25, v25, v16
	v_mul_f32_e32 v15, v20, v18
	v_mul_f32_e32 v16, v19, v18
	v_fma_f32 v15, v19, v17, -v15
	v_fmac_f32_e32 v16, v20, v17
	v_add_f32_e32 v19, v28, v15
	v_add_f32_e32 v10, v10, v16
	ds_read2_b64 v[15:18], v13 offset0:160 offset1:176
	v_add_f32_e32 v24, v24, v30
	s_waitcnt lgkmcnt(0)
	v_mul_f32_e32 v28, v32, v16
	v_fmac_f32_e32 v28, v33, v15
	v_add_f32_e32 v27, v27, v28
	v_mul_f32_e32 v28, v33, v18
	v_fma_f32 v28, v32, v17, -v28
	v_mul_f32_e32 v20, v33, v16
	v_add_f32_e32 v26, v26, v28
	v_mul_f32_e32 v28, v22, v16
	v_mul_f32_e32 v16, v21, v16
	v_fmac_f32_e32 v16, v22, v15
	v_fma_f32 v20, v32, v15, -v20
	v_fma_f32 v28, v21, v15, -v28
	v_add_f32_e32 v25, v25, v16
	v_mul_f32_e32 v15, v22, v18
	v_mul_f32_e32 v16, v21, v18
	v_add_f32_e32 v20, v29, v20
	v_mul_f32_e32 v29, v32, v18
	v_fma_f32 v15, v21, v17, -v15
	v_fmac_f32_e32 v16, v22, v17
	v_fmac_f32_e32 v29, v33, v17
	v_add_f32_e32 v19, v19, v15
	v_add_f32_e32 v10, v10, v16
	ds_read2_b64 v[15:18], v13 offset0:192 offset1:208
	v_add_f32_e32 v24, v24, v28
	v_add_f32_e32 v23, v23, v29
	s_waitcnt lgkmcnt(0)
	v_mul_f32_e32 v21, v3, v16
	v_fma_f32 v21, v2, v15, -v21
	v_add_f32_e32 v28, v20, v21
	v_mul_f32_e32 v20, v3, v18
	v_mul_f32_e32 v22, v2, v16
	v_fma_f32 v20, v2, v17, -v20
	v_mul_f32_e32 v2, v2, v18
	v_fmac_f32_e32 v22, v3, v15
	v_fmac_f32_e32 v2, v3, v17
	v_add_f32_e32 v29, v27, v22
	v_add_f32_e32 v3, v26, v20
	;; [unrolled: 1-line block ×3, first 2 shown]
	ds_read_b128 v[20:23], v14 offset:1072
	s_waitcnt lgkmcnt(0)
	v_mul_f32_e32 v26, v21, v16
	v_fma_f32 v26, v20, v15, -v26
	v_mul_f32_e32 v16, v20, v16
	v_fmac_f32_e32 v16, v21, v15
	v_add_f32_e32 v15, v24, v26
	v_mul_f32_e32 v24, v21, v18
	v_fma_f32 v24, v20, v17, -v24
	v_add_f32_e32 v16, v25, v16
	v_add_f32_e32 v30, v19, v24
	ds_read2_b64 v[24:27], v13 offset0:224 offset1:240
	v_mul_f32_e32 v18, v20, v18
	v_fmac_f32_e32 v18, v21, v17
	v_add_f32_e32 v10, v10, v18
	s_waitcnt lgkmcnt(0)
	v_mul_f32_e32 v17, v5, v25
	v_fma_f32 v17, v4, v24, -v17
	v_add_f32_e32 v20, v28, v17
	v_mul_f32_e32 v17, v5, v27
	v_mul_f32_e32 v18, v4, v25
	v_fma_f32 v17, v4, v26, -v17
	v_mul_f32_e32 v4, v4, v27
	v_fmac_f32_e32 v18, v5, v24
	v_fmac_f32_e32 v4, v5, v26
	v_add_f32_e32 v21, v29, v18
	v_add_f32_e32 v19, v3, v17
	;; [unrolled: 1-line block ×3, first 2 shown]
	v_mul_f32_e32 v2, v23, v25
	v_mul_f32_e32 v3, v22, v25
	v_fma_f32 v2, v22, v24, -v2
	v_fmac_f32_e32 v3, v23, v24
	v_add_f32_e32 v17, v15, v2
	v_add_f32_e32 v16, v16, v3
	v_mul_f32_e32 v2, v23, v27
	v_mul_f32_e32 v3, v22, v27
	v_fma_f32 v2, v22, v26, -v2
	v_fmac_f32_e32 v3, v23, v26
	v_add_f32_e32 v15, v30, v2
	v_add_f32_e32 v10, v10, v3
	v_mov_b32_e32 v3, s1
	v_mov_b32_e32 v2, s0
	v_cmp_le_u64_e32 vcc, s[12:13], v[2:3]
	s_barrier
	s_cbranch_vccz .LBB1237_2
	s_branch .LBB1237_4
.LBB1237_3:
	v_mov_b32_e32 v20, 0
	v_mov_b32_e32 v21, 0
	;; [unrolled: 1-line block ×8, first 2 shown]
.LBB1237_4:
	s_load_dwordx4 s[12:15], s[4:5], 0x48
	s_load_dword s6, s[4:5], 0x0
	v_add_u32_e32 v5, s3, v1
	v_ashrrev_i32_e32 v1, 31, v5
	v_add_u32_e32 v0, s2, v0
	s_waitcnt lgkmcnt(0)
	s_mul_i32 s1, s15, s8
	s_mul_hi_u32 s3, s14, s8
	s_mul_i32 s0, s14, s8
	v_mul_lo_u32 v3, s12, v1
	v_mul_lo_u32 v4, s13, v5
	v_mad_u64_u32 v[1:2], s[8:9], s12, v5, 0
	s_add_i32 s1, s3, s1
	s_lshl_b64 s[0:1], s[0:1], 3
	v_add3_u32 v2, v2, v3, v4
	s_add_u32 s4, s26, s0
	v_lshlrev_b64 v[1:2], 3, v[1:2]
	s_addc_u32 s5, s27, s1
	v_mov_b32_e32 v3, s5
	v_add_co_u32_e64 v4, s[0:1], s4, v1
	v_addc_co_u32_e64 v6, s[0:1], v3, v2, s[0:1]
	v_cmp_gt_i32_e32 vcc, s6, v5
	v_cmp_le_i32_e64 s[0:1], v0, v5
	s_and_b64 s[0:1], vcc, s[0:1]
	s_and_saveexec_b64 s[2:3], s[0:1]
	s_cbranch_execz .LBB1237_7
; %bb.5:
	v_ashrrev_i32_e32 v1, 31, v0
	v_lshlrev_b64 v[1:2], 3, v[0:1]
	v_add_co_u32_e64 v1, s[0:1], v4, v1
	v_addc_co_u32_e64 v2, s[0:1], v6, v2, s[0:1]
	global_load_dwordx2 v[7:8], v[1:2], off
	v_cmp_eq_u32_e64 s[0:1], v5, v0
	s_waitcnt vmcnt(0)
	v_add_f32_e32 v7, v20, v7
	v_add_f32_e32 v8, v21, v8
	global_store_dwordx2 v[1:2], v[7:8], off
	s_and_b64 exec, exec, s[0:1]
	s_cbranch_execz .LBB1237_7
; %bb.6:
	v_mov_b32_e32 v3, 0
	global_store_dword v[1:2], v3, off offset:4
.LBB1237_7:
	s_or_b64 exec, exec, s[2:3]
	v_add_u32_e32 v2, 16, v0
	v_cmp_le_i32_e64 s[0:1], v2, v5
	s_and_b64 s[2:3], vcc, s[0:1]
	s_and_saveexec_b64 s[0:1], s[2:3]
	s_cbranch_execz .LBB1237_10
; %bb.8:
	v_ashrrev_i32_e32 v3, 31, v2
	v_lshlrev_b64 v[7:8], 3, v[2:3]
	v_add_co_u32_e32 v3, vcc, v4, v7
	v_addc_co_u32_e32 v4, vcc, v6, v8, vcc
	global_load_dwordx2 v[6:7], v[3:4], off
	v_cmp_eq_u32_e32 vcc, v5, v2
	s_waitcnt vmcnt(0)
	v_add_f32_e32 v6, v19, v6
	v_add_f32_e32 v7, v18, v7
	global_store_dwordx2 v[3:4], v[6:7], off
	s_and_b64 exec, exec, vcc
	s_cbranch_execz .LBB1237_10
; %bb.9:
	v_mov_b32_e32 v1, 0
	global_store_dword v[3:4], v1, off offset:4
.LBB1237_10:
	s_or_b64 exec, exec, s[0:1]
	v_add_u32_e32 v6, 16, v5
	v_ashrrev_i32_e32 v1, 31, v6
	v_mul_lo_u32 v1, s12, v1
	v_mul_lo_u32 v7, s13, v6
	v_mad_u64_u32 v[3:4], s[0:1], s12, v6, 0
	v_cmp_gt_i32_e32 vcc, s6, v6
	v_add3_u32 v4, v4, v1, v7
	v_lshlrev_b64 v[3:4], 3, v[3:4]
	v_mov_b32_e32 v1, s5
	v_add_co_u32_e64 v7, s[0:1], s4, v3
	v_addc_co_u32_e64 v8, s[0:1], v1, v4, s[0:1]
	v_cmp_le_i32_e64 s[0:1], v0, v6
	s_and_b64 s[0:1], vcc, s[0:1]
	s_and_saveexec_b64 s[2:3], s[0:1]
	s_cbranch_execz .LBB1237_13
; %bb.11:
	v_ashrrev_i32_e32 v1, 31, v0
	v_lshlrev_b64 v[3:4], 3, v[0:1]
	v_add_co_u32_e64 v3, s[0:1], v7, v3
	v_addc_co_u32_e64 v4, s[0:1], v8, v4, s[0:1]
	global_load_dwordx2 v[11:12], v[3:4], off
	v_cmp_eq_u32_e64 s[0:1], v6, v0
	s_waitcnt vmcnt(0)
	v_add_f32_e32 v11, v17, v11
	v_add_f32_e32 v12, v16, v12
	global_store_dwordx2 v[3:4], v[11:12], off
	s_and_b64 exec, exec, s[0:1]
	s_cbranch_execz .LBB1237_13
; %bb.12:
	v_mov_b32_e32 v1, 0
	global_store_dword v[3:4], v1, off offset:4
.LBB1237_13:
	s_or_b64 exec, exec, s[2:3]
	v_cmp_le_i32_e64 s[0:1], v2, v6
	s_and_b64 s[0:1], vcc, s[0:1]
	s_and_saveexec_b64 s[2:3], s[0:1]
	s_cbranch_execz .LBB1237_16
; %bb.14:
	v_ashrrev_i32_e32 v3, 31, v2
	v_lshlrev_b64 v[1:2], 3, v[2:3]
	v_add_co_u32_e32 v1, vcc, v7, v1
	v_addc_co_u32_e32 v2, vcc, v8, v2, vcc
	global_load_dwordx2 v[3:4], v[1:2], off
	v_cmp_eq_u32_e32 vcc, v5, v0
	s_waitcnt vmcnt(0)
	v_add_f32_e32 v3, v15, v3
	v_add_f32_e32 v4, v10, v4
	global_store_dwordx2 v[1:2], v[3:4], off
	s_and_b64 exec, exec, vcc
	s_cbranch_execz .LBB1237_16
; %bb.15:
	v_mov_b32_e32 v0, 0
	global_store_dword v[1:2], v0, off offset:4
.LBB1237_16:
	s_endpgm
	.section	.rodata,"a",@progbits
	.p2align	6, 0x0
	.amdhsa_kernel _ZL37rocblas_syrkx_herkx_restricted_kernelIl19rocblas_complex_numIfELi16ELi32ELi8ELi1ELi1ELb1ELc84ELc85EKS1_S1_EviT_PT9_S3_lS5_S3_lPT10_S3_li
		.amdhsa_group_segment_fixed_size 4096
		.amdhsa_private_segment_fixed_size 0
		.amdhsa_kernarg_size 92
		.amdhsa_user_sgpr_count 6
		.amdhsa_user_sgpr_private_segment_buffer 1
		.amdhsa_user_sgpr_dispatch_ptr 0
		.amdhsa_user_sgpr_queue_ptr 0
		.amdhsa_user_sgpr_kernarg_segment_ptr 1
		.amdhsa_user_sgpr_dispatch_id 0
		.amdhsa_user_sgpr_flat_scratch_init 0
		.amdhsa_user_sgpr_private_segment_size 0
		.amdhsa_uses_dynamic_stack 0
		.amdhsa_system_sgpr_private_segment_wavefront_offset 0
		.amdhsa_system_sgpr_workgroup_id_x 1
		.amdhsa_system_sgpr_workgroup_id_y 1
		.amdhsa_system_sgpr_workgroup_id_z 1
		.amdhsa_system_sgpr_workgroup_info 0
		.amdhsa_system_vgpr_workitem_id 1
		.amdhsa_next_free_vgpr 41
		.amdhsa_next_free_sgpr 28
		.amdhsa_reserve_vcc 1
		.amdhsa_reserve_flat_scratch 0
		.amdhsa_float_round_mode_32 0
		.amdhsa_float_round_mode_16_64 0
		.amdhsa_float_denorm_mode_32 3
		.amdhsa_float_denorm_mode_16_64 3
		.amdhsa_dx10_clamp 1
		.amdhsa_ieee_mode 1
		.amdhsa_fp16_overflow 0
		.amdhsa_exception_fp_ieee_invalid_op 0
		.amdhsa_exception_fp_denorm_src 0
		.amdhsa_exception_fp_ieee_div_zero 0
		.amdhsa_exception_fp_ieee_overflow 0
		.amdhsa_exception_fp_ieee_underflow 0
		.amdhsa_exception_fp_ieee_inexact 0
		.amdhsa_exception_int_div_zero 0
	.end_amdhsa_kernel
	.section	.text._ZL37rocblas_syrkx_herkx_restricted_kernelIl19rocblas_complex_numIfELi16ELi32ELi8ELi1ELi1ELb1ELc84ELc85EKS1_S1_EviT_PT9_S3_lS5_S3_lPT10_S3_li,"axG",@progbits,_ZL37rocblas_syrkx_herkx_restricted_kernelIl19rocblas_complex_numIfELi16ELi32ELi8ELi1ELi1ELb1ELc84ELc85EKS1_S1_EviT_PT9_S3_lS5_S3_lPT10_S3_li,comdat
.Lfunc_end1237:
	.size	_ZL37rocblas_syrkx_herkx_restricted_kernelIl19rocblas_complex_numIfELi16ELi32ELi8ELi1ELi1ELb1ELc84ELc85EKS1_S1_EviT_PT9_S3_lS5_S3_lPT10_S3_li, .Lfunc_end1237-_ZL37rocblas_syrkx_herkx_restricted_kernelIl19rocblas_complex_numIfELi16ELi32ELi8ELi1ELi1ELb1ELc84ELc85EKS1_S1_EviT_PT9_S3_lS5_S3_lPT10_S3_li
                                        ; -- End function
	.set _ZL37rocblas_syrkx_herkx_restricted_kernelIl19rocblas_complex_numIfELi16ELi32ELi8ELi1ELi1ELb1ELc84ELc85EKS1_S1_EviT_PT9_S3_lS5_S3_lPT10_S3_li.num_vgpr, 41
	.set _ZL37rocblas_syrkx_herkx_restricted_kernelIl19rocblas_complex_numIfELi16ELi32ELi8ELi1ELi1ELb1ELc84ELc85EKS1_S1_EviT_PT9_S3_lS5_S3_lPT10_S3_li.num_agpr, 0
	.set _ZL37rocblas_syrkx_herkx_restricted_kernelIl19rocblas_complex_numIfELi16ELi32ELi8ELi1ELi1ELb1ELc84ELc85EKS1_S1_EviT_PT9_S3_lS5_S3_lPT10_S3_li.numbered_sgpr, 28
	.set _ZL37rocblas_syrkx_herkx_restricted_kernelIl19rocblas_complex_numIfELi16ELi32ELi8ELi1ELi1ELb1ELc84ELc85EKS1_S1_EviT_PT9_S3_lS5_S3_lPT10_S3_li.num_named_barrier, 0
	.set _ZL37rocblas_syrkx_herkx_restricted_kernelIl19rocblas_complex_numIfELi16ELi32ELi8ELi1ELi1ELb1ELc84ELc85EKS1_S1_EviT_PT9_S3_lS5_S3_lPT10_S3_li.private_seg_size, 0
	.set _ZL37rocblas_syrkx_herkx_restricted_kernelIl19rocblas_complex_numIfELi16ELi32ELi8ELi1ELi1ELb1ELc84ELc85EKS1_S1_EviT_PT9_S3_lS5_S3_lPT10_S3_li.uses_vcc, 1
	.set _ZL37rocblas_syrkx_herkx_restricted_kernelIl19rocblas_complex_numIfELi16ELi32ELi8ELi1ELi1ELb1ELc84ELc85EKS1_S1_EviT_PT9_S3_lS5_S3_lPT10_S3_li.uses_flat_scratch, 0
	.set _ZL37rocblas_syrkx_herkx_restricted_kernelIl19rocblas_complex_numIfELi16ELi32ELi8ELi1ELi1ELb1ELc84ELc85EKS1_S1_EviT_PT9_S3_lS5_S3_lPT10_S3_li.has_dyn_sized_stack, 0
	.set _ZL37rocblas_syrkx_herkx_restricted_kernelIl19rocblas_complex_numIfELi16ELi32ELi8ELi1ELi1ELb1ELc84ELc85EKS1_S1_EviT_PT9_S3_lS5_S3_lPT10_S3_li.has_recursion, 0
	.set _ZL37rocblas_syrkx_herkx_restricted_kernelIl19rocblas_complex_numIfELi16ELi32ELi8ELi1ELi1ELb1ELc84ELc85EKS1_S1_EviT_PT9_S3_lS5_S3_lPT10_S3_li.has_indirect_call, 0
	.section	.AMDGPU.csdata,"",@progbits
; Kernel info:
; codeLenInByte = 2152
; TotalNumSgprs: 32
; NumVgprs: 41
; ScratchSize: 0
; MemoryBound: 0
; FloatMode: 240
; IeeeMode: 1
; LDSByteSize: 4096 bytes/workgroup (compile time only)
; SGPRBlocks: 3
; VGPRBlocks: 10
; NumSGPRsForWavesPerEU: 32
; NumVGPRsForWavesPerEU: 41
; Occupancy: 5
; WaveLimiterHint : 1
; COMPUTE_PGM_RSRC2:SCRATCH_EN: 0
; COMPUTE_PGM_RSRC2:USER_SGPR: 6
; COMPUTE_PGM_RSRC2:TRAP_HANDLER: 0
; COMPUTE_PGM_RSRC2:TGID_X_EN: 1
; COMPUTE_PGM_RSRC2:TGID_Y_EN: 1
; COMPUTE_PGM_RSRC2:TGID_Z_EN: 1
; COMPUTE_PGM_RSRC2:TIDIG_COMP_CNT: 1
	.section	.text._ZL37rocblas_syrkx_herkx_restricted_kernelIl19rocblas_complex_numIfELi16ELi32ELi8ELi1ELi1ELb1ELc67ELc85EKS1_S1_EviT_PT9_S3_lS5_S3_lPT10_S3_li,"axG",@progbits,_ZL37rocblas_syrkx_herkx_restricted_kernelIl19rocblas_complex_numIfELi16ELi32ELi8ELi1ELi1ELb1ELc67ELc85EKS1_S1_EviT_PT9_S3_lS5_S3_lPT10_S3_li,comdat
	.globl	_ZL37rocblas_syrkx_herkx_restricted_kernelIl19rocblas_complex_numIfELi16ELi32ELi8ELi1ELi1ELb1ELc67ELc85EKS1_S1_EviT_PT9_S3_lS5_S3_lPT10_S3_li ; -- Begin function _ZL37rocblas_syrkx_herkx_restricted_kernelIl19rocblas_complex_numIfELi16ELi32ELi8ELi1ELi1ELb1ELc67ELc85EKS1_S1_EviT_PT9_S3_lS5_S3_lPT10_S3_li
	.p2align	8
	.type	_ZL37rocblas_syrkx_herkx_restricted_kernelIl19rocblas_complex_numIfELi16ELi32ELi8ELi1ELi1ELb1ELc67ELc85EKS1_S1_EviT_PT9_S3_lS5_S3_lPT10_S3_li,@function
_ZL37rocblas_syrkx_herkx_restricted_kernelIl19rocblas_complex_numIfELi16ELi32ELi8ELi1ELi1ELb1ELc67ELc85EKS1_S1_EviT_PT9_S3_lS5_S3_lPT10_S3_li: ; @_ZL37rocblas_syrkx_herkx_restricted_kernelIl19rocblas_complex_numIfELi16ELi32ELi8ELi1ELi1ELb1ELc67ELc85EKS1_S1_EviT_PT9_S3_lS5_S3_lPT10_S3_li
; %bb.0:
	s_load_dwordx16 s[12:27], s[4:5], 0x8
	s_lshl_b32 s2, s6, 5
	s_lshl_b32 s3, s7, 5
	s_waitcnt lgkmcnt(0)
	v_cmp_lt_i64_e64 s[0:1], s[12:13], 1
	s_and_b64 vcc, exec, s[0:1]
	s_cbranch_vccnz .LBB1238_3
; %bb.1:
	v_lshl_add_u32 v4, v1, 4, v0
	v_lshrrev_b32_e32 v6, 3, v4
	v_add_u32_e32 v2, s3, v6
	v_ashrrev_i32_e32 v3, 31, v2
	v_and_b32_e32 v9, 7, v0
	v_mov_b32_e32 v10, 0
	v_mul_lo_u32 v5, s22, v3
	v_mul_lo_u32 v7, s23, v2
	v_mad_u64_u32 v[2:3], s[0:1], s22, v2, v[9:10]
	s_mul_i32 s6, s19, s8
	s_mul_hi_u32 s7, s18, s8
	v_add3_u32 v3, v7, v3, v5
	v_and_b32_e32 v7, 31, v4
	v_lshrrev_b32_e32 v4, 5, v4
	v_lshlrev_b32_e32 v8, 3, v7
	v_lshl_or_b32 v11, v4, 8, v8
	v_lshlrev_b32_e32 v8, 3, v9
	v_lshl_or_b32 v6, v6, 6, v8
	v_add_u32_e32 v12, 0x800, v6
	v_mov_b32_e32 v6, 0x800
	v_lshl_add_u32 v14, v1, 6, v6
	v_add_u32_e32 v6, s2, v7
	v_mov_b32_e32 v5, v10
	v_ashrrev_i32_e32 v7, 31, v6
	v_mul_lo_u32 v7, s16, v7
	v_mad_u64_u32 v[4:5], s[0:1], s16, v6, v[4:5]
	v_mul_lo_u32 v6, s17, v6
	s_add_i32 s1, s7, s6
	s_mul_i32 s0, s18, s8
	s_lshl_b64 s[0:1], s[0:1], 3
	v_add3_u32 v5, v6, v5, v7
	v_lshlrev_b64 v[4:5], 3, v[4:5]
	s_add_u32 s0, s14, s0
	s_addc_u32 s1, s15, s1
	v_mov_b32_e32 v6, s1
	v_add_co_u32_e32 v4, vcc, s0, v4
	s_mul_i32 s0, s25, s8
	s_mul_hi_u32 s1, s24, s8
	s_add_i32 s1, s1, s0
	s_mul_i32 s0, s24, s8
	v_addc_co_u32_e32 v5, vcc, v6, v5, vcc
	s_lshl_b64 s[0:1], s[0:1], 3
	v_add_co_u32_e32 v6, vcc, 4, v4
	v_lshlrev_b64 v[2:3], 3, v[2:3]
	s_add_u32 s0, s20, s0
	v_addc_co_u32_e32 v7, vcc, 0, v5, vcc
	s_addc_u32 s1, s21, s1
	v_mov_b32_e32 v4, s1
	v_add_co_u32_e32 v2, vcc, s0, v2
	v_addc_co_u32_e32 v3, vcc, v4, v3, vcc
	v_add_co_u32_e32 v8, vcc, 4, v2
	v_lshlrev_b32_e32 v13, 3, v0
	v_addc_co_u32_e32 v9, vcc, 0, v3, vcc
	s_mov_b64 s[0:1], 0
	v_mov_b32_e32 v15, v10
	v_mov_b32_e32 v16, v10
	;; [unrolled: 1-line block ×7, first 2 shown]
.LBB1238_2:                             ; =>This Inner Loop Header: Depth=1
	global_load_dwordx2 v[2:3], v[6:7], off offset:-4
	v_add_co_u32_e32 v6, vcc, 64, v6
	s_add_u32 s0, s0, 8
	v_addc_co_u32_e32 v7, vcc, 0, v7, vcc
	s_addc_u32 s1, s1, 0
	s_waitcnt vmcnt(0)
	v_xor_b32_e32 v3, 0x80000000, v3
	ds_write_b64 v11, v[2:3]
	global_load_dwordx2 v[2:3], v[8:9], off offset:-4
	v_add_co_u32_e32 v8, vcc, 64, v8
	v_addc_co_u32_e32 v9, vcc, 0, v9, vcc
	s_waitcnt vmcnt(0)
	ds_write_b64 v12, v[2:3]
	s_waitcnt lgkmcnt(0)
	s_barrier
	ds_read_b128 v[22:25], v14
	ds_read_b128 v[26:29], v14 offset:16
	ds_read_b128 v[30:33], v14 offset:32
	;; [unrolled: 1-line block ×3, first 2 shown]
	ds_read2_b64 v[34:37], v13 offset1:16
	s_waitcnt lgkmcnt(0)
	v_mul_f32_e32 v38, v23, v35
	v_mul_f32_e32 v39, v22, v35
	v_fma_f32 v38, v22, v34, -v38
	v_fmac_f32_e32 v39, v23, v34
	v_add_f32_e32 v38, v20, v38
	v_add_f32_e32 v39, v21, v39
	v_mul_f32_e32 v20, v23, v37
	v_mul_f32_e32 v21, v22, v37
	v_fma_f32 v20, v22, v36, -v20
	v_fmac_f32_e32 v21, v23, v36
	v_add_f32_e32 v22, v19, v20
	v_add_f32_e32 v23, v18, v21
	ds_read_b128 v[18:21], v14 offset:1024
	s_waitcnt lgkmcnt(0)
	v_mul_f32_e32 v40, v19, v35
	v_mul_f32_e32 v35, v18, v35
	v_fma_f32 v40, v18, v34, -v40
	v_fmac_f32_e32 v35, v19, v34
	v_add_f32_e32 v34, v17, v40
	v_add_f32_e32 v35, v16, v35
	v_mul_f32_e32 v16, v19, v37
	v_mul_f32_e32 v17, v18, v37
	v_fma_f32 v16, v18, v36, -v16
	v_fmac_f32_e32 v17, v19, v36
	v_add_f32_e32 v19, v15, v16
	v_add_f32_e32 v10, v10, v17
	ds_read2_b64 v[15:18], v13 offset0:32 offset1:48
	s_waitcnt lgkmcnt(0)
	v_mul_f32_e32 v36, v25, v16
	v_fma_f32 v36, v24, v15, -v36
	v_add_f32_e32 v36, v38, v36
	v_mul_f32_e32 v38, v25, v18
	v_mul_f32_e32 v37, v24, v16
	v_fma_f32 v38, v24, v17, -v38
	v_mul_f32_e32 v24, v24, v18
	v_fmac_f32_e32 v24, v25, v17
	v_add_f32_e32 v23, v23, v24
	v_mul_f32_e32 v24, v21, v16
	v_mul_f32_e32 v16, v20, v16
	v_fmac_f32_e32 v16, v21, v15
	v_fmac_f32_e32 v37, v25, v15
	v_fma_f32 v24, v20, v15, -v24
	v_add_f32_e32 v25, v35, v16
	v_mul_f32_e32 v15, v21, v18
	v_mul_f32_e32 v16, v20, v18
	v_fma_f32 v15, v20, v17, -v15
	v_fmac_f32_e32 v16, v21, v17
	v_add_f32_e32 v24, v34, v24
	v_add_f32_e32 v34, v19, v15
	;; [unrolled: 1-line block ×3, first 2 shown]
	ds_read2_b64 v[15:18], v13 offset0:64 offset1:80
	v_add_f32_e32 v37, v39, v37
	v_add_f32_e32 v22, v22, v38
	s_waitcnt lgkmcnt(0)
	v_mul_f32_e32 v19, v27, v16
	v_mul_f32_e32 v20, v26, v16
	v_fma_f32 v19, v26, v15, -v19
	v_fmac_f32_e32 v20, v27, v15
	v_add_f32_e32 v35, v36, v19
	v_add_f32_e32 v36, v37, v20
	v_mul_f32_e32 v19, v27, v18
	v_mul_f32_e32 v20, v26, v18
	v_fma_f32 v19, v26, v17, -v19
	v_fmac_f32_e32 v20, v27, v17
	v_add_f32_e32 v26, v22, v19
	v_add_f32_e32 v23, v23, v20
	ds_read_b128 v[19:22], v14 offset:1040
	s_waitcnt lgkmcnt(0)
	v_mul_f32_e32 v27, v20, v16
	v_mul_f32_e32 v16, v19, v16
	v_fmac_f32_e32 v16, v20, v15
	v_fma_f32 v27, v19, v15, -v27
	v_add_f32_e32 v25, v25, v16
	v_mul_f32_e32 v15, v20, v18
	v_mul_f32_e32 v16, v19, v18
	v_fma_f32 v15, v19, v17, -v15
	v_fmac_f32_e32 v16, v20, v17
	v_add_f32_e32 v19, v34, v15
	v_add_f32_e32 v10, v10, v16
	ds_read2_b64 v[15:18], v13 offset0:96 offset1:112
	v_add_f32_e32 v24, v24, v27
	s_waitcnt lgkmcnt(0)
	v_mul_f32_e32 v20, v29, v16
	v_mul_f32_e32 v34, v29, v18
	v_fma_f32 v20, v28, v15, -v20
	v_mul_f32_e32 v27, v28, v16
	v_fma_f32 v34, v28, v17, -v34
	v_mul_f32_e32 v28, v28, v18
	v_fmac_f32_e32 v28, v29, v17
	v_add_f32_e32 v23, v23, v28
	v_mul_f32_e32 v28, v22, v16
	v_mul_f32_e32 v16, v21, v16
	v_fmac_f32_e32 v16, v22, v15
	v_fmac_f32_e32 v27, v29, v15
	v_fma_f32 v28, v21, v15, -v28
	v_add_f32_e32 v25, v25, v16
	v_mul_f32_e32 v15, v22, v18
	v_mul_f32_e32 v16, v21, v18
	v_fma_f32 v15, v21, v17, -v15
	v_fmac_f32_e32 v16, v22, v17
	v_add_f32_e32 v24, v24, v28
	v_add_f32_e32 v28, v19, v15
	;; [unrolled: 1-line block ×3, first 2 shown]
	ds_read2_b64 v[15:18], v13 offset0:128 offset1:144
	v_add_f32_e32 v20, v35, v20
	v_add_f32_e32 v27, v36, v27
	;; [unrolled: 1-line block ×3, first 2 shown]
	s_waitcnt lgkmcnt(0)
	v_mul_f32_e32 v19, v31, v16
	v_fma_f32 v19, v30, v15, -v19
	v_mul_f32_e32 v21, v30, v16
	v_add_f32_e32 v29, v20, v19
	v_mul_f32_e32 v19, v31, v18
	v_mul_f32_e32 v20, v30, v18
	v_fmac_f32_e32 v21, v31, v15
	v_fma_f32 v19, v30, v17, -v19
	v_fmac_f32_e32 v20, v31, v17
	v_add_f32_e32 v27, v27, v21
	v_add_f32_e32 v26, v26, v19
	;; [unrolled: 1-line block ×3, first 2 shown]
	ds_read_b128 v[19:22], v14 offset:1056
	s_waitcnt lgkmcnt(0)
	v_mul_f32_e32 v30, v20, v16
	v_mul_f32_e32 v16, v19, v16
	v_fmac_f32_e32 v16, v20, v15
	v_fma_f32 v30, v19, v15, -v30
	v_add_f32_e32 v25, v25, v16
	v_mul_f32_e32 v15, v20, v18
	v_mul_f32_e32 v16, v19, v18
	v_fma_f32 v15, v19, v17, -v15
	v_fmac_f32_e32 v16, v20, v17
	v_add_f32_e32 v19, v28, v15
	v_add_f32_e32 v10, v10, v16
	ds_read2_b64 v[15:18], v13 offset0:160 offset1:176
	v_add_f32_e32 v24, v24, v30
	s_waitcnt lgkmcnt(0)
	v_mul_f32_e32 v28, v32, v16
	v_fmac_f32_e32 v28, v33, v15
	v_add_f32_e32 v27, v27, v28
	v_mul_f32_e32 v28, v33, v18
	v_fma_f32 v28, v32, v17, -v28
	v_mul_f32_e32 v20, v33, v16
	v_add_f32_e32 v26, v26, v28
	v_mul_f32_e32 v28, v22, v16
	v_mul_f32_e32 v16, v21, v16
	v_fmac_f32_e32 v16, v22, v15
	v_fma_f32 v20, v32, v15, -v20
	v_fma_f32 v28, v21, v15, -v28
	v_add_f32_e32 v25, v25, v16
	v_mul_f32_e32 v15, v22, v18
	v_mul_f32_e32 v16, v21, v18
	v_add_f32_e32 v20, v29, v20
	v_mul_f32_e32 v29, v32, v18
	v_fma_f32 v15, v21, v17, -v15
	v_fmac_f32_e32 v16, v22, v17
	v_fmac_f32_e32 v29, v33, v17
	v_add_f32_e32 v19, v19, v15
	v_add_f32_e32 v10, v10, v16
	ds_read2_b64 v[15:18], v13 offset0:192 offset1:208
	v_add_f32_e32 v24, v24, v28
	v_add_f32_e32 v23, v23, v29
	s_waitcnt lgkmcnt(0)
	v_mul_f32_e32 v21, v3, v16
	v_fma_f32 v21, v2, v15, -v21
	v_add_f32_e32 v28, v20, v21
	v_mul_f32_e32 v20, v3, v18
	v_mul_f32_e32 v22, v2, v16
	v_fma_f32 v20, v2, v17, -v20
	v_mul_f32_e32 v2, v2, v18
	v_fmac_f32_e32 v22, v3, v15
	v_fmac_f32_e32 v2, v3, v17
	v_add_f32_e32 v29, v27, v22
	v_add_f32_e32 v3, v26, v20
	;; [unrolled: 1-line block ×3, first 2 shown]
	ds_read_b128 v[20:23], v14 offset:1072
	s_waitcnt lgkmcnt(0)
	v_mul_f32_e32 v26, v21, v16
	v_fma_f32 v26, v20, v15, -v26
	v_mul_f32_e32 v16, v20, v16
	v_fmac_f32_e32 v16, v21, v15
	v_add_f32_e32 v15, v24, v26
	v_mul_f32_e32 v24, v21, v18
	v_fma_f32 v24, v20, v17, -v24
	v_add_f32_e32 v16, v25, v16
	v_add_f32_e32 v30, v19, v24
	ds_read2_b64 v[24:27], v13 offset0:224 offset1:240
	v_mul_f32_e32 v18, v20, v18
	v_fmac_f32_e32 v18, v21, v17
	v_add_f32_e32 v10, v10, v18
	s_waitcnt lgkmcnt(0)
	v_mul_f32_e32 v17, v5, v25
	v_fma_f32 v17, v4, v24, -v17
	v_add_f32_e32 v20, v28, v17
	v_mul_f32_e32 v17, v5, v27
	v_mul_f32_e32 v18, v4, v25
	v_fma_f32 v17, v4, v26, -v17
	v_mul_f32_e32 v4, v4, v27
	v_fmac_f32_e32 v18, v5, v24
	v_fmac_f32_e32 v4, v5, v26
	v_add_f32_e32 v21, v29, v18
	v_add_f32_e32 v19, v3, v17
	;; [unrolled: 1-line block ×3, first 2 shown]
	v_mul_f32_e32 v2, v23, v25
	v_mul_f32_e32 v3, v22, v25
	v_fma_f32 v2, v22, v24, -v2
	v_fmac_f32_e32 v3, v23, v24
	v_add_f32_e32 v17, v15, v2
	v_add_f32_e32 v16, v16, v3
	v_mul_f32_e32 v2, v23, v27
	v_mul_f32_e32 v3, v22, v27
	v_fma_f32 v2, v22, v26, -v2
	v_fmac_f32_e32 v3, v23, v26
	v_add_f32_e32 v15, v30, v2
	v_add_f32_e32 v10, v10, v3
	v_mov_b32_e32 v3, s1
	v_mov_b32_e32 v2, s0
	v_cmp_le_u64_e32 vcc, s[12:13], v[2:3]
	s_barrier
	s_cbranch_vccz .LBB1238_2
	s_branch .LBB1238_4
.LBB1238_3:
	v_mov_b32_e32 v20, 0
	v_mov_b32_e32 v21, 0
	;; [unrolled: 1-line block ×8, first 2 shown]
.LBB1238_4:
	s_load_dwordx4 s[12:15], s[4:5], 0x48
	s_load_dword s6, s[4:5], 0x0
	v_add_u32_e32 v5, s3, v1
	v_ashrrev_i32_e32 v1, 31, v5
	v_add_u32_e32 v0, s2, v0
	s_waitcnt lgkmcnt(0)
	s_mul_i32 s1, s15, s8
	s_mul_hi_u32 s3, s14, s8
	s_mul_i32 s0, s14, s8
	v_mul_lo_u32 v3, s12, v1
	v_mul_lo_u32 v4, s13, v5
	v_mad_u64_u32 v[1:2], s[8:9], s12, v5, 0
	s_add_i32 s1, s3, s1
	s_lshl_b64 s[0:1], s[0:1], 3
	v_add3_u32 v2, v2, v3, v4
	s_add_u32 s4, s26, s0
	v_lshlrev_b64 v[1:2], 3, v[1:2]
	s_addc_u32 s5, s27, s1
	v_mov_b32_e32 v3, s5
	v_add_co_u32_e64 v4, s[0:1], s4, v1
	v_addc_co_u32_e64 v6, s[0:1], v3, v2, s[0:1]
	v_cmp_gt_i32_e32 vcc, s6, v5
	v_cmp_le_i32_e64 s[0:1], v0, v5
	s_and_b64 s[0:1], vcc, s[0:1]
	s_and_saveexec_b64 s[2:3], s[0:1]
	s_cbranch_execz .LBB1238_7
; %bb.5:
	v_ashrrev_i32_e32 v1, 31, v0
	v_lshlrev_b64 v[1:2], 3, v[0:1]
	v_add_co_u32_e64 v1, s[0:1], v4, v1
	v_addc_co_u32_e64 v2, s[0:1], v6, v2, s[0:1]
	global_load_dwordx2 v[7:8], v[1:2], off
	v_cmp_eq_u32_e64 s[0:1], v5, v0
	s_waitcnt vmcnt(0)
	v_add_f32_e32 v7, v20, v7
	v_add_f32_e32 v8, v21, v8
	global_store_dwordx2 v[1:2], v[7:8], off
	s_and_b64 exec, exec, s[0:1]
	s_cbranch_execz .LBB1238_7
; %bb.6:
	v_mov_b32_e32 v3, 0
	global_store_dword v[1:2], v3, off offset:4
.LBB1238_7:
	s_or_b64 exec, exec, s[2:3]
	v_add_u32_e32 v2, 16, v0
	v_cmp_le_i32_e64 s[0:1], v2, v5
	s_and_b64 s[2:3], vcc, s[0:1]
	s_and_saveexec_b64 s[0:1], s[2:3]
	s_cbranch_execz .LBB1238_10
; %bb.8:
	v_ashrrev_i32_e32 v3, 31, v2
	v_lshlrev_b64 v[7:8], 3, v[2:3]
	v_add_co_u32_e32 v3, vcc, v4, v7
	v_addc_co_u32_e32 v4, vcc, v6, v8, vcc
	global_load_dwordx2 v[6:7], v[3:4], off
	v_cmp_eq_u32_e32 vcc, v5, v2
	s_waitcnt vmcnt(0)
	v_add_f32_e32 v6, v19, v6
	v_add_f32_e32 v7, v18, v7
	global_store_dwordx2 v[3:4], v[6:7], off
	s_and_b64 exec, exec, vcc
	s_cbranch_execz .LBB1238_10
; %bb.9:
	v_mov_b32_e32 v1, 0
	global_store_dword v[3:4], v1, off offset:4
.LBB1238_10:
	s_or_b64 exec, exec, s[0:1]
	v_add_u32_e32 v6, 16, v5
	v_ashrrev_i32_e32 v1, 31, v6
	v_mul_lo_u32 v1, s12, v1
	v_mul_lo_u32 v7, s13, v6
	v_mad_u64_u32 v[3:4], s[0:1], s12, v6, 0
	v_cmp_gt_i32_e32 vcc, s6, v6
	v_add3_u32 v4, v4, v1, v7
	v_lshlrev_b64 v[3:4], 3, v[3:4]
	v_mov_b32_e32 v1, s5
	v_add_co_u32_e64 v7, s[0:1], s4, v3
	v_addc_co_u32_e64 v8, s[0:1], v1, v4, s[0:1]
	v_cmp_le_i32_e64 s[0:1], v0, v6
	s_and_b64 s[0:1], vcc, s[0:1]
	s_and_saveexec_b64 s[2:3], s[0:1]
	s_cbranch_execz .LBB1238_13
; %bb.11:
	v_ashrrev_i32_e32 v1, 31, v0
	v_lshlrev_b64 v[3:4], 3, v[0:1]
	v_add_co_u32_e64 v3, s[0:1], v7, v3
	v_addc_co_u32_e64 v4, s[0:1], v8, v4, s[0:1]
	global_load_dwordx2 v[11:12], v[3:4], off
	v_cmp_eq_u32_e64 s[0:1], v6, v0
	s_waitcnt vmcnt(0)
	v_add_f32_e32 v11, v17, v11
	v_add_f32_e32 v12, v16, v12
	global_store_dwordx2 v[3:4], v[11:12], off
	s_and_b64 exec, exec, s[0:1]
	s_cbranch_execz .LBB1238_13
; %bb.12:
	v_mov_b32_e32 v1, 0
	global_store_dword v[3:4], v1, off offset:4
.LBB1238_13:
	s_or_b64 exec, exec, s[2:3]
	v_cmp_le_i32_e64 s[0:1], v2, v6
	s_and_b64 s[0:1], vcc, s[0:1]
	s_and_saveexec_b64 s[2:3], s[0:1]
	s_cbranch_execz .LBB1238_16
; %bb.14:
	v_ashrrev_i32_e32 v3, 31, v2
	v_lshlrev_b64 v[1:2], 3, v[2:3]
	v_add_co_u32_e32 v1, vcc, v7, v1
	v_addc_co_u32_e32 v2, vcc, v8, v2, vcc
	global_load_dwordx2 v[3:4], v[1:2], off
	v_cmp_eq_u32_e32 vcc, v5, v0
	s_waitcnt vmcnt(0)
	v_add_f32_e32 v3, v15, v3
	v_add_f32_e32 v4, v10, v4
	global_store_dwordx2 v[1:2], v[3:4], off
	s_and_b64 exec, exec, vcc
	s_cbranch_execz .LBB1238_16
; %bb.15:
	v_mov_b32_e32 v0, 0
	global_store_dword v[1:2], v0, off offset:4
.LBB1238_16:
	s_endpgm
	.section	.rodata,"a",@progbits
	.p2align	6, 0x0
	.amdhsa_kernel _ZL37rocblas_syrkx_herkx_restricted_kernelIl19rocblas_complex_numIfELi16ELi32ELi8ELi1ELi1ELb1ELc67ELc85EKS1_S1_EviT_PT9_S3_lS5_S3_lPT10_S3_li
		.amdhsa_group_segment_fixed_size 4096
		.amdhsa_private_segment_fixed_size 0
		.amdhsa_kernarg_size 92
		.amdhsa_user_sgpr_count 6
		.amdhsa_user_sgpr_private_segment_buffer 1
		.amdhsa_user_sgpr_dispatch_ptr 0
		.amdhsa_user_sgpr_queue_ptr 0
		.amdhsa_user_sgpr_kernarg_segment_ptr 1
		.amdhsa_user_sgpr_dispatch_id 0
		.amdhsa_user_sgpr_flat_scratch_init 0
		.amdhsa_user_sgpr_private_segment_size 0
		.amdhsa_uses_dynamic_stack 0
		.amdhsa_system_sgpr_private_segment_wavefront_offset 0
		.amdhsa_system_sgpr_workgroup_id_x 1
		.amdhsa_system_sgpr_workgroup_id_y 1
		.amdhsa_system_sgpr_workgroup_id_z 1
		.amdhsa_system_sgpr_workgroup_info 0
		.amdhsa_system_vgpr_workitem_id 1
		.amdhsa_next_free_vgpr 41
		.amdhsa_next_free_sgpr 28
		.amdhsa_reserve_vcc 1
		.amdhsa_reserve_flat_scratch 0
		.amdhsa_float_round_mode_32 0
		.amdhsa_float_round_mode_16_64 0
		.amdhsa_float_denorm_mode_32 3
		.amdhsa_float_denorm_mode_16_64 3
		.amdhsa_dx10_clamp 1
		.amdhsa_ieee_mode 1
		.amdhsa_fp16_overflow 0
		.amdhsa_exception_fp_ieee_invalid_op 0
		.amdhsa_exception_fp_denorm_src 0
		.amdhsa_exception_fp_ieee_div_zero 0
		.amdhsa_exception_fp_ieee_overflow 0
		.amdhsa_exception_fp_ieee_underflow 0
		.amdhsa_exception_fp_ieee_inexact 0
		.amdhsa_exception_int_div_zero 0
	.end_amdhsa_kernel
	.section	.text._ZL37rocblas_syrkx_herkx_restricted_kernelIl19rocblas_complex_numIfELi16ELi32ELi8ELi1ELi1ELb1ELc67ELc85EKS1_S1_EviT_PT9_S3_lS5_S3_lPT10_S3_li,"axG",@progbits,_ZL37rocblas_syrkx_herkx_restricted_kernelIl19rocblas_complex_numIfELi16ELi32ELi8ELi1ELi1ELb1ELc67ELc85EKS1_S1_EviT_PT9_S3_lS5_S3_lPT10_S3_li,comdat
.Lfunc_end1238:
	.size	_ZL37rocblas_syrkx_herkx_restricted_kernelIl19rocblas_complex_numIfELi16ELi32ELi8ELi1ELi1ELb1ELc67ELc85EKS1_S1_EviT_PT9_S3_lS5_S3_lPT10_S3_li, .Lfunc_end1238-_ZL37rocblas_syrkx_herkx_restricted_kernelIl19rocblas_complex_numIfELi16ELi32ELi8ELi1ELi1ELb1ELc67ELc85EKS1_S1_EviT_PT9_S3_lS5_S3_lPT10_S3_li
                                        ; -- End function
	.set _ZL37rocblas_syrkx_herkx_restricted_kernelIl19rocblas_complex_numIfELi16ELi32ELi8ELi1ELi1ELb1ELc67ELc85EKS1_S1_EviT_PT9_S3_lS5_S3_lPT10_S3_li.num_vgpr, 41
	.set _ZL37rocblas_syrkx_herkx_restricted_kernelIl19rocblas_complex_numIfELi16ELi32ELi8ELi1ELi1ELb1ELc67ELc85EKS1_S1_EviT_PT9_S3_lS5_S3_lPT10_S3_li.num_agpr, 0
	.set _ZL37rocblas_syrkx_herkx_restricted_kernelIl19rocblas_complex_numIfELi16ELi32ELi8ELi1ELi1ELb1ELc67ELc85EKS1_S1_EviT_PT9_S3_lS5_S3_lPT10_S3_li.numbered_sgpr, 28
	.set _ZL37rocblas_syrkx_herkx_restricted_kernelIl19rocblas_complex_numIfELi16ELi32ELi8ELi1ELi1ELb1ELc67ELc85EKS1_S1_EviT_PT9_S3_lS5_S3_lPT10_S3_li.num_named_barrier, 0
	.set _ZL37rocblas_syrkx_herkx_restricted_kernelIl19rocblas_complex_numIfELi16ELi32ELi8ELi1ELi1ELb1ELc67ELc85EKS1_S1_EviT_PT9_S3_lS5_S3_lPT10_S3_li.private_seg_size, 0
	.set _ZL37rocblas_syrkx_herkx_restricted_kernelIl19rocblas_complex_numIfELi16ELi32ELi8ELi1ELi1ELb1ELc67ELc85EKS1_S1_EviT_PT9_S3_lS5_S3_lPT10_S3_li.uses_vcc, 1
	.set _ZL37rocblas_syrkx_herkx_restricted_kernelIl19rocblas_complex_numIfELi16ELi32ELi8ELi1ELi1ELb1ELc67ELc85EKS1_S1_EviT_PT9_S3_lS5_S3_lPT10_S3_li.uses_flat_scratch, 0
	.set _ZL37rocblas_syrkx_herkx_restricted_kernelIl19rocblas_complex_numIfELi16ELi32ELi8ELi1ELi1ELb1ELc67ELc85EKS1_S1_EviT_PT9_S3_lS5_S3_lPT10_S3_li.has_dyn_sized_stack, 0
	.set _ZL37rocblas_syrkx_herkx_restricted_kernelIl19rocblas_complex_numIfELi16ELi32ELi8ELi1ELi1ELb1ELc67ELc85EKS1_S1_EviT_PT9_S3_lS5_S3_lPT10_S3_li.has_recursion, 0
	.set _ZL37rocblas_syrkx_herkx_restricted_kernelIl19rocblas_complex_numIfELi16ELi32ELi8ELi1ELi1ELb1ELc67ELc85EKS1_S1_EviT_PT9_S3_lS5_S3_lPT10_S3_li.has_indirect_call, 0
	.section	.AMDGPU.csdata,"",@progbits
; Kernel info:
; codeLenInByte = 2160
; TotalNumSgprs: 32
; NumVgprs: 41
; ScratchSize: 0
; MemoryBound: 0
; FloatMode: 240
; IeeeMode: 1
; LDSByteSize: 4096 bytes/workgroup (compile time only)
; SGPRBlocks: 3
; VGPRBlocks: 10
; NumSGPRsForWavesPerEU: 32
; NumVGPRsForWavesPerEU: 41
; Occupancy: 5
; WaveLimiterHint : 1
; COMPUTE_PGM_RSRC2:SCRATCH_EN: 0
; COMPUTE_PGM_RSRC2:USER_SGPR: 6
; COMPUTE_PGM_RSRC2:TRAP_HANDLER: 0
; COMPUTE_PGM_RSRC2:TGID_X_EN: 1
; COMPUTE_PGM_RSRC2:TGID_Y_EN: 1
; COMPUTE_PGM_RSRC2:TGID_Z_EN: 1
; COMPUTE_PGM_RSRC2:TIDIG_COMP_CNT: 1
	.section	.text._ZL37rocblas_syrkx_herkx_restricted_kernelIl19rocblas_complex_numIfELi16ELi32ELi8ELi1ELi1ELb1ELc78ELc85EKS1_S1_EviT_PT9_S3_lS5_S3_lPT10_S3_li,"axG",@progbits,_ZL37rocblas_syrkx_herkx_restricted_kernelIl19rocblas_complex_numIfELi16ELi32ELi8ELi1ELi1ELb1ELc78ELc85EKS1_S1_EviT_PT9_S3_lS5_S3_lPT10_S3_li,comdat
	.globl	_ZL37rocblas_syrkx_herkx_restricted_kernelIl19rocblas_complex_numIfELi16ELi32ELi8ELi1ELi1ELb1ELc78ELc85EKS1_S1_EviT_PT9_S3_lS5_S3_lPT10_S3_li ; -- Begin function _ZL37rocblas_syrkx_herkx_restricted_kernelIl19rocblas_complex_numIfELi16ELi32ELi8ELi1ELi1ELb1ELc78ELc85EKS1_S1_EviT_PT9_S3_lS5_S3_lPT10_S3_li
	.p2align	8
	.type	_ZL37rocblas_syrkx_herkx_restricted_kernelIl19rocblas_complex_numIfELi16ELi32ELi8ELi1ELi1ELb1ELc78ELc85EKS1_S1_EviT_PT9_S3_lS5_S3_lPT10_S3_li,@function
_ZL37rocblas_syrkx_herkx_restricted_kernelIl19rocblas_complex_numIfELi16ELi32ELi8ELi1ELi1ELb1ELc78ELc85EKS1_S1_EviT_PT9_S3_lS5_S3_lPT10_S3_li: ; @_ZL37rocblas_syrkx_herkx_restricted_kernelIl19rocblas_complex_numIfELi16ELi32ELi8ELi1ELi1ELb1ELc78ELc85EKS1_S1_EviT_PT9_S3_lS5_S3_lPT10_S3_li
; %bb.0:
	s_load_dwordx16 s[12:27], s[4:5], 0x8
	s_lshl_b32 s9, s6, 5
	s_lshl_b32 s10, s7, 5
	s_waitcnt lgkmcnt(0)
	v_cmp_lt_i64_e64 s[0:1], s[12:13], 1
	s_and_b64 vcc, exec, s[0:1]
	s_cbranch_vccnz .LBB1239_3
; %bb.1:
	v_lshl_add_u32 v6, v1, 4, v0
	v_lshrrev_b32_e32 v7, 3, v6
	v_add_u32_e32 v2, s10, v7
	v_and_b32_e32 v5, 7, v0
	v_ashrrev_i32_e32 v3, 31, v2
	v_mad_u64_u32 v[2:3], s[0:1], s22, v5, v[2:3]
	v_lshrrev_b32_e32 v8, 5, v6
	s_mul_i32 s2, s19, s8
	v_mad_u64_u32 v[3:4], s[0:1], s23, v5, v[3:4]
	v_and_b32_e32 v4, 31, v6
	v_lshlrev_b32_e32 v5, 3, v5
	v_lshlrev_b32_e32 v6, 3, v4
	v_lshl_or_b32 v5, v7, 6, v5
	v_add_u32_e32 v4, s9, v4
	v_add_u32_e32 v11, 0x800, v5
	v_ashrrev_i32_e32 v5, 31, v4
	v_mad_u64_u32 v[4:5], s[0:1], s16, v8, v[4:5]
	v_lshl_or_b32 v10, v8, 8, v6
	v_mov_b32_e32 v6, 0x800
	v_lshl_add_u32 v13, v1, 6, v6
	v_mad_u64_u32 v[5:6], s[0:1], s17, v8, v[5:6]
	s_mul_hi_u32 s3, s18, s8
	s_add_i32 s1, s3, s2
	s_mul_i32 s0, s18, s8
	s_lshl_b64 s[0:1], s[0:1], 3
	v_lshlrev_b64 v[4:5], 3, v[4:5]
	s_add_u32 s0, s14, s0
	s_addc_u32 s1, s15, s1
	s_mul_i32 s2, s25, s8
	s_mul_hi_u32 s3, s24, s8
	v_mov_b32_e32 v6, s1
	v_add_co_u32_e32 v4, vcc, s0, v4
	s_add_i32 s3, s3, s2
	s_mul_i32 s2, s24, s8
	v_addc_co_u32_e32 v5, vcc, v6, v5, vcc
	s_lshl_b64 s[0:1], s[16:17], 6
	s_lshl_b64 s[2:3], s[2:3], 3
	v_add_co_u32_e32 v6, vcc, 4, v4
	v_lshlrev_b64 v[2:3], 3, v[2:3]
	s_add_u32 s2, s20, s2
	v_addc_co_u32_e32 v7, vcc, 0, v5, vcc
	s_addc_u32 s3, s21, s3
	v_mov_b32_e32 v4, s3
	v_add_co_u32_e32 v2, vcc, s2, v2
	v_addc_co_u32_e32 v3, vcc, v4, v3, vcc
	v_add_co_u32_e32 v8, vcc, 4, v2
	s_lshl_b64 s[2:3], s[22:23], 6
	v_lshlrev_b32_e32 v12, 3, v0
	v_addc_co_u32_e32 v9, vcc, 0, v3, vcc
	v_mov_b32_e32 v16, 0
	s_mov_b64 s[6:7], 0
	v_mov_b32_e32 v14, s1
	v_mov_b32_e32 v15, s3
	v_mov_b32_e32 v17, 0
	v_mov_b32_e32 v18, 0
	v_mov_b32_e32 v19, 0
	v_mov_b32_e32 v20, 0
	v_mov_b32_e32 v21, 0
	v_mov_b32_e32 v23, 0
	v_mov_b32_e32 v22, 0
.LBB1239_2:                             ; =>This Inner Loop Header: Depth=1
	global_load_dwordx2 v[2:3], v[6:7], off offset:-4
	v_add_co_u32_e32 v6, vcc, s0, v6
	s_add_u32 s6, s6, 8
	v_addc_co_u32_e32 v7, vcc, v7, v14, vcc
	s_addc_u32 s7, s7, 0
	s_waitcnt vmcnt(0)
	ds_write_b64 v10, v[2:3]
	global_load_dwordx2 v[2:3], v[8:9], off offset:-4
	v_add_co_u32_e32 v8, vcc, s2, v8
	v_addc_co_u32_e32 v9, vcc, v9, v15, vcc
	s_waitcnt vmcnt(0)
	v_xor_b32_e32 v3, 0x80000000, v3
	ds_write_b64 v11, v[2:3]
	s_waitcnt lgkmcnt(0)
	s_barrier
	ds_read_b128 v[24:27], v13
	ds_read_b128 v[28:31], v13 offset:16
	ds_read_b128 v[32:35], v13 offset:32
	;; [unrolled: 1-line block ×3, first 2 shown]
	ds_read2_b64 v[36:39], v12 offset1:16
	s_waitcnt lgkmcnt(0)
	v_mul_f32_e32 v40, v25, v37
	v_mul_f32_e32 v41, v24, v37
	v_fma_f32 v40, v24, v36, -v40
	v_fmac_f32_e32 v41, v25, v36
	v_add_f32_e32 v40, v22, v40
	v_add_f32_e32 v41, v23, v41
	v_mul_f32_e32 v22, v25, v39
	v_mul_f32_e32 v23, v24, v39
	v_fma_f32 v22, v24, v38, -v22
	v_fmac_f32_e32 v23, v25, v38
	v_add_f32_e32 v24, v21, v22
	v_add_f32_e32 v25, v20, v23
	ds_read_b128 v[20:23], v13 offset:1024
	s_waitcnt lgkmcnt(0)
	v_mul_f32_e32 v42, v21, v37
	v_mul_f32_e32 v37, v20, v37
	v_fma_f32 v42, v20, v36, -v42
	v_fmac_f32_e32 v37, v21, v36
	v_add_f32_e32 v36, v19, v42
	v_add_f32_e32 v37, v18, v37
	v_mul_f32_e32 v18, v21, v39
	v_mul_f32_e32 v19, v20, v39
	v_fma_f32 v18, v20, v38, -v18
	v_fmac_f32_e32 v19, v21, v38
	v_add_f32_e32 v20, v17, v18
	v_add_f32_e32 v21, v16, v19
	ds_read2_b64 v[16:19], v12 offset0:32 offset1:48
	s_waitcnt lgkmcnt(0)
	v_mul_f32_e32 v38, v27, v17
	v_fma_f32 v38, v26, v16, -v38
	v_add_f32_e32 v38, v40, v38
	v_mul_f32_e32 v40, v27, v19
	v_mul_f32_e32 v39, v26, v17
	v_fma_f32 v40, v26, v18, -v40
	v_mul_f32_e32 v26, v26, v19
	v_fmac_f32_e32 v26, v27, v18
	v_add_f32_e32 v25, v25, v26
	v_mul_f32_e32 v26, v23, v17
	v_mul_f32_e32 v17, v22, v17
	v_fmac_f32_e32 v17, v23, v16
	v_fmac_f32_e32 v39, v27, v16
	v_fma_f32 v26, v22, v16, -v26
	v_add_f32_e32 v27, v37, v17
	v_mul_f32_e32 v16, v23, v19
	v_mul_f32_e32 v17, v22, v19
	v_fma_f32 v16, v22, v18, -v16
	v_fmac_f32_e32 v17, v23, v18
	v_add_f32_e32 v26, v36, v26
	v_add_f32_e32 v36, v20, v16
	v_add_f32_e32 v37, v21, v17
	ds_read2_b64 v[16:19], v12 offset0:64 offset1:80
	v_add_f32_e32 v39, v41, v39
	v_add_f32_e32 v24, v24, v40
	s_waitcnt lgkmcnt(0)
	v_mul_f32_e32 v20, v29, v17
	v_mul_f32_e32 v21, v28, v17
	v_fma_f32 v20, v28, v16, -v20
	v_fmac_f32_e32 v21, v29, v16
	v_add_f32_e32 v38, v38, v20
	v_add_f32_e32 v39, v39, v21
	v_mul_f32_e32 v20, v29, v19
	v_mul_f32_e32 v21, v28, v19
	v_fma_f32 v20, v28, v18, -v20
	v_fmac_f32_e32 v21, v29, v18
	v_add_f32_e32 v24, v24, v20
	v_add_f32_e32 v25, v25, v21
	ds_read_b128 v[20:23], v13 offset:1040
	s_waitcnt lgkmcnt(0)
	v_mul_f32_e32 v28, v21, v17
	v_mul_f32_e32 v17, v20, v17
	v_fmac_f32_e32 v17, v21, v16
	v_fma_f32 v28, v20, v16, -v28
	v_add_f32_e32 v27, v27, v17
	v_mul_f32_e32 v16, v21, v19
	v_mul_f32_e32 v17, v20, v19
	v_fma_f32 v16, v20, v18, -v16
	v_fmac_f32_e32 v17, v21, v18
	v_add_f32_e32 v20, v36, v16
	v_add_f32_e32 v21, v37, v17
	ds_read2_b64 v[16:19], v12 offset0:96 offset1:112
	v_add_f32_e32 v26, v26, v28
	s_waitcnt lgkmcnt(0)
	v_mul_f32_e32 v28, v31, v17
	v_mul_f32_e32 v36, v31, v19
	v_fma_f32 v28, v30, v16, -v28
	v_mul_f32_e32 v29, v30, v17
	v_fma_f32 v36, v30, v18, -v36
	v_mul_f32_e32 v30, v30, v19
	v_fmac_f32_e32 v30, v31, v18
	v_add_f32_e32 v25, v25, v30
	v_mul_f32_e32 v30, v23, v17
	v_mul_f32_e32 v17, v22, v17
	v_fmac_f32_e32 v17, v23, v16
	v_fmac_f32_e32 v29, v31, v16
	v_fma_f32 v30, v22, v16, -v30
	v_add_f32_e32 v27, v27, v17
	v_mul_f32_e32 v16, v23, v19
	v_mul_f32_e32 v17, v22, v19
	v_fma_f32 v16, v22, v18, -v16
	v_fmac_f32_e32 v17, v23, v18
	v_add_f32_e32 v26, v26, v30
	v_add_f32_e32 v30, v20, v16
	;; [unrolled: 1-line block ×3, first 2 shown]
	ds_read2_b64 v[16:19], v12 offset0:128 offset1:144
	v_add_f32_e32 v28, v38, v28
	v_add_f32_e32 v29, v39, v29
	;; [unrolled: 1-line block ×3, first 2 shown]
	s_waitcnt lgkmcnt(0)
	v_mul_f32_e32 v20, v33, v17
	v_mul_f32_e32 v21, v32, v17
	v_fma_f32 v20, v32, v16, -v20
	v_fmac_f32_e32 v21, v33, v16
	v_add_f32_e32 v28, v28, v20
	v_add_f32_e32 v29, v29, v21
	v_mul_f32_e32 v20, v33, v19
	v_mul_f32_e32 v21, v32, v19
	v_fma_f32 v20, v32, v18, -v20
	v_fmac_f32_e32 v21, v33, v18
	v_add_f32_e32 v24, v24, v20
	v_add_f32_e32 v25, v25, v21
	ds_read_b128 v[20:23], v13 offset:1056
	s_waitcnt lgkmcnt(0)
	v_mul_f32_e32 v32, v21, v17
	v_mul_f32_e32 v17, v20, v17
	v_fmac_f32_e32 v17, v21, v16
	v_fma_f32 v32, v20, v16, -v32
	v_add_f32_e32 v27, v27, v17
	v_mul_f32_e32 v16, v21, v19
	v_mul_f32_e32 v17, v20, v19
	v_fma_f32 v16, v20, v18, -v16
	v_fmac_f32_e32 v17, v21, v18
	v_add_f32_e32 v20, v30, v16
	v_add_f32_e32 v21, v31, v17
	ds_read2_b64 v[16:19], v12 offset0:160 offset1:176
	v_add_f32_e32 v26, v26, v32
	s_waitcnt lgkmcnt(0)
	v_mul_f32_e32 v30, v35, v17
	v_fma_f32 v30, v34, v16, -v30
	v_add_f32_e32 v28, v28, v30
	v_mul_f32_e32 v30, v35, v19
	v_fma_f32 v30, v34, v18, -v30
	v_mul_f32_e32 v31, v34, v17
	v_add_f32_e32 v24, v24, v30
	v_mul_f32_e32 v30, v23, v17
	v_mul_f32_e32 v17, v22, v17
	v_fmac_f32_e32 v17, v23, v16
	v_fmac_f32_e32 v31, v35, v16
	v_fma_f32 v30, v22, v16, -v30
	v_add_f32_e32 v27, v27, v17
	v_mul_f32_e32 v16, v23, v19
	v_mul_f32_e32 v17, v22, v19
	v_add_f32_e32 v29, v29, v31
	v_mul_f32_e32 v31, v34, v19
	v_fma_f32 v16, v22, v18, -v16
	v_fmac_f32_e32 v17, v23, v18
	v_fmac_f32_e32 v31, v35, v18
	v_add_f32_e32 v20, v20, v16
	v_add_f32_e32 v21, v21, v17
	ds_read2_b64 v[16:19], v12 offset0:192 offset1:208
	v_add_f32_e32 v26, v26, v30
	v_add_f32_e32 v25, v25, v31
	s_waitcnt lgkmcnt(0)
	v_mul_f32_e32 v22, v3, v17
	v_fma_f32 v22, v2, v16, -v22
	v_add_f32_e32 v30, v28, v22
	v_mul_f32_e32 v22, v3, v19
	v_mul_f32_e32 v23, v2, v17
	v_fma_f32 v22, v2, v18, -v22
	v_mul_f32_e32 v2, v2, v19
	v_fmac_f32_e32 v23, v3, v16
	v_fmac_f32_e32 v2, v3, v18
	v_add_f32_e32 v31, v29, v23
	v_add_f32_e32 v3, v24, v22
	;; [unrolled: 1-line block ×3, first 2 shown]
	ds_read_b128 v[22:25], v13 offset:1072
	s_waitcnt lgkmcnt(0)
	v_mul_f32_e32 v28, v23, v17
	v_fma_f32 v28, v22, v16, -v28
	v_mul_f32_e32 v17, v22, v17
	v_fmac_f32_e32 v17, v23, v16
	v_add_f32_e32 v16, v26, v28
	v_mul_f32_e32 v26, v23, v19
	v_fma_f32 v26, v22, v18, -v26
	v_add_f32_e32 v17, v27, v17
	v_add_f32_e32 v32, v20, v26
	ds_read2_b64 v[26:29], v12 offset0:224 offset1:240
	v_mul_f32_e32 v19, v22, v19
	v_fmac_f32_e32 v19, v23, v18
	v_add_f32_e32 v33, v21, v19
	s_waitcnt lgkmcnt(0)
	v_mul_f32_e32 v18, v5, v27
	v_fma_f32 v18, v4, v26, -v18
	v_add_f32_e32 v22, v30, v18
	v_mul_f32_e32 v18, v5, v29
	v_mul_f32_e32 v19, v4, v27
	v_fma_f32 v18, v4, v28, -v18
	v_mul_f32_e32 v4, v4, v29
	v_fmac_f32_e32 v4, v5, v28
	v_add_f32_e32 v21, v3, v18
	v_add_f32_e32 v20, v2, v4
	v_mul_f32_e32 v2, v25, v27
	v_mul_f32_e32 v3, v24, v27
	v_fmac_f32_e32 v19, v5, v26
	v_fma_f32 v2, v24, v26, -v2
	v_fmac_f32_e32 v3, v25, v26
	v_add_f32_e32 v23, v31, v19
	v_add_f32_e32 v19, v16, v2
	;; [unrolled: 1-line block ×3, first 2 shown]
	v_mul_f32_e32 v2, v25, v29
	v_mul_f32_e32 v3, v24, v29
	v_fma_f32 v2, v24, v28, -v2
	v_fmac_f32_e32 v3, v25, v28
	v_add_f32_e32 v17, v32, v2
	v_add_f32_e32 v16, v33, v3
	v_mov_b32_e32 v2, s6
	v_mov_b32_e32 v3, s7
	v_cmp_le_u64_e32 vcc, s[12:13], v[2:3]
	s_barrier
	s_cbranch_vccz .LBB1239_2
	s_branch .LBB1239_4
.LBB1239_3:
	v_mov_b32_e32 v22, 0
	v_mov_b32_e32 v23, 0
	;; [unrolled: 1-line block ×8, first 2 shown]
.LBB1239_4:
	s_load_dwordx4 s[12:15], s[4:5], 0x48
	s_load_dword s6, s[4:5], 0x0
	v_add_u32_e32 v5, s10, v1
	v_ashrrev_i32_e32 v1, 31, v5
	v_add_u32_e32 v0, s9, v0
	s_waitcnt lgkmcnt(0)
	s_mul_i32 s1, s15, s8
	s_mul_hi_u32 s2, s14, s8
	s_add_i32 s1, s2, s1
	v_mul_lo_u32 v3, s12, v1
	v_mul_lo_u32 v4, s13, v5
	v_mad_u64_u32 v[1:2], s[2:3], s12, v5, 0
	s_mul_i32 s0, s14, s8
	s_lshl_b64 s[0:1], s[0:1], 3
	v_add3_u32 v2, v2, v3, v4
	s_add_u32 s4, s26, s0
	v_lshlrev_b64 v[1:2], 3, v[1:2]
	s_addc_u32 s5, s27, s1
	v_mov_b32_e32 v3, s5
	v_add_co_u32_e64 v4, s[0:1], s4, v1
	v_addc_co_u32_e64 v6, s[0:1], v3, v2, s[0:1]
	v_cmp_gt_i32_e32 vcc, s6, v5
	v_cmp_le_i32_e64 s[0:1], v0, v5
	s_and_b64 s[0:1], vcc, s[0:1]
	s_and_saveexec_b64 s[2:3], s[0:1]
	s_cbranch_execz .LBB1239_7
; %bb.5:
	v_ashrrev_i32_e32 v1, 31, v0
	v_lshlrev_b64 v[1:2], 3, v[0:1]
	v_add_co_u32_e64 v1, s[0:1], v4, v1
	v_addc_co_u32_e64 v2, s[0:1], v6, v2, s[0:1]
	global_load_dwordx2 v[7:8], v[1:2], off
	v_cmp_eq_u32_e64 s[0:1], v5, v0
	s_waitcnt vmcnt(0)
	v_add_f32_e32 v7, v22, v7
	v_add_f32_e32 v8, v23, v8
	global_store_dwordx2 v[1:2], v[7:8], off
	s_and_b64 exec, exec, s[0:1]
	s_cbranch_execz .LBB1239_7
; %bb.6:
	v_mov_b32_e32 v3, 0
	global_store_dword v[1:2], v3, off offset:4
.LBB1239_7:
	s_or_b64 exec, exec, s[2:3]
	v_add_u32_e32 v2, 16, v0
	v_cmp_le_i32_e64 s[0:1], v2, v5
	s_and_b64 s[2:3], vcc, s[0:1]
	s_and_saveexec_b64 s[0:1], s[2:3]
	s_cbranch_execz .LBB1239_10
; %bb.8:
	v_ashrrev_i32_e32 v3, 31, v2
	v_lshlrev_b64 v[7:8], 3, v[2:3]
	v_add_co_u32_e32 v3, vcc, v4, v7
	v_addc_co_u32_e32 v4, vcc, v6, v8, vcc
	global_load_dwordx2 v[6:7], v[3:4], off
	v_cmp_eq_u32_e32 vcc, v5, v2
	s_waitcnt vmcnt(0)
	v_add_f32_e32 v6, v21, v6
	v_add_f32_e32 v7, v20, v7
	global_store_dwordx2 v[3:4], v[6:7], off
	s_and_b64 exec, exec, vcc
	s_cbranch_execz .LBB1239_10
; %bb.9:
	v_mov_b32_e32 v1, 0
	global_store_dword v[3:4], v1, off offset:4
.LBB1239_10:
	s_or_b64 exec, exec, s[0:1]
	v_add_u32_e32 v6, 16, v5
	v_ashrrev_i32_e32 v1, 31, v6
	v_mul_lo_u32 v1, s12, v1
	v_mul_lo_u32 v7, s13, v6
	v_mad_u64_u32 v[3:4], s[0:1], s12, v6, 0
	v_cmp_gt_i32_e32 vcc, s6, v6
	v_add3_u32 v4, v4, v1, v7
	v_lshlrev_b64 v[3:4], 3, v[3:4]
	v_mov_b32_e32 v1, s5
	v_add_co_u32_e64 v7, s[0:1], s4, v3
	v_addc_co_u32_e64 v8, s[0:1], v1, v4, s[0:1]
	v_cmp_le_i32_e64 s[0:1], v0, v6
	s_and_b64 s[0:1], vcc, s[0:1]
	s_and_saveexec_b64 s[2:3], s[0:1]
	s_cbranch_execz .LBB1239_13
; %bb.11:
	v_ashrrev_i32_e32 v1, 31, v0
	v_lshlrev_b64 v[3:4], 3, v[0:1]
	v_add_co_u32_e64 v3, s[0:1], v7, v3
	v_addc_co_u32_e64 v4, s[0:1], v8, v4, s[0:1]
	global_load_dwordx2 v[9:10], v[3:4], off
	v_cmp_eq_u32_e64 s[0:1], v6, v0
	s_waitcnt vmcnt(0)
	v_add_f32_e32 v9, v19, v9
	v_add_f32_e32 v10, v18, v10
	global_store_dwordx2 v[3:4], v[9:10], off
	s_and_b64 exec, exec, s[0:1]
	s_cbranch_execz .LBB1239_13
; %bb.12:
	v_mov_b32_e32 v1, 0
	global_store_dword v[3:4], v1, off offset:4
.LBB1239_13:
	s_or_b64 exec, exec, s[2:3]
	v_cmp_le_i32_e64 s[0:1], v2, v6
	s_and_b64 s[0:1], vcc, s[0:1]
	s_and_saveexec_b64 s[2:3], s[0:1]
	s_cbranch_execz .LBB1239_16
; %bb.14:
	v_ashrrev_i32_e32 v3, 31, v2
	v_lshlrev_b64 v[1:2], 3, v[2:3]
	v_add_co_u32_e32 v1, vcc, v7, v1
	v_addc_co_u32_e32 v2, vcc, v8, v2, vcc
	global_load_dwordx2 v[3:4], v[1:2], off
	v_cmp_eq_u32_e32 vcc, v5, v0
	s_waitcnt vmcnt(0)
	v_add_f32_e32 v3, v17, v3
	v_add_f32_e32 v4, v16, v4
	global_store_dwordx2 v[1:2], v[3:4], off
	s_and_b64 exec, exec, vcc
	s_cbranch_execz .LBB1239_16
; %bb.15:
	v_mov_b32_e32 v0, 0
	global_store_dword v[1:2], v0, off offset:4
.LBB1239_16:
	s_endpgm
	.section	.rodata,"a",@progbits
	.p2align	6, 0x0
	.amdhsa_kernel _ZL37rocblas_syrkx_herkx_restricted_kernelIl19rocblas_complex_numIfELi16ELi32ELi8ELi1ELi1ELb1ELc78ELc85EKS1_S1_EviT_PT9_S3_lS5_S3_lPT10_S3_li
		.amdhsa_group_segment_fixed_size 4096
		.amdhsa_private_segment_fixed_size 0
		.amdhsa_kernarg_size 92
		.amdhsa_user_sgpr_count 6
		.amdhsa_user_sgpr_private_segment_buffer 1
		.amdhsa_user_sgpr_dispatch_ptr 0
		.amdhsa_user_sgpr_queue_ptr 0
		.amdhsa_user_sgpr_kernarg_segment_ptr 1
		.amdhsa_user_sgpr_dispatch_id 0
		.amdhsa_user_sgpr_flat_scratch_init 0
		.amdhsa_user_sgpr_private_segment_size 0
		.amdhsa_uses_dynamic_stack 0
		.amdhsa_system_sgpr_private_segment_wavefront_offset 0
		.amdhsa_system_sgpr_workgroup_id_x 1
		.amdhsa_system_sgpr_workgroup_id_y 1
		.amdhsa_system_sgpr_workgroup_id_z 1
		.amdhsa_system_sgpr_workgroup_info 0
		.amdhsa_system_vgpr_workitem_id 1
		.amdhsa_next_free_vgpr 43
		.amdhsa_next_free_sgpr 28
		.amdhsa_reserve_vcc 1
		.amdhsa_reserve_flat_scratch 0
		.amdhsa_float_round_mode_32 0
		.amdhsa_float_round_mode_16_64 0
		.amdhsa_float_denorm_mode_32 3
		.amdhsa_float_denorm_mode_16_64 3
		.amdhsa_dx10_clamp 1
		.amdhsa_ieee_mode 1
		.amdhsa_fp16_overflow 0
		.amdhsa_exception_fp_ieee_invalid_op 0
		.amdhsa_exception_fp_denorm_src 0
		.amdhsa_exception_fp_ieee_div_zero 0
		.amdhsa_exception_fp_ieee_overflow 0
		.amdhsa_exception_fp_ieee_underflow 0
		.amdhsa_exception_fp_ieee_inexact 0
		.amdhsa_exception_int_div_zero 0
	.end_amdhsa_kernel
	.section	.text._ZL37rocblas_syrkx_herkx_restricted_kernelIl19rocblas_complex_numIfELi16ELi32ELi8ELi1ELi1ELb1ELc78ELc85EKS1_S1_EviT_PT9_S3_lS5_S3_lPT10_S3_li,"axG",@progbits,_ZL37rocblas_syrkx_herkx_restricted_kernelIl19rocblas_complex_numIfELi16ELi32ELi8ELi1ELi1ELb1ELc78ELc85EKS1_S1_EviT_PT9_S3_lS5_S3_lPT10_S3_li,comdat
.Lfunc_end1239:
	.size	_ZL37rocblas_syrkx_herkx_restricted_kernelIl19rocblas_complex_numIfELi16ELi32ELi8ELi1ELi1ELb1ELc78ELc85EKS1_S1_EviT_PT9_S3_lS5_S3_lPT10_S3_li, .Lfunc_end1239-_ZL37rocblas_syrkx_herkx_restricted_kernelIl19rocblas_complex_numIfELi16ELi32ELi8ELi1ELi1ELb1ELc78ELc85EKS1_S1_EviT_PT9_S3_lS5_S3_lPT10_S3_li
                                        ; -- End function
	.set _ZL37rocblas_syrkx_herkx_restricted_kernelIl19rocblas_complex_numIfELi16ELi32ELi8ELi1ELi1ELb1ELc78ELc85EKS1_S1_EviT_PT9_S3_lS5_S3_lPT10_S3_li.num_vgpr, 43
	.set _ZL37rocblas_syrkx_herkx_restricted_kernelIl19rocblas_complex_numIfELi16ELi32ELi8ELi1ELi1ELb1ELc78ELc85EKS1_S1_EviT_PT9_S3_lS5_S3_lPT10_S3_li.num_agpr, 0
	.set _ZL37rocblas_syrkx_herkx_restricted_kernelIl19rocblas_complex_numIfELi16ELi32ELi8ELi1ELi1ELb1ELc78ELc85EKS1_S1_EviT_PT9_S3_lS5_S3_lPT10_S3_li.numbered_sgpr, 28
	.set _ZL37rocblas_syrkx_herkx_restricted_kernelIl19rocblas_complex_numIfELi16ELi32ELi8ELi1ELi1ELb1ELc78ELc85EKS1_S1_EviT_PT9_S3_lS5_S3_lPT10_S3_li.num_named_barrier, 0
	.set _ZL37rocblas_syrkx_herkx_restricted_kernelIl19rocblas_complex_numIfELi16ELi32ELi8ELi1ELi1ELb1ELc78ELc85EKS1_S1_EviT_PT9_S3_lS5_S3_lPT10_S3_li.private_seg_size, 0
	.set _ZL37rocblas_syrkx_herkx_restricted_kernelIl19rocblas_complex_numIfELi16ELi32ELi8ELi1ELi1ELb1ELc78ELc85EKS1_S1_EviT_PT9_S3_lS5_S3_lPT10_S3_li.uses_vcc, 1
	.set _ZL37rocblas_syrkx_herkx_restricted_kernelIl19rocblas_complex_numIfELi16ELi32ELi8ELi1ELi1ELb1ELc78ELc85EKS1_S1_EviT_PT9_S3_lS5_S3_lPT10_S3_li.uses_flat_scratch, 0
	.set _ZL37rocblas_syrkx_herkx_restricted_kernelIl19rocblas_complex_numIfELi16ELi32ELi8ELi1ELi1ELb1ELc78ELc85EKS1_S1_EviT_PT9_S3_lS5_S3_lPT10_S3_li.has_dyn_sized_stack, 0
	.set _ZL37rocblas_syrkx_herkx_restricted_kernelIl19rocblas_complex_numIfELi16ELi32ELi8ELi1ELi1ELb1ELc78ELc85EKS1_S1_EviT_PT9_S3_lS5_S3_lPT10_S3_li.has_recursion, 0
	.set _ZL37rocblas_syrkx_herkx_restricted_kernelIl19rocblas_complex_numIfELi16ELi32ELi8ELi1ELi1ELb1ELc78ELc85EKS1_S1_EviT_PT9_S3_lS5_S3_lPT10_S3_li.has_indirect_call, 0
	.section	.AMDGPU.csdata,"",@progbits
; Kernel info:
; codeLenInByte = 2140
; TotalNumSgprs: 32
; NumVgprs: 43
; ScratchSize: 0
; MemoryBound: 0
; FloatMode: 240
; IeeeMode: 1
; LDSByteSize: 4096 bytes/workgroup (compile time only)
; SGPRBlocks: 3
; VGPRBlocks: 10
; NumSGPRsForWavesPerEU: 32
; NumVGPRsForWavesPerEU: 43
; Occupancy: 5
; WaveLimiterHint : 1
; COMPUTE_PGM_RSRC2:SCRATCH_EN: 0
; COMPUTE_PGM_RSRC2:USER_SGPR: 6
; COMPUTE_PGM_RSRC2:TRAP_HANDLER: 0
; COMPUTE_PGM_RSRC2:TGID_X_EN: 1
; COMPUTE_PGM_RSRC2:TGID_Y_EN: 1
; COMPUTE_PGM_RSRC2:TGID_Z_EN: 1
; COMPUTE_PGM_RSRC2:TIDIG_COMP_CNT: 1
	.section	.text._ZL37rocblas_syrkx_herkx_restricted_kernelIl19rocblas_complex_numIfELi16ELi32ELi8ELi1ELin1ELb1ELc84ELc76EKS1_S1_EviT_PT9_S3_lS5_S3_lPT10_S3_li,"axG",@progbits,_ZL37rocblas_syrkx_herkx_restricted_kernelIl19rocblas_complex_numIfELi16ELi32ELi8ELi1ELin1ELb1ELc84ELc76EKS1_S1_EviT_PT9_S3_lS5_S3_lPT10_S3_li,comdat
	.globl	_ZL37rocblas_syrkx_herkx_restricted_kernelIl19rocblas_complex_numIfELi16ELi32ELi8ELi1ELin1ELb1ELc84ELc76EKS1_S1_EviT_PT9_S3_lS5_S3_lPT10_S3_li ; -- Begin function _ZL37rocblas_syrkx_herkx_restricted_kernelIl19rocblas_complex_numIfELi16ELi32ELi8ELi1ELin1ELb1ELc84ELc76EKS1_S1_EviT_PT9_S3_lS5_S3_lPT10_S3_li
	.p2align	8
	.type	_ZL37rocblas_syrkx_herkx_restricted_kernelIl19rocblas_complex_numIfELi16ELi32ELi8ELi1ELin1ELb1ELc84ELc76EKS1_S1_EviT_PT9_S3_lS5_S3_lPT10_S3_li,@function
_ZL37rocblas_syrkx_herkx_restricted_kernelIl19rocblas_complex_numIfELi16ELi32ELi8ELi1ELin1ELb1ELc84ELc76EKS1_S1_EviT_PT9_S3_lS5_S3_lPT10_S3_li: ; @_ZL37rocblas_syrkx_herkx_restricted_kernelIl19rocblas_complex_numIfELi16ELi32ELi8ELi1ELin1ELb1ELc84ELc76EKS1_S1_EviT_PT9_S3_lS5_S3_lPT10_S3_li
; %bb.0:
	s_load_dwordx16 s[12:27], s[4:5], 0x8
	s_lshl_b32 s2, s6, 5
	s_lshl_b32 s3, s7, 5
	s_waitcnt lgkmcnt(0)
	v_cmp_lt_i64_e64 s[0:1], s[12:13], 1
	s_and_b64 vcc, exec, s[0:1]
	s_cbranch_vccnz .LBB1240_3
; %bb.1:
	v_lshl_add_u32 v4, v1, 4, v0
	v_lshrrev_b32_e32 v6, 3, v4
	v_add_u32_e32 v2, s3, v6
	v_ashrrev_i32_e32 v3, 31, v2
	v_and_b32_e32 v9, 7, v0
	v_mov_b32_e32 v10, 0
	v_mul_lo_u32 v5, s22, v3
	v_mul_lo_u32 v7, s23, v2
	v_mad_u64_u32 v[2:3], s[0:1], s22, v2, v[9:10]
	s_mul_i32 s6, s19, s8
	s_mul_hi_u32 s7, s18, s8
	v_add3_u32 v3, v7, v3, v5
	v_and_b32_e32 v7, 31, v4
	v_lshrrev_b32_e32 v4, 5, v4
	v_lshlrev_b32_e32 v8, 3, v7
	v_lshl_or_b32 v11, v4, 8, v8
	v_lshlrev_b32_e32 v8, 3, v9
	v_lshl_or_b32 v6, v6, 6, v8
	v_add_u32_e32 v12, 0x800, v6
	v_mov_b32_e32 v6, 0x800
	v_lshl_add_u32 v14, v1, 6, v6
	v_add_u32_e32 v6, s2, v7
	v_mov_b32_e32 v5, v10
	v_ashrrev_i32_e32 v7, 31, v6
	v_mul_lo_u32 v7, s16, v7
	v_mad_u64_u32 v[4:5], s[0:1], s16, v6, v[4:5]
	v_mul_lo_u32 v6, s17, v6
	s_add_i32 s1, s7, s6
	s_mul_i32 s0, s18, s8
	s_lshl_b64 s[0:1], s[0:1], 3
	v_add3_u32 v5, v6, v5, v7
	v_lshlrev_b64 v[4:5], 3, v[4:5]
	s_add_u32 s0, s14, s0
	s_addc_u32 s1, s15, s1
	v_mov_b32_e32 v6, s1
	v_add_co_u32_e32 v4, vcc, s0, v4
	s_mul_i32 s0, s25, s8
	s_mul_hi_u32 s1, s24, s8
	s_add_i32 s1, s1, s0
	s_mul_i32 s0, s24, s8
	v_addc_co_u32_e32 v5, vcc, v6, v5, vcc
	s_lshl_b64 s[0:1], s[0:1], 3
	v_add_co_u32_e32 v6, vcc, 4, v4
	v_lshlrev_b64 v[2:3], 3, v[2:3]
	s_add_u32 s0, s20, s0
	v_addc_co_u32_e32 v7, vcc, 0, v5, vcc
	s_addc_u32 s1, s21, s1
	v_mov_b32_e32 v4, s1
	v_add_co_u32_e32 v2, vcc, s0, v2
	v_addc_co_u32_e32 v3, vcc, v4, v3, vcc
	v_add_co_u32_e32 v8, vcc, 4, v2
	v_lshlrev_b32_e32 v13, 3, v0
	v_addc_co_u32_e32 v9, vcc, 0, v3, vcc
	s_mov_b64 s[0:1], 0
	v_mov_b32_e32 v15, v10
	v_mov_b32_e32 v16, v10
	v_mov_b32_e32 v17, v10
	v_mov_b32_e32 v18, v10
	v_mov_b32_e32 v19, v10
	v_mov_b32_e32 v21, v10
	v_mov_b32_e32 v20, v10
.LBB1240_2:                             ; =>This Inner Loop Header: Depth=1
	global_load_dwordx2 v[2:3], v[6:7], off offset:-4
	s_add_u32 s0, s0, 8
	v_add_co_u32_e32 v6, vcc, 64, v6
	s_addc_u32 s1, s1, 0
	v_addc_co_u32_e32 v7, vcc, 0, v7, vcc
	s_waitcnt vmcnt(0)
	ds_write_b64 v11, v[2:3]
	global_load_dwordx2 v[2:3], v[8:9], off offset:-4
	v_add_co_u32_e32 v8, vcc, 64, v8
	v_addc_co_u32_e32 v9, vcc, 0, v9, vcc
	s_waitcnt vmcnt(0)
	ds_write_b64 v12, v[2:3]
	s_waitcnt lgkmcnt(0)
	s_barrier
	ds_read_b128 v[22:25], v14
	ds_read_b128 v[26:29], v14 offset:16
	ds_read_b128 v[30:33], v14 offset:32
	;; [unrolled: 1-line block ×3, first 2 shown]
	ds_read2_b64 v[34:37], v13 offset1:16
	s_waitcnt lgkmcnt(0)
	v_mul_f32_e32 v38, v23, v35
	v_mul_f32_e32 v39, v22, v35
	v_fma_f32 v38, v22, v34, -v38
	v_fmac_f32_e32 v39, v23, v34
	v_add_f32_e32 v38, v20, v38
	v_add_f32_e32 v39, v21, v39
	v_mul_f32_e32 v20, v23, v37
	v_mul_f32_e32 v21, v22, v37
	v_fma_f32 v20, v22, v36, -v20
	v_fmac_f32_e32 v21, v23, v36
	v_add_f32_e32 v22, v19, v20
	v_add_f32_e32 v23, v18, v21
	ds_read_b128 v[18:21], v14 offset:1024
	s_waitcnt lgkmcnt(0)
	v_mul_f32_e32 v40, v19, v35
	v_mul_f32_e32 v35, v18, v35
	v_fma_f32 v40, v18, v34, -v40
	v_fmac_f32_e32 v35, v19, v34
	v_add_f32_e32 v34, v17, v40
	v_add_f32_e32 v35, v16, v35
	v_mul_f32_e32 v16, v19, v37
	v_mul_f32_e32 v17, v18, v37
	v_fma_f32 v16, v18, v36, -v16
	v_fmac_f32_e32 v17, v19, v36
	v_add_f32_e32 v19, v15, v16
	v_add_f32_e32 v10, v10, v17
	ds_read2_b64 v[15:18], v13 offset0:32 offset1:48
	s_waitcnt lgkmcnt(0)
	v_mul_f32_e32 v36, v25, v16
	v_fma_f32 v36, v24, v15, -v36
	v_add_f32_e32 v36, v38, v36
	v_mul_f32_e32 v38, v25, v18
	v_mul_f32_e32 v37, v24, v16
	v_fma_f32 v38, v24, v17, -v38
	v_mul_f32_e32 v24, v24, v18
	v_fmac_f32_e32 v24, v25, v17
	v_add_f32_e32 v23, v23, v24
	v_mul_f32_e32 v24, v21, v16
	v_mul_f32_e32 v16, v20, v16
	v_fmac_f32_e32 v16, v21, v15
	v_fmac_f32_e32 v37, v25, v15
	v_fma_f32 v24, v20, v15, -v24
	v_add_f32_e32 v25, v35, v16
	v_mul_f32_e32 v15, v21, v18
	v_mul_f32_e32 v16, v20, v18
	v_fma_f32 v15, v20, v17, -v15
	v_fmac_f32_e32 v16, v21, v17
	v_add_f32_e32 v24, v34, v24
	v_add_f32_e32 v34, v19, v15
	;; [unrolled: 1-line block ×3, first 2 shown]
	ds_read2_b64 v[15:18], v13 offset0:64 offset1:80
	v_add_f32_e32 v37, v39, v37
	v_add_f32_e32 v22, v22, v38
	s_waitcnt lgkmcnt(0)
	v_mul_f32_e32 v19, v27, v16
	v_mul_f32_e32 v20, v26, v16
	v_fma_f32 v19, v26, v15, -v19
	v_fmac_f32_e32 v20, v27, v15
	v_add_f32_e32 v35, v36, v19
	v_add_f32_e32 v36, v37, v20
	v_mul_f32_e32 v19, v27, v18
	v_mul_f32_e32 v20, v26, v18
	v_fma_f32 v19, v26, v17, -v19
	v_fmac_f32_e32 v20, v27, v17
	v_add_f32_e32 v26, v22, v19
	v_add_f32_e32 v23, v23, v20
	ds_read_b128 v[19:22], v14 offset:1040
	s_waitcnt lgkmcnt(0)
	v_mul_f32_e32 v27, v20, v16
	v_mul_f32_e32 v16, v19, v16
	v_fmac_f32_e32 v16, v20, v15
	v_fma_f32 v27, v19, v15, -v27
	v_add_f32_e32 v25, v25, v16
	v_mul_f32_e32 v15, v20, v18
	v_mul_f32_e32 v16, v19, v18
	v_fma_f32 v15, v19, v17, -v15
	v_fmac_f32_e32 v16, v20, v17
	v_add_f32_e32 v19, v34, v15
	v_add_f32_e32 v10, v10, v16
	ds_read2_b64 v[15:18], v13 offset0:96 offset1:112
	v_add_f32_e32 v24, v24, v27
	s_waitcnt lgkmcnt(0)
	v_mul_f32_e32 v20, v29, v16
	v_mul_f32_e32 v34, v29, v18
	v_fma_f32 v20, v28, v15, -v20
	v_mul_f32_e32 v27, v28, v16
	v_fma_f32 v34, v28, v17, -v34
	v_mul_f32_e32 v28, v28, v18
	v_fmac_f32_e32 v28, v29, v17
	v_add_f32_e32 v23, v23, v28
	v_mul_f32_e32 v28, v22, v16
	v_mul_f32_e32 v16, v21, v16
	v_fmac_f32_e32 v16, v22, v15
	v_fmac_f32_e32 v27, v29, v15
	v_fma_f32 v28, v21, v15, -v28
	v_add_f32_e32 v25, v25, v16
	v_mul_f32_e32 v15, v22, v18
	v_mul_f32_e32 v16, v21, v18
	v_fma_f32 v15, v21, v17, -v15
	v_fmac_f32_e32 v16, v22, v17
	v_add_f32_e32 v24, v24, v28
	v_add_f32_e32 v28, v19, v15
	;; [unrolled: 1-line block ×3, first 2 shown]
	ds_read2_b64 v[15:18], v13 offset0:128 offset1:144
	v_add_f32_e32 v20, v35, v20
	v_add_f32_e32 v27, v36, v27
	;; [unrolled: 1-line block ×3, first 2 shown]
	s_waitcnt lgkmcnt(0)
	v_mul_f32_e32 v19, v31, v16
	v_fma_f32 v19, v30, v15, -v19
	v_mul_f32_e32 v21, v30, v16
	v_add_f32_e32 v29, v20, v19
	v_mul_f32_e32 v19, v31, v18
	v_mul_f32_e32 v20, v30, v18
	v_fmac_f32_e32 v21, v31, v15
	v_fma_f32 v19, v30, v17, -v19
	v_fmac_f32_e32 v20, v31, v17
	v_add_f32_e32 v27, v27, v21
	v_add_f32_e32 v26, v26, v19
	;; [unrolled: 1-line block ×3, first 2 shown]
	ds_read_b128 v[19:22], v14 offset:1056
	s_waitcnt lgkmcnt(0)
	v_mul_f32_e32 v30, v20, v16
	v_mul_f32_e32 v16, v19, v16
	v_fmac_f32_e32 v16, v20, v15
	v_fma_f32 v30, v19, v15, -v30
	v_add_f32_e32 v25, v25, v16
	v_mul_f32_e32 v15, v20, v18
	v_mul_f32_e32 v16, v19, v18
	v_fma_f32 v15, v19, v17, -v15
	v_fmac_f32_e32 v16, v20, v17
	v_add_f32_e32 v19, v28, v15
	v_add_f32_e32 v10, v10, v16
	ds_read2_b64 v[15:18], v13 offset0:160 offset1:176
	v_add_f32_e32 v24, v24, v30
	s_waitcnt lgkmcnt(0)
	v_mul_f32_e32 v28, v32, v16
	v_fmac_f32_e32 v28, v33, v15
	v_add_f32_e32 v27, v27, v28
	v_mul_f32_e32 v28, v33, v18
	v_fma_f32 v28, v32, v17, -v28
	v_mul_f32_e32 v20, v33, v16
	v_add_f32_e32 v26, v26, v28
	v_mul_f32_e32 v28, v22, v16
	v_mul_f32_e32 v16, v21, v16
	v_fmac_f32_e32 v16, v22, v15
	v_fma_f32 v20, v32, v15, -v20
	v_fma_f32 v28, v21, v15, -v28
	v_add_f32_e32 v25, v25, v16
	v_mul_f32_e32 v15, v22, v18
	v_mul_f32_e32 v16, v21, v18
	v_add_f32_e32 v20, v29, v20
	v_mul_f32_e32 v29, v32, v18
	v_fma_f32 v15, v21, v17, -v15
	v_fmac_f32_e32 v16, v22, v17
	v_fmac_f32_e32 v29, v33, v17
	v_add_f32_e32 v19, v19, v15
	v_add_f32_e32 v10, v10, v16
	ds_read2_b64 v[15:18], v13 offset0:192 offset1:208
	v_add_f32_e32 v24, v24, v28
	v_add_f32_e32 v23, v23, v29
	s_waitcnt lgkmcnt(0)
	v_mul_f32_e32 v21, v3, v16
	v_fma_f32 v21, v2, v15, -v21
	v_add_f32_e32 v28, v20, v21
	v_mul_f32_e32 v20, v3, v18
	v_mul_f32_e32 v22, v2, v16
	v_fma_f32 v20, v2, v17, -v20
	v_mul_f32_e32 v2, v2, v18
	v_fmac_f32_e32 v22, v3, v15
	v_fmac_f32_e32 v2, v3, v17
	v_add_f32_e32 v29, v27, v22
	v_add_f32_e32 v3, v26, v20
	;; [unrolled: 1-line block ×3, first 2 shown]
	ds_read_b128 v[20:23], v14 offset:1072
	s_waitcnt lgkmcnt(0)
	v_mul_f32_e32 v26, v21, v16
	v_fma_f32 v26, v20, v15, -v26
	v_mul_f32_e32 v16, v20, v16
	v_fmac_f32_e32 v16, v21, v15
	v_add_f32_e32 v15, v24, v26
	v_mul_f32_e32 v24, v21, v18
	v_fma_f32 v24, v20, v17, -v24
	v_add_f32_e32 v16, v25, v16
	v_add_f32_e32 v30, v19, v24
	ds_read2_b64 v[24:27], v13 offset0:224 offset1:240
	v_mul_f32_e32 v18, v20, v18
	v_fmac_f32_e32 v18, v21, v17
	v_add_f32_e32 v10, v10, v18
	s_waitcnt lgkmcnt(0)
	v_mul_f32_e32 v17, v5, v25
	v_fma_f32 v17, v4, v24, -v17
	v_add_f32_e32 v20, v28, v17
	v_mul_f32_e32 v17, v5, v27
	v_mul_f32_e32 v18, v4, v25
	v_fma_f32 v17, v4, v26, -v17
	v_mul_f32_e32 v4, v4, v27
	v_fmac_f32_e32 v18, v5, v24
	v_fmac_f32_e32 v4, v5, v26
	v_add_f32_e32 v21, v29, v18
	v_add_f32_e32 v19, v3, v17
	;; [unrolled: 1-line block ×3, first 2 shown]
	v_mul_f32_e32 v2, v23, v25
	v_mul_f32_e32 v3, v22, v25
	v_fma_f32 v2, v22, v24, -v2
	v_fmac_f32_e32 v3, v23, v24
	v_add_f32_e32 v17, v15, v2
	v_add_f32_e32 v16, v16, v3
	v_mul_f32_e32 v2, v23, v27
	v_mul_f32_e32 v3, v22, v27
	v_fma_f32 v2, v22, v26, -v2
	v_fmac_f32_e32 v3, v23, v26
	v_add_f32_e32 v15, v30, v2
	v_add_f32_e32 v10, v10, v3
	v_mov_b32_e32 v3, s1
	v_mov_b32_e32 v2, s0
	v_cmp_le_u64_e32 vcc, s[12:13], v[2:3]
	s_barrier
	s_cbranch_vccz .LBB1240_2
	s_branch .LBB1240_4
.LBB1240_3:
	v_mov_b32_e32 v20, 0
	v_mov_b32_e32 v21, 0
	;; [unrolled: 1-line block ×8, first 2 shown]
.LBB1240_4:
	s_load_dwordx4 s[12:15], s[4:5], 0x48
	s_load_dword s9, s[4:5], 0x0
	v_add_u32_e32 v5, s3, v1
	v_ashrrev_i32_e32 v1, 31, v5
	v_add_u32_e32 v0, s2, v0
	s_waitcnt lgkmcnt(0)
	v_mul_lo_u32 v3, s12, v1
	v_mul_lo_u32 v4, s13, v5
	v_mad_u64_u32 v[1:2], s[4:5], s12, v5, 0
	s_mul_i32 s1, s15, s8
	s_mul_hi_u32 s3, s14, s8
	s_mul_i32 s0, s14, s8
	s_add_i32 s1, s3, s1
	s_lshl_b64 s[0:1], s[0:1], 3
	v_add3_u32 v2, v2, v3, v4
	s_add_u32 s6, s26, s0
	v_lshlrev_b64 v[1:2], 3, v[1:2]
	s_addc_u32 s7, s27, s1
	v_mov_b32_e32 v3, s7
	v_add_co_u32_e32 v4, vcc, s6, v1
	v_addc_co_u32_e32 v6, vcc, v3, v2, vcc
	v_cmp_le_i32_e64 s[0:1], v5, v0
	v_cmp_gt_i32_e32 vcc, s9, v0
	s_and_b64 s[0:1], s[0:1], vcc
	s_and_saveexec_b64 s[2:3], s[0:1]
	s_cbranch_execz .LBB1240_7
; %bb.5:
	v_ashrrev_i32_e32 v1, 31, v0
	v_lshlrev_b64 v[1:2], 3, v[0:1]
	v_add_co_u32_e64 v1, s[0:1], v4, v1
	v_addc_co_u32_e64 v2, s[0:1], v6, v2, s[0:1]
	global_load_dwordx2 v[7:8], v[1:2], off
	v_cmp_eq_u32_e64 s[0:1], v5, v0
	s_waitcnt vmcnt(0)
	v_sub_f32_e32 v7, v20, v7
	v_sub_f32_e32 v8, v21, v8
	global_store_dwordx2 v[1:2], v[7:8], off
	s_and_b64 exec, exec, s[0:1]
	s_cbranch_execz .LBB1240_7
; %bb.6:
	v_mov_b32_e32 v3, 0
	global_store_dword v[1:2], v3, off offset:4
.LBB1240_7:
	s_or_b64 exec, exec, s[2:3]
	v_add_u32_e32 v2, 16, v0
	v_cmp_le_i32_e64 s[2:3], v5, v2
	v_cmp_gt_i32_e64 s[0:1], s9, v2
	s_and_b64 s[2:3], s[2:3], s[0:1]
	s_and_saveexec_b64 s[4:5], s[2:3]
	s_cbranch_execz .LBB1240_10
; %bb.8:
	v_ashrrev_i32_e32 v3, 31, v2
	v_lshlrev_b64 v[7:8], 3, v[2:3]
	v_add_co_u32_e64 v3, s[2:3], v4, v7
	v_addc_co_u32_e64 v4, s[2:3], v6, v8, s[2:3]
	global_load_dwordx2 v[6:7], v[3:4], off
	v_cmp_eq_u32_e64 s[2:3], v5, v2
	s_waitcnt vmcnt(0)
	v_sub_f32_e32 v6, v19, v6
	v_sub_f32_e32 v7, v18, v7
	global_store_dwordx2 v[3:4], v[6:7], off
	s_and_b64 exec, exec, s[2:3]
	s_cbranch_execz .LBB1240_10
; %bb.9:
	v_mov_b32_e32 v1, 0
	global_store_dword v[3:4], v1, off offset:4
.LBB1240_10:
	s_or_b64 exec, exec, s[4:5]
	v_add_u32_e32 v6, 16, v5
	v_ashrrev_i32_e32 v1, 31, v6
	v_mul_lo_u32 v7, s13, v6
	v_mad_u64_u32 v[3:4], s[2:3], s12, v6, 0
	v_mul_lo_u32 v1, s12, v1
	v_add3_u32 v4, v4, v1, v7
	v_lshlrev_b64 v[3:4], 3, v[3:4]
	v_mov_b32_e32 v1, s7
	v_add_co_u32_e64 v7, s[2:3], s6, v3
	v_addc_co_u32_e64 v8, s[2:3], v1, v4, s[2:3]
	v_cmp_le_i32_e64 s[2:3], v6, v0
	s_and_b64 s[4:5], s[2:3], vcc
	s_and_saveexec_b64 s[2:3], s[4:5]
	s_cbranch_execz .LBB1240_13
; %bb.11:
	v_ashrrev_i32_e32 v1, 31, v0
	v_lshlrev_b64 v[3:4], 3, v[0:1]
	v_add_co_u32_e32 v3, vcc, v7, v3
	v_addc_co_u32_e32 v4, vcc, v8, v4, vcc
	global_load_dwordx2 v[11:12], v[3:4], off
	v_cmp_eq_u32_e32 vcc, v6, v0
	s_waitcnt vmcnt(0)
	v_sub_f32_e32 v11, v17, v11
	v_sub_f32_e32 v12, v16, v12
	global_store_dwordx2 v[3:4], v[11:12], off
	s_and_b64 exec, exec, vcc
	s_cbranch_execz .LBB1240_13
; %bb.12:
	v_mov_b32_e32 v1, 0
	global_store_dword v[3:4], v1, off offset:4
.LBB1240_13:
	s_or_b64 exec, exec, s[2:3]
	v_cmp_le_i32_e32 vcc, v6, v2
	s_and_b64 s[0:1], vcc, s[0:1]
	s_and_saveexec_b64 s[2:3], s[0:1]
	s_cbranch_execz .LBB1240_16
; %bb.14:
	v_ashrrev_i32_e32 v3, 31, v2
	v_lshlrev_b64 v[1:2], 3, v[2:3]
	v_add_co_u32_e32 v1, vcc, v7, v1
	v_addc_co_u32_e32 v2, vcc, v8, v2, vcc
	global_load_dwordx2 v[3:4], v[1:2], off
	v_cmp_eq_u32_e32 vcc, v5, v0
	s_waitcnt vmcnt(0)
	v_sub_f32_e32 v3, v15, v3
	v_sub_f32_e32 v4, v10, v4
	global_store_dwordx2 v[1:2], v[3:4], off
	s_and_b64 exec, exec, vcc
	s_cbranch_execz .LBB1240_16
; %bb.15:
	v_mov_b32_e32 v0, 0
	global_store_dword v[1:2], v0, off offset:4
.LBB1240_16:
	s_endpgm
	.section	.rodata,"a",@progbits
	.p2align	6, 0x0
	.amdhsa_kernel _ZL37rocblas_syrkx_herkx_restricted_kernelIl19rocblas_complex_numIfELi16ELi32ELi8ELi1ELin1ELb1ELc84ELc76EKS1_S1_EviT_PT9_S3_lS5_S3_lPT10_S3_li
		.amdhsa_group_segment_fixed_size 4096
		.amdhsa_private_segment_fixed_size 0
		.amdhsa_kernarg_size 92
		.amdhsa_user_sgpr_count 6
		.amdhsa_user_sgpr_private_segment_buffer 1
		.amdhsa_user_sgpr_dispatch_ptr 0
		.amdhsa_user_sgpr_queue_ptr 0
		.amdhsa_user_sgpr_kernarg_segment_ptr 1
		.amdhsa_user_sgpr_dispatch_id 0
		.amdhsa_user_sgpr_flat_scratch_init 0
		.amdhsa_user_sgpr_private_segment_size 0
		.amdhsa_uses_dynamic_stack 0
		.amdhsa_system_sgpr_private_segment_wavefront_offset 0
		.amdhsa_system_sgpr_workgroup_id_x 1
		.amdhsa_system_sgpr_workgroup_id_y 1
		.amdhsa_system_sgpr_workgroup_id_z 1
		.amdhsa_system_sgpr_workgroup_info 0
		.amdhsa_system_vgpr_workitem_id 1
		.amdhsa_next_free_vgpr 41
		.amdhsa_next_free_sgpr 28
		.amdhsa_reserve_vcc 1
		.amdhsa_reserve_flat_scratch 0
		.amdhsa_float_round_mode_32 0
		.amdhsa_float_round_mode_16_64 0
		.amdhsa_float_denorm_mode_32 3
		.amdhsa_float_denorm_mode_16_64 3
		.amdhsa_dx10_clamp 1
		.amdhsa_ieee_mode 1
		.amdhsa_fp16_overflow 0
		.amdhsa_exception_fp_ieee_invalid_op 0
		.amdhsa_exception_fp_denorm_src 0
		.amdhsa_exception_fp_ieee_div_zero 0
		.amdhsa_exception_fp_ieee_overflow 0
		.amdhsa_exception_fp_ieee_underflow 0
		.amdhsa_exception_fp_ieee_inexact 0
		.amdhsa_exception_int_div_zero 0
	.end_amdhsa_kernel
	.section	.text._ZL37rocblas_syrkx_herkx_restricted_kernelIl19rocblas_complex_numIfELi16ELi32ELi8ELi1ELin1ELb1ELc84ELc76EKS1_S1_EviT_PT9_S3_lS5_S3_lPT10_S3_li,"axG",@progbits,_ZL37rocblas_syrkx_herkx_restricted_kernelIl19rocblas_complex_numIfELi16ELi32ELi8ELi1ELin1ELb1ELc84ELc76EKS1_S1_EviT_PT9_S3_lS5_S3_lPT10_S3_li,comdat
.Lfunc_end1240:
	.size	_ZL37rocblas_syrkx_herkx_restricted_kernelIl19rocblas_complex_numIfELi16ELi32ELi8ELi1ELin1ELb1ELc84ELc76EKS1_S1_EviT_PT9_S3_lS5_S3_lPT10_S3_li, .Lfunc_end1240-_ZL37rocblas_syrkx_herkx_restricted_kernelIl19rocblas_complex_numIfELi16ELi32ELi8ELi1ELin1ELb1ELc84ELc76EKS1_S1_EviT_PT9_S3_lS5_S3_lPT10_S3_li
                                        ; -- End function
	.set _ZL37rocblas_syrkx_herkx_restricted_kernelIl19rocblas_complex_numIfELi16ELi32ELi8ELi1ELin1ELb1ELc84ELc76EKS1_S1_EviT_PT9_S3_lS5_S3_lPT10_S3_li.num_vgpr, 41
	.set _ZL37rocblas_syrkx_herkx_restricted_kernelIl19rocblas_complex_numIfELi16ELi32ELi8ELi1ELin1ELb1ELc84ELc76EKS1_S1_EviT_PT9_S3_lS5_S3_lPT10_S3_li.num_agpr, 0
	.set _ZL37rocblas_syrkx_herkx_restricted_kernelIl19rocblas_complex_numIfELi16ELi32ELi8ELi1ELin1ELb1ELc84ELc76EKS1_S1_EviT_PT9_S3_lS5_S3_lPT10_S3_li.numbered_sgpr, 28
	.set _ZL37rocblas_syrkx_herkx_restricted_kernelIl19rocblas_complex_numIfELi16ELi32ELi8ELi1ELin1ELb1ELc84ELc76EKS1_S1_EviT_PT9_S3_lS5_S3_lPT10_S3_li.num_named_barrier, 0
	.set _ZL37rocblas_syrkx_herkx_restricted_kernelIl19rocblas_complex_numIfELi16ELi32ELi8ELi1ELin1ELb1ELc84ELc76EKS1_S1_EviT_PT9_S3_lS5_S3_lPT10_S3_li.private_seg_size, 0
	.set _ZL37rocblas_syrkx_herkx_restricted_kernelIl19rocblas_complex_numIfELi16ELi32ELi8ELi1ELin1ELb1ELc84ELc76EKS1_S1_EviT_PT9_S3_lS5_S3_lPT10_S3_li.uses_vcc, 1
	.set _ZL37rocblas_syrkx_herkx_restricted_kernelIl19rocblas_complex_numIfELi16ELi32ELi8ELi1ELin1ELb1ELc84ELc76EKS1_S1_EviT_PT9_S3_lS5_S3_lPT10_S3_li.uses_flat_scratch, 0
	.set _ZL37rocblas_syrkx_herkx_restricted_kernelIl19rocblas_complex_numIfELi16ELi32ELi8ELi1ELin1ELb1ELc84ELc76EKS1_S1_EviT_PT9_S3_lS5_S3_lPT10_S3_li.has_dyn_sized_stack, 0
	.set _ZL37rocblas_syrkx_herkx_restricted_kernelIl19rocblas_complex_numIfELi16ELi32ELi8ELi1ELin1ELb1ELc84ELc76EKS1_S1_EviT_PT9_S3_lS5_S3_lPT10_S3_li.has_recursion, 0
	.set _ZL37rocblas_syrkx_herkx_restricted_kernelIl19rocblas_complex_numIfELi16ELi32ELi8ELi1ELin1ELb1ELc84ELc76EKS1_S1_EviT_PT9_S3_lS5_S3_lPT10_S3_li.has_indirect_call, 0
	.section	.AMDGPU.csdata,"",@progbits
; Kernel info:
; codeLenInByte = 2144
; TotalNumSgprs: 32
; NumVgprs: 41
; ScratchSize: 0
; MemoryBound: 0
; FloatMode: 240
; IeeeMode: 1
; LDSByteSize: 4096 bytes/workgroup (compile time only)
; SGPRBlocks: 3
; VGPRBlocks: 10
; NumSGPRsForWavesPerEU: 32
; NumVGPRsForWavesPerEU: 41
; Occupancy: 5
; WaveLimiterHint : 1
; COMPUTE_PGM_RSRC2:SCRATCH_EN: 0
; COMPUTE_PGM_RSRC2:USER_SGPR: 6
; COMPUTE_PGM_RSRC2:TRAP_HANDLER: 0
; COMPUTE_PGM_RSRC2:TGID_X_EN: 1
; COMPUTE_PGM_RSRC2:TGID_Y_EN: 1
; COMPUTE_PGM_RSRC2:TGID_Z_EN: 1
; COMPUTE_PGM_RSRC2:TIDIG_COMP_CNT: 1
	.section	.text._ZL37rocblas_syrkx_herkx_restricted_kernelIl19rocblas_complex_numIfELi16ELi32ELi8ELi1ELin1ELb1ELc67ELc76EKS1_S1_EviT_PT9_S3_lS5_S3_lPT10_S3_li,"axG",@progbits,_ZL37rocblas_syrkx_herkx_restricted_kernelIl19rocblas_complex_numIfELi16ELi32ELi8ELi1ELin1ELb1ELc67ELc76EKS1_S1_EviT_PT9_S3_lS5_S3_lPT10_S3_li,comdat
	.globl	_ZL37rocblas_syrkx_herkx_restricted_kernelIl19rocblas_complex_numIfELi16ELi32ELi8ELi1ELin1ELb1ELc67ELc76EKS1_S1_EviT_PT9_S3_lS5_S3_lPT10_S3_li ; -- Begin function _ZL37rocblas_syrkx_herkx_restricted_kernelIl19rocblas_complex_numIfELi16ELi32ELi8ELi1ELin1ELb1ELc67ELc76EKS1_S1_EviT_PT9_S3_lS5_S3_lPT10_S3_li
	.p2align	8
	.type	_ZL37rocblas_syrkx_herkx_restricted_kernelIl19rocblas_complex_numIfELi16ELi32ELi8ELi1ELin1ELb1ELc67ELc76EKS1_S1_EviT_PT9_S3_lS5_S3_lPT10_S3_li,@function
_ZL37rocblas_syrkx_herkx_restricted_kernelIl19rocblas_complex_numIfELi16ELi32ELi8ELi1ELin1ELb1ELc67ELc76EKS1_S1_EviT_PT9_S3_lS5_S3_lPT10_S3_li: ; @_ZL37rocblas_syrkx_herkx_restricted_kernelIl19rocblas_complex_numIfELi16ELi32ELi8ELi1ELin1ELb1ELc67ELc76EKS1_S1_EviT_PT9_S3_lS5_S3_lPT10_S3_li
; %bb.0:
	s_load_dwordx16 s[12:27], s[4:5], 0x8
	s_lshl_b32 s2, s6, 5
	s_lshl_b32 s3, s7, 5
	s_waitcnt lgkmcnt(0)
	v_cmp_lt_i64_e64 s[0:1], s[12:13], 1
	s_and_b64 vcc, exec, s[0:1]
	s_cbranch_vccnz .LBB1241_3
; %bb.1:
	v_lshl_add_u32 v4, v1, 4, v0
	v_lshrrev_b32_e32 v6, 3, v4
	v_add_u32_e32 v2, s3, v6
	v_ashrrev_i32_e32 v3, 31, v2
	v_and_b32_e32 v9, 7, v0
	v_mov_b32_e32 v10, 0
	v_mul_lo_u32 v5, s22, v3
	v_mul_lo_u32 v7, s23, v2
	v_mad_u64_u32 v[2:3], s[0:1], s22, v2, v[9:10]
	s_mul_i32 s6, s19, s8
	s_mul_hi_u32 s7, s18, s8
	v_add3_u32 v3, v7, v3, v5
	v_and_b32_e32 v7, 31, v4
	v_lshrrev_b32_e32 v4, 5, v4
	v_lshlrev_b32_e32 v8, 3, v7
	v_lshl_or_b32 v11, v4, 8, v8
	v_lshlrev_b32_e32 v8, 3, v9
	v_lshl_or_b32 v6, v6, 6, v8
	v_add_u32_e32 v12, 0x800, v6
	v_mov_b32_e32 v6, 0x800
	v_lshl_add_u32 v14, v1, 6, v6
	v_add_u32_e32 v6, s2, v7
	v_mov_b32_e32 v5, v10
	v_ashrrev_i32_e32 v7, 31, v6
	v_mul_lo_u32 v7, s16, v7
	v_mad_u64_u32 v[4:5], s[0:1], s16, v6, v[4:5]
	v_mul_lo_u32 v6, s17, v6
	s_add_i32 s1, s7, s6
	s_mul_i32 s0, s18, s8
	s_lshl_b64 s[0:1], s[0:1], 3
	v_add3_u32 v5, v6, v5, v7
	v_lshlrev_b64 v[4:5], 3, v[4:5]
	s_add_u32 s0, s14, s0
	s_addc_u32 s1, s15, s1
	v_mov_b32_e32 v6, s1
	v_add_co_u32_e32 v4, vcc, s0, v4
	s_mul_i32 s0, s25, s8
	s_mul_hi_u32 s1, s24, s8
	s_add_i32 s1, s1, s0
	s_mul_i32 s0, s24, s8
	v_addc_co_u32_e32 v5, vcc, v6, v5, vcc
	s_lshl_b64 s[0:1], s[0:1], 3
	v_add_co_u32_e32 v6, vcc, 4, v4
	v_lshlrev_b64 v[2:3], 3, v[2:3]
	s_add_u32 s0, s20, s0
	v_addc_co_u32_e32 v7, vcc, 0, v5, vcc
	s_addc_u32 s1, s21, s1
	v_mov_b32_e32 v4, s1
	v_add_co_u32_e32 v2, vcc, s0, v2
	v_addc_co_u32_e32 v3, vcc, v4, v3, vcc
	v_add_co_u32_e32 v8, vcc, 4, v2
	v_lshlrev_b32_e32 v13, 3, v0
	v_addc_co_u32_e32 v9, vcc, 0, v3, vcc
	s_mov_b64 s[0:1], 0
	v_mov_b32_e32 v15, v10
	v_mov_b32_e32 v16, v10
	;; [unrolled: 1-line block ×7, first 2 shown]
.LBB1241_2:                             ; =>This Inner Loop Header: Depth=1
	global_load_dwordx2 v[2:3], v[6:7], off offset:-4
	v_add_co_u32_e32 v6, vcc, 64, v6
	s_add_u32 s0, s0, 8
	v_addc_co_u32_e32 v7, vcc, 0, v7, vcc
	s_addc_u32 s1, s1, 0
	s_waitcnt vmcnt(0)
	v_xor_b32_e32 v3, 0x80000000, v3
	ds_write_b64 v11, v[2:3]
	global_load_dwordx2 v[2:3], v[8:9], off offset:-4
	v_add_co_u32_e32 v8, vcc, 64, v8
	v_addc_co_u32_e32 v9, vcc, 0, v9, vcc
	s_waitcnt vmcnt(0)
	ds_write_b64 v12, v[2:3]
	s_waitcnt lgkmcnt(0)
	s_barrier
	ds_read_b128 v[22:25], v14
	ds_read_b128 v[26:29], v14 offset:16
	ds_read_b128 v[30:33], v14 offset:32
	;; [unrolled: 1-line block ×3, first 2 shown]
	ds_read2_b64 v[34:37], v13 offset1:16
	s_waitcnt lgkmcnt(0)
	v_mul_f32_e32 v38, v23, v35
	v_mul_f32_e32 v39, v22, v35
	v_fma_f32 v38, v22, v34, -v38
	v_fmac_f32_e32 v39, v23, v34
	v_add_f32_e32 v38, v20, v38
	v_add_f32_e32 v39, v21, v39
	v_mul_f32_e32 v20, v23, v37
	v_mul_f32_e32 v21, v22, v37
	v_fma_f32 v20, v22, v36, -v20
	v_fmac_f32_e32 v21, v23, v36
	v_add_f32_e32 v22, v19, v20
	v_add_f32_e32 v23, v18, v21
	ds_read_b128 v[18:21], v14 offset:1024
	s_waitcnt lgkmcnt(0)
	v_mul_f32_e32 v40, v19, v35
	v_mul_f32_e32 v35, v18, v35
	v_fma_f32 v40, v18, v34, -v40
	v_fmac_f32_e32 v35, v19, v34
	v_add_f32_e32 v34, v17, v40
	v_add_f32_e32 v35, v16, v35
	v_mul_f32_e32 v16, v19, v37
	v_mul_f32_e32 v17, v18, v37
	v_fma_f32 v16, v18, v36, -v16
	v_fmac_f32_e32 v17, v19, v36
	v_add_f32_e32 v19, v15, v16
	v_add_f32_e32 v10, v10, v17
	ds_read2_b64 v[15:18], v13 offset0:32 offset1:48
	s_waitcnt lgkmcnt(0)
	v_mul_f32_e32 v36, v25, v16
	v_fma_f32 v36, v24, v15, -v36
	v_add_f32_e32 v36, v38, v36
	v_mul_f32_e32 v38, v25, v18
	v_mul_f32_e32 v37, v24, v16
	v_fma_f32 v38, v24, v17, -v38
	v_mul_f32_e32 v24, v24, v18
	v_fmac_f32_e32 v24, v25, v17
	v_add_f32_e32 v23, v23, v24
	v_mul_f32_e32 v24, v21, v16
	v_mul_f32_e32 v16, v20, v16
	v_fmac_f32_e32 v16, v21, v15
	v_fmac_f32_e32 v37, v25, v15
	v_fma_f32 v24, v20, v15, -v24
	v_add_f32_e32 v25, v35, v16
	v_mul_f32_e32 v15, v21, v18
	v_mul_f32_e32 v16, v20, v18
	v_fma_f32 v15, v20, v17, -v15
	v_fmac_f32_e32 v16, v21, v17
	v_add_f32_e32 v24, v34, v24
	v_add_f32_e32 v34, v19, v15
	;; [unrolled: 1-line block ×3, first 2 shown]
	ds_read2_b64 v[15:18], v13 offset0:64 offset1:80
	v_add_f32_e32 v37, v39, v37
	v_add_f32_e32 v22, v22, v38
	s_waitcnt lgkmcnt(0)
	v_mul_f32_e32 v19, v27, v16
	v_mul_f32_e32 v20, v26, v16
	v_fma_f32 v19, v26, v15, -v19
	v_fmac_f32_e32 v20, v27, v15
	v_add_f32_e32 v35, v36, v19
	v_add_f32_e32 v36, v37, v20
	v_mul_f32_e32 v19, v27, v18
	v_mul_f32_e32 v20, v26, v18
	v_fma_f32 v19, v26, v17, -v19
	v_fmac_f32_e32 v20, v27, v17
	v_add_f32_e32 v26, v22, v19
	v_add_f32_e32 v23, v23, v20
	ds_read_b128 v[19:22], v14 offset:1040
	s_waitcnt lgkmcnt(0)
	v_mul_f32_e32 v27, v20, v16
	v_mul_f32_e32 v16, v19, v16
	v_fmac_f32_e32 v16, v20, v15
	v_fma_f32 v27, v19, v15, -v27
	v_add_f32_e32 v25, v25, v16
	v_mul_f32_e32 v15, v20, v18
	v_mul_f32_e32 v16, v19, v18
	v_fma_f32 v15, v19, v17, -v15
	v_fmac_f32_e32 v16, v20, v17
	v_add_f32_e32 v19, v34, v15
	v_add_f32_e32 v10, v10, v16
	ds_read2_b64 v[15:18], v13 offset0:96 offset1:112
	v_add_f32_e32 v24, v24, v27
	s_waitcnt lgkmcnt(0)
	v_mul_f32_e32 v20, v29, v16
	v_mul_f32_e32 v34, v29, v18
	v_fma_f32 v20, v28, v15, -v20
	v_mul_f32_e32 v27, v28, v16
	v_fma_f32 v34, v28, v17, -v34
	v_mul_f32_e32 v28, v28, v18
	v_fmac_f32_e32 v28, v29, v17
	v_add_f32_e32 v23, v23, v28
	v_mul_f32_e32 v28, v22, v16
	v_mul_f32_e32 v16, v21, v16
	v_fmac_f32_e32 v16, v22, v15
	v_fmac_f32_e32 v27, v29, v15
	v_fma_f32 v28, v21, v15, -v28
	v_add_f32_e32 v25, v25, v16
	v_mul_f32_e32 v15, v22, v18
	v_mul_f32_e32 v16, v21, v18
	v_fma_f32 v15, v21, v17, -v15
	v_fmac_f32_e32 v16, v22, v17
	v_add_f32_e32 v24, v24, v28
	v_add_f32_e32 v28, v19, v15
	;; [unrolled: 1-line block ×3, first 2 shown]
	ds_read2_b64 v[15:18], v13 offset0:128 offset1:144
	v_add_f32_e32 v20, v35, v20
	v_add_f32_e32 v27, v36, v27
	;; [unrolled: 1-line block ×3, first 2 shown]
	s_waitcnt lgkmcnt(0)
	v_mul_f32_e32 v19, v31, v16
	v_fma_f32 v19, v30, v15, -v19
	v_mul_f32_e32 v21, v30, v16
	v_add_f32_e32 v29, v20, v19
	v_mul_f32_e32 v19, v31, v18
	v_mul_f32_e32 v20, v30, v18
	v_fmac_f32_e32 v21, v31, v15
	v_fma_f32 v19, v30, v17, -v19
	v_fmac_f32_e32 v20, v31, v17
	v_add_f32_e32 v27, v27, v21
	v_add_f32_e32 v26, v26, v19
	;; [unrolled: 1-line block ×3, first 2 shown]
	ds_read_b128 v[19:22], v14 offset:1056
	s_waitcnt lgkmcnt(0)
	v_mul_f32_e32 v30, v20, v16
	v_mul_f32_e32 v16, v19, v16
	v_fmac_f32_e32 v16, v20, v15
	v_fma_f32 v30, v19, v15, -v30
	v_add_f32_e32 v25, v25, v16
	v_mul_f32_e32 v15, v20, v18
	v_mul_f32_e32 v16, v19, v18
	v_fma_f32 v15, v19, v17, -v15
	v_fmac_f32_e32 v16, v20, v17
	v_add_f32_e32 v19, v28, v15
	v_add_f32_e32 v10, v10, v16
	ds_read2_b64 v[15:18], v13 offset0:160 offset1:176
	v_add_f32_e32 v24, v24, v30
	s_waitcnt lgkmcnt(0)
	v_mul_f32_e32 v28, v32, v16
	v_fmac_f32_e32 v28, v33, v15
	v_add_f32_e32 v27, v27, v28
	v_mul_f32_e32 v28, v33, v18
	v_fma_f32 v28, v32, v17, -v28
	v_mul_f32_e32 v20, v33, v16
	v_add_f32_e32 v26, v26, v28
	v_mul_f32_e32 v28, v22, v16
	v_mul_f32_e32 v16, v21, v16
	v_fmac_f32_e32 v16, v22, v15
	v_fma_f32 v20, v32, v15, -v20
	v_fma_f32 v28, v21, v15, -v28
	v_add_f32_e32 v25, v25, v16
	v_mul_f32_e32 v15, v22, v18
	v_mul_f32_e32 v16, v21, v18
	v_add_f32_e32 v20, v29, v20
	v_mul_f32_e32 v29, v32, v18
	v_fma_f32 v15, v21, v17, -v15
	v_fmac_f32_e32 v16, v22, v17
	v_fmac_f32_e32 v29, v33, v17
	v_add_f32_e32 v19, v19, v15
	v_add_f32_e32 v10, v10, v16
	ds_read2_b64 v[15:18], v13 offset0:192 offset1:208
	v_add_f32_e32 v24, v24, v28
	v_add_f32_e32 v23, v23, v29
	s_waitcnt lgkmcnt(0)
	v_mul_f32_e32 v21, v3, v16
	v_fma_f32 v21, v2, v15, -v21
	v_add_f32_e32 v28, v20, v21
	v_mul_f32_e32 v20, v3, v18
	v_mul_f32_e32 v22, v2, v16
	v_fma_f32 v20, v2, v17, -v20
	v_mul_f32_e32 v2, v2, v18
	v_fmac_f32_e32 v22, v3, v15
	v_fmac_f32_e32 v2, v3, v17
	v_add_f32_e32 v29, v27, v22
	v_add_f32_e32 v3, v26, v20
	v_add_f32_e32 v2, v23, v2
	ds_read_b128 v[20:23], v14 offset:1072
	s_waitcnt lgkmcnt(0)
	v_mul_f32_e32 v26, v21, v16
	v_fma_f32 v26, v20, v15, -v26
	v_mul_f32_e32 v16, v20, v16
	v_fmac_f32_e32 v16, v21, v15
	v_add_f32_e32 v15, v24, v26
	v_mul_f32_e32 v24, v21, v18
	v_fma_f32 v24, v20, v17, -v24
	v_add_f32_e32 v16, v25, v16
	v_add_f32_e32 v30, v19, v24
	ds_read2_b64 v[24:27], v13 offset0:224 offset1:240
	v_mul_f32_e32 v18, v20, v18
	v_fmac_f32_e32 v18, v21, v17
	v_add_f32_e32 v10, v10, v18
	s_waitcnt lgkmcnt(0)
	v_mul_f32_e32 v17, v5, v25
	v_fma_f32 v17, v4, v24, -v17
	v_add_f32_e32 v20, v28, v17
	v_mul_f32_e32 v17, v5, v27
	v_mul_f32_e32 v18, v4, v25
	v_fma_f32 v17, v4, v26, -v17
	v_mul_f32_e32 v4, v4, v27
	v_fmac_f32_e32 v18, v5, v24
	v_fmac_f32_e32 v4, v5, v26
	v_add_f32_e32 v21, v29, v18
	v_add_f32_e32 v19, v3, v17
	;; [unrolled: 1-line block ×3, first 2 shown]
	v_mul_f32_e32 v2, v23, v25
	v_mul_f32_e32 v3, v22, v25
	v_fma_f32 v2, v22, v24, -v2
	v_fmac_f32_e32 v3, v23, v24
	v_add_f32_e32 v17, v15, v2
	v_add_f32_e32 v16, v16, v3
	v_mul_f32_e32 v2, v23, v27
	v_mul_f32_e32 v3, v22, v27
	v_fma_f32 v2, v22, v26, -v2
	v_fmac_f32_e32 v3, v23, v26
	v_add_f32_e32 v15, v30, v2
	v_add_f32_e32 v10, v10, v3
	v_mov_b32_e32 v3, s1
	v_mov_b32_e32 v2, s0
	v_cmp_le_u64_e32 vcc, s[12:13], v[2:3]
	s_barrier
	s_cbranch_vccz .LBB1241_2
	s_branch .LBB1241_4
.LBB1241_3:
	v_mov_b32_e32 v20, 0
	v_mov_b32_e32 v21, 0
	;; [unrolled: 1-line block ×8, first 2 shown]
.LBB1241_4:
	s_load_dwordx4 s[12:15], s[4:5], 0x48
	s_load_dword s9, s[4:5], 0x0
	v_add_u32_e32 v5, s3, v1
	v_ashrrev_i32_e32 v1, 31, v5
	v_add_u32_e32 v0, s2, v0
	s_waitcnt lgkmcnt(0)
	v_mul_lo_u32 v3, s12, v1
	v_mul_lo_u32 v4, s13, v5
	v_mad_u64_u32 v[1:2], s[4:5], s12, v5, 0
	s_mul_i32 s1, s15, s8
	s_mul_hi_u32 s3, s14, s8
	s_mul_i32 s0, s14, s8
	s_add_i32 s1, s3, s1
	s_lshl_b64 s[0:1], s[0:1], 3
	v_add3_u32 v2, v2, v3, v4
	s_add_u32 s6, s26, s0
	v_lshlrev_b64 v[1:2], 3, v[1:2]
	s_addc_u32 s7, s27, s1
	v_mov_b32_e32 v3, s7
	v_add_co_u32_e32 v4, vcc, s6, v1
	v_addc_co_u32_e32 v6, vcc, v3, v2, vcc
	v_cmp_le_i32_e64 s[0:1], v5, v0
	v_cmp_gt_i32_e32 vcc, s9, v0
	s_and_b64 s[0:1], s[0:1], vcc
	s_and_saveexec_b64 s[2:3], s[0:1]
	s_cbranch_execz .LBB1241_7
; %bb.5:
	v_ashrrev_i32_e32 v1, 31, v0
	v_lshlrev_b64 v[1:2], 3, v[0:1]
	v_add_co_u32_e64 v1, s[0:1], v4, v1
	v_addc_co_u32_e64 v2, s[0:1], v6, v2, s[0:1]
	global_load_dwordx2 v[7:8], v[1:2], off
	v_cmp_eq_u32_e64 s[0:1], v5, v0
	s_waitcnt vmcnt(0)
	v_sub_f32_e32 v7, v20, v7
	v_sub_f32_e32 v8, v21, v8
	global_store_dwordx2 v[1:2], v[7:8], off
	s_and_b64 exec, exec, s[0:1]
	s_cbranch_execz .LBB1241_7
; %bb.6:
	v_mov_b32_e32 v3, 0
	global_store_dword v[1:2], v3, off offset:4
.LBB1241_7:
	s_or_b64 exec, exec, s[2:3]
	v_add_u32_e32 v2, 16, v0
	v_cmp_le_i32_e64 s[2:3], v5, v2
	v_cmp_gt_i32_e64 s[0:1], s9, v2
	s_and_b64 s[2:3], s[2:3], s[0:1]
	s_and_saveexec_b64 s[4:5], s[2:3]
	s_cbranch_execz .LBB1241_10
; %bb.8:
	v_ashrrev_i32_e32 v3, 31, v2
	v_lshlrev_b64 v[7:8], 3, v[2:3]
	v_add_co_u32_e64 v3, s[2:3], v4, v7
	v_addc_co_u32_e64 v4, s[2:3], v6, v8, s[2:3]
	global_load_dwordx2 v[6:7], v[3:4], off
	v_cmp_eq_u32_e64 s[2:3], v5, v2
	s_waitcnt vmcnt(0)
	v_sub_f32_e32 v6, v19, v6
	v_sub_f32_e32 v7, v18, v7
	global_store_dwordx2 v[3:4], v[6:7], off
	s_and_b64 exec, exec, s[2:3]
	s_cbranch_execz .LBB1241_10
; %bb.9:
	v_mov_b32_e32 v1, 0
	global_store_dword v[3:4], v1, off offset:4
.LBB1241_10:
	s_or_b64 exec, exec, s[4:5]
	v_add_u32_e32 v6, 16, v5
	v_ashrrev_i32_e32 v1, 31, v6
	v_mul_lo_u32 v7, s13, v6
	v_mad_u64_u32 v[3:4], s[2:3], s12, v6, 0
	v_mul_lo_u32 v1, s12, v1
	v_add3_u32 v4, v4, v1, v7
	v_lshlrev_b64 v[3:4], 3, v[3:4]
	v_mov_b32_e32 v1, s7
	v_add_co_u32_e64 v7, s[2:3], s6, v3
	v_addc_co_u32_e64 v8, s[2:3], v1, v4, s[2:3]
	v_cmp_le_i32_e64 s[2:3], v6, v0
	s_and_b64 s[4:5], s[2:3], vcc
	s_and_saveexec_b64 s[2:3], s[4:5]
	s_cbranch_execz .LBB1241_13
; %bb.11:
	v_ashrrev_i32_e32 v1, 31, v0
	v_lshlrev_b64 v[3:4], 3, v[0:1]
	v_add_co_u32_e32 v3, vcc, v7, v3
	v_addc_co_u32_e32 v4, vcc, v8, v4, vcc
	global_load_dwordx2 v[11:12], v[3:4], off
	v_cmp_eq_u32_e32 vcc, v6, v0
	s_waitcnt vmcnt(0)
	v_sub_f32_e32 v11, v17, v11
	v_sub_f32_e32 v12, v16, v12
	global_store_dwordx2 v[3:4], v[11:12], off
	s_and_b64 exec, exec, vcc
	s_cbranch_execz .LBB1241_13
; %bb.12:
	v_mov_b32_e32 v1, 0
	global_store_dword v[3:4], v1, off offset:4
.LBB1241_13:
	s_or_b64 exec, exec, s[2:3]
	v_cmp_le_i32_e32 vcc, v6, v2
	s_and_b64 s[0:1], vcc, s[0:1]
	s_and_saveexec_b64 s[2:3], s[0:1]
	s_cbranch_execz .LBB1241_16
; %bb.14:
	v_ashrrev_i32_e32 v3, 31, v2
	v_lshlrev_b64 v[1:2], 3, v[2:3]
	v_add_co_u32_e32 v1, vcc, v7, v1
	v_addc_co_u32_e32 v2, vcc, v8, v2, vcc
	global_load_dwordx2 v[3:4], v[1:2], off
	v_cmp_eq_u32_e32 vcc, v5, v0
	s_waitcnt vmcnt(0)
	v_sub_f32_e32 v3, v15, v3
	v_sub_f32_e32 v4, v10, v4
	global_store_dwordx2 v[1:2], v[3:4], off
	s_and_b64 exec, exec, vcc
	s_cbranch_execz .LBB1241_16
; %bb.15:
	v_mov_b32_e32 v0, 0
	global_store_dword v[1:2], v0, off offset:4
.LBB1241_16:
	s_endpgm
	.section	.rodata,"a",@progbits
	.p2align	6, 0x0
	.amdhsa_kernel _ZL37rocblas_syrkx_herkx_restricted_kernelIl19rocblas_complex_numIfELi16ELi32ELi8ELi1ELin1ELb1ELc67ELc76EKS1_S1_EviT_PT9_S3_lS5_S3_lPT10_S3_li
		.amdhsa_group_segment_fixed_size 4096
		.amdhsa_private_segment_fixed_size 0
		.amdhsa_kernarg_size 92
		.amdhsa_user_sgpr_count 6
		.amdhsa_user_sgpr_private_segment_buffer 1
		.amdhsa_user_sgpr_dispatch_ptr 0
		.amdhsa_user_sgpr_queue_ptr 0
		.amdhsa_user_sgpr_kernarg_segment_ptr 1
		.amdhsa_user_sgpr_dispatch_id 0
		.amdhsa_user_sgpr_flat_scratch_init 0
		.amdhsa_user_sgpr_private_segment_size 0
		.amdhsa_uses_dynamic_stack 0
		.amdhsa_system_sgpr_private_segment_wavefront_offset 0
		.amdhsa_system_sgpr_workgroup_id_x 1
		.amdhsa_system_sgpr_workgroup_id_y 1
		.amdhsa_system_sgpr_workgroup_id_z 1
		.amdhsa_system_sgpr_workgroup_info 0
		.amdhsa_system_vgpr_workitem_id 1
		.amdhsa_next_free_vgpr 41
		.amdhsa_next_free_sgpr 28
		.amdhsa_reserve_vcc 1
		.amdhsa_reserve_flat_scratch 0
		.amdhsa_float_round_mode_32 0
		.amdhsa_float_round_mode_16_64 0
		.amdhsa_float_denorm_mode_32 3
		.amdhsa_float_denorm_mode_16_64 3
		.amdhsa_dx10_clamp 1
		.amdhsa_ieee_mode 1
		.amdhsa_fp16_overflow 0
		.amdhsa_exception_fp_ieee_invalid_op 0
		.amdhsa_exception_fp_denorm_src 0
		.amdhsa_exception_fp_ieee_div_zero 0
		.amdhsa_exception_fp_ieee_overflow 0
		.amdhsa_exception_fp_ieee_underflow 0
		.amdhsa_exception_fp_ieee_inexact 0
		.amdhsa_exception_int_div_zero 0
	.end_amdhsa_kernel
	.section	.text._ZL37rocblas_syrkx_herkx_restricted_kernelIl19rocblas_complex_numIfELi16ELi32ELi8ELi1ELin1ELb1ELc67ELc76EKS1_S1_EviT_PT9_S3_lS5_S3_lPT10_S3_li,"axG",@progbits,_ZL37rocblas_syrkx_herkx_restricted_kernelIl19rocblas_complex_numIfELi16ELi32ELi8ELi1ELin1ELb1ELc67ELc76EKS1_S1_EviT_PT9_S3_lS5_S3_lPT10_S3_li,comdat
.Lfunc_end1241:
	.size	_ZL37rocblas_syrkx_herkx_restricted_kernelIl19rocblas_complex_numIfELi16ELi32ELi8ELi1ELin1ELb1ELc67ELc76EKS1_S1_EviT_PT9_S3_lS5_S3_lPT10_S3_li, .Lfunc_end1241-_ZL37rocblas_syrkx_herkx_restricted_kernelIl19rocblas_complex_numIfELi16ELi32ELi8ELi1ELin1ELb1ELc67ELc76EKS1_S1_EviT_PT9_S3_lS5_S3_lPT10_S3_li
                                        ; -- End function
	.set _ZL37rocblas_syrkx_herkx_restricted_kernelIl19rocblas_complex_numIfELi16ELi32ELi8ELi1ELin1ELb1ELc67ELc76EKS1_S1_EviT_PT9_S3_lS5_S3_lPT10_S3_li.num_vgpr, 41
	.set _ZL37rocblas_syrkx_herkx_restricted_kernelIl19rocblas_complex_numIfELi16ELi32ELi8ELi1ELin1ELb1ELc67ELc76EKS1_S1_EviT_PT9_S3_lS5_S3_lPT10_S3_li.num_agpr, 0
	.set _ZL37rocblas_syrkx_herkx_restricted_kernelIl19rocblas_complex_numIfELi16ELi32ELi8ELi1ELin1ELb1ELc67ELc76EKS1_S1_EviT_PT9_S3_lS5_S3_lPT10_S3_li.numbered_sgpr, 28
	.set _ZL37rocblas_syrkx_herkx_restricted_kernelIl19rocblas_complex_numIfELi16ELi32ELi8ELi1ELin1ELb1ELc67ELc76EKS1_S1_EviT_PT9_S3_lS5_S3_lPT10_S3_li.num_named_barrier, 0
	.set _ZL37rocblas_syrkx_herkx_restricted_kernelIl19rocblas_complex_numIfELi16ELi32ELi8ELi1ELin1ELb1ELc67ELc76EKS1_S1_EviT_PT9_S3_lS5_S3_lPT10_S3_li.private_seg_size, 0
	.set _ZL37rocblas_syrkx_herkx_restricted_kernelIl19rocblas_complex_numIfELi16ELi32ELi8ELi1ELin1ELb1ELc67ELc76EKS1_S1_EviT_PT9_S3_lS5_S3_lPT10_S3_li.uses_vcc, 1
	.set _ZL37rocblas_syrkx_herkx_restricted_kernelIl19rocblas_complex_numIfELi16ELi32ELi8ELi1ELin1ELb1ELc67ELc76EKS1_S1_EviT_PT9_S3_lS5_S3_lPT10_S3_li.uses_flat_scratch, 0
	.set _ZL37rocblas_syrkx_herkx_restricted_kernelIl19rocblas_complex_numIfELi16ELi32ELi8ELi1ELin1ELb1ELc67ELc76EKS1_S1_EviT_PT9_S3_lS5_S3_lPT10_S3_li.has_dyn_sized_stack, 0
	.set _ZL37rocblas_syrkx_herkx_restricted_kernelIl19rocblas_complex_numIfELi16ELi32ELi8ELi1ELin1ELb1ELc67ELc76EKS1_S1_EviT_PT9_S3_lS5_S3_lPT10_S3_li.has_recursion, 0
	.set _ZL37rocblas_syrkx_herkx_restricted_kernelIl19rocblas_complex_numIfELi16ELi32ELi8ELi1ELin1ELb1ELc67ELc76EKS1_S1_EviT_PT9_S3_lS5_S3_lPT10_S3_li.has_indirect_call, 0
	.section	.AMDGPU.csdata,"",@progbits
; Kernel info:
; codeLenInByte = 2152
; TotalNumSgprs: 32
; NumVgprs: 41
; ScratchSize: 0
; MemoryBound: 0
; FloatMode: 240
; IeeeMode: 1
; LDSByteSize: 4096 bytes/workgroup (compile time only)
; SGPRBlocks: 3
; VGPRBlocks: 10
; NumSGPRsForWavesPerEU: 32
; NumVGPRsForWavesPerEU: 41
; Occupancy: 5
; WaveLimiterHint : 1
; COMPUTE_PGM_RSRC2:SCRATCH_EN: 0
; COMPUTE_PGM_RSRC2:USER_SGPR: 6
; COMPUTE_PGM_RSRC2:TRAP_HANDLER: 0
; COMPUTE_PGM_RSRC2:TGID_X_EN: 1
; COMPUTE_PGM_RSRC2:TGID_Y_EN: 1
; COMPUTE_PGM_RSRC2:TGID_Z_EN: 1
; COMPUTE_PGM_RSRC2:TIDIG_COMP_CNT: 1
	.section	.text._ZL37rocblas_syrkx_herkx_restricted_kernelIl19rocblas_complex_numIfELi16ELi32ELi8ELi1ELin1ELb1ELc78ELc76EKS1_S1_EviT_PT9_S3_lS5_S3_lPT10_S3_li,"axG",@progbits,_ZL37rocblas_syrkx_herkx_restricted_kernelIl19rocblas_complex_numIfELi16ELi32ELi8ELi1ELin1ELb1ELc78ELc76EKS1_S1_EviT_PT9_S3_lS5_S3_lPT10_S3_li,comdat
	.globl	_ZL37rocblas_syrkx_herkx_restricted_kernelIl19rocblas_complex_numIfELi16ELi32ELi8ELi1ELin1ELb1ELc78ELc76EKS1_S1_EviT_PT9_S3_lS5_S3_lPT10_S3_li ; -- Begin function _ZL37rocblas_syrkx_herkx_restricted_kernelIl19rocblas_complex_numIfELi16ELi32ELi8ELi1ELin1ELb1ELc78ELc76EKS1_S1_EviT_PT9_S3_lS5_S3_lPT10_S3_li
	.p2align	8
	.type	_ZL37rocblas_syrkx_herkx_restricted_kernelIl19rocblas_complex_numIfELi16ELi32ELi8ELi1ELin1ELb1ELc78ELc76EKS1_S1_EviT_PT9_S3_lS5_S3_lPT10_S3_li,@function
_ZL37rocblas_syrkx_herkx_restricted_kernelIl19rocblas_complex_numIfELi16ELi32ELi8ELi1ELin1ELb1ELc78ELc76EKS1_S1_EviT_PT9_S3_lS5_S3_lPT10_S3_li: ; @_ZL37rocblas_syrkx_herkx_restricted_kernelIl19rocblas_complex_numIfELi16ELi32ELi8ELi1ELin1ELb1ELc78ELc76EKS1_S1_EviT_PT9_S3_lS5_S3_lPT10_S3_li
; %bb.0:
	s_load_dwordx16 s[12:27], s[4:5], 0x8
	s_lshl_b32 s9, s6, 5
	s_lshl_b32 s10, s7, 5
	s_waitcnt lgkmcnt(0)
	v_cmp_lt_i64_e64 s[0:1], s[12:13], 1
	s_and_b64 vcc, exec, s[0:1]
	s_cbranch_vccnz .LBB1242_3
; %bb.1:
	v_lshl_add_u32 v6, v1, 4, v0
	v_lshrrev_b32_e32 v7, 3, v6
	v_add_u32_e32 v2, s10, v7
	v_and_b32_e32 v5, 7, v0
	v_ashrrev_i32_e32 v3, 31, v2
	v_mad_u64_u32 v[2:3], s[0:1], s22, v5, v[2:3]
	v_lshrrev_b32_e32 v8, 5, v6
	s_mul_i32 s2, s19, s8
	v_mad_u64_u32 v[3:4], s[0:1], s23, v5, v[3:4]
	v_and_b32_e32 v4, 31, v6
	v_lshlrev_b32_e32 v5, 3, v5
	v_lshlrev_b32_e32 v6, 3, v4
	v_lshl_or_b32 v5, v7, 6, v5
	v_add_u32_e32 v4, s9, v4
	v_add_u32_e32 v11, 0x800, v5
	v_ashrrev_i32_e32 v5, 31, v4
	v_mad_u64_u32 v[4:5], s[0:1], s16, v8, v[4:5]
	v_lshl_or_b32 v10, v8, 8, v6
	v_mov_b32_e32 v6, 0x800
	v_lshl_add_u32 v13, v1, 6, v6
	v_mad_u64_u32 v[5:6], s[0:1], s17, v8, v[5:6]
	s_mul_hi_u32 s3, s18, s8
	s_add_i32 s1, s3, s2
	s_mul_i32 s0, s18, s8
	s_lshl_b64 s[0:1], s[0:1], 3
	v_lshlrev_b64 v[4:5], 3, v[4:5]
	s_add_u32 s0, s14, s0
	s_addc_u32 s1, s15, s1
	s_mul_i32 s2, s25, s8
	s_mul_hi_u32 s3, s24, s8
	v_mov_b32_e32 v6, s1
	v_add_co_u32_e32 v4, vcc, s0, v4
	s_add_i32 s3, s3, s2
	s_mul_i32 s2, s24, s8
	v_addc_co_u32_e32 v5, vcc, v6, v5, vcc
	s_lshl_b64 s[0:1], s[16:17], 6
	s_lshl_b64 s[2:3], s[2:3], 3
	v_add_co_u32_e32 v6, vcc, 4, v4
	v_lshlrev_b64 v[2:3], 3, v[2:3]
	s_add_u32 s2, s20, s2
	v_addc_co_u32_e32 v7, vcc, 0, v5, vcc
	s_addc_u32 s3, s21, s3
	v_mov_b32_e32 v4, s3
	v_add_co_u32_e32 v2, vcc, s2, v2
	v_addc_co_u32_e32 v3, vcc, v4, v3, vcc
	v_add_co_u32_e32 v8, vcc, 4, v2
	s_lshl_b64 s[2:3], s[22:23], 6
	v_lshlrev_b32_e32 v12, 3, v0
	v_addc_co_u32_e32 v9, vcc, 0, v3, vcc
	v_mov_b32_e32 v16, 0
	s_mov_b64 s[6:7], 0
	v_mov_b32_e32 v14, s1
	v_mov_b32_e32 v15, s3
	;; [unrolled: 1-line block ×9, first 2 shown]
.LBB1242_2:                             ; =>This Inner Loop Header: Depth=1
	global_load_dwordx2 v[2:3], v[6:7], off offset:-4
	v_add_co_u32_e32 v6, vcc, s0, v6
	s_add_u32 s6, s6, 8
	v_addc_co_u32_e32 v7, vcc, v7, v14, vcc
	s_addc_u32 s7, s7, 0
	s_waitcnt vmcnt(0)
	ds_write_b64 v10, v[2:3]
	global_load_dwordx2 v[2:3], v[8:9], off offset:-4
	v_add_co_u32_e32 v8, vcc, s2, v8
	v_addc_co_u32_e32 v9, vcc, v9, v15, vcc
	s_waitcnt vmcnt(0)
	v_xor_b32_e32 v3, 0x80000000, v3
	ds_write_b64 v11, v[2:3]
	s_waitcnt lgkmcnt(0)
	s_barrier
	ds_read_b128 v[24:27], v13
	ds_read_b128 v[28:31], v13 offset:16
	ds_read_b128 v[32:35], v13 offset:32
	;; [unrolled: 1-line block ×3, first 2 shown]
	ds_read2_b64 v[36:39], v12 offset1:16
	s_waitcnt lgkmcnt(0)
	v_mul_f32_e32 v40, v25, v37
	v_mul_f32_e32 v41, v24, v37
	v_fma_f32 v40, v24, v36, -v40
	v_fmac_f32_e32 v41, v25, v36
	v_add_f32_e32 v40, v22, v40
	v_add_f32_e32 v41, v23, v41
	v_mul_f32_e32 v22, v25, v39
	v_mul_f32_e32 v23, v24, v39
	v_fma_f32 v22, v24, v38, -v22
	v_fmac_f32_e32 v23, v25, v38
	v_add_f32_e32 v24, v21, v22
	v_add_f32_e32 v25, v20, v23
	ds_read_b128 v[20:23], v13 offset:1024
	s_waitcnt lgkmcnt(0)
	v_mul_f32_e32 v42, v21, v37
	v_mul_f32_e32 v37, v20, v37
	v_fma_f32 v42, v20, v36, -v42
	v_fmac_f32_e32 v37, v21, v36
	v_add_f32_e32 v36, v19, v42
	v_add_f32_e32 v37, v18, v37
	v_mul_f32_e32 v18, v21, v39
	v_mul_f32_e32 v19, v20, v39
	v_fma_f32 v18, v20, v38, -v18
	v_fmac_f32_e32 v19, v21, v38
	v_add_f32_e32 v20, v17, v18
	v_add_f32_e32 v21, v16, v19
	ds_read2_b64 v[16:19], v12 offset0:32 offset1:48
	s_waitcnt lgkmcnt(0)
	v_mul_f32_e32 v38, v27, v17
	v_fma_f32 v38, v26, v16, -v38
	v_add_f32_e32 v38, v40, v38
	v_mul_f32_e32 v40, v27, v19
	v_mul_f32_e32 v39, v26, v17
	v_fma_f32 v40, v26, v18, -v40
	v_mul_f32_e32 v26, v26, v19
	v_fmac_f32_e32 v26, v27, v18
	v_add_f32_e32 v25, v25, v26
	v_mul_f32_e32 v26, v23, v17
	v_mul_f32_e32 v17, v22, v17
	v_fmac_f32_e32 v17, v23, v16
	v_fmac_f32_e32 v39, v27, v16
	v_fma_f32 v26, v22, v16, -v26
	v_add_f32_e32 v27, v37, v17
	v_mul_f32_e32 v16, v23, v19
	v_mul_f32_e32 v17, v22, v19
	v_fma_f32 v16, v22, v18, -v16
	v_fmac_f32_e32 v17, v23, v18
	v_add_f32_e32 v26, v36, v26
	v_add_f32_e32 v36, v20, v16
	;; [unrolled: 1-line block ×3, first 2 shown]
	ds_read2_b64 v[16:19], v12 offset0:64 offset1:80
	v_add_f32_e32 v39, v41, v39
	v_add_f32_e32 v24, v24, v40
	s_waitcnt lgkmcnt(0)
	v_mul_f32_e32 v20, v29, v17
	v_mul_f32_e32 v21, v28, v17
	v_fma_f32 v20, v28, v16, -v20
	v_fmac_f32_e32 v21, v29, v16
	v_add_f32_e32 v38, v38, v20
	v_add_f32_e32 v39, v39, v21
	v_mul_f32_e32 v20, v29, v19
	v_mul_f32_e32 v21, v28, v19
	v_fma_f32 v20, v28, v18, -v20
	v_fmac_f32_e32 v21, v29, v18
	v_add_f32_e32 v24, v24, v20
	v_add_f32_e32 v25, v25, v21
	ds_read_b128 v[20:23], v13 offset:1040
	s_waitcnt lgkmcnt(0)
	v_mul_f32_e32 v28, v21, v17
	v_mul_f32_e32 v17, v20, v17
	v_fmac_f32_e32 v17, v21, v16
	v_fma_f32 v28, v20, v16, -v28
	v_add_f32_e32 v27, v27, v17
	v_mul_f32_e32 v16, v21, v19
	v_mul_f32_e32 v17, v20, v19
	v_fma_f32 v16, v20, v18, -v16
	v_fmac_f32_e32 v17, v21, v18
	v_add_f32_e32 v20, v36, v16
	v_add_f32_e32 v21, v37, v17
	ds_read2_b64 v[16:19], v12 offset0:96 offset1:112
	v_add_f32_e32 v26, v26, v28
	s_waitcnt lgkmcnt(0)
	v_mul_f32_e32 v28, v31, v17
	v_mul_f32_e32 v36, v31, v19
	v_fma_f32 v28, v30, v16, -v28
	v_mul_f32_e32 v29, v30, v17
	v_fma_f32 v36, v30, v18, -v36
	v_mul_f32_e32 v30, v30, v19
	v_fmac_f32_e32 v30, v31, v18
	v_add_f32_e32 v25, v25, v30
	v_mul_f32_e32 v30, v23, v17
	v_mul_f32_e32 v17, v22, v17
	v_fmac_f32_e32 v17, v23, v16
	v_fmac_f32_e32 v29, v31, v16
	v_fma_f32 v30, v22, v16, -v30
	v_add_f32_e32 v27, v27, v17
	v_mul_f32_e32 v16, v23, v19
	v_mul_f32_e32 v17, v22, v19
	v_fma_f32 v16, v22, v18, -v16
	v_fmac_f32_e32 v17, v23, v18
	v_add_f32_e32 v26, v26, v30
	v_add_f32_e32 v30, v20, v16
	;; [unrolled: 1-line block ×3, first 2 shown]
	ds_read2_b64 v[16:19], v12 offset0:128 offset1:144
	v_add_f32_e32 v28, v38, v28
	v_add_f32_e32 v29, v39, v29
	;; [unrolled: 1-line block ×3, first 2 shown]
	s_waitcnt lgkmcnt(0)
	v_mul_f32_e32 v20, v33, v17
	v_mul_f32_e32 v21, v32, v17
	v_fma_f32 v20, v32, v16, -v20
	v_fmac_f32_e32 v21, v33, v16
	v_add_f32_e32 v28, v28, v20
	v_add_f32_e32 v29, v29, v21
	v_mul_f32_e32 v20, v33, v19
	v_mul_f32_e32 v21, v32, v19
	v_fma_f32 v20, v32, v18, -v20
	v_fmac_f32_e32 v21, v33, v18
	v_add_f32_e32 v24, v24, v20
	v_add_f32_e32 v25, v25, v21
	ds_read_b128 v[20:23], v13 offset:1056
	s_waitcnt lgkmcnt(0)
	v_mul_f32_e32 v32, v21, v17
	v_mul_f32_e32 v17, v20, v17
	v_fmac_f32_e32 v17, v21, v16
	v_fma_f32 v32, v20, v16, -v32
	v_add_f32_e32 v27, v27, v17
	v_mul_f32_e32 v16, v21, v19
	v_mul_f32_e32 v17, v20, v19
	v_fma_f32 v16, v20, v18, -v16
	v_fmac_f32_e32 v17, v21, v18
	v_add_f32_e32 v20, v30, v16
	v_add_f32_e32 v21, v31, v17
	ds_read2_b64 v[16:19], v12 offset0:160 offset1:176
	v_add_f32_e32 v26, v26, v32
	s_waitcnt lgkmcnt(0)
	v_mul_f32_e32 v30, v35, v17
	v_fma_f32 v30, v34, v16, -v30
	v_add_f32_e32 v28, v28, v30
	v_mul_f32_e32 v30, v35, v19
	v_fma_f32 v30, v34, v18, -v30
	v_mul_f32_e32 v31, v34, v17
	v_add_f32_e32 v24, v24, v30
	v_mul_f32_e32 v30, v23, v17
	v_mul_f32_e32 v17, v22, v17
	v_fmac_f32_e32 v17, v23, v16
	v_fmac_f32_e32 v31, v35, v16
	v_fma_f32 v30, v22, v16, -v30
	v_add_f32_e32 v27, v27, v17
	v_mul_f32_e32 v16, v23, v19
	v_mul_f32_e32 v17, v22, v19
	v_add_f32_e32 v29, v29, v31
	v_mul_f32_e32 v31, v34, v19
	v_fma_f32 v16, v22, v18, -v16
	v_fmac_f32_e32 v17, v23, v18
	v_fmac_f32_e32 v31, v35, v18
	v_add_f32_e32 v20, v20, v16
	v_add_f32_e32 v21, v21, v17
	ds_read2_b64 v[16:19], v12 offset0:192 offset1:208
	v_add_f32_e32 v26, v26, v30
	v_add_f32_e32 v25, v25, v31
	s_waitcnt lgkmcnt(0)
	v_mul_f32_e32 v22, v3, v17
	v_fma_f32 v22, v2, v16, -v22
	v_add_f32_e32 v30, v28, v22
	v_mul_f32_e32 v22, v3, v19
	v_mul_f32_e32 v23, v2, v17
	v_fma_f32 v22, v2, v18, -v22
	v_mul_f32_e32 v2, v2, v19
	v_fmac_f32_e32 v23, v3, v16
	v_fmac_f32_e32 v2, v3, v18
	v_add_f32_e32 v31, v29, v23
	v_add_f32_e32 v3, v24, v22
	;; [unrolled: 1-line block ×3, first 2 shown]
	ds_read_b128 v[22:25], v13 offset:1072
	s_waitcnt lgkmcnt(0)
	v_mul_f32_e32 v28, v23, v17
	v_fma_f32 v28, v22, v16, -v28
	v_mul_f32_e32 v17, v22, v17
	v_fmac_f32_e32 v17, v23, v16
	v_add_f32_e32 v16, v26, v28
	v_mul_f32_e32 v26, v23, v19
	v_fma_f32 v26, v22, v18, -v26
	v_add_f32_e32 v17, v27, v17
	v_add_f32_e32 v32, v20, v26
	ds_read2_b64 v[26:29], v12 offset0:224 offset1:240
	v_mul_f32_e32 v19, v22, v19
	v_fmac_f32_e32 v19, v23, v18
	v_add_f32_e32 v33, v21, v19
	s_waitcnt lgkmcnt(0)
	v_mul_f32_e32 v18, v5, v27
	v_fma_f32 v18, v4, v26, -v18
	v_add_f32_e32 v22, v30, v18
	v_mul_f32_e32 v18, v5, v29
	v_mul_f32_e32 v19, v4, v27
	v_fma_f32 v18, v4, v28, -v18
	v_mul_f32_e32 v4, v4, v29
	v_fmac_f32_e32 v4, v5, v28
	v_add_f32_e32 v21, v3, v18
	v_add_f32_e32 v20, v2, v4
	v_mul_f32_e32 v2, v25, v27
	v_mul_f32_e32 v3, v24, v27
	v_fmac_f32_e32 v19, v5, v26
	v_fma_f32 v2, v24, v26, -v2
	v_fmac_f32_e32 v3, v25, v26
	v_add_f32_e32 v23, v31, v19
	v_add_f32_e32 v19, v16, v2
	v_add_f32_e32 v18, v17, v3
	v_mul_f32_e32 v2, v25, v29
	v_mul_f32_e32 v3, v24, v29
	v_fma_f32 v2, v24, v28, -v2
	v_fmac_f32_e32 v3, v25, v28
	v_add_f32_e32 v17, v32, v2
	v_add_f32_e32 v16, v33, v3
	v_mov_b32_e32 v2, s6
	v_mov_b32_e32 v3, s7
	v_cmp_le_u64_e32 vcc, s[12:13], v[2:3]
	s_barrier
	s_cbranch_vccz .LBB1242_2
	s_branch .LBB1242_4
.LBB1242_3:
	v_mov_b32_e32 v22, 0
	v_mov_b32_e32 v23, 0
	;; [unrolled: 1-line block ×8, first 2 shown]
.LBB1242_4:
	s_load_dwordx4 s[12:15], s[4:5], 0x48
	s_load_dword s11, s[4:5], 0x0
	v_add_u32_e32 v5, s10, v1
	v_ashrrev_i32_e32 v1, 31, v5
	v_add_u32_e32 v0, s9, v0
	s_waitcnt lgkmcnt(0)
	s_mul_i32 s1, s15, s8
	s_mul_hi_u32 s2, s14, s8
	s_add_i32 s1, s2, s1
	v_mul_lo_u32 v3, s12, v1
	v_mul_lo_u32 v4, s13, v5
	v_mad_u64_u32 v[1:2], s[2:3], s12, v5, 0
	s_mul_i32 s0, s14, s8
	s_lshl_b64 s[0:1], s[0:1], 3
	v_add3_u32 v2, v2, v3, v4
	s_add_u32 s6, s26, s0
	v_lshlrev_b64 v[1:2], 3, v[1:2]
	s_addc_u32 s7, s27, s1
	v_mov_b32_e32 v3, s7
	v_add_co_u32_e32 v4, vcc, s6, v1
	v_addc_co_u32_e32 v6, vcc, v3, v2, vcc
	v_cmp_le_i32_e64 s[0:1], v5, v0
	v_cmp_gt_i32_e32 vcc, s11, v0
	s_and_b64 s[0:1], s[0:1], vcc
	s_and_saveexec_b64 s[2:3], s[0:1]
	s_cbranch_execz .LBB1242_7
; %bb.5:
	v_ashrrev_i32_e32 v1, 31, v0
	v_lshlrev_b64 v[1:2], 3, v[0:1]
	v_add_co_u32_e64 v1, s[0:1], v4, v1
	v_addc_co_u32_e64 v2, s[0:1], v6, v2, s[0:1]
	global_load_dwordx2 v[7:8], v[1:2], off
	v_cmp_eq_u32_e64 s[0:1], v5, v0
	s_waitcnt vmcnt(0)
	v_sub_f32_e32 v7, v22, v7
	v_sub_f32_e32 v8, v23, v8
	global_store_dwordx2 v[1:2], v[7:8], off
	s_and_b64 exec, exec, s[0:1]
	s_cbranch_execz .LBB1242_7
; %bb.6:
	v_mov_b32_e32 v3, 0
	global_store_dword v[1:2], v3, off offset:4
.LBB1242_7:
	s_or_b64 exec, exec, s[2:3]
	v_add_u32_e32 v2, 16, v0
	v_cmp_le_i32_e64 s[2:3], v5, v2
	v_cmp_gt_i32_e64 s[0:1], s11, v2
	s_and_b64 s[2:3], s[2:3], s[0:1]
	s_and_saveexec_b64 s[4:5], s[2:3]
	s_cbranch_execz .LBB1242_10
; %bb.8:
	v_ashrrev_i32_e32 v3, 31, v2
	v_lshlrev_b64 v[7:8], 3, v[2:3]
	v_add_co_u32_e64 v3, s[2:3], v4, v7
	v_addc_co_u32_e64 v4, s[2:3], v6, v8, s[2:3]
	global_load_dwordx2 v[6:7], v[3:4], off
	v_cmp_eq_u32_e64 s[2:3], v5, v2
	s_waitcnt vmcnt(0)
	v_sub_f32_e32 v6, v21, v6
	v_sub_f32_e32 v7, v20, v7
	global_store_dwordx2 v[3:4], v[6:7], off
	s_and_b64 exec, exec, s[2:3]
	s_cbranch_execz .LBB1242_10
; %bb.9:
	v_mov_b32_e32 v1, 0
	global_store_dword v[3:4], v1, off offset:4
.LBB1242_10:
	s_or_b64 exec, exec, s[4:5]
	v_add_u32_e32 v6, 16, v5
	v_ashrrev_i32_e32 v1, 31, v6
	v_mul_lo_u32 v7, s13, v6
	v_mad_u64_u32 v[3:4], s[2:3], s12, v6, 0
	v_mul_lo_u32 v1, s12, v1
	v_add3_u32 v4, v4, v1, v7
	v_lshlrev_b64 v[3:4], 3, v[3:4]
	v_mov_b32_e32 v1, s7
	v_add_co_u32_e64 v7, s[2:3], s6, v3
	v_addc_co_u32_e64 v8, s[2:3], v1, v4, s[2:3]
	v_cmp_le_i32_e64 s[2:3], v6, v0
	s_and_b64 s[4:5], s[2:3], vcc
	s_and_saveexec_b64 s[2:3], s[4:5]
	s_cbranch_execz .LBB1242_13
; %bb.11:
	v_ashrrev_i32_e32 v1, 31, v0
	v_lshlrev_b64 v[3:4], 3, v[0:1]
	v_add_co_u32_e32 v3, vcc, v7, v3
	v_addc_co_u32_e32 v4, vcc, v8, v4, vcc
	global_load_dwordx2 v[9:10], v[3:4], off
	v_cmp_eq_u32_e32 vcc, v6, v0
	s_waitcnt vmcnt(0)
	v_sub_f32_e32 v9, v19, v9
	v_sub_f32_e32 v10, v18, v10
	global_store_dwordx2 v[3:4], v[9:10], off
	s_and_b64 exec, exec, vcc
	s_cbranch_execz .LBB1242_13
; %bb.12:
	v_mov_b32_e32 v1, 0
	global_store_dword v[3:4], v1, off offset:4
.LBB1242_13:
	s_or_b64 exec, exec, s[2:3]
	v_cmp_le_i32_e32 vcc, v6, v2
	s_and_b64 s[0:1], vcc, s[0:1]
	s_and_saveexec_b64 s[2:3], s[0:1]
	s_cbranch_execz .LBB1242_16
; %bb.14:
	v_ashrrev_i32_e32 v3, 31, v2
	v_lshlrev_b64 v[1:2], 3, v[2:3]
	v_add_co_u32_e32 v1, vcc, v7, v1
	v_addc_co_u32_e32 v2, vcc, v8, v2, vcc
	global_load_dwordx2 v[3:4], v[1:2], off
	v_cmp_eq_u32_e32 vcc, v5, v0
	s_waitcnt vmcnt(0)
	v_sub_f32_e32 v3, v17, v3
	v_sub_f32_e32 v4, v16, v4
	global_store_dwordx2 v[1:2], v[3:4], off
	s_and_b64 exec, exec, vcc
	s_cbranch_execz .LBB1242_16
; %bb.15:
	v_mov_b32_e32 v0, 0
	global_store_dword v[1:2], v0, off offset:4
.LBB1242_16:
	s_endpgm
	.section	.rodata,"a",@progbits
	.p2align	6, 0x0
	.amdhsa_kernel _ZL37rocblas_syrkx_herkx_restricted_kernelIl19rocblas_complex_numIfELi16ELi32ELi8ELi1ELin1ELb1ELc78ELc76EKS1_S1_EviT_PT9_S3_lS5_S3_lPT10_S3_li
		.amdhsa_group_segment_fixed_size 4096
		.amdhsa_private_segment_fixed_size 0
		.amdhsa_kernarg_size 92
		.amdhsa_user_sgpr_count 6
		.amdhsa_user_sgpr_private_segment_buffer 1
		.amdhsa_user_sgpr_dispatch_ptr 0
		.amdhsa_user_sgpr_queue_ptr 0
		.amdhsa_user_sgpr_kernarg_segment_ptr 1
		.amdhsa_user_sgpr_dispatch_id 0
		.amdhsa_user_sgpr_flat_scratch_init 0
		.amdhsa_user_sgpr_private_segment_size 0
		.amdhsa_uses_dynamic_stack 0
		.amdhsa_system_sgpr_private_segment_wavefront_offset 0
		.amdhsa_system_sgpr_workgroup_id_x 1
		.amdhsa_system_sgpr_workgroup_id_y 1
		.amdhsa_system_sgpr_workgroup_id_z 1
		.amdhsa_system_sgpr_workgroup_info 0
		.amdhsa_system_vgpr_workitem_id 1
		.amdhsa_next_free_vgpr 43
		.amdhsa_next_free_sgpr 28
		.amdhsa_reserve_vcc 1
		.amdhsa_reserve_flat_scratch 0
		.amdhsa_float_round_mode_32 0
		.amdhsa_float_round_mode_16_64 0
		.amdhsa_float_denorm_mode_32 3
		.amdhsa_float_denorm_mode_16_64 3
		.amdhsa_dx10_clamp 1
		.amdhsa_ieee_mode 1
		.amdhsa_fp16_overflow 0
		.amdhsa_exception_fp_ieee_invalid_op 0
		.amdhsa_exception_fp_denorm_src 0
		.amdhsa_exception_fp_ieee_div_zero 0
		.amdhsa_exception_fp_ieee_overflow 0
		.amdhsa_exception_fp_ieee_underflow 0
		.amdhsa_exception_fp_ieee_inexact 0
		.amdhsa_exception_int_div_zero 0
	.end_amdhsa_kernel
	.section	.text._ZL37rocblas_syrkx_herkx_restricted_kernelIl19rocblas_complex_numIfELi16ELi32ELi8ELi1ELin1ELb1ELc78ELc76EKS1_S1_EviT_PT9_S3_lS5_S3_lPT10_S3_li,"axG",@progbits,_ZL37rocblas_syrkx_herkx_restricted_kernelIl19rocblas_complex_numIfELi16ELi32ELi8ELi1ELin1ELb1ELc78ELc76EKS1_S1_EviT_PT9_S3_lS5_S3_lPT10_S3_li,comdat
.Lfunc_end1242:
	.size	_ZL37rocblas_syrkx_herkx_restricted_kernelIl19rocblas_complex_numIfELi16ELi32ELi8ELi1ELin1ELb1ELc78ELc76EKS1_S1_EviT_PT9_S3_lS5_S3_lPT10_S3_li, .Lfunc_end1242-_ZL37rocblas_syrkx_herkx_restricted_kernelIl19rocblas_complex_numIfELi16ELi32ELi8ELi1ELin1ELb1ELc78ELc76EKS1_S1_EviT_PT9_S3_lS5_S3_lPT10_S3_li
                                        ; -- End function
	.set _ZL37rocblas_syrkx_herkx_restricted_kernelIl19rocblas_complex_numIfELi16ELi32ELi8ELi1ELin1ELb1ELc78ELc76EKS1_S1_EviT_PT9_S3_lS5_S3_lPT10_S3_li.num_vgpr, 43
	.set _ZL37rocblas_syrkx_herkx_restricted_kernelIl19rocblas_complex_numIfELi16ELi32ELi8ELi1ELin1ELb1ELc78ELc76EKS1_S1_EviT_PT9_S3_lS5_S3_lPT10_S3_li.num_agpr, 0
	.set _ZL37rocblas_syrkx_herkx_restricted_kernelIl19rocblas_complex_numIfELi16ELi32ELi8ELi1ELin1ELb1ELc78ELc76EKS1_S1_EviT_PT9_S3_lS5_S3_lPT10_S3_li.numbered_sgpr, 28
	.set _ZL37rocblas_syrkx_herkx_restricted_kernelIl19rocblas_complex_numIfELi16ELi32ELi8ELi1ELin1ELb1ELc78ELc76EKS1_S1_EviT_PT9_S3_lS5_S3_lPT10_S3_li.num_named_barrier, 0
	.set _ZL37rocblas_syrkx_herkx_restricted_kernelIl19rocblas_complex_numIfELi16ELi32ELi8ELi1ELin1ELb1ELc78ELc76EKS1_S1_EviT_PT9_S3_lS5_S3_lPT10_S3_li.private_seg_size, 0
	.set _ZL37rocblas_syrkx_herkx_restricted_kernelIl19rocblas_complex_numIfELi16ELi32ELi8ELi1ELin1ELb1ELc78ELc76EKS1_S1_EviT_PT9_S3_lS5_S3_lPT10_S3_li.uses_vcc, 1
	.set _ZL37rocblas_syrkx_herkx_restricted_kernelIl19rocblas_complex_numIfELi16ELi32ELi8ELi1ELin1ELb1ELc78ELc76EKS1_S1_EviT_PT9_S3_lS5_S3_lPT10_S3_li.uses_flat_scratch, 0
	.set _ZL37rocblas_syrkx_herkx_restricted_kernelIl19rocblas_complex_numIfELi16ELi32ELi8ELi1ELin1ELb1ELc78ELc76EKS1_S1_EviT_PT9_S3_lS5_S3_lPT10_S3_li.has_dyn_sized_stack, 0
	.set _ZL37rocblas_syrkx_herkx_restricted_kernelIl19rocblas_complex_numIfELi16ELi32ELi8ELi1ELin1ELb1ELc78ELc76EKS1_S1_EviT_PT9_S3_lS5_S3_lPT10_S3_li.has_recursion, 0
	.set _ZL37rocblas_syrkx_herkx_restricted_kernelIl19rocblas_complex_numIfELi16ELi32ELi8ELi1ELin1ELb1ELc78ELc76EKS1_S1_EviT_PT9_S3_lS5_S3_lPT10_S3_li.has_indirect_call, 0
	.section	.AMDGPU.csdata,"",@progbits
; Kernel info:
; codeLenInByte = 2132
; TotalNumSgprs: 32
; NumVgprs: 43
; ScratchSize: 0
; MemoryBound: 0
; FloatMode: 240
; IeeeMode: 1
; LDSByteSize: 4096 bytes/workgroup (compile time only)
; SGPRBlocks: 3
; VGPRBlocks: 10
; NumSGPRsForWavesPerEU: 32
; NumVGPRsForWavesPerEU: 43
; Occupancy: 5
; WaveLimiterHint : 1
; COMPUTE_PGM_RSRC2:SCRATCH_EN: 0
; COMPUTE_PGM_RSRC2:USER_SGPR: 6
; COMPUTE_PGM_RSRC2:TRAP_HANDLER: 0
; COMPUTE_PGM_RSRC2:TGID_X_EN: 1
; COMPUTE_PGM_RSRC2:TGID_Y_EN: 1
; COMPUTE_PGM_RSRC2:TGID_Z_EN: 1
; COMPUTE_PGM_RSRC2:TIDIG_COMP_CNT: 1
	.section	.text._ZL37rocblas_syrkx_herkx_restricted_kernelIl19rocblas_complex_numIfELi16ELi32ELi8ELi1ELin1ELb1ELc84ELc85EKS1_S1_EviT_PT9_S3_lS5_S3_lPT10_S3_li,"axG",@progbits,_ZL37rocblas_syrkx_herkx_restricted_kernelIl19rocblas_complex_numIfELi16ELi32ELi8ELi1ELin1ELb1ELc84ELc85EKS1_S1_EviT_PT9_S3_lS5_S3_lPT10_S3_li,comdat
	.globl	_ZL37rocblas_syrkx_herkx_restricted_kernelIl19rocblas_complex_numIfELi16ELi32ELi8ELi1ELin1ELb1ELc84ELc85EKS1_S1_EviT_PT9_S3_lS5_S3_lPT10_S3_li ; -- Begin function _ZL37rocblas_syrkx_herkx_restricted_kernelIl19rocblas_complex_numIfELi16ELi32ELi8ELi1ELin1ELb1ELc84ELc85EKS1_S1_EviT_PT9_S3_lS5_S3_lPT10_S3_li
	.p2align	8
	.type	_ZL37rocblas_syrkx_herkx_restricted_kernelIl19rocblas_complex_numIfELi16ELi32ELi8ELi1ELin1ELb1ELc84ELc85EKS1_S1_EviT_PT9_S3_lS5_S3_lPT10_S3_li,@function
_ZL37rocblas_syrkx_herkx_restricted_kernelIl19rocblas_complex_numIfELi16ELi32ELi8ELi1ELin1ELb1ELc84ELc85EKS1_S1_EviT_PT9_S3_lS5_S3_lPT10_S3_li: ; @_ZL37rocblas_syrkx_herkx_restricted_kernelIl19rocblas_complex_numIfELi16ELi32ELi8ELi1ELin1ELb1ELc84ELc85EKS1_S1_EviT_PT9_S3_lS5_S3_lPT10_S3_li
; %bb.0:
	s_load_dwordx16 s[12:27], s[4:5], 0x8
	s_lshl_b32 s2, s6, 5
	s_lshl_b32 s3, s7, 5
	s_waitcnt lgkmcnt(0)
	v_cmp_lt_i64_e64 s[0:1], s[12:13], 1
	s_and_b64 vcc, exec, s[0:1]
	s_cbranch_vccnz .LBB1243_3
; %bb.1:
	v_lshl_add_u32 v4, v1, 4, v0
	v_lshrrev_b32_e32 v6, 3, v4
	v_add_u32_e32 v2, s3, v6
	v_ashrrev_i32_e32 v3, 31, v2
	v_and_b32_e32 v9, 7, v0
	v_mov_b32_e32 v10, 0
	v_mul_lo_u32 v5, s22, v3
	v_mul_lo_u32 v7, s23, v2
	v_mad_u64_u32 v[2:3], s[0:1], s22, v2, v[9:10]
	s_mul_i32 s6, s19, s8
	s_mul_hi_u32 s7, s18, s8
	v_add3_u32 v3, v7, v3, v5
	v_and_b32_e32 v7, 31, v4
	v_lshrrev_b32_e32 v4, 5, v4
	v_lshlrev_b32_e32 v8, 3, v7
	v_lshl_or_b32 v11, v4, 8, v8
	v_lshlrev_b32_e32 v8, 3, v9
	v_lshl_or_b32 v6, v6, 6, v8
	v_add_u32_e32 v12, 0x800, v6
	v_mov_b32_e32 v6, 0x800
	v_lshl_add_u32 v14, v1, 6, v6
	v_add_u32_e32 v6, s2, v7
	v_mov_b32_e32 v5, v10
	v_ashrrev_i32_e32 v7, 31, v6
	v_mul_lo_u32 v7, s16, v7
	v_mad_u64_u32 v[4:5], s[0:1], s16, v6, v[4:5]
	v_mul_lo_u32 v6, s17, v6
	s_add_i32 s1, s7, s6
	s_mul_i32 s0, s18, s8
	s_lshl_b64 s[0:1], s[0:1], 3
	v_add3_u32 v5, v6, v5, v7
	v_lshlrev_b64 v[4:5], 3, v[4:5]
	s_add_u32 s0, s14, s0
	s_addc_u32 s1, s15, s1
	v_mov_b32_e32 v6, s1
	v_add_co_u32_e32 v4, vcc, s0, v4
	s_mul_i32 s0, s25, s8
	s_mul_hi_u32 s1, s24, s8
	s_add_i32 s1, s1, s0
	s_mul_i32 s0, s24, s8
	v_addc_co_u32_e32 v5, vcc, v6, v5, vcc
	s_lshl_b64 s[0:1], s[0:1], 3
	v_add_co_u32_e32 v6, vcc, 4, v4
	v_lshlrev_b64 v[2:3], 3, v[2:3]
	s_add_u32 s0, s20, s0
	v_addc_co_u32_e32 v7, vcc, 0, v5, vcc
	s_addc_u32 s1, s21, s1
	v_mov_b32_e32 v4, s1
	v_add_co_u32_e32 v2, vcc, s0, v2
	v_addc_co_u32_e32 v3, vcc, v4, v3, vcc
	v_add_co_u32_e32 v8, vcc, 4, v2
	v_lshlrev_b32_e32 v13, 3, v0
	v_addc_co_u32_e32 v9, vcc, 0, v3, vcc
	s_mov_b64 s[0:1], 0
	v_mov_b32_e32 v15, v10
	v_mov_b32_e32 v16, v10
	;; [unrolled: 1-line block ×7, first 2 shown]
.LBB1243_2:                             ; =>This Inner Loop Header: Depth=1
	global_load_dwordx2 v[2:3], v[6:7], off offset:-4
	s_add_u32 s0, s0, 8
	v_add_co_u32_e32 v6, vcc, 64, v6
	s_addc_u32 s1, s1, 0
	v_addc_co_u32_e32 v7, vcc, 0, v7, vcc
	s_waitcnt vmcnt(0)
	ds_write_b64 v11, v[2:3]
	global_load_dwordx2 v[2:3], v[8:9], off offset:-4
	v_add_co_u32_e32 v8, vcc, 64, v8
	v_addc_co_u32_e32 v9, vcc, 0, v9, vcc
	s_waitcnt vmcnt(0)
	ds_write_b64 v12, v[2:3]
	s_waitcnt lgkmcnt(0)
	s_barrier
	ds_read_b128 v[22:25], v14
	ds_read_b128 v[26:29], v14 offset:16
	ds_read_b128 v[30:33], v14 offset:32
	;; [unrolled: 1-line block ×3, first 2 shown]
	ds_read2_b64 v[34:37], v13 offset1:16
	s_waitcnt lgkmcnt(0)
	v_mul_f32_e32 v38, v23, v35
	v_mul_f32_e32 v39, v22, v35
	v_fma_f32 v38, v22, v34, -v38
	v_fmac_f32_e32 v39, v23, v34
	v_add_f32_e32 v38, v20, v38
	v_add_f32_e32 v39, v21, v39
	v_mul_f32_e32 v20, v23, v37
	v_mul_f32_e32 v21, v22, v37
	v_fma_f32 v20, v22, v36, -v20
	v_fmac_f32_e32 v21, v23, v36
	v_add_f32_e32 v22, v19, v20
	v_add_f32_e32 v23, v18, v21
	ds_read_b128 v[18:21], v14 offset:1024
	s_waitcnt lgkmcnt(0)
	v_mul_f32_e32 v40, v19, v35
	v_mul_f32_e32 v35, v18, v35
	v_fma_f32 v40, v18, v34, -v40
	v_fmac_f32_e32 v35, v19, v34
	v_add_f32_e32 v34, v17, v40
	v_add_f32_e32 v35, v16, v35
	v_mul_f32_e32 v16, v19, v37
	v_mul_f32_e32 v17, v18, v37
	v_fma_f32 v16, v18, v36, -v16
	v_fmac_f32_e32 v17, v19, v36
	v_add_f32_e32 v19, v15, v16
	v_add_f32_e32 v10, v10, v17
	ds_read2_b64 v[15:18], v13 offset0:32 offset1:48
	s_waitcnt lgkmcnt(0)
	v_mul_f32_e32 v36, v25, v16
	v_fma_f32 v36, v24, v15, -v36
	v_add_f32_e32 v36, v38, v36
	v_mul_f32_e32 v38, v25, v18
	v_mul_f32_e32 v37, v24, v16
	v_fma_f32 v38, v24, v17, -v38
	v_mul_f32_e32 v24, v24, v18
	v_fmac_f32_e32 v24, v25, v17
	v_add_f32_e32 v23, v23, v24
	v_mul_f32_e32 v24, v21, v16
	v_mul_f32_e32 v16, v20, v16
	v_fmac_f32_e32 v16, v21, v15
	v_fmac_f32_e32 v37, v25, v15
	v_fma_f32 v24, v20, v15, -v24
	v_add_f32_e32 v25, v35, v16
	v_mul_f32_e32 v15, v21, v18
	v_mul_f32_e32 v16, v20, v18
	v_fma_f32 v15, v20, v17, -v15
	v_fmac_f32_e32 v16, v21, v17
	v_add_f32_e32 v24, v34, v24
	v_add_f32_e32 v34, v19, v15
	;; [unrolled: 1-line block ×3, first 2 shown]
	ds_read2_b64 v[15:18], v13 offset0:64 offset1:80
	v_add_f32_e32 v37, v39, v37
	v_add_f32_e32 v22, v22, v38
	s_waitcnt lgkmcnt(0)
	v_mul_f32_e32 v19, v27, v16
	v_mul_f32_e32 v20, v26, v16
	v_fma_f32 v19, v26, v15, -v19
	v_fmac_f32_e32 v20, v27, v15
	v_add_f32_e32 v35, v36, v19
	v_add_f32_e32 v36, v37, v20
	v_mul_f32_e32 v19, v27, v18
	v_mul_f32_e32 v20, v26, v18
	v_fma_f32 v19, v26, v17, -v19
	v_fmac_f32_e32 v20, v27, v17
	v_add_f32_e32 v26, v22, v19
	v_add_f32_e32 v23, v23, v20
	ds_read_b128 v[19:22], v14 offset:1040
	s_waitcnt lgkmcnt(0)
	v_mul_f32_e32 v27, v20, v16
	v_mul_f32_e32 v16, v19, v16
	v_fmac_f32_e32 v16, v20, v15
	v_fma_f32 v27, v19, v15, -v27
	v_add_f32_e32 v25, v25, v16
	v_mul_f32_e32 v15, v20, v18
	v_mul_f32_e32 v16, v19, v18
	v_fma_f32 v15, v19, v17, -v15
	v_fmac_f32_e32 v16, v20, v17
	v_add_f32_e32 v19, v34, v15
	v_add_f32_e32 v10, v10, v16
	ds_read2_b64 v[15:18], v13 offset0:96 offset1:112
	v_add_f32_e32 v24, v24, v27
	s_waitcnt lgkmcnt(0)
	v_mul_f32_e32 v20, v29, v16
	v_mul_f32_e32 v34, v29, v18
	v_fma_f32 v20, v28, v15, -v20
	v_mul_f32_e32 v27, v28, v16
	v_fma_f32 v34, v28, v17, -v34
	v_mul_f32_e32 v28, v28, v18
	v_fmac_f32_e32 v28, v29, v17
	v_add_f32_e32 v23, v23, v28
	v_mul_f32_e32 v28, v22, v16
	v_mul_f32_e32 v16, v21, v16
	v_fmac_f32_e32 v16, v22, v15
	v_fmac_f32_e32 v27, v29, v15
	v_fma_f32 v28, v21, v15, -v28
	v_add_f32_e32 v25, v25, v16
	v_mul_f32_e32 v15, v22, v18
	v_mul_f32_e32 v16, v21, v18
	v_fma_f32 v15, v21, v17, -v15
	v_fmac_f32_e32 v16, v22, v17
	v_add_f32_e32 v24, v24, v28
	v_add_f32_e32 v28, v19, v15
	;; [unrolled: 1-line block ×3, first 2 shown]
	ds_read2_b64 v[15:18], v13 offset0:128 offset1:144
	v_add_f32_e32 v20, v35, v20
	v_add_f32_e32 v27, v36, v27
	;; [unrolled: 1-line block ×3, first 2 shown]
	s_waitcnt lgkmcnt(0)
	v_mul_f32_e32 v19, v31, v16
	v_fma_f32 v19, v30, v15, -v19
	v_mul_f32_e32 v21, v30, v16
	v_add_f32_e32 v29, v20, v19
	v_mul_f32_e32 v19, v31, v18
	v_mul_f32_e32 v20, v30, v18
	v_fmac_f32_e32 v21, v31, v15
	v_fma_f32 v19, v30, v17, -v19
	v_fmac_f32_e32 v20, v31, v17
	v_add_f32_e32 v27, v27, v21
	v_add_f32_e32 v26, v26, v19
	;; [unrolled: 1-line block ×3, first 2 shown]
	ds_read_b128 v[19:22], v14 offset:1056
	s_waitcnt lgkmcnt(0)
	v_mul_f32_e32 v30, v20, v16
	v_mul_f32_e32 v16, v19, v16
	v_fmac_f32_e32 v16, v20, v15
	v_fma_f32 v30, v19, v15, -v30
	v_add_f32_e32 v25, v25, v16
	v_mul_f32_e32 v15, v20, v18
	v_mul_f32_e32 v16, v19, v18
	v_fma_f32 v15, v19, v17, -v15
	v_fmac_f32_e32 v16, v20, v17
	v_add_f32_e32 v19, v28, v15
	v_add_f32_e32 v10, v10, v16
	ds_read2_b64 v[15:18], v13 offset0:160 offset1:176
	v_add_f32_e32 v24, v24, v30
	s_waitcnt lgkmcnt(0)
	v_mul_f32_e32 v28, v32, v16
	v_fmac_f32_e32 v28, v33, v15
	v_add_f32_e32 v27, v27, v28
	v_mul_f32_e32 v28, v33, v18
	v_fma_f32 v28, v32, v17, -v28
	v_mul_f32_e32 v20, v33, v16
	v_add_f32_e32 v26, v26, v28
	v_mul_f32_e32 v28, v22, v16
	v_mul_f32_e32 v16, v21, v16
	v_fmac_f32_e32 v16, v22, v15
	v_fma_f32 v20, v32, v15, -v20
	v_fma_f32 v28, v21, v15, -v28
	v_add_f32_e32 v25, v25, v16
	v_mul_f32_e32 v15, v22, v18
	v_mul_f32_e32 v16, v21, v18
	v_add_f32_e32 v20, v29, v20
	v_mul_f32_e32 v29, v32, v18
	v_fma_f32 v15, v21, v17, -v15
	v_fmac_f32_e32 v16, v22, v17
	v_fmac_f32_e32 v29, v33, v17
	v_add_f32_e32 v19, v19, v15
	v_add_f32_e32 v10, v10, v16
	ds_read2_b64 v[15:18], v13 offset0:192 offset1:208
	v_add_f32_e32 v24, v24, v28
	v_add_f32_e32 v23, v23, v29
	s_waitcnt lgkmcnt(0)
	v_mul_f32_e32 v21, v3, v16
	v_fma_f32 v21, v2, v15, -v21
	v_add_f32_e32 v28, v20, v21
	v_mul_f32_e32 v20, v3, v18
	v_mul_f32_e32 v22, v2, v16
	v_fma_f32 v20, v2, v17, -v20
	v_mul_f32_e32 v2, v2, v18
	v_fmac_f32_e32 v22, v3, v15
	v_fmac_f32_e32 v2, v3, v17
	v_add_f32_e32 v29, v27, v22
	v_add_f32_e32 v3, v26, v20
	;; [unrolled: 1-line block ×3, first 2 shown]
	ds_read_b128 v[20:23], v14 offset:1072
	s_waitcnt lgkmcnt(0)
	v_mul_f32_e32 v26, v21, v16
	v_fma_f32 v26, v20, v15, -v26
	v_mul_f32_e32 v16, v20, v16
	v_fmac_f32_e32 v16, v21, v15
	v_add_f32_e32 v15, v24, v26
	v_mul_f32_e32 v24, v21, v18
	v_fma_f32 v24, v20, v17, -v24
	v_add_f32_e32 v16, v25, v16
	v_add_f32_e32 v30, v19, v24
	ds_read2_b64 v[24:27], v13 offset0:224 offset1:240
	v_mul_f32_e32 v18, v20, v18
	v_fmac_f32_e32 v18, v21, v17
	v_add_f32_e32 v10, v10, v18
	s_waitcnt lgkmcnt(0)
	v_mul_f32_e32 v17, v5, v25
	v_fma_f32 v17, v4, v24, -v17
	v_add_f32_e32 v20, v28, v17
	v_mul_f32_e32 v17, v5, v27
	v_mul_f32_e32 v18, v4, v25
	v_fma_f32 v17, v4, v26, -v17
	v_mul_f32_e32 v4, v4, v27
	v_fmac_f32_e32 v18, v5, v24
	v_fmac_f32_e32 v4, v5, v26
	v_add_f32_e32 v21, v29, v18
	v_add_f32_e32 v19, v3, v17
	v_add_f32_e32 v18, v2, v4
	v_mul_f32_e32 v2, v23, v25
	v_mul_f32_e32 v3, v22, v25
	v_fma_f32 v2, v22, v24, -v2
	v_fmac_f32_e32 v3, v23, v24
	v_add_f32_e32 v17, v15, v2
	v_add_f32_e32 v16, v16, v3
	v_mul_f32_e32 v2, v23, v27
	v_mul_f32_e32 v3, v22, v27
	v_fma_f32 v2, v22, v26, -v2
	v_fmac_f32_e32 v3, v23, v26
	v_add_f32_e32 v15, v30, v2
	v_add_f32_e32 v10, v10, v3
	v_mov_b32_e32 v3, s1
	v_mov_b32_e32 v2, s0
	v_cmp_le_u64_e32 vcc, s[12:13], v[2:3]
	s_barrier
	s_cbranch_vccz .LBB1243_2
	s_branch .LBB1243_4
.LBB1243_3:
	v_mov_b32_e32 v20, 0
	v_mov_b32_e32 v21, 0
	;; [unrolled: 1-line block ×8, first 2 shown]
.LBB1243_4:
	s_load_dwordx4 s[12:15], s[4:5], 0x48
	s_load_dword s6, s[4:5], 0x0
	v_add_u32_e32 v5, s3, v1
	v_ashrrev_i32_e32 v1, 31, v5
	v_add_u32_e32 v0, s2, v0
	s_waitcnt lgkmcnt(0)
	s_mul_i32 s1, s15, s8
	s_mul_hi_u32 s3, s14, s8
	s_mul_i32 s0, s14, s8
	v_mul_lo_u32 v3, s12, v1
	v_mul_lo_u32 v4, s13, v5
	v_mad_u64_u32 v[1:2], s[8:9], s12, v5, 0
	s_add_i32 s1, s3, s1
	s_lshl_b64 s[0:1], s[0:1], 3
	v_add3_u32 v2, v2, v3, v4
	s_add_u32 s4, s26, s0
	v_lshlrev_b64 v[1:2], 3, v[1:2]
	s_addc_u32 s5, s27, s1
	v_mov_b32_e32 v3, s5
	v_add_co_u32_e64 v4, s[0:1], s4, v1
	v_addc_co_u32_e64 v6, s[0:1], v3, v2, s[0:1]
	v_cmp_gt_i32_e32 vcc, s6, v5
	v_cmp_le_i32_e64 s[0:1], v0, v5
	s_and_b64 s[0:1], vcc, s[0:1]
	s_and_saveexec_b64 s[2:3], s[0:1]
	s_cbranch_execz .LBB1243_7
; %bb.5:
	v_ashrrev_i32_e32 v1, 31, v0
	v_lshlrev_b64 v[1:2], 3, v[0:1]
	v_add_co_u32_e64 v1, s[0:1], v4, v1
	v_addc_co_u32_e64 v2, s[0:1], v6, v2, s[0:1]
	global_load_dwordx2 v[7:8], v[1:2], off
	v_cmp_eq_u32_e64 s[0:1], v5, v0
	s_waitcnt vmcnt(0)
	v_sub_f32_e32 v7, v20, v7
	v_sub_f32_e32 v8, v21, v8
	global_store_dwordx2 v[1:2], v[7:8], off
	s_and_b64 exec, exec, s[0:1]
	s_cbranch_execz .LBB1243_7
; %bb.6:
	v_mov_b32_e32 v3, 0
	global_store_dword v[1:2], v3, off offset:4
.LBB1243_7:
	s_or_b64 exec, exec, s[2:3]
	v_add_u32_e32 v2, 16, v0
	v_cmp_le_i32_e64 s[0:1], v2, v5
	s_and_b64 s[2:3], vcc, s[0:1]
	s_and_saveexec_b64 s[0:1], s[2:3]
	s_cbranch_execz .LBB1243_10
; %bb.8:
	v_ashrrev_i32_e32 v3, 31, v2
	v_lshlrev_b64 v[7:8], 3, v[2:3]
	v_add_co_u32_e32 v3, vcc, v4, v7
	v_addc_co_u32_e32 v4, vcc, v6, v8, vcc
	global_load_dwordx2 v[6:7], v[3:4], off
	v_cmp_eq_u32_e32 vcc, v5, v2
	s_waitcnt vmcnt(0)
	v_sub_f32_e32 v6, v19, v6
	v_sub_f32_e32 v7, v18, v7
	global_store_dwordx2 v[3:4], v[6:7], off
	s_and_b64 exec, exec, vcc
	s_cbranch_execz .LBB1243_10
; %bb.9:
	v_mov_b32_e32 v1, 0
	global_store_dword v[3:4], v1, off offset:4
.LBB1243_10:
	s_or_b64 exec, exec, s[0:1]
	v_add_u32_e32 v6, 16, v5
	v_ashrrev_i32_e32 v1, 31, v6
	v_mul_lo_u32 v1, s12, v1
	v_mul_lo_u32 v7, s13, v6
	v_mad_u64_u32 v[3:4], s[0:1], s12, v6, 0
	v_cmp_gt_i32_e32 vcc, s6, v6
	v_add3_u32 v4, v4, v1, v7
	v_lshlrev_b64 v[3:4], 3, v[3:4]
	v_mov_b32_e32 v1, s5
	v_add_co_u32_e64 v7, s[0:1], s4, v3
	v_addc_co_u32_e64 v8, s[0:1], v1, v4, s[0:1]
	v_cmp_le_i32_e64 s[0:1], v0, v6
	s_and_b64 s[0:1], vcc, s[0:1]
	s_and_saveexec_b64 s[2:3], s[0:1]
	s_cbranch_execz .LBB1243_13
; %bb.11:
	v_ashrrev_i32_e32 v1, 31, v0
	v_lshlrev_b64 v[3:4], 3, v[0:1]
	v_add_co_u32_e64 v3, s[0:1], v7, v3
	v_addc_co_u32_e64 v4, s[0:1], v8, v4, s[0:1]
	global_load_dwordx2 v[11:12], v[3:4], off
	v_cmp_eq_u32_e64 s[0:1], v6, v0
	s_waitcnt vmcnt(0)
	v_sub_f32_e32 v11, v17, v11
	v_sub_f32_e32 v12, v16, v12
	global_store_dwordx2 v[3:4], v[11:12], off
	s_and_b64 exec, exec, s[0:1]
	s_cbranch_execz .LBB1243_13
; %bb.12:
	v_mov_b32_e32 v1, 0
	global_store_dword v[3:4], v1, off offset:4
.LBB1243_13:
	s_or_b64 exec, exec, s[2:3]
	v_cmp_le_i32_e64 s[0:1], v2, v6
	s_and_b64 s[0:1], vcc, s[0:1]
	s_and_saveexec_b64 s[2:3], s[0:1]
	s_cbranch_execz .LBB1243_16
; %bb.14:
	v_ashrrev_i32_e32 v3, 31, v2
	v_lshlrev_b64 v[1:2], 3, v[2:3]
	v_add_co_u32_e32 v1, vcc, v7, v1
	v_addc_co_u32_e32 v2, vcc, v8, v2, vcc
	global_load_dwordx2 v[3:4], v[1:2], off
	v_cmp_eq_u32_e32 vcc, v5, v0
	s_waitcnt vmcnt(0)
	v_sub_f32_e32 v3, v15, v3
	v_sub_f32_e32 v4, v10, v4
	global_store_dwordx2 v[1:2], v[3:4], off
	s_and_b64 exec, exec, vcc
	s_cbranch_execz .LBB1243_16
; %bb.15:
	v_mov_b32_e32 v0, 0
	global_store_dword v[1:2], v0, off offset:4
.LBB1243_16:
	s_endpgm
	.section	.rodata,"a",@progbits
	.p2align	6, 0x0
	.amdhsa_kernel _ZL37rocblas_syrkx_herkx_restricted_kernelIl19rocblas_complex_numIfELi16ELi32ELi8ELi1ELin1ELb1ELc84ELc85EKS1_S1_EviT_PT9_S3_lS5_S3_lPT10_S3_li
		.amdhsa_group_segment_fixed_size 4096
		.amdhsa_private_segment_fixed_size 0
		.amdhsa_kernarg_size 92
		.amdhsa_user_sgpr_count 6
		.amdhsa_user_sgpr_private_segment_buffer 1
		.amdhsa_user_sgpr_dispatch_ptr 0
		.amdhsa_user_sgpr_queue_ptr 0
		.amdhsa_user_sgpr_kernarg_segment_ptr 1
		.amdhsa_user_sgpr_dispatch_id 0
		.amdhsa_user_sgpr_flat_scratch_init 0
		.amdhsa_user_sgpr_private_segment_size 0
		.amdhsa_uses_dynamic_stack 0
		.amdhsa_system_sgpr_private_segment_wavefront_offset 0
		.amdhsa_system_sgpr_workgroup_id_x 1
		.amdhsa_system_sgpr_workgroup_id_y 1
		.amdhsa_system_sgpr_workgroup_id_z 1
		.amdhsa_system_sgpr_workgroup_info 0
		.amdhsa_system_vgpr_workitem_id 1
		.amdhsa_next_free_vgpr 41
		.amdhsa_next_free_sgpr 28
		.amdhsa_reserve_vcc 1
		.amdhsa_reserve_flat_scratch 0
		.amdhsa_float_round_mode_32 0
		.amdhsa_float_round_mode_16_64 0
		.amdhsa_float_denorm_mode_32 3
		.amdhsa_float_denorm_mode_16_64 3
		.amdhsa_dx10_clamp 1
		.amdhsa_ieee_mode 1
		.amdhsa_fp16_overflow 0
		.amdhsa_exception_fp_ieee_invalid_op 0
		.amdhsa_exception_fp_denorm_src 0
		.amdhsa_exception_fp_ieee_div_zero 0
		.amdhsa_exception_fp_ieee_overflow 0
		.amdhsa_exception_fp_ieee_underflow 0
		.amdhsa_exception_fp_ieee_inexact 0
		.amdhsa_exception_int_div_zero 0
	.end_amdhsa_kernel
	.section	.text._ZL37rocblas_syrkx_herkx_restricted_kernelIl19rocblas_complex_numIfELi16ELi32ELi8ELi1ELin1ELb1ELc84ELc85EKS1_S1_EviT_PT9_S3_lS5_S3_lPT10_S3_li,"axG",@progbits,_ZL37rocblas_syrkx_herkx_restricted_kernelIl19rocblas_complex_numIfELi16ELi32ELi8ELi1ELin1ELb1ELc84ELc85EKS1_S1_EviT_PT9_S3_lS5_S3_lPT10_S3_li,comdat
.Lfunc_end1243:
	.size	_ZL37rocblas_syrkx_herkx_restricted_kernelIl19rocblas_complex_numIfELi16ELi32ELi8ELi1ELin1ELb1ELc84ELc85EKS1_S1_EviT_PT9_S3_lS5_S3_lPT10_S3_li, .Lfunc_end1243-_ZL37rocblas_syrkx_herkx_restricted_kernelIl19rocblas_complex_numIfELi16ELi32ELi8ELi1ELin1ELb1ELc84ELc85EKS1_S1_EviT_PT9_S3_lS5_S3_lPT10_S3_li
                                        ; -- End function
	.set _ZL37rocblas_syrkx_herkx_restricted_kernelIl19rocblas_complex_numIfELi16ELi32ELi8ELi1ELin1ELb1ELc84ELc85EKS1_S1_EviT_PT9_S3_lS5_S3_lPT10_S3_li.num_vgpr, 41
	.set _ZL37rocblas_syrkx_herkx_restricted_kernelIl19rocblas_complex_numIfELi16ELi32ELi8ELi1ELin1ELb1ELc84ELc85EKS1_S1_EviT_PT9_S3_lS5_S3_lPT10_S3_li.num_agpr, 0
	.set _ZL37rocblas_syrkx_herkx_restricted_kernelIl19rocblas_complex_numIfELi16ELi32ELi8ELi1ELin1ELb1ELc84ELc85EKS1_S1_EviT_PT9_S3_lS5_S3_lPT10_S3_li.numbered_sgpr, 28
	.set _ZL37rocblas_syrkx_herkx_restricted_kernelIl19rocblas_complex_numIfELi16ELi32ELi8ELi1ELin1ELb1ELc84ELc85EKS1_S1_EviT_PT9_S3_lS5_S3_lPT10_S3_li.num_named_barrier, 0
	.set _ZL37rocblas_syrkx_herkx_restricted_kernelIl19rocblas_complex_numIfELi16ELi32ELi8ELi1ELin1ELb1ELc84ELc85EKS1_S1_EviT_PT9_S3_lS5_S3_lPT10_S3_li.private_seg_size, 0
	.set _ZL37rocblas_syrkx_herkx_restricted_kernelIl19rocblas_complex_numIfELi16ELi32ELi8ELi1ELin1ELb1ELc84ELc85EKS1_S1_EviT_PT9_S3_lS5_S3_lPT10_S3_li.uses_vcc, 1
	.set _ZL37rocblas_syrkx_herkx_restricted_kernelIl19rocblas_complex_numIfELi16ELi32ELi8ELi1ELin1ELb1ELc84ELc85EKS1_S1_EviT_PT9_S3_lS5_S3_lPT10_S3_li.uses_flat_scratch, 0
	.set _ZL37rocblas_syrkx_herkx_restricted_kernelIl19rocblas_complex_numIfELi16ELi32ELi8ELi1ELin1ELb1ELc84ELc85EKS1_S1_EviT_PT9_S3_lS5_S3_lPT10_S3_li.has_dyn_sized_stack, 0
	.set _ZL37rocblas_syrkx_herkx_restricted_kernelIl19rocblas_complex_numIfELi16ELi32ELi8ELi1ELin1ELb1ELc84ELc85EKS1_S1_EviT_PT9_S3_lS5_S3_lPT10_S3_li.has_recursion, 0
	.set _ZL37rocblas_syrkx_herkx_restricted_kernelIl19rocblas_complex_numIfELi16ELi32ELi8ELi1ELin1ELb1ELc84ELc85EKS1_S1_EviT_PT9_S3_lS5_S3_lPT10_S3_li.has_indirect_call, 0
	.section	.AMDGPU.csdata,"",@progbits
; Kernel info:
; codeLenInByte = 2152
; TotalNumSgprs: 32
; NumVgprs: 41
; ScratchSize: 0
; MemoryBound: 0
; FloatMode: 240
; IeeeMode: 1
; LDSByteSize: 4096 bytes/workgroup (compile time only)
; SGPRBlocks: 3
; VGPRBlocks: 10
; NumSGPRsForWavesPerEU: 32
; NumVGPRsForWavesPerEU: 41
; Occupancy: 5
; WaveLimiterHint : 1
; COMPUTE_PGM_RSRC2:SCRATCH_EN: 0
; COMPUTE_PGM_RSRC2:USER_SGPR: 6
; COMPUTE_PGM_RSRC2:TRAP_HANDLER: 0
; COMPUTE_PGM_RSRC2:TGID_X_EN: 1
; COMPUTE_PGM_RSRC2:TGID_Y_EN: 1
; COMPUTE_PGM_RSRC2:TGID_Z_EN: 1
; COMPUTE_PGM_RSRC2:TIDIG_COMP_CNT: 1
	.section	.text._ZL37rocblas_syrkx_herkx_restricted_kernelIl19rocblas_complex_numIfELi16ELi32ELi8ELi1ELin1ELb1ELc67ELc85EKS1_S1_EviT_PT9_S3_lS5_S3_lPT10_S3_li,"axG",@progbits,_ZL37rocblas_syrkx_herkx_restricted_kernelIl19rocblas_complex_numIfELi16ELi32ELi8ELi1ELin1ELb1ELc67ELc85EKS1_S1_EviT_PT9_S3_lS5_S3_lPT10_S3_li,comdat
	.globl	_ZL37rocblas_syrkx_herkx_restricted_kernelIl19rocblas_complex_numIfELi16ELi32ELi8ELi1ELin1ELb1ELc67ELc85EKS1_S1_EviT_PT9_S3_lS5_S3_lPT10_S3_li ; -- Begin function _ZL37rocblas_syrkx_herkx_restricted_kernelIl19rocblas_complex_numIfELi16ELi32ELi8ELi1ELin1ELb1ELc67ELc85EKS1_S1_EviT_PT9_S3_lS5_S3_lPT10_S3_li
	.p2align	8
	.type	_ZL37rocblas_syrkx_herkx_restricted_kernelIl19rocblas_complex_numIfELi16ELi32ELi8ELi1ELin1ELb1ELc67ELc85EKS1_S1_EviT_PT9_S3_lS5_S3_lPT10_S3_li,@function
_ZL37rocblas_syrkx_herkx_restricted_kernelIl19rocblas_complex_numIfELi16ELi32ELi8ELi1ELin1ELb1ELc67ELc85EKS1_S1_EviT_PT9_S3_lS5_S3_lPT10_S3_li: ; @_ZL37rocblas_syrkx_herkx_restricted_kernelIl19rocblas_complex_numIfELi16ELi32ELi8ELi1ELin1ELb1ELc67ELc85EKS1_S1_EviT_PT9_S3_lS5_S3_lPT10_S3_li
; %bb.0:
	s_load_dwordx16 s[12:27], s[4:5], 0x8
	s_lshl_b32 s2, s6, 5
	s_lshl_b32 s3, s7, 5
	s_waitcnt lgkmcnt(0)
	v_cmp_lt_i64_e64 s[0:1], s[12:13], 1
	s_and_b64 vcc, exec, s[0:1]
	s_cbranch_vccnz .LBB1244_3
; %bb.1:
	v_lshl_add_u32 v4, v1, 4, v0
	v_lshrrev_b32_e32 v6, 3, v4
	v_add_u32_e32 v2, s3, v6
	v_ashrrev_i32_e32 v3, 31, v2
	v_and_b32_e32 v9, 7, v0
	v_mov_b32_e32 v10, 0
	v_mul_lo_u32 v5, s22, v3
	v_mul_lo_u32 v7, s23, v2
	v_mad_u64_u32 v[2:3], s[0:1], s22, v2, v[9:10]
	s_mul_i32 s6, s19, s8
	s_mul_hi_u32 s7, s18, s8
	v_add3_u32 v3, v7, v3, v5
	v_and_b32_e32 v7, 31, v4
	v_lshrrev_b32_e32 v4, 5, v4
	v_lshlrev_b32_e32 v8, 3, v7
	v_lshl_or_b32 v11, v4, 8, v8
	v_lshlrev_b32_e32 v8, 3, v9
	v_lshl_or_b32 v6, v6, 6, v8
	v_add_u32_e32 v12, 0x800, v6
	v_mov_b32_e32 v6, 0x800
	v_lshl_add_u32 v14, v1, 6, v6
	v_add_u32_e32 v6, s2, v7
	v_mov_b32_e32 v5, v10
	v_ashrrev_i32_e32 v7, 31, v6
	v_mul_lo_u32 v7, s16, v7
	v_mad_u64_u32 v[4:5], s[0:1], s16, v6, v[4:5]
	v_mul_lo_u32 v6, s17, v6
	s_add_i32 s1, s7, s6
	s_mul_i32 s0, s18, s8
	s_lshl_b64 s[0:1], s[0:1], 3
	v_add3_u32 v5, v6, v5, v7
	v_lshlrev_b64 v[4:5], 3, v[4:5]
	s_add_u32 s0, s14, s0
	s_addc_u32 s1, s15, s1
	v_mov_b32_e32 v6, s1
	v_add_co_u32_e32 v4, vcc, s0, v4
	s_mul_i32 s0, s25, s8
	s_mul_hi_u32 s1, s24, s8
	s_add_i32 s1, s1, s0
	s_mul_i32 s0, s24, s8
	v_addc_co_u32_e32 v5, vcc, v6, v5, vcc
	s_lshl_b64 s[0:1], s[0:1], 3
	v_add_co_u32_e32 v6, vcc, 4, v4
	v_lshlrev_b64 v[2:3], 3, v[2:3]
	s_add_u32 s0, s20, s0
	v_addc_co_u32_e32 v7, vcc, 0, v5, vcc
	s_addc_u32 s1, s21, s1
	v_mov_b32_e32 v4, s1
	v_add_co_u32_e32 v2, vcc, s0, v2
	v_addc_co_u32_e32 v3, vcc, v4, v3, vcc
	v_add_co_u32_e32 v8, vcc, 4, v2
	v_lshlrev_b32_e32 v13, 3, v0
	v_addc_co_u32_e32 v9, vcc, 0, v3, vcc
	s_mov_b64 s[0:1], 0
	v_mov_b32_e32 v15, v10
	v_mov_b32_e32 v16, v10
	;; [unrolled: 1-line block ×7, first 2 shown]
.LBB1244_2:                             ; =>This Inner Loop Header: Depth=1
	global_load_dwordx2 v[2:3], v[6:7], off offset:-4
	v_add_co_u32_e32 v6, vcc, 64, v6
	s_add_u32 s0, s0, 8
	v_addc_co_u32_e32 v7, vcc, 0, v7, vcc
	s_addc_u32 s1, s1, 0
	s_waitcnt vmcnt(0)
	v_xor_b32_e32 v3, 0x80000000, v3
	ds_write_b64 v11, v[2:3]
	global_load_dwordx2 v[2:3], v[8:9], off offset:-4
	v_add_co_u32_e32 v8, vcc, 64, v8
	v_addc_co_u32_e32 v9, vcc, 0, v9, vcc
	s_waitcnt vmcnt(0)
	ds_write_b64 v12, v[2:3]
	s_waitcnt lgkmcnt(0)
	s_barrier
	ds_read_b128 v[22:25], v14
	ds_read_b128 v[26:29], v14 offset:16
	ds_read_b128 v[30:33], v14 offset:32
	;; [unrolled: 1-line block ×3, first 2 shown]
	ds_read2_b64 v[34:37], v13 offset1:16
	s_waitcnt lgkmcnt(0)
	v_mul_f32_e32 v38, v23, v35
	v_mul_f32_e32 v39, v22, v35
	v_fma_f32 v38, v22, v34, -v38
	v_fmac_f32_e32 v39, v23, v34
	v_add_f32_e32 v38, v20, v38
	v_add_f32_e32 v39, v21, v39
	v_mul_f32_e32 v20, v23, v37
	v_mul_f32_e32 v21, v22, v37
	v_fma_f32 v20, v22, v36, -v20
	v_fmac_f32_e32 v21, v23, v36
	v_add_f32_e32 v22, v19, v20
	v_add_f32_e32 v23, v18, v21
	ds_read_b128 v[18:21], v14 offset:1024
	s_waitcnt lgkmcnt(0)
	v_mul_f32_e32 v40, v19, v35
	v_mul_f32_e32 v35, v18, v35
	v_fma_f32 v40, v18, v34, -v40
	v_fmac_f32_e32 v35, v19, v34
	v_add_f32_e32 v34, v17, v40
	v_add_f32_e32 v35, v16, v35
	v_mul_f32_e32 v16, v19, v37
	v_mul_f32_e32 v17, v18, v37
	v_fma_f32 v16, v18, v36, -v16
	v_fmac_f32_e32 v17, v19, v36
	v_add_f32_e32 v19, v15, v16
	v_add_f32_e32 v10, v10, v17
	ds_read2_b64 v[15:18], v13 offset0:32 offset1:48
	s_waitcnt lgkmcnt(0)
	v_mul_f32_e32 v36, v25, v16
	v_fma_f32 v36, v24, v15, -v36
	v_add_f32_e32 v36, v38, v36
	v_mul_f32_e32 v38, v25, v18
	v_mul_f32_e32 v37, v24, v16
	v_fma_f32 v38, v24, v17, -v38
	v_mul_f32_e32 v24, v24, v18
	v_fmac_f32_e32 v24, v25, v17
	v_add_f32_e32 v23, v23, v24
	v_mul_f32_e32 v24, v21, v16
	v_mul_f32_e32 v16, v20, v16
	v_fmac_f32_e32 v16, v21, v15
	v_fmac_f32_e32 v37, v25, v15
	v_fma_f32 v24, v20, v15, -v24
	v_add_f32_e32 v25, v35, v16
	v_mul_f32_e32 v15, v21, v18
	v_mul_f32_e32 v16, v20, v18
	v_fma_f32 v15, v20, v17, -v15
	v_fmac_f32_e32 v16, v21, v17
	v_add_f32_e32 v24, v34, v24
	v_add_f32_e32 v34, v19, v15
	;; [unrolled: 1-line block ×3, first 2 shown]
	ds_read2_b64 v[15:18], v13 offset0:64 offset1:80
	v_add_f32_e32 v37, v39, v37
	v_add_f32_e32 v22, v22, v38
	s_waitcnt lgkmcnt(0)
	v_mul_f32_e32 v19, v27, v16
	v_mul_f32_e32 v20, v26, v16
	v_fma_f32 v19, v26, v15, -v19
	v_fmac_f32_e32 v20, v27, v15
	v_add_f32_e32 v35, v36, v19
	v_add_f32_e32 v36, v37, v20
	v_mul_f32_e32 v19, v27, v18
	v_mul_f32_e32 v20, v26, v18
	v_fma_f32 v19, v26, v17, -v19
	v_fmac_f32_e32 v20, v27, v17
	v_add_f32_e32 v26, v22, v19
	v_add_f32_e32 v23, v23, v20
	ds_read_b128 v[19:22], v14 offset:1040
	s_waitcnt lgkmcnt(0)
	v_mul_f32_e32 v27, v20, v16
	v_mul_f32_e32 v16, v19, v16
	v_fmac_f32_e32 v16, v20, v15
	v_fma_f32 v27, v19, v15, -v27
	v_add_f32_e32 v25, v25, v16
	v_mul_f32_e32 v15, v20, v18
	v_mul_f32_e32 v16, v19, v18
	v_fma_f32 v15, v19, v17, -v15
	v_fmac_f32_e32 v16, v20, v17
	v_add_f32_e32 v19, v34, v15
	v_add_f32_e32 v10, v10, v16
	ds_read2_b64 v[15:18], v13 offset0:96 offset1:112
	v_add_f32_e32 v24, v24, v27
	s_waitcnt lgkmcnt(0)
	v_mul_f32_e32 v20, v29, v16
	v_mul_f32_e32 v34, v29, v18
	v_fma_f32 v20, v28, v15, -v20
	v_mul_f32_e32 v27, v28, v16
	v_fma_f32 v34, v28, v17, -v34
	v_mul_f32_e32 v28, v28, v18
	v_fmac_f32_e32 v28, v29, v17
	v_add_f32_e32 v23, v23, v28
	v_mul_f32_e32 v28, v22, v16
	v_mul_f32_e32 v16, v21, v16
	v_fmac_f32_e32 v16, v22, v15
	v_fmac_f32_e32 v27, v29, v15
	v_fma_f32 v28, v21, v15, -v28
	v_add_f32_e32 v25, v25, v16
	v_mul_f32_e32 v15, v22, v18
	v_mul_f32_e32 v16, v21, v18
	v_fma_f32 v15, v21, v17, -v15
	v_fmac_f32_e32 v16, v22, v17
	v_add_f32_e32 v24, v24, v28
	v_add_f32_e32 v28, v19, v15
	;; [unrolled: 1-line block ×3, first 2 shown]
	ds_read2_b64 v[15:18], v13 offset0:128 offset1:144
	v_add_f32_e32 v20, v35, v20
	v_add_f32_e32 v27, v36, v27
	;; [unrolled: 1-line block ×3, first 2 shown]
	s_waitcnt lgkmcnt(0)
	v_mul_f32_e32 v19, v31, v16
	v_fma_f32 v19, v30, v15, -v19
	v_mul_f32_e32 v21, v30, v16
	v_add_f32_e32 v29, v20, v19
	v_mul_f32_e32 v19, v31, v18
	v_mul_f32_e32 v20, v30, v18
	v_fmac_f32_e32 v21, v31, v15
	v_fma_f32 v19, v30, v17, -v19
	v_fmac_f32_e32 v20, v31, v17
	v_add_f32_e32 v27, v27, v21
	v_add_f32_e32 v26, v26, v19
	;; [unrolled: 1-line block ×3, first 2 shown]
	ds_read_b128 v[19:22], v14 offset:1056
	s_waitcnt lgkmcnt(0)
	v_mul_f32_e32 v30, v20, v16
	v_mul_f32_e32 v16, v19, v16
	v_fmac_f32_e32 v16, v20, v15
	v_fma_f32 v30, v19, v15, -v30
	v_add_f32_e32 v25, v25, v16
	v_mul_f32_e32 v15, v20, v18
	v_mul_f32_e32 v16, v19, v18
	v_fma_f32 v15, v19, v17, -v15
	v_fmac_f32_e32 v16, v20, v17
	v_add_f32_e32 v19, v28, v15
	v_add_f32_e32 v10, v10, v16
	ds_read2_b64 v[15:18], v13 offset0:160 offset1:176
	v_add_f32_e32 v24, v24, v30
	s_waitcnt lgkmcnt(0)
	v_mul_f32_e32 v28, v32, v16
	v_fmac_f32_e32 v28, v33, v15
	v_add_f32_e32 v27, v27, v28
	v_mul_f32_e32 v28, v33, v18
	v_fma_f32 v28, v32, v17, -v28
	v_mul_f32_e32 v20, v33, v16
	v_add_f32_e32 v26, v26, v28
	v_mul_f32_e32 v28, v22, v16
	v_mul_f32_e32 v16, v21, v16
	v_fmac_f32_e32 v16, v22, v15
	v_fma_f32 v20, v32, v15, -v20
	v_fma_f32 v28, v21, v15, -v28
	v_add_f32_e32 v25, v25, v16
	v_mul_f32_e32 v15, v22, v18
	v_mul_f32_e32 v16, v21, v18
	v_add_f32_e32 v20, v29, v20
	v_mul_f32_e32 v29, v32, v18
	v_fma_f32 v15, v21, v17, -v15
	v_fmac_f32_e32 v16, v22, v17
	v_fmac_f32_e32 v29, v33, v17
	v_add_f32_e32 v19, v19, v15
	v_add_f32_e32 v10, v10, v16
	ds_read2_b64 v[15:18], v13 offset0:192 offset1:208
	v_add_f32_e32 v24, v24, v28
	v_add_f32_e32 v23, v23, v29
	s_waitcnt lgkmcnt(0)
	v_mul_f32_e32 v21, v3, v16
	v_fma_f32 v21, v2, v15, -v21
	v_add_f32_e32 v28, v20, v21
	v_mul_f32_e32 v20, v3, v18
	v_mul_f32_e32 v22, v2, v16
	v_fma_f32 v20, v2, v17, -v20
	v_mul_f32_e32 v2, v2, v18
	v_fmac_f32_e32 v22, v3, v15
	v_fmac_f32_e32 v2, v3, v17
	v_add_f32_e32 v29, v27, v22
	v_add_f32_e32 v3, v26, v20
	;; [unrolled: 1-line block ×3, first 2 shown]
	ds_read_b128 v[20:23], v14 offset:1072
	s_waitcnt lgkmcnt(0)
	v_mul_f32_e32 v26, v21, v16
	v_fma_f32 v26, v20, v15, -v26
	v_mul_f32_e32 v16, v20, v16
	v_fmac_f32_e32 v16, v21, v15
	v_add_f32_e32 v15, v24, v26
	v_mul_f32_e32 v24, v21, v18
	v_fma_f32 v24, v20, v17, -v24
	v_add_f32_e32 v16, v25, v16
	v_add_f32_e32 v30, v19, v24
	ds_read2_b64 v[24:27], v13 offset0:224 offset1:240
	v_mul_f32_e32 v18, v20, v18
	v_fmac_f32_e32 v18, v21, v17
	v_add_f32_e32 v10, v10, v18
	s_waitcnt lgkmcnt(0)
	v_mul_f32_e32 v17, v5, v25
	v_fma_f32 v17, v4, v24, -v17
	v_add_f32_e32 v20, v28, v17
	v_mul_f32_e32 v17, v5, v27
	v_mul_f32_e32 v18, v4, v25
	v_fma_f32 v17, v4, v26, -v17
	v_mul_f32_e32 v4, v4, v27
	v_fmac_f32_e32 v18, v5, v24
	v_fmac_f32_e32 v4, v5, v26
	v_add_f32_e32 v21, v29, v18
	v_add_f32_e32 v19, v3, v17
	;; [unrolled: 1-line block ×3, first 2 shown]
	v_mul_f32_e32 v2, v23, v25
	v_mul_f32_e32 v3, v22, v25
	v_fma_f32 v2, v22, v24, -v2
	v_fmac_f32_e32 v3, v23, v24
	v_add_f32_e32 v17, v15, v2
	v_add_f32_e32 v16, v16, v3
	v_mul_f32_e32 v2, v23, v27
	v_mul_f32_e32 v3, v22, v27
	v_fma_f32 v2, v22, v26, -v2
	v_fmac_f32_e32 v3, v23, v26
	v_add_f32_e32 v15, v30, v2
	v_add_f32_e32 v10, v10, v3
	v_mov_b32_e32 v3, s1
	v_mov_b32_e32 v2, s0
	v_cmp_le_u64_e32 vcc, s[12:13], v[2:3]
	s_barrier
	s_cbranch_vccz .LBB1244_2
	s_branch .LBB1244_4
.LBB1244_3:
	v_mov_b32_e32 v20, 0
	v_mov_b32_e32 v21, 0
	;; [unrolled: 1-line block ×8, first 2 shown]
.LBB1244_4:
	s_load_dwordx4 s[12:15], s[4:5], 0x48
	s_load_dword s6, s[4:5], 0x0
	v_add_u32_e32 v5, s3, v1
	v_ashrrev_i32_e32 v1, 31, v5
	v_add_u32_e32 v0, s2, v0
	s_waitcnt lgkmcnt(0)
	s_mul_i32 s1, s15, s8
	s_mul_hi_u32 s3, s14, s8
	s_mul_i32 s0, s14, s8
	v_mul_lo_u32 v3, s12, v1
	v_mul_lo_u32 v4, s13, v5
	v_mad_u64_u32 v[1:2], s[8:9], s12, v5, 0
	s_add_i32 s1, s3, s1
	s_lshl_b64 s[0:1], s[0:1], 3
	v_add3_u32 v2, v2, v3, v4
	s_add_u32 s4, s26, s0
	v_lshlrev_b64 v[1:2], 3, v[1:2]
	s_addc_u32 s5, s27, s1
	v_mov_b32_e32 v3, s5
	v_add_co_u32_e64 v4, s[0:1], s4, v1
	v_addc_co_u32_e64 v6, s[0:1], v3, v2, s[0:1]
	v_cmp_gt_i32_e32 vcc, s6, v5
	v_cmp_le_i32_e64 s[0:1], v0, v5
	s_and_b64 s[0:1], vcc, s[0:1]
	s_and_saveexec_b64 s[2:3], s[0:1]
	s_cbranch_execz .LBB1244_7
; %bb.5:
	v_ashrrev_i32_e32 v1, 31, v0
	v_lshlrev_b64 v[1:2], 3, v[0:1]
	v_add_co_u32_e64 v1, s[0:1], v4, v1
	v_addc_co_u32_e64 v2, s[0:1], v6, v2, s[0:1]
	global_load_dwordx2 v[7:8], v[1:2], off
	v_cmp_eq_u32_e64 s[0:1], v5, v0
	s_waitcnt vmcnt(0)
	v_sub_f32_e32 v7, v20, v7
	v_sub_f32_e32 v8, v21, v8
	global_store_dwordx2 v[1:2], v[7:8], off
	s_and_b64 exec, exec, s[0:1]
	s_cbranch_execz .LBB1244_7
; %bb.6:
	v_mov_b32_e32 v3, 0
	global_store_dword v[1:2], v3, off offset:4
.LBB1244_7:
	s_or_b64 exec, exec, s[2:3]
	v_add_u32_e32 v2, 16, v0
	v_cmp_le_i32_e64 s[0:1], v2, v5
	s_and_b64 s[2:3], vcc, s[0:1]
	s_and_saveexec_b64 s[0:1], s[2:3]
	s_cbranch_execz .LBB1244_10
; %bb.8:
	v_ashrrev_i32_e32 v3, 31, v2
	v_lshlrev_b64 v[7:8], 3, v[2:3]
	v_add_co_u32_e32 v3, vcc, v4, v7
	v_addc_co_u32_e32 v4, vcc, v6, v8, vcc
	global_load_dwordx2 v[6:7], v[3:4], off
	v_cmp_eq_u32_e32 vcc, v5, v2
	s_waitcnt vmcnt(0)
	v_sub_f32_e32 v6, v19, v6
	v_sub_f32_e32 v7, v18, v7
	global_store_dwordx2 v[3:4], v[6:7], off
	s_and_b64 exec, exec, vcc
	s_cbranch_execz .LBB1244_10
; %bb.9:
	v_mov_b32_e32 v1, 0
	global_store_dword v[3:4], v1, off offset:4
.LBB1244_10:
	s_or_b64 exec, exec, s[0:1]
	v_add_u32_e32 v6, 16, v5
	v_ashrrev_i32_e32 v1, 31, v6
	v_mul_lo_u32 v1, s12, v1
	v_mul_lo_u32 v7, s13, v6
	v_mad_u64_u32 v[3:4], s[0:1], s12, v6, 0
	v_cmp_gt_i32_e32 vcc, s6, v6
	v_add3_u32 v4, v4, v1, v7
	v_lshlrev_b64 v[3:4], 3, v[3:4]
	v_mov_b32_e32 v1, s5
	v_add_co_u32_e64 v7, s[0:1], s4, v3
	v_addc_co_u32_e64 v8, s[0:1], v1, v4, s[0:1]
	v_cmp_le_i32_e64 s[0:1], v0, v6
	s_and_b64 s[0:1], vcc, s[0:1]
	s_and_saveexec_b64 s[2:3], s[0:1]
	s_cbranch_execz .LBB1244_13
; %bb.11:
	v_ashrrev_i32_e32 v1, 31, v0
	v_lshlrev_b64 v[3:4], 3, v[0:1]
	v_add_co_u32_e64 v3, s[0:1], v7, v3
	v_addc_co_u32_e64 v4, s[0:1], v8, v4, s[0:1]
	global_load_dwordx2 v[11:12], v[3:4], off
	v_cmp_eq_u32_e64 s[0:1], v6, v0
	s_waitcnt vmcnt(0)
	v_sub_f32_e32 v11, v17, v11
	v_sub_f32_e32 v12, v16, v12
	global_store_dwordx2 v[3:4], v[11:12], off
	s_and_b64 exec, exec, s[0:1]
	s_cbranch_execz .LBB1244_13
; %bb.12:
	v_mov_b32_e32 v1, 0
	global_store_dword v[3:4], v1, off offset:4
.LBB1244_13:
	s_or_b64 exec, exec, s[2:3]
	v_cmp_le_i32_e64 s[0:1], v2, v6
	s_and_b64 s[0:1], vcc, s[0:1]
	s_and_saveexec_b64 s[2:3], s[0:1]
	s_cbranch_execz .LBB1244_16
; %bb.14:
	v_ashrrev_i32_e32 v3, 31, v2
	v_lshlrev_b64 v[1:2], 3, v[2:3]
	v_add_co_u32_e32 v1, vcc, v7, v1
	v_addc_co_u32_e32 v2, vcc, v8, v2, vcc
	global_load_dwordx2 v[3:4], v[1:2], off
	v_cmp_eq_u32_e32 vcc, v5, v0
	s_waitcnt vmcnt(0)
	v_sub_f32_e32 v3, v15, v3
	v_sub_f32_e32 v4, v10, v4
	global_store_dwordx2 v[1:2], v[3:4], off
	s_and_b64 exec, exec, vcc
	s_cbranch_execz .LBB1244_16
; %bb.15:
	v_mov_b32_e32 v0, 0
	global_store_dword v[1:2], v0, off offset:4
.LBB1244_16:
	s_endpgm
	.section	.rodata,"a",@progbits
	.p2align	6, 0x0
	.amdhsa_kernel _ZL37rocblas_syrkx_herkx_restricted_kernelIl19rocblas_complex_numIfELi16ELi32ELi8ELi1ELin1ELb1ELc67ELc85EKS1_S1_EviT_PT9_S3_lS5_S3_lPT10_S3_li
		.amdhsa_group_segment_fixed_size 4096
		.amdhsa_private_segment_fixed_size 0
		.amdhsa_kernarg_size 92
		.amdhsa_user_sgpr_count 6
		.amdhsa_user_sgpr_private_segment_buffer 1
		.amdhsa_user_sgpr_dispatch_ptr 0
		.amdhsa_user_sgpr_queue_ptr 0
		.amdhsa_user_sgpr_kernarg_segment_ptr 1
		.amdhsa_user_sgpr_dispatch_id 0
		.amdhsa_user_sgpr_flat_scratch_init 0
		.amdhsa_user_sgpr_private_segment_size 0
		.amdhsa_uses_dynamic_stack 0
		.amdhsa_system_sgpr_private_segment_wavefront_offset 0
		.amdhsa_system_sgpr_workgroup_id_x 1
		.amdhsa_system_sgpr_workgroup_id_y 1
		.amdhsa_system_sgpr_workgroup_id_z 1
		.amdhsa_system_sgpr_workgroup_info 0
		.amdhsa_system_vgpr_workitem_id 1
		.amdhsa_next_free_vgpr 41
		.amdhsa_next_free_sgpr 28
		.amdhsa_reserve_vcc 1
		.amdhsa_reserve_flat_scratch 0
		.amdhsa_float_round_mode_32 0
		.amdhsa_float_round_mode_16_64 0
		.amdhsa_float_denorm_mode_32 3
		.amdhsa_float_denorm_mode_16_64 3
		.amdhsa_dx10_clamp 1
		.amdhsa_ieee_mode 1
		.amdhsa_fp16_overflow 0
		.amdhsa_exception_fp_ieee_invalid_op 0
		.amdhsa_exception_fp_denorm_src 0
		.amdhsa_exception_fp_ieee_div_zero 0
		.amdhsa_exception_fp_ieee_overflow 0
		.amdhsa_exception_fp_ieee_underflow 0
		.amdhsa_exception_fp_ieee_inexact 0
		.amdhsa_exception_int_div_zero 0
	.end_amdhsa_kernel
	.section	.text._ZL37rocblas_syrkx_herkx_restricted_kernelIl19rocblas_complex_numIfELi16ELi32ELi8ELi1ELin1ELb1ELc67ELc85EKS1_S1_EviT_PT9_S3_lS5_S3_lPT10_S3_li,"axG",@progbits,_ZL37rocblas_syrkx_herkx_restricted_kernelIl19rocblas_complex_numIfELi16ELi32ELi8ELi1ELin1ELb1ELc67ELc85EKS1_S1_EviT_PT9_S3_lS5_S3_lPT10_S3_li,comdat
.Lfunc_end1244:
	.size	_ZL37rocblas_syrkx_herkx_restricted_kernelIl19rocblas_complex_numIfELi16ELi32ELi8ELi1ELin1ELb1ELc67ELc85EKS1_S1_EviT_PT9_S3_lS5_S3_lPT10_S3_li, .Lfunc_end1244-_ZL37rocblas_syrkx_herkx_restricted_kernelIl19rocblas_complex_numIfELi16ELi32ELi8ELi1ELin1ELb1ELc67ELc85EKS1_S1_EviT_PT9_S3_lS5_S3_lPT10_S3_li
                                        ; -- End function
	.set _ZL37rocblas_syrkx_herkx_restricted_kernelIl19rocblas_complex_numIfELi16ELi32ELi8ELi1ELin1ELb1ELc67ELc85EKS1_S1_EviT_PT9_S3_lS5_S3_lPT10_S3_li.num_vgpr, 41
	.set _ZL37rocblas_syrkx_herkx_restricted_kernelIl19rocblas_complex_numIfELi16ELi32ELi8ELi1ELin1ELb1ELc67ELc85EKS1_S1_EviT_PT9_S3_lS5_S3_lPT10_S3_li.num_agpr, 0
	.set _ZL37rocblas_syrkx_herkx_restricted_kernelIl19rocblas_complex_numIfELi16ELi32ELi8ELi1ELin1ELb1ELc67ELc85EKS1_S1_EviT_PT9_S3_lS5_S3_lPT10_S3_li.numbered_sgpr, 28
	.set _ZL37rocblas_syrkx_herkx_restricted_kernelIl19rocblas_complex_numIfELi16ELi32ELi8ELi1ELin1ELb1ELc67ELc85EKS1_S1_EviT_PT9_S3_lS5_S3_lPT10_S3_li.num_named_barrier, 0
	.set _ZL37rocblas_syrkx_herkx_restricted_kernelIl19rocblas_complex_numIfELi16ELi32ELi8ELi1ELin1ELb1ELc67ELc85EKS1_S1_EviT_PT9_S3_lS5_S3_lPT10_S3_li.private_seg_size, 0
	.set _ZL37rocblas_syrkx_herkx_restricted_kernelIl19rocblas_complex_numIfELi16ELi32ELi8ELi1ELin1ELb1ELc67ELc85EKS1_S1_EviT_PT9_S3_lS5_S3_lPT10_S3_li.uses_vcc, 1
	.set _ZL37rocblas_syrkx_herkx_restricted_kernelIl19rocblas_complex_numIfELi16ELi32ELi8ELi1ELin1ELb1ELc67ELc85EKS1_S1_EviT_PT9_S3_lS5_S3_lPT10_S3_li.uses_flat_scratch, 0
	.set _ZL37rocblas_syrkx_herkx_restricted_kernelIl19rocblas_complex_numIfELi16ELi32ELi8ELi1ELin1ELb1ELc67ELc85EKS1_S1_EviT_PT9_S3_lS5_S3_lPT10_S3_li.has_dyn_sized_stack, 0
	.set _ZL37rocblas_syrkx_herkx_restricted_kernelIl19rocblas_complex_numIfELi16ELi32ELi8ELi1ELin1ELb1ELc67ELc85EKS1_S1_EviT_PT9_S3_lS5_S3_lPT10_S3_li.has_recursion, 0
	.set _ZL37rocblas_syrkx_herkx_restricted_kernelIl19rocblas_complex_numIfELi16ELi32ELi8ELi1ELin1ELb1ELc67ELc85EKS1_S1_EviT_PT9_S3_lS5_S3_lPT10_S3_li.has_indirect_call, 0
	.section	.AMDGPU.csdata,"",@progbits
; Kernel info:
; codeLenInByte = 2160
; TotalNumSgprs: 32
; NumVgprs: 41
; ScratchSize: 0
; MemoryBound: 0
; FloatMode: 240
; IeeeMode: 1
; LDSByteSize: 4096 bytes/workgroup (compile time only)
; SGPRBlocks: 3
; VGPRBlocks: 10
; NumSGPRsForWavesPerEU: 32
; NumVGPRsForWavesPerEU: 41
; Occupancy: 5
; WaveLimiterHint : 1
; COMPUTE_PGM_RSRC2:SCRATCH_EN: 0
; COMPUTE_PGM_RSRC2:USER_SGPR: 6
; COMPUTE_PGM_RSRC2:TRAP_HANDLER: 0
; COMPUTE_PGM_RSRC2:TGID_X_EN: 1
; COMPUTE_PGM_RSRC2:TGID_Y_EN: 1
; COMPUTE_PGM_RSRC2:TGID_Z_EN: 1
; COMPUTE_PGM_RSRC2:TIDIG_COMP_CNT: 1
	.section	.text._ZL37rocblas_syrkx_herkx_restricted_kernelIl19rocblas_complex_numIfELi16ELi32ELi8ELi1ELin1ELb1ELc78ELc85EKS1_S1_EviT_PT9_S3_lS5_S3_lPT10_S3_li,"axG",@progbits,_ZL37rocblas_syrkx_herkx_restricted_kernelIl19rocblas_complex_numIfELi16ELi32ELi8ELi1ELin1ELb1ELc78ELc85EKS1_S1_EviT_PT9_S3_lS5_S3_lPT10_S3_li,comdat
	.globl	_ZL37rocblas_syrkx_herkx_restricted_kernelIl19rocblas_complex_numIfELi16ELi32ELi8ELi1ELin1ELb1ELc78ELc85EKS1_S1_EviT_PT9_S3_lS5_S3_lPT10_S3_li ; -- Begin function _ZL37rocblas_syrkx_herkx_restricted_kernelIl19rocblas_complex_numIfELi16ELi32ELi8ELi1ELin1ELb1ELc78ELc85EKS1_S1_EviT_PT9_S3_lS5_S3_lPT10_S3_li
	.p2align	8
	.type	_ZL37rocblas_syrkx_herkx_restricted_kernelIl19rocblas_complex_numIfELi16ELi32ELi8ELi1ELin1ELb1ELc78ELc85EKS1_S1_EviT_PT9_S3_lS5_S3_lPT10_S3_li,@function
_ZL37rocblas_syrkx_herkx_restricted_kernelIl19rocblas_complex_numIfELi16ELi32ELi8ELi1ELin1ELb1ELc78ELc85EKS1_S1_EviT_PT9_S3_lS5_S3_lPT10_S3_li: ; @_ZL37rocblas_syrkx_herkx_restricted_kernelIl19rocblas_complex_numIfELi16ELi32ELi8ELi1ELin1ELb1ELc78ELc85EKS1_S1_EviT_PT9_S3_lS5_S3_lPT10_S3_li
; %bb.0:
	s_load_dwordx16 s[12:27], s[4:5], 0x8
	s_lshl_b32 s9, s6, 5
	s_lshl_b32 s10, s7, 5
	s_waitcnt lgkmcnt(0)
	v_cmp_lt_i64_e64 s[0:1], s[12:13], 1
	s_and_b64 vcc, exec, s[0:1]
	s_cbranch_vccnz .LBB1245_3
; %bb.1:
	v_lshl_add_u32 v6, v1, 4, v0
	v_lshrrev_b32_e32 v7, 3, v6
	v_add_u32_e32 v2, s10, v7
	v_and_b32_e32 v5, 7, v0
	v_ashrrev_i32_e32 v3, 31, v2
	v_mad_u64_u32 v[2:3], s[0:1], s22, v5, v[2:3]
	v_lshrrev_b32_e32 v8, 5, v6
	s_mul_i32 s2, s19, s8
	v_mad_u64_u32 v[3:4], s[0:1], s23, v5, v[3:4]
	v_and_b32_e32 v4, 31, v6
	v_lshlrev_b32_e32 v5, 3, v5
	v_lshlrev_b32_e32 v6, 3, v4
	v_lshl_or_b32 v5, v7, 6, v5
	v_add_u32_e32 v4, s9, v4
	v_add_u32_e32 v11, 0x800, v5
	v_ashrrev_i32_e32 v5, 31, v4
	v_mad_u64_u32 v[4:5], s[0:1], s16, v8, v[4:5]
	v_lshl_or_b32 v10, v8, 8, v6
	v_mov_b32_e32 v6, 0x800
	v_lshl_add_u32 v13, v1, 6, v6
	v_mad_u64_u32 v[5:6], s[0:1], s17, v8, v[5:6]
	s_mul_hi_u32 s3, s18, s8
	s_add_i32 s1, s3, s2
	s_mul_i32 s0, s18, s8
	s_lshl_b64 s[0:1], s[0:1], 3
	v_lshlrev_b64 v[4:5], 3, v[4:5]
	s_add_u32 s0, s14, s0
	s_addc_u32 s1, s15, s1
	s_mul_i32 s2, s25, s8
	s_mul_hi_u32 s3, s24, s8
	v_mov_b32_e32 v6, s1
	v_add_co_u32_e32 v4, vcc, s0, v4
	s_add_i32 s3, s3, s2
	s_mul_i32 s2, s24, s8
	v_addc_co_u32_e32 v5, vcc, v6, v5, vcc
	s_lshl_b64 s[0:1], s[16:17], 6
	s_lshl_b64 s[2:3], s[2:3], 3
	v_add_co_u32_e32 v6, vcc, 4, v4
	v_lshlrev_b64 v[2:3], 3, v[2:3]
	s_add_u32 s2, s20, s2
	v_addc_co_u32_e32 v7, vcc, 0, v5, vcc
	s_addc_u32 s3, s21, s3
	v_mov_b32_e32 v4, s3
	v_add_co_u32_e32 v2, vcc, s2, v2
	v_addc_co_u32_e32 v3, vcc, v4, v3, vcc
	v_add_co_u32_e32 v8, vcc, 4, v2
	s_lshl_b64 s[2:3], s[22:23], 6
	v_lshlrev_b32_e32 v12, 3, v0
	v_addc_co_u32_e32 v9, vcc, 0, v3, vcc
	v_mov_b32_e32 v16, 0
	s_mov_b64 s[6:7], 0
	v_mov_b32_e32 v14, s1
	v_mov_b32_e32 v15, s3
	;; [unrolled: 1-line block ×9, first 2 shown]
.LBB1245_2:                             ; =>This Inner Loop Header: Depth=1
	global_load_dwordx2 v[2:3], v[6:7], off offset:-4
	v_add_co_u32_e32 v6, vcc, s0, v6
	s_add_u32 s6, s6, 8
	v_addc_co_u32_e32 v7, vcc, v7, v14, vcc
	s_addc_u32 s7, s7, 0
	s_waitcnt vmcnt(0)
	ds_write_b64 v10, v[2:3]
	global_load_dwordx2 v[2:3], v[8:9], off offset:-4
	v_add_co_u32_e32 v8, vcc, s2, v8
	v_addc_co_u32_e32 v9, vcc, v9, v15, vcc
	s_waitcnt vmcnt(0)
	v_xor_b32_e32 v3, 0x80000000, v3
	ds_write_b64 v11, v[2:3]
	s_waitcnt lgkmcnt(0)
	s_barrier
	ds_read_b128 v[24:27], v13
	ds_read_b128 v[28:31], v13 offset:16
	ds_read_b128 v[32:35], v13 offset:32
	;; [unrolled: 1-line block ×3, first 2 shown]
	ds_read2_b64 v[36:39], v12 offset1:16
	s_waitcnt lgkmcnt(0)
	v_mul_f32_e32 v40, v25, v37
	v_mul_f32_e32 v41, v24, v37
	v_fma_f32 v40, v24, v36, -v40
	v_fmac_f32_e32 v41, v25, v36
	v_add_f32_e32 v40, v22, v40
	v_add_f32_e32 v41, v23, v41
	v_mul_f32_e32 v22, v25, v39
	v_mul_f32_e32 v23, v24, v39
	v_fma_f32 v22, v24, v38, -v22
	v_fmac_f32_e32 v23, v25, v38
	v_add_f32_e32 v24, v21, v22
	v_add_f32_e32 v25, v20, v23
	ds_read_b128 v[20:23], v13 offset:1024
	s_waitcnt lgkmcnt(0)
	v_mul_f32_e32 v42, v21, v37
	v_mul_f32_e32 v37, v20, v37
	v_fma_f32 v42, v20, v36, -v42
	v_fmac_f32_e32 v37, v21, v36
	v_add_f32_e32 v36, v19, v42
	v_add_f32_e32 v37, v18, v37
	v_mul_f32_e32 v18, v21, v39
	v_mul_f32_e32 v19, v20, v39
	v_fma_f32 v18, v20, v38, -v18
	v_fmac_f32_e32 v19, v21, v38
	v_add_f32_e32 v20, v17, v18
	v_add_f32_e32 v21, v16, v19
	ds_read2_b64 v[16:19], v12 offset0:32 offset1:48
	s_waitcnt lgkmcnt(0)
	v_mul_f32_e32 v38, v27, v17
	v_fma_f32 v38, v26, v16, -v38
	v_add_f32_e32 v38, v40, v38
	v_mul_f32_e32 v40, v27, v19
	v_mul_f32_e32 v39, v26, v17
	v_fma_f32 v40, v26, v18, -v40
	v_mul_f32_e32 v26, v26, v19
	v_fmac_f32_e32 v26, v27, v18
	v_add_f32_e32 v25, v25, v26
	v_mul_f32_e32 v26, v23, v17
	v_mul_f32_e32 v17, v22, v17
	v_fmac_f32_e32 v17, v23, v16
	v_fmac_f32_e32 v39, v27, v16
	v_fma_f32 v26, v22, v16, -v26
	v_add_f32_e32 v27, v37, v17
	v_mul_f32_e32 v16, v23, v19
	v_mul_f32_e32 v17, v22, v19
	v_fma_f32 v16, v22, v18, -v16
	v_fmac_f32_e32 v17, v23, v18
	v_add_f32_e32 v26, v36, v26
	v_add_f32_e32 v36, v20, v16
	;; [unrolled: 1-line block ×3, first 2 shown]
	ds_read2_b64 v[16:19], v12 offset0:64 offset1:80
	v_add_f32_e32 v39, v41, v39
	v_add_f32_e32 v24, v24, v40
	s_waitcnt lgkmcnt(0)
	v_mul_f32_e32 v20, v29, v17
	v_mul_f32_e32 v21, v28, v17
	v_fma_f32 v20, v28, v16, -v20
	v_fmac_f32_e32 v21, v29, v16
	v_add_f32_e32 v38, v38, v20
	v_add_f32_e32 v39, v39, v21
	v_mul_f32_e32 v20, v29, v19
	v_mul_f32_e32 v21, v28, v19
	v_fma_f32 v20, v28, v18, -v20
	v_fmac_f32_e32 v21, v29, v18
	v_add_f32_e32 v24, v24, v20
	v_add_f32_e32 v25, v25, v21
	ds_read_b128 v[20:23], v13 offset:1040
	s_waitcnt lgkmcnt(0)
	v_mul_f32_e32 v28, v21, v17
	v_mul_f32_e32 v17, v20, v17
	v_fmac_f32_e32 v17, v21, v16
	v_fma_f32 v28, v20, v16, -v28
	v_add_f32_e32 v27, v27, v17
	v_mul_f32_e32 v16, v21, v19
	v_mul_f32_e32 v17, v20, v19
	v_fma_f32 v16, v20, v18, -v16
	v_fmac_f32_e32 v17, v21, v18
	v_add_f32_e32 v20, v36, v16
	v_add_f32_e32 v21, v37, v17
	ds_read2_b64 v[16:19], v12 offset0:96 offset1:112
	v_add_f32_e32 v26, v26, v28
	s_waitcnt lgkmcnt(0)
	v_mul_f32_e32 v28, v31, v17
	v_mul_f32_e32 v36, v31, v19
	v_fma_f32 v28, v30, v16, -v28
	v_mul_f32_e32 v29, v30, v17
	v_fma_f32 v36, v30, v18, -v36
	v_mul_f32_e32 v30, v30, v19
	v_fmac_f32_e32 v30, v31, v18
	v_add_f32_e32 v25, v25, v30
	v_mul_f32_e32 v30, v23, v17
	v_mul_f32_e32 v17, v22, v17
	v_fmac_f32_e32 v17, v23, v16
	v_fmac_f32_e32 v29, v31, v16
	v_fma_f32 v30, v22, v16, -v30
	v_add_f32_e32 v27, v27, v17
	v_mul_f32_e32 v16, v23, v19
	v_mul_f32_e32 v17, v22, v19
	v_fma_f32 v16, v22, v18, -v16
	v_fmac_f32_e32 v17, v23, v18
	v_add_f32_e32 v26, v26, v30
	v_add_f32_e32 v30, v20, v16
	;; [unrolled: 1-line block ×3, first 2 shown]
	ds_read2_b64 v[16:19], v12 offset0:128 offset1:144
	v_add_f32_e32 v28, v38, v28
	v_add_f32_e32 v29, v39, v29
	;; [unrolled: 1-line block ×3, first 2 shown]
	s_waitcnt lgkmcnt(0)
	v_mul_f32_e32 v20, v33, v17
	v_mul_f32_e32 v21, v32, v17
	v_fma_f32 v20, v32, v16, -v20
	v_fmac_f32_e32 v21, v33, v16
	v_add_f32_e32 v28, v28, v20
	v_add_f32_e32 v29, v29, v21
	v_mul_f32_e32 v20, v33, v19
	v_mul_f32_e32 v21, v32, v19
	v_fma_f32 v20, v32, v18, -v20
	v_fmac_f32_e32 v21, v33, v18
	v_add_f32_e32 v24, v24, v20
	v_add_f32_e32 v25, v25, v21
	ds_read_b128 v[20:23], v13 offset:1056
	s_waitcnt lgkmcnt(0)
	v_mul_f32_e32 v32, v21, v17
	v_mul_f32_e32 v17, v20, v17
	v_fmac_f32_e32 v17, v21, v16
	v_fma_f32 v32, v20, v16, -v32
	v_add_f32_e32 v27, v27, v17
	v_mul_f32_e32 v16, v21, v19
	v_mul_f32_e32 v17, v20, v19
	v_fma_f32 v16, v20, v18, -v16
	v_fmac_f32_e32 v17, v21, v18
	v_add_f32_e32 v20, v30, v16
	v_add_f32_e32 v21, v31, v17
	ds_read2_b64 v[16:19], v12 offset0:160 offset1:176
	v_add_f32_e32 v26, v26, v32
	s_waitcnt lgkmcnt(0)
	v_mul_f32_e32 v30, v35, v17
	v_fma_f32 v30, v34, v16, -v30
	v_add_f32_e32 v28, v28, v30
	v_mul_f32_e32 v30, v35, v19
	v_fma_f32 v30, v34, v18, -v30
	v_mul_f32_e32 v31, v34, v17
	v_add_f32_e32 v24, v24, v30
	v_mul_f32_e32 v30, v23, v17
	v_mul_f32_e32 v17, v22, v17
	v_fmac_f32_e32 v17, v23, v16
	v_fmac_f32_e32 v31, v35, v16
	v_fma_f32 v30, v22, v16, -v30
	v_add_f32_e32 v27, v27, v17
	v_mul_f32_e32 v16, v23, v19
	v_mul_f32_e32 v17, v22, v19
	v_add_f32_e32 v29, v29, v31
	v_mul_f32_e32 v31, v34, v19
	v_fma_f32 v16, v22, v18, -v16
	v_fmac_f32_e32 v17, v23, v18
	v_fmac_f32_e32 v31, v35, v18
	v_add_f32_e32 v20, v20, v16
	v_add_f32_e32 v21, v21, v17
	ds_read2_b64 v[16:19], v12 offset0:192 offset1:208
	v_add_f32_e32 v26, v26, v30
	v_add_f32_e32 v25, v25, v31
	s_waitcnt lgkmcnt(0)
	v_mul_f32_e32 v22, v3, v17
	v_fma_f32 v22, v2, v16, -v22
	v_add_f32_e32 v30, v28, v22
	v_mul_f32_e32 v22, v3, v19
	v_mul_f32_e32 v23, v2, v17
	v_fma_f32 v22, v2, v18, -v22
	v_mul_f32_e32 v2, v2, v19
	v_fmac_f32_e32 v23, v3, v16
	v_fmac_f32_e32 v2, v3, v18
	v_add_f32_e32 v31, v29, v23
	v_add_f32_e32 v3, v24, v22
	;; [unrolled: 1-line block ×3, first 2 shown]
	ds_read_b128 v[22:25], v13 offset:1072
	s_waitcnt lgkmcnt(0)
	v_mul_f32_e32 v28, v23, v17
	v_fma_f32 v28, v22, v16, -v28
	v_mul_f32_e32 v17, v22, v17
	v_fmac_f32_e32 v17, v23, v16
	v_add_f32_e32 v16, v26, v28
	v_mul_f32_e32 v26, v23, v19
	v_fma_f32 v26, v22, v18, -v26
	v_add_f32_e32 v17, v27, v17
	v_add_f32_e32 v32, v20, v26
	ds_read2_b64 v[26:29], v12 offset0:224 offset1:240
	v_mul_f32_e32 v19, v22, v19
	v_fmac_f32_e32 v19, v23, v18
	v_add_f32_e32 v33, v21, v19
	s_waitcnt lgkmcnt(0)
	v_mul_f32_e32 v18, v5, v27
	v_fma_f32 v18, v4, v26, -v18
	v_add_f32_e32 v22, v30, v18
	v_mul_f32_e32 v18, v5, v29
	v_mul_f32_e32 v19, v4, v27
	v_fma_f32 v18, v4, v28, -v18
	v_mul_f32_e32 v4, v4, v29
	v_fmac_f32_e32 v4, v5, v28
	v_add_f32_e32 v21, v3, v18
	v_add_f32_e32 v20, v2, v4
	v_mul_f32_e32 v2, v25, v27
	v_mul_f32_e32 v3, v24, v27
	v_fmac_f32_e32 v19, v5, v26
	v_fma_f32 v2, v24, v26, -v2
	v_fmac_f32_e32 v3, v25, v26
	v_add_f32_e32 v23, v31, v19
	v_add_f32_e32 v19, v16, v2
	;; [unrolled: 1-line block ×3, first 2 shown]
	v_mul_f32_e32 v2, v25, v29
	v_mul_f32_e32 v3, v24, v29
	v_fma_f32 v2, v24, v28, -v2
	v_fmac_f32_e32 v3, v25, v28
	v_add_f32_e32 v17, v32, v2
	v_add_f32_e32 v16, v33, v3
	v_mov_b32_e32 v2, s6
	v_mov_b32_e32 v3, s7
	v_cmp_le_u64_e32 vcc, s[12:13], v[2:3]
	s_barrier
	s_cbranch_vccz .LBB1245_2
	s_branch .LBB1245_4
.LBB1245_3:
	v_mov_b32_e32 v22, 0
	v_mov_b32_e32 v23, 0
	v_mov_b32_e32 v21, 0
	v_mov_b32_e32 v20, 0
	v_mov_b32_e32 v19, 0
	v_mov_b32_e32 v18, 0
	v_mov_b32_e32 v17, 0
	v_mov_b32_e32 v16, 0
.LBB1245_4:
	s_load_dwordx4 s[12:15], s[4:5], 0x48
	s_load_dword s6, s[4:5], 0x0
	v_add_u32_e32 v5, s10, v1
	v_ashrrev_i32_e32 v1, 31, v5
	v_add_u32_e32 v0, s9, v0
	s_waitcnt lgkmcnt(0)
	s_mul_i32 s1, s15, s8
	s_mul_hi_u32 s2, s14, s8
	s_add_i32 s1, s2, s1
	v_mul_lo_u32 v3, s12, v1
	v_mul_lo_u32 v4, s13, v5
	v_mad_u64_u32 v[1:2], s[2:3], s12, v5, 0
	s_mul_i32 s0, s14, s8
	s_lshl_b64 s[0:1], s[0:1], 3
	v_add3_u32 v2, v2, v3, v4
	s_add_u32 s4, s26, s0
	v_lshlrev_b64 v[1:2], 3, v[1:2]
	s_addc_u32 s5, s27, s1
	v_mov_b32_e32 v3, s5
	v_add_co_u32_e64 v4, s[0:1], s4, v1
	v_addc_co_u32_e64 v6, s[0:1], v3, v2, s[0:1]
	v_cmp_gt_i32_e32 vcc, s6, v5
	v_cmp_le_i32_e64 s[0:1], v0, v5
	s_and_b64 s[0:1], vcc, s[0:1]
	s_and_saveexec_b64 s[2:3], s[0:1]
	s_cbranch_execz .LBB1245_7
; %bb.5:
	v_ashrrev_i32_e32 v1, 31, v0
	v_lshlrev_b64 v[1:2], 3, v[0:1]
	v_add_co_u32_e64 v1, s[0:1], v4, v1
	v_addc_co_u32_e64 v2, s[0:1], v6, v2, s[0:1]
	global_load_dwordx2 v[7:8], v[1:2], off
	v_cmp_eq_u32_e64 s[0:1], v5, v0
	s_waitcnt vmcnt(0)
	v_sub_f32_e32 v7, v22, v7
	v_sub_f32_e32 v8, v23, v8
	global_store_dwordx2 v[1:2], v[7:8], off
	s_and_b64 exec, exec, s[0:1]
	s_cbranch_execz .LBB1245_7
; %bb.6:
	v_mov_b32_e32 v3, 0
	global_store_dword v[1:2], v3, off offset:4
.LBB1245_7:
	s_or_b64 exec, exec, s[2:3]
	v_add_u32_e32 v2, 16, v0
	v_cmp_le_i32_e64 s[0:1], v2, v5
	s_and_b64 s[2:3], vcc, s[0:1]
	s_and_saveexec_b64 s[0:1], s[2:3]
	s_cbranch_execz .LBB1245_10
; %bb.8:
	v_ashrrev_i32_e32 v3, 31, v2
	v_lshlrev_b64 v[7:8], 3, v[2:3]
	v_add_co_u32_e32 v3, vcc, v4, v7
	v_addc_co_u32_e32 v4, vcc, v6, v8, vcc
	global_load_dwordx2 v[6:7], v[3:4], off
	v_cmp_eq_u32_e32 vcc, v5, v2
	s_waitcnt vmcnt(0)
	v_sub_f32_e32 v6, v21, v6
	v_sub_f32_e32 v7, v20, v7
	global_store_dwordx2 v[3:4], v[6:7], off
	s_and_b64 exec, exec, vcc
	s_cbranch_execz .LBB1245_10
; %bb.9:
	v_mov_b32_e32 v1, 0
	global_store_dword v[3:4], v1, off offset:4
.LBB1245_10:
	s_or_b64 exec, exec, s[0:1]
	v_add_u32_e32 v6, 16, v5
	v_ashrrev_i32_e32 v1, 31, v6
	v_mul_lo_u32 v1, s12, v1
	v_mul_lo_u32 v7, s13, v6
	v_mad_u64_u32 v[3:4], s[0:1], s12, v6, 0
	v_cmp_gt_i32_e32 vcc, s6, v6
	v_add3_u32 v4, v4, v1, v7
	v_lshlrev_b64 v[3:4], 3, v[3:4]
	v_mov_b32_e32 v1, s5
	v_add_co_u32_e64 v7, s[0:1], s4, v3
	v_addc_co_u32_e64 v8, s[0:1], v1, v4, s[0:1]
	v_cmp_le_i32_e64 s[0:1], v0, v6
	s_and_b64 s[0:1], vcc, s[0:1]
	s_and_saveexec_b64 s[2:3], s[0:1]
	s_cbranch_execz .LBB1245_13
; %bb.11:
	v_ashrrev_i32_e32 v1, 31, v0
	v_lshlrev_b64 v[3:4], 3, v[0:1]
	v_add_co_u32_e64 v3, s[0:1], v7, v3
	v_addc_co_u32_e64 v4, s[0:1], v8, v4, s[0:1]
	global_load_dwordx2 v[9:10], v[3:4], off
	v_cmp_eq_u32_e64 s[0:1], v6, v0
	s_waitcnt vmcnt(0)
	v_sub_f32_e32 v9, v19, v9
	v_sub_f32_e32 v10, v18, v10
	global_store_dwordx2 v[3:4], v[9:10], off
	s_and_b64 exec, exec, s[0:1]
	s_cbranch_execz .LBB1245_13
; %bb.12:
	v_mov_b32_e32 v1, 0
	global_store_dword v[3:4], v1, off offset:4
.LBB1245_13:
	s_or_b64 exec, exec, s[2:3]
	v_cmp_le_i32_e64 s[0:1], v2, v6
	s_and_b64 s[0:1], vcc, s[0:1]
	s_and_saveexec_b64 s[2:3], s[0:1]
	s_cbranch_execz .LBB1245_16
; %bb.14:
	v_ashrrev_i32_e32 v3, 31, v2
	v_lshlrev_b64 v[1:2], 3, v[2:3]
	v_add_co_u32_e32 v1, vcc, v7, v1
	v_addc_co_u32_e32 v2, vcc, v8, v2, vcc
	global_load_dwordx2 v[3:4], v[1:2], off
	v_cmp_eq_u32_e32 vcc, v5, v0
	s_waitcnt vmcnt(0)
	v_sub_f32_e32 v3, v17, v3
	v_sub_f32_e32 v4, v16, v4
	global_store_dwordx2 v[1:2], v[3:4], off
	s_and_b64 exec, exec, vcc
	s_cbranch_execz .LBB1245_16
; %bb.15:
	v_mov_b32_e32 v0, 0
	global_store_dword v[1:2], v0, off offset:4
.LBB1245_16:
	s_endpgm
	.section	.rodata,"a",@progbits
	.p2align	6, 0x0
	.amdhsa_kernel _ZL37rocblas_syrkx_herkx_restricted_kernelIl19rocblas_complex_numIfELi16ELi32ELi8ELi1ELin1ELb1ELc78ELc85EKS1_S1_EviT_PT9_S3_lS5_S3_lPT10_S3_li
		.amdhsa_group_segment_fixed_size 4096
		.amdhsa_private_segment_fixed_size 0
		.amdhsa_kernarg_size 92
		.amdhsa_user_sgpr_count 6
		.amdhsa_user_sgpr_private_segment_buffer 1
		.amdhsa_user_sgpr_dispatch_ptr 0
		.amdhsa_user_sgpr_queue_ptr 0
		.amdhsa_user_sgpr_kernarg_segment_ptr 1
		.amdhsa_user_sgpr_dispatch_id 0
		.amdhsa_user_sgpr_flat_scratch_init 0
		.amdhsa_user_sgpr_private_segment_size 0
		.amdhsa_uses_dynamic_stack 0
		.amdhsa_system_sgpr_private_segment_wavefront_offset 0
		.amdhsa_system_sgpr_workgroup_id_x 1
		.amdhsa_system_sgpr_workgroup_id_y 1
		.amdhsa_system_sgpr_workgroup_id_z 1
		.amdhsa_system_sgpr_workgroup_info 0
		.amdhsa_system_vgpr_workitem_id 1
		.amdhsa_next_free_vgpr 43
		.amdhsa_next_free_sgpr 28
		.amdhsa_reserve_vcc 1
		.amdhsa_reserve_flat_scratch 0
		.amdhsa_float_round_mode_32 0
		.amdhsa_float_round_mode_16_64 0
		.amdhsa_float_denorm_mode_32 3
		.amdhsa_float_denorm_mode_16_64 3
		.amdhsa_dx10_clamp 1
		.amdhsa_ieee_mode 1
		.amdhsa_fp16_overflow 0
		.amdhsa_exception_fp_ieee_invalid_op 0
		.amdhsa_exception_fp_denorm_src 0
		.amdhsa_exception_fp_ieee_div_zero 0
		.amdhsa_exception_fp_ieee_overflow 0
		.amdhsa_exception_fp_ieee_underflow 0
		.amdhsa_exception_fp_ieee_inexact 0
		.amdhsa_exception_int_div_zero 0
	.end_amdhsa_kernel
	.section	.text._ZL37rocblas_syrkx_herkx_restricted_kernelIl19rocblas_complex_numIfELi16ELi32ELi8ELi1ELin1ELb1ELc78ELc85EKS1_S1_EviT_PT9_S3_lS5_S3_lPT10_S3_li,"axG",@progbits,_ZL37rocblas_syrkx_herkx_restricted_kernelIl19rocblas_complex_numIfELi16ELi32ELi8ELi1ELin1ELb1ELc78ELc85EKS1_S1_EviT_PT9_S3_lS5_S3_lPT10_S3_li,comdat
.Lfunc_end1245:
	.size	_ZL37rocblas_syrkx_herkx_restricted_kernelIl19rocblas_complex_numIfELi16ELi32ELi8ELi1ELin1ELb1ELc78ELc85EKS1_S1_EviT_PT9_S3_lS5_S3_lPT10_S3_li, .Lfunc_end1245-_ZL37rocblas_syrkx_herkx_restricted_kernelIl19rocblas_complex_numIfELi16ELi32ELi8ELi1ELin1ELb1ELc78ELc85EKS1_S1_EviT_PT9_S3_lS5_S3_lPT10_S3_li
                                        ; -- End function
	.set _ZL37rocblas_syrkx_herkx_restricted_kernelIl19rocblas_complex_numIfELi16ELi32ELi8ELi1ELin1ELb1ELc78ELc85EKS1_S1_EviT_PT9_S3_lS5_S3_lPT10_S3_li.num_vgpr, 43
	.set _ZL37rocblas_syrkx_herkx_restricted_kernelIl19rocblas_complex_numIfELi16ELi32ELi8ELi1ELin1ELb1ELc78ELc85EKS1_S1_EviT_PT9_S3_lS5_S3_lPT10_S3_li.num_agpr, 0
	.set _ZL37rocblas_syrkx_herkx_restricted_kernelIl19rocblas_complex_numIfELi16ELi32ELi8ELi1ELin1ELb1ELc78ELc85EKS1_S1_EviT_PT9_S3_lS5_S3_lPT10_S3_li.numbered_sgpr, 28
	.set _ZL37rocblas_syrkx_herkx_restricted_kernelIl19rocblas_complex_numIfELi16ELi32ELi8ELi1ELin1ELb1ELc78ELc85EKS1_S1_EviT_PT9_S3_lS5_S3_lPT10_S3_li.num_named_barrier, 0
	.set _ZL37rocblas_syrkx_herkx_restricted_kernelIl19rocblas_complex_numIfELi16ELi32ELi8ELi1ELin1ELb1ELc78ELc85EKS1_S1_EviT_PT9_S3_lS5_S3_lPT10_S3_li.private_seg_size, 0
	.set _ZL37rocblas_syrkx_herkx_restricted_kernelIl19rocblas_complex_numIfELi16ELi32ELi8ELi1ELin1ELb1ELc78ELc85EKS1_S1_EviT_PT9_S3_lS5_S3_lPT10_S3_li.uses_vcc, 1
	.set _ZL37rocblas_syrkx_herkx_restricted_kernelIl19rocblas_complex_numIfELi16ELi32ELi8ELi1ELin1ELb1ELc78ELc85EKS1_S1_EviT_PT9_S3_lS5_S3_lPT10_S3_li.uses_flat_scratch, 0
	.set _ZL37rocblas_syrkx_herkx_restricted_kernelIl19rocblas_complex_numIfELi16ELi32ELi8ELi1ELin1ELb1ELc78ELc85EKS1_S1_EviT_PT9_S3_lS5_S3_lPT10_S3_li.has_dyn_sized_stack, 0
	.set _ZL37rocblas_syrkx_herkx_restricted_kernelIl19rocblas_complex_numIfELi16ELi32ELi8ELi1ELin1ELb1ELc78ELc85EKS1_S1_EviT_PT9_S3_lS5_S3_lPT10_S3_li.has_recursion, 0
	.set _ZL37rocblas_syrkx_herkx_restricted_kernelIl19rocblas_complex_numIfELi16ELi32ELi8ELi1ELin1ELb1ELc78ELc85EKS1_S1_EviT_PT9_S3_lS5_S3_lPT10_S3_li.has_indirect_call, 0
	.section	.AMDGPU.csdata,"",@progbits
; Kernel info:
; codeLenInByte = 2140
; TotalNumSgprs: 32
; NumVgprs: 43
; ScratchSize: 0
; MemoryBound: 0
; FloatMode: 240
; IeeeMode: 1
; LDSByteSize: 4096 bytes/workgroup (compile time only)
; SGPRBlocks: 3
; VGPRBlocks: 10
; NumSGPRsForWavesPerEU: 32
; NumVGPRsForWavesPerEU: 43
; Occupancy: 5
; WaveLimiterHint : 1
; COMPUTE_PGM_RSRC2:SCRATCH_EN: 0
; COMPUTE_PGM_RSRC2:USER_SGPR: 6
; COMPUTE_PGM_RSRC2:TRAP_HANDLER: 0
; COMPUTE_PGM_RSRC2:TGID_X_EN: 1
; COMPUTE_PGM_RSRC2:TGID_Y_EN: 1
; COMPUTE_PGM_RSRC2:TGID_Z_EN: 1
; COMPUTE_PGM_RSRC2:TIDIG_COMP_CNT: 1
	.section	.text._ZL37rocblas_syrkx_herkx_restricted_kernelIl19rocblas_complex_numIfELi16ELi32ELi8ELi1ELi0ELb1ELc84ELc76EKS1_S1_EviT_PT9_S3_lS5_S3_lPT10_S3_li,"axG",@progbits,_ZL37rocblas_syrkx_herkx_restricted_kernelIl19rocblas_complex_numIfELi16ELi32ELi8ELi1ELi0ELb1ELc84ELc76EKS1_S1_EviT_PT9_S3_lS5_S3_lPT10_S3_li,comdat
	.globl	_ZL37rocblas_syrkx_herkx_restricted_kernelIl19rocblas_complex_numIfELi16ELi32ELi8ELi1ELi0ELb1ELc84ELc76EKS1_S1_EviT_PT9_S3_lS5_S3_lPT10_S3_li ; -- Begin function _ZL37rocblas_syrkx_herkx_restricted_kernelIl19rocblas_complex_numIfELi16ELi32ELi8ELi1ELi0ELb1ELc84ELc76EKS1_S1_EviT_PT9_S3_lS5_S3_lPT10_S3_li
	.p2align	8
	.type	_ZL37rocblas_syrkx_herkx_restricted_kernelIl19rocblas_complex_numIfELi16ELi32ELi8ELi1ELi0ELb1ELc84ELc76EKS1_S1_EviT_PT9_S3_lS5_S3_lPT10_S3_li,@function
_ZL37rocblas_syrkx_herkx_restricted_kernelIl19rocblas_complex_numIfELi16ELi32ELi8ELi1ELi0ELb1ELc84ELc76EKS1_S1_EviT_PT9_S3_lS5_S3_lPT10_S3_li: ; @_ZL37rocblas_syrkx_herkx_restricted_kernelIl19rocblas_complex_numIfELi16ELi32ELi8ELi1ELi0ELb1ELc84ELc76EKS1_S1_EviT_PT9_S3_lS5_S3_lPT10_S3_li
; %bb.0:
	s_load_dwordx16 s[12:27], s[4:5], 0x8
	s_lshl_b32 s2, s6, 5
	s_lshl_b32 s3, s7, 5
	s_waitcnt lgkmcnt(0)
	v_cmp_lt_i64_e64 s[0:1], s[12:13], 1
	s_and_b64 vcc, exec, s[0:1]
	s_cbranch_vccnz .LBB1246_3
; %bb.1:
	v_lshl_add_u32 v4, v1, 4, v0
	v_lshrrev_b32_e32 v6, 3, v4
	v_add_u32_e32 v2, s3, v6
	v_ashrrev_i32_e32 v3, 31, v2
	v_and_b32_e32 v9, 7, v0
	v_mov_b32_e32 v10, 0
	v_mul_lo_u32 v5, s22, v3
	v_mul_lo_u32 v7, s23, v2
	v_mad_u64_u32 v[2:3], s[0:1], s22, v2, v[9:10]
	s_mul_i32 s6, s19, s8
	s_mul_hi_u32 s7, s18, s8
	v_add3_u32 v3, v7, v3, v5
	v_and_b32_e32 v7, 31, v4
	v_lshrrev_b32_e32 v4, 5, v4
	v_lshlrev_b32_e32 v8, 3, v7
	v_lshl_or_b32 v15, v4, 8, v8
	v_lshlrev_b32_e32 v8, 3, v9
	v_lshl_or_b32 v6, v6, 6, v8
	v_add_u32_e32 v16, 0x800, v6
	v_mov_b32_e32 v6, 0x800
	v_lshl_add_u32 v18, v1, 6, v6
	v_add_u32_e32 v6, s2, v7
	v_mov_b32_e32 v5, v10
	v_ashrrev_i32_e32 v7, 31, v6
	v_mul_lo_u32 v7, s16, v7
	v_mad_u64_u32 v[4:5], s[0:1], s16, v6, v[4:5]
	v_mul_lo_u32 v6, s17, v6
	s_add_i32 s1, s7, s6
	s_mul_i32 s0, s18, s8
	s_lshl_b64 s[0:1], s[0:1], 3
	v_add3_u32 v5, v6, v5, v7
	v_lshlrev_b64 v[4:5], 3, v[4:5]
	s_add_u32 s0, s14, s0
	s_addc_u32 s1, s15, s1
	v_mov_b32_e32 v6, s1
	v_add_co_u32_e32 v4, vcc, s0, v4
	s_mul_i32 s0, s25, s8
	s_mul_hi_u32 s1, s24, s8
	s_add_i32 s1, s1, s0
	s_mul_i32 s0, s24, s8
	v_addc_co_u32_e32 v5, vcc, v6, v5, vcc
	s_lshl_b64 s[0:1], s[0:1], 3
	v_add_co_u32_e32 v6, vcc, 4, v4
	v_lshlrev_b64 v[2:3], 3, v[2:3]
	s_add_u32 s0, s20, s0
	v_addc_co_u32_e32 v7, vcc, 0, v5, vcc
	s_addc_u32 s1, s21, s1
	v_mov_b32_e32 v4, s1
	v_add_co_u32_e32 v2, vcc, s0, v2
	v_addc_co_u32_e32 v3, vcc, v4, v3, vcc
	v_add_co_u32_e32 v8, vcc, 4, v2
	v_lshlrev_b32_e32 v17, 3, v0
	v_addc_co_u32_e32 v9, vcc, 0, v3, vcc
	s_mov_b64 s[0:1], 0
	v_mov_b32_e32 v11, v10
	v_mov_b32_e32 v19, v10
	;; [unrolled: 1-line block ×7, first 2 shown]
.LBB1246_2:                             ; =>This Inner Loop Header: Depth=1
	global_load_dwordx2 v[2:3], v[6:7], off offset:-4
	s_add_u32 s0, s0, 8
	v_add_co_u32_e32 v6, vcc, 64, v6
	s_addc_u32 s1, s1, 0
	v_addc_co_u32_e32 v7, vcc, 0, v7, vcc
	s_waitcnt vmcnt(0)
	ds_write_b64 v15, v[2:3]
	global_load_dwordx2 v[2:3], v[8:9], off offset:-4
	v_add_co_u32_e32 v8, vcc, 64, v8
	v_addc_co_u32_e32 v9, vcc, 0, v9, vcc
	s_waitcnt vmcnt(0)
	ds_write_b64 v16, v[2:3]
	s_waitcnt lgkmcnt(0)
	s_barrier
	ds_read_b128 v[22:25], v18
	ds_read_b128 v[26:29], v18 offset:16
	ds_read_b128 v[30:33], v18 offset:32
	;; [unrolled: 1-line block ×3, first 2 shown]
	ds_read2_b64 v[34:37], v17 offset1:16
	s_waitcnt lgkmcnt(0)
	v_mul_f32_e32 v38, v23, v35
	v_mul_f32_e32 v39, v22, v35
	v_fma_f32 v38, v22, v34, -v38
	v_fmac_f32_e32 v39, v23, v34
	v_add_f32_e32 v14, v14, v38
	v_add_f32_e32 v38, v21, v39
	v_mul_f32_e32 v21, v23, v37
	v_fma_f32 v21, v22, v36, -v21
	v_mul_f32_e32 v22, v22, v37
	v_fmac_f32_e32 v22, v23, v36
	v_add_f32_e32 v39, v13, v21
	v_add_f32_e32 v40, v20, v22
	ds_read_b128 v[20:23], v18 offset:1024
	s_waitcnt lgkmcnt(0)
	v_mul_f32_e32 v13, v21, v35
	v_fma_f32 v13, v20, v34, -v13
	v_mul_f32_e32 v35, v20, v35
	v_fmac_f32_e32 v35, v21, v34
	v_add_f32_e32 v34, v12, v13
	v_mul_f32_e32 v12, v21, v37
	v_mul_f32_e32 v13, v20, v37
	v_fma_f32 v12, v20, v36, -v12
	v_fmac_f32_e32 v13, v21, v36
	v_add_f32_e32 v20, v11, v12
	v_add_f32_e32 v21, v10, v13
	ds_read2_b64 v[10:13], v17 offset0:32 offset1:48
	v_add_f32_e32 v19, v19, v35
	s_waitcnt lgkmcnt(0)
	v_mul_f32_e32 v35, v25, v11
	v_mul_f32_e32 v36, v24, v11
	v_fma_f32 v35, v24, v10, -v35
	v_fmac_f32_e32 v36, v25, v10
	v_add_f32_e32 v14, v14, v35
	v_add_f32_e32 v35, v38, v36
	v_mul_f32_e32 v36, v25, v13
	v_fma_f32 v36, v24, v12, -v36
	v_mul_f32_e32 v24, v24, v13
	v_fmac_f32_e32 v24, v25, v12
	v_add_f32_e32 v25, v39, v36
	v_mul_f32_e32 v36, v23, v11
	v_mul_f32_e32 v11, v22, v11
	v_fma_f32 v36, v22, v10, -v36
	v_fmac_f32_e32 v11, v23, v10
	v_add_f32_e32 v34, v34, v36
	v_add_f32_e32 v36, v19, v11
	v_mul_f32_e32 v10, v23, v13
	v_mul_f32_e32 v11, v22, v13
	v_fma_f32 v10, v22, v12, -v10
	v_fmac_f32_e32 v11, v23, v12
	v_add_f32_e32 v23, v20, v10
	v_add_f32_e32 v37, v21, v11
	ds_read2_b64 v[10:13], v17 offset0:64 offset1:80
	v_add_f32_e32 v24, v40, v24
	s_waitcnt lgkmcnt(0)
	v_mul_f32_e32 v19, v27, v11
	v_mul_f32_e32 v20, v26, v11
	v_fma_f32 v19, v26, v10, -v19
	v_fmac_f32_e32 v20, v27, v10
	v_add_f32_e32 v14, v14, v19
	v_add_f32_e32 v35, v35, v20
	v_mul_f32_e32 v19, v27, v13
	v_mul_f32_e32 v20, v26, v13
	v_fma_f32 v19, v26, v12, -v19
	v_fmac_f32_e32 v20, v27, v12
	v_add_f32_e32 v25, v25, v19
	v_add_f32_e32 v24, v24, v20
	ds_read_b128 v[19:22], v18 offset:1040
	s_waitcnt lgkmcnt(0)
	v_mul_f32_e32 v26, v20, v11
	v_mul_f32_e32 v11, v19, v11
	v_fmac_f32_e32 v11, v20, v10
	v_fma_f32 v26, v19, v10, -v26
	v_add_f32_e32 v27, v36, v11
	v_mul_f32_e32 v10, v20, v13
	v_mul_f32_e32 v11, v19, v13
	v_fma_f32 v10, v19, v12, -v10
	v_fmac_f32_e32 v11, v20, v12
	v_add_f32_e32 v19, v23, v10
	v_add_f32_e32 v20, v37, v11
	ds_read2_b64 v[10:13], v17 offset0:96 offset1:112
	v_add_f32_e32 v26, v34, v26
	s_waitcnt lgkmcnt(0)
	v_mul_f32_e32 v23, v29, v11
	v_mul_f32_e32 v34, v28, v11
	v_fma_f32 v23, v28, v10, -v23
	v_fmac_f32_e32 v34, v29, v10
	v_add_f32_e32 v14, v14, v23
	v_add_f32_e32 v23, v35, v34
	v_mul_f32_e32 v34, v29, v13
	v_fma_f32 v34, v28, v12, -v34
	v_mul_f32_e32 v28, v28, v13
	v_fmac_f32_e32 v28, v29, v12
	v_add_f32_e32 v24, v24, v28
	v_mul_f32_e32 v28, v22, v11
	v_mul_f32_e32 v11, v21, v11
	v_fmac_f32_e32 v11, v22, v10
	v_fma_f32 v28, v21, v10, -v28
	v_add_f32_e32 v27, v27, v11
	v_mul_f32_e32 v10, v22, v13
	v_mul_f32_e32 v11, v21, v13
	v_fma_f32 v10, v21, v12, -v10
	v_fmac_f32_e32 v11, v22, v12
	v_add_f32_e32 v26, v26, v28
	v_add_f32_e32 v28, v19, v10
	;; [unrolled: 1-line block ×3, first 2 shown]
	ds_read2_b64 v[10:13], v17 offset0:128 offset1:144
	v_add_f32_e32 v25, v25, v34
	s_waitcnt lgkmcnt(0)
	v_mul_f32_e32 v19, v31, v11
	v_mul_f32_e32 v20, v30, v11
	v_fma_f32 v19, v30, v10, -v19
	v_fmac_f32_e32 v20, v31, v10
	v_add_f32_e32 v14, v14, v19
	v_add_f32_e32 v23, v23, v20
	v_mul_f32_e32 v19, v31, v13
	v_mul_f32_e32 v20, v30, v13
	v_fma_f32 v19, v30, v12, -v19
	v_fmac_f32_e32 v20, v31, v12
	v_add_f32_e32 v25, v25, v19
	v_add_f32_e32 v24, v24, v20
	ds_read_b128 v[19:22], v18 offset:1056
	s_waitcnt lgkmcnt(0)
	v_mul_f32_e32 v30, v20, v11
	v_mul_f32_e32 v11, v19, v11
	v_fmac_f32_e32 v11, v20, v10
	v_fma_f32 v30, v19, v10, -v30
	v_add_f32_e32 v27, v27, v11
	v_mul_f32_e32 v10, v20, v13
	v_mul_f32_e32 v11, v19, v13
	v_fma_f32 v10, v19, v12, -v10
	v_fmac_f32_e32 v11, v20, v12
	v_add_f32_e32 v19, v28, v10
	v_add_f32_e32 v20, v29, v11
	ds_read2_b64 v[10:13], v17 offset0:160 offset1:176
	v_add_f32_e32 v26, v26, v30
	s_waitcnt lgkmcnt(0)
	v_mul_f32_e32 v28, v33, v11
	v_fma_f32 v28, v32, v10, -v28
	v_add_f32_e32 v14, v14, v28
	v_mul_f32_e32 v28, v33, v13
	v_fma_f32 v28, v32, v12, -v28
	v_mul_f32_e32 v29, v32, v11
	v_add_f32_e32 v25, v25, v28
	v_mul_f32_e32 v28, v22, v11
	v_mul_f32_e32 v11, v21, v11
	v_fmac_f32_e32 v11, v22, v10
	v_fmac_f32_e32 v29, v33, v10
	v_fma_f32 v28, v21, v10, -v28
	v_add_f32_e32 v27, v27, v11
	v_mul_f32_e32 v10, v22, v13
	v_mul_f32_e32 v11, v21, v13
	v_add_f32_e32 v23, v23, v29
	v_mul_f32_e32 v29, v32, v13
	v_fma_f32 v10, v21, v12, -v10
	v_fmac_f32_e32 v11, v22, v12
	v_fmac_f32_e32 v29, v33, v12
	v_add_f32_e32 v26, v26, v28
	v_add_f32_e32 v19, v19, v10
	;; [unrolled: 1-line block ×3, first 2 shown]
	ds_read2_b64 v[10:13], v17 offset0:192 offset1:208
	v_add_f32_e32 v24, v24, v29
	s_waitcnt lgkmcnt(0)
	v_mul_f32_e32 v20, v3, v11
	v_fma_f32 v20, v2, v10, -v20
	v_mul_f32_e32 v21, v2, v11
	v_add_f32_e32 v14, v14, v20
	v_mul_f32_e32 v20, v3, v13
	v_fmac_f32_e32 v21, v3, v10
	v_fma_f32 v20, v2, v12, -v20
	v_mul_f32_e32 v2, v2, v13
	v_add_f32_e32 v29, v23, v21
	v_fmac_f32_e32 v2, v3, v12
	v_add_f32_e32 v3, v25, v20
	ds_read_b128 v[20:23], v18 offset:1072
	v_add_f32_e32 v2, v24, v2
	s_waitcnt lgkmcnt(0)
	v_mul_f32_e32 v24, v21, v11
	v_fma_f32 v24, v20, v10, -v24
	v_mul_f32_e32 v11, v20, v11
	v_fmac_f32_e32 v11, v21, v10
	v_add_f32_e32 v10, v26, v24
	v_mul_f32_e32 v24, v21, v13
	v_fma_f32 v24, v20, v12, -v24
	v_add_f32_e32 v11, v27, v11
	v_add_f32_e32 v30, v19, v24
	ds_read2_b64 v[24:27], v17 offset0:224 offset1:240
	v_mul_f32_e32 v13, v20, v13
	v_fmac_f32_e32 v13, v21, v12
	v_add_f32_e32 v28, v28, v13
	s_waitcnt lgkmcnt(0)
	v_mul_f32_e32 v12, v5, v25
	v_fma_f32 v12, v4, v24, -v12
	v_add_f32_e32 v14, v14, v12
	v_mul_f32_e32 v12, v5, v27
	v_mul_f32_e32 v13, v4, v25
	v_fma_f32 v12, v4, v26, -v12
	v_mul_f32_e32 v4, v4, v27
	v_fmac_f32_e32 v13, v5, v24
	v_fmac_f32_e32 v4, v5, v26
	v_add_f32_e32 v21, v29, v13
	v_add_f32_e32 v13, v3, v12
	;; [unrolled: 1-line block ×3, first 2 shown]
	v_mul_f32_e32 v2, v23, v25
	v_mul_f32_e32 v3, v22, v25
	v_fma_f32 v2, v22, v24, -v2
	v_fmac_f32_e32 v3, v23, v24
	v_add_f32_e32 v12, v10, v2
	v_add_f32_e32 v19, v11, v3
	v_mul_f32_e32 v2, v23, v27
	v_mul_f32_e32 v3, v22, v27
	v_fma_f32 v2, v22, v26, -v2
	v_fmac_f32_e32 v3, v23, v26
	v_add_f32_e32 v11, v30, v2
	v_add_f32_e32 v10, v28, v3
	v_mov_b32_e32 v3, s1
	v_mov_b32_e32 v2, s0
	v_cmp_le_u64_e32 vcc, s[12:13], v[2:3]
	s_barrier
	s_cbranch_vccz .LBB1246_2
	s_branch .LBB1246_4
.LBB1246_3:
	v_mov_b32_e32 v21, 0
	v_mov_b32_e32 v14, 0
	v_mov_b32_e32 v13, 0
	v_mov_b32_e32 v20, 0
	v_mov_b32_e32 v12, 0
	v_mov_b32_e32 v19, 0
	v_mov_b32_e32 v11, 0
	v_mov_b32_e32 v10, 0
.LBB1246_4:
	s_load_dwordx4 s[12:15], s[4:5], 0x48
	s_load_dword s9, s[4:5], 0x0
	v_add_u32_e32 v4, s3, v1
	v_ashrrev_i32_e32 v1, 31, v4
	v_add_u32_e32 v0, s2, v0
	s_waitcnt lgkmcnt(0)
	v_mul_lo_u32 v3, s12, v1
	v_mul_lo_u32 v5, s13, v4
	v_mad_u64_u32 v[1:2], s[4:5], s12, v4, 0
	s_mul_i32 s1, s15, s8
	s_mul_hi_u32 s3, s14, s8
	s_mul_i32 s0, s14, s8
	s_add_i32 s1, s3, s1
	s_lshl_b64 s[0:1], s[0:1], 3
	v_add3_u32 v2, v2, v3, v5
	s_add_u32 s6, s26, s0
	v_lshlrev_b64 v[1:2], 3, v[1:2]
	s_addc_u32 s7, s27, s1
	v_mov_b32_e32 v3, s7
	v_add_co_u32_e32 v5, vcc, s6, v1
	v_addc_co_u32_e32 v6, vcc, v3, v2, vcc
	v_cmp_le_i32_e64 s[0:1], v4, v0
	v_cmp_gt_i32_e32 vcc, s9, v0
	s_and_b64 s[0:1], s[0:1], vcc
	s_and_saveexec_b64 s[2:3], s[0:1]
	s_cbranch_execz .LBB1246_6
; %bb.5:
	v_ashrrev_i32_e32 v1, 31, v0
	v_lshlrev_b64 v[1:2], 3, v[0:1]
	v_add_co_u32_e64 v1, s[0:1], v5, v1
	v_addc_co_u32_e64 v2, s[0:1], v6, v2, s[0:1]
	v_cmp_ne_u32_e64 s[0:1], v4, v0
	v_cndmask_b32_e64 v15, 0, v21, s[0:1]
	global_store_dwordx2 v[1:2], v[14:15], off
.LBB1246_6:
	s_or_b64 exec, exec, s[2:3]
	v_add_u32_e32 v2, 16, v0
	v_cmp_le_i32_e64 s[2:3], v4, v2
	v_cmp_gt_i32_e64 s[0:1], s9, v2
	s_and_b64 s[2:3], s[2:3], s[0:1]
	s_and_saveexec_b64 s[4:5], s[2:3]
	s_cbranch_execz .LBB1246_8
; %bb.7:
	v_ashrrev_i32_e32 v3, 31, v2
	v_lshlrev_b64 v[7:8], 3, v[2:3]
	v_add_co_u32_e64 v5, s[2:3], v5, v7
	v_addc_co_u32_e64 v6, s[2:3], v6, v8, s[2:3]
	v_cmp_ne_u32_e64 s[2:3], v4, v2
	v_cndmask_b32_e64 v14, 0, v20, s[2:3]
	global_store_dwordx2 v[5:6], v[13:14], off
.LBB1246_8:
	s_or_b64 exec, exec, s[4:5]
	v_add_u32_e32 v3, 16, v4
	v_ashrrev_i32_e32 v1, 31, v3
	v_mul_lo_u32 v7, s13, v3
	v_mad_u64_u32 v[5:6], s[2:3], s12, v3, 0
	v_mul_lo_u32 v1, s12, v1
	v_add3_u32 v6, v6, v1, v7
	v_lshlrev_b64 v[5:6], 3, v[5:6]
	v_mov_b32_e32 v1, s7
	v_add_co_u32_e64 v5, s[2:3], s6, v5
	v_addc_co_u32_e64 v6, s[2:3], v1, v6, s[2:3]
	v_cmp_le_i32_e64 s[2:3], v3, v0
	s_and_b64 s[4:5], s[2:3], vcc
	s_and_saveexec_b64 s[2:3], s[4:5]
	s_cbranch_execz .LBB1246_10
; %bb.9:
	v_ashrrev_i32_e32 v1, 31, v0
	v_lshlrev_b64 v[7:8], 3, v[0:1]
	v_add_co_u32_e32 v7, vcc, v5, v7
	v_addc_co_u32_e32 v8, vcc, v6, v8, vcc
	v_cmp_ne_u32_e32 vcc, v3, v0
	v_cndmask_b32_e32 v13, 0, v19, vcc
	global_store_dwordx2 v[7:8], v[12:13], off
.LBB1246_10:
	s_or_b64 exec, exec, s[2:3]
	v_cmp_le_i32_e32 vcc, v3, v2
	s_and_b64 s[0:1], vcc, s[0:1]
	s_and_saveexec_b64 s[2:3], s[0:1]
	s_cbranch_execz .LBB1246_12
; %bb.11:
	v_ashrrev_i32_e32 v3, 31, v2
	v_lshlrev_b64 v[1:2], 3, v[2:3]
	v_add_co_u32_e32 v1, vcc, v5, v1
	v_addc_co_u32_e32 v2, vcc, v6, v2, vcc
	v_cmp_ne_u32_e32 vcc, v4, v0
	v_cndmask_b32_e32 v12, 0, v10, vcc
	global_store_dwordx2 v[1:2], v[11:12], off
.LBB1246_12:
	s_endpgm
	.section	.rodata,"a",@progbits
	.p2align	6, 0x0
	.amdhsa_kernel _ZL37rocblas_syrkx_herkx_restricted_kernelIl19rocblas_complex_numIfELi16ELi32ELi8ELi1ELi0ELb1ELc84ELc76EKS1_S1_EviT_PT9_S3_lS5_S3_lPT10_S3_li
		.amdhsa_group_segment_fixed_size 4096
		.amdhsa_private_segment_fixed_size 0
		.amdhsa_kernarg_size 92
		.amdhsa_user_sgpr_count 6
		.amdhsa_user_sgpr_private_segment_buffer 1
		.amdhsa_user_sgpr_dispatch_ptr 0
		.amdhsa_user_sgpr_queue_ptr 0
		.amdhsa_user_sgpr_kernarg_segment_ptr 1
		.amdhsa_user_sgpr_dispatch_id 0
		.amdhsa_user_sgpr_flat_scratch_init 0
		.amdhsa_user_sgpr_private_segment_size 0
		.amdhsa_uses_dynamic_stack 0
		.amdhsa_system_sgpr_private_segment_wavefront_offset 0
		.amdhsa_system_sgpr_workgroup_id_x 1
		.amdhsa_system_sgpr_workgroup_id_y 1
		.amdhsa_system_sgpr_workgroup_id_z 1
		.amdhsa_system_sgpr_workgroup_info 0
		.amdhsa_system_vgpr_workitem_id 1
		.amdhsa_next_free_vgpr 41
		.amdhsa_next_free_sgpr 28
		.amdhsa_reserve_vcc 1
		.amdhsa_reserve_flat_scratch 0
		.amdhsa_float_round_mode_32 0
		.amdhsa_float_round_mode_16_64 0
		.amdhsa_float_denorm_mode_32 3
		.amdhsa_float_denorm_mode_16_64 3
		.amdhsa_dx10_clamp 1
		.amdhsa_ieee_mode 1
		.amdhsa_fp16_overflow 0
		.amdhsa_exception_fp_ieee_invalid_op 0
		.amdhsa_exception_fp_denorm_src 0
		.amdhsa_exception_fp_ieee_div_zero 0
		.amdhsa_exception_fp_ieee_overflow 0
		.amdhsa_exception_fp_ieee_underflow 0
		.amdhsa_exception_fp_ieee_inexact 0
		.amdhsa_exception_int_div_zero 0
	.end_amdhsa_kernel
	.section	.text._ZL37rocblas_syrkx_herkx_restricted_kernelIl19rocblas_complex_numIfELi16ELi32ELi8ELi1ELi0ELb1ELc84ELc76EKS1_S1_EviT_PT9_S3_lS5_S3_lPT10_S3_li,"axG",@progbits,_ZL37rocblas_syrkx_herkx_restricted_kernelIl19rocblas_complex_numIfELi16ELi32ELi8ELi1ELi0ELb1ELc84ELc76EKS1_S1_EviT_PT9_S3_lS5_S3_lPT10_S3_li,comdat
.Lfunc_end1246:
	.size	_ZL37rocblas_syrkx_herkx_restricted_kernelIl19rocblas_complex_numIfELi16ELi32ELi8ELi1ELi0ELb1ELc84ELc76EKS1_S1_EviT_PT9_S3_lS5_S3_lPT10_S3_li, .Lfunc_end1246-_ZL37rocblas_syrkx_herkx_restricted_kernelIl19rocblas_complex_numIfELi16ELi32ELi8ELi1ELi0ELb1ELc84ELc76EKS1_S1_EviT_PT9_S3_lS5_S3_lPT10_S3_li
                                        ; -- End function
	.set _ZL37rocblas_syrkx_herkx_restricted_kernelIl19rocblas_complex_numIfELi16ELi32ELi8ELi1ELi0ELb1ELc84ELc76EKS1_S1_EviT_PT9_S3_lS5_S3_lPT10_S3_li.num_vgpr, 41
	.set _ZL37rocblas_syrkx_herkx_restricted_kernelIl19rocblas_complex_numIfELi16ELi32ELi8ELi1ELi0ELb1ELc84ELc76EKS1_S1_EviT_PT9_S3_lS5_S3_lPT10_S3_li.num_agpr, 0
	.set _ZL37rocblas_syrkx_herkx_restricted_kernelIl19rocblas_complex_numIfELi16ELi32ELi8ELi1ELi0ELb1ELc84ELc76EKS1_S1_EviT_PT9_S3_lS5_S3_lPT10_S3_li.numbered_sgpr, 28
	.set _ZL37rocblas_syrkx_herkx_restricted_kernelIl19rocblas_complex_numIfELi16ELi32ELi8ELi1ELi0ELb1ELc84ELc76EKS1_S1_EviT_PT9_S3_lS5_S3_lPT10_S3_li.num_named_barrier, 0
	.set _ZL37rocblas_syrkx_herkx_restricted_kernelIl19rocblas_complex_numIfELi16ELi32ELi8ELi1ELi0ELb1ELc84ELc76EKS1_S1_EviT_PT9_S3_lS5_S3_lPT10_S3_li.private_seg_size, 0
	.set _ZL37rocblas_syrkx_herkx_restricted_kernelIl19rocblas_complex_numIfELi16ELi32ELi8ELi1ELi0ELb1ELc84ELc76EKS1_S1_EviT_PT9_S3_lS5_S3_lPT10_S3_li.uses_vcc, 1
	.set _ZL37rocblas_syrkx_herkx_restricted_kernelIl19rocblas_complex_numIfELi16ELi32ELi8ELi1ELi0ELb1ELc84ELc76EKS1_S1_EviT_PT9_S3_lS5_S3_lPT10_S3_li.uses_flat_scratch, 0
	.set _ZL37rocblas_syrkx_herkx_restricted_kernelIl19rocblas_complex_numIfELi16ELi32ELi8ELi1ELi0ELb1ELc84ELc76EKS1_S1_EviT_PT9_S3_lS5_S3_lPT10_S3_li.has_dyn_sized_stack, 0
	.set _ZL37rocblas_syrkx_herkx_restricted_kernelIl19rocblas_complex_numIfELi16ELi32ELi8ELi1ELi0ELb1ELc84ELc76EKS1_S1_EviT_PT9_S3_lS5_S3_lPT10_S3_li.has_recursion, 0
	.set _ZL37rocblas_syrkx_herkx_restricted_kernelIl19rocblas_complex_numIfELi16ELi32ELi8ELi1ELi0ELb1ELc84ELc76EKS1_S1_EviT_PT9_S3_lS5_S3_lPT10_S3_li.has_indirect_call, 0
	.section	.AMDGPU.csdata,"",@progbits
; Kernel info:
; codeLenInByte = 2008
; TotalNumSgprs: 32
; NumVgprs: 41
; ScratchSize: 0
; MemoryBound: 0
; FloatMode: 240
; IeeeMode: 1
; LDSByteSize: 4096 bytes/workgroup (compile time only)
; SGPRBlocks: 3
; VGPRBlocks: 10
; NumSGPRsForWavesPerEU: 32
; NumVGPRsForWavesPerEU: 41
; Occupancy: 5
; WaveLimiterHint : 1
; COMPUTE_PGM_RSRC2:SCRATCH_EN: 0
; COMPUTE_PGM_RSRC2:USER_SGPR: 6
; COMPUTE_PGM_RSRC2:TRAP_HANDLER: 0
; COMPUTE_PGM_RSRC2:TGID_X_EN: 1
; COMPUTE_PGM_RSRC2:TGID_Y_EN: 1
; COMPUTE_PGM_RSRC2:TGID_Z_EN: 1
; COMPUTE_PGM_RSRC2:TIDIG_COMP_CNT: 1
	.section	.text._ZL37rocblas_syrkx_herkx_restricted_kernelIl19rocblas_complex_numIfELi16ELi32ELi8ELi1ELi0ELb1ELc67ELc76EKS1_S1_EviT_PT9_S3_lS5_S3_lPT10_S3_li,"axG",@progbits,_ZL37rocblas_syrkx_herkx_restricted_kernelIl19rocblas_complex_numIfELi16ELi32ELi8ELi1ELi0ELb1ELc67ELc76EKS1_S1_EviT_PT9_S3_lS5_S3_lPT10_S3_li,comdat
	.globl	_ZL37rocblas_syrkx_herkx_restricted_kernelIl19rocblas_complex_numIfELi16ELi32ELi8ELi1ELi0ELb1ELc67ELc76EKS1_S1_EviT_PT9_S3_lS5_S3_lPT10_S3_li ; -- Begin function _ZL37rocblas_syrkx_herkx_restricted_kernelIl19rocblas_complex_numIfELi16ELi32ELi8ELi1ELi0ELb1ELc67ELc76EKS1_S1_EviT_PT9_S3_lS5_S3_lPT10_S3_li
	.p2align	8
	.type	_ZL37rocblas_syrkx_herkx_restricted_kernelIl19rocblas_complex_numIfELi16ELi32ELi8ELi1ELi0ELb1ELc67ELc76EKS1_S1_EviT_PT9_S3_lS5_S3_lPT10_S3_li,@function
_ZL37rocblas_syrkx_herkx_restricted_kernelIl19rocblas_complex_numIfELi16ELi32ELi8ELi1ELi0ELb1ELc67ELc76EKS1_S1_EviT_PT9_S3_lS5_S3_lPT10_S3_li: ; @_ZL37rocblas_syrkx_herkx_restricted_kernelIl19rocblas_complex_numIfELi16ELi32ELi8ELi1ELi0ELb1ELc67ELc76EKS1_S1_EviT_PT9_S3_lS5_S3_lPT10_S3_li
; %bb.0:
	s_load_dwordx16 s[12:27], s[4:5], 0x8
	s_lshl_b32 s2, s6, 5
	s_lshl_b32 s3, s7, 5
	s_waitcnt lgkmcnt(0)
	v_cmp_lt_i64_e64 s[0:1], s[12:13], 1
	s_and_b64 vcc, exec, s[0:1]
	s_cbranch_vccnz .LBB1247_3
; %bb.1:
	v_lshl_add_u32 v4, v1, 4, v0
	v_lshrrev_b32_e32 v6, 3, v4
	v_add_u32_e32 v2, s3, v6
	v_ashrrev_i32_e32 v3, 31, v2
	v_and_b32_e32 v9, 7, v0
	v_mov_b32_e32 v10, 0
	v_mul_lo_u32 v5, s22, v3
	v_mul_lo_u32 v7, s23, v2
	v_mad_u64_u32 v[2:3], s[0:1], s22, v2, v[9:10]
	s_mul_i32 s6, s19, s8
	s_mul_hi_u32 s7, s18, s8
	v_add3_u32 v3, v7, v3, v5
	v_and_b32_e32 v7, 31, v4
	v_lshrrev_b32_e32 v4, 5, v4
	v_lshlrev_b32_e32 v8, 3, v7
	v_lshl_or_b32 v15, v4, 8, v8
	v_lshlrev_b32_e32 v8, 3, v9
	v_lshl_or_b32 v6, v6, 6, v8
	v_add_u32_e32 v16, 0x800, v6
	v_mov_b32_e32 v6, 0x800
	v_lshl_add_u32 v18, v1, 6, v6
	v_add_u32_e32 v6, s2, v7
	v_mov_b32_e32 v5, v10
	v_ashrrev_i32_e32 v7, 31, v6
	v_mul_lo_u32 v7, s16, v7
	v_mad_u64_u32 v[4:5], s[0:1], s16, v6, v[4:5]
	v_mul_lo_u32 v6, s17, v6
	s_add_i32 s1, s7, s6
	s_mul_i32 s0, s18, s8
	s_lshl_b64 s[0:1], s[0:1], 3
	v_add3_u32 v5, v6, v5, v7
	v_lshlrev_b64 v[4:5], 3, v[4:5]
	s_add_u32 s0, s14, s0
	s_addc_u32 s1, s15, s1
	v_mov_b32_e32 v6, s1
	v_add_co_u32_e32 v4, vcc, s0, v4
	s_mul_i32 s0, s25, s8
	s_mul_hi_u32 s1, s24, s8
	s_add_i32 s1, s1, s0
	s_mul_i32 s0, s24, s8
	v_addc_co_u32_e32 v5, vcc, v6, v5, vcc
	s_lshl_b64 s[0:1], s[0:1], 3
	v_add_co_u32_e32 v6, vcc, 4, v4
	v_lshlrev_b64 v[2:3], 3, v[2:3]
	s_add_u32 s0, s20, s0
	v_addc_co_u32_e32 v7, vcc, 0, v5, vcc
	s_addc_u32 s1, s21, s1
	v_mov_b32_e32 v4, s1
	v_add_co_u32_e32 v2, vcc, s0, v2
	v_addc_co_u32_e32 v3, vcc, v4, v3, vcc
	v_add_co_u32_e32 v8, vcc, 4, v2
	v_lshlrev_b32_e32 v17, 3, v0
	v_addc_co_u32_e32 v9, vcc, 0, v3, vcc
	s_mov_b64 s[0:1], 0
	v_mov_b32_e32 v11, v10
	v_mov_b32_e32 v19, v10
	;; [unrolled: 1-line block ×7, first 2 shown]
.LBB1247_2:                             ; =>This Inner Loop Header: Depth=1
	global_load_dwordx2 v[2:3], v[6:7], off offset:-4
	v_add_co_u32_e32 v6, vcc, 64, v6
	s_add_u32 s0, s0, 8
	v_addc_co_u32_e32 v7, vcc, 0, v7, vcc
	s_addc_u32 s1, s1, 0
	s_waitcnt vmcnt(0)
	v_xor_b32_e32 v3, 0x80000000, v3
	ds_write_b64 v15, v[2:3]
	global_load_dwordx2 v[2:3], v[8:9], off offset:-4
	v_add_co_u32_e32 v8, vcc, 64, v8
	v_addc_co_u32_e32 v9, vcc, 0, v9, vcc
	s_waitcnt vmcnt(0)
	ds_write_b64 v16, v[2:3]
	s_waitcnt lgkmcnt(0)
	s_barrier
	ds_read_b128 v[22:25], v18
	ds_read_b128 v[26:29], v18 offset:16
	ds_read_b128 v[30:33], v18 offset:32
	;; [unrolled: 1-line block ×3, first 2 shown]
	ds_read2_b64 v[34:37], v17 offset1:16
	s_waitcnt lgkmcnt(0)
	v_mul_f32_e32 v38, v23, v35
	v_mul_f32_e32 v39, v22, v35
	v_fma_f32 v38, v22, v34, -v38
	v_fmac_f32_e32 v39, v23, v34
	v_add_f32_e32 v14, v14, v38
	v_add_f32_e32 v38, v21, v39
	v_mul_f32_e32 v21, v23, v37
	v_fma_f32 v21, v22, v36, -v21
	v_mul_f32_e32 v22, v22, v37
	v_fmac_f32_e32 v22, v23, v36
	v_add_f32_e32 v39, v13, v21
	v_add_f32_e32 v40, v20, v22
	ds_read_b128 v[20:23], v18 offset:1024
	s_waitcnt lgkmcnt(0)
	v_mul_f32_e32 v13, v21, v35
	v_fma_f32 v13, v20, v34, -v13
	v_mul_f32_e32 v35, v20, v35
	v_fmac_f32_e32 v35, v21, v34
	v_add_f32_e32 v34, v12, v13
	v_mul_f32_e32 v12, v21, v37
	v_mul_f32_e32 v13, v20, v37
	v_fma_f32 v12, v20, v36, -v12
	v_fmac_f32_e32 v13, v21, v36
	v_add_f32_e32 v20, v11, v12
	v_add_f32_e32 v21, v10, v13
	ds_read2_b64 v[10:13], v17 offset0:32 offset1:48
	v_add_f32_e32 v19, v19, v35
	s_waitcnt lgkmcnt(0)
	v_mul_f32_e32 v35, v25, v11
	v_mul_f32_e32 v36, v24, v11
	v_fma_f32 v35, v24, v10, -v35
	v_fmac_f32_e32 v36, v25, v10
	v_add_f32_e32 v14, v14, v35
	v_add_f32_e32 v35, v38, v36
	v_mul_f32_e32 v36, v25, v13
	v_fma_f32 v36, v24, v12, -v36
	v_mul_f32_e32 v24, v24, v13
	v_fmac_f32_e32 v24, v25, v12
	v_add_f32_e32 v25, v39, v36
	v_mul_f32_e32 v36, v23, v11
	v_mul_f32_e32 v11, v22, v11
	v_fma_f32 v36, v22, v10, -v36
	v_fmac_f32_e32 v11, v23, v10
	v_add_f32_e32 v34, v34, v36
	v_add_f32_e32 v36, v19, v11
	v_mul_f32_e32 v10, v23, v13
	v_mul_f32_e32 v11, v22, v13
	v_fma_f32 v10, v22, v12, -v10
	v_fmac_f32_e32 v11, v23, v12
	v_add_f32_e32 v23, v20, v10
	v_add_f32_e32 v37, v21, v11
	ds_read2_b64 v[10:13], v17 offset0:64 offset1:80
	v_add_f32_e32 v24, v40, v24
	s_waitcnt lgkmcnt(0)
	v_mul_f32_e32 v19, v27, v11
	v_mul_f32_e32 v20, v26, v11
	v_fma_f32 v19, v26, v10, -v19
	v_fmac_f32_e32 v20, v27, v10
	v_add_f32_e32 v14, v14, v19
	v_add_f32_e32 v35, v35, v20
	v_mul_f32_e32 v19, v27, v13
	v_mul_f32_e32 v20, v26, v13
	v_fma_f32 v19, v26, v12, -v19
	v_fmac_f32_e32 v20, v27, v12
	v_add_f32_e32 v25, v25, v19
	v_add_f32_e32 v24, v24, v20
	ds_read_b128 v[19:22], v18 offset:1040
	s_waitcnt lgkmcnt(0)
	v_mul_f32_e32 v26, v20, v11
	v_mul_f32_e32 v11, v19, v11
	v_fmac_f32_e32 v11, v20, v10
	v_fma_f32 v26, v19, v10, -v26
	v_add_f32_e32 v27, v36, v11
	v_mul_f32_e32 v10, v20, v13
	v_mul_f32_e32 v11, v19, v13
	v_fma_f32 v10, v19, v12, -v10
	v_fmac_f32_e32 v11, v20, v12
	v_add_f32_e32 v19, v23, v10
	v_add_f32_e32 v20, v37, v11
	ds_read2_b64 v[10:13], v17 offset0:96 offset1:112
	v_add_f32_e32 v26, v34, v26
	s_waitcnt lgkmcnt(0)
	v_mul_f32_e32 v23, v29, v11
	v_mul_f32_e32 v34, v28, v11
	v_fma_f32 v23, v28, v10, -v23
	v_fmac_f32_e32 v34, v29, v10
	v_add_f32_e32 v14, v14, v23
	v_add_f32_e32 v23, v35, v34
	v_mul_f32_e32 v34, v29, v13
	v_fma_f32 v34, v28, v12, -v34
	v_mul_f32_e32 v28, v28, v13
	v_fmac_f32_e32 v28, v29, v12
	v_add_f32_e32 v24, v24, v28
	v_mul_f32_e32 v28, v22, v11
	v_mul_f32_e32 v11, v21, v11
	v_fmac_f32_e32 v11, v22, v10
	v_fma_f32 v28, v21, v10, -v28
	v_add_f32_e32 v27, v27, v11
	v_mul_f32_e32 v10, v22, v13
	v_mul_f32_e32 v11, v21, v13
	v_fma_f32 v10, v21, v12, -v10
	v_fmac_f32_e32 v11, v22, v12
	v_add_f32_e32 v26, v26, v28
	v_add_f32_e32 v28, v19, v10
	;; [unrolled: 1-line block ×3, first 2 shown]
	ds_read2_b64 v[10:13], v17 offset0:128 offset1:144
	v_add_f32_e32 v25, v25, v34
	s_waitcnt lgkmcnt(0)
	v_mul_f32_e32 v19, v31, v11
	v_mul_f32_e32 v20, v30, v11
	v_fma_f32 v19, v30, v10, -v19
	v_fmac_f32_e32 v20, v31, v10
	v_add_f32_e32 v14, v14, v19
	v_add_f32_e32 v23, v23, v20
	v_mul_f32_e32 v19, v31, v13
	v_mul_f32_e32 v20, v30, v13
	v_fma_f32 v19, v30, v12, -v19
	v_fmac_f32_e32 v20, v31, v12
	v_add_f32_e32 v25, v25, v19
	v_add_f32_e32 v24, v24, v20
	ds_read_b128 v[19:22], v18 offset:1056
	s_waitcnt lgkmcnt(0)
	v_mul_f32_e32 v30, v20, v11
	v_mul_f32_e32 v11, v19, v11
	v_fmac_f32_e32 v11, v20, v10
	v_fma_f32 v30, v19, v10, -v30
	v_add_f32_e32 v27, v27, v11
	v_mul_f32_e32 v10, v20, v13
	v_mul_f32_e32 v11, v19, v13
	v_fma_f32 v10, v19, v12, -v10
	v_fmac_f32_e32 v11, v20, v12
	v_add_f32_e32 v19, v28, v10
	v_add_f32_e32 v20, v29, v11
	ds_read2_b64 v[10:13], v17 offset0:160 offset1:176
	v_add_f32_e32 v26, v26, v30
	s_waitcnt lgkmcnt(0)
	v_mul_f32_e32 v28, v33, v11
	v_fma_f32 v28, v32, v10, -v28
	v_add_f32_e32 v14, v14, v28
	v_mul_f32_e32 v28, v33, v13
	v_fma_f32 v28, v32, v12, -v28
	v_mul_f32_e32 v29, v32, v11
	v_add_f32_e32 v25, v25, v28
	v_mul_f32_e32 v28, v22, v11
	v_mul_f32_e32 v11, v21, v11
	v_fmac_f32_e32 v11, v22, v10
	v_fmac_f32_e32 v29, v33, v10
	v_fma_f32 v28, v21, v10, -v28
	v_add_f32_e32 v27, v27, v11
	v_mul_f32_e32 v10, v22, v13
	v_mul_f32_e32 v11, v21, v13
	v_add_f32_e32 v23, v23, v29
	v_mul_f32_e32 v29, v32, v13
	v_fma_f32 v10, v21, v12, -v10
	v_fmac_f32_e32 v11, v22, v12
	v_fmac_f32_e32 v29, v33, v12
	v_add_f32_e32 v26, v26, v28
	v_add_f32_e32 v19, v19, v10
	;; [unrolled: 1-line block ×3, first 2 shown]
	ds_read2_b64 v[10:13], v17 offset0:192 offset1:208
	v_add_f32_e32 v24, v24, v29
	s_waitcnt lgkmcnt(0)
	v_mul_f32_e32 v20, v3, v11
	v_fma_f32 v20, v2, v10, -v20
	v_mul_f32_e32 v21, v2, v11
	v_add_f32_e32 v14, v14, v20
	v_mul_f32_e32 v20, v3, v13
	v_fmac_f32_e32 v21, v3, v10
	v_fma_f32 v20, v2, v12, -v20
	v_mul_f32_e32 v2, v2, v13
	v_add_f32_e32 v29, v23, v21
	v_fmac_f32_e32 v2, v3, v12
	v_add_f32_e32 v3, v25, v20
	ds_read_b128 v[20:23], v18 offset:1072
	v_add_f32_e32 v2, v24, v2
	s_waitcnt lgkmcnt(0)
	v_mul_f32_e32 v24, v21, v11
	v_fma_f32 v24, v20, v10, -v24
	v_mul_f32_e32 v11, v20, v11
	v_fmac_f32_e32 v11, v21, v10
	v_add_f32_e32 v10, v26, v24
	v_mul_f32_e32 v24, v21, v13
	v_fma_f32 v24, v20, v12, -v24
	v_add_f32_e32 v11, v27, v11
	v_add_f32_e32 v30, v19, v24
	ds_read2_b64 v[24:27], v17 offset0:224 offset1:240
	v_mul_f32_e32 v13, v20, v13
	v_fmac_f32_e32 v13, v21, v12
	v_add_f32_e32 v28, v28, v13
	s_waitcnt lgkmcnt(0)
	v_mul_f32_e32 v12, v5, v25
	v_fma_f32 v12, v4, v24, -v12
	v_add_f32_e32 v14, v14, v12
	v_mul_f32_e32 v12, v5, v27
	v_mul_f32_e32 v13, v4, v25
	v_fma_f32 v12, v4, v26, -v12
	v_mul_f32_e32 v4, v4, v27
	v_fmac_f32_e32 v13, v5, v24
	v_fmac_f32_e32 v4, v5, v26
	v_add_f32_e32 v21, v29, v13
	v_add_f32_e32 v13, v3, v12
	;; [unrolled: 1-line block ×3, first 2 shown]
	v_mul_f32_e32 v2, v23, v25
	v_mul_f32_e32 v3, v22, v25
	v_fma_f32 v2, v22, v24, -v2
	v_fmac_f32_e32 v3, v23, v24
	v_add_f32_e32 v12, v10, v2
	v_add_f32_e32 v19, v11, v3
	v_mul_f32_e32 v2, v23, v27
	v_mul_f32_e32 v3, v22, v27
	v_fma_f32 v2, v22, v26, -v2
	v_fmac_f32_e32 v3, v23, v26
	v_add_f32_e32 v11, v30, v2
	v_add_f32_e32 v10, v28, v3
	v_mov_b32_e32 v3, s1
	v_mov_b32_e32 v2, s0
	v_cmp_le_u64_e32 vcc, s[12:13], v[2:3]
	s_barrier
	s_cbranch_vccz .LBB1247_2
	s_branch .LBB1247_4
.LBB1247_3:
	v_mov_b32_e32 v21, 0
	v_mov_b32_e32 v14, 0
	;; [unrolled: 1-line block ×8, first 2 shown]
.LBB1247_4:
	s_load_dwordx4 s[12:15], s[4:5], 0x48
	s_load_dword s9, s[4:5], 0x0
	v_add_u32_e32 v4, s3, v1
	v_ashrrev_i32_e32 v1, 31, v4
	v_add_u32_e32 v0, s2, v0
	s_waitcnt lgkmcnt(0)
	v_mul_lo_u32 v3, s12, v1
	v_mul_lo_u32 v5, s13, v4
	v_mad_u64_u32 v[1:2], s[4:5], s12, v4, 0
	s_mul_i32 s1, s15, s8
	s_mul_hi_u32 s3, s14, s8
	s_mul_i32 s0, s14, s8
	s_add_i32 s1, s3, s1
	s_lshl_b64 s[0:1], s[0:1], 3
	v_add3_u32 v2, v2, v3, v5
	s_add_u32 s6, s26, s0
	v_lshlrev_b64 v[1:2], 3, v[1:2]
	s_addc_u32 s7, s27, s1
	v_mov_b32_e32 v3, s7
	v_add_co_u32_e32 v5, vcc, s6, v1
	v_addc_co_u32_e32 v6, vcc, v3, v2, vcc
	v_cmp_le_i32_e64 s[0:1], v4, v0
	v_cmp_gt_i32_e32 vcc, s9, v0
	s_and_b64 s[0:1], s[0:1], vcc
	s_and_saveexec_b64 s[2:3], s[0:1]
	s_cbranch_execz .LBB1247_6
; %bb.5:
	v_ashrrev_i32_e32 v1, 31, v0
	v_lshlrev_b64 v[1:2], 3, v[0:1]
	v_add_co_u32_e64 v1, s[0:1], v5, v1
	v_addc_co_u32_e64 v2, s[0:1], v6, v2, s[0:1]
	v_cmp_ne_u32_e64 s[0:1], v4, v0
	v_cndmask_b32_e64 v15, 0, v21, s[0:1]
	global_store_dwordx2 v[1:2], v[14:15], off
.LBB1247_6:
	s_or_b64 exec, exec, s[2:3]
	v_add_u32_e32 v2, 16, v0
	v_cmp_le_i32_e64 s[2:3], v4, v2
	v_cmp_gt_i32_e64 s[0:1], s9, v2
	s_and_b64 s[2:3], s[2:3], s[0:1]
	s_and_saveexec_b64 s[4:5], s[2:3]
	s_cbranch_execz .LBB1247_8
; %bb.7:
	v_ashrrev_i32_e32 v3, 31, v2
	v_lshlrev_b64 v[7:8], 3, v[2:3]
	v_add_co_u32_e64 v5, s[2:3], v5, v7
	v_addc_co_u32_e64 v6, s[2:3], v6, v8, s[2:3]
	v_cmp_ne_u32_e64 s[2:3], v4, v2
	v_cndmask_b32_e64 v14, 0, v20, s[2:3]
	global_store_dwordx2 v[5:6], v[13:14], off
.LBB1247_8:
	s_or_b64 exec, exec, s[4:5]
	v_add_u32_e32 v3, 16, v4
	v_ashrrev_i32_e32 v1, 31, v3
	v_mul_lo_u32 v7, s13, v3
	v_mad_u64_u32 v[5:6], s[2:3], s12, v3, 0
	v_mul_lo_u32 v1, s12, v1
	v_add3_u32 v6, v6, v1, v7
	v_lshlrev_b64 v[5:6], 3, v[5:6]
	v_mov_b32_e32 v1, s7
	v_add_co_u32_e64 v5, s[2:3], s6, v5
	v_addc_co_u32_e64 v6, s[2:3], v1, v6, s[2:3]
	v_cmp_le_i32_e64 s[2:3], v3, v0
	s_and_b64 s[4:5], s[2:3], vcc
	s_and_saveexec_b64 s[2:3], s[4:5]
	s_cbranch_execz .LBB1247_10
; %bb.9:
	v_ashrrev_i32_e32 v1, 31, v0
	v_lshlrev_b64 v[7:8], 3, v[0:1]
	v_add_co_u32_e32 v7, vcc, v5, v7
	v_addc_co_u32_e32 v8, vcc, v6, v8, vcc
	v_cmp_ne_u32_e32 vcc, v3, v0
	v_cndmask_b32_e32 v13, 0, v19, vcc
	global_store_dwordx2 v[7:8], v[12:13], off
.LBB1247_10:
	s_or_b64 exec, exec, s[2:3]
	v_cmp_le_i32_e32 vcc, v3, v2
	s_and_b64 s[0:1], vcc, s[0:1]
	s_and_saveexec_b64 s[2:3], s[0:1]
	s_cbranch_execz .LBB1247_12
; %bb.11:
	v_ashrrev_i32_e32 v3, 31, v2
	v_lshlrev_b64 v[1:2], 3, v[2:3]
	v_add_co_u32_e32 v1, vcc, v5, v1
	v_addc_co_u32_e32 v2, vcc, v6, v2, vcc
	v_cmp_ne_u32_e32 vcc, v4, v0
	v_cndmask_b32_e32 v12, 0, v10, vcc
	global_store_dwordx2 v[1:2], v[11:12], off
.LBB1247_12:
	s_endpgm
	.section	.rodata,"a",@progbits
	.p2align	6, 0x0
	.amdhsa_kernel _ZL37rocblas_syrkx_herkx_restricted_kernelIl19rocblas_complex_numIfELi16ELi32ELi8ELi1ELi0ELb1ELc67ELc76EKS1_S1_EviT_PT9_S3_lS5_S3_lPT10_S3_li
		.amdhsa_group_segment_fixed_size 4096
		.amdhsa_private_segment_fixed_size 0
		.amdhsa_kernarg_size 92
		.amdhsa_user_sgpr_count 6
		.amdhsa_user_sgpr_private_segment_buffer 1
		.amdhsa_user_sgpr_dispatch_ptr 0
		.amdhsa_user_sgpr_queue_ptr 0
		.amdhsa_user_sgpr_kernarg_segment_ptr 1
		.amdhsa_user_sgpr_dispatch_id 0
		.amdhsa_user_sgpr_flat_scratch_init 0
		.amdhsa_user_sgpr_private_segment_size 0
		.amdhsa_uses_dynamic_stack 0
		.amdhsa_system_sgpr_private_segment_wavefront_offset 0
		.amdhsa_system_sgpr_workgroup_id_x 1
		.amdhsa_system_sgpr_workgroup_id_y 1
		.amdhsa_system_sgpr_workgroup_id_z 1
		.amdhsa_system_sgpr_workgroup_info 0
		.amdhsa_system_vgpr_workitem_id 1
		.amdhsa_next_free_vgpr 41
		.amdhsa_next_free_sgpr 28
		.amdhsa_reserve_vcc 1
		.amdhsa_reserve_flat_scratch 0
		.amdhsa_float_round_mode_32 0
		.amdhsa_float_round_mode_16_64 0
		.amdhsa_float_denorm_mode_32 3
		.amdhsa_float_denorm_mode_16_64 3
		.amdhsa_dx10_clamp 1
		.amdhsa_ieee_mode 1
		.amdhsa_fp16_overflow 0
		.amdhsa_exception_fp_ieee_invalid_op 0
		.amdhsa_exception_fp_denorm_src 0
		.amdhsa_exception_fp_ieee_div_zero 0
		.amdhsa_exception_fp_ieee_overflow 0
		.amdhsa_exception_fp_ieee_underflow 0
		.amdhsa_exception_fp_ieee_inexact 0
		.amdhsa_exception_int_div_zero 0
	.end_amdhsa_kernel
	.section	.text._ZL37rocblas_syrkx_herkx_restricted_kernelIl19rocblas_complex_numIfELi16ELi32ELi8ELi1ELi0ELb1ELc67ELc76EKS1_S1_EviT_PT9_S3_lS5_S3_lPT10_S3_li,"axG",@progbits,_ZL37rocblas_syrkx_herkx_restricted_kernelIl19rocblas_complex_numIfELi16ELi32ELi8ELi1ELi0ELb1ELc67ELc76EKS1_S1_EviT_PT9_S3_lS5_S3_lPT10_S3_li,comdat
.Lfunc_end1247:
	.size	_ZL37rocblas_syrkx_herkx_restricted_kernelIl19rocblas_complex_numIfELi16ELi32ELi8ELi1ELi0ELb1ELc67ELc76EKS1_S1_EviT_PT9_S3_lS5_S3_lPT10_S3_li, .Lfunc_end1247-_ZL37rocblas_syrkx_herkx_restricted_kernelIl19rocblas_complex_numIfELi16ELi32ELi8ELi1ELi0ELb1ELc67ELc76EKS1_S1_EviT_PT9_S3_lS5_S3_lPT10_S3_li
                                        ; -- End function
	.set _ZL37rocblas_syrkx_herkx_restricted_kernelIl19rocblas_complex_numIfELi16ELi32ELi8ELi1ELi0ELb1ELc67ELc76EKS1_S1_EviT_PT9_S3_lS5_S3_lPT10_S3_li.num_vgpr, 41
	.set _ZL37rocblas_syrkx_herkx_restricted_kernelIl19rocblas_complex_numIfELi16ELi32ELi8ELi1ELi0ELb1ELc67ELc76EKS1_S1_EviT_PT9_S3_lS5_S3_lPT10_S3_li.num_agpr, 0
	.set _ZL37rocblas_syrkx_herkx_restricted_kernelIl19rocblas_complex_numIfELi16ELi32ELi8ELi1ELi0ELb1ELc67ELc76EKS1_S1_EviT_PT9_S3_lS5_S3_lPT10_S3_li.numbered_sgpr, 28
	.set _ZL37rocblas_syrkx_herkx_restricted_kernelIl19rocblas_complex_numIfELi16ELi32ELi8ELi1ELi0ELb1ELc67ELc76EKS1_S1_EviT_PT9_S3_lS5_S3_lPT10_S3_li.num_named_barrier, 0
	.set _ZL37rocblas_syrkx_herkx_restricted_kernelIl19rocblas_complex_numIfELi16ELi32ELi8ELi1ELi0ELb1ELc67ELc76EKS1_S1_EviT_PT9_S3_lS5_S3_lPT10_S3_li.private_seg_size, 0
	.set _ZL37rocblas_syrkx_herkx_restricted_kernelIl19rocblas_complex_numIfELi16ELi32ELi8ELi1ELi0ELb1ELc67ELc76EKS1_S1_EviT_PT9_S3_lS5_S3_lPT10_S3_li.uses_vcc, 1
	.set _ZL37rocblas_syrkx_herkx_restricted_kernelIl19rocblas_complex_numIfELi16ELi32ELi8ELi1ELi0ELb1ELc67ELc76EKS1_S1_EviT_PT9_S3_lS5_S3_lPT10_S3_li.uses_flat_scratch, 0
	.set _ZL37rocblas_syrkx_herkx_restricted_kernelIl19rocblas_complex_numIfELi16ELi32ELi8ELi1ELi0ELb1ELc67ELc76EKS1_S1_EviT_PT9_S3_lS5_S3_lPT10_S3_li.has_dyn_sized_stack, 0
	.set _ZL37rocblas_syrkx_herkx_restricted_kernelIl19rocblas_complex_numIfELi16ELi32ELi8ELi1ELi0ELb1ELc67ELc76EKS1_S1_EviT_PT9_S3_lS5_S3_lPT10_S3_li.has_recursion, 0
	.set _ZL37rocblas_syrkx_herkx_restricted_kernelIl19rocblas_complex_numIfELi16ELi32ELi8ELi1ELi0ELb1ELc67ELc76EKS1_S1_EviT_PT9_S3_lS5_S3_lPT10_S3_li.has_indirect_call, 0
	.section	.AMDGPU.csdata,"",@progbits
; Kernel info:
; codeLenInByte = 2016
; TotalNumSgprs: 32
; NumVgprs: 41
; ScratchSize: 0
; MemoryBound: 0
; FloatMode: 240
; IeeeMode: 1
; LDSByteSize: 4096 bytes/workgroup (compile time only)
; SGPRBlocks: 3
; VGPRBlocks: 10
; NumSGPRsForWavesPerEU: 32
; NumVGPRsForWavesPerEU: 41
; Occupancy: 5
; WaveLimiterHint : 1
; COMPUTE_PGM_RSRC2:SCRATCH_EN: 0
; COMPUTE_PGM_RSRC2:USER_SGPR: 6
; COMPUTE_PGM_RSRC2:TRAP_HANDLER: 0
; COMPUTE_PGM_RSRC2:TGID_X_EN: 1
; COMPUTE_PGM_RSRC2:TGID_Y_EN: 1
; COMPUTE_PGM_RSRC2:TGID_Z_EN: 1
; COMPUTE_PGM_RSRC2:TIDIG_COMP_CNT: 1
	.section	.text._ZL37rocblas_syrkx_herkx_restricted_kernelIl19rocblas_complex_numIfELi16ELi32ELi8ELi1ELi0ELb1ELc78ELc76EKS1_S1_EviT_PT9_S3_lS5_S3_lPT10_S3_li,"axG",@progbits,_ZL37rocblas_syrkx_herkx_restricted_kernelIl19rocblas_complex_numIfELi16ELi32ELi8ELi1ELi0ELb1ELc78ELc76EKS1_S1_EviT_PT9_S3_lS5_S3_lPT10_S3_li,comdat
	.globl	_ZL37rocblas_syrkx_herkx_restricted_kernelIl19rocblas_complex_numIfELi16ELi32ELi8ELi1ELi0ELb1ELc78ELc76EKS1_S1_EviT_PT9_S3_lS5_S3_lPT10_S3_li ; -- Begin function _ZL37rocblas_syrkx_herkx_restricted_kernelIl19rocblas_complex_numIfELi16ELi32ELi8ELi1ELi0ELb1ELc78ELc76EKS1_S1_EviT_PT9_S3_lS5_S3_lPT10_S3_li
	.p2align	8
	.type	_ZL37rocblas_syrkx_herkx_restricted_kernelIl19rocblas_complex_numIfELi16ELi32ELi8ELi1ELi0ELb1ELc78ELc76EKS1_S1_EviT_PT9_S3_lS5_S3_lPT10_S3_li,@function
_ZL37rocblas_syrkx_herkx_restricted_kernelIl19rocblas_complex_numIfELi16ELi32ELi8ELi1ELi0ELb1ELc78ELc76EKS1_S1_EviT_PT9_S3_lS5_S3_lPT10_S3_li: ; @_ZL37rocblas_syrkx_herkx_restricted_kernelIl19rocblas_complex_numIfELi16ELi32ELi8ELi1ELi0ELb1ELc78ELc76EKS1_S1_EviT_PT9_S3_lS5_S3_lPT10_S3_li
; %bb.0:
	s_load_dwordx16 s[12:27], s[4:5], 0x8
	s_lshl_b32 s9, s6, 5
	s_lshl_b32 s10, s7, 5
	s_waitcnt lgkmcnt(0)
	v_cmp_lt_i64_e64 s[0:1], s[12:13], 1
	s_and_b64 vcc, exec, s[0:1]
	s_cbranch_vccnz .LBB1248_3
; %bb.1:
	v_lshl_add_u32 v6, v1, 4, v0
	v_lshrrev_b32_e32 v7, 3, v6
	v_add_u32_e32 v2, s10, v7
	v_and_b32_e32 v5, 7, v0
	v_ashrrev_i32_e32 v3, 31, v2
	v_mad_u64_u32 v[2:3], s[0:1], s22, v5, v[2:3]
	v_lshrrev_b32_e32 v8, 5, v6
	s_mul_i32 s2, s19, s8
	v_mad_u64_u32 v[3:4], s[0:1], s23, v5, v[3:4]
	v_and_b32_e32 v4, 31, v6
	v_lshlrev_b32_e32 v5, 3, v5
	v_lshlrev_b32_e32 v6, 3, v4
	v_lshl_or_b32 v5, v7, 6, v5
	v_add_u32_e32 v4, s9, v4
	v_add_u32_e32 v15, 0x800, v5
	v_ashrrev_i32_e32 v5, 31, v4
	v_mad_u64_u32 v[4:5], s[0:1], s16, v8, v[4:5]
	v_lshl_or_b32 v14, v8, 8, v6
	v_mov_b32_e32 v6, 0x800
	v_lshl_add_u32 v17, v1, 6, v6
	v_mad_u64_u32 v[5:6], s[0:1], s17, v8, v[5:6]
	s_mul_hi_u32 s3, s18, s8
	s_add_i32 s1, s3, s2
	s_mul_i32 s0, s18, s8
	s_lshl_b64 s[0:1], s[0:1], 3
	v_lshlrev_b64 v[4:5], 3, v[4:5]
	s_add_u32 s0, s14, s0
	s_addc_u32 s1, s15, s1
	s_mul_i32 s2, s25, s8
	s_mul_hi_u32 s3, s24, s8
	v_mov_b32_e32 v6, s1
	v_add_co_u32_e32 v4, vcc, s0, v4
	s_add_i32 s3, s3, s2
	s_mul_i32 s2, s24, s8
	v_addc_co_u32_e32 v5, vcc, v6, v5, vcc
	s_lshl_b64 s[0:1], s[16:17], 6
	s_lshl_b64 s[2:3], s[2:3], 3
	v_add_co_u32_e32 v6, vcc, 4, v4
	v_lshlrev_b64 v[2:3], 3, v[2:3]
	s_add_u32 s2, s20, s2
	v_addc_co_u32_e32 v7, vcc, 0, v5, vcc
	s_addc_u32 s3, s21, s3
	v_mov_b32_e32 v4, s3
	v_add_co_u32_e32 v2, vcc, s2, v2
	v_addc_co_u32_e32 v3, vcc, v4, v3, vcc
	v_add_co_u32_e32 v8, vcc, 4, v2
	s_lshl_b64 s[2:3], s[22:23], 6
	v_lshlrev_b32_e32 v16, 3, v0
	v_addc_co_u32_e32 v9, vcc, 0, v3, vcc
	v_mov_b32_e32 v20, 0
	s_mov_b64 s[6:7], 0
	v_mov_b32_e32 v18, s1
	v_mov_b32_e32 v19, s3
	;; [unrolled: 1-line block ×9, first 2 shown]
.LBB1248_2:                             ; =>This Inner Loop Header: Depth=1
	global_load_dwordx2 v[2:3], v[6:7], off offset:-4
	v_add_co_u32_e32 v6, vcc, s0, v6
	s_add_u32 s6, s6, 8
	v_addc_co_u32_e32 v7, vcc, v7, v18, vcc
	s_addc_u32 s7, s7, 0
	s_waitcnt vmcnt(0)
	ds_write_b64 v14, v[2:3]
	global_load_dwordx2 v[2:3], v[8:9], off offset:-4
	v_add_co_u32_e32 v8, vcc, s2, v8
	v_addc_co_u32_e32 v9, vcc, v9, v19, vcc
	s_waitcnt vmcnt(0)
	v_xor_b32_e32 v3, 0x80000000, v3
	ds_write_b64 v15, v[2:3]
	s_waitcnt lgkmcnt(0)
	s_barrier
	ds_read_b128 v[24:27], v17
	ds_read_b128 v[28:31], v17 offset:16
	ds_read_b128 v[32:35], v17 offset:32
	;; [unrolled: 1-line block ×3, first 2 shown]
	ds_read2_b64 v[36:39], v16 offset1:16
	s_waitcnt lgkmcnt(0)
	v_mul_f32_e32 v41, v24, v37
	v_mul_f32_e32 v40, v25, v37
	v_fmac_f32_e32 v41, v25, v36
	v_fma_f32 v40, v24, v36, -v40
	v_add_f32_e32 v41, v23, v41
	v_mul_f32_e32 v23, v24, v39
	v_add_f32_e32 v40, v13, v40
	v_mul_f32_e32 v13, v25, v39
	v_fmac_f32_e32 v23, v25, v38
	v_fma_f32 v13, v24, v38, -v13
	v_add_f32_e32 v43, v22, v23
	ds_read_b128 v[22:25], v17 offset:1024
	v_add_f32_e32 v42, v12, v13
	s_waitcnt lgkmcnt(0)
	v_mul_f32_e32 v12, v23, v37
	v_fma_f32 v12, v22, v36, -v12
	v_mul_f32_e32 v13, v22, v37
	v_fmac_f32_e32 v13, v23, v36
	v_add_f32_e32 v36, v11, v12
	v_mul_f32_e32 v11, v23, v39
	v_mul_f32_e32 v12, v22, v39
	v_fma_f32 v11, v22, v38, -v11
	v_fmac_f32_e32 v12, v23, v38
	v_add_f32_e32 v21, v21, v13
	v_add_f32_e32 v22, v10, v11
	;; [unrolled: 1-line block ×3, first 2 shown]
	ds_read2_b64 v[10:13], v16 offset0:32 offset1:48
	s_waitcnt lgkmcnt(0)
	v_mul_f32_e32 v23, v27, v11
	v_mul_f32_e32 v38, v27, v13
	v_fma_f32 v23, v26, v10, -v23
	v_mul_f32_e32 v37, v26, v11
	v_fma_f32 v38, v26, v12, -v38
	v_mul_f32_e32 v26, v26, v13
	v_fmac_f32_e32 v37, v27, v10
	v_fmac_f32_e32 v26, v27, v12
	v_add_f32_e32 v27, v42, v38
	v_mul_f32_e32 v38, v25, v11
	v_mul_f32_e32 v11, v24, v11
	v_fma_f32 v38, v24, v10, -v38
	v_fmac_f32_e32 v11, v25, v10
	v_add_f32_e32 v36, v36, v38
	v_add_f32_e32 v38, v21, v11
	v_mul_f32_e32 v10, v25, v13
	v_mul_f32_e32 v11, v24, v13
	v_fma_f32 v10, v24, v12, -v10
	v_fmac_f32_e32 v11, v25, v12
	v_add_f32_e32 v24, v22, v10
	v_add_f32_e32 v25, v20, v11
	ds_read2_b64 v[10:13], v16 offset0:64 offset1:80
	v_add_f32_e32 v23, v40, v23
	v_add_f32_e32 v37, v41, v37
	;; [unrolled: 1-line block ×3, first 2 shown]
	s_waitcnt lgkmcnt(0)
	v_mul_f32_e32 v20, v29, v11
	v_mul_f32_e32 v21, v28, v11
	v_fma_f32 v20, v28, v10, -v20
	v_fmac_f32_e32 v21, v29, v10
	v_add_f32_e32 v39, v23, v20
	v_add_f32_e32 v37, v37, v21
	v_mul_f32_e32 v20, v29, v13
	v_mul_f32_e32 v21, v28, v13
	v_fma_f32 v20, v28, v12, -v20
	v_fmac_f32_e32 v21, v29, v12
	v_add_f32_e32 v27, v27, v20
	v_add_f32_e32 v26, v26, v21
	ds_read_b128 v[20:23], v17 offset:1040
	s_waitcnt lgkmcnt(0)
	v_mul_f32_e32 v28, v21, v11
	v_mul_f32_e32 v11, v20, v11
	v_fmac_f32_e32 v11, v21, v10
	v_fma_f32 v28, v20, v10, -v28
	v_add_f32_e32 v29, v38, v11
	v_mul_f32_e32 v10, v21, v13
	v_mul_f32_e32 v11, v20, v13
	v_fma_f32 v10, v20, v12, -v10
	v_fmac_f32_e32 v11, v21, v12
	v_add_f32_e32 v20, v24, v10
	v_add_f32_e32 v21, v25, v11
	ds_read2_b64 v[10:13], v16 offset0:96 offset1:112
	v_add_f32_e32 v28, v36, v28
	s_waitcnt lgkmcnt(0)
	v_mul_f32_e32 v24, v31, v11
	v_mul_f32_e32 v36, v31, v13
	v_fma_f32 v24, v30, v10, -v24
	v_mul_f32_e32 v25, v30, v11
	v_fma_f32 v36, v30, v12, -v36
	v_mul_f32_e32 v30, v30, v13
	v_fmac_f32_e32 v30, v31, v12
	v_add_f32_e32 v26, v26, v30
	v_mul_f32_e32 v30, v23, v11
	v_mul_f32_e32 v11, v22, v11
	v_fmac_f32_e32 v11, v23, v10
	v_fmac_f32_e32 v25, v31, v10
	v_fma_f32 v30, v22, v10, -v30
	v_add_f32_e32 v29, v29, v11
	v_mul_f32_e32 v10, v23, v13
	v_mul_f32_e32 v11, v22, v13
	v_fma_f32 v10, v22, v12, -v10
	v_fmac_f32_e32 v11, v23, v12
	v_add_f32_e32 v28, v28, v30
	v_add_f32_e32 v30, v20, v10
	;; [unrolled: 1-line block ×3, first 2 shown]
	ds_read2_b64 v[10:13], v16 offset0:128 offset1:144
	v_add_f32_e32 v24, v39, v24
	v_add_f32_e32 v25, v37, v25
	;; [unrolled: 1-line block ×3, first 2 shown]
	s_waitcnt lgkmcnt(0)
	v_mul_f32_e32 v20, v33, v11
	v_mul_f32_e32 v21, v32, v11
	v_fma_f32 v20, v32, v10, -v20
	v_fmac_f32_e32 v21, v33, v10
	v_add_f32_e32 v24, v24, v20
	v_add_f32_e32 v25, v25, v21
	v_mul_f32_e32 v20, v33, v13
	v_mul_f32_e32 v21, v32, v13
	v_fma_f32 v20, v32, v12, -v20
	v_fmac_f32_e32 v21, v33, v12
	v_add_f32_e32 v27, v27, v20
	v_add_f32_e32 v26, v26, v21
	ds_read_b128 v[20:23], v17 offset:1056
	s_waitcnt lgkmcnt(0)
	v_mul_f32_e32 v32, v21, v11
	v_mul_f32_e32 v11, v20, v11
	v_fmac_f32_e32 v11, v21, v10
	v_fma_f32 v32, v20, v10, -v32
	v_add_f32_e32 v29, v29, v11
	v_mul_f32_e32 v10, v21, v13
	v_mul_f32_e32 v11, v20, v13
	v_fma_f32 v10, v20, v12, -v10
	v_fmac_f32_e32 v11, v21, v12
	v_add_f32_e32 v20, v30, v10
	v_add_f32_e32 v21, v31, v11
	ds_read2_b64 v[10:13], v16 offset0:160 offset1:176
	v_add_f32_e32 v28, v28, v32
	s_waitcnt lgkmcnt(0)
	v_mul_f32_e32 v30, v35, v11
	v_fma_f32 v30, v34, v10, -v30
	v_add_f32_e32 v24, v24, v30
	v_mul_f32_e32 v30, v35, v13
	v_fma_f32 v30, v34, v12, -v30
	v_mul_f32_e32 v31, v34, v11
	v_add_f32_e32 v27, v27, v30
	v_mul_f32_e32 v30, v23, v11
	v_mul_f32_e32 v11, v22, v11
	v_fmac_f32_e32 v11, v23, v10
	v_fmac_f32_e32 v31, v35, v10
	v_fma_f32 v30, v22, v10, -v30
	v_add_f32_e32 v29, v29, v11
	v_mul_f32_e32 v10, v23, v13
	v_mul_f32_e32 v11, v22, v13
	v_add_f32_e32 v25, v25, v31
	v_mul_f32_e32 v31, v34, v13
	v_fma_f32 v10, v22, v12, -v10
	v_fmac_f32_e32 v11, v23, v12
	v_fmac_f32_e32 v31, v35, v12
	v_add_f32_e32 v20, v20, v10
	v_add_f32_e32 v21, v21, v11
	ds_read2_b64 v[10:13], v16 offset0:192 offset1:208
	v_add_f32_e32 v28, v28, v30
	v_add_f32_e32 v26, v26, v31
	s_waitcnt lgkmcnt(0)
	v_mul_f32_e32 v22, v3, v11
	v_fma_f32 v22, v2, v10, -v22
	v_mul_f32_e32 v23, v2, v11
	v_add_f32_e32 v30, v24, v22
	v_mul_f32_e32 v22, v3, v13
	v_fmac_f32_e32 v23, v3, v10
	v_fma_f32 v22, v2, v12, -v22
	v_mul_f32_e32 v2, v2, v13
	v_add_f32_e32 v31, v25, v23
	v_fmac_f32_e32 v2, v3, v12
	v_add_f32_e32 v3, v27, v22
	ds_read_b128 v[22:25], v17 offset:1072
	v_add_f32_e32 v2, v26, v2
	s_waitcnt lgkmcnt(0)
	v_mul_f32_e32 v26, v23, v11
	v_mul_f32_e32 v11, v22, v11
	v_fma_f32 v26, v22, v10, -v26
	v_fmac_f32_e32 v11, v23, v10
	v_add_f32_e32 v10, v28, v26
	v_add_f32_e32 v32, v29, v11
	ds_read2_b64 v[26:29], v16 offset0:224 offset1:240
	v_mul_f32_e32 v11, v23, v13
	v_fma_f32 v11, v22, v12, -v11
	v_mul_f32_e32 v13, v22, v13
	v_add_f32_e32 v20, v20, v11
	s_waitcnt lgkmcnt(0)
	v_mul_f32_e32 v11, v5, v27
	v_fmac_f32_e32 v13, v23, v12
	v_fma_f32 v11, v4, v26, -v11
	v_add_f32_e32 v33, v21, v13
	v_add_f32_e32 v13, v30, v11
	v_mul_f32_e32 v11, v5, v29
	v_mul_f32_e32 v12, v4, v27
	v_fma_f32 v11, v4, v28, -v11
	v_mul_f32_e32 v4, v4, v29
	v_fmac_f32_e32 v12, v5, v26
	v_fmac_f32_e32 v4, v5, v28
	v_add_f32_e32 v23, v31, v12
	v_add_f32_e32 v12, v3, v11
	;; [unrolled: 1-line block ×3, first 2 shown]
	v_mul_f32_e32 v2, v25, v27
	v_mul_f32_e32 v3, v24, v27
	v_fma_f32 v2, v24, v26, -v2
	v_fmac_f32_e32 v3, v25, v26
	v_add_f32_e32 v11, v10, v2
	v_add_f32_e32 v21, v32, v3
	v_mul_f32_e32 v2, v25, v29
	v_mul_f32_e32 v3, v24, v29
	v_fma_f32 v2, v24, v28, -v2
	v_fmac_f32_e32 v3, v25, v28
	v_add_f32_e32 v10, v20, v2
	v_add_f32_e32 v20, v33, v3
	v_mov_b32_e32 v2, s6
	v_mov_b32_e32 v3, s7
	v_cmp_le_u64_e32 vcc, s[12:13], v[2:3]
	s_barrier
	s_cbranch_vccz .LBB1248_2
	s_branch .LBB1248_4
.LBB1248_3:
	v_mov_b32_e32 v23, 0
	v_mov_b32_e32 v13, 0
	;; [unrolled: 1-line block ×8, first 2 shown]
.LBB1248_4:
	s_load_dwordx4 s[12:15], s[4:5], 0x48
	s_load_dword s11, s[4:5], 0x0
	v_add_u32_e32 v4, s10, v1
	v_ashrrev_i32_e32 v1, 31, v4
	v_add_u32_e32 v0, s9, v0
	s_waitcnt lgkmcnt(0)
	s_mul_i32 s1, s15, s8
	s_mul_hi_u32 s2, s14, s8
	s_add_i32 s1, s2, s1
	v_mul_lo_u32 v3, s12, v1
	v_mul_lo_u32 v5, s13, v4
	v_mad_u64_u32 v[1:2], s[2:3], s12, v4, 0
	s_mul_i32 s0, s14, s8
	s_lshl_b64 s[0:1], s[0:1], 3
	v_add3_u32 v2, v2, v3, v5
	s_add_u32 s6, s26, s0
	v_lshlrev_b64 v[1:2], 3, v[1:2]
	s_addc_u32 s7, s27, s1
	v_mov_b32_e32 v3, s7
	v_add_co_u32_e32 v5, vcc, s6, v1
	v_addc_co_u32_e32 v6, vcc, v3, v2, vcc
	v_cmp_le_i32_e64 s[0:1], v4, v0
	v_cmp_gt_i32_e32 vcc, s11, v0
	s_and_b64 s[0:1], s[0:1], vcc
	s_and_saveexec_b64 s[2:3], s[0:1]
	s_cbranch_execz .LBB1248_6
; %bb.5:
	v_ashrrev_i32_e32 v1, 31, v0
	v_lshlrev_b64 v[1:2], 3, v[0:1]
	v_add_co_u32_e64 v1, s[0:1], v5, v1
	v_addc_co_u32_e64 v2, s[0:1], v6, v2, s[0:1]
	v_cmp_ne_u32_e64 s[0:1], v4, v0
	v_cndmask_b32_e64 v14, 0, v23, s[0:1]
	global_store_dwordx2 v[1:2], v[13:14], off
.LBB1248_6:
	s_or_b64 exec, exec, s[2:3]
	v_add_u32_e32 v2, 16, v0
	v_cmp_le_i32_e64 s[2:3], v4, v2
	v_cmp_gt_i32_e64 s[0:1], s11, v2
	s_and_b64 s[2:3], s[2:3], s[0:1]
	s_and_saveexec_b64 s[4:5], s[2:3]
	s_cbranch_execz .LBB1248_8
; %bb.7:
	v_ashrrev_i32_e32 v3, 31, v2
	v_lshlrev_b64 v[7:8], 3, v[2:3]
	v_add_co_u32_e64 v5, s[2:3], v5, v7
	v_addc_co_u32_e64 v6, s[2:3], v6, v8, s[2:3]
	v_cmp_ne_u32_e64 s[2:3], v4, v2
	v_cndmask_b32_e64 v13, 0, v22, s[2:3]
	global_store_dwordx2 v[5:6], v[12:13], off
.LBB1248_8:
	s_or_b64 exec, exec, s[4:5]
	v_add_u32_e32 v3, 16, v4
	v_ashrrev_i32_e32 v1, 31, v3
	v_mul_lo_u32 v7, s13, v3
	v_mad_u64_u32 v[5:6], s[2:3], s12, v3, 0
	v_mul_lo_u32 v1, s12, v1
	v_add3_u32 v6, v6, v1, v7
	v_lshlrev_b64 v[5:6], 3, v[5:6]
	v_mov_b32_e32 v1, s7
	v_add_co_u32_e64 v5, s[2:3], s6, v5
	v_addc_co_u32_e64 v6, s[2:3], v1, v6, s[2:3]
	v_cmp_le_i32_e64 s[2:3], v3, v0
	s_and_b64 s[4:5], s[2:3], vcc
	s_and_saveexec_b64 s[2:3], s[4:5]
	s_cbranch_execz .LBB1248_10
; %bb.9:
	v_ashrrev_i32_e32 v1, 31, v0
	v_lshlrev_b64 v[7:8], 3, v[0:1]
	v_add_co_u32_e32 v7, vcc, v5, v7
	v_addc_co_u32_e32 v8, vcc, v6, v8, vcc
	v_cmp_ne_u32_e32 vcc, v3, v0
	v_cndmask_b32_e32 v12, 0, v21, vcc
	global_store_dwordx2 v[7:8], v[11:12], off
.LBB1248_10:
	s_or_b64 exec, exec, s[2:3]
	v_cmp_le_i32_e32 vcc, v3, v2
	s_and_b64 s[0:1], vcc, s[0:1]
	s_and_saveexec_b64 s[2:3], s[0:1]
	s_cbranch_execz .LBB1248_12
; %bb.11:
	v_ashrrev_i32_e32 v3, 31, v2
	v_lshlrev_b64 v[1:2], 3, v[2:3]
	v_add_co_u32_e32 v1, vcc, v5, v1
	v_addc_co_u32_e32 v2, vcc, v6, v2, vcc
	v_cmp_ne_u32_e32 vcc, v4, v0
	v_cndmask_b32_e32 v11, 0, v20, vcc
	global_store_dwordx2 v[1:2], v[10:11], off
.LBB1248_12:
	s_endpgm
	.section	.rodata,"a",@progbits
	.p2align	6, 0x0
	.amdhsa_kernel _ZL37rocblas_syrkx_herkx_restricted_kernelIl19rocblas_complex_numIfELi16ELi32ELi8ELi1ELi0ELb1ELc78ELc76EKS1_S1_EviT_PT9_S3_lS5_S3_lPT10_S3_li
		.amdhsa_group_segment_fixed_size 4096
		.amdhsa_private_segment_fixed_size 0
		.amdhsa_kernarg_size 92
		.amdhsa_user_sgpr_count 6
		.amdhsa_user_sgpr_private_segment_buffer 1
		.amdhsa_user_sgpr_dispatch_ptr 0
		.amdhsa_user_sgpr_queue_ptr 0
		.amdhsa_user_sgpr_kernarg_segment_ptr 1
		.amdhsa_user_sgpr_dispatch_id 0
		.amdhsa_user_sgpr_flat_scratch_init 0
		.amdhsa_user_sgpr_private_segment_size 0
		.amdhsa_uses_dynamic_stack 0
		.amdhsa_system_sgpr_private_segment_wavefront_offset 0
		.amdhsa_system_sgpr_workgroup_id_x 1
		.amdhsa_system_sgpr_workgroup_id_y 1
		.amdhsa_system_sgpr_workgroup_id_z 1
		.amdhsa_system_sgpr_workgroup_info 0
		.amdhsa_system_vgpr_workitem_id 1
		.amdhsa_next_free_vgpr 44
		.amdhsa_next_free_sgpr 28
		.amdhsa_reserve_vcc 1
		.amdhsa_reserve_flat_scratch 0
		.amdhsa_float_round_mode_32 0
		.amdhsa_float_round_mode_16_64 0
		.amdhsa_float_denorm_mode_32 3
		.amdhsa_float_denorm_mode_16_64 3
		.amdhsa_dx10_clamp 1
		.amdhsa_ieee_mode 1
		.amdhsa_fp16_overflow 0
		.amdhsa_exception_fp_ieee_invalid_op 0
		.amdhsa_exception_fp_denorm_src 0
		.amdhsa_exception_fp_ieee_div_zero 0
		.amdhsa_exception_fp_ieee_overflow 0
		.amdhsa_exception_fp_ieee_underflow 0
		.amdhsa_exception_fp_ieee_inexact 0
		.amdhsa_exception_int_div_zero 0
	.end_amdhsa_kernel
	.section	.text._ZL37rocblas_syrkx_herkx_restricted_kernelIl19rocblas_complex_numIfELi16ELi32ELi8ELi1ELi0ELb1ELc78ELc76EKS1_S1_EviT_PT9_S3_lS5_S3_lPT10_S3_li,"axG",@progbits,_ZL37rocblas_syrkx_herkx_restricted_kernelIl19rocblas_complex_numIfELi16ELi32ELi8ELi1ELi0ELb1ELc78ELc76EKS1_S1_EviT_PT9_S3_lS5_S3_lPT10_S3_li,comdat
.Lfunc_end1248:
	.size	_ZL37rocblas_syrkx_herkx_restricted_kernelIl19rocblas_complex_numIfELi16ELi32ELi8ELi1ELi0ELb1ELc78ELc76EKS1_S1_EviT_PT9_S3_lS5_S3_lPT10_S3_li, .Lfunc_end1248-_ZL37rocblas_syrkx_herkx_restricted_kernelIl19rocblas_complex_numIfELi16ELi32ELi8ELi1ELi0ELb1ELc78ELc76EKS1_S1_EviT_PT9_S3_lS5_S3_lPT10_S3_li
                                        ; -- End function
	.set _ZL37rocblas_syrkx_herkx_restricted_kernelIl19rocblas_complex_numIfELi16ELi32ELi8ELi1ELi0ELb1ELc78ELc76EKS1_S1_EviT_PT9_S3_lS5_S3_lPT10_S3_li.num_vgpr, 44
	.set _ZL37rocblas_syrkx_herkx_restricted_kernelIl19rocblas_complex_numIfELi16ELi32ELi8ELi1ELi0ELb1ELc78ELc76EKS1_S1_EviT_PT9_S3_lS5_S3_lPT10_S3_li.num_agpr, 0
	.set _ZL37rocblas_syrkx_herkx_restricted_kernelIl19rocblas_complex_numIfELi16ELi32ELi8ELi1ELi0ELb1ELc78ELc76EKS1_S1_EviT_PT9_S3_lS5_S3_lPT10_S3_li.numbered_sgpr, 28
	.set _ZL37rocblas_syrkx_herkx_restricted_kernelIl19rocblas_complex_numIfELi16ELi32ELi8ELi1ELi0ELb1ELc78ELc76EKS1_S1_EviT_PT9_S3_lS5_S3_lPT10_S3_li.num_named_barrier, 0
	.set _ZL37rocblas_syrkx_herkx_restricted_kernelIl19rocblas_complex_numIfELi16ELi32ELi8ELi1ELi0ELb1ELc78ELc76EKS1_S1_EviT_PT9_S3_lS5_S3_lPT10_S3_li.private_seg_size, 0
	.set _ZL37rocblas_syrkx_herkx_restricted_kernelIl19rocblas_complex_numIfELi16ELi32ELi8ELi1ELi0ELb1ELc78ELc76EKS1_S1_EviT_PT9_S3_lS5_S3_lPT10_S3_li.uses_vcc, 1
	.set _ZL37rocblas_syrkx_herkx_restricted_kernelIl19rocblas_complex_numIfELi16ELi32ELi8ELi1ELi0ELb1ELc78ELc76EKS1_S1_EviT_PT9_S3_lS5_S3_lPT10_S3_li.uses_flat_scratch, 0
	.set _ZL37rocblas_syrkx_herkx_restricted_kernelIl19rocblas_complex_numIfELi16ELi32ELi8ELi1ELi0ELb1ELc78ELc76EKS1_S1_EviT_PT9_S3_lS5_S3_lPT10_S3_li.has_dyn_sized_stack, 0
	.set _ZL37rocblas_syrkx_herkx_restricted_kernelIl19rocblas_complex_numIfELi16ELi32ELi8ELi1ELi0ELb1ELc78ELc76EKS1_S1_EviT_PT9_S3_lS5_S3_lPT10_S3_li.has_recursion, 0
	.set _ZL37rocblas_syrkx_herkx_restricted_kernelIl19rocblas_complex_numIfELi16ELi32ELi8ELi1ELi0ELb1ELc78ELc76EKS1_S1_EviT_PT9_S3_lS5_S3_lPT10_S3_li.has_indirect_call, 0
	.section	.AMDGPU.csdata,"",@progbits
; Kernel info:
; codeLenInByte = 1996
; TotalNumSgprs: 32
; NumVgprs: 44
; ScratchSize: 0
; MemoryBound: 0
; FloatMode: 240
; IeeeMode: 1
; LDSByteSize: 4096 bytes/workgroup (compile time only)
; SGPRBlocks: 3
; VGPRBlocks: 10
; NumSGPRsForWavesPerEU: 32
; NumVGPRsForWavesPerEU: 44
; Occupancy: 5
; WaveLimiterHint : 1
; COMPUTE_PGM_RSRC2:SCRATCH_EN: 0
; COMPUTE_PGM_RSRC2:USER_SGPR: 6
; COMPUTE_PGM_RSRC2:TRAP_HANDLER: 0
; COMPUTE_PGM_RSRC2:TGID_X_EN: 1
; COMPUTE_PGM_RSRC2:TGID_Y_EN: 1
; COMPUTE_PGM_RSRC2:TGID_Z_EN: 1
; COMPUTE_PGM_RSRC2:TIDIG_COMP_CNT: 1
	.section	.text._ZL37rocblas_syrkx_herkx_restricted_kernelIl19rocblas_complex_numIfELi16ELi32ELi8ELi1ELi0ELb1ELc84ELc85EKS1_S1_EviT_PT9_S3_lS5_S3_lPT10_S3_li,"axG",@progbits,_ZL37rocblas_syrkx_herkx_restricted_kernelIl19rocblas_complex_numIfELi16ELi32ELi8ELi1ELi0ELb1ELc84ELc85EKS1_S1_EviT_PT9_S3_lS5_S3_lPT10_S3_li,comdat
	.globl	_ZL37rocblas_syrkx_herkx_restricted_kernelIl19rocblas_complex_numIfELi16ELi32ELi8ELi1ELi0ELb1ELc84ELc85EKS1_S1_EviT_PT9_S3_lS5_S3_lPT10_S3_li ; -- Begin function _ZL37rocblas_syrkx_herkx_restricted_kernelIl19rocblas_complex_numIfELi16ELi32ELi8ELi1ELi0ELb1ELc84ELc85EKS1_S1_EviT_PT9_S3_lS5_S3_lPT10_S3_li
	.p2align	8
	.type	_ZL37rocblas_syrkx_herkx_restricted_kernelIl19rocblas_complex_numIfELi16ELi32ELi8ELi1ELi0ELb1ELc84ELc85EKS1_S1_EviT_PT9_S3_lS5_S3_lPT10_S3_li,@function
_ZL37rocblas_syrkx_herkx_restricted_kernelIl19rocblas_complex_numIfELi16ELi32ELi8ELi1ELi0ELb1ELc84ELc85EKS1_S1_EviT_PT9_S3_lS5_S3_lPT10_S3_li: ; @_ZL37rocblas_syrkx_herkx_restricted_kernelIl19rocblas_complex_numIfELi16ELi32ELi8ELi1ELi0ELb1ELc84ELc85EKS1_S1_EviT_PT9_S3_lS5_S3_lPT10_S3_li
; %bb.0:
	s_load_dwordx16 s[12:27], s[4:5], 0x8
	s_lshl_b32 s2, s6, 5
	s_lshl_b32 s3, s7, 5
	s_waitcnt lgkmcnt(0)
	v_cmp_lt_i64_e64 s[0:1], s[12:13], 1
	s_and_b64 vcc, exec, s[0:1]
	s_cbranch_vccnz .LBB1249_3
; %bb.1:
	v_lshl_add_u32 v4, v1, 4, v0
	v_lshrrev_b32_e32 v6, 3, v4
	v_add_u32_e32 v2, s3, v6
	v_ashrrev_i32_e32 v3, 31, v2
	v_and_b32_e32 v9, 7, v0
	v_mov_b32_e32 v10, 0
	v_mul_lo_u32 v5, s22, v3
	v_mul_lo_u32 v7, s23, v2
	v_mad_u64_u32 v[2:3], s[0:1], s22, v2, v[9:10]
	s_mul_i32 s6, s19, s8
	s_mul_hi_u32 s7, s18, s8
	v_add3_u32 v3, v7, v3, v5
	v_and_b32_e32 v7, 31, v4
	v_lshrrev_b32_e32 v4, 5, v4
	v_lshlrev_b32_e32 v8, 3, v7
	v_lshl_or_b32 v15, v4, 8, v8
	v_lshlrev_b32_e32 v8, 3, v9
	v_lshl_or_b32 v6, v6, 6, v8
	v_add_u32_e32 v16, 0x800, v6
	v_mov_b32_e32 v6, 0x800
	v_lshl_add_u32 v18, v1, 6, v6
	v_add_u32_e32 v6, s2, v7
	v_mov_b32_e32 v5, v10
	v_ashrrev_i32_e32 v7, 31, v6
	v_mul_lo_u32 v7, s16, v7
	v_mad_u64_u32 v[4:5], s[0:1], s16, v6, v[4:5]
	v_mul_lo_u32 v6, s17, v6
	s_add_i32 s1, s7, s6
	s_mul_i32 s0, s18, s8
	s_lshl_b64 s[0:1], s[0:1], 3
	v_add3_u32 v5, v6, v5, v7
	v_lshlrev_b64 v[4:5], 3, v[4:5]
	s_add_u32 s0, s14, s0
	s_addc_u32 s1, s15, s1
	v_mov_b32_e32 v6, s1
	v_add_co_u32_e32 v4, vcc, s0, v4
	s_mul_i32 s0, s25, s8
	s_mul_hi_u32 s1, s24, s8
	s_add_i32 s1, s1, s0
	s_mul_i32 s0, s24, s8
	v_addc_co_u32_e32 v5, vcc, v6, v5, vcc
	s_lshl_b64 s[0:1], s[0:1], 3
	v_add_co_u32_e32 v6, vcc, 4, v4
	v_lshlrev_b64 v[2:3], 3, v[2:3]
	s_add_u32 s0, s20, s0
	v_addc_co_u32_e32 v7, vcc, 0, v5, vcc
	s_addc_u32 s1, s21, s1
	v_mov_b32_e32 v4, s1
	v_add_co_u32_e32 v2, vcc, s0, v2
	v_addc_co_u32_e32 v3, vcc, v4, v3, vcc
	v_add_co_u32_e32 v8, vcc, 4, v2
	v_lshlrev_b32_e32 v17, 3, v0
	v_addc_co_u32_e32 v9, vcc, 0, v3, vcc
	s_mov_b64 s[0:1], 0
	v_mov_b32_e32 v11, v10
	v_mov_b32_e32 v19, v10
	;; [unrolled: 1-line block ×7, first 2 shown]
.LBB1249_2:                             ; =>This Inner Loop Header: Depth=1
	global_load_dwordx2 v[2:3], v[6:7], off offset:-4
	s_add_u32 s0, s0, 8
	v_add_co_u32_e32 v6, vcc, 64, v6
	s_addc_u32 s1, s1, 0
	v_addc_co_u32_e32 v7, vcc, 0, v7, vcc
	s_waitcnt vmcnt(0)
	ds_write_b64 v15, v[2:3]
	global_load_dwordx2 v[2:3], v[8:9], off offset:-4
	v_add_co_u32_e32 v8, vcc, 64, v8
	v_addc_co_u32_e32 v9, vcc, 0, v9, vcc
	s_waitcnt vmcnt(0)
	ds_write_b64 v16, v[2:3]
	s_waitcnt lgkmcnt(0)
	s_barrier
	ds_read_b128 v[22:25], v18
	ds_read_b128 v[26:29], v18 offset:16
	ds_read_b128 v[30:33], v18 offset:32
	;; [unrolled: 1-line block ×3, first 2 shown]
	ds_read2_b64 v[34:37], v17 offset1:16
	s_waitcnt lgkmcnt(0)
	v_mul_f32_e32 v38, v23, v35
	v_mul_f32_e32 v39, v22, v35
	v_fma_f32 v38, v22, v34, -v38
	v_fmac_f32_e32 v39, v23, v34
	v_add_f32_e32 v14, v14, v38
	v_add_f32_e32 v38, v21, v39
	v_mul_f32_e32 v21, v23, v37
	v_fma_f32 v21, v22, v36, -v21
	v_mul_f32_e32 v22, v22, v37
	v_fmac_f32_e32 v22, v23, v36
	v_add_f32_e32 v39, v13, v21
	v_add_f32_e32 v40, v20, v22
	ds_read_b128 v[20:23], v18 offset:1024
	s_waitcnt lgkmcnt(0)
	v_mul_f32_e32 v13, v21, v35
	v_fma_f32 v13, v20, v34, -v13
	v_mul_f32_e32 v35, v20, v35
	v_fmac_f32_e32 v35, v21, v34
	v_add_f32_e32 v34, v12, v13
	v_mul_f32_e32 v12, v21, v37
	v_mul_f32_e32 v13, v20, v37
	v_fma_f32 v12, v20, v36, -v12
	v_fmac_f32_e32 v13, v21, v36
	v_add_f32_e32 v20, v11, v12
	v_add_f32_e32 v21, v10, v13
	ds_read2_b64 v[10:13], v17 offset0:32 offset1:48
	v_add_f32_e32 v19, v19, v35
	s_waitcnt lgkmcnt(0)
	v_mul_f32_e32 v35, v25, v11
	v_mul_f32_e32 v36, v24, v11
	v_fma_f32 v35, v24, v10, -v35
	v_fmac_f32_e32 v36, v25, v10
	v_add_f32_e32 v14, v14, v35
	v_add_f32_e32 v35, v38, v36
	v_mul_f32_e32 v36, v25, v13
	v_fma_f32 v36, v24, v12, -v36
	v_mul_f32_e32 v24, v24, v13
	v_fmac_f32_e32 v24, v25, v12
	v_add_f32_e32 v25, v39, v36
	v_mul_f32_e32 v36, v23, v11
	v_mul_f32_e32 v11, v22, v11
	v_fma_f32 v36, v22, v10, -v36
	v_fmac_f32_e32 v11, v23, v10
	v_add_f32_e32 v34, v34, v36
	v_add_f32_e32 v36, v19, v11
	v_mul_f32_e32 v10, v23, v13
	v_mul_f32_e32 v11, v22, v13
	v_fma_f32 v10, v22, v12, -v10
	v_fmac_f32_e32 v11, v23, v12
	v_add_f32_e32 v23, v20, v10
	v_add_f32_e32 v37, v21, v11
	ds_read2_b64 v[10:13], v17 offset0:64 offset1:80
	v_add_f32_e32 v24, v40, v24
	s_waitcnt lgkmcnt(0)
	v_mul_f32_e32 v19, v27, v11
	v_mul_f32_e32 v20, v26, v11
	v_fma_f32 v19, v26, v10, -v19
	v_fmac_f32_e32 v20, v27, v10
	v_add_f32_e32 v14, v14, v19
	v_add_f32_e32 v35, v35, v20
	v_mul_f32_e32 v19, v27, v13
	v_mul_f32_e32 v20, v26, v13
	v_fma_f32 v19, v26, v12, -v19
	v_fmac_f32_e32 v20, v27, v12
	v_add_f32_e32 v25, v25, v19
	v_add_f32_e32 v24, v24, v20
	ds_read_b128 v[19:22], v18 offset:1040
	s_waitcnt lgkmcnt(0)
	v_mul_f32_e32 v26, v20, v11
	v_mul_f32_e32 v11, v19, v11
	v_fmac_f32_e32 v11, v20, v10
	v_fma_f32 v26, v19, v10, -v26
	v_add_f32_e32 v27, v36, v11
	v_mul_f32_e32 v10, v20, v13
	v_mul_f32_e32 v11, v19, v13
	v_fma_f32 v10, v19, v12, -v10
	v_fmac_f32_e32 v11, v20, v12
	v_add_f32_e32 v19, v23, v10
	v_add_f32_e32 v20, v37, v11
	ds_read2_b64 v[10:13], v17 offset0:96 offset1:112
	v_add_f32_e32 v26, v34, v26
	s_waitcnt lgkmcnt(0)
	v_mul_f32_e32 v23, v29, v11
	v_mul_f32_e32 v34, v28, v11
	v_fma_f32 v23, v28, v10, -v23
	v_fmac_f32_e32 v34, v29, v10
	v_add_f32_e32 v14, v14, v23
	v_add_f32_e32 v23, v35, v34
	v_mul_f32_e32 v34, v29, v13
	v_fma_f32 v34, v28, v12, -v34
	v_mul_f32_e32 v28, v28, v13
	v_fmac_f32_e32 v28, v29, v12
	v_add_f32_e32 v24, v24, v28
	v_mul_f32_e32 v28, v22, v11
	v_mul_f32_e32 v11, v21, v11
	v_fmac_f32_e32 v11, v22, v10
	v_fma_f32 v28, v21, v10, -v28
	v_add_f32_e32 v27, v27, v11
	v_mul_f32_e32 v10, v22, v13
	v_mul_f32_e32 v11, v21, v13
	v_fma_f32 v10, v21, v12, -v10
	v_fmac_f32_e32 v11, v22, v12
	v_add_f32_e32 v26, v26, v28
	v_add_f32_e32 v28, v19, v10
	;; [unrolled: 1-line block ×3, first 2 shown]
	ds_read2_b64 v[10:13], v17 offset0:128 offset1:144
	v_add_f32_e32 v25, v25, v34
	s_waitcnt lgkmcnt(0)
	v_mul_f32_e32 v19, v31, v11
	v_mul_f32_e32 v20, v30, v11
	v_fma_f32 v19, v30, v10, -v19
	v_fmac_f32_e32 v20, v31, v10
	v_add_f32_e32 v14, v14, v19
	v_add_f32_e32 v23, v23, v20
	v_mul_f32_e32 v19, v31, v13
	v_mul_f32_e32 v20, v30, v13
	v_fma_f32 v19, v30, v12, -v19
	v_fmac_f32_e32 v20, v31, v12
	v_add_f32_e32 v25, v25, v19
	v_add_f32_e32 v24, v24, v20
	ds_read_b128 v[19:22], v18 offset:1056
	s_waitcnt lgkmcnt(0)
	v_mul_f32_e32 v30, v20, v11
	v_mul_f32_e32 v11, v19, v11
	v_fmac_f32_e32 v11, v20, v10
	v_fma_f32 v30, v19, v10, -v30
	v_add_f32_e32 v27, v27, v11
	v_mul_f32_e32 v10, v20, v13
	v_mul_f32_e32 v11, v19, v13
	v_fma_f32 v10, v19, v12, -v10
	v_fmac_f32_e32 v11, v20, v12
	v_add_f32_e32 v19, v28, v10
	v_add_f32_e32 v20, v29, v11
	ds_read2_b64 v[10:13], v17 offset0:160 offset1:176
	v_add_f32_e32 v26, v26, v30
	s_waitcnt lgkmcnt(0)
	v_mul_f32_e32 v28, v33, v11
	v_fma_f32 v28, v32, v10, -v28
	v_add_f32_e32 v14, v14, v28
	v_mul_f32_e32 v28, v33, v13
	v_fma_f32 v28, v32, v12, -v28
	v_mul_f32_e32 v29, v32, v11
	v_add_f32_e32 v25, v25, v28
	v_mul_f32_e32 v28, v22, v11
	v_mul_f32_e32 v11, v21, v11
	v_fmac_f32_e32 v11, v22, v10
	v_fmac_f32_e32 v29, v33, v10
	v_fma_f32 v28, v21, v10, -v28
	v_add_f32_e32 v27, v27, v11
	v_mul_f32_e32 v10, v22, v13
	v_mul_f32_e32 v11, v21, v13
	v_add_f32_e32 v23, v23, v29
	v_mul_f32_e32 v29, v32, v13
	v_fma_f32 v10, v21, v12, -v10
	v_fmac_f32_e32 v11, v22, v12
	v_fmac_f32_e32 v29, v33, v12
	v_add_f32_e32 v26, v26, v28
	v_add_f32_e32 v19, v19, v10
	;; [unrolled: 1-line block ×3, first 2 shown]
	ds_read2_b64 v[10:13], v17 offset0:192 offset1:208
	v_add_f32_e32 v24, v24, v29
	s_waitcnt lgkmcnt(0)
	v_mul_f32_e32 v20, v3, v11
	v_fma_f32 v20, v2, v10, -v20
	v_mul_f32_e32 v21, v2, v11
	v_add_f32_e32 v14, v14, v20
	v_mul_f32_e32 v20, v3, v13
	v_fmac_f32_e32 v21, v3, v10
	v_fma_f32 v20, v2, v12, -v20
	v_mul_f32_e32 v2, v2, v13
	v_add_f32_e32 v29, v23, v21
	v_fmac_f32_e32 v2, v3, v12
	v_add_f32_e32 v3, v25, v20
	ds_read_b128 v[20:23], v18 offset:1072
	v_add_f32_e32 v2, v24, v2
	s_waitcnt lgkmcnt(0)
	v_mul_f32_e32 v24, v21, v11
	v_fma_f32 v24, v20, v10, -v24
	v_mul_f32_e32 v11, v20, v11
	v_fmac_f32_e32 v11, v21, v10
	v_add_f32_e32 v10, v26, v24
	v_mul_f32_e32 v24, v21, v13
	v_fma_f32 v24, v20, v12, -v24
	v_add_f32_e32 v11, v27, v11
	v_add_f32_e32 v30, v19, v24
	ds_read2_b64 v[24:27], v17 offset0:224 offset1:240
	v_mul_f32_e32 v13, v20, v13
	v_fmac_f32_e32 v13, v21, v12
	v_add_f32_e32 v28, v28, v13
	s_waitcnt lgkmcnt(0)
	v_mul_f32_e32 v12, v5, v25
	v_fma_f32 v12, v4, v24, -v12
	v_add_f32_e32 v14, v14, v12
	v_mul_f32_e32 v12, v5, v27
	v_mul_f32_e32 v13, v4, v25
	v_fma_f32 v12, v4, v26, -v12
	v_mul_f32_e32 v4, v4, v27
	v_fmac_f32_e32 v13, v5, v24
	v_fmac_f32_e32 v4, v5, v26
	v_add_f32_e32 v21, v29, v13
	v_add_f32_e32 v13, v3, v12
	;; [unrolled: 1-line block ×3, first 2 shown]
	v_mul_f32_e32 v2, v23, v25
	v_mul_f32_e32 v3, v22, v25
	v_fma_f32 v2, v22, v24, -v2
	v_fmac_f32_e32 v3, v23, v24
	v_add_f32_e32 v12, v10, v2
	v_add_f32_e32 v19, v11, v3
	v_mul_f32_e32 v2, v23, v27
	v_mul_f32_e32 v3, v22, v27
	v_fma_f32 v2, v22, v26, -v2
	v_fmac_f32_e32 v3, v23, v26
	v_add_f32_e32 v11, v30, v2
	v_add_f32_e32 v10, v28, v3
	v_mov_b32_e32 v3, s1
	v_mov_b32_e32 v2, s0
	v_cmp_le_u64_e32 vcc, s[12:13], v[2:3]
	s_barrier
	s_cbranch_vccz .LBB1249_2
	s_branch .LBB1249_4
.LBB1249_3:
	v_mov_b32_e32 v21, 0
	v_mov_b32_e32 v14, 0
	;; [unrolled: 1-line block ×8, first 2 shown]
.LBB1249_4:
	s_load_dwordx4 s[12:15], s[4:5], 0x48
	s_load_dword s6, s[4:5], 0x0
	v_add_u32_e32 v4, s3, v1
	v_ashrrev_i32_e32 v1, 31, v4
	v_add_u32_e32 v0, s2, v0
	s_waitcnt lgkmcnt(0)
	s_mul_i32 s1, s15, s8
	s_mul_hi_u32 s3, s14, s8
	s_mul_i32 s0, s14, s8
	v_mul_lo_u32 v3, s12, v1
	v_mul_lo_u32 v5, s13, v4
	v_mad_u64_u32 v[1:2], s[8:9], s12, v4, 0
	s_add_i32 s1, s3, s1
	s_lshl_b64 s[0:1], s[0:1], 3
	v_add3_u32 v2, v2, v3, v5
	s_add_u32 s4, s26, s0
	v_lshlrev_b64 v[1:2], 3, v[1:2]
	s_addc_u32 s5, s27, s1
	v_mov_b32_e32 v3, s5
	v_add_co_u32_e64 v5, s[0:1], s4, v1
	v_addc_co_u32_e64 v6, s[0:1], v3, v2, s[0:1]
	v_cmp_gt_i32_e32 vcc, s6, v4
	v_cmp_le_i32_e64 s[0:1], v0, v4
	s_and_b64 s[0:1], vcc, s[0:1]
	s_and_saveexec_b64 s[2:3], s[0:1]
	s_cbranch_execz .LBB1249_6
; %bb.5:
	v_ashrrev_i32_e32 v1, 31, v0
	v_lshlrev_b64 v[1:2], 3, v[0:1]
	v_add_co_u32_e64 v1, s[0:1], v5, v1
	v_addc_co_u32_e64 v2, s[0:1], v6, v2, s[0:1]
	v_cmp_ne_u32_e64 s[0:1], v4, v0
	v_cndmask_b32_e64 v15, 0, v21, s[0:1]
	global_store_dwordx2 v[1:2], v[14:15], off
.LBB1249_6:
	s_or_b64 exec, exec, s[2:3]
	v_add_u32_e32 v2, 16, v0
	v_cmp_le_i32_e64 s[0:1], v2, v4
	s_and_b64 s[2:3], vcc, s[0:1]
	s_and_saveexec_b64 s[0:1], s[2:3]
	s_cbranch_execz .LBB1249_8
; %bb.7:
	v_ashrrev_i32_e32 v3, 31, v2
	v_lshlrev_b64 v[7:8], 3, v[2:3]
	v_add_co_u32_e32 v5, vcc, v5, v7
	v_addc_co_u32_e32 v6, vcc, v6, v8, vcc
	v_cmp_ne_u32_e32 vcc, v4, v2
	v_cndmask_b32_e32 v14, 0, v20, vcc
	global_store_dwordx2 v[5:6], v[13:14], off
.LBB1249_8:
	s_or_b64 exec, exec, s[0:1]
	v_add_u32_e32 v3, 16, v4
	v_ashrrev_i32_e32 v1, 31, v3
	v_mul_lo_u32 v1, s12, v1
	v_mul_lo_u32 v7, s13, v3
	v_mad_u64_u32 v[5:6], s[0:1], s12, v3, 0
	v_cmp_gt_i32_e32 vcc, s6, v3
	v_add3_u32 v6, v6, v1, v7
	v_lshlrev_b64 v[5:6], 3, v[5:6]
	v_mov_b32_e32 v1, s5
	v_add_co_u32_e64 v5, s[0:1], s4, v5
	v_addc_co_u32_e64 v6, s[0:1], v1, v6, s[0:1]
	v_cmp_le_i32_e64 s[0:1], v0, v3
	s_and_b64 s[0:1], vcc, s[0:1]
	s_and_saveexec_b64 s[2:3], s[0:1]
	s_cbranch_execz .LBB1249_10
; %bb.9:
	v_ashrrev_i32_e32 v1, 31, v0
	v_lshlrev_b64 v[7:8], 3, v[0:1]
	v_add_co_u32_e64 v7, s[0:1], v5, v7
	v_addc_co_u32_e64 v8, s[0:1], v6, v8, s[0:1]
	v_cmp_ne_u32_e64 s[0:1], v3, v0
	v_cndmask_b32_e64 v13, 0, v19, s[0:1]
	global_store_dwordx2 v[7:8], v[12:13], off
.LBB1249_10:
	s_or_b64 exec, exec, s[2:3]
	v_cmp_le_i32_e64 s[0:1], v2, v3
	s_and_b64 s[0:1], vcc, s[0:1]
	s_and_saveexec_b64 s[2:3], s[0:1]
	s_cbranch_execz .LBB1249_12
; %bb.11:
	v_ashrrev_i32_e32 v3, 31, v2
	v_lshlrev_b64 v[1:2], 3, v[2:3]
	v_add_co_u32_e32 v1, vcc, v5, v1
	v_addc_co_u32_e32 v2, vcc, v6, v2, vcc
	v_cmp_ne_u32_e32 vcc, v4, v0
	v_cndmask_b32_e32 v12, 0, v10, vcc
	global_store_dwordx2 v[1:2], v[11:12], off
.LBB1249_12:
	s_endpgm
	.section	.rodata,"a",@progbits
	.p2align	6, 0x0
	.amdhsa_kernel _ZL37rocblas_syrkx_herkx_restricted_kernelIl19rocblas_complex_numIfELi16ELi32ELi8ELi1ELi0ELb1ELc84ELc85EKS1_S1_EviT_PT9_S3_lS5_S3_lPT10_S3_li
		.amdhsa_group_segment_fixed_size 4096
		.amdhsa_private_segment_fixed_size 0
		.amdhsa_kernarg_size 92
		.amdhsa_user_sgpr_count 6
		.amdhsa_user_sgpr_private_segment_buffer 1
		.amdhsa_user_sgpr_dispatch_ptr 0
		.amdhsa_user_sgpr_queue_ptr 0
		.amdhsa_user_sgpr_kernarg_segment_ptr 1
		.amdhsa_user_sgpr_dispatch_id 0
		.amdhsa_user_sgpr_flat_scratch_init 0
		.amdhsa_user_sgpr_private_segment_size 0
		.amdhsa_uses_dynamic_stack 0
		.amdhsa_system_sgpr_private_segment_wavefront_offset 0
		.amdhsa_system_sgpr_workgroup_id_x 1
		.amdhsa_system_sgpr_workgroup_id_y 1
		.amdhsa_system_sgpr_workgroup_id_z 1
		.amdhsa_system_sgpr_workgroup_info 0
		.amdhsa_system_vgpr_workitem_id 1
		.amdhsa_next_free_vgpr 41
		.amdhsa_next_free_sgpr 28
		.amdhsa_reserve_vcc 1
		.amdhsa_reserve_flat_scratch 0
		.amdhsa_float_round_mode_32 0
		.amdhsa_float_round_mode_16_64 0
		.amdhsa_float_denorm_mode_32 3
		.amdhsa_float_denorm_mode_16_64 3
		.amdhsa_dx10_clamp 1
		.amdhsa_ieee_mode 1
		.amdhsa_fp16_overflow 0
		.amdhsa_exception_fp_ieee_invalid_op 0
		.amdhsa_exception_fp_denorm_src 0
		.amdhsa_exception_fp_ieee_div_zero 0
		.amdhsa_exception_fp_ieee_overflow 0
		.amdhsa_exception_fp_ieee_underflow 0
		.amdhsa_exception_fp_ieee_inexact 0
		.amdhsa_exception_int_div_zero 0
	.end_amdhsa_kernel
	.section	.text._ZL37rocblas_syrkx_herkx_restricted_kernelIl19rocblas_complex_numIfELi16ELi32ELi8ELi1ELi0ELb1ELc84ELc85EKS1_S1_EviT_PT9_S3_lS5_S3_lPT10_S3_li,"axG",@progbits,_ZL37rocblas_syrkx_herkx_restricted_kernelIl19rocblas_complex_numIfELi16ELi32ELi8ELi1ELi0ELb1ELc84ELc85EKS1_S1_EviT_PT9_S3_lS5_S3_lPT10_S3_li,comdat
.Lfunc_end1249:
	.size	_ZL37rocblas_syrkx_herkx_restricted_kernelIl19rocblas_complex_numIfELi16ELi32ELi8ELi1ELi0ELb1ELc84ELc85EKS1_S1_EviT_PT9_S3_lS5_S3_lPT10_S3_li, .Lfunc_end1249-_ZL37rocblas_syrkx_herkx_restricted_kernelIl19rocblas_complex_numIfELi16ELi32ELi8ELi1ELi0ELb1ELc84ELc85EKS1_S1_EviT_PT9_S3_lS5_S3_lPT10_S3_li
                                        ; -- End function
	.set _ZL37rocblas_syrkx_herkx_restricted_kernelIl19rocblas_complex_numIfELi16ELi32ELi8ELi1ELi0ELb1ELc84ELc85EKS1_S1_EviT_PT9_S3_lS5_S3_lPT10_S3_li.num_vgpr, 41
	.set _ZL37rocblas_syrkx_herkx_restricted_kernelIl19rocblas_complex_numIfELi16ELi32ELi8ELi1ELi0ELb1ELc84ELc85EKS1_S1_EviT_PT9_S3_lS5_S3_lPT10_S3_li.num_agpr, 0
	.set _ZL37rocblas_syrkx_herkx_restricted_kernelIl19rocblas_complex_numIfELi16ELi32ELi8ELi1ELi0ELb1ELc84ELc85EKS1_S1_EviT_PT9_S3_lS5_S3_lPT10_S3_li.numbered_sgpr, 28
	.set _ZL37rocblas_syrkx_herkx_restricted_kernelIl19rocblas_complex_numIfELi16ELi32ELi8ELi1ELi0ELb1ELc84ELc85EKS1_S1_EviT_PT9_S3_lS5_S3_lPT10_S3_li.num_named_barrier, 0
	.set _ZL37rocblas_syrkx_herkx_restricted_kernelIl19rocblas_complex_numIfELi16ELi32ELi8ELi1ELi0ELb1ELc84ELc85EKS1_S1_EviT_PT9_S3_lS5_S3_lPT10_S3_li.private_seg_size, 0
	.set _ZL37rocblas_syrkx_herkx_restricted_kernelIl19rocblas_complex_numIfELi16ELi32ELi8ELi1ELi0ELb1ELc84ELc85EKS1_S1_EviT_PT9_S3_lS5_S3_lPT10_S3_li.uses_vcc, 1
	.set _ZL37rocblas_syrkx_herkx_restricted_kernelIl19rocblas_complex_numIfELi16ELi32ELi8ELi1ELi0ELb1ELc84ELc85EKS1_S1_EviT_PT9_S3_lS5_S3_lPT10_S3_li.uses_flat_scratch, 0
	.set _ZL37rocblas_syrkx_herkx_restricted_kernelIl19rocblas_complex_numIfELi16ELi32ELi8ELi1ELi0ELb1ELc84ELc85EKS1_S1_EviT_PT9_S3_lS5_S3_lPT10_S3_li.has_dyn_sized_stack, 0
	.set _ZL37rocblas_syrkx_herkx_restricted_kernelIl19rocblas_complex_numIfELi16ELi32ELi8ELi1ELi0ELb1ELc84ELc85EKS1_S1_EviT_PT9_S3_lS5_S3_lPT10_S3_li.has_recursion, 0
	.set _ZL37rocblas_syrkx_herkx_restricted_kernelIl19rocblas_complex_numIfELi16ELi32ELi8ELi1ELi0ELb1ELc84ELc85EKS1_S1_EviT_PT9_S3_lS5_S3_lPT10_S3_li.has_indirect_call, 0
	.section	.AMDGPU.csdata,"",@progbits
; Kernel info:
; codeLenInByte = 2016
; TotalNumSgprs: 32
; NumVgprs: 41
; ScratchSize: 0
; MemoryBound: 0
; FloatMode: 240
; IeeeMode: 1
; LDSByteSize: 4096 bytes/workgroup (compile time only)
; SGPRBlocks: 3
; VGPRBlocks: 10
; NumSGPRsForWavesPerEU: 32
; NumVGPRsForWavesPerEU: 41
; Occupancy: 5
; WaveLimiterHint : 1
; COMPUTE_PGM_RSRC2:SCRATCH_EN: 0
; COMPUTE_PGM_RSRC2:USER_SGPR: 6
; COMPUTE_PGM_RSRC2:TRAP_HANDLER: 0
; COMPUTE_PGM_RSRC2:TGID_X_EN: 1
; COMPUTE_PGM_RSRC2:TGID_Y_EN: 1
; COMPUTE_PGM_RSRC2:TGID_Z_EN: 1
; COMPUTE_PGM_RSRC2:TIDIG_COMP_CNT: 1
	.section	.text._ZL37rocblas_syrkx_herkx_restricted_kernelIl19rocblas_complex_numIfELi16ELi32ELi8ELi1ELi0ELb1ELc67ELc85EKS1_S1_EviT_PT9_S3_lS5_S3_lPT10_S3_li,"axG",@progbits,_ZL37rocblas_syrkx_herkx_restricted_kernelIl19rocblas_complex_numIfELi16ELi32ELi8ELi1ELi0ELb1ELc67ELc85EKS1_S1_EviT_PT9_S3_lS5_S3_lPT10_S3_li,comdat
	.globl	_ZL37rocblas_syrkx_herkx_restricted_kernelIl19rocblas_complex_numIfELi16ELi32ELi8ELi1ELi0ELb1ELc67ELc85EKS1_S1_EviT_PT9_S3_lS5_S3_lPT10_S3_li ; -- Begin function _ZL37rocblas_syrkx_herkx_restricted_kernelIl19rocblas_complex_numIfELi16ELi32ELi8ELi1ELi0ELb1ELc67ELc85EKS1_S1_EviT_PT9_S3_lS5_S3_lPT10_S3_li
	.p2align	8
	.type	_ZL37rocblas_syrkx_herkx_restricted_kernelIl19rocblas_complex_numIfELi16ELi32ELi8ELi1ELi0ELb1ELc67ELc85EKS1_S1_EviT_PT9_S3_lS5_S3_lPT10_S3_li,@function
_ZL37rocblas_syrkx_herkx_restricted_kernelIl19rocblas_complex_numIfELi16ELi32ELi8ELi1ELi0ELb1ELc67ELc85EKS1_S1_EviT_PT9_S3_lS5_S3_lPT10_S3_li: ; @_ZL37rocblas_syrkx_herkx_restricted_kernelIl19rocblas_complex_numIfELi16ELi32ELi8ELi1ELi0ELb1ELc67ELc85EKS1_S1_EviT_PT9_S3_lS5_S3_lPT10_S3_li
; %bb.0:
	s_load_dwordx16 s[12:27], s[4:5], 0x8
	s_lshl_b32 s2, s6, 5
	s_lshl_b32 s3, s7, 5
	s_waitcnt lgkmcnt(0)
	v_cmp_lt_i64_e64 s[0:1], s[12:13], 1
	s_and_b64 vcc, exec, s[0:1]
	s_cbranch_vccnz .LBB1250_3
; %bb.1:
	v_lshl_add_u32 v4, v1, 4, v0
	v_lshrrev_b32_e32 v6, 3, v4
	v_add_u32_e32 v2, s3, v6
	v_ashrrev_i32_e32 v3, 31, v2
	v_and_b32_e32 v9, 7, v0
	v_mov_b32_e32 v10, 0
	v_mul_lo_u32 v5, s22, v3
	v_mul_lo_u32 v7, s23, v2
	v_mad_u64_u32 v[2:3], s[0:1], s22, v2, v[9:10]
	s_mul_i32 s6, s19, s8
	s_mul_hi_u32 s7, s18, s8
	v_add3_u32 v3, v7, v3, v5
	v_and_b32_e32 v7, 31, v4
	v_lshrrev_b32_e32 v4, 5, v4
	v_lshlrev_b32_e32 v8, 3, v7
	v_lshl_or_b32 v15, v4, 8, v8
	v_lshlrev_b32_e32 v8, 3, v9
	v_lshl_or_b32 v6, v6, 6, v8
	v_add_u32_e32 v16, 0x800, v6
	v_mov_b32_e32 v6, 0x800
	v_lshl_add_u32 v18, v1, 6, v6
	v_add_u32_e32 v6, s2, v7
	v_mov_b32_e32 v5, v10
	v_ashrrev_i32_e32 v7, 31, v6
	v_mul_lo_u32 v7, s16, v7
	v_mad_u64_u32 v[4:5], s[0:1], s16, v6, v[4:5]
	v_mul_lo_u32 v6, s17, v6
	s_add_i32 s1, s7, s6
	s_mul_i32 s0, s18, s8
	s_lshl_b64 s[0:1], s[0:1], 3
	v_add3_u32 v5, v6, v5, v7
	v_lshlrev_b64 v[4:5], 3, v[4:5]
	s_add_u32 s0, s14, s0
	s_addc_u32 s1, s15, s1
	v_mov_b32_e32 v6, s1
	v_add_co_u32_e32 v4, vcc, s0, v4
	s_mul_i32 s0, s25, s8
	s_mul_hi_u32 s1, s24, s8
	s_add_i32 s1, s1, s0
	s_mul_i32 s0, s24, s8
	v_addc_co_u32_e32 v5, vcc, v6, v5, vcc
	s_lshl_b64 s[0:1], s[0:1], 3
	v_add_co_u32_e32 v6, vcc, 4, v4
	v_lshlrev_b64 v[2:3], 3, v[2:3]
	s_add_u32 s0, s20, s0
	v_addc_co_u32_e32 v7, vcc, 0, v5, vcc
	s_addc_u32 s1, s21, s1
	v_mov_b32_e32 v4, s1
	v_add_co_u32_e32 v2, vcc, s0, v2
	v_addc_co_u32_e32 v3, vcc, v4, v3, vcc
	v_add_co_u32_e32 v8, vcc, 4, v2
	v_lshlrev_b32_e32 v17, 3, v0
	v_addc_co_u32_e32 v9, vcc, 0, v3, vcc
	s_mov_b64 s[0:1], 0
	v_mov_b32_e32 v11, v10
	v_mov_b32_e32 v19, v10
	;; [unrolled: 1-line block ×7, first 2 shown]
.LBB1250_2:                             ; =>This Inner Loop Header: Depth=1
	global_load_dwordx2 v[2:3], v[6:7], off offset:-4
	v_add_co_u32_e32 v6, vcc, 64, v6
	s_add_u32 s0, s0, 8
	v_addc_co_u32_e32 v7, vcc, 0, v7, vcc
	s_addc_u32 s1, s1, 0
	s_waitcnt vmcnt(0)
	v_xor_b32_e32 v3, 0x80000000, v3
	ds_write_b64 v15, v[2:3]
	global_load_dwordx2 v[2:3], v[8:9], off offset:-4
	v_add_co_u32_e32 v8, vcc, 64, v8
	v_addc_co_u32_e32 v9, vcc, 0, v9, vcc
	s_waitcnt vmcnt(0)
	ds_write_b64 v16, v[2:3]
	s_waitcnt lgkmcnt(0)
	s_barrier
	ds_read_b128 v[22:25], v18
	ds_read_b128 v[26:29], v18 offset:16
	ds_read_b128 v[30:33], v18 offset:32
	;; [unrolled: 1-line block ×3, first 2 shown]
	ds_read2_b64 v[34:37], v17 offset1:16
	s_waitcnt lgkmcnt(0)
	v_mul_f32_e32 v38, v23, v35
	v_mul_f32_e32 v39, v22, v35
	v_fma_f32 v38, v22, v34, -v38
	v_fmac_f32_e32 v39, v23, v34
	v_add_f32_e32 v14, v14, v38
	v_add_f32_e32 v38, v21, v39
	v_mul_f32_e32 v21, v23, v37
	v_fma_f32 v21, v22, v36, -v21
	v_mul_f32_e32 v22, v22, v37
	v_fmac_f32_e32 v22, v23, v36
	v_add_f32_e32 v39, v13, v21
	v_add_f32_e32 v40, v20, v22
	ds_read_b128 v[20:23], v18 offset:1024
	s_waitcnt lgkmcnt(0)
	v_mul_f32_e32 v13, v21, v35
	v_fma_f32 v13, v20, v34, -v13
	v_mul_f32_e32 v35, v20, v35
	v_fmac_f32_e32 v35, v21, v34
	v_add_f32_e32 v34, v12, v13
	v_mul_f32_e32 v12, v21, v37
	v_mul_f32_e32 v13, v20, v37
	v_fma_f32 v12, v20, v36, -v12
	v_fmac_f32_e32 v13, v21, v36
	v_add_f32_e32 v20, v11, v12
	v_add_f32_e32 v21, v10, v13
	ds_read2_b64 v[10:13], v17 offset0:32 offset1:48
	v_add_f32_e32 v19, v19, v35
	s_waitcnt lgkmcnt(0)
	v_mul_f32_e32 v35, v25, v11
	v_mul_f32_e32 v36, v24, v11
	v_fma_f32 v35, v24, v10, -v35
	v_fmac_f32_e32 v36, v25, v10
	v_add_f32_e32 v14, v14, v35
	v_add_f32_e32 v35, v38, v36
	v_mul_f32_e32 v36, v25, v13
	v_fma_f32 v36, v24, v12, -v36
	v_mul_f32_e32 v24, v24, v13
	v_fmac_f32_e32 v24, v25, v12
	v_add_f32_e32 v25, v39, v36
	v_mul_f32_e32 v36, v23, v11
	v_mul_f32_e32 v11, v22, v11
	v_fma_f32 v36, v22, v10, -v36
	v_fmac_f32_e32 v11, v23, v10
	v_add_f32_e32 v34, v34, v36
	v_add_f32_e32 v36, v19, v11
	v_mul_f32_e32 v10, v23, v13
	v_mul_f32_e32 v11, v22, v13
	v_fma_f32 v10, v22, v12, -v10
	v_fmac_f32_e32 v11, v23, v12
	v_add_f32_e32 v23, v20, v10
	v_add_f32_e32 v37, v21, v11
	ds_read2_b64 v[10:13], v17 offset0:64 offset1:80
	v_add_f32_e32 v24, v40, v24
	s_waitcnt lgkmcnt(0)
	v_mul_f32_e32 v19, v27, v11
	v_mul_f32_e32 v20, v26, v11
	v_fma_f32 v19, v26, v10, -v19
	v_fmac_f32_e32 v20, v27, v10
	v_add_f32_e32 v14, v14, v19
	v_add_f32_e32 v35, v35, v20
	v_mul_f32_e32 v19, v27, v13
	v_mul_f32_e32 v20, v26, v13
	v_fma_f32 v19, v26, v12, -v19
	v_fmac_f32_e32 v20, v27, v12
	v_add_f32_e32 v25, v25, v19
	v_add_f32_e32 v24, v24, v20
	ds_read_b128 v[19:22], v18 offset:1040
	s_waitcnt lgkmcnt(0)
	v_mul_f32_e32 v26, v20, v11
	v_mul_f32_e32 v11, v19, v11
	v_fmac_f32_e32 v11, v20, v10
	v_fma_f32 v26, v19, v10, -v26
	v_add_f32_e32 v27, v36, v11
	v_mul_f32_e32 v10, v20, v13
	v_mul_f32_e32 v11, v19, v13
	v_fma_f32 v10, v19, v12, -v10
	v_fmac_f32_e32 v11, v20, v12
	v_add_f32_e32 v19, v23, v10
	v_add_f32_e32 v20, v37, v11
	ds_read2_b64 v[10:13], v17 offset0:96 offset1:112
	v_add_f32_e32 v26, v34, v26
	s_waitcnt lgkmcnt(0)
	v_mul_f32_e32 v23, v29, v11
	v_mul_f32_e32 v34, v28, v11
	v_fma_f32 v23, v28, v10, -v23
	v_fmac_f32_e32 v34, v29, v10
	v_add_f32_e32 v14, v14, v23
	v_add_f32_e32 v23, v35, v34
	v_mul_f32_e32 v34, v29, v13
	v_fma_f32 v34, v28, v12, -v34
	v_mul_f32_e32 v28, v28, v13
	v_fmac_f32_e32 v28, v29, v12
	v_add_f32_e32 v24, v24, v28
	v_mul_f32_e32 v28, v22, v11
	v_mul_f32_e32 v11, v21, v11
	v_fmac_f32_e32 v11, v22, v10
	v_fma_f32 v28, v21, v10, -v28
	v_add_f32_e32 v27, v27, v11
	v_mul_f32_e32 v10, v22, v13
	v_mul_f32_e32 v11, v21, v13
	v_fma_f32 v10, v21, v12, -v10
	v_fmac_f32_e32 v11, v22, v12
	v_add_f32_e32 v26, v26, v28
	v_add_f32_e32 v28, v19, v10
	;; [unrolled: 1-line block ×3, first 2 shown]
	ds_read2_b64 v[10:13], v17 offset0:128 offset1:144
	v_add_f32_e32 v25, v25, v34
	s_waitcnt lgkmcnt(0)
	v_mul_f32_e32 v19, v31, v11
	v_mul_f32_e32 v20, v30, v11
	v_fma_f32 v19, v30, v10, -v19
	v_fmac_f32_e32 v20, v31, v10
	v_add_f32_e32 v14, v14, v19
	v_add_f32_e32 v23, v23, v20
	v_mul_f32_e32 v19, v31, v13
	v_mul_f32_e32 v20, v30, v13
	v_fma_f32 v19, v30, v12, -v19
	v_fmac_f32_e32 v20, v31, v12
	v_add_f32_e32 v25, v25, v19
	v_add_f32_e32 v24, v24, v20
	ds_read_b128 v[19:22], v18 offset:1056
	s_waitcnt lgkmcnt(0)
	v_mul_f32_e32 v30, v20, v11
	v_mul_f32_e32 v11, v19, v11
	v_fmac_f32_e32 v11, v20, v10
	v_fma_f32 v30, v19, v10, -v30
	v_add_f32_e32 v27, v27, v11
	v_mul_f32_e32 v10, v20, v13
	v_mul_f32_e32 v11, v19, v13
	v_fma_f32 v10, v19, v12, -v10
	v_fmac_f32_e32 v11, v20, v12
	v_add_f32_e32 v19, v28, v10
	v_add_f32_e32 v20, v29, v11
	ds_read2_b64 v[10:13], v17 offset0:160 offset1:176
	v_add_f32_e32 v26, v26, v30
	s_waitcnt lgkmcnt(0)
	v_mul_f32_e32 v28, v33, v11
	v_fma_f32 v28, v32, v10, -v28
	v_add_f32_e32 v14, v14, v28
	v_mul_f32_e32 v28, v33, v13
	v_fma_f32 v28, v32, v12, -v28
	v_mul_f32_e32 v29, v32, v11
	v_add_f32_e32 v25, v25, v28
	v_mul_f32_e32 v28, v22, v11
	v_mul_f32_e32 v11, v21, v11
	v_fmac_f32_e32 v11, v22, v10
	v_fmac_f32_e32 v29, v33, v10
	v_fma_f32 v28, v21, v10, -v28
	v_add_f32_e32 v27, v27, v11
	v_mul_f32_e32 v10, v22, v13
	v_mul_f32_e32 v11, v21, v13
	v_add_f32_e32 v23, v23, v29
	v_mul_f32_e32 v29, v32, v13
	v_fma_f32 v10, v21, v12, -v10
	v_fmac_f32_e32 v11, v22, v12
	v_fmac_f32_e32 v29, v33, v12
	v_add_f32_e32 v26, v26, v28
	v_add_f32_e32 v19, v19, v10
	;; [unrolled: 1-line block ×3, first 2 shown]
	ds_read2_b64 v[10:13], v17 offset0:192 offset1:208
	v_add_f32_e32 v24, v24, v29
	s_waitcnt lgkmcnt(0)
	v_mul_f32_e32 v20, v3, v11
	v_fma_f32 v20, v2, v10, -v20
	v_mul_f32_e32 v21, v2, v11
	v_add_f32_e32 v14, v14, v20
	v_mul_f32_e32 v20, v3, v13
	v_fmac_f32_e32 v21, v3, v10
	v_fma_f32 v20, v2, v12, -v20
	v_mul_f32_e32 v2, v2, v13
	v_add_f32_e32 v29, v23, v21
	v_fmac_f32_e32 v2, v3, v12
	v_add_f32_e32 v3, v25, v20
	ds_read_b128 v[20:23], v18 offset:1072
	v_add_f32_e32 v2, v24, v2
	s_waitcnt lgkmcnt(0)
	v_mul_f32_e32 v24, v21, v11
	v_fma_f32 v24, v20, v10, -v24
	v_mul_f32_e32 v11, v20, v11
	v_fmac_f32_e32 v11, v21, v10
	v_add_f32_e32 v10, v26, v24
	v_mul_f32_e32 v24, v21, v13
	v_fma_f32 v24, v20, v12, -v24
	v_add_f32_e32 v11, v27, v11
	v_add_f32_e32 v30, v19, v24
	ds_read2_b64 v[24:27], v17 offset0:224 offset1:240
	v_mul_f32_e32 v13, v20, v13
	v_fmac_f32_e32 v13, v21, v12
	v_add_f32_e32 v28, v28, v13
	s_waitcnt lgkmcnt(0)
	v_mul_f32_e32 v12, v5, v25
	v_fma_f32 v12, v4, v24, -v12
	v_add_f32_e32 v14, v14, v12
	v_mul_f32_e32 v12, v5, v27
	v_mul_f32_e32 v13, v4, v25
	v_fma_f32 v12, v4, v26, -v12
	v_mul_f32_e32 v4, v4, v27
	v_fmac_f32_e32 v13, v5, v24
	v_fmac_f32_e32 v4, v5, v26
	v_add_f32_e32 v21, v29, v13
	v_add_f32_e32 v13, v3, v12
	;; [unrolled: 1-line block ×3, first 2 shown]
	v_mul_f32_e32 v2, v23, v25
	v_mul_f32_e32 v3, v22, v25
	v_fma_f32 v2, v22, v24, -v2
	v_fmac_f32_e32 v3, v23, v24
	v_add_f32_e32 v12, v10, v2
	v_add_f32_e32 v19, v11, v3
	v_mul_f32_e32 v2, v23, v27
	v_mul_f32_e32 v3, v22, v27
	v_fma_f32 v2, v22, v26, -v2
	v_fmac_f32_e32 v3, v23, v26
	v_add_f32_e32 v11, v30, v2
	v_add_f32_e32 v10, v28, v3
	v_mov_b32_e32 v3, s1
	v_mov_b32_e32 v2, s0
	v_cmp_le_u64_e32 vcc, s[12:13], v[2:3]
	s_barrier
	s_cbranch_vccz .LBB1250_2
	s_branch .LBB1250_4
.LBB1250_3:
	v_mov_b32_e32 v21, 0
	v_mov_b32_e32 v14, 0
	;; [unrolled: 1-line block ×8, first 2 shown]
.LBB1250_4:
	s_load_dwordx4 s[12:15], s[4:5], 0x48
	s_load_dword s6, s[4:5], 0x0
	v_add_u32_e32 v4, s3, v1
	v_ashrrev_i32_e32 v1, 31, v4
	v_add_u32_e32 v0, s2, v0
	s_waitcnt lgkmcnt(0)
	s_mul_i32 s1, s15, s8
	s_mul_hi_u32 s3, s14, s8
	s_mul_i32 s0, s14, s8
	v_mul_lo_u32 v3, s12, v1
	v_mul_lo_u32 v5, s13, v4
	v_mad_u64_u32 v[1:2], s[8:9], s12, v4, 0
	s_add_i32 s1, s3, s1
	s_lshl_b64 s[0:1], s[0:1], 3
	v_add3_u32 v2, v2, v3, v5
	s_add_u32 s4, s26, s0
	v_lshlrev_b64 v[1:2], 3, v[1:2]
	s_addc_u32 s5, s27, s1
	v_mov_b32_e32 v3, s5
	v_add_co_u32_e64 v5, s[0:1], s4, v1
	v_addc_co_u32_e64 v6, s[0:1], v3, v2, s[0:1]
	v_cmp_gt_i32_e32 vcc, s6, v4
	v_cmp_le_i32_e64 s[0:1], v0, v4
	s_and_b64 s[0:1], vcc, s[0:1]
	s_and_saveexec_b64 s[2:3], s[0:1]
	s_cbranch_execz .LBB1250_6
; %bb.5:
	v_ashrrev_i32_e32 v1, 31, v0
	v_lshlrev_b64 v[1:2], 3, v[0:1]
	v_add_co_u32_e64 v1, s[0:1], v5, v1
	v_addc_co_u32_e64 v2, s[0:1], v6, v2, s[0:1]
	v_cmp_ne_u32_e64 s[0:1], v4, v0
	v_cndmask_b32_e64 v15, 0, v21, s[0:1]
	global_store_dwordx2 v[1:2], v[14:15], off
.LBB1250_6:
	s_or_b64 exec, exec, s[2:3]
	v_add_u32_e32 v2, 16, v0
	v_cmp_le_i32_e64 s[0:1], v2, v4
	s_and_b64 s[2:3], vcc, s[0:1]
	s_and_saveexec_b64 s[0:1], s[2:3]
	s_cbranch_execz .LBB1250_8
; %bb.7:
	v_ashrrev_i32_e32 v3, 31, v2
	v_lshlrev_b64 v[7:8], 3, v[2:3]
	v_add_co_u32_e32 v5, vcc, v5, v7
	v_addc_co_u32_e32 v6, vcc, v6, v8, vcc
	v_cmp_ne_u32_e32 vcc, v4, v2
	v_cndmask_b32_e32 v14, 0, v20, vcc
	global_store_dwordx2 v[5:6], v[13:14], off
.LBB1250_8:
	s_or_b64 exec, exec, s[0:1]
	v_add_u32_e32 v3, 16, v4
	v_ashrrev_i32_e32 v1, 31, v3
	v_mul_lo_u32 v1, s12, v1
	v_mul_lo_u32 v7, s13, v3
	v_mad_u64_u32 v[5:6], s[0:1], s12, v3, 0
	v_cmp_gt_i32_e32 vcc, s6, v3
	v_add3_u32 v6, v6, v1, v7
	v_lshlrev_b64 v[5:6], 3, v[5:6]
	v_mov_b32_e32 v1, s5
	v_add_co_u32_e64 v5, s[0:1], s4, v5
	v_addc_co_u32_e64 v6, s[0:1], v1, v6, s[0:1]
	v_cmp_le_i32_e64 s[0:1], v0, v3
	s_and_b64 s[0:1], vcc, s[0:1]
	s_and_saveexec_b64 s[2:3], s[0:1]
	s_cbranch_execz .LBB1250_10
; %bb.9:
	v_ashrrev_i32_e32 v1, 31, v0
	v_lshlrev_b64 v[7:8], 3, v[0:1]
	v_add_co_u32_e64 v7, s[0:1], v5, v7
	v_addc_co_u32_e64 v8, s[0:1], v6, v8, s[0:1]
	v_cmp_ne_u32_e64 s[0:1], v3, v0
	v_cndmask_b32_e64 v13, 0, v19, s[0:1]
	global_store_dwordx2 v[7:8], v[12:13], off
.LBB1250_10:
	s_or_b64 exec, exec, s[2:3]
	v_cmp_le_i32_e64 s[0:1], v2, v3
	s_and_b64 s[0:1], vcc, s[0:1]
	s_and_saveexec_b64 s[2:3], s[0:1]
	s_cbranch_execz .LBB1250_12
; %bb.11:
	v_ashrrev_i32_e32 v3, 31, v2
	v_lshlrev_b64 v[1:2], 3, v[2:3]
	v_add_co_u32_e32 v1, vcc, v5, v1
	v_addc_co_u32_e32 v2, vcc, v6, v2, vcc
	v_cmp_ne_u32_e32 vcc, v4, v0
	v_cndmask_b32_e32 v12, 0, v10, vcc
	global_store_dwordx2 v[1:2], v[11:12], off
.LBB1250_12:
	s_endpgm
	.section	.rodata,"a",@progbits
	.p2align	6, 0x0
	.amdhsa_kernel _ZL37rocblas_syrkx_herkx_restricted_kernelIl19rocblas_complex_numIfELi16ELi32ELi8ELi1ELi0ELb1ELc67ELc85EKS1_S1_EviT_PT9_S3_lS5_S3_lPT10_S3_li
		.amdhsa_group_segment_fixed_size 4096
		.amdhsa_private_segment_fixed_size 0
		.amdhsa_kernarg_size 92
		.amdhsa_user_sgpr_count 6
		.amdhsa_user_sgpr_private_segment_buffer 1
		.amdhsa_user_sgpr_dispatch_ptr 0
		.amdhsa_user_sgpr_queue_ptr 0
		.amdhsa_user_sgpr_kernarg_segment_ptr 1
		.amdhsa_user_sgpr_dispatch_id 0
		.amdhsa_user_sgpr_flat_scratch_init 0
		.amdhsa_user_sgpr_private_segment_size 0
		.amdhsa_uses_dynamic_stack 0
		.amdhsa_system_sgpr_private_segment_wavefront_offset 0
		.amdhsa_system_sgpr_workgroup_id_x 1
		.amdhsa_system_sgpr_workgroup_id_y 1
		.amdhsa_system_sgpr_workgroup_id_z 1
		.amdhsa_system_sgpr_workgroup_info 0
		.amdhsa_system_vgpr_workitem_id 1
		.amdhsa_next_free_vgpr 41
		.amdhsa_next_free_sgpr 28
		.amdhsa_reserve_vcc 1
		.amdhsa_reserve_flat_scratch 0
		.amdhsa_float_round_mode_32 0
		.amdhsa_float_round_mode_16_64 0
		.amdhsa_float_denorm_mode_32 3
		.amdhsa_float_denorm_mode_16_64 3
		.amdhsa_dx10_clamp 1
		.amdhsa_ieee_mode 1
		.amdhsa_fp16_overflow 0
		.amdhsa_exception_fp_ieee_invalid_op 0
		.amdhsa_exception_fp_denorm_src 0
		.amdhsa_exception_fp_ieee_div_zero 0
		.amdhsa_exception_fp_ieee_overflow 0
		.amdhsa_exception_fp_ieee_underflow 0
		.amdhsa_exception_fp_ieee_inexact 0
		.amdhsa_exception_int_div_zero 0
	.end_amdhsa_kernel
	.section	.text._ZL37rocblas_syrkx_herkx_restricted_kernelIl19rocblas_complex_numIfELi16ELi32ELi8ELi1ELi0ELb1ELc67ELc85EKS1_S1_EviT_PT9_S3_lS5_S3_lPT10_S3_li,"axG",@progbits,_ZL37rocblas_syrkx_herkx_restricted_kernelIl19rocblas_complex_numIfELi16ELi32ELi8ELi1ELi0ELb1ELc67ELc85EKS1_S1_EviT_PT9_S3_lS5_S3_lPT10_S3_li,comdat
.Lfunc_end1250:
	.size	_ZL37rocblas_syrkx_herkx_restricted_kernelIl19rocblas_complex_numIfELi16ELi32ELi8ELi1ELi0ELb1ELc67ELc85EKS1_S1_EviT_PT9_S3_lS5_S3_lPT10_S3_li, .Lfunc_end1250-_ZL37rocblas_syrkx_herkx_restricted_kernelIl19rocblas_complex_numIfELi16ELi32ELi8ELi1ELi0ELb1ELc67ELc85EKS1_S1_EviT_PT9_S3_lS5_S3_lPT10_S3_li
                                        ; -- End function
	.set _ZL37rocblas_syrkx_herkx_restricted_kernelIl19rocblas_complex_numIfELi16ELi32ELi8ELi1ELi0ELb1ELc67ELc85EKS1_S1_EviT_PT9_S3_lS5_S3_lPT10_S3_li.num_vgpr, 41
	.set _ZL37rocblas_syrkx_herkx_restricted_kernelIl19rocblas_complex_numIfELi16ELi32ELi8ELi1ELi0ELb1ELc67ELc85EKS1_S1_EviT_PT9_S3_lS5_S3_lPT10_S3_li.num_agpr, 0
	.set _ZL37rocblas_syrkx_herkx_restricted_kernelIl19rocblas_complex_numIfELi16ELi32ELi8ELi1ELi0ELb1ELc67ELc85EKS1_S1_EviT_PT9_S3_lS5_S3_lPT10_S3_li.numbered_sgpr, 28
	.set _ZL37rocblas_syrkx_herkx_restricted_kernelIl19rocblas_complex_numIfELi16ELi32ELi8ELi1ELi0ELb1ELc67ELc85EKS1_S1_EviT_PT9_S3_lS5_S3_lPT10_S3_li.num_named_barrier, 0
	.set _ZL37rocblas_syrkx_herkx_restricted_kernelIl19rocblas_complex_numIfELi16ELi32ELi8ELi1ELi0ELb1ELc67ELc85EKS1_S1_EviT_PT9_S3_lS5_S3_lPT10_S3_li.private_seg_size, 0
	.set _ZL37rocblas_syrkx_herkx_restricted_kernelIl19rocblas_complex_numIfELi16ELi32ELi8ELi1ELi0ELb1ELc67ELc85EKS1_S1_EviT_PT9_S3_lS5_S3_lPT10_S3_li.uses_vcc, 1
	.set _ZL37rocblas_syrkx_herkx_restricted_kernelIl19rocblas_complex_numIfELi16ELi32ELi8ELi1ELi0ELb1ELc67ELc85EKS1_S1_EviT_PT9_S3_lS5_S3_lPT10_S3_li.uses_flat_scratch, 0
	.set _ZL37rocblas_syrkx_herkx_restricted_kernelIl19rocblas_complex_numIfELi16ELi32ELi8ELi1ELi0ELb1ELc67ELc85EKS1_S1_EviT_PT9_S3_lS5_S3_lPT10_S3_li.has_dyn_sized_stack, 0
	.set _ZL37rocblas_syrkx_herkx_restricted_kernelIl19rocblas_complex_numIfELi16ELi32ELi8ELi1ELi0ELb1ELc67ELc85EKS1_S1_EviT_PT9_S3_lS5_S3_lPT10_S3_li.has_recursion, 0
	.set _ZL37rocblas_syrkx_herkx_restricted_kernelIl19rocblas_complex_numIfELi16ELi32ELi8ELi1ELi0ELb1ELc67ELc85EKS1_S1_EviT_PT9_S3_lS5_S3_lPT10_S3_li.has_indirect_call, 0
	.section	.AMDGPU.csdata,"",@progbits
; Kernel info:
; codeLenInByte = 2024
; TotalNumSgprs: 32
; NumVgprs: 41
; ScratchSize: 0
; MemoryBound: 0
; FloatMode: 240
; IeeeMode: 1
; LDSByteSize: 4096 bytes/workgroup (compile time only)
; SGPRBlocks: 3
; VGPRBlocks: 10
; NumSGPRsForWavesPerEU: 32
; NumVGPRsForWavesPerEU: 41
; Occupancy: 5
; WaveLimiterHint : 1
; COMPUTE_PGM_RSRC2:SCRATCH_EN: 0
; COMPUTE_PGM_RSRC2:USER_SGPR: 6
; COMPUTE_PGM_RSRC2:TRAP_HANDLER: 0
; COMPUTE_PGM_RSRC2:TGID_X_EN: 1
; COMPUTE_PGM_RSRC2:TGID_Y_EN: 1
; COMPUTE_PGM_RSRC2:TGID_Z_EN: 1
; COMPUTE_PGM_RSRC2:TIDIG_COMP_CNT: 1
	.section	.text._ZL37rocblas_syrkx_herkx_restricted_kernelIl19rocblas_complex_numIfELi16ELi32ELi8ELi1ELi0ELb1ELc78ELc85EKS1_S1_EviT_PT9_S3_lS5_S3_lPT10_S3_li,"axG",@progbits,_ZL37rocblas_syrkx_herkx_restricted_kernelIl19rocblas_complex_numIfELi16ELi32ELi8ELi1ELi0ELb1ELc78ELc85EKS1_S1_EviT_PT9_S3_lS5_S3_lPT10_S3_li,comdat
	.globl	_ZL37rocblas_syrkx_herkx_restricted_kernelIl19rocblas_complex_numIfELi16ELi32ELi8ELi1ELi0ELb1ELc78ELc85EKS1_S1_EviT_PT9_S3_lS5_S3_lPT10_S3_li ; -- Begin function _ZL37rocblas_syrkx_herkx_restricted_kernelIl19rocblas_complex_numIfELi16ELi32ELi8ELi1ELi0ELb1ELc78ELc85EKS1_S1_EviT_PT9_S3_lS5_S3_lPT10_S3_li
	.p2align	8
	.type	_ZL37rocblas_syrkx_herkx_restricted_kernelIl19rocblas_complex_numIfELi16ELi32ELi8ELi1ELi0ELb1ELc78ELc85EKS1_S1_EviT_PT9_S3_lS5_S3_lPT10_S3_li,@function
_ZL37rocblas_syrkx_herkx_restricted_kernelIl19rocblas_complex_numIfELi16ELi32ELi8ELi1ELi0ELb1ELc78ELc85EKS1_S1_EviT_PT9_S3_lS5_S3_lPT10_S3_li: ; @_ZL37rocblas_syrkx_herkx_restricted_kernelIl19rocblas_complex_numIfELi16ELi32ELi8ELi1ELi0ELb1ELc78ELc85EKS1_S1_EviT_PT9_S3_lS5_S3_lPT10_S3_li
; %bb.0:
	s_load_dwordx16 s[12:27], s[4:5], 0x8
	s_lshl_b32 s9, s6, 5
	s_lshl_b32 s10, s7, 5
	s_waitcnt lgkmcnt(0)
	v_cmp_lt_i64_e64 s[0:1], s[12:13], 1
	s_and_b64 vcc, exec, s[0:1]
	s_cbranch_vccnz .LBB1251_3
; %bb.1:
	v_lshl_add_u32 v6, v1, 4, v0
	v_lshrrev_b32_e32 v7, 3, v6
	v_add_u32_e32 v2, s10, v7
	v_and_b32_e32 v5, 7, v0
	v_ashrrev_i32_e32 v3, 31, v2
	v_mad_u64_u32 v[2:3], s[0:1], s22, v5, v[2:3]
	v_lshrrev_b32_e32 v8, 5, v6
	s_mul_i32 s2, s19, s8
	v_mad_u64_u32 v[3:4], s[0:1], s23, v5, v[3:4]
	v_and_b32_e32 v4, 31, v6
	v_lshlrev_b32_e32 v5, 3, v5
	v_lshlrev_b32_e32 v6, 3, v4
	v_lshl_or_b32 v5, v7, 6, v5
	v_add_u32_e32 v4, s9, v4
	v_add_u32_e32 v15, 0x800, v5
	v_ashrrev_i32_e32 v5, 31, v4
	v_mad_u64_u32 v[4:5], s[0:1], s16, v8, v[4:5]
	v_lshl_or_b32 v14, v8, 8, v6
	v_mov_b32_e32 v6, 0x800
	v_lshl_add_u32 v17, v1, 6, v6
	v_mad_u64_u32 v[5:6], s[0:1], s17, v8, v[5:6]
	s_mul_hi_u32 s3, s18, s8
	s_add_i32 s1, s3, s2
	s_mul_i32 s0, s18, s8
	s_lshl_b64 s[0:1], s[0:1], 3
	v_lshlrev_b64 v[4:5], 3, v[4:5]
	s_add_u32 s0, s14, s0
	s_addc_u32 s1, s15, s1
	s_mul_i32 s2, s25, s8
	s_mul_hi_u32 s3, s24, s8
	v_mov_b32_e32 v6, s1
	v_add_co_u32_e32 v4, vcc, s0, v4
	s_add_i32 s3, s3, s2
	s_mul_i32 s2, s24, s8
	v_addc_co_u32_e32 v5, vcc, v6, v5, vcc
	s_lshl_b64 s[0:1], s[16:17], 6
	s_lshl_b64 s[2:3], s[2:3], 3
	v_add_co_u32_e32 v6, vcc, 4, v4
	v_lshlrev_b64 v[2:3], 3, v[2:3]
	s_add_u32 s2, s20, s2
	v_addc_co_u32_e32 v7, vcc, 0, v5, vcc
	s_addc_u32 s3, s21, s3
	v_mov_b32_e32 v4, s3
	v_add_co_u32_e32 v2, vcc, s2, v2
	v_addc_co_u32_e32 v3, vcc, v4, v3, vcc
	v_add_co_u32_e32 v8, vcc, 4, v2
	s_lshl_b64 s[2:3], s[22:23], 6
	v_lshlrev_b32_e32 v16, 3, v0
	v_addc_co_u32_e32 v9, vcc, 0, v3, vcc
	v_mov_b32_e32 v20, 0
	s_mov_b64 s[6:7], 0
	v_mov_b32_e32 v18, s1
	v_mov_b32_e32 v19, s3
	;; [unrolled: 1-line block ×9, first 2 shown]
.LBB1251_2:                             ; =>This Inner Loop Header: Depth=1
	global_load_dwordx2 v[2:3], v[6:7], off offset:-4
	v_add_co_u32_e32 v6, vcc, s0, v6
	s_add_u32 s6, s6, 8
	v_addc_co_u32_e32 v7, vcc, v7, v18, vcc
	s_addc_u32 s7, s7, 0
	s_waitcnt vmcnt(0)
	ds_write_b64 v14, v[2:3]
	global_load_dwordx2 v[2:3], v[8:9], off offset:-4
	v_add_co_u32_e32 v8, vcc, s2, v8
	v_addc_co_u32_e32 v9, vcc, v9, v19, vcc
	s_waitcnt vmcnt(0)
	v_xor_b32_e32 v3, 0x80000000, v3
	ds_write_b64 v15, v[2:3]
	s_waitcnt lgkmcnt(0)
	s_barrier
	ds_read_b128 v[24:27], v17
	ds_read_b128 v[28:31], v17 offset:16
	ds_read_b128 v[32:35], v17 offset:32
	;; [unrolled: 1-line block ×3, first 2 shown]
	ds_read2_b64 v[36:39], v16 offset1:16
	s_waitcnt lgkmcnt(0)
	v_mul_f32_e32 v41, v24, v37
	v_mul_f32_e32 v40, v25, v37
	v_fmac_f32_e32 v41, v25, v36
	v_fma_f32 v40, v24, v36, -v40
	v_add_f32_e32 v41, v23, v41
	v_mul_f32_e32 v23, v24, v39
	v_add_f32_e32 v40, v13, v40
	v_mul_f32_e32 v13, v25, v39
	v_fmac_f32_e32 v23, v25, v38
	v_fma_f32 v13, v24, v38, -v13
	v_add_f32_e32 v43, v22, v23
	ds_read_b128 v[22:25], v17 offset:1024
	v_add_f32_e32 v42, v12, v13
	s_waitcnt lgkmcnt(0)
	v_mul_f32_e32 v12, v23, v37
	v_fma_f32 v12, v22, v36, -v12
	v_mul_f32_e32 v13, v22, v37
	v_fmac_f32_e32 v13, v23, v36
	v_add_f32_e32 v36, v11, v12
	v_mul_f32_e32 v11, v23, v39
	v_mul_f32_e32 v12, v22, v39
	v_fma_f32 v11, v22, v38, -v11
	v_fmac_f32_e32 v12, v23, v38
	v_add_f32_e32 v21, v21, v13
	v_add_f32_e32 v22, v10, v11
	;; [unrolled: 1-line block ×3, first 2 shown]
	ds_read2_b64 v[10:13], v16 offset0:32 offset1:48
	s_waitcnt lgkmcnt(0)
	v_mul_f32_e32 v23, v27, v11
	v_mul_f32_e32 v38, v27, v13
	v_fma_f32 v23, v26, v10, -v23
	v_mul_f32_e32 v37, v26, v11
	v_fma_f32 v38, v26, v12, -v38
	v_mul_f32_e32 v26, v26, v13
	v_fmac_f32_e32 v37, v27, v10
	v_fmac_f32_e32 v26, v27, v12
	v_add_f32_e32 v27, v42, v38
	v_mul_f32_e32 v38, v25, v11
	v_mul_f32_e32 v11, v24, v11
	v_fma_f32 v38, v24, v10, -v38
	v_fmac_f32_e32 v11, v25, v10
	v_add_f32_e32 v36, v36, v38
	v_add_f32_e32 v38, v21, v11
	v_mul_f32_e32 v10, v25, v13
	v_mul_f32_e32 v11, v24, v13
	v_fma_f32 v10, v24, v12, -v10
	v_fmac_f32_e32 v11, v25, v12
	v_add_f32_e32 v24, v22, v10
	v_add_f32_e32 v25, v20, v11
	ds_read2_b64 v[10:13], v16 offset0:64 offset1:80
	v_add_f32_e32 v23, v40, v23
	v_add_f32_e32 v37, v41, v37
	v_add_f32_e32 v26, v43, v26
	s_waitcnt lgkmcnt(0)
	v_mul_f32_e32 v20, v29, v11
	v_mul_f32_e32 v21, v28, v11
	v_fma_f32 v20, v28, v10, -v20
	v_fmac_f32_e32 v21, v29, v10
	v_add_f32_e32 v39, v23, v20
	v_add_f32_e32 v37, v37, v21
	v_mul_f32_e32 v20, v29, v13
	v_mul_f32_e32 v21, v28, v13
	v_fma_f32 v20, v28, v12, -v20
	v_fmac_f32_e32 v21, v29, v12
	v_add_f32_e32 v27, v27, v20
	v_add_f32_e32 v26, v26, v21
	ds_read_b128 v[20:23], v17 offset:1040
	s_waitcnt lgkmcnt(0)
	v_mul_f32_e32 v28, v21, v11
	v_mul_f32_e32 v11, v20, v11
	v_fmac_f32_e32 v11, v21, v10
	v_fma_f32 v28, v20, v10, -v28
	v_add_f32_e32 v29, v38, v11
	v_mul_f32_e32 v10, v21, v13
	v_mul_f32_e32 v11, v20, v13
	v_fma_f32 v10, v20, v12, -v10
	v_fmac_f32_e32 v11, v21, v12
	v_add_f32_e32 v20, v24, v10
	v_add_f32_e32 v21, v25, v11
	ds_read2_b64 v[10:13], v16 offset0:96 offset1:112
	v_add_f32_e32 v28, v36, v28
	s_waitcnt lgkmcnt(0)
	v_mul_f32_e32 v24, v31, v11
	v_mul_f32_e32 v36, v31, v13
	v_fma_f32 v24, v30, v10, -v24
	v_mul_f32_e32 v25, v30, v11
	v_fma_f32 v36, v30, v12, -v36
	v_mul_f32_e32 v30, v30, v13
	v_fmac_f32_e32 v30, v31, v12
	v_add_f32_e32 v26, v26, v30
	v_mul_f32_e32 v30, v23, v11
	v_mul_f32_e32 v11, v22, v11
	v_fmac_f32_e32 v11, v23, v10
	v_fmac_f32_e32 v25, v31, v10
	v_fma_f32 v30, v22, v10, -v30
	v_add_f32_e32 v29, v29, v11
	v_mul_f32_e32 v10, v23, v13
	v_mul_f32_e32 v11, v22, v13
	v_fma_f32 v10, v22, v12, -v10
	v_fmac_f32_e32 v11, v23, v12
	v_add_f32_e32 v28, v28, v30
	v_add_f32_e32 v30, v20, v10
	;; [unrolled: 1-line block ×3, first 2 shown]
	ds_read2_b64 v[10:13], v16 offset0:128 offset1:144
	v_add_f32_e32 v24, v39, v24
	v_add_f32_e32 v25, v37, v25
	;; [unrolled: 1-line block ×3, first 2 shown]
	s_waitcnt lgkmcnt(0)
	v_mul_f32_e32 v20, v33, v11
	v_mul_f32_e32 v21, v32, v11
	v_fma_f32 v20, v32, v10, -v20
	v_fmac_f32_e32 v21, v33, v10
	v_add_f32_e32 v24, v24, v20
	v_add_f32_e32 v25, v25, v21
	v_mul_f32_e32 v20, v33, v13
	v_mul_f32_e32 v21, v32, v13
	v_fma_f32 v20, v32, v12, -v20
	v_fmac_f32_e32 v21, v33, v12
	v_add_f32_e32 v27, v27, v20
	v_add_f32_e32 v26, v26, v21
	ds_read_b128 v[20:23], v17 offset:1056
	s_waitcnt lgkmcnt(0)
	v_mul_f32_e32 v32, v21, v11
	v_mul_f32_e32 v11, v20, v11
	v_fmac_f32_e32 v11, v21, v10
	v_fma_f32 v32, v20, v10, -v32
	v_add_f32_e32 v29, v29, v11
	v_mul_f32_e32 v10, v21, v13
	v_mul_f32_e32 v11, v20, v13
	v_fma_f32 v10, v20, v12, -v10
	v_fmac_f32_e32 v11, v21, v12
	v_add_f32_e32 v20, v30, v10
	v_add_f32_e32 v21, v31, v11
	ds_read2_b64 v[10:13], v16 offset0:160 offset1:176
	v_add_f32_e32 v28, v28, v32
	s_waitcnt lgkmcnt(0)
	v_mul_f32_e32 v30, v35, v11
	v_fma_f32 v30, v34, v10, -v30
	v_add_f32_e32 v24, v24, v30
	v_mul_f32_e32 v30, v35, v13
	v_fma_f32 v30, v34, v12, -v30
	v_mul_f32_e32 v31, v34, v11
	v_add_f32_e32 v27, v27, v30
	v_mul_f32_e32 v30, v23, v11
	v_mul_f32_e32 v11, v22, v11
	v_fmac_f32_e32 v11, v23, v10
	v_fmac_f32_e32 v31, v35, v10
	v_fma_f32 v30, v22, v10, -v30
	v_add_f32_e32 v29, v29, v11
	v_mul_f32_e32 v10, v23, v13
	v_mul_f32_e32 v11, v22, v13
	v_add_f32_e32 v25, v25, v31
	v_mul_f32_e32 v31, v34, v13
	v_fma_f32 v10, v22, v12, -v10
	v_fmac_f32_e32 v11, v23, v12
	v_fmac_f32_e32 v31, v35, v12
	v_add_f32_e32 v20, v20, v10
	v_add_f32_e32 v21, v21, v11
	ds_read2_b64 v[10:13], v16 offset0:192 offset1:208
	v_add_f32_e32 v28, v28, v30
	v_add_f32_e32 v26, v26, v31
	s_waitcnt lgkmcnt(0)
	v_mul_f32_e32 v22, v3, v11
	v_fma_f32 v22, v2, v10, -v22
	v_mul_f32_e32 v23, v2, v11
	v_add_f32_e32 v30, v24, v22
	v_mul_f32_e32 v22, v3, v13
	v_fmac_f32_e32 v23, v3, v10
	v_fma_f32 v22, v2, v12, -v22
	v_mul_f32_e32 v2, v2, v13
	v_add_f32_e32 v31, v25, v23
	v_fmac_f32_e32 v2, v3, v12
	v_add_f32_e32 v3, v27, v22
	ds_read_b128 v[22:25], v17 offset:1072
	v_add_f32_e32 v2, v26, v2
	s_waitcnt lgkmcnt(0)
	v_mul_f32_e32 v26, v23, v11
	v_mul_f32_e32 v11, v22, v11
	v_fma_f32 v26, v22, v10, -v26
	v_fmac_f32_e32 v11, v23, v10
	v_add_f32_e32 v10, v28, v26
	v_add_f32_e32 v32, v29, v11
	ds_read2_b64 v[26:29], v16 offset0:224 offset1:240
	v_mul_f32_e32 v11, v23, v13
	v_fma_f32 v11, v22, v12, -v11
	v_mul_f32_e32 v13, v22, v13
	v_add_f32_e32 v20, v20, v11
	s_waitcnt lgkmcnt(0)
	v_mul_f32_e32 v11, v5, v27
	v_fmac_f32_e32 v13, v23, v12
	v_fma_f32 v11, v4, v26, -v11
	v_add_f32_e32 v33, v21, v13
	v_add_f32_e32 v13, v30, v11
	v_mul_f32_e32 v11, v5, v29
	v_mul_f32_e32 v12, v4, v27
	v_fma_f32 v11, v4, v28, -v11
	v_mul_f32_e32 v4, v4, v29
	v_fmac_f32_e32 v12, v5, v26
	v_fmac_f32_e32 v4, v5, v28
	v_add_f32_e32 v23, v31, v12
	v_add_f32_e32 v12, v3, v11
	;; [unrolled: 1-line block ×3, first 2 shown]
	v_mul_f32_e32 v2, v25, v27
	v_mul_f32_e32 v3, v24, v27
	v_fma_f32 v2, v24, v26, -v2
	v_fmac_f32_e32 v3, v25, v26
	v_add_f32_e32 v11, v10, v2
	v_add_f32_e32 v21, v32, v3
	v_mul_f32_e32 v2, v25, v29
	v_mul_f32_e32 v3, v24, v29
	v_fma_f32 v2, v24, v28, -v2
	v_fmac_f32_e32 v3, v25, v28
	v_add_f32_e32 v10, v20, v2
	v_add_f32_e32 v20, v33, v3
	v_mov_b32_e32 v2, s6
	v_mov_b32_e32 v3, s7
	v_cmp_le_u64_e32 vcc, s[12:13], v[2:3]
	s_barrier
	s_cbranch_vccz .LBB1251_2
	s_branch .LBB1251_4
.LBB1251_3:
	v_mov_b32_e32 v23, 0
	v_mov_b32_e32 v13, 0
	;; [unrolled: 1-line block ×8, first 2 shown]
.LBB1251_4:
	s_load_dwordx4 s[12:15], s[4:5], 0x48
	s_load_dword s6, s[4:5], 0x0
	v_add_u32_e32 v4, s10, v1
	v_ashrrev_i32_e32 v1, 31, v4
	v_add_u32_e32 v0, s9, v0
	s_waitcnt lgkmcnt(0)
	s_mul_i32 s1, s15, s8
	s_mul_hi_u32 s2, s14, s8
	s_add_i32 s1, s2, s1
	v_mul_lo_u32 v3, s12, v1
	v_mul_lo_u32 v5, s13, v4
	v_mad_u64_u32 v[1:2], s[2:3], s12, v4, 0
	s_mul_i32 s0, s14, s8
	s_lshl_b64 s[0:1], s[0:1], 3
	v_add3_u32 v2, v2, v3, v5
	s_add_u32 s4, s26, s0
	v_lshlrev_b64 v[1:2], 3, v[1:2]
	s_addc_u32 s5, s27, s1
	v_mov_b32_e32 v3, s5
	v_add_co_u32_e64 v5, s[0:1], s4, v1
	v_addc_co_u32_e64 v6, s[0:1], v3, v2, s[0:1]
	v_cmp_gt_i32_e32 vcc, s6, v4
	v_cmp_le_i32_e64 s[0:1], v0, v4
	s_and_b64 s[0:1], vcc, s[0:1]
	s_and_saveexec_b64 s[2:3], s[0:1]
	s_cbranch_execz .LBB1251_6
; %bb.5:
	v_ashrrev_i32_e32 v1, 31, v0
	v_lshlrev_b64 v[1:2], 3, v[0:1]
	v_add_co_u32_e64 v1, s[0:1], v5, v1
	v_addc_co_u32_e64 v2, s[0:1], v6, v2, s[0:1]
	v_cmp_ne_u32_e64 s[0:1], v4, v0
	v_cndmask_b32_e64 v14, 0, v23, s[0:1]
	global_store_dwordx2 v[1:2], v[13:14], off
.LBB1251_6:
	s_or_b64 exec, exec, s[2:3]
	v_add_u32_e32 v2, 16, v0
	v_cmp_le_i32_e64 s[0:1], v2, v4
	s_and_b64 s[2:3], vcc, s[0:1]
	s_and_saveexec_b64 s[0:1], s[2:3]
	s_cbranch_execz .LBB1251_8
; %bb.7:
	v_ashrrev_i32_e32 v3, 31, v2
	v_lshlrev_b64 v[7:8], 3, v[2:3]
	v_add_co_u32_e32 v5, vcc, v5, v7
	v_addc_co_u32_e32 v6, vcc, v6, v8, vcc
	v_cmp_ne_u32_e32 vcc, v4, v2
	v_cndmask_b32_e32 v13, 0, v22, vcc
	global_store_dwordx2 v[5:6], v[12:13], off
.LBB1251_8:
	s_or_b64 exec, exec, s[0:1]
	v_add_u32_e32 v3, 16, v4
	v_ashrrev_i32_e32 v1, 31, v3
	v_mul_lo_u32 v1, s12, v1
	v_mul_lo_u32 v7, s13, v3
	v_mad_u64_u32 v[5:6], s[0:1], s12, v3, 0
	v_cmp_gt_i32_e32 vcc, s6, v3
	v_add3_u32 v6, v6, v1, v7
	v_lshlrev_b64 v[5:6], 3, v[5:6]
	v_mov_b32_e32 v1, s5
	v_add_co_u32_e64 v5, s[0:1], s4, v5
	v_addc_co_u32_e64 v6, s[0:1], v1, v6, s[0:1]
	v_cmp_le_i32_e64 s[0:1], v0, v3
	s_and_b64 s[0:1], vcc, s[0:1]
	s_and_saveexec_b64 s[2:3], s[0:1]
	s_cbranch_execz .LBB1251_10
; %bb.9:
	v_ashrrev_i32_e32 v1, 31, v0
	v_lshlrev_b64 v[7:8], 3, v[0:1]
	v_add_co_u32_e64 v7, s[0:1], v5, v7
	v_addc_co_u32_e64 v8, s[0:1], v6, v8, s[0:1]
	v_cmp_ne_u32_e64 s[0:1], v3, v0
	v_cndmask_b32_e64 v12, 0, v21, s[0:1]
	global_store_dwordx2 v[7:8], v[11:12], off
.LBB1251_10:
	s_or_b64 exec, exec, s[2:3]
	v_cmp_le_i32_e64 s[0:1], v2, v3
	s_and_b64 s[0:1], vcc, s[0:1]
	s_and_saveexec_b64 s[2:3], s[0:1]
	s_cbranch_execz .LBB1251_12
; %bb.11:
	v_ashrrev_i32_e32 v3, 31, v2
	v_lshlrev_b64 v[1:2], 3, v[2:3]
	v_add_co_u32_e32 v1, vcc, v5, v1
	v_addc_co_u32_e32 v2, vcc, v6, v2, vcc
	v_cmp_ne_u32_e32 vcc, v4, v0
	v_cndmask_b32_e32 v11, 0, v20, vcc
	global_store_dwordx2 v[1:2], v[10:11], off
.LBB1251_12:
	s_endpgm
	.section	.rodata,"a",@progbits
	.p2align	6, 0x0
	.amdhsa_kernel _ZL37rocblas_syrkx_herkx_restricted_kernelIl19rocblas_complex_numIfELi16ELi32ELi8ELi1ELi0ELb1ELc78ELc85EKS1_S1_EviT_PT9_S3_lS5_S3_lPT10_S3_li
		.amdhsa_group_segment_fixed_size 4096
		.amdhsa_private_segment_fixed_size 0
		.amdhsa_kernarg_size 92
		.amdhsa_user_sgpr_count 6
		.amdhsa_user_sgpr_private_segment_buffer 1
		.amdhsa_user_sgpr_dispatch_ptr 0
		.amdhsa_user_sgpr_queue_ptr 0
		.amdhsa_user_sgpr_kernarg_segment_ptr 1
		.amdhsa_user_sgpr_dispatch_id 0
		.amdhsa_user_sgpr_flat_scratch_init 0
		.amdhsa_user_sgpr_private_segment_size 0
		.amdhsa_uses_dynamic_stack 0
		.amdhsa_system_sgpr_private_segment_wavefront_offset 0
		.amdhsa_system_sgpr_workgroup_id_x 1
		.amdhsa_system_sgpr_workgroup_id_y 1
		.amdhsa_system_sgpr_workgroup_id_z 1
		.amdhsa_system_sgpr_workgroup_info 0
		.amdhsa_system_vgpr_workitem_id 1
		.amdhsa_next_free_vgpr 44
		.amdhsa_next_free_sgpr 28
		.amdhsa_reserve_vcc 1
		.amdhsa_reserve_flat_scratch 0
		.amdhsa_float_round_mode_32 0
		.amdhsa_float_round_mode_16_64 0
		.amdhsa_float_denorm_mode_32 3
		.amdhsa_float_denorm_mode_16_64 3
		.amdhsa_dx10_clamp 1
		.amdhsa_ieee_mode 1
		.amdhsa_fp16_overflow 0
		.amdhsa_exception_fp_ieee_invalid_op 0
		.amdhsa_exception_fp_denorm_src 0
		.amdhsa_exception_fp_ieee_div_zero 0
		.amdhsa_exception_fp_ieee_overflow 0
		.amdhsa_exception_fp_ieee_underflow 0
		.amdhsa_exception_fp_ieee_inexact 0
		.amdhsa_exception_int_div_zero 0
	.end_amdhsa_kernel
	.section	.text._ZL37rocblas_syrkx_herkx_restricted_kernelIl19rocblas_complex_numIfELi16ELi32ELi8ELi1ELi0ELb1ELc78ELc85EKS1_S1_EviT_PT9_S3_lS5_S3_lPT10_S3_li,"axG",@progbits,_ZL37rocblas_syrkx_herkx_restricted_kernelIl19rocblas_complex_numIfELi16ELi32ELi8ELi1ELi0ELb1ELc78ELc85EKS1_S1_EviT_PT9_S3_lS5_S3_lPT10_S3_li,comdat
.Lfunc_end1251:
	.size	_ZL37rocblas_syrkx_herkx_restricted_kernelIl19rocblas_complex_numIfELi16ELi32ELi8ELi1ELi0ELb1ELc78ELc85EKS1_S1_EviT_PT9_S3_lS5_S3_lPT10_S3_li, .Lfunc_end1251-_ZL37rocblas_syrkx_herkx_restricted_kernelIl19rocblas_complex_numIfELi16ELi32ELi8ELi1ELi0ELb1ELc78ELc85EKS1_S1_EviT_PT9_S3_lS5_S3_lPT10_S3_li
                                        ; -- End function
	.set _ZL37rocblas_syrkx_herkx_restricted_kernelIl19rocblas_complex_numIfELi16ELi32ELi8ELi1ELi0ELb1ELc78ELc85EKS1_S1_EviT_PT9_S3_lS5_S3_lPT10_S3_li.num_vgpr, 44
	.set _ZL37rocblas_syrkx_herkx_restricted_kernelIl19rocblas_complex_numIfELi16ELi32ELi8ELi1ELi0ELb1ELc78ELc85EKS1_S1_EviT_PT9_S3_lS5_S3_lPT10_S3_li.num_agpr, 0
	.set _ZL37rocblas_syrkx_herkx_restricted_kernelIl19rocblas_complex_numIfELi16ELi32ELi8ELi1ELi0ELb1ELc78ELc85EKS1_S1_EviT_PT9_S3_lS5_S3_lPT10_S3_li.numbered_sgpr, 28
	.set _ZL37rocblas_syrkx_herkx_restricted_kernelIl19rocblas_complex_numIfELi16ELi32ELi8ELi1ELi0ELb1ELc78ELc85EKS1_S1_EviT_PT9_S3_lS5_S3_lPT10_S3_li.num_named_barrier, 0
	.set _ZL37rocblas_syrkx_herkx_restricted_kernelIl19rocblas_complex_numIfELi16ELi32ELi8ELi1ELi0ELb1ELc78ELc85EKS1_S1_EviT_PT9_S3_lS5_S3_lPT10_S3_li.private_seg_size, 0
	.set _ZL37rocblas_syrkx_herkx_restricted_kernelIl19rocblas_complex_numIfELi16ELi32ELi8ELi1ELi0ELb1ELc78ELc85EKS1_S1_EviT_PT9_S3_lS5_S3_lPT10_S3_li.uses_vcc, 1
	.set _ZL37rocblas_syrkx_herkx_restricted_kernelIl19rocblas_complex_numIfELi16ELi32ELi8ELi1ELi0ELb1ELc78ELc85EKS1_S1_EviT_PT9_S3_lS5_S3_lPT10_S3_li.uses_flat_scratch, 0
	.set _ZL37rocblas_syrkx_herkx_restricted_kernelIl19rocblas_complex_numIfELi16ELi32ELi8ELi1ELi0ELb1ELc78ELc85EKS1_S1_EviT_PT9_S3_lS5_S3_lPT10_S3_li.has_dyn_sized_stack, 0
	.set _ZL37rocblas_syrkx_herkx_restricted_kernelIl19rocblas_complex_numIfELi16ELi32ELi8ELi1ELi0ELb1ELc78ELc85EKS1_S1_EviT_PT9_S3_lS5_S3_lPT10_S3_li.has_recursion, 0
	.set _ZL37rocblas_syrkx_herkx_restricted_kernelIl19rocblas_complex_numIfELi16ELi32ELi8ELi1ELi0ELb1ELc78ELc85EKS1_S1_EviT_PT9_S3_lS5_S3_lPT10_S3_li.has_indirect_call, 0
	.section	.AMDGPU.csdata,"",@progbits
; Kernel info:
; codeLenInByte = 2004
; TotalNumSgprs: 32
; NumVgprs: 44
; ScratchSize: 0
; MemoryBound: 0
; FloatMode: 240
; IeeeMode: 1
; LDSByteSize: 4096 bytes/workgroup (compile time only)
; SGPRBlocks: 3
; VGPRBlocks: 10
; NumSGPRsForWavesPerEU: 32
; NumVGPRsForWavesPerEU: 44
; Occupancy: 5
; WaveLimiterHint : 1
; COMPUTE_PGM_RSRC2:SCRATCH_EN: 0
; COMPUTE_PGM_RSRC2:USER_SGPR: 6
; COMPUTE_PGM_RSRC2:TRAP_HANDLER: 0
; COMPUTE_PGM_RSRC2:TGID_X_EN: 1
; COMPUTE_PGM_RSRC2:TGID_Y_EN: 1
; COMPUTE_PGM_RSRC2:TGID_Z_EN: 1
; COMPUTE_PGM_RSRC2:TIDIG_COMP_CNT: 1
	.section	.text._ZL37rocblas_syrkx_herkx_restricted_kernelIl19rocblas_complex_numIfELi16ELi32ELi8ELin1ELi0ELb1ELc84ELc76EKS1_S1_EviT_PT9_S3_lS5_S3_lPT10_S3_li,"axG",@progbits,_ZL37rocblas_syrkx_herkx_restricted_kernelIl19rocblas_complex_numIfELi16ELi32ELi8ELin1ELi0ELb1ELc84ELc76EKS1_S1_EviT_PT9_S3_lS5_S3_lPT10_S3_li,comdat
	.globl	_ZL37rocblas_syrkx_herkx_restricted_kernelIl19rocblas_complex_numIfELi16ELi32ELi8ELin1ELi0ELb1ELc84ELc76EKS1_S1_EviT_PT9_S3_lS5_S3_lPT10_S3_li ; -- Begin function _ZL37rocblas_syrkx_herkx_restricted_kernelIl19rocblas_complex_numIfELi16ELi32ELi8ELin1ELi0ELb1ELc84ELc76EKS1_S1_EviT_PT9_S3_lS5_S3_lPT10_S3_li
	.p2align	8
	.type	_ZL37rocblas_syrkx_herkx_restricted_kernelIl19rocblas_complex_numIfELi16ELi32ELi8ELin1ELi0ELb1ELc84ELc76EKS1_S1_EviT_PT9_S3_lS5_S3_lPT10_S3_li,@function
_ZL37rocblas_syrkx_herkx_restricted_kernelIl19rocblas_complex_numIfELi16ELi32ELi8ELin1ELi0ELb1ELc84ELc76EKS1_S1_EviT_PT9_S3_lS5_S3_lPT10_S3_li: ; @_ZL37rocblas_syrkx_herkx_restricted_kernelIl19rocblas_complex_numIfELi16ELi32ELi8ELin1ELi0ELb1ELc84ELc76EKS1_S1_EviT_PT9_S3_lS5_S3_lPT10_S3_li
; %bb.0:
	s_load_dwordx16 s[12:27], s[4:5], 0x8
	s_lshl_b32 s2, s6, 5
	s_lshl_b32 s3, s7, 5
	s_waitcnt lgkmcnt(0)
	v_cmp_lt_i64_e64 s[0:1], s[12:13], 1
	s_and_b64 vcc, exec, s[0:1]
	s_cbranch_vccnz .LBB1252_3
; %bb.1:
	v_lshl_add_u32 v4, v1, 4, v0
	v_lshrrev_b32_e32 v6, 3, v4
	v_add_u32_e32 v2, s3, v6
	v_ashrrev_i32_e32 v3, 31, v2
	v_and_b32_e32 v9, 7, v0
	v_mov_b32_e32 v10, 0
	v_mul_lo_u32 v5, s22, v3
	v_mul_lo_u32 v7, s23, v2
	v_mad_u64_u32 v[2:3], s[0:1], s22, v2, v[9:10]
	s_mul_i32 s6, s19, s8
	s_mul_hi_u32 s7, s18, s8
	v_add3_u32 v3, v7, v3, v5
	v_and_b32_e32 v7, 31, v4
	v_lshrrev_b32_e32 v4, 5, v4
	v_lshlrev_b32_e32 v8, 3, v7
	v_lshl_or_b32 v11, v4, 8, v8
	v_lshlrev_b32_e32 v8, 3, v9
	v_lshl_or_b32 v6, v6, 6, v8
	v_add_u32_e32 v12, 0x800, v6
	v_mov_b32_e32 v6, 0x800
	v_lshl_add_u32 v14, v1, 6, v6
	v_add_u32_e32 v6, s2, v7
	v_mov_b32_e32 v5, v10
	v_ashrrev_i32_e32 v7, 31, v6
	v_mul_lo_u32 v7, s16, v7
	v_mad_u64_u32 v[4:5], s[0:1], s16, v6, v[4:5]
	v_mul_lo_u32 v6, s17, v6
	s_add_i32 s1, s7, s6
	s_mul_i32 s0, s18, s8
	s_lshl_b64 s[0:1], s[0:1], 3
	v_add3_u32 v5, v6, v5, v7
	v_lshlrev_b64 v[4:5], 3, v[4:5]
	s_add_u32 s0, s14, s0
	s_addc_u32 s1, s15, s1
	v_mov_b32_e32 v6, s1
	v_add_co_u32_e32 v4, vcc, s0, v4
	s_mul_i32 s0, s25, s8
	s_mul_hi_u32 s1, s24, s8
	s_add_i32 s1, s1, s0
	s_mul_i32 s0, s24, s8
	v_addc_co_u32_e32 v5, vcc, v6, v5, vcc
	s_lshl_b64 s[0:1], s[0:1], 3
	v_add_co_u32_e32 v6, vcc, 4, v4
	v_lshlrev_b64 v[2:3], 3, v[2:3]
	s_add_u32 s0, s20, s0
	v_addc_co_u32_e32 v7, vcc, 0, v5, vcc
	s_addc_u32 s1, s21, s1
	v_mov_b32_e32 v4, s1
	v_add_co_u32_e32 v2, vcc, s0, v2
	v_addc_co_u32_e32 v3, vcc, v4, v3, vcc
	v_add_co_u32_e32 v8, vcc, 4, v2
	v_lshlrev_b32_e32 v13, 3, v0
	v_addc_co_u32_e32 v9, vcc, 0, v3, vcc
	s_mov_b64 s[0:1], 0
	v_mov_b32_e32 v15, v10
	v_mov_b32_e32 v16, v10
	;; [unrolled: 1-line block ×7, first 2 shown]
.LBB1252_2:                             ; =>This Inner Loop Header: Depth=1
	global_load_dwordx2 v[2:3], v[6:7], off offset:-4
	s_add_u32 s0, s0, 8
	v_add_co_u32_e32 v6, vcc, 64, v6
	s_addc_u32 s1, s1, 0
	v_addc_co_u32_e32 v7, vcc, 0, v7, vcc
	s_waitcnt vmcnt(0)
	ds_write_b64 v11, v[2:3]
	global_load_dwordx2 v[2:3], v[8:9], off offset:-4
	v_add_co_u32_e32 v8, vcc, 64, v8
	v_addc_co_u32_e32 v9, vcc, 0, v9, vcc
	s_waitcnt vmcnt(0)
	ds_write_b64 v12, v[2:3]
	s_waitcnt lgkmcnt(0)
	s_barrier
	ds_read_b128 v[22:25], v14
	ds_read_b128 v[26:29], v14 offset:16
	ds_read_b128 v[30:33], v14 offset:32
	;; [unrolled: 1-line block ×3, first 2 shown]
	ds_read2_b64 v[34:37], v13 offset1:16
	s_waitcnt lgkmcnt(0)
	v_mul_f32_e32 v38, v23, v35
	v_mul_f32_e32 v39, v22, v35
	v_fma_f32 v38, v22, v34, -v38
	v_fmac_f32_e32 v39, v23, v34
	v_add_f32_e32 v38, v20, v38
	v_add_f32_e32 v39, v21, v39
	v_mul_f32_e32 v20, v23, v37
	v_mul_f32_e32 v21, v22, v37
	v_fma_f32 v20, v22, v36, -v20
	v_fmac_f32_e32 v21, v23, v36
	v_add_f32_e32 v22, v19, v20
	v_add_f32_e32 v23, v18, v21
	ds_read_b128 v[18:21], v14 offset:1024
	s_waitcnt lgkmcnt(0)
	v_mul_f32_e32 v40, v19, v35
	v_mul_f32_e32 v35, v18, v35
	v_fma_f32 v40, v18, v34, -v40
	v_fmac_f32_e32 v35, v19, v34
	v_add_f32_e32 v34, v17, v40
	v_add_f32_e32 v35, v16, v35
	v_mul_f32_e32 v16, v19, v37
	v_mul_f32_e32 v17, v18, v37
	v_fma_f32 v16, v18, v36, -v16
	v_fmac_f32_e32 v17, v19, v36
	v_add_f32_e32 v19, v15, v16
	v_add_f32_e32 v10, v10, v17
	ds_read2_b64 v[15:18], v13 offset0:32 offset1:48
	s_waitcnt lgkmcnt(0)
	v_mul_f32_e32 v36, v25, v16
	v_fma_f32 v36, v24, v15, -v36
	v_add_f32_e32 v36, v38, v36
	v_mul_f32_e32 v38, v25, v18
	v_mul_f32_e32 v37, v24, v16
	v_fma_f32 v38, v24, v17, -v38
	v_mul_f32_e32 v24, v24, v18
	v_fmac_f32_e32 v24, v25, v17
	v_add_f32_e32 v23, v23, v24
	v_mul_f32_e32 v24, v21, v16
	v_mul_f32_e32 v16, v20, v16
	v_fmac_f32_e32 v16, v21, v15
	v_fmac_f32_e32 v37, v25, v15
	v_fma_f32 v24, v20, v15, -v24
	v_add_f32_e32 v25, v35, v16
	v_mul_f32_e32 v15, v21, v18
	v_mul_f32_e32 v16, v20, v18
	v_fma_f32 v15, v20, v17, -v15
	v_fmac_f32_e32 v16, v21, v17
	v_add_f32_e32 v24, v34, v24
	v_add_f32_e32 v34, v19, v15
	;; [unrolled: 1-line block ×3, first 2 shown]
	ds_read2_b64 v[15:18], v13 offset0:64 offset1:80
	v_add_f32_e32 v37, v39, v37
	v_add_f32_e32 v22, v22, v38
	s_waitcnt lgkmcnt(0)
	v_mul_f32_e32 v19, v27, v16
	v_mul_f32_e32 v20, v26, v16
	v_fma_f32 v19, v26, v15, -v19
	v_fmac_f32_e32 v20, v27, v15
	v_add_f32_e32 v35, v36, v19
	v_add_f32_e32 v36, v37, v20
	v_mul_f32_e32 v19, v27, v18
	v_mul_f32_e32 v20, v26, v18
	v_fma_f32 v19, v26, v17, -v19
	v_fmac_f32_e32 v20, v27, v17
	v_add_f32_e32 v26, v22, v19
	v_add_f32_e32 v23, v23, v20
	ds_read_b128 v[19:22], v14 offset:1040
	s_waitcnt lgkmcnt(0)
	v_mul_f32_e32 v27, v20, v16
	v_mul_f32_e32 v16, v19, v16
	v_fmac_f32_e32 v16, v20, v15
	v_fma_f32 v27, v19, v15, -v27
	v_add_f32_e32 v25, v25, v16
	v_mul_f32_e32 v15, v20, v18
	v_mul_f32_e32 v16, v19, v18
	v_fma_f32 v15, v19, v17, -v15
	v_fmac_f32_e32 v16, v20, v17
	v_add_f32_e32 v19, v34, v15
	v_add_f32_e32 v10, v10, v16
	ds_read2_b64 v[15:18], v13 offset0:96 offset1:112
	v_add_f32_e32 v24, v24, v27
	s_waitcnt lgkmcnt(0)
	v_mul_f32_e32 v20, v29, v16
	v_mul_f32_e32 v34, v29, v18
	v_fma_f32 v20, v28, v15, -v20
	v_mul_f32_e32 v27, v28, v16
	v_fma_f32 v34, v28, v17, -v34
	v_mul_f32_e32 v28, v28, v18
	v_fmac_f32_e32 v28, v29, v17
	v_add_f32_e32 v23, v23, v28
	v_mul_f32_e32 v28, v22, v16
	v_mul_f32_e32 v16, v21, v16
	v_fmac_f32_e32 v16, v22, v15
	v_fmac_f32_e32 v27, v29, v15
	v_fma_f32 v28, v21, v15, -v28
	v_add_f32_e32 v25, v25, v16
	v_mul_f32_e32 v15, v22, v18
	v_mul_f32_e32 v16, v21, v18
	v_fma_f32 v15, v21, v17, -v15
	v_fmac_f32_e32 v16, v22, v17
	v_add_f32_e32 v24, v24, v28
	v_add_f32_e32 v28, v19, v15
	v_add_f32_e32 v10, v10, v16
	ds_read2_b64 v[15:18], v13 offset0:128 offset1:144
	v_add_f32_e32 v20, v35, v20
	v_add_f32_e32 v27, v36, v27
	;; [unrolled: 1-line block ×3, first 2 shown]
	s_waitcnt lgkmcnt(0)
	v_mul_f32_e32 v19, v31, v16
	v_fma_f32 v19, v30, v15, -v19
	v_mul_f32_e32 v21, v30, v16
	v_add_f32_e32 v29, v20, v19
	v_mul_f32_e32 v19, v31, v18
	v_mul_f32_e32 v20, v30, v18
	v_fmac_f32_e32 v21, v31, v15
	v_fma_f32 v19, v30, v17, -v19
	v_fmac_f32_e32 v20, v31, v17
	v_add_f32_e32 v27, v27, v21
	v_add_f32_e32 v26, v26, v19
	;; [unrolled: 1-line block ×3, first 2 shown]
	ds_read_b128 v[19:22], v14 offset:1056
	s_waitcnt lgkmcnt(0)
	v_mul_f32_e32 v30, v20, v16
	v_mul_f32_e32 v16, v19, v16
	v_fmac_f32_e32 v16, v20, v15
	v_fma_f32 v30, v19, v15, -v30
	v_add_f32_e32 v25, v25, v16
	v_mul_f32_e32 v15, v20, v18
	v_mul_f32_e32 v16, v19, v18
	v_fma_f32 v15, v19, v17, -v15
	v_fmac_f32_e32 v16, v20, v17
	v_add_f32_e32 v19, v28, v15
	v_add_f32_e32 v10, v10, v16
	ds_read2_b64 v[15:18], v13 offset0:160 offset1:176
	v_add_f32_e32 v24, v24, v30
	s_waitcnt lgkmcnt(0)
	v_mul_f32_e32 v28, v32, v16
	v_fmac_f32_e32 v28, v33, v15
	v_add_f32_e32 v27, v27, v28
	v_mul_f32_e32 v28, v33, v18
	v_fma_f32 v28, v32, v17, -v28
	v_mul_f32_e32 v20, v33, v16
	v_add_f32_e32 v26, v26, v28
	v_mul_f32_e32 v28, v22, v16
	v_mul_f32_e32 v16, v21, v16
	v_fmac_f32_e32 v16, v22, v15
	v_fma_f32 v20, v32, v15, -v20
	v_fma_f32 v28, v21, v15, -v28
	v_add_f32_e32 v25, v25, v16
	v_mul_f32_e32 v15, v22, v18
	v_mul_f32_e32 v16, v21, v18
	v_add_f32_e32 v20, v29, v20
	v_mul_f32_e32 v29, v32, v18
	v_fma_f32 v15, v21, v17, -v15
	v_fmac_f32_e32 v16, v22, v17
	v_fmac_f32_e32 v29, v33, v17
	v_add_f32_e32 v19, v19, v15
	v_add_f32_e32 v10, v10, v16
	ds_read2_b64 v[15:18], v13 offset0:192 offset1:208
	v_add_f32_e32 v24, v24, v28
	v_add_f32_e32 v23, v23, v29
	s_waitcnt lgkmcnt(0)
	v_mul_f32_e32 v21, v3, v16
	v_fma_f32 v21, v2, v15, -v21
	v_add_f32_e32 v28, v20, v21
	v_mul_f32_e32 v20, v3, v18
	v_mul_f32_e32 v22, v2, v16
	v_fma_f32 v20, v2, v17, -v20
	v_mul_f32_e32 v2, v2, v18
	v_fmac_f32_e32 v22, v3, v15
	v_fmac_f32_e32 v2, v3, v17
	v_add_f32_e32 v29, v27, v22
	v_add_f32_e32 v3, v26, v20
	;; [unrolled: 1-line block ×3, first 2 shown]
	ds_read_b128 v[20:23], v14 offset:1072
	s_waitcnt lgkmcnt(0)
	v_mul_f32_e32 v26, v21, v16
	v_fma_f32 v26, v20, v15, -v26
	v_mul_f32_e32 v16, v20, v16
	v_fmac_f32_e32 v16, v21, v15
	v_add_f32_e32 v15, v24, v26
	v_mul_f32_e32 v24, v21, v18
	v_fma_f32 v24, v20, v17, -v24
	v_add_f32_e32 v16, v25, v16
	v_add_f32_e32 v30, v19, v24
	ds_read2_b64 v[24:27], v13 offset0:224 offset1:240
	v_mul_f32_e32 v18, v20, v18
	v_fmac_f32_e32 v18, v21, v17
	v_add_f32_e32 v10, v10, v18
	s_waitcnt lgkmcnt(0)
	v_mul_f32_e32 v17, v5, v25
	v_fma_f32 v17, v4, v24, -v17
	v_add_f32_e32 v20, v28, v17
	v_mul_f32_e32 v17, v5, v27
	v_mul_f32_e32 v18, v4, v25
	v_fma_f32 v17, v4, v26, -v17
	v_mul_f32_e32 v4, v4, v27
	v_fmac_f32_e32 v18, v5, v24
	v_fmac_f32_e32 v4, v5, v26
	v_add_f32_e32 v21, v29, v18
	v_add_f32_e32 v19, v3, v17
	;; [unrolled: 1-line block ×3, first 2 shown]
	v_mul_f32_e32 v2, v23, v25
	v_mul_f32_e32 v3, v22, v25
	v_fma_f32 v2, v22, v24, -v2
	v_fmac_f32_e32 v3, v23, v24
	v_add_f32_e32 v17, v15, v2
	v_add_f32_e32 v16, v16, v3
	v_mul_f32_e32 v2, v23, v27
	v_mul_f32_e32 v3, v22, v27
	v_fma_f32 v2, v22, v26, -v2
	v_fmac_f32_e32 v3, v23, v26
	v_add_f32_e32 v15, v30, v2
	v_add_f32_e32 v10, v10, v3
	v_mov_b32_e32 v3, s1
	v_mov_b32_e32 v2, s0
	v_cmp_le_u64_e32 vcc, s[12:13], v[2:3]
	s_barrier
	s_cbranch_vccz .LBB1252_2
	s_branch .LBB1252_4
.LBB1252_3:
	v_mov_b32_e32 v20, 0
	v_mov_b32_e32 v21, 0
	;; [unrolled: 1-line block ×8, first 2 shown]
.LBB1252_4:
	s_load_dwordx4 s[12:15], s[4:5], 0x48
	s_load_dword s9, s[4:5], 0x0
	v_add_u32_e32 v5, s3, v1
	v_ashrrev_i32_e32 v1, 31, v5
	v_add_u32_e32 v0, s2, v0
	s_waitcnt lgkmcnt(0)
	v_mul_lo_u32 v3, s12, v1
	v_mul_lo_u32 v4, s13, v5
	v_mad_u64_u32 v[1:2], s[4:5], s12, v5, 0
	s_mul_i32 s1, s15, s8
	s_mul_hi_u32 s3, s14, s8
	s_mul_i32 s0, s14, s8
	s_add_i32 s1, s3, s1
	s_lshl_b64 s[0:1], s[0:1], 3
	v_add3_u32 v2, v2, v3, v4
	s_add_u32 s6, s26, s0
	v_lshlrev_b64 v[1:2], 3, v[1:2]
	s_addc_u32 s7, s27, s1
	v_mov_b32_e32 v3, s7
	v_add_co_u32_e32 v4, vcc, s6, v1
	v_addc_co_u32_e32 v6, vcc, v3, v2, vcc
	v_cmp_le_i32_e64 s[0:1], v5, v0
	v_cmp_gt_i32_e32 vcc, s9, v0
	s_and_b64 s[0:1], s[0:1], vcc
	s_and_saveexec_b64 s[2:3], s[0:1]
	s_cbranch_execz .LBB1252_7
; %bb.5:
	v_ashrrev_i32_e32 v1, 31, v0
	v_lshlrev_b64 v[1:2], 3, v[0:1]
	v_xor_b32_e32 v7, 0x80000000, v20
	v_add_co_u32_e64 v1, s[0:1], v4, v1
	v_addc_co_u32_e64 v2, s[0:1], v6, v2, s[0:1]
	v_xor_b32_e32 v8, 0x80000000, v21
	v_cmp_eq_u32_e64 s[0:1], v5, v0
	global_store_dwordx2 v[1:2], v[7:8], off
	s_and_b64 exec, exec, s[0:1]
	s_cbranch_execz .LBB1252_7
; %bb.6:
	v_mov_b32_e32 v3, 0
	global_store_dword v[1:2], v3, off offset:4
.LBB1252_7:
	s_or_b64 exec, exec, s[2:3]
	v_add_u32_e32 v2, 16, v0
	v_cmp_le_i32_e64 s[2:3], v5, v2
	v_cmp_gt_i32_e64 s[0:1], s9, v2
	s_and_b64 s[2:3], s[2:3], s[0:1]
	s_and_saveexec_b64 s[4:5], s[2:3]
	s_cbranch_execz .LBB1252_10
; %bb.8:
	v_ashrrev_i32_e32 v3, 31, v2
	v_lshlrev_b64 v[11:12], 3, v[2:3]
	v_xor_b32_e32 v7, 0x80000000, v19
	v_add_co_u32_e64 v3, s[2:3], v4, v11
	v_addc_co_u32_e64 v4, s[2:3], v6, v12, s[2:3]
	v_xor_b32_e32 v8, 0x80000000, v18
	v_cmp_eq_u32_e64 s[2:3], v5, v2
	global_store_dwordx2 v[3:4], v[7:8], off
	s_and_b64 exec, exec, s[2:3]
	s_cbranch_execz .LBB1252_10
; %bb.9:
	v_mov_b32_e32 v1, 0
	global_store_dword v[3:4], v1, off offset:4
.LBB1252_10:
	s_or_b64 exec, exec, s[4:5]
	v_add_u32_e32 v8, 16, v5
	v_ashrrev_i32_e32 v1, 31, v8
	v_mul_lo_u32 v6, s13, v8
	v_mad_u64_u32 v[3:4], s[2:3], s12, v8, 0
	v_mul_lo_u32 v1, s12, v1
	v_add3_u32 v4, v4, v1, v6
	v_lshlrev_b64 v[3:4], 3, v[3:4]
	v_mov_b32_e32 v1, s7
	v_add_co_u32_e64 v6, s[2:3], s6, v3
	v_addc_co_u32_e64 v7, s[2:3], v1, v4, s[2:3]
	v_cmp_le_i32_e64 s[2:3], v8, v0
	s_and_b64 s[4:5], s[2:3], vcc
	s_and_saveexec_b64 s[2:3], s[4:5]
	s_cbranch_execz .LBB1252_13
; %bb.11:
	v_ashrrev_i32_e32 v1, 31, v0
	v_lshlrev_b64 v[3:4], 3, v[0:1]
	v_xor_b32_e32 v11, 0x80000000, v17
	v_add_co_u32_e32 v3, vcc, v6, v3
	v_addc_co_u32_e32 v4, vcc, v7, v4, vcc
	v_xor_b32_e32 v12, 0x80000000, v16
	v_cmp_eq_u32_e32 vcc, v8, v0
	global_store_dwordx2 v[3:4], v[11:12], off
	s_and_b64 exec, exec, vcc
	s_cbranch_execz .LBB1252_13
; %bb.12:
	v_mov_b32_e32 v1, 0
	global_store_dword v[3:4], v1, off offset:4
.LBB1252_13:
	s_or_b64 exec, exec, s[2:3]
	v_cmp_le_i32_e32 vcc, v8, v2
	s_and_b64 s[0:1], vcc, s[0:1]
	s_and_saveexec_b64 s[2:3], s[0:1]
	s_cbranch_execz .LBB1252_16
; %bb.14:
	v_ashrrev_i32_e32 v3, 31, v2
	v_lshlrev_b64 v[1:2], 3, v[2:3]
	v_xor_b32_e32 v8, 0x80000000, v15
	v_add_co_u32_e32 v1, vcc, v6, v1
	v_addc_co_u32_e32 v2, vcc, v7, v2, vcc
	v_xor_b32_e32 v9, 0x80000000, v10
	v_cmp_eq_u32_e32 vcc, v5, v0
	global_store_dwordx2 v[1:2], v[8:9], off
	s_and_b64 exec, exec, vcc
	s_cbranch_execz .LBB1252_16
; %bb.15:
	v_mov_b32_e32 v0, 0
	global_store_dword v[1:2], v0, off offset:4
.LBB1252_16:
	s_endpgm
	.section	.rodata,"a",@progbits
	.p2align	6, 0x0
	.amdhsa_kernel _ZL37rocblas_syrkx_herkx_restricted_kernelIl19rocblas_complex_numIfELi16ELi32ELi8ELin1ELi0ELb1ELc84ELc76EKS1_S1_EviT_PT9_S3_lS5_S3_lPT10_S3_li
		.amdhsa_group_segment_fixed_size 4096
		.amdhsa_private_segment_fixed_size 0
		.amdhsa_kernarg_size 92
		.amdhsa_user_sgpr_count 6
		.amdhsa_user_sgpr_private_segment_buffer 1
		.amdhsa_user_sgpr_dispatch_ptr 0
		.amdhsa_user_sgpr_queue_ptr 0
		.amdhsa_user_sgpr_kernarg_segment_ptr 1
		.amdhsa_user_sgpr_dispatch_id 0
		.amdhsa_user_sgpr_flat_scratch_init 0
		.amdhsa_user_sgpr_private_segment_size 0
		.amdhsa_uses_dynamic_stack 0
		.amdhsa_system_sgpr_private_segment_wavefront_offset 0
		.amdhsa_system_sgpr_workgroup_id_x 1
		.amdhsa_system_sgpr_workgroup_id_y 1
		.amdhsa_system_sgpr_workgroup_id_z 1
		.amdhsa_system_sgpr_workgroup_info 0
		.amdhsa_system_vgpr_workitem_id 1
		.amdhsa_next_free_vgpr 41
		.amdhsa_next_free_sgpr 28
		.amdhsa_reserve_vcc 1
		.amdhsa_reserve_flat_scratch 0
		.amdhsa_float_round_mode_32 0
		.amdhsa_float_round_mode_16_64 0
		.amdhsa_float_denorm_mode_32 3
		.amdhsa_float_denorm_mode_16_64 3
		.amdhsa_dx10_clamp 1
		.amdhsa_ieee_mode 1
		.amdhsa_fp16_overflow 0
		.amdhsa_exception_fp_ieee_invalid_op 0
		.amdhsa_exception_fp_denorm_src 0
		.amdhsa_exception_fp_ieee_div_zero 0
		.amdhsa_exception_fp_ieee_overflow 0
		.amdhsa_exception_fp_ieee_underflow 0
		.amdhsa_exception_fp_ieee_inexact 0
		.amdhsa_exception_int_div_zero 0
	.end_amdhsa_kernel
	.section	.text._ZL37rocblas_syrkx_herkx_restricted_kernelIl19rocblas_complex_numIfELi16ELi32ELi8ELin1ELi0ELb1ELc84ELc76EKS1_S1_EviT_PT9_S3_lS5_S3_lPT10_S3_li,"axG",@progbits,_ZL37rocblas_syrkx_herkx_restricted_kernelIl19rocblas_complex_numIfELi16ELi32ELi8ELin1ELi0ELb1ELc84ELc76EKS1_S1_EviT_PT9_S3_lS5_S3_lPT10_S3_li,comdat
.Lfunc_end1252:
	.size	_ZL37rocblas_syrkx_herkx_restricted_kernelIl19rocblas_complex_numIfELi16ELi32ELi8ELin1ELi0ELb1ELc84ELc76EKS1_S1_EviT_PT9_S3_lS5_S3_lPT10_S3_li, .Lfunc_end1252-_ZL37rocblas_syrkx_herkx_restricted_kernelIl19rocblas_complex_numIfELi16ELi32ELi8ELin1ELi0ELb1ELc84ELc76EKS1_S1_EviT_PT9_S3_lS5_S3_lPT10_S3_li
                                        ; -- End function
	.set _ZL37rocblas_syrkx_herkx_restricted_kernelIl19rocblas_complex_numIfELi16ELi32ELi8ELin1ELi0ELb1ELc84ELc76EKS1_S1_EviT_PT9_S3_lS5_S3_lPT10_S3_li.num_vgpr, 41
	.set _ZL37rocblas_syrkx_herkx_restricted_kernelIl19rocblas_complex_numIfELi16ELi32ELi8ELin1ELi0ELb1ELc84ELc76EKS1_S1_EviT_PT9_S3_lS5_S3_lPT10_S3_li.num_agpr, 0
	.set _ZL37rocblas_syrkx_herkx_restricted_kernelIl19rocblas_complex_numIfELi16ELi32ELi8ELin1ELi0ELb1ELc84ELc76EKS1_S1_EviT_PT9_S3_lS5_S3_lPT10_S3_li.numbered_sgpr, 28
	.set _ZL37rocblas_syrkx_herkx_restricted_kernelIl19rocblas_complex_numIfELi16ELi32ELi8ELin1ELi0ELb1ELc84ELc76EKS1_S1_EviT_PT9_S3_lS5_S3_lPT10_S3_li.num_named_barrier, 0
	.set _ZL37rocblas_syrkx_herkx_restricted_kernelIl19rocblas_complex_numIfELi16ELi32ELi8ELin1ELi0ELb1ELc84ELc76EKS1_S1_EviT_PT9_S3_lS5_S3_lPT10_S3_li.private_seg_size, 0
	.set _ZL37rocblas_syrkx_herkx_restricted_kernelIl19rocblas_complex_numIfELi16ELi32ELi8ELin1ELi0ELb1ELc84ELc76EKS1_S1_EviT_PT9_S3_lS5_S3_lPT10_S3_li.uses_vcc, 1
	.set _ZL37rocblas_syrkx_herkx_restricted_kernelIl19rocblas_complex_numIfELi16ELi32ELi8ELin1ELi0ELb1ELc84ELc76EKS1_S1_EviT_PT9_S3_lS5_S3_lPT10_S3_li.uses_flat_scratch, 0
	.set _ZL37rocblas_syrkx_herkx_restricted_kernelIl19rocblas_complex_numIfELi16ELi32ELi8ELin1ELi0ELb1ELc84ELc76EKS1_S1_EviT_PT9_S3_lS5_S3_lPT10_S3_li.has_dyn_sized_stack, 0
	.set _ZL37rocblas_syrkx_herkx_restricted_kernelIl19rocblas_complex_numIfELi16ELi32ELi8ELin1ELi0ELb1ELc84ELc76EKS1_S1_EviT_PT9_S3_lS5_S3_lPT10_S3_li.has_recursion, 0
	.set _ZL37rocblas_syrkx_herkx_restricted_kernelIl19rocblas_complex_numIfELi16ELi32ELi8ELin1ELi0ELb1ELc84ELc76EKS1_S1_EviT_PT9_S3_lS5_S3_lPT10_S3_li.has_indirect_call, 0
	.section	.AMDGPU.csdata,"",@progbits
; Kernel info:
; codeLenInByte = 2128
; TotalNumSgprs: 32
; NumVgprs: 41
; ScratchSize: 0
; MemoryBound: 0
; FloatMode: 240
; IeeeMode: 1
; LDSByteSize: 4096 bytes/workgroup (compile time only)
; SGPRBlocks: 3
; VGPRBlocks: 10
; NumSGPRsForWavesPerEU: 32
; NumVGPRsForWavesPerEU: 41
; Occupancy: 5
; WaveLimiterHint : 1
; COMPUTE_PGM_RSRC2:SCRATCH_EN: 0
; COMPUTE_PGM_RSRC2:USER_SGPR: 6
; COMPUTE_PGM_RSRC2:TRAP_HANDLER: 0
; COMPUTE_PGM_RSRC2:TGID_X_EN: 1
; COMPUTE_PGM_RSRC2:TGID_Y_EN: 1
; COMPUTE_PGM_RSRC2:TGID_Z_EN: 1
; COMPUTE_PGM_RSRC2:TIDIG_COMP_CNT: 1
	.section	.text._ZL37rocblas_syrkx_herkx_restricted_kernelIl19rocblas_complex_numIfELi16ELi32ELi8ELin1ELi0ELb1ELc67ELc76EKS1_S1_EviT_PT9_S3_lS5_S3_lPT10_S3_li,"axG",@progbits,_ZL37rocblas_syrkx_herkx_restricted_kernelIl19rocblas_complex_numIfELi16ELi32ELi8ELin1ELi0ELb1ELc67ELc76EKS1_S1_EviT_PT9_S3_lS5_S3_lPT10_S3_li,comdat
	.globl	_ZL37rocblas_syrkx_herkx_restricted_kernelIl19rocblas_complex_numIfELi16ELi32ELi8ELin1ELi0ELb1ELc67ELc76EKS1_S1_EviT_PT9_S3_lS5_S3_lPT10_S3_li ; -- Begin function _ZL37rocblas_syrkx_herkx_restricted_kernelIl19rocblas_complex_numIfELi16ELi32ELi8ELin1ELi0ELb1ELc67ELc76EKS1_S1_EviT_PT9_S3_lS5_S3_lPT10_S3_li
	.p2align	8
	.type	_ZL37rocblas_syrkx_herkx_restricted_kernelIl19rocblas_complex_numIfELi16ELi32ELi8ELin1ELi0ELb1ELc67ELc76EKS1_S1_EviT_PT9_S3_lS5_S3_lPT10_S3_li,@function
_ZL37rocblas_syrkx_herkx_restricted_kernelIl19rocblas_complex_numIfELi16ELi32ELi8ELin1ELi0ELb1ELc67ELc76EKS1_S1_EviT_PT9_S3_lS5_S3_lPT10_S3_li: ; @_ZL37rocblas_syrkx_herkx_restricted_kernelIl19rocblas_complex_numIfELi16ELi32ELi8ELin1ELi0ELb1ELc67ELc76EKS1_S1_EviT_PT9_S3_lS5_S3_lPT10_S3_li
; %bb.0:
	s_load_dwordx16 s[12:27], s[4:5], 0x8
	s_lshl_b32 s2, s6, 5
	s_lshl_b32 s3, s7, 5
	s_waitcnt lgkmcnt(0)
	v_cmp_lt_i64_e64 s[0:1], s[12:13], 1
	s_and_b64 vcc, exec, s[0:1]
	s_cbranch_vccnz .LBB1253_3
; %bb.1:
	v_lshl_add_u32 v4, v1, 4, v0
	v_lshrrev_b32_e32 v6, 3, v4
	v_add_u32_e32 v2, s3, v6
	v_ashrrev_i32_e32 v3, 31, v2
	v_and_b32_e32 v9, 7, v0
	v_mov_b32_e32 v10, 0
	v_mul_lo_u32 v5, s22, v3
	v_mul_lo_u32 v7, s23, v2
	v_mad_u64_u32 v[2:3], s[0:1], s22, v2, v[9:10]
	s_mul_i32 s6, s19, s8
	s_mul_hi_u32 s7, s18, s8
	v_add3_u32 v3, v7, v3, v5
	v_and_b32_e32 v7, 31, v4
	v_lshrrev_b32_e32 v4, 5, v4
	v_lshlrev_b32_e32 v8, 3, v7
	v_lshl_or_b32 v11, v4, 8, v8
	v_lshlrev_b32_e32 v8, 3, v9
	v_lshl_or_b32 v6, v6, 6, v8
	v_add_u32_e32 v12, 0x800, v6
	v_mov_b32_e32 v6, 0x800
	v_lshl_add_u32 v14, v1, 6, v6
	v_add_u32_e32 v6, s2, v7
	v_mov_b32_e32 v5, v10
	v_ashrrev_i32_e32 v7, 31, v6
	v_mul_lo_u32 v7, s16, v7
	v_mad_u64_u32 v[4:5], s[0:1], s16, v6, v[4:5]
	v_mul_lo_u32 v6, s17, v6
	s_add_i32 s1, s7, s6
	s_mul_i32 s0, s18, s8
	s_lshl_b64 s[0:1], s[0:1], 3
	v_add3_u32 v5, v6, v5, v7
	v_lshlrev_b64 v[4:5], 3, v[4:5]
	s_add_u32 s0, s14, s0
	s_addc_u32 s1, s15, s1
	v_mov_b32_e32 v6, s1
	v_add_co_u32_e32 v4, vcc, s0, v4
	s_mul_i32 s0, s25, s8
	s_mul_hi_u32 s1, s24, s8
	s_add_i32 s1, s1, s0
	s_mul_i32 s0, s24, s8
	v_addc_co_u32_e32 v5, vcc, v6, v5, vcc
	s_lshl_b64 s[0:1], s[0:1], 3
	v_add_co_u32_e32 v6, vcc, 4, v4
	v_lshlrev_b64 v[2:3], 3, v[2:3]
	s_add_u32 s0, s20, s0
	v_addc_co_u32_e32 v7, vcc, 0, v5, vcc
	s_addc_u32 s1, s21, s1
	v_mov_b32_e32 v4, s1
	v_add_co_u32_e32 v2, vcc, s0, v2
	v_addc_co_u32_e32 v3, vcc, v4, v3, vcc
	v_add_co_u32_e32 v8, vcc, 4, v2
	v_lshlrev_b32_e32 v13, 3, v0
	v_addc_co_u32_e32 v9, vcc, 0, v3, vcc
	s_mov_b64 s[0:1], 0
	v_mov_b32_e32 v15, v10
	v_mov_b32_e32 v16, v10
	;; [unrolled: 1-line block ×7, first 2 shown]
.LBB1253_2:                             ; =>This Inner Loop Header: Depth=1
	global_load_dwordx2 v[2:3], v[6:7], off offset:-4
	v_add_co_u32_e32 v6, vcc, 64, v6
	s_add_u32 s0, s0, 8
	v_addc_co_u32_e32 v7, vcc, 0, v7, vcc
	s_addc_u32 s1, s1, 0
	s_waitcnt vmcnt(0)
	v_xor_b32_e32 v3, 0x80000000, v3
	ds_write_b64 v11, v[2:3]
	global_load_dwordx2 v[2:3], v[8:9], off offset:-4
	v_add_co_u32_e32 v8, vcc, 64, v8
	v_addc_co_u32_e32 v9, vcc, 0, v9, vcc
	s_waitcnt vmcnt(0)
	ds_write_b64 v12, v[2:3]
	s_waitcnt lgkmcnt(0)
	s_barrier
	ds_read_b128 v[22:25], v14
	ds_read_b128 v[26:29], v14 offset:16
	ds_read_b128 v[30:33], v14 offset:32
	;; [unrolled: 1-line block ×3, first 2 shown]
	ds_read2_b64 v[34:37], v13 offset1:16
	s_waitcnt lgkmcnt(0)
	v_mul_f32_e32 v38, v23, v35
	v_mul_f32_e32 v39, v22, v35
	v_fma_f32 v38, v22, v34, -v38
	v_fmac_f32_e32 v39, v23, v34
	v_add_f32_e32 v38, v20, v38
	v_add_f32_e32 v39, v21, v39
	v_mul_f32_e32 v20, v23, v37
	v_mul_f32_e32 v21, v22, v37
	v_fma_f32 v20, v22, v36, -v20
	v_fmac_f32_e32 v21, v23, v36
	v_add_f32_e32 v22, v19, v20
	v_add_f32_e32 v23, v18, v21
	ds_read_b128 v[18:21], v14 offset:1024
	s_waitcnt lgkmcnt(0)
	v_mul_f32_e32 v40, v19, v35
	v_mul_f32_e32 v35, v18, v35
	v_fma_f32 v40, v18, v34, -v40
	v_fmac_f32_e32 v35, v19, v34
	v_add_f32_e32 v34, v17, v40
	v_add_f32_e32 v35, v16, v35
	v_mul_f32_e32 v16, v19, v37
	v_mul_f32_e32 v17, v18, v37
	v_fma_f32 v16, v18, v36, -v16
	v_fmac_f32_e32 v17, v19, v36
	v_add_f32_e32 v19, v15, v16
	v_add_f32_e32 v10, v10, v17
	ds_read2_b64 v[15:18], v13 offset0:32 offset1:48
	s_waitcnt lgkmcnt(0)
	v_mul_f32_e32 v36, v25, v16
	v_fma_f32 v36, v24, v15, -v36
	v_add_f32_e32 v36, v38, v36
	v_mul_f32_e32 v38, v25, v18
	v_mul_f32_e32 v37, v24, v16
	v_fma_f32 v38, v24, v17, -v38
	v_mul_f32_e32 v24, v24, v18
	v_fmac_f32_e32 v24, v25, v17
	v_add_f32_e32 v23, v23, v24
	v_mul_f32_e32 v24, v21, v16
	v_mul_f32_e32 v16, v20, v16
	v_fmac_f32_e32 v16, v21, v15
	v_fmac_f32_e32 v37, v25, v15
	v_fma_f32 v24, v20, v15, -v24
	v_add_f32_e32 v25, v35, v16
	v_mul_f32_e32 v15, v21, v18
	v_mul_f32_e32 v16, v20, v18
	v_fma_f32 v15, v20, v17, -v15
	v_fmac_f32_e32 v16, v21, v17
	v_add_f32_e32 v24, v34, v24
	v_add_f32_e32 v34, v19, v15
	;; [unrolled: 1-line block ×3, first 2 shown]
	ds_read2_b64 v[15:18], v13 offset0:64 offset1:80
	v_add_f32_e32 v37, v39, v37
	v_add_f32_e32 v22, v22, v38
	s_waitcnt lgkmcnt(0)
	v_mul_f32_e32 v19, v27, v16
	v_mul_f32_e32 v20, v26, v16
	v_fma_f32 v19, v26, v15, -v19
	v_fmac_f32_e32 v20, v27, v15
	v_add_f32_e32 v35, v36, v19
	v_add_f32_e32 v36, v37, v20
	v_mul_f32_e32 v19, v27, v18
	v_mul_f32_e32 v20, v26, v18
	v_fma_f32 v19, v26, v17, -v19
	v_fmac_f32_e32 v20, v27, v17
	v_add_f32_e32 v26, v22, v19
	v_add_f32_e32 v23, v23, v20
	ds_read_b128 v[19:22], v14 offset:1040
	s_waitcnt lgkmcnt(0)
	v_mul_f32_e32 v27, v20, v16
	v_mul_f32_e32 v16, v19, v16
	v_fmac_f32_e32 v16, v20, v15
	v_fma_f32 v27, v19, v15, -v27
	v_add_f32_e32 v25, v25, v16
	v_mul_f32_e32 v15, v20, v18
	v_mul_f32_e32 v16, v19, v18
	v_fma_f32 v15, v19, v17, -v15
	v_fmac_f32_e32 v16, v20, v17
	v_add_f32_e32 v19, v34, v15
	v_add_f32_e32 v10, v10, v16
	ds_read2_b64 v[15:18], v13 offset0:96 offset1:112
	v_add_f32_e32 v24, v24, v27
	s_waitcnt lgkmcnt(0)
	v_mul_f32_e32 v20, v29, v16
	v_mul_f32_e32 v34, v29, v18
	v_fma_f32 v20, v28, v15, -v20
	v_mul_f32_e32 v27, v28, v16
	v_fma_f32 v34, v28, v17, -v34
	v_mul_f32_e32 v28, v28, v18
	v_fmac_f32_e32 v28, v29, v17
	v_add_f32_e32 v23, v23, v28
	v_mul_f32_e32 v28, v22, v16
	v_mul_f32_e32 v16, v21, v16
	v_fmac_f32_e32 v16, v22, v15
	v_fmac_f32_e32 v27, v29, v15
	v_fma_f32 v28, v21, v15, -v28
	v_add_f32_e32 v25, v25, v16
	v_mul_f32_e32 v15, v22, v18
	v_mul_f32_e32 v16, v21, v18
	v_fma_f32 v15, v21, v17, -v15
	v_fmac_f32_e32 v16, v22, v17
	v_add_f32_e32 v24, v24, v28
	v_add_f32_e32 v28, v19, v15
	;; [unrolled: 1-line block ×3, first 2 shown]
	ds_read2_b64 v[15:18], v13 offset0:128 offset1:144
	v_add_f32_e32 v20, v35, v20
	v_add_f32_e32 v27, v36, v27
	;; [unrolled: 1-line block ×3, first 2 shown]
	s_waitcnt lgkmcnt(0)
	v_mul_f32_e32 v19, v31, v16
	v_fma_f32 v19, v30, v15, -v19
	v_mul_f32_e32 v21, v30, v16
	v_add_f32_e32 v29, v20, v19
	v_mul_f32_e32 v19, v31, v18
	v_mul_f32_e32 v20, v30, v18
	v_fmac_f32_e32 v21, v31, v15
	v_fma_f32 v19, v30, v17, -v19
	v_fmac_f32_e32 v20, v31, v17
	v_add_f32_e32 v27, v27, v21
	v_add_f32_e32 v26, v26, v19
	;; [unrolled: 1-line block ×3, first 2 shown]
	ds_read_b128 v[19:22], v14 offset:1056
	s_waitcnt lgkmcnt(0)
	v_mul_f32_e32 v30, v20, v16
	v_mul_f32_e32 v16, v19, v16
	v_fmac_f32_e32 v16, v20, v15
	v_fma_f32 v30, v19, v15, -v30
	v_add_f32_e32 v25, v25, v16
	v_mul_f32_e32 v15, v20, v18
	v_mul_f32_e32 v16, v19, v18
	v_fma_f32 v15, v19, v17, -v15
	v_fmac_f32_e32 v16, v20, v17
	v_add_f32_e32 v19, v28, v15
	v_add_f32_e32 v10, v10, v16
	ds_read2_b64 v[15:18], v13 offset0:160 offset1:176
	v_add_f32_e32 v24, v24, v30
	s_waitcnt lgkmcnt(0)
	v_mul_f32_e32 v28, v32, v16
	v_fmac_f32_e32 v28, v33, v15
	v_add_f32_e32 v27, v27, v28
	v_mul_f32_e32 v28, v33, v18
	v_fma_f32 v28, v32, v17, -v28
	v_mul_f32_e32 v20, v33, v16
	v_add_f32_e32 v26, v26, v28
	v_mul_f32_e32 v28, v22, v16
	v_mul_f32_e32 v16, v21, v16
	v_fmac_f32_e32 v16, v22, v15
	v_fma_f32 v20, v32, v15, -v20
	v_fma_f32 v28, v21, v15, -v28
	v_add_f32_e32 v25, v25, v16
	v_mul_f32_e32 v15, v22, v18
	v_mul_f32_e32 v16, v21, v18
	v_add_f32_e32 v20, v29, v20
	v_mul_f32_e32 v29, v32, v18
	v_fma_f32 v15, v21, v17, -v15
	v_fmac_f32_e32 v16, v22, v17
	v_fmac_f32_e32 v29, v33, v17
	v_add_f32_e32 v19, v19, v15
	v_add_f32_e32 v10, v10, v16
	ds_read2_b64 v[15:18], v13 offset0:192 offset1:208
	v_add_f32_e32 v24, v24, v28
	v_add_f32_e32 v23, v23, v29
	s_waitcnt lgkmcnt(0)
	v_mul_f32_e32 v21, v3, v16
	v_fma_f32 v21, v2, v15, -v21
	v_add_f32_e32 v28, v20, v21
	v_mul_f32_e32 v20, v3, v18
	v_mul_f32_e32 v22, v2, v16
	v_fma_f32 v20, v2, v17, -v20
	v_mul_f32_e32 v2, v2, v18
	v_fmac_f32_e32 v22, v3, v15
	v_fmac_f32_e32 v2, v3, v17
	v_add_f32_e32 v29, v27, v22
	v_add_f32_e32 v3, v26, v20
	;; [unrolled: 1-line block ×3, first 2 shown]
	ds_read_b128 v[20:23], v14 offset:1072
	s_waitcnt lgkmcnt(0)
	v_mul_f32_e32 v26, v21, v16
	v_fma_f32 v26, v20, v15, -v26
	v_mul_f32_e32 v16, v20, v16
	v_fmac_f32_e32 v16, v21, v15
	v_add_f32_e32 v15, v24, v26
	v_mul_f32_e32 v24, v21, v18
	v_fma_f32 v24, v20, v17, -v24
	v_add_f32_e32 v16, v25, v16
	v_add_f32_e32 v30, v19, v24
	ds_read2_b64 v[24:27], v13 offset0:224 offset1:240
	v_mul_f32_e32 v18, v20, v18
	v_fmac_f32_e32 v18, v21, v17
	v_add_f32_e32 v10, v10, v18
	s_waitcnt lgkmcnt(0)
	v_mul_f32_e32 v17, v5, v25
	v_fma_f32 v17, v4, v24, -v17
	v_add_f32_e32 v20, v28, v17
	v_mul_f32_e32 v17, v5, v27
	v_mul_f32_e32 v18, v4, v25
	v_fma_f32 v17, v4, v26, -v17
	v_mul_f32_e32 v4, v4, v27
	v_fmac_f32_e32 v18, v5, v24
	v_fmac_f32_e32 v4, v5, v26
	v_add_f32_e32 v21, v29, v18
	v_add_f32_e32 v19, v3, v17
	;; [unrolled: 1-line block ×3, first 2 shown]
	v_mul_f32_e32 v2, v23, v25
	v_mul_f32_e32 v3, v22, v25
	v_fma_f32 v2, v22, v24, -v2
	v_fmac_f32_e32 v3, v23, v24
	v_add_f32_e32 v17, v15, v2
	v_add_f32_e32 v16, v16, v3
	v_mul_f32_e32 v2, v23, v27
	v_mul_f32_e32 v3, v22, v27
	v_fma_f32 v2, v22, v26, -v2
	v_fmac_f32_e32 v3, v23, v26
	v_add_f32_e32 v15, v30, v2
	v_add_f32_e32 v10, v10, v3
	v_mov_b32_e32 v3, s1
	v_mov_b32_e32 v2, s0
	v_cmp_le_u64_e32 vcc, s[12:13], v[2:3]
	s_barrier
	s_cbranch_vccz .LBB1253_2
	s_branch .LBB1253_4
.LBB1253_3:
	v_mov_b32_e32 v20, 0
	v_mov_b32_e32 v21, 0
	;; [unrolled: 1-line block ×8, first 2 shown]
.LBB1253_4:
	s_load_dwordx4 s[12:15], s[4:5], 0x48
	s_load_dword s9, s[4:5], 0x0
	v_add_u32_e32 v5, s3, v1
	v_ashrrev_i32_e32 v1, 31, v5
	v_add_u32_e32 v0, s2, v0
	s_waitcnt lgkmcnt(0)
	v_mul_lo_u32 v3, s12, v1
	v_mul_lo_u32 v4, s13, v5
	v_mad_u64_u32 v[1:2], s[4:5], s12, v5, 0
	s_mul_i32 s1, s15, s8
	s_mul_hi_u32 s3, s14, s8
	s_mul_i32 s0, s14, s8
	s_add_i32 s1, s3, s1
	s_lshl_b64 s[0:1], s[0:1], 3
	v_add3_u32 v2, v2, v3, v4
	s_add_u32 s6, s26, s0
	v_lshlrev_b64 v[1:2], 3, v[1:2]
	s_addc_u32 s7, s27, s1
	v_mov_b32_e32 v3, s7
	v_add_co_u32_e32 v4, vcc, s6, v1
	v_addc_co_u32_e32 v6, vcc, v3, v2, vcc
	v_cmp_le_i32_e64 s[0:1], v5, v0
	v_cmp_gt_i32_e32 vcc, s9, v0
	s_and_b64 s[0:1], s[0:1], vcc
	s_and_saveexec_b64 s[2:3], s[0:1]
	s_cbranch_execz .LBB1253_7
; %bb.5:
	v_ashrrev_i32_e32 v1, 31, v0
	v_lshlrev_b64 v[1:2], 3, v[0:1]
	v_xor_b32_e32 v7, 0x80000000, v20
	v_add_co_u32_e64 v1, s[0:1], v4, v1
	v_addc_co_u32_e64 v2, s[0:1], v6, v2, s[0:1]
	v_xor_b32_e32 v8, 0x80000000, v21
	v_cmp_eq_u32_e64 s[0:1], v5, v0
	global_store_dwordx2 v[1:2], v[7:8], off
	s_and_b64 exec, exec, s[0:1]
	s_cbranch_execz .LBB1253_7
; %bb.6:
	v_mov_b32_e32 v3, 0
	global_store_dword v[1:2], v3, off offset:4
.LBB1253_7:
	s_or_b64 exec, exec, s[2:3]
	v_add_u32_e32 v2, 16, v0
	v_cmp_le_i32_e64 s[2:3], v5, v2
	v_cmp_gt_i32_e64 s[0:1], s9, v2
	s_and_b64 s[2:3], s[2:3], s[0:1]
	s_and_saveexec_b64 s[4:5], s[2:3]
	s_cbranch_execz .LBB1253_10
; %bb.8:
	v_ashrrev_i32_e32 v3, 31, v2
	v_lshlrev_b64 v[11:12], 3, v[2:3]
	v_xor_b32_e32 v7, 0x80000000, v19
	v_add_co_u32_e64 v3, s[2:3], v4, v11
	v_addc_co_u32_e64 v4, s[2:3], v6, v12, s[2:3]
	v_xor_b32_e32 v8, 0x80000000, v18
	v_cmp_eq_u32_e64 s[2:3], v5, v2
	global_store_dwordx2 v[3:4], v[7:8], off
	s_and_b64 exec, exec, s[2:3]
	s_cbranch_execz .LBB1253_10
; %bb.9:
	v_mov_b32_e32 v1, 0
	global_store_dword v[3:4], v1, off offset:4
.LBB1253_10:
	s_or_b64 exec, exec, s[4:5]
	v_add_u32_e32 v8, 16, v5
	v_ashrrev_i32_e32 v1, 31, v8
	v_mul_lo_u32 v6, s13, v8
	v_mad_u64_u32 v[3:4], s[2:3], s12, v8, 0
	v_mul_lo_u32 v1, s12, v1
	v_add3_u32 v4, v4, v1, v6
	v_lshlrev_b64 v[3:4], 3, v[3:4]
	v_mov_b32_e32 v1, s7
	v_add_co_u32_e64 v6, s[2:3], s6, v3
	v_addc_co_u32_e64 v7, s[2:3], v1, v4, s[2:3]
	v_cmp_le_i32_e64 s[2:3], v8, v0
	s_and_b64 s[4:5], s[2:3], vcc
	s_and_saveexec_b64 s[2:3], s[4:5]
	s_cbranch_execz .LBB1253_13
; %bb.11:
	v_ashrrev_i32_e32 v1, 31, v0
	v_lshlrev_b64 v[3:4], 3, v[0:1]
	v_xor_b32_e32 v11, 0x80000000, v17
	v_add_co_u32_e32 v3, vcc, v6, v3
	v_addc_co_u32_e32 v4, vcc, v7, v4, vcc
	v_xor_b32_e32 v12, 0x80000000, v16
	v_cmp_eq_u32_e32 vcc, v8, v0
	global_store_dwordx2 v[3:4], v[11:12], off
	s_and_b64 exec, exec, vcc
	s_cbranch_execz .LBB1253_13
; %bb.12:
	v_mov_b32_e32 v1, 0
	global_store_dword v[3:4], v1, off offset:4
.LBB1253_13:
	s_or_b64 exec, exec, s[2:3]
	v_cmp_le_i32_e32 vcc, v8, v2
	s_and_b64 s[0:1], vcc, s[0:1]
	s_and_saveexec_b64 s[2:3], s[0:1]
	s_cbranch_execz .LBB1253_16
; %bb.14:
	v_ashrrev_i32_e32 v3, 31, v2
	v_lshlrev_b64 v[1:2], 3, v[2:3]
	v_xor_b32_e32 v8, 0x80000000, v15
	v_add_co_u32_e32 v1, vcc, v6, v1
	v_addc_co_u32_e32 v2, vcc, v7, v2, vcc
	v_xor_b32_e32 v9, 0x80000000, v10
	v_cmp_eq_u32_e32 vcc, v5, v0
	global_store_dwordx2 v[1:2], v[8:9], off
	s_and_b64 exec, exec, vcc
	s_cbranch_execz .LBB1253_16
; %bb.15:
	v_mov_b32_e32 v0, 0
	global_store_dword v[1:2], v0, off offset:4
.LBB1253_16:
	s_endpgm
	.section	.rodata,"a",@progbits
	.p2align	6, 0x0
	.amdhsa_kernel _ZL37rocblas_syrkx_herkx_restricted_kernelIl19rocblas_complex_numIfELi16ELi32ELi8ELin1ELi0ELb1ELc67ELc76EKS1_S1_EviT_PT9_S3_lS5_S3_lPT10_S3_li
		.amdhsa_group_segment_fixed_size 4096
		.amdhsa_private_segment_fixed_size 0
		.amdhsa_kernarg_size 92
		.amdhsa_user_sgpr_count 6
		.amdhsa_user_sgpr_private_segment_buffer 1
		.amdhsa_user_sgpr_dispatch_ptr 0
		.amdhsa_user_sgpr_queue_ptr 0
		.amdhsa_user_sgpr_kernarg_segment_ptr 1
		.amdhsa_user_sgpr_dispatch_id 0
		.amdhsa_user_sgpr_flat_scratch_init 0
		.amdhsa_user_sgpr_private_segment_size 0
		.amdhsa_uses_dynamic_stack 0
		.amdhsa_system_sgpr_private_segment_wavefront_offset 0
		.amdhsa_system_sgpr_workgroup_id_x 1
		.amdhsa_system_sgpr_workgroup_id_y 1
		.amdhsa_system_sgpr_workgroup_id_z 1
		.amdhsa_system_sgpr_workgroup_info 0
		.amdhsa_system_vgpr_workitem_id 1
		.amdhsa_next_free_vgpr 41
		.amdhsa_next_free_sgpr 28
		.amdhsa_reserve_vcc 1
		.amdhsa_reserve_flat_scratch 0
		.amdhsa_float_round_mode_32 0
		.amdhsa_float_round_mode_16_64 0
		.amdhsa_float_denorm_mode_32 3
		.amdhsa_float_denorm_mode_16_64 3
		.amdhsa_dx10_clamp 1
		.amdhsa_ieee_mode 1
		.amdhsa_fp16_overflow 0
		.amdhsa_exception_fp_ieee_invalid_op 0
		.amdhsa_exception_fp_denorm_src 0
		.amdhsa_exception_fp_ieee_div_zero 0
		.amdhsa_exception_fp_ieee_overflow 0
		.amdhsa_exception_fp_ieee_underflow 0
		.amdhsa_exception_fp_ieee_inexact 0
		.amdhsa_exception_int_div_zero 0
	.end_amdhsa_kernel
	.section	.text._ZL37rocblas_syrkx_herkx_restricted_kernelIl19rocblas_complex_numIfELi16ELi32ELi8ELin1ELi0ELb1ELc67ELc76EKS1_S1_EviT_PT9_S3_lS5_S3_lPT10_S3_li,"axG",@progbits,_ZL37rocblas_syrkx_herkx_restricted_kernelIl19rocblas_complex_numIfELi16ELi32ELi8ELin1ELi0ELb1ELc67ELc76EKS1_S1_EviT_PT9_S3_lS5_S3_lPT10_S3_li,comdat
.Lfunc_end1253:
	.size	_ZL37rocblas_syrkx_herkx_restricted_kernelIl19rocblas_complex_numIfELi16ELi32ELi8ELin1ELi0ELb1ELc67ELc76EKS1_S1_EviT_PT9_S3_lS5_S3_lPT10_S3_li, .Lfunc_end1253-_ZL37rocblas_syrkx_herkx_restricted_kernelIl19rocblas_complex_numIfELi16ELi32ELi8ELin1ELi0ELb1ELc67ELc76EKS1_S1_EviT_PT9_S3_lS5_S3_lPT10_S3_li
                                        ; -- End function
	.set _ZL37rocblas_syrkx_herkx_restricted_kernelIl19rocblas_complex_numIfELi16ELi32ELi8ELin1ELi0ELb1ELc67ELc76EKS1_S1_EviT_PT9_S3_lS5_S3_lPT10_S3_li.num_vgpr, 41
	.set _ZL37rocblas_syrkx_herkx_restricted_kernelIl19rocblas_complex_numIfELi16ELi32ELi8ELin1ELi0ELb1ELc67ELc76EKS1_S1_EviT_PT9_S3_lS5_S3_lPT10_S3_li.num_agpr, 0
	.set _ZL37rocblas_syrkx_herkx_restricted_kernelIl19rocblas_complex_numIfELi16ELi32ELi8ELin1ELi0ELb1ELc67ELc76EKS1_S1_EviT_PT9_S3_lS5_S3_lPT10_S3_li.numbered_sgpr, 28
	.set _ZL37rocblas_syrkx_herkx_restricted_kernelIl19rocblas_complex_numIfELi16ELi32ELi8ELin1ELi0ELb1ELc67ELc76EKS1_S1_EviT_PT9_S3_lS5_S3_lPT10_S3_li.num_named_barrier, 0
	.set _ZL37rocblas_syrkx_herkx_restricted_kernelIl19rocblas_complex_numIfELi16ELi32ELi8ELin1ELi0ELb1ELc67ELc76EKS1_S1_EviT_PT9_S3_lS5_S3_lPT10_S3_li.private_seg_size, 0
	.set _ZL37rocblas_syrkx_herkx_restricted_kernelIl19rocblas_complex_numIfELi16ELi32ELi8ELin1ELi0ELb1ELc67ELc76EKS1_S1_EviT_PT9_S3_lS5_S3_lPT10_S3_li.uses_vcc, 1
	.set _ZL37rocblas_syrkx_herkx_restricted_kernelIl19rocblas_complex_numIfELi16ELi32ELi8ELin1ELi0ELb1ELc67ELc76EKS1_S1_EviT_PT9_S3_lS5_S3_lPT10_S3_li.uses_flat_scratch, 0
	.set _ZL37rocblas_syrkx_herkx_restricted_kernelIl19rocblas_complex_numIfELi16ELi32ELi8ELin1ELi0ELb1ELc67ELc76EKS1_S1_EviT_PT9_S3_lS5_S3_lPT10_S3_li.has_dyn_sized_stack, 0
	.set _ZL37rocblas_syrkx_herkx_restricted_kernelIl19rocblas_complex_numIfELi16ELi32ELi8ELin1ELi0ELb1ELc67ELc76EKS1_S1_EviT_PT9_S3_lS5_S3_lPT10_S3_li.has_recursion, 0
	.set _ZL37rocblas_syrkx_herkx_restricted_kernelIl19rocblas_complex_numIfELi16ELi32ELi8ELin1ELi0ELb1ELc67ELc76EKS1_S1_EviT_PT9_S3_lS5_S3_lPT10_S3_li.has_indirect_call, 0
	.section	.AMDGPU.csdata,"",@progbits
; Kernel info:
; codeLenInByte = 2136
; TotalNumSgprs: 32
; NumVgprs: 41
; ScratchSize: 0
; MemoryBound: 0
; FloatMode: 240
; IeeeMode: 1
; LDSByteSize: 4096 bytes/workgroup (compile time only)
; SGPRBlocks: 3
; VGPRBlocks: 10
; NumSGPRsForWavesPerEU: 32
; NumVGPRsForWavesPerEU: 41
; Occupancy: 5
; WaveLimiterHint : 1
; COMPUTE_PGM_RSRC2:SCRATCH_EN: 0
; COMPUTE_PGM_RSRC2:USER_SGPR: 6
; COMPUTE_PGM_RSRC2:TRAP_HANDLER: 0
; COMPUTE_PGM_RSRC2:TGID_X_EN: 1
; COMPUTE_PGM_RSRC2:TGID_Y_EN: 1
; COMPUTE_PGM_RSRC2:TGID_Z_EN: 1
; COMPUTE_PGM_RSRC2:TIDIG_COMP_CNT: 1
	.section	.text._ZL37rocblas_syrkx_herkx_restricted_kernelIl19rocblas_complex_numIfELi16ELi32ELi8ELin1ELi0ELb1ELc78ELc76EKS1_S1_EviT_PT9_S3_lS5_S3_lPT10_S3_li,"axG",@progbits,_ZL37rocblas_syrkx_herkx_restricted_kernelIl19rocblas_complex_numIfELi16ELi32ELi8ELin1ELi0ELb1ELc78ELc76EKS1_S1_EviT_PT9_S3_lS5_S3_lPT10_S3_li,comdat
	.globl	_ZL37rocblas_syrkx_herkx_restricted_kernelIl19rocblas_complex_numIfELi16ELi32ELi8ELin1ELi0ELb1ELc78ELc76EKS1_S1_EviT_PT9_S3_lS5_S3_lPT10_S3_li ; -- Begin function _ZL37rocblas_syrkx_herkx_restricted_kernelIl19rocblas_complex_numIfELi16ELi32ELi8ELin1ELi0ELb1ELc78ELc76EKS1_S1_EviT_PT9_S3_lS5_S3_lPT10_S3_li
	.p2align	8
	.type	_ZL37rocblas_syrkx_herkx_restricted_kernelIl19rocblas_complex_numIfELi16ELi32ELi8ELin1ELi0ELb1ELc78ELc76EKS1_S1_EviT_PT9_S3_lS5_S3_lPT10_S3_li,@function
_ZL37rocblas_syrkx_herkx_restricted_kernelIl19rocblas_complex_numIfELi16ELi32ELi8ELin1ELi0ELb1ELc78ELc76EKS1_S1_EviT_PT9_S3_lS5_S3_lPT10_S3_li: ; @_ZL37rocblas_syrkx_herkx_restricted_kernelIl19rocblas_complex_numIfELi16ELi32ELi8ELin1ELi0ELb1ELc78ELc76EKS1_S1_EviT_PT9_S3_lS5_S3_lPT10_S3_li
; %bb.0:
	s_load_dwordx16 s[12:27], s[4:5], 0x8
	s_lshl_b32 s9, s6, 5
	s_lshl_b32 s10, s7, 5
	s_waitcnt lgkmcnt(0)
	v_cmp_lt_i64_e64 s[0:1], s[12:13], 1
	s_and_b64 vcc, exec, s[0:1]
	s_cbranch_vccnz .LBB1254_3
; %bb.1:
	v_lshl_add_u32 v6, v1, 4, v0
	v_lshrrev_b32_e32 v7, 3, v6
	v_add_u32_e32 v2, s10, v7
	v_and_b32_e32 v5, 7, v0
	v_ashrrev_i32_e32 v3, 31, v2
	v_mad_u64_u32 v[2:3], s[0:1], s22, v5, v[2:3]
	v_lshrrev_b32_e32 v8, 5, v6
	s_mul_i32 s2, s19, s8
	v_mad_u64_u32 v[3:4], s[0:1], s23, v5, v[3:4]
	v_and_b32_e32 v4, 31, v6
	v_lshlrev_b32_e32 v5, 3, v5
	v_lshlrev_b32_e32 v6, 3, v4
	v_lshl_or_b32 v5, v7, 6, v5
	v_add_u32_e32 v4, s9, v4
	v_add_u32_e32 v11, 0x800, v5
	v_ashrrev_i32_e32 v5, 31, v4
	v_mad_u64_u32 v[4:5], s[0:1], s16, v8, v[4:5]
	v_lshl_or_b32 v10, v8, 8, v6
	v_mov_b32_e32 v6, 0x800
	v_lshl_add_u32 v13, v1, 6, v6
	v_mad_u64_u32 v[5:6], s[0:1], s17, v8, v[5:6]
	s_mul_hi_u32 s3, s18, s8
	s_add_i32 s1, s3, s2
	s_mul_i32 s0, s18, s8
	s_lshl_b64 s[0:1], s[0:1], 3
	v_lshlrev_b64 v[4:5], 3, v[4:5]
	s_add_u32 s0, s14, s0
	s_addc_u32 s1, s15, s1
	s_mul_i32 s2, s25, s8
	s_mul_hi_u32 s3, s24, s8
	v_mov_b32_e32 v6, s1
	v_add_co_u32_e32 v4, vcc, s0, v4
	s_add_i32 s3, s3, s2
	s_mul_i32 s2, s24, s8
	v_addc_co_u32_e32 v5, vcc, v6, v5, vcc
	s_lshl_b64 s[0:1], s[16:17], 6
	s_lshl_b64 s[2:3], s[2:3], 3
	v_add_co_u32_e32 v6, vcc, 4, v4
	v_lshlrev_b64 v[2:3], 3, v[2:3]
	s_add_u32 s2, s20, s2
	v_addc_co_u32_e32 v7, vcc, 0, v5, vcc
	s_addc_u32 s3, s21, s3
	v_mov_b32_e32 v4, s3
	v_add_co_u32_e32 v2, vcc, s2, v2
	v_addc_co_u32_e32 v3, vcc, v4, v3, vcc
	v_add_co_u32_e32 v8, vcc, 4, v2
	s_lshl_b64 s[2:3], s[22:23], 6
	v_lshlrev_b32_e32 v12, 3, v0
	v_addc_co_u32_e32 v9, vcc, 0, v3, vcc
	v_mov_b32_e32 v16, 0
	s_mov_b64 s[6:7], 0
	v_mov_b32_e32 v14, s1
	v_mov_b32_e32 v15, s3
	v_mov_b32_e32 v17, 0
	v_mov_b32_e32 v18, 0
	v_mov_b32_e32 v19, 0
	v_mov_b32_e32 v20, 0
	v_mov_b32_e32 v21, 0
	v_mov_b32_e32 v23, 0
	v_mov_b32_e32 v22, 0
.LBB1254_2:                             ; =>This Inner Loop Header: Depth=1
	global_load_dwordx2 v[2:3], v[6:7], off offset:-4
	v_add_co_u32_e32 v6, vcc, s0, v6
	s_add_u32 s6, s6, 8
	v_addc_co_u32_e32 v7, vcc, v7, v14, vcc
	s_addc_u32 s7, s7, 0
	s_waitcnt vmcnt(0)
	ds_write_b64 v10, v[2:3]
	global_load_dwordx2 v[2:3], v[8:9], off offset:-4
	v_add_co_u32_e32 v8, vcc, s2, v8
	v_addc_co_u32_e32 v9, vcc, v9, v15, vcc
	s_waitcnt vmcnt(0)
	v_xor_b32_e32 v3, 0x80000000, v3
	ds_write_b64 v11, v[2:3]
	s_waitcnt lgkmcnt(0)
	s_barrier
	ds_read_b128 v[24:27], v13
	ds_read_b128 v[28:31], v13 offset:16
	ds_read_b128 v[32:35], v13 offset:32
	;; [unrolled: 1-line block ×3, first 2 shown]
	ds_read2_b64 v[36:39], v12 offset1:16
	s_waitcnt lgkmcnt(0)
	v_mul_f32_e32 v40, v25, v37
	v_mul_f32_e32 v41, v24, v37
	v_fma_f32 v40, v24, v36, -v40
	v_fmac_f32_e32 v41, v25, v36
	v_add_f32_e32 v40, v22, v40
	v_add_f32_e32 v41, v23, v41
	v_mul_f32_e32 v22, v25, v39
	v_mul_f32_e32 v23, v24, v39
	v_fma_f32 v22, v24, v38, -v22
	v_fmac_f32_e32 v23, v25, v38
	v_add_f32_e32 v24, v21, v22
	v_add_f32_e32 v25, v20, v23
	ds_read_b128 v[20:23], v13 offset:1024
	s_waitcnt lgkmcnt(0)
	v_mul_f32_e32 v42, v21, v37
	v_mul_f32_e32 v37, v20, v37
	v_fma_f32 v42, v20, v36, -v42
	v_fmac_f32_e32 v37, v21, v36
	v_add_f32_e32 v36, v19, v42
	v_add_f32_e32 v37, v18, v37
	v_mul_f32_e32 v18, v21, v39
	v_mul_f32_e32 v19, v20, v39
	v_fma_f32 v18, v20, v38, -v18
	v_fmac_f32_e32 v19, v21, v38
	v_add_f32_e32 v20, v17, v18
	v_add_f32_e32 v21, v16, v19
	ds_read2_b64 v[16:19], v12 offset0:32 offset1:48
	s_waitcnt lgkmcnt(0)
	v_mul_f32_e32 v38, v27, v17
	v_fma_f32 v38, v26, v16, -v38
	v_add_f32_e32 v38, v40, v38
	v_mul_f32_e32 v40, v27, v19
	v_mul_f32_e32 v39, v26, v17
	v_fma_f32 v40, v26, v18, -v40
	v_mul_f32_e32 v26, v26, v19
	v_fmac_f32_e32 v26, v27, v18
	v_add_f32_e32 v25, v25, v26
	v_mul_f32_e32 v26, v23, v17
	v_mul_f32_e32 v17, v22, v17
	v_fmac_f32_e32 v17, v23, v16
	v_fmac_f32_e32 v39, v27, v16
	v_fma_f32 v26, v22, v16, -v26
	v_add_f32_e32 v27, v37, v17
	v_mul_f32_e32 v16, v23, v19
	v_mul_f32_e32 v17, v22, v19
	v_fma_f32 v16, v22, v18, -v16
	v_fmac_f32_e32 v17, v23, v18
	v_add_f32_e32 v26, v36, v26
	v_add_f32_e32 v36, v20, v16
	;; [unrolled: 1-line block ×3, first 2 shown]
	ds_read2_b64 v[16:19], v12 offset0:64 offset1:80
	v_add_f32_e32 v39, v41, v39
	v_add_f32_e32 v24, v24, v40
	s_waitcnt lgkmcnt(0)
	v_mul_f32_e32 v20, v29, v17
	v_mul_f32_e32 v21, v28, v17
	v_fma_f32 v20, v28, v16, -v20
	v_fmac_f32_e32 v21, v29, v16
	v_add_f32_e32 v38, v38, v20
	v_add_f32_e32 v39, v39, v21
	v_mul_f32_e32 v20, v29, v19
	v_mul_f32_e32 v21, v28, v19
	v_fma_f32 v20, v28, v18, -v20
	v_fmac_f32_e32 v21, v29, v18
	v_add_f32_e32 v24, v24, v20
	v_add_f32_e32 v25, v25, v21
	ds_read_b128 v[20:23], v13 offset:1040
	s_waitcnt lgkmcnt(0)
	v_mul_f32_e32 v28, v21, v17
	v_mul_f32_e32 v17, v20, v17
	v_fmac_f32_e32 v17, v21, v16
	v_fma_f32 v28, v20, v16, -v28
	v_add_f32_e32 v27, v27, v17
	v_mul_f32_e32 v16, v21, v19
	v_mul_f32_e32 v17, v20, v19
	v_fma_f32 v16, v20, v18, -v16
	v_fmac_f32_e32 v17, v21, v18
	v_add_f32_e32 v20, v36, v16
	v_add_f32_e32 v21, v37, v17
	ds_read2_b64 v[16:19], v12 offset0:96 offset1:112
	v_add_f32_e32 v26, v26, v28
	s_waitcnt lgkmcnt(0)
	v_mul_f32_e32 v28, v31, v17
	v_mul_f32_e32 v36, v31, v19
	v_fma_f32 v28, v30, v16, -v28
	v_mul_f32_e32 v29, v30, v17
	v_fma_f32 v36, v30, v18, -v36
	v_mul_f32_e32 v30, v30, v19
	v_fmac_f32_e32 v30, v31, v18
	v_add_f32_e32 v25, v25, v30
	v_mul_f32_e32 v30, v23, v17
	v_mul_f32_e32 v17, v22, v17
	v_fmac_f32_e32 v17, v23, v16
	v_fmac_f32_e32 v29, v31, v16
	v_fma_f32 v30, v22, v16, -v30
	v_add_f32_e32 v27, v27, v17
	v_mul_f32_e32 v16, v23, v19
	v_mul_f32_e32 v17, v22, v19
	v_fma_f32 v16, v22, v18, -v16
	v_fmac_f32_e32 v17, v23, v18
	v_add_f32_e32 v26, v26, v30
	v_add_f32_e32 v30, v20, v16
	;; [unrolled: 1-line block ×3, first 2 shown]
	ds_read2_b64 v[16:19], v12 offset0:128 offset1:144
	v_add_f32_e32 v28, v38, v28
	v_add_f32_e32 v29, v39, v29
	;; [unrolled: 1-line block ×3, first 2 shown]
	s_waitcnt lgkmcnt(0)
	v_mul_f32_e32 v20, v33, v17
	v_mul_f32_e32 v21, v32, v17
	v_fma_f32 v20, v32, v16, -v20
	v_fmac_f32_e32 v21, v33, v16
	v_add_f32_e32 v28, v28, v20
	v_add_f32_e32 v29, v29, v21
	v_mul_f32_e32 v20, v33, v19
	v_mul_f32_e32 v21, v32, v19
	v_fma_f32 v20, v32, v18, -v20
	v_fmac_f32_e32 v21, v33, v18
	v_add_f32_e32 v24, v24, v20
	v_add_f32_e32 v25, v25, v21
	ds_read_b128 v[20:23], v13 offset:1056
	s_waitcnt lgkmcnt(0)
	v_mul_f32_e32 v32, v21, v17
	v_mul_f32_e32 v17, v20, v17
	v_fmac_f32_e32 v17, v21, v16
	v_fma_f32 v32, v20, v16, -v32
	v_add_f32_e32 v27, v27, v17
	v_mul_f32_e32 v16, v21, v19
	v_mul_f32_e32 v17, v20, v19
	v_fma_f32 v16, v20, v18, -v16
	v_fmac_f32_e32 v17, v21, v18
	v_add_f32_e32 v20, v30, v16
	v_add_f32_e32 v21, v31, v17
	ds_read2_b64 v[16:19], v12 offset0:160 offset1:176
	v_add_f32_e32 v26, v26, v32
	s_waitcnt lgkmcnt(0)
	v_mul_f32_e32 v30, v35, v17
	v_fma_f32 v30, v34, v16, -v30
	v_add_f32_e32 v28, v28, v30
	v_mul_f32_e32 v30, v35, v19
	v_fma_f32 v30, v34, v18, -v30
	v_mul_f32_e32 v31, v34, v17
	v_add_f32_e32 v24, v24, v30
	v_mul_f32_e32 v30, v23, v17
	v_mul_f32_e32 v17, v22, v17
	v_fmac_f32_e32 v17, v23, v16
	v_fmac_f32_e32 v31, v35, v16
	v_fma_f32 v30, v22, v16, -v30
	v_add_f32_e32 v27, v27, v17
	v_mul_f32_e32 v16, v23, v19
	v_mul_f32_e32 v17, v22, v19
	v_add_f32_e32 v29, v29, v31
	v_mul_f32_e32 v31, v34, v19
	v_fma_f32 v16, v22, v18, -v16
	v_fmac_f32_e32 v17, v23, v18
	v_fmac_f32_e32 v31, v35, v18
	v_add_f32_e32 v20, v20, v16
	v_add_f32_e32 v21, v21, v17
	ds_read2_b64 v[16:19], v12 offset0:192 offset1:208
	v_add_f32_e32 v26, v26, v30
	v_add_f32_e32 v25, v25, v31
	s_waitcnt lgkmcnt(0)
	v_mul_f32_e32 v22, v3, v17
	v_fma_f32 v22, v2, v16, -v22
	v_add_f32_e32 v30, v28, v22
	v_mul_f32_e32 v22, v3, v19
	v_mul_f32_e32 v23, v2, v17
	v_fma_f32 v22, v2, v18, -v22
	v_mul_f32_e32 v2, v2, v19
	v_fmac_f32_e32 v23, v3, v16
	v_fmac_f32_e32 v2, v3, v18
	v_add_f32_e32 v31, v29, v23
	v_add_f32_e32 v3, v24, v22
	;; [unrolled: 1-line block ×3, first 2 shown]
	ds_read_b128 v[22:25], v13 offset:1072
	s_waitcnt lgkmcnt(0)
	v_mul_f32_e32 v28, v23, v17
	v_fma_f32 v28, v22, v16, -v28
	v_mul_f32_e32 v17, v22, v17
	v_fmac_f32_e32 v17, v23, v16
	v_add_f32_e32 v16, v26, v28
	v_mul_f32_e32 v26, v23, v19
	v_fma_f32 v26, v22, v18, -v26
	v_add_f32_e32 v17, v27, v17
	v_add_f32_e32 v32, v20, v26
	ds_read2_b64 v[26:29], v12 offset0:224 offset1:240
	v_mul_f32_e32 v19, v22, v19
	v_fmac_f32_e32 v19, v23, v18
	v_add_f32_e32 v33, v21, v19
	s_waitcnt lgkmcnt(0)
	v_mul_f32_e32 v18, v5, v27
	v_fma_f32 v18, v4, v26, -v18
	v_add_f32_e32 v22, v30, v18
	v_mul_f32_e32 v18, v5, v29
	v_mul_f32_e32 v19, v4, v27
	v_fma_f32 v18, v4, v28, -v18
	v_mul_f32_e32 v4, v4, v29
	v_fmac_f32_e32 v4, v5, v28
	v_add_f32_e32 v21, v3, v18
	v_add_f32_e32 v20, v2, v4
	v_mul_f32_e32 v2, v25, v27
	v_mul_f32_e32 v3, v24, v27
	v_fmac_f32_e32 v19, v5, v26
	v_fma_f32 v2, v24, v26, -v2
	v_fmac_f32_e32 v3, v25, v26
	v_add_f32_e32 v23, v31, v19
	v_add_f32_e32 v19, v16, v2
	;; [unrolled: 1-line block ×3, first 2 shown]
	v_mul_f32_e32 v2, v25, v29
	v_mul_f32_e32 v3, v24, v29
	v_fma_f32 v2, v24, v28, -v2
	v_fmac_f32_e32 v3, v25, v28
	v_add_f32_e32 v17, v32, v2
	v_add_f32_e32 v16, v33, v3
	v_mov_b32_e32 v2, s6
	v_mov_b32_e32 v3, s7
	v_cmp_le_u64_e32 vcc, s[12:13], v[2:3]
	s_barrier
	s_cbranch_vccz .LBB1254_2
	s_branch .LBB1254_4
.LBB1254_3:
	v_mov_b32_e32 v22, 0
	v_mov_b32_e32 v23, 0
	;; [unrolled: 1-line block ×8, first 2 shown]
.LBB1254_4:
	s_load_dwordx4 s[12:15], s[4:5], 0x48
	s_load_dword s11, s[4:5], 0x0
	v_add_u32_e32 v5, s10, v1
	v_ashrrev_i32_e32 v1, 31, v5
	v_add_u32_e32 v0, s9, v0
	s_waitcnt lgkmcnt(0)
	s_mul_i32 s1, s15, s8
	s_mul_hi_u32 s2, s14, s8
	s_add_i32 s1, s2, s1
	v_mul_lo_u32 v3, s12, v1
	v_mul_lo_u32 v4, s13, v5
	v_mad_u64_u32 v[1:2], s[2:3], s12, v5, 0
	s_mul_i32 s0, s14, s8
	s_lshl_b64 s[0:1], s[0:1], 3
	v_add3_u32 v2, v2, v3, v4
	s_add_u32 s6, s26, s0
	v_lshlrev_b64 v[1:2], 3, v[1:2]
	s_addc_u32 s7, s27, s1
	v_mov_b32_e32 v3, s7
	v_add_co_u32_e32 v4, vcc, s6, v1
	v_addc_co_u32_e32 v6, vcc, v3, v2, vcc
	v_cmp_le_i32_e64 s[0:1], v5, v0
	v_cmp_gt_i32_e32 vcc, s11, v0
	s_and_b64 s[0:1], s[0:1], vcc
	s_and_saveexec_b64 s[2:3], s[0:1]
	s_cbranch_execz .LBB1254_7
; %bb.5:
	v_ashrrev_i32_e32 v1, 31, v0
	v_lshlrev_b64 v[1:2], 3, v[0:1]
	v_xor_b32_e32 v7, 0x80000000, v22
	v_add_co_u32_e64 v1, s[0:1], v4, v1
	v_addc_co_u32_e64 v2, s[0:1], v6, v2, s[0:1]
	v_xor_b32_e32 v8, 0x80000000, v23
	v_cmp_eq_u32_e64 s[0:1], v5, v0
	global_store_dwordx2 v[1:2], v[7:8], off
	s_and_b64 exec, exec, s[0:1]
	s_cbranch_execz .LBB1254_7
; %bb.6:
	v_mov_b32_e32 v3, 0
	global_store_dword v[1:2], v3, off offset:4
.LBB1254_7:
	s_or_b64 exec, exec, s[2:3]
	v_add_u32_e32 v2, 16, v0
	v_cmp_le_i32_e64 s[2:3], v5, v2
	v_cmp_gt_i32_e64 s[0:1], s11, v2
	s_and_b64 s[2:3], s[2:3], s[0:1]
	s_and_saveexec_b64 s[4:5], s[2:3]
	s_cbranch_execz .LBB1254_10
; %bb.8:
	v_ashrrev_i32_e32 v3, 31, v2
	v_lshlrev_b64 v[9:10], 3, v[2:3]
	v_xor_b32_e32 v7, 0x80000000, v21
	v_add_co_u32_e64 v3, s[2:3], v4, v9
	v_addc_co_u32_e64 v4, s[2:3], v6, v10, s[2:3]
	v_xor_b32_e32 v8, 0x80000000, v20
	v_cmp_eq_u32_e64 s[2:3], v5, v2
	global_store_dwordx2 v[3:4], v[7:8], off
	s_and_b64 exec, exec, s[2:3]
	s_cbranch_execz .LBB1254_10
; %bb.9:
	v_mov_b32_e32 v1, 0
	global_store_dword v[3:4], v1, off offset:4
.LBB1254_10:
	s_or_b64 exec, exec, s[4:5]
	v_add_u32_e32 v8, 16, v5
	v_ashrrev_i32_e32 v1, 31, v8
	v_mul_lo_u32 v6, s13, v8
	v_mad_u64_u32 v[3:4], s[2:3], s12, v8, 0
	v_mul_lo_u32 v1, s12, v1
	v_add3_u32 v4, v4, v1, v6
	v_lshlrev_b64 v[3:4], 3, v[3:4]
	v_mov_b32_e32 v1, s7
	v_add_co_u32_e64 v6, s[2:3], s6, v3
	v_addc_co_u32_e64 v7, s[2:3], v1, v4, s[2:3]
	v_cmp_le_i32_e64 s[2:3], v8, v0
	s_and_b64 s[4:5], s[2:3], vcc
	s_and_saveexec_b64 s[2:3], s[4:5]
	s_cbranch_execz .LBB1254_13
; %bb.11:
	v_ashrrev_i32_e32 v1, 31, v0
	v_lshlrev_b64 v[3:4], 3, v[0:1]
	v_xor_b32_e32 v9, 0x80000000, v19
	v_add_co_u32_e32 v3, vcc, v6, v3
	v_addc_co_u32_e32 v4, vcc, v7, v4, vcc
	v_xor_b32_e32 v10, 0x80000000, v18
	v_cmp_eq_u32_e32 vcc, v8, v0
	global_store_dwordx2 v[3:4], v[9:10], off
	s_and_b64 exec, exec, vcc
	s_cbranch_execz .LBB1254_13
; %bb.12:
	v_mov_b32_e32 v1, 0
	global_store_dword v[3:4], v1, off offset:4
.LBB1254_13:
	s_or_b64 exec, exec, s[2:3]
	v_cmp_le_i32_e32 vcc, v8, v2
	s_and_b64 s[0:1], vcc, s[0:1]
	s_and_saveexec_b64 s[2:3], s[0:1]
	s_cbranch_execz .LBB1254_16
; %bb.14:
	v_ashrrev_i32_e32 v3, 31, v2
	v_lshlrev_b64 v[1:2], 3, v[2:3]
	v_xor_b32_e32 v8, 0x80000000, v17
	v_add_co_u32_e32 v1, vcc, v6, v1
	v_addc_co_u32_e32 v2, vcc, v7, v2, vcc
	v_xor_b32_e32 v9, 0x80000000, v16
	v_cmp_eq_u32_e32 vcc, v5, v0
	global_store_dwordx2 v[1:2], v[8:9], off
	s_and_b64 exec, exec, vcc
	s_cbranch_execz .LBB1254_16
; %bb.15:
	v_mov_b32_e32 v0, 0
	global_store_dword v[1:2], v0, off offset:4
.LBB1254_16:
	s_endpgm
	.section	.rodata,"a",@progbits
	.p2align	6, 0x0
	.amdhsa_kernel _ZL37rocblas_syrkx_herkx_restricted_kernelIl19rocblas_complex_numIfELi16ELi32ELi8ELin1ELi0ELb1ELc78ELc76EKS1_S1_EviT_PT9_S3_lS5_S3_lPT10_S3_li
		.amdhsa_group_segment_fixed_size 4096
		.amdhsa_private_segment_fixed_size 0
		.amdhsa_kernarg_size 92
		.amdhsa_user_sgpr_count 6
		.amdhsa_user_sgpr_private_segment_buffer 1
		.amdhsa_user_sgpr_dispatch_ptr 0
		.amdhsa_user_sgpr_queue_ptr 0
		.amdhsa_user_sgpr_kernarg_segment_ptr 1
		.amdhsa_user_sgpr_dispatch_id 0
		.amdhsa_user_sgpr_flat_scratch_init 0
		.amdhsa_user_sgpr_private_segment_size 0
		.amdhsa_uses_dynamic_stack 0
		.amdhsa_system_sgpr_private_segment_wavefront_offset 0
		.amdhsa_system_sgpr_workgroup_id_x 1
		.amdhsa_system_sgpr_workgroup_id_y 1
		.amdhsa_system_sgpr_workgroup_id_z 1
		.amdhsa_system_sgpr_workgroup_info 0
		.amdhsa_system_vgpr_workitem_id 1
		.amdhsa_next_free_vgpr 43
		.amdhsa_next_free_sgpr 28
		.amdhsa_reserve_vcc 1
		.amdhsa_reserve_flat_scratch 0
		.amdhsa_float_round_mode_32 0
		.amdhsa_float_round_mode_16_64 0
		.amdhsa_float_denorm_mode_32 3
		.amdhsa_float_denorm_mode_16_64 3
		.amdhsa_dx10_clamp 1
		.amdhsa_ieee_mode 1
		.amdhsa_fp16_overflow 0
		.amdhsa_exception_fp_ieee_invalid_op 0
		.amdhsa_exception_fp_denorm_src 0
		.amdhsa_exception_fp_ieee_div_zero 0
		.amdhsa_exception_fp_ieee_overflow 0
		.amdhsa_exception_fp_ieee_underflow 0
		.amdhsa_exception_fp_ieee_inexact 0
		.amdhsa_exception_int_div_zero 0
	.end_amdhsa_kernel
	.section	.text._ZL37rocblas_syrkx_herkx_restricted_kernelIl19rocblas_complex_numIfELi16ELi32ELi8ELin1ELi0ELb1ELc78ELc76EKS1_S1_EviT_PT9_S3_lS5_S3_lPT10_S3_li,"axG",@progbits,_ZL37rocblas_syrkx_herkx_restricted_kernelIl19rocblas_complex_numIfELi16ELi32ELi8ELin1ELi0ELb1ELc78ELc76EKS1_S1_EviT_PT9_S3_lS5_S3_lPT10_S3_li,comdat
.Lfunc_end1254:
	.size	_ZL37rocblas_syrkx_herkx_restricted_kernelIl19rocblas_complex_numIfELi16ELi32ELi8ELin1ELi0ELb1ELc78ELc76EKS1_S1_EviT_PT9_S3_lS5_S3_lPT10_S3_li, .Lfunc_end1254-_ZL37rocblas_syrkx_herkx_restricted_kernelIl19rocblas_complex_numIfELi16ELi32ELi8ELin1ELi0ELb1ELc78ELc76EKS1_S1_EviT_PT9_S3_lS5_S3_lPT10_S3_li
                                        ; -- End function
	.set _ZL37rocblas_syrkx_herkx_restricted_kernelIl19rocblas_complex_numIfELi16ELi32ELi8ELin1ELi0ELb1ELc78ELc76EKS1_S1_EviT_PT9_S3_lS5_S3_lPT10_S3_li.num_vgpr, 43
	.set _ZL37rocblas_syrkx_herkx_restricted_kernelIl19rocblas_complex_numIfELi16ELi32ELi8ELin1ELi0ELb1ELc78ELc76EKS1_S1_EviT_PT9_S3_lS5_S3_lPT10_S3_li.num_agpr, 0
	.set _ZL37rocblas_syrkx_herkx_restricted_kernelIl19rocblas_complex_numIfELi16ELi32ELi8ELin1ELi0ELb1ELc78ELc76EKS1_S1_EviT_PT9_S3_lS5_S3_lPT10_S3_li.numbered_sgpr, 28
	.set _ZL37rocblas_syrkx_herkx_restricted_kernelIl19rocblas_complex_numIfELi16ELi32ELi8ELin1ELi0ELb1ELc78ELc76EKS1_S1_EviT_PT9_S3_lS5_S3_lPT10_S3_li.num_named_barrier, 0
	.set _ZL37rocblas_syrkx_herkx_restricted_kernelIl19rocblas_complex_numIfELi16ELi32ELi8ELin1ELi0ELb1ELc78ELc76EKS1_S1_EviT_PT9_S3_lS5_S3_lPT10_S3_li.private_seg_size, 0
	.set _ZL37rocblas_syrkx_herkx_restricted_kernelIl19rocblas_complex_numIfELi16ELi32ELi8ELin1ELi0ELb1ELc78ELc76EKS1_S1_EviT_PT9_S3_lS5_S3_lPT10_S3_li.uses_vcc, 1
	.set _ZL37rocblas_syrkx_herkx_restricted_kernelIl19rocblas_complex_numIfELi16ELi32ELi8ELin1ELi0ELb1ELc78ELc76EKS1_S1_EviT_PT9_S3_lS5_S3_lPT10_S3_li.uses_flat_scratch, 0
	.set _ZL37rocblas_syrkx_herkx_restricted_kernelIl19rocblas_complex_numIfELi16ELi32ELi8ELin1ELi0ELb1ELc78ELc76EKS1_S1_EviT_PT9_S3_lS5_S3_lPT10_S3_li.has_dyn_sized_stack, 0
	.set _ZL37rocblas_syrkx_herkx_restricted_kernelIl19rocblas_complex_numIfELi16ELi32ELi8ELin1ELi0ELb1ELc78ELc76EKS1_S1_EviT_PT9_S3_lS5_S3_lPT10_S3_li.has_recursion, 0
	.set _ZL37rocblas_syrkx_herkx_restricted_kernelIl19rocblas_complex_numIfELi16ELi32ELi8ELin1ELi0ELb1ELc78ELc76EKS1_S1_EviT_PT9_S3_lS5_S3_lPT10_S3_li.has_indirect_call, 0
	.section	.AMDGPU.csdata,"",@progbits
; Kernel info:
; codeLenInByte = 2116
; TotalNumSgprs: 32
; NumVgprs: 43
; ScratchSize: 0
; MemoryBound: 0
; FloatMode: 240
; IeeeMode: 1
; LDSByteSize: 4096 bytes/workgroup (compile time only)
; SGPRBlocks: 3
; VGPRBlocks: 10
; NumSGPRsForWavesPerEU: 32
; NumVGPRsForWavesPerEU: 43
; Occupancy: 5
; WaveLimiterHint : 1
; COMPUTE_PGM_RSRC2:SCRATCH_EN: 0
; COMPUTE_PGM_RSRC2:USER_SGPR: 6
; COMPUTE_PGM_RSRC2:TRAP_HANDLER: 0
; COMPUTE_PGM_RSRC2:TGID_X_EN: 1
; COMPUTE_PGM_RSRC2:TGID_Y_EN: 1
; COMPUTE_PGM_RSRC2:TGID_Z_EN: 1
; COMPUTE_PGM_RSRC2:TIDIG_COMP_CNT: 1
	.section	.text._ZL37rocblas_syrkx_herkx_restricted_kernelIl19rocblas_complex_numIfELi16ELi32ELi8ELin1ELi0ELb1ELc84ELc85EKS1_S1_EviT_PT9_S3_lS5_S3_lPT10_S3_li,"axG",@progbits,_ZL37rocblas_syrkx_herkx_restricted_kernelIl19rocblas_complex_numIfELi16ELi32ELi8ELin1ELi0ELb1ELc84ELc85EKS1_S1_EviT_PT9_S3_lS5_S3_lPT10_S3_li,comdat
	.globl	_ZL37rocblas_syrkx_herkx_restricted_kernelIl19rocblas_complex_numIfELi16ELi32ELi8ELin1ELi0ELb1ELc84ELc85EKS1_S1_EviT_PT9_S3_lS5_S3_lPT10_S3_li ; -- Begin function _ZL37rocblas_syrkx_herkx_restricted_kernelIl19rocblas_complex_numIfELi16ELi32ELi8ELin1ELi0ELb1ELc84ELc85EKS1_S1_EviT_PT9_S3_lS5_S3_lPT10_S3_li
	.p2align	8
	.type	_ZL37rocblas_syrkx_herkx_restricted_kernelIl19rocblas_complex_numIfELi16ELi32ELi8ELin1ELi0ELb1ELc84ELc85EKS1_S1_EviT_PT9_S3_lS5_S3_lPT10_S3_li,@function
_ZL37rocblas_syrkx_herkx_restricted_kernelIl19rocblas_complex_numIfELi16ELi32ELi8ELin1ELi0ELb1ELc84ELc85EKS1_S1_EviT_PT9_S3_lS5_S3_lPT10_S3_li: ; @_ZL37rocblas_syrkx_herkx_restricted_kernelIl19rocblas_complex_numIfELi16ELi32ELi8ELin1ELi0ELb1ELc84ELc85EKS1_S1_EviT_PT9_S3_lS5_S3_lPT10_S3_li
; %bb.0:
	s_load_dwordx16 s[12:27], s[4:5], 0x8
	s_lshl_b32 s2, s6, 5
	s_lshl_b32 s3, s7, 5
	s_waitcnt lgkmcnt(0)
	v_cmp_lt_i64_e64 s[0:1], s[12:13], 1
	s_and_b64 vcc, exec, s[0:1]
	s_cbranch_vccnz .LBB1255_3
; %bb.1:
	v_lshl_add_u32 v4, v1, 4, v0
	v_lshrrev_b32_e32 v6, 3, v4
	v_add_u32_e32 v2, s3, v6
	v_ashrrev_i32_e32 v3, 31, v2
	v_and_b32_e32 v9, 7, v0
	v_mov_b32_e32 v10, 0
	v_mul_lo_u32 v5, s22, v3
	v_mul_lo_u32 v7, s23, v2
	v_mad_u64_u32 v[2:3], s[0:1], s22, v2, v[9:10]
	s_mul_i32 s6, s19, s8
	s_mul_hi_u32 s7, s18, s8
	v_add3_u32 v3, v7, v3, v5
	v_and_b32_e32 v7, 31, v4
	v_lshrrev_b32_e32 v4, 5, v4
	v_lshlrev_b32_e32 v8, 3, v7
	v_lshl_or_b32 v11, v4, 8, v8
	v_lshlrev_b32_e32 v8, 3, v9
	v_lshl_or_b32 v6, v6, 6, v8
	v_add_u32_e32 v12, 0x800, v6
	v_mov_b32_e32 v6, 0x800
	v_lshl_add_u32 v14, v1, 6, v6
	v_add_u32_e32 v6, s2, v7
	v_mov_b32_e32 v5, v10
	v_ashrrev_i32_e32 v7, 31, v6
	v_mul_lo_u32 v7, s16, v7
	v_mad_u64_u32 v[4:5], s[0:1], s16, v6, v[4:5]
	v_mul_lo_u32 v6, s17, v6
	s_add_i32 s1, s7, s6
	s_mul_i32 s0, s18, s8
	s_lshl_b64 s[0:1], s[0:1], 3
	v_add3_u32 v5, v6, v5, v7
	v_lshlrev_b64 v[4:5], 3, v[4:5]
	s_add_u32 s0, s14, s0
	s_addc_u32 s1, s15, s1
	v_mov_b32_e32 v6, s1
	v_add_co_u32_e32 v4, vcc, s0, v4
	s_mul_i32 s0, s25, s8
	s_mul_hi_u32 s1, s24, s8
	s_add_i32 s1, s1, s0
	s_mul_i32 s0, s24, s8
	v_addc_co_u32_e32 v5, vcc, v6, v5, vcc
	s_lshl_b64 s[0:1], s[0:1], 3
	v_add_co_u32_e32 v6, vcc, 4, v4
	v_lshlrev_b64 v[2:3], 3, v[2:3]
	s_add_u32 s0, s20, s0
	v_addc_co_u32_e32 v7, vcc, 0, v5, vcc
	s_addc_u32 s1, s21, s1
	v_mov_b32_e32 v4, s1
	v_add_co_u32_e32 v2, vcc, s0, v2
	v_addc_co_u32_e32 v3, vcc, v4, v3, vcc
	v_add_co_u32_e32 v8, vcc, 4, v2
	v_lshlrev_b32_e32 v13, 3, v0
	v_addc_co_u32_e32 v9, vcc, 0, v3, vcc
	s_mov_b64 s[0:1], 0
	v_mov_b32_e32 v15, v10
	v_mov_b32_e32 v16, v10
	;; [unrolled: 1-line block ×7, first 2 shown]
.LBB1255_2:                             ; =>This Inner Loop Header: Depth=1
	global_load_dwordx2 v[2:3], v[6:7], off offset:-4
	s_add_u32 s0, s0, 8
	v_add_co_u32_e32 v6, vcc, 64, v6
	s_addc_u32 s1, s1, 0
	v_addc_co_u32_e32 v7, vcc, 0, v7, vcc
	s_waitcnt vmcnt(0)
	ds_write_b64 v11, v[2:3]
	global_load_dwordx2 v[2:3], v[8:9], off offset:-4
	v_add_co_u32_e32 v8, vcc, 64, v8
	v_addc_co_u32_e32 v9, vcc, 0, v9, vcc
	s_waitcnt vmcnt(0)
	ds_write_b64 v12, v[2:3]
	s_waitcnt lgkmcnt(0)
	s_barrier
	ds_read_b128 v[22:25], v14
	ds_read_b128 v[26:29], v14 offset:16
	ds_read_b128 v[30:33], v14 offset:32
	ds_read_b128 v[2:5], v14 offset:48
	ds_read2_b64 v[34:37], v13 offset1:16
	s_waitcnt lgkmcnt(0)
	v_mul_f32_e32 v38, v23, v35
	v_mul_f32_e32 v39, v22, v35
	v_fma_f32 v38, v22, v34, -v38
	v_fmac_f32_e32 v39, v23, v34
	v_add_f32_e32 v38, v20, v38
	v_add_f32_e32 v39, v21, v39
	v_mul_f32_e32 v20, v23, v37
	v_mul_f32_e32 v21, v22, v37
	v_fma_f32 v20, v22, v36, -v20
	v_fmac_f32_e32 v21, v23, v36
	v_add_f32_e32 v22, v19, v20
	v_add_f32_e32 v23, v18, v21
	ds_read_b128 v[18:21], v14 offset:1024
	s_waitcnt lgkmcnt(0)
	v_mul_f32_e32 v40, v19, v35
	v_mul_f32_e32 v35, v18, v35
	v_fma_f32 v40, v18, v34, -v40
	v_fmac_f32_e32 v35, v19, v34
	v_add_f32_e32 v34, v17, v40
	v_add_f32_e32 v35, v16, v35
	v_mul_f32_e32 v16, v19, v37
	v_mul_f32_e32 v17, v18, v37
	v_fma_f32 v16, v18, v36, -v16
	v_fmac_f32_e32 v17, v19, v36
	v_add_f32_e32 v19, v15, v16
	v_add_f32_e32 v10, v10, v17
	ds_read2_b64 v[15:18], v13 offset0:32 offset1:48
	s_waitcnt lgkmcnt(0)
	v_mul_f32_e32 v36, v25, v16
	v_fma_f32 v36, v24, v15, -v36
	v_add_f32_e32 v36, v38, v36
	v_mul_f32_e32 v38, v25, v18
	v_mul_f32_e32 v37, v24, v16
	v_fma_f32 v38, v24, v17, -v38
	v_mul_f32_e32 v24, v24, v18
	v_fmac_f32_e32 v24, v25, v17
	v_add_f32_e32 v23, v23, v24
	v_mul_f32_e32 v24, v21, v16
	v_mul_f32_e32 v16, v20, v16
	v_fmac_f32_e32 v16, v21, v15
	v_fmac_f32_e32 v37, v25, v15
	v_fma_f32 v24, v20, v15, -v24
	v_add_f32_e32 v25, v35, v16
	v_mul_f32_e32 v15, v21, v18
	v_mul_f32_e32 v16, v20, v18
	v_fma_f32 v15, v20, v17, -v15
	v_fmac_f32_e32 v16, v21, v17
	v_add_f32_e32 v24, v34, v24
	v_add_f32_e32 v34, v19, v15
	;; [unrolled: 1-line block ×3, first 2 shown]
	ds_read2_b64 v[15:18], v13 offset0:64 offset1:80
	v_add_f32_e32 v37, v39, v37
	v_add_f32_e32 v22, v22, v38
	s_waitcnt lgkmcnt(0)
	v_mul_f32_e32 v19, v27, v16
	v_mul_f32_e32 v20, v26, v16
	v_fma_f32 v19, v26, v15, -v19
	v_fmac_f32_e32 v20, v27, v15
	v_add_f32_e32 v35, v36, v19
	v_add_f32_e32 v36, v37, v20
	v_mul_f32_e32 v19, v27, v18
	v_mul_f32_e32 v20, v26, v18
	v_fma_f32 v19, v26, v17, -v19
	v_fmac_f32_e32 v20, v27, v17
	v_add_f32_e32 v26, v22, v19
	v_add_f32_e32 v23, v23, v20
	ds_read_b128 v[19:22], v14 offset:1040
	s_waitcnt lgkmcnt(0)
	v_mul_f32_e32 v27, v20, v16
	v_mul_f32_e32 v16, v19, v16
	v_fmac_f32_e32 v16, v20, v15
	v_fma_f32 v27, v19, v15, -v27
	v_add_f32_e32 v25, v25, v16
	v_mul_f32_e32 v15, v20, v18
	v_mul_f32_e32 v16, v19, v18
	v_fma_f32 v15, v19, v17, -v15
	v_fmac_f32_e32 v16, v20, v17
	v_add_f32_e32 v19, v34, v15
	v_add_f32_e32 v10, v10, v16
	ds_read2_b64 v[15:18], v13 offset0:96 offset1:112
	v_add_f32_e32 v24, v24, v27
	s_waitcnt lgkmcnt(0)
	v_mul_f32_e32 v20, v29, v16
	v_mul_f32_e32 v34, v29, v18
	v_fma_f32 v20, v28, v15, -v20
	v_mul_f32_e32 v27, v28, v16
	v_fma_f32 v34, v28, v17, -v34
	v_mul_f32_e32 v28, v28, v18
	v_fmac_f32_e32 v28, v29, v17
	v_add_f32_e32 v23, v23, v28
	v_mul_f32_e32 v28, v22, v16
	v_mul_f32_e32 v16, v21, v16
	v_fmac_f32_e32 v16, v22, v15
	v_fmac_f32_e32 v27, v29, v15
	v_fma_f32 v28, v21, v15, -v28
	v_add_f32_e32 v25, v25, v16
	v_mul_f32_e32 v15, v22, v18
	v_mul_f32_e32 v16, v21, v18
	v_fma_f32 v15, v21, v17, -v15
	v_fmac_f32_e32 v16, v22, v17
	v_add_f32_e32 v24, v24, v28
	v_add_f32_e32 v28, v19, v15
	;; [unrolled: 1-line block ×3, first 2 shown]
	ds_read2_b64 v[15:18], v13 offset0:128 offset1:144
	v_add_f32_e32 v20, v35, v20
	v_add_f32_e32 v27, v36, v27
	;; [unrolled: 1-line block ×3, first 2 shown]
	s_waitcnt lgkmcnt(0)
	v_mul_f32_e32 v19, v31, v16
	v_fma_f32 v19, v30, v15, -v19
	v_mul_f32_e32 v21, v30, v16
	v_add_f32_e32 v29, v20, v19
	v_mul_f32_e32 v19, v31, v18
	v_mul_f32_e32 v20, v30, v18
	v_fmac_f32_e32 v21, v31, v15
	v_fma_f32 v19, v30, v17, -v19
	v_fmac_f32_e32 v20, v31, v17
	v_add_f32_e32 v27, v27, v21
	v_add_f32_e32 v26, v26, v19
	;; [unrolled: 1-line block ×3, first 2 shown]
	ds_read_b128 v[19:22], v14 offset:1056
	s_waitcnt lgkmcnt(0)
	v_mul_f32_e32 v30, v20, v16
	v_mul_f32_e32 v16, v19, v16
	v_fmac_f32_e32 v16, v20, v15
	v_fma_f32 v30, v19, v15, -v30
	v_add_f32_e32 v25, v25, v16
	v_mul_f32_e32 v15, v20, v18
	v_mul_f32_e32 v16, v19, v18
	v_fma_f32 v15, v19, v17, -v15
	v_fmac_f32_e32 v16, v20, v17
	v_add_f32_e32 v19, v28, v15
	v_add_f32_e32 v10, v10, v16
	ds_read2_b64 v[15:18], v13 offset0:160 offset1:176
	v_add_f32_e32 v24, v24, v30
	s_waitcnt lgkmcnt(0)
	v_mul_f32_e32 v28, v32, v16
	v_fmac_f32_e32 v28, v33, v15
	v_add_f32_e32 v27, v27, v28
	v_mul_f32_e32 v28, v33, v18
	v_fma_f32 v28, v32, v17, -v28
	v_mul_f32_e32 v20, v33, v16
	v_add_f32_e32 v26, v26, v28
	v_mul_f32_e32 v28, v22, v16
	v_mul_f32_e32 v16, v21, v16
	v_fmac_f32_e32 v16, v22, v15
	v_fma_f32 v20, v32, v15, -v20
	v_fma_f32 v28, v21, v15, -v28
	v_add_f32_e32 v25, v25, v16
	v_mul_f32_e32 v15, v22, v18
	v_mul_f32_e32 v16, v21, v18
	v_add_f32_e32 v20, v29, v20
	v_mul_f32_e32 v29, v32, v18
	v_fma_f32 v15, v21, v17, -v15
	v_fmac_f32_e32 v16, v22, v17
	v_fmac_f32_e32 v29, v33, v17
	v_add_f32_e32 v19, v19, v15
	v_add_f32_e32 v10, v10, v16
	ds_read2_b64 v[15:18], v13 offset0:192 offset1:208
	v_add_f32_e32 v24, v24, v28
	v_add_f32_e32 v23, v23, v29
	s_waitcnt lgkmcnt(0)
	v_mul_f32_e32 v21, v3, v16
	v_fma_f32 v21, v2, v15, -v21
	v_add_f32_e32 v28, v20, v21
	v_mul_f32_e32 v20, v3, v18
	v_mul_f32_e32 v22, v2, v16
	v_fma_f32 v20, v2, v17, -v20
	v_mul_f32_e32 v2, v2, v18
	v_fmac_f32_e32 v22, v3, v15
	v_fmac_f32_e32 v2, v3, v17
	v_add_f32_e32 v29, v27, v22
	v_add_f32_e32 v3, v26, v20
	v_add_f32_e32 v2, v23, v2
	ds_read_b128 v[20:23], v14 offset:1072
	s_waitcnt lgkmcnt(0)
	v_mul_f32_e32 v26, v21, v16
	v_fma_f32 v26, v20, v15, -v26
	v_mul_f32_e32 v16, v20, v16
	v_fmac_f32_e32 v16, v21, v15
	v_add_f32_e32 v15, v24, v26
	v_mul_f32_e32 v24, v21, v18
	v_fma_f32 v24, v20, v17, -v24
	v_add_f32_e32 v16, v25, v16
	v_add_f32_e32 v30, v19, v24
	ds_read2_b64 v[24:27], v13 offset0:224 offset1:240
	v_mul_f32_e32 v18, v20, v18
	v_fmac_f32_e32 v18, v21, v17
	v_add_f32_e32 v10, v10, v18
	s_waitcnt lgkmcnt(0)
	v_mul_f32_e32 v17, v5, v25
	v_fma_f32 v17, v4, v24, -v17
	v_add_f32_e32 v20, v28, v17
	v_mul_f32_e32 v17, v5, v27
	v_mul_f32_e32 v18, v4, v25
	v_fma_f32 v17, v4, v26, -v17
	v_mul_f32_e32 v4, v4, v27
	v_fmac_f32_e32 v18, v5, v24
	v_fmac_f32_e32 v4, v5, v26
	v_add_f32_e32 v21, v29, v18
	v_add_f32_e32 v19, v3, v17
	;; [unrolled: 1-line block ×3, first 2 shown]
	v_mul_f32_e32 v2, v23, v25
	v_mul_f32_e32 v3, v22, v25
	v_fma_f32 v2, v22, v24, -v2
	v_fmac_f32_e32 v3, v23, v24
	v_add_f32_e32 v17, v15, v2
	v_add_f32_e32 v16, v16, v3
	v_mul_f32_e32 v2, v23, v27
	v_mul_f32_e32 v3, v22, v27
	v_fma_f32 v2, v22, v26, -v2
	v_fmac_f32_e32 v3, v23, v26
	v_add_f32_e32 v15, v30, v2
	v_add_f32_e32 v10, v10, v3
	v_mov_b32_e32 v3, s1
	v_mov_b32_e32 v2, s0
	v_cmp_le_u64_e32 vcc, s[12:13], v[2:3]
	s_barrier
	s_cbranch_vccz .LBB1255_2
	s_branch .LBB1255_4
.LBB1255_3:
	v_mov_b32_e32 v20, 0
	v_mov_b32_e32 v21, 0
	;; [unrolled: 1-line block ×8, first 2 shown]
.LBB1255_4:
	s_load_dwordx4 s[12:15], s[4:5], 0x48
	s_load_dword s6, s[4:5], 0x0
	v_add_u32_e32 v5, s3, v1
	v_ashrrev_i32_e32 v1, 31, v5
	v_add_u32_e32 v0, s2, v0
	s_waitcnt lgkmcnt(0)
	s_mul_i32 s1, s15, s8
	s_mul_hi_u32 s3, s14, s8
	s_mul_i32 s0, s14, s8
	v_mul_lo_u32 v3, s12, v1
	v_mul_lo_u32 v4, s13, v5
	v_mad_u64_u32 v[1:2], s[8:9], s12, v5, 0
	s_add_i32 s1, s3, s1
	s_lshl_b64 s[0:1], s[0:1], 3
	v_add3_u32 v2, v2, v3, v4
	s_add_u32 s4, s26, s0
	v_lshlrev_b64 v[1:2], 3, v[1:2]
	s_addc_u32 s5, s27, s1
	v_mov_b32_e32 v3, s5
	v_add_co_u32_e64 v4, s[0:1], s4, v1
	v_addc_co_u32_e64 v6, s[0:1], v3, v2, s[0:1]
	v_cmp_gt_i32_e32 vcc, s6, v5
	v_cmp_le_i32_e64 s[0:1], v0, v5
	s_and_b64 s[0:1], vcc, s[0:1]
	s_and_saveexec_b64 s[2:3], s[0:1]
	s_cbranch_execz .LBB1255_7
; %bb.5:
	v_ashrrev_i32_e32 v1, 31, v0
	v_lshlrev_b64 v[1:2], 3, v[0:1]
	v_xor_b32_e32 v7, 0x80000000, v20
	v_add_co_u32_e64 v1, s[0:1], v4, v1
	v_addc_co_u32_e64 v2, s[0:1], v6, v2, s[0:1]
	v_xor_b32_e32 v8, 0x80000000, v21
	v_cmp_eq_u32_e64 s[0:1], v5, v0
	global_store_dwordx2 v[1:2], v[7:8], off
	s_and_b64 exec, exec, s[0:1]
	s_cbranch_execz .LBB1255_7
; %bb.6:
	v_mov_b32_e32 v3, 0
	global_store_dword v[1:2], v3, off offset:4
.LBB1255_7:
	s_or_b64 exec, exec, s[2:3]
	v_add_u32_e32 v2, 16, v0
	v_cmp_le_i32_e64 s[0:1], v2, v5
	s_and_b64 s[2:3], vcc, s[0:1]
	s_and_saveexec_b64 s[0:1], s[2:3]
	s_cbranch_execz .LBB1255_10
; %bb.8:
	v_ashrrev_i32_e32 v3, 31, v2
	v_lshlrev_b64 v[11:12], 3, v[2:3]
	v_xor_b32_e32 v7, 0x80000000, v19
	v_add_co_u32_e32 v3, vcc, v4, v11
	v_addc_co_u32_e32 v4, vcc, v6, v12, vcc
	v_xor_b32_e32 v8, 0x80000000, v18
	v_cmp_eq_u32_e32 vcc, v5, v2
	global_store_dwordx2 v[3:4], v[7:8], off
	s_and_b64 exec, exec, vcc
	s_cbranch_execz .LBB1255_10
; %bb.9:
	v_mov_b32_e32 v1, 0
	global_store_dword v[3:4], v1, off offset:4
.LBB1255_10:
	s_or_b64 exec, exec, s[0:1]
	v_add_u32_e32 v8, 16, v5
	v_ashrrev_i32_e32 v1, 31, v8
	v_mul_lo_u32 v1, s12, v1
	v_mul_lo_u32 v6, s13, v8
	v_mad_u64_u32 v[3:4], s[0:1], s12, v8, 0
	v_cmp_gt_i32_e32 vcc, s6, v8
	v_add3_u32 v4, v4, v1, v6
	v_lshlrev_b64 v[3:4], 3, v[3:4]
	v_mov_b32_e32 v1, s5
	v_add_co_u32_e64 v6, s[0:1], s4, v3
	v_addc_co_u32_e64 v7, s[0:1], v1, v4, s[0:1]
	v_cmp_le_i32_e64 s[0:1], v0, v8
	s_and_b64 s[0:1], vcc, s[0:1]
	s_and_saveexec_b64 s[2:3], s[0:1]
	s_cbranch_execz .LBB1255_13
; %bb.11:
	v_ashrrev_i32_e32 v1, 31, v0
	v_lshlrev_b64 v[3:4], 3, v[0:1]
	v_xor_b32_e32 v11, 0x80000000, v17
	v_add_co_u32_e64 v3, s[0:1], v6, v3
	v_addc_co_u32_e64 v4, s[0:1], v7, v4, s[0:1]
	v_xor_b32_e32 v12, 0x80000000, v16
	v_cmp_eq_u32_e64 s[0:1], v8, v0
	global_store_dwordx2 v[3:4], v[11:12], off
	s_and_b64 exec, exec, s[0:1]
	s_cbranch_execz .LBB1255_13
; %bb.12:
	v_mov_b32_e32 v1, 0
	global_store_dword v[3:4], v1, off offset:4
.LBB1255_13:
	s_or_b64 exec, exec, s[2:3]
	v_cmp_le_i32_e64 s[0:1], v2, v8
	s_and_b64 s[0:1], vcc, s[0:1]
	s_and_saveexec_b64 s[2:3], s[0:1]
	s_cbranch_execz .LBB1255_16
; %bb.14:
	v_ashrrev_i32_e32 v3, 31, v2
	v_lshlrev_b64 v[1:2], 3, v[2:3]
	v_xor_b32_e32 v8, 0x80000000, v15
	v_add_co_u32_e32 v1, vcc, v6, v1
	v_addc_co_u32_e32 v2, vcc, v7, v2, vcc
	v_xor_b32_e32 v9, 0x80000000, v10
	v_cmp_eq_u32_e32 vcc, v5, v0
	global_store_dwordx2 v[1:2], v[8:9], off
	s_and_b64 exec, exec, vcc
	s_cbranch_execz .LBB1255_16
; %bb.15:
	v_mov_b32_e32 v0, 0
	global_store_dword v[1:2], v0, off offset:4
.LBB1255_16:
	s_endpgm
	.section	.rodata,"a",@progbits
	.p2align	6, 0x0
	.amdhsa_kernel _ZL37rocblas_syrkx_herkx_restricted_kernelIl19rocblas_complex_numIfELi16ELi32ELi8ELin1ELi0ELb1ELc84ELc85EKS1_S1_EviT_PT9_S3_lS5_S3_lPT10_S3_li
		.amdhsa_group_segment_fixed_size 4096
		.amdhsa_private_segment_fixed_size 0
		.amdhsa_kernarg_size 92
		.amdhsa_user_sgpr_count 6
		.amdhsa_user_sgpr_private_segment_buffer 1
		.amdhsa_user_sgpr_dispatch_ptr 0
		.amdhsa_user_sgpr_queue_ptr 0
		.amdhsa_user_sgpr_kernarg_segment_ptr 1
		.amdhsa_user_sgpr_dispatch_id 0
		.amdhsa_user_sgpr_flat_scratch_init 0
		.amdhsa_user_sgpr_private_segment_size 0
		.amdhsa_uses_dynamic_stack 0
		.amdhsa_system_sgpr_private_segment_wavefront_offset 0
		.amdhsa_system_sgpr_workgroup_id_x 1
		.amdhsa_system_sgpr_workgroup_id_y 1
		.amdhsa_system_sgpr_workgroup_id_z 1
		.amdhsa_system_sgpr_workgroup_info 0
		.amdhsa_system_vgpr_workitem_id 1
		.amdhsa_next_free_vgpr 41
		.amdhsa_next_free_sgpr 28
		.amdhsa_reserve_vcc 1
		.amdhsa_reserve_flat_scratch 0
		.amdhsa_float_round_mode_32 0
		.amdhsa_float_round_mode_16_64 0
		.amdhsa_float_denorm_mode_32 3
		.amdhsa_float_denorm_mode_16_64 3
		.amdhsa_dx10_clamp 1
		.amdhsa_ieee_mode 1
		.amdhsa_fp16_overflow 0
		.amdhsa_exception_fp_ieee_invalid_op 0
		.amdhsa_exception_fp_denorm_src 0
		.amdhsa_exception_fp_ieee_div_zero 0
		.amdhsa_exception_fp_ieee_overflow 0
		.amdhsa_exception_fp_ieee_underflow 0
		.amdhsa_exception_fp_ieee_inexact 0
		.amdhsa_exception_int_div_zero 0
	.end_amdhsa_kernel
	.section	.text._ZL37rocblas_syrkx_herkx_restricted_kernelIl19rocblas_complex_numIfELi16ELi32ELi8ELin1ELi0ELb1ELc84ELc85EKS1_S1_EviT_PT9_S3_lS5_S3_lPT10_S3_li,"axG",@progbits,_ZL37rocblas_syrkx_herkx_restricted_kernelIl19rocblas_complex_numIfELi16ELi32ELi8ELin1ELi0ELb1ELc84ELc85EKS1_S1_EviT_PT9_S3_lS5_S3_lPT10_S3_li,comdat
.Lfunc_end1255:
	.size	_ZL37rocblas_syrkx_herkx_restricted_kernelIl19rocblas_complex_numIfELi16ELi32ELi8ELin1ELi0ELb1ELc84ELc85EKS1_S1_EviT_PT9_S3_lS5_S3_lPT10_S3_li, .Lfunc_end1255-_ZL37rocblas_syrkx_herkx_restricted_kernelIl19rocblas_complex_numIfELi16ELi32ELi8ELin1ELi0ELb1ELc84ELc85EKS1_S1_EviT_PT9_S3_lS5_S3_lPT10_S3_li
                                        ; -- End function
	.set _ZL37rocblas_syrkx_herkx_restricted_kernelIl19rocblas_complex_numIfELi16ELi32ELi8ELin1ELi0ELb1ELc84ELc85EKS1_S1_EviT_PT9_S3_lS5_S3_lPT10_S3_li.num_vgpr, 41
	.set _ZL37rocblas_syrkx_herkx_restricted_kernelIl19rocblas_complex_numIfELi16ELi32ELi8ELin1ELi0ELb1ELc84ELc85EKS1_S1_EviT_PT9_S3_lS5_S3_lPT10_S3_li.num_agpr, 0
	.set _ZL37rocblas_syrkx_herkx_restricted_kernelIl19rocblas_complex_numIfELi16ELi32ELi8ELin1ELi0ELb1ELc84ELc85EKS1_S1_EviT_PT9_S3_lS5_S3_lPT10_S3_li.numbered_sgpr, 28
	.set _ZL37rocblas_syrkx_herkx_restricted_kernelIl19rocblas_complex_numIfELi16ELi32ELi8ELin1ELi0ELb1ELc84ELc85EKS1_S1_EviT_PT9_S3_lS5_S3_lPT10_S3_li.num_named_barrier, 0
	.set _ZL37rocblas_syrkx_herkx_restricted_kernelIl19rocblas_complex_numIfELi16ELi32ELi8ELin1ELi0ELb1ELc84ELc85EKS1_S1_EviT_PT9_S3_lS5_S3_lPT10_S3_li.private_seg_size, 0
	.set _ZL37rocblas_syrkx_herkx_restricted_kernelIl19rocblas_complex_numIfELi16ELi32ELi8ELin1ELi0ELb1ELc84ELc85EKS1_S1_EviT_PT9_S3_lS5_S3_lPT10_S3_li.uses_vcc, 1
	.set _ZL37rocblas_syrkx_herkx_restricted_kernelIl19rocblas_complex_numIfELi16ELi32ELi8ELin1ELi0ELb1ELc84ELc85EKS1_S1_EviT_PT9_S3_lS5_S3_lPT10_S3_li.uses_flat_scratch, 0
	.set _ZL37rocblas_syrkx_herkx_restricted_kernelIl19rocblas_complex_numIfELi16ELi32ELi8ELin1ELi0ELb1ELc84ELc85EKS1_S1_EviT_PT9_S3_lS5_S3_lPT10_S3_li.has_dyn_sized_stack, 0
	.set _ZL37rocblas_syrkx_herkx_restricted_kernelIl19rocblas_complex_numIfELi16ELi32ELi8ELin1ELi0ELb1ELc84ELc85EKS1_S1_EviT_PT9_S3_lS5_S3_lPT10_S3_li.has_recursion, 0
	.set _ZL37rocblas_syrkx_herkx_restricted_kernelIl19rocblas_complex_numIfELi16ELi32ELi8ELin1ELi0ELb1ELc84ELc85EKS1_S1_EviT_PT9_S3_lS5_S3_lPT10_S3_li.has_indirect_call, 0
	.section	.AMDGPU.csdata,"",@progbits
; Kernel info:
; codeLenInByte = 2136
; TotalNumSgprs: 32
; NumVgprs: 41
; ScratchSize: 0
; MemoryBound: 0
; FloatMode: 240
; IeeeMode: 1
; LDSByteSize: 4096 bytes/workgroup (compile time only)
; SGPRBlocks: 3
; VGPRBlocks: 10
; NumSGPRsForWavesPerEU: 32
; NumVGPRsForWavesPerEU: 41
; Occupancy: 5
; WaveLimiterHint : 1
; COMPUTE_PGM_RSRC2:SCRATCH_EN: 0
; COMPUTE_PGM_RSRC2:USER_SGPR: 6
; COMPUTE_PGM_RSRC2:TRAP_HANDLER: 0
; COMPUTE_PGM_RSRC2:TGID_X_EN: 1
; COMPUTE_PGM_RSRC2:TGID_Y_EN: 1
; COMPUTE_PGM_RSRC2:TGID_Z_EN: 1
; COMPUTE_PGM_RSRC2:TIDIG_COMP_CNT: 1
	.section	.text._ZL37rocblas_syrkx_herkx_restricted_kernelIl19rocblas_complex_numIfELi16ELi32ELi8ELin1ELi0ELb1ELc67ELc85EKS1_S1_EviT_PT9_S3_lS5_S3_lPT10_S3_li,"axG",@progbits,_ZL37rocblas_syrkx_herkx_restricted_kernelIl19rocblas_complex_numIfELi16ELi32ELi8ELin1ELi0ELb1ELc67ELc85EKS1_S1_EviT_PT9_S3_lS5_S3_lPT10_S3_li,comdat
	.globl	_ZL37rocblas_syrkx_herkx_restricted_kernelIl19rocblas_complex_numIfELi16ELi32ELi8ELin1ELi0ELb1ELc67ELc85EKS1_S1_EviT_PT9_S3_lS5_S3_lPT10_S3_li ; -- Begin function _ZL37rocblas_syrkx_herkx_restricted_kernelIl19rocblas_complex_numIfELi16ELi32ELi8ELin1ELi0ELb1ELc67ELc85EKS1_S1_EviT_PT9_S3_lS5_S3_lPT10_S3_li
	.p2align	8
	.type	_ZL37rocblas_syrkx_herkx_restricted_kernelIl19rocblas_complex_numIfELi16ELi32ELi8ELin1ELi0ELb1ELc67ELc85EKS1_S1_EviT_PT9_S3_lS5_S3_lPT10_S3_li,@function
_ZL37rocblas_syrkx_herkx_restricted_kernelIl19rocblas_complex_numIfELi16ELi32ELi8ELin1ELi0ELb1ELc67ELc85EKS1_S1_EviT_PT9_S3_lS5_S3_lPT10_S3_li: ; @_ZL37rocblas_syrkx_herkx_restricted_kernelIl19rocblas_complex_numIfELi16ELi32ELi8ELin1ELi0ELb1ELc67ELc85EKS1_S1_EviT_PT9_S3_lS5_S3_lPT10_S3_li
; %bb.0:
	s_load_dwordx16 s[12:27], s[4:5], 0x8
	s_lshl_b32 s2, s6, 5
	s_lshl_b32 s3, s7, 5
	s_waitcnt lgkmcnt(0)
	v_cmp_lt_i64_e64 s[0:1], s[12:13], 1
	s_and_b64 vcc, exec, s[0:1]
	s_cbranch_vccnz .LBB1256_3
; %bb.1:
	v_lshl_add_u32 v4, v1, 4, v0
	v_lshrrev_b32_e32 v6, 3, v4
	v_add_u32_e32 v2, s3, v6
	v_ashrrev_i32_e32 v3, 31, v2
	v_and_b32_e32 v9, 7, v0
	v_mov_b32_e32 v10, 0
	v_mul_lo_u32 v5, s22, v3
	v_mul_lo_u32 v7, s23, v2
	v_mad_u64_u32 v[2:3], s[0:1], s22, v2, v[9:10]
	s_mul_i32 s6, s19, s8
	s_mul_hi_u32 s7, s18, s8
	v_add3_u32 v3, v7, v3, v5
	v_and_b32_e32 v7, 31, v4
	v_lshrrev_b32_e32 v4, 5, v4
	v_lshlrev_b32_e32 v8, 3, v7
	v_lshl_or_b32 v11, v4, 8, v8
	v_lshlrev_b32_e32 v8, 3, v9
	v_lshl_or_b32 v6, v6, 6, v8
	v_add_u32_e32 v12, 0x800, v6
	v_mov_b32_e32 v6, 0x800
	v_lshl_add_u32 v14, v1, 6, v6
	v_add_u32_e32 v6, s2, v7
	v_mov_b32_e32 v5, v10
	v_ashrrev_i32_e32 v7, 31, v6
	v_mul_lo_u32 v7, s16, v7
	v_mad_u64_u32 v[4:5], s[0:1], s16, v6, v[4:5]
	v_mul_lo_u32 v6, s17, v6
	s_add_i32 s1, s7, s6
	s_mul_i32 s0, s18, s8
	s_lshl_b64 s[0:1], s[0:1], 3
	v_add3_u32 v5, v6, v5, v7
	v_lshlrev_b64 v[4:5], 3, v[4:5]
	s_add_u32 s0, s14, s0
	s_addc_u32 s1, s15, s1
	v_mov_b32_e32 v6, s1
	v_add_co_u32_e32 v4, vcc, s0, v4
	s_mul_i32 s0, s25, s8
	s_mul_hi_u32 s1, s24, s8
	s_add_i32 s1, s1, s0
	s_mul_i32 s0, s24, s8
	v_addc_co_u32_e32 v5, vcc, v6, v5, vcc
	s_lshl_b64 s[0:1], s[0:1], 3
	v_add_co_u32_e32 v6, vcc, 4, v4
	v_lshlrev_b64 v[2:3], 3, v[2:3]
	s_add_u32 s0, s20, s0
	v_addc_co_u32_e32 v7, vcc, 0, v5, vcc
	s_addc_u32 s1, s21, s1
	v_mov_b32_e32 v4, s1
	v_add_co_u32_e32 v2, vcc, s0, v2
	v_addc_co_u32_e32 v3, vcc, v4, v3, vcc
	v_add_co_u32_e32 v8, vcc, 4, v2
	v_lshlrev_b32_e32 v13, 3, v0
	v_addc_co_u32_e32 v9, vcc, 0, v3, vcc
	s_mov_b64 s[0:1], 0
	v_mov_b32_e32 v15, v10
	v_mov_b32_e32 v16, v10
	;; [unrolled: 1-line block ×7, first 2 shown]
.LBB1256_2:                             ; =>This Inner Loop Header: Depth=1
	global_load_dwordx2 v[2:3], v[6:7], off offset:-4
	v_add_co_u32_e32 v6, vcc, 64, v6
	s_add_u32 s0, s0, 8
	v_addc_co_u32_e32 v7, vcc, 0, v7, vcc
	s_addc_u32 s1, s1, 0
	s_waitcnt vmcnt(0)
	v_xor_b32_e32 v3, 0x80000000, v3
	ds_write_b64 v11, v[2:3]
	global_load_dwordx2 v[2:3], v[8:9], off offset:-4
	v_add_co_u32_e32 v8, vcc, 64, v8
	v_addc_co_u32_e32 v9, vcc, 0, v9, vcc
	s_waitcnt vmcnt(0)
	ds_write_b64 v12, v[2:3]
	s_waitcnt lgkmcnt(0)
	s_barrier
	ds_read_b128 v[22:25], v14
	ds_read_b128 v[26:29], v14 offset:16
	ds_read_b128 v[30:33], v14 offset:32
	;; [unrolled: 1-line block ×3, first 2 shown]
	ds_read2_b64 v[34:37], v13 offset1:16
	s_waitcnt lgkmcnt(0)
	v_mul_f32_e32 v38, v23, v35
	v_mul_f32_e32 v39, v22, v35
	v_fma_f32 v38, v22, v34, -v38
	v_fmac_f32_e32 v39, v23, v34
	v_add_f32_e32 v38, v20, v38
	v_add_f32_e32 v39, v21, v39
	v_mul_f32_e32 v20, v23, v37
	v_mul_f32_e32 v21, v22, v37
	v_fma_f32 v20, v22, v36, -v20
	v_fmac_f32_e32 v21, v23, v36
	v_add_f32_e32 v22, v19, v20
	v_add_f32_e32 v23, v18, v21
	ds_read_b128 v[18:21], v14 offset:1024
	s_waitcnt lgkmcnt(0)
	v_mul_f32_e32 v40, v19, v35
	v_mul_f32_e32 v35, v18, v35
	v_fma_f32 v40, v18, v34, -v40
	v_fmac_f32_e32 v35, v19, v34
	v_add_f32_e32 v34, v17, v40
	v_add_f32_e32 v35, v16, v35
	v_mul_f32_e32 v16, v19, v37
	v_mul_f32_e32 v17, v18, v37
	v_fma_f32 v16, v18, v36, -v16
	v_fmac_f32_e32 v17, v19, v36
	v_add_f32_e32 v19, v15, v16
	v_add_f32_e32 v10, v10, v17
	ds_read2_b64 v[15:18], v13 offset0:32 offset1:48
	s_waitcnt lgkmcnt(0)
	v_mul_f32_e32 v36, v25, v16
	v_fma_f32 v36, v24, v15, -v36
	v_add_f32_e32 v36, v38, v36
	v_mul_f32_e32 v38, v25, v18
	v_mul_f32_e32 v37, v24, v16
	v_fma_f32 v38, v24, v17, -v38
	v_mul_f32_e32 v24, v24, v18
	v_fmac_f32_e32 v24, v25, v17
	v_add_f32_e32 v23, v23, v24
	v_mul_f32_e32 v24, v21, v16
	v_mul_f32_e32 v16, v20, v16
	v_fmac_f32_e32 v16, v21, v15
	v_fmac_f32_e32 v37, v25, v15
	v_fma_f32 v24, v20, v15, -v24
	v_add_f32_e32 v25, v35, v16
	v_mul_f32_e32 v15, v21, v18
	v_mul_f32_e32 v16, v20, v18
	v_fma_f32 v15, v20, v17, -v15
	v_fmac_f32_e32 v16, v21, v17
	v_add_f32_e32 v24, v34, v24
	v_add_f32_e32 v34, v19, v15
	;; [unrolled: 1-line block ×3, first 2 shown]
	ds_read2_b64 v[15:18], v13 offset0:64 offset1:80
	v_add_f32_e32 v37, v39, v37
	v_add_f32_e32 v22, v22, v38
	s_waitcnt lgkmcnt(0)
	v_mul_f32_e32 v19, v27, v16
	v_mul_f32_e32 v20, v26, v16
	v_fma_f32 v19, v26, v15, -v19
	v_fmac_f32_e32 v20, v27, v15
	v_add_f32_e32 v35, v36, v19
	v_add_f32_e32 v36, v37, v20
	v_mul_f32_e32 v19, v27, v18
	v_mul_f32_e32 v20, v26, v18
	v_fma_f32 v19, v26, v17, -v19
	v_fmac_f32_e32 v20, v27, v17
	v_add_f32_e32 v26, v22, v19
	v_add_f32_e32 v23, v23, v20
	ds_read_b128 v[19:22], v14 offset:1040
	s_waitcnt lgkmcnt(0)
	v_mul_f32_e32 v27, v20, v16
	v_mul_f32_e32 v16, v19, v16
	v_fmac_f32_e32 v16, v20, v15
	v_fma_f32 v27, v19, v15, -v27
	v_add_f32_e32 v25, v25, v16
	v_mul_f32_e32 v15, v20, v18
	v_mul_f32_e32 v16, v19, v18
	v_fma_f32 v15, v19, v17, -v15
	v_fmac_f32_e32 v16, v20, v17
	v_add_f32_e32 v19, v34, v15
	v_add_f32_e32 v10, v10, v16
	ds_read2_b64 v[15:18], v13 offset0:96 offset1:112
	v_add_f32_e32 v24, v24, v27
	s_waitcnt lgkmcnt(0)
	v_mul_f32_e32 v20, v29, v16
	v_mul_f32_e32 v34, v29, v18
	v_fma_f32 v20, v28, v15, -v20
	v_mul_f32_e32 v27, v28, v16
	v_fma_f32 v34, v28, v17, -v34
	v_mul_f32_e32 v28, v28, v18
	v_fmac_f32_e32 v28, v29, v17
	v_add_f32_e32 v23, v23, v28
	v_mul_f32_e32 v28, v22, v16
	v_mul_f32_e32 v16, v21, v16
	v_fmac_f32_e32 v16, v22, v15
	v_fmac_f32_e32 v27, v29, v15
	v_fma_f32 v28, v21, v15, -v28
	v_add_f32_e32 v25, v25, v16
	v_mul_f32_e32 v15, v22, v18
	v_mul_f32_e32 v16, v21, v18
	v_fma_f32 v15, v21, v17, -v15
	v_fmac_f32_e32 v16, v22, v17
	v_add_f32_e32 v24, v24, v28
	v_add_f32_e32 v28, v19, v15
	;; [unrolled: 1-line block ×3, first 2 shown]
	ds_read2_b64 v[15:18], v13 offset0:128 offset1:144
	v_add_f32_e32 v20, v35, v20
	v_add_f32_e32 v27, v36, v27
	;; [unrolled: 1-line block ×3, first 2 shown]
	s_waitcnt lgkmcnt(0)
	v_mul_f32_e32 v19, v31, v16
	v_fma_f32 v19, v30, v15, -v19
	v_mul_f32_e32 v21, v30, v16
	v_add_f32_e32 v29, v20, v19
	v_mul_f32_e32 v19, v31, v18
	v_mul_f32_e32 v20, v30, v18
	v_fmac_f32_e32 v21, v31, v15
	v_fma_f32 v19, v30, v17, -v19
	v_fmac_f32_e32 v20, v31, v17
	v_add_f32_e32 v27, v27, v21
	v_add_f32_e32 v26, v26, v19
	;; [unrolled: 1-line block ×3, first 2 shown]
	ds_read_b128 v[19:22], v14 offset:1056
	s_waitcnt lgkmcnt(0)
	v_mul_f32_e32 v30, v20, v16
	v_mul_f32_e32 v16, v19, v16
	v_fmac_f32_e32 v16, v20, v15
	v_fma_f32 v30, v19, v15, -v30
	v_add_f32_e32 v25, v25, v16
	v_mul_f32_e32 v15, v20, v18
	v_mul_f32_e32 v16, v19, v18
	v_fma_f32 v15, v19, v17, -v15
	v_fmac_f32_e32 v16, v20, v17
	v_add_f32_e32 v19, v28, v15
	v_add_f32_e32 v10, v10, v16
	ds_read2_b64 v[15:18], v13 offset0:160 offset1:176
	v_add_f32_e32 v24, v24, v30
	s_waitcnt lgkmcnt(0)
	v_mul_f32_e32 v28, v32, v16
	v_fmac_f32_e32 v28, v33, v15
	v_add_f32_e32 v27, v27, v28
	v_mul_f32_e32 v28, v33, v18
	v_fma_f32 v28, v32, v17, -v28
	v_mul_f32_e32 v20, v33, v16
	v_add_f32_e32 v26, v26, v28
	v_mul_f32_e32 v28, v22, v16
	v_mul_f32_e32 v16, v21, v16
	v_fmac_f32_e32 v16, v22, v15
	v_fma_f32 v20, v32, v15, -v20
	v_fma_f32 v28, v21, v15, -v28
	v_add_f32_e32 v25, v25, v16
	v_mul_f32_e32 v15, v22, v18
	v_mul_f32_e32 v16, v21, v18
	v_add_f32_e32 v20, v29, v20
	v_mul_f32_e32 v29, v32, v18
	v_fma_f32 v15, v21, v17, -v15
	v_fmac_f32_e32 v16, v22, v17
	v_fmac_f32_e32 v29, v33, v17
	v_add_f32_e32 v19, v19, v15
	v_add_f32_e32 v10, v10, v16
	ds_read2_b64 v[15:18], v13 offset0:192 offset1:208
	v_add_f32_e32 v24, v24, v28
	v_add_f32_e32 v23, v23, v29
	s_waitcnt lgkmcnt(0)
	v_mul_f32_e32 v21, v3, v16
	v_fma_f32 v21, v2, v15, -v21
	v_add_f32_e32 v28, v20, v21
	v_mul_f32_e32 v20, v3, v18
	v_mul_f32_e32 v22, v2, v16
	v_fma_f32 v20, v2, v17, -v20
	v_mul_f32_e32 v2, v2, v18
	v_fmac_f32_e32 v22, v3, v15
	v_fmac_f32_e32 v2, v3, v17
	v_add_f32_e32 v29, v27, v22
	v_add_f32_e32 v3, v26, v20
	;; [unrolled: 1-line block ×3, first 2 shown]
	ds_read_b128 v[20:23], v14 offset:1072
	s_waitcnt lgkmcnt(0)
	v_mul_f32_e32 v26, v21, v16
	v_fma_f32 v26, v20, v15, -v26
	v_mul_f32_e32 v16, v20, v16
	v_fmac_f32_e32 v16, v21, v15
	v_add_f32_e32 v15, v24, v26
	v_mul_f32_e32 v24, v21, v18
	v_fma_f32 v24, v20, v17, -v24
	v_add_f32_e32 v16, v25, v16
	v_add_f32_e32 v30, v19, v24
	ds_read2_b64 v[24:27], v13 offset0:224 offset1:240
	v_mul_f32_e32 v18, v20, v18
	v_fmac_f32_e32 v18, v21, v17
	v_add_f32_e32 v10, v10, v18
	s_waitcnt lgkmcnt(0)
	v_mul_f32_e32 v17, v5, v25
	v_fma_f32 v17, v4, v24, -v17
	v_add_f32_e32 v20, v28, v17
	v_mul_f32_e32 v17, v5, v27
	v_mul_f32_e32 v18, v4, v25
	v_fma_f32 v17, v4, v26, -v17
	v_mul_f32_e32 v4, v4, v27
	v_fmac_f32_e32 v18, v5, v24
	v_fmac_f32_e32 v4, v5, v26
	v_add_f32_e32 v21, v29, v18
	v_add_f32_e32 v19, v3, v17
	;; [unrolled: 1-line block ×3, first 2 shown]
	v_mul_f32_e32 v2, v23, v25
	v_mul_f32_e32 v3, v22, v25
	v_fma_f32 v2, v22, v24, -v2
	v_fmac_f32_e32 v3, v23, v24
	v_add_f32_e32 v17, v15, v2
	v_add_f32_e32 v16, v16, v3
	v_mul_f32_e32 v2, v23, v27
	v_mul_f32_e32 v3, v22, v27
	v_fma_f32 v2, v22, v26, -v2
	v_fmac_f32_e32 v3, v23, v26
	v_add_f32_e32 v15, v30, v2
	v_add_f32_e32 v10, v10, v3
	v_mov_b32_e32 v3, s1
	v_mov_b32_e32 v2, s0
	v_cmp_le_u64_e32 vcc, s[12:13], v[2:3]
	s_barrier
	s_cbranch_vccz .LBB1256_2
	s_branch .LBB1256_4
.LBB1256_3:
	v_mov_b32_e32 v20, 0
	v_mov_b32_e32 v21, 0
	;; [unrolled: 1-line block ×8, first 2 shown]
.LBB1256_4:
	s_load_dwordx4 s[12:15], s[4:5], 0x48
	s_load_dword s6, s[4:5], 0x0
	v_add_u32_e32 v5, s3, v1
	v_ashrrev_i32_e32 v1, 31, v5
	v_add_u32_e32 v0, s2, v0
	s_waitcnt lgkmcnt(0)
	s_mul_i32 s1, s15, s8
	s_mul_hi_u32 s3, s14, s8
	s_mul_i32 s0, s14, s8
	v_mul_lo_u32 v3, s12, v1
	v_mul_lo_u32 v4, s13, v5
	v_mad_u64_u32 v[1:2], s[8:9], s12, v5, 0
	s_add_i32 s1, s3, s1
	s_lshl_b64 s[0:1], s[0:1], 3
	v_add3_u32 v2, v2, v3, v4
	s_add_u32 s4, s26, s0
	v_lshlrev_b64 v[1:2], 3, v[1:2]
	s_addc_u32 s5, s27, s1
	v_mov_b32_e32 v3, s5
	v_add_co_u32_e64 v4, s[0:1], s4, v1
	v_addc_co_u32_e64 v6, s[0:1], v3, v2, s[0:1]
	v_cmp_gt_i32_e32 vcc, s6, v5
	v_cmp_le_i32_e64 s[0:1], v0, v5
	s_and_b64 s[0:1], vcc, s[0:1]
	s_and_saveexec_b64 s[2:3], s[0:1]
	s_cbranch_execz .LBB1256_7
; %bb.5:
	v_ashrrev_i32_e32 v1, 31, v0
	v_lshlrev_b64 v[1:2], 3, v[0:1]
	v_xor_b32_e32 v7, 0x80000000, v20
	v_add_co_u32_e64 v1, s[0:1], v4, v1
	v_addc_co_u32_e64 v2, s[0:1], v6, v2, s[0:1]
	v_xor_b32_e32 v8, 0x80000000, v21
	v_cmp_eq_u32_e64 s[0:1], v5, v0
	global_store_dwordx2 v[1:2], v[7:8], off
	s_and_b64 exec, exec, s[0:1]
	s_cbranch_execz .LBB1256_7
; %bb.6:
	v_mov_b32_e32 v3, 0
	global_store_dword v[1:2], v3, off offset:4
.LBB1256_7:
	s_or_b64 exec, exec, s[2:3]
	v_add_u32_e32 v2, 16, v0
	v_cmp_le_i32_e64 s[0:1], v2, v5
	s_and_b64 s[2:3], vcc, s[0:1]
	s_and_saveexec_b64 s[0:1], s[2:3]
	s_cbranch_execz .LBB1256_10
; %bb.8:
	v_ashrrev_i32_e32 v3, 31, v2
	v_lshlrev_b64 v[11:12], 3, v[2:3]
	v_xor_b32_e32 v7, 0x80000000, v19
	v_add_co_u32_e32 v3, vcc, v4, v11
	v_addc_co_u32_e32 v4, vcc, v6, v12, vcc
	v_xor_b32_e32 v8, 0x80000000, v18
	v_cmp_eq_u32_e32 vcc, v5, v2
	global_store_dwordx2 v[3:4], v[7:8], off
	s_and_b64 exec, exec, vcc
	s_cbranch_execz .LBB1256_10
; %bb.9:
	v_mov_b32_e32 v1, 0
	global_store_dword v[3:4], v1, off offset:4
.LBB1256_10:
	s_or_b64 exec, exec, s[0:1]
	v_add_u32_e32 v8, 16, v5
	v_ashrrev_i32_e32 v1, 31, v8
	v_mul_lo_u32 v1, s12, v1
	v_mul_lo_u32 v6, s13, v8
	v_mad_u64_u32 v[3:4], s[0:1], s12, v8, 0
	v_cmp_gt_i32_e32 vcc, s6, v8
	v_add3_u32 v4, v4, v1, v6
	v_lshlrev_b64 v[3:4], 3, v[3:4]
	v_mov_b32_e32 v1, s5
	v_add_co_u32_e64 v6, s[0:1], s4, v3
	v_addc_co_u32_e64 v7, s[0:1], v1, v4, s[0:1]
	v_cmp_le_i32_e64 s[0:1], v0, v8
	s_and_b64 s[0:1], vcc, s[0:1]
	s_and_saveexec_b64 s[2:3], s[0:1]
	s_cbranch_execz .LBB1256_13
; %bb.11:
	v_ashrrev_i32_e32 v1, 31, v0
	v_lshlrev_b64 v[3:4], 3, v[0:1]
	v_xor_b32_e32 v11, 0x80000000, v17
	v_add_co_u32_e64 v3, s[0:1], v6, v3
	v_addc_co_u32_e64 v4, s[0:1], v7, v4, s[0:1]
	v_xor_b32_e32 v12, 0x80000000, v16
	v_cmp_eq_u32_e64 s[0:1], v8, v0
	global_store_dwordx2 v[3:4], v[11:12], off
	s_and_b64 exec, exec, s[0:1]
	s_cbranch_execz .LBB1256_13
; %bb.12:
	v_mov_b32_e32 v1, 0
	global_store_dword v[3:4], v1, off offset:4
.LBB1256_13:
	s_or_b64 exec, exec, s[2:3]
	v_cmp_le_i32_e64 s[0:1], v2, v8
	s_and_b64 s[0:1], vcc, s[0:1]
	s_and_saveexec_b64 s[2:3], s[0:1]
	s_cbranch_execz .LBB1256_16
; %bb.14:
	v_ashrrev_i32_e32 v3, 31, v2
	v_lshlrev_b64 v[1:2], 3, v[2:3]
	v_xor_b32_e32 v8, 0x80000000, v15
	v_add_co_u32_e32 v1, vcc, v6, v1
	v_addc_co_u32_e32 v2, vcc, v7, v2, vcc
	v_xor_b32_e32 v9, 0x80000000, v10
	v_cmp_eq_u32_e32 vcc, v5, v0
	global_store_dwordx2 v[1:2], v[8:9], off
	s_and_b64 exec, exec, vcc
	s_cbranch_execz .LBB1256_16
; %bb.15:
	v_mov_b32_e32 v0, 0
	global_store_dword v[1:2], v0, off offset:4
.LBB1256_16:
	s_endpgm
	.section	.rodata,"a",@progbits
	.p2align	6, 0x0
	.amdhsa_kernel _ZL37rocblas_syrkx_herkx_restricted_kernelIl19rocblas_complex_numIfELi16ELi32ELi8ELin1ELi0ELb1ELc67ELc85EKS1_S1_EviT_PT9_S3_lS5_S3_lPT10_S3_li
		.amdhsa_group_segment_fixed_size 4096
		.amdhsa_private_segment_fixed_size 0
		.amdhsa_kernarg_size 92
		.amdhsa_user_sgpr_count 6
		.amdhsa_user_sgpr_private_segment_buffer 1
		.amdhsa_user_sgpr_dispatch_ptr 0
		.amdhsa_user_sgpr_queue_ptr 0
		.amdhsa_user_sgpr_kernarg_segment_ptr 1
		.amdhsa_user_sgpr_dispatch_id 0
		.amdhsa_user_sgpr_flat_scratch_init 0
		.amdhsa_user_sgpr_private_segment_size 0
		.amdhsa_uses_dynamic_stack 0
		.amdhsa_system_sgpr_private_segment_wavefront_offset 0
		.amdhsa_system_sgpr_workgroup_id_x 1
		.amdhsa_system_sgpr_workgroup_id_y 1
		.amdhsa_system_sgpr_workgroup_id_z 1
		.amdhsa_system_sgpr_workgroup_info 0
		.amdhsa_system_vgpr_workitem_id 1
		.amdhsa_next_free_vgpr 41
		.amdhsa_next_free_sgpr 28
		.amdhsa_reserve_vcc 1
		.amdhsa_reserve_flat_scratch 0
		.amdhsa_float_round_mode_32 0
		.amdhsa_float_round_mode_16_64 0
		.amdhsa_float_denorm_mode_32 3
		.amdhsa_float_denorm_mode_16_64 3
		.amdhsa_dx10_clamp 1
		.amdhsa_ieee_mode 1
		.amdhsa_fp16_overflow 0
		.amdhsa_exception_fp_ieee_invalid_op 0
		.amdhsa_exception_fp_denorm_src 0
		.amdhsa_exception_fp_ieee_div_zero 0
		.amdhsa_exception_fp_ieee_overflow 0
		.amdhsa_exception_fp_ieee_underflow 0
		.amdhsa_exception_fp_ieee_inexact 0
		.amdhsa_exception_int_div_zero 0
	.end_amdhsa_kernel
	.section	.text._ZL37rocblas_syrkx_herkx_restricted_kernelIl19rocblas_complex_numIfELi16ELi32ELi8ELin1ELi0ELb1ELc67ELc85EKS1_S1_EviT_PT9_S3_lS5_S3_lPT10_S3_li,"axG",@progbits,_ZL37rocblas_syrkx_herkx_restricted_kernelIl19rocblas_complex_numIfELi16ELi32ELi8ELin1ELi0ELb1ELc67ELc85EKS1_S1_EviT_PT9_S3_lS5_S3_lPT10_S3_li,comdat
.Lfunc_end1256:
	.size	_ZL37rocblas_syrkx_herkx_restricted_kernelIl19rocblas_complex_numIfELi16ELi32ELi8ELin1ELi0ELb1ELc67ELc85EKS1_S1_EviT_PT9_S3_lS5_S3_lPT10_S3_li, .Lfunc_end1256-_ZL37rocblas_syrkx_herkx_restricted_kernelIl19rocblas_complex_numIfELi16ELi32ELi8ELin1ELi0ELb1ELc67ELc85EKS1_S1_EviT_PT9_S3_lS5_S3_lPT10_S3_li
                                        ; -- End function
	.set _ZL37rocblas_syrkx_herkx_restricted_kernelIl19rocblas_complex_numIfELi16ELi32ELi8ELin1ELi0ELb1ELc67ELc85EKS1_S1_EviT_PT9_S3_lS5_S3_lPT10_S3_li.num_vgpr, 41
	.set _ZL37rocblas_syrkx_herkx_restricted_kernelIl19rocblas_complex_numIfELi16ELi32ELi8ELin1ELi0ELb1ELc67ELc85EKS1_S1_EviT_PT9_S3_lS5_S3_lPT10_S3_li.num_agpr, 0
	.set _ZL37rocblas_syrkx_herkx_restricted_kernelIl19rocblas_complex_numIfELi16ELi32ELi8ELin1ELi0ELb1ELc67ELc85EKS1_S1_EviT_PT9_S3_lS5_S3_lPT10_S3_li.numbered_sgpr, 28
	.set _ZL37rocblas_syrkx_herkx_restricted_kernelIl19rocblas_complex_numIfELi16ELi32ELi8ELin1ELi0ELb1ELc67ELc85EKS1_S1_EviT_PT9_S3_lS5_S3_lPT10_S3_li.num_named_barrier, 0
	.set _ZL37rocblas_syrkx_herkx_restricted_kernelIl19rocblas_complex_numIfELi16ELi32ELi8ELin1ELi0ELb1ELc67ELc85EKS1_S1_EviT_PT9_S3_lS5_S3_lPT10_S3_li.private_seg_size, 0
	.set _ZL37rocblas_syrkx_herkx_restricted_kernelIl19rocblas_complex_numIfELi16ELi32ELi8ELin1ELi0ELb1ELc67ELc85EKS1_S1_EviT_PT9_S3_lS5_S3_lPT10_S3_li.uses_vcc, 1
	.set _ZL37rocblas_syrkx_herkx_restricted_kernelIl19rocblas_complex_numIfELi16ELi32ELi8ELin1ELi0ELb1ELc67ELc85EKS1_S1_EviT_PT9_S3_lS5_S3_lPT10_S3_li.uses_flat_scratch, 0
	.set _ZL37rocblas_syrkx_herkx_restricted_kernelIl19rocblas_complex_numIfELi16ELi32ELi8ELin1ELi0ELb1ELc67ELc85EKS1_S1_EviT_PT9_S3_lS5_S3_lPT10_S3_li.has_dyn_sized_stack, 0
	.set _ZL37rocblas_syrkx_herkx_restricted_kernelIl19rocblas_complex_numIfELi16ELi32ELi8ELin1ELi0ELb1ELc67ELc85EKS1_S1_EviT_PT9_S3_lS5_S3_lPT10_S3_li.has_recursion, 0
	.set _ZL37rocblas_syrkx_herkx_restricted_kernelIl19rocblas_complex_numIfELi16ELi32ELi8ELin1ELi0ELb1ELc67ELc85EKS1_S1_EviT_PT9_S3_lS5_S3_lPT10_S3_li.has_indirect_call, 0
	.section	.AMDGPU.csdata,"",@progbits
; Kernel info:
; codeLenInByte = 2144
; TotalNumSgprs: 32
; NumVgprs: 41
; ScratchSize: 0
; MemoryBound: 0
; FloatMode: 240
; IeeeMode: 1
; LDSByteSize: 4096 bytes/workgroup (compile time only)
; SGPRBlocks: 3
; VGPRBlocks: 10
; NumSGPRsForWavesPerEU: 32
; NumVGPRsForWavesPerEU: 41
; Occupancy: 5
; WaveLimiterHint : 1
; COMPUTE_PGM_RSRC2:SCRATCH_EN: 0
; COMPUTE_PGM_RSRC2:USER_SGPR: 6
; COMPUTE_PGM_RSRC2:TRAP_HANDLER: 0
; COMPUTE_PGM_RSRC2:TGID_X_EN: 1
; COMPUTE_PGM_RSRC2:TGID_Y_EN: 1
; COMPUTE_PGM_RSRC2:TGID_Z_EN: 1
; COMPUTE_PGM_RSRC2:TIDIG_COMP_CNT: 1
	.section	.text._ZL37rocblas_syrkx_herkx_restricted_kernelIl19rocblas_complex_numIfELi16ELi32ELi8ELin1ELi0ELb1ELc78ELc85EKS1_S1_EviT_PT9_S3_lS5_S3_lPT10_S3_li,"axG",@progbits,_ZL37rocblas_syrkx_herkx_restricted_kernelIl19rocblas_complex_numIfELi16ELi32ELi8ELin1ELi0ELb1ELc78ELc85EKS1_S1_EviT_PT9_S3_lS5_S3_lPT10_S3_li,comdat
	.globl	_ZL37rocblas_syrkx_herkx_restricted_kernelIl19rocblas_complex_numIfELi16ELi32ELi8ELin1ELi0ELb1ELc78ELc85EKS1_S1_EviT_PT9_S3_lS5_S3_lPT10_S3_li ; -- Begin function _ZL37rocblas_syrkx_herkx_restricted_kernelIl19rocblas_complex_numIfELi16ELi32ELi8ELin1ELi0ELb1ELc78ELc85EKS1_S1_EviT_PT9_S3_lS5_S3_lPT10_S3_li
	.p2align	8
	.type	_ZL37rocblas_syrkx_herkx_restricted_kernelIl19rocblas_complex_numIfELi16ELi32ELi8ELin1ELi0ELb1ELc78ELc85EKS1_S1_EviT_PT9_S3_lS5_S3_lPT10_S3_li,@function
_ZL37rocblas_syrkx_herkx_restricted_kernelIl19rocblas_complex_numIfELi16ELi32ELi8ELin1ELi0ELb1ELc78ELc85EKS1_S1_EviT_PT9_S3_lS5_S3_lPT10_S3_li: ; @_ZL37rocblas_syrkx_herkx_restricted_kernelIl19rocblas_complex_numIfELi16ELi32ELi8ELin1ELi0ELb1ELc78ELc85EKS1_S1_EviT_PT9_S3_lS5_S3_lPT10_S3_li
; %bb.0:
	s_load_dwordx16 s[12:27], s[4:5], 0x8
	s_lshl_b32 s9, s6, 5
	s_lshl_b32 s10, s7, 5
	s_waitcnt lgkmcnt(0)
	v_cmp_lt_i64_e64 s[0:1], s[12:13], 1
	s_and_b64 vcc, exec, s[0:1]
	s_cbranch_vccnz .LBB1257_3
; %bb.1:
	v_lshl_add_u32 v6, v1, 4, v0
	v_lshrrev_b32_e32 v7, 3, v6
	v_add_u32_e32 v2, s10, v7
	v_and_b32_e32 v5, 7, v0
	v_ashrrev_i32_e32 v3, 31, v2
	v_mad_u64_u32 v[2:3], s[0:1], s22, v5, v[2:3]
	v_lshrrev_b32_e32 v8, 5, v6
	s_mul_i32 s2, s19, s8
	v_mad_u64_u32 v[3:4], s[0:1], s23, v5, v[3:4]
	v_and_b32_e32 v4, 31, v6
	v_lshlrev_b32_e32 v5, 3, v5
	v_lshlrev_b32_e32 v6, 3, v4
	v_lshl_or_b32 v5, v7, 6, v5
	v_add_u32_e32 v4, s9, v4
	v_add_u32_e32 v11, 0x800, v5
	v_ashrrev_i32_e32 v5, 31, v4
	v_mad_u64_u32 v[4:5], s[0:1], s16, v8, v[4:5]
	v_lshl_or_b32 v10, v8, 8, v6
	v_mov_b32_e32 v6, 0x800
	v_lshl_add_u32 v13, v1, 6, v6
	v_mad_u64_u32 v[5:6], s[0:1], s17, v8, v[5:6]
	s_mul_hi_u32 s3, s18, s8
	s_add_i32 s1, s3, s2
	s_mul_i32 s0, s18, s8
	s_lshl_b64 s[0:1], s[0:1], 3
	v_lshlrev_b64 v[4:5], 3, v[4:5]
	s_add_u32 s0, s14, s0
	s_addc_u32 s1, s15, s1
	s_mul_i32 s2, s25, s8
	s_mul_hi_u32 s3, s24, s8
	v_mov_b32_e32 v6, s1
	v_add_co_u32_e32 v4, vcc, s0, v4
	s_add_i32 s3, s3, s2
	s_mul_i32 s2, s24, s8
	v_addc_co_u32_e32 v5, vcc, v6, v5, vcc
	s_lshl_b64 s[0:1], s[16:17], 6
	s_lshl_b64 s[2:3], s[2:3], 3
	v_add_co_u32_e32 v6, vcc, 4, v4
	v_lshlrev_b64 v[2:3], 3, v[2:3]
	s_add_u32 s2, s20, s2
	v_addc_co_u32_e32 v7, vcc, 0, v5, vcc
	s_addc_u32 s3, s21, s3
	v_mov_b32_e32 v4, s3
	v_add_co_u32_e32 v2, vcc, s2, v2
	v_addc_co_u32_e32 v3, vcc, v4, v3, vcc
	v_add_co_u32_e32 v8, vcc, 4, v2
	s_lshl_b64 s[2:3], s[22:23], 6
	v_lshlrev_b32_e32 v12, 3, v0
	v_addc_co_u32_e32 v9, vcc, 0, v3, vcc
	v_mov_b32_e32 v16, 0
	s_mov_b64 s[6:7], 0
	v_mov_b32_e32 v14, s1
	v_mov_b32_e32 v15, s3
	;; [unrolled: 1-line block ×9, first 2 shown]
.LBB1257_2:                             ; =>This Inner Loop Header: Depth=1
	global_load_dwordx2 v[2:3], v[6:7], off offset:-4
	v_add_co_u32_e32 v6, vcc, s0, v6
	s_add_u32 s6, s6, 8
	v_addc_co_u32_e32 v7, vcc, v7, v14, vcc
	s_addc_u32 s7, s7, 0
	s_waitcnt vmcnt(0)
	ds_write_b64 v10, v[2:3]
	global_load_dwordx2 v[2:3], v[8:9], off offset:-4
	v_add_co_u32_e32 v8, vcc, s2, v8
	v_addc_co_u32_e32 v9, vcc, v9, v15, vcc
	s_waitcnt vmcnt(0)
	v_xor_b32_e32 v3, 0x80000000, v3
	ds_write_b64 v11, v[2:3]
	s_waitcnt lgkmcnt(0)
	s_barrier
	ds_read_b128 v[24:27], v13
	ds_read_b128 v[28:31], v13 offset:16
	ds_read_b128 v[32:35], v13 offset:32
	;; [unrolled: 1-line block ×3, first 2 shown]
	ds_read2_b64 v[36:39], v12 offset1:16
	s_waitcnt lgkmcnt(0)
	v_mul_f32_e32 v40, v25, v37
	v_mul_f32_e32 v41, v24, v37
	v_fma_f32 v40, v24, v36, -v40
	v_fmac_f32_e32 v41, v25, v36
	v_add_f32_e32 v40, v22, v40
	v_add_f32_e32 v41, v23, v41
	v_mul_f32_e32 v22, v25, v39
	v_mul_f32_e32 v23, v24, v39
	v_fma_f32 v22, v24, v38, -v22
	v_fmac_f32_e32 v23, v25, v38
	v_add_f32_e32 v24, v21, v22
	v_add_f32_e32 v25, v20, v23
	ds_read_b128 v[20:23], v13 offset:1024
	s_waitcnt lgkmcnt(0)
	v_mul_f32_e32 v42, v21, v37
	v_mul_f32_e32 v37, v20, v37
	v_fma_f32 v42, v20, v36, -v42
	v_fmac_f32_e32 v37, v21, v36
	v_add_f32_e32 v36, v19, v42
	v_add_f32_e32 v37, v18, v37
	v_mul_f32_e32 v18, v21, v39
	v_mul_f32_e32 v19, v20, v39
	v_fma_f32 v18, v20, v38, -v18
	v_fmac_f32_e32 v19, v21, v38
	v_add_f32_e32 v20, v17, v18
	v_add_f32_e32 v21, v16, v19
	ds_read2_b64 v[16:19], v12 offset0:32 offset1:48
	s_waitcnt lgkmcnt(0)
	v_mul_f32_e32 v38, v27, v17
	v_fma_f32 v38, v26, v16, -v38
	v_add_f32_e32 v38, v40, v38
	v_mul_f32_e32 v40, v27, v19
	v_mul_f32_e32 v39, v26, v17
	v_fma_f32 v40, v26, v18, -v40
	v_mul_f32_e32 v26, v26, v19
	v_fmac_f32_e32 v26, v27, v18
	v_add_f32_e32 v25, v25, v26
	v_mul_f32_e32 v26, v23, v17
	v_mul_f32_e32 v17, v22, v17
	v_fmac_f32_e32 v17, v23, v16
	v_fmac_f32_e32 v39, v27, v16
	v_fma_f32 v26, v22, v16, -v26
	v_add_f32_e32 v27, v37, v17
	v_mul_f32_e32 v16, v23, v19
	v_mul_f32_e32 v17, v22, v19
	v_fma_f32 v16, v22, v18, -v16
	v_fmac_f32_e32 v17, v23, v18
	v_add_f32_e32 v26, v36, v26
	v_add_f32_e32 v36, v20, v16
	;; [unrolled: 1-line block ×3, first 2 shown]
	ds_read2_b64 v[16:19], v12 offset0:64 offset1:80
	v_add_f32_e32 v39, v41, v39
	v_add_f32_e32 v24, v24, v40
	s_waitcnt lgkmcnt(0)
	v_mul_f32_e32 v20, v29, v17
	v_mul_f32_e32 v21, v28, v17
	v_fma_f32 v20, v28, v16, -v20
	v_fmac_f32_e32 v21, v29, v16
	v_add_f32_e32 v38, v38, v20
	v_add_f32_e32 v39, v39, v21
	v_mul_f32_e32 v20, v29, v19
	v_mul_f32_e32 v21, v28, v19
	v_fma_f32 v20, v28, v18, -v20
	v_fmac_f32_e32 v21, v29, v18
	v_add_f32_e32 v24, v24, v20
	v_add_f32_e32 v25, v25, v21
	ds_read_b128 v[20:23], v13 offset:1040
	s_waitcnt lgkmcnt(0)
	v_mul_f32_e32 v28, v21, v17
	v_mul_f32_e32 v17, v20, v17
	v_fmac_f32_e32 v17, v21, v16
	v_fma_f32 v28, v20, v16, -v28
	v_add_f32_e32 v27, v27, v17
	v_mul_f32_e32 v16, v21, v19
	v_mul_f32_e32 v17, v20, v19
	v_fma_f32 v16, v20, v18, -v16
	v_fmac_f32_e32 v17, v21, v18
	v_add_f32_e32 v20, v36, v16
	v_add_f32_e32 v21, v37, v17
	ds_read2_b64 v[16:19], v12 offset0:96 offset1:112
	v_add_f32_e32 v26, v26, v28
	s_waitcnt lgkmcnt(0)
	v_mul_f32_e32 v28, v31, v17
	v_mul_f32_e32 v36, v31, v19
	v_fma_f32 v28, v30, v16, -v28
	v_mul_f32_e32 v29, v30, v17
	v_fma_f32 v36, v30, v18, -v36
	v_mul_f32_e32 v30, v30, v19
	v_fmac_f32_e32 v30, v31, v18
	v_add_f32_e32 v25, v25, v30
	v_mul_f32_e32 v30, v23, v17
	v_mul_f32_e32 v17, v22, v17
	v_fmac_f32_e32 v17, v23, v16
	v_fmac_f32_e32 v29, v31, v16
	v_fma_f32 v30, v22, v16, -v30
	v_add_f32_e32 v27, v27, v17
	v_mul_f32_e32 v16, v23, v19
	v_mul_f32_e32 v17, v22, v19
	v_fma_f32 v16, v22, v18, -v16
	v_fmac_f32_e32 v17, v23, v18
	v_add_f32_e32 v26, v26, v30
	v_add_f32_e32 v30, v20, v16
	;; [unrolled: 1-line block ×3, first 2 shown]
	ds_read2_b64 v[16:19], v12 offset0:128 offset1:144
	v_add_f32_e32 v28, v38, v28
	v_add_f32_e32 v29, v39, v29
	;; [unrolled: 1-line block ×3, first 2 shown]
	s_waitcnt lgkmcnt(0)
	v_mul_f32_e32 v20, v33, v17
	v_mul_f32_e32 v21, v32, v17
	v_fma_f32 v20, v32, v16, -v20
	v_fmac_f32_e32 v21, v33, v16
	v_add_f32_e32 v28, v28, v20
	v_add_f32_e32 v29, v29, v21
	v_mul_f32_e32 v20, v33, v19
	v_mul_f32_e32 v21, v32, v19
	v_fma_f32 v20, v32, v18, -v20
	v_fmac_f32_e32 v21, v33, v18
	v_add_f32_e32 v24, v24, v20
	v_add_f32_e32 v25, v25, v21
	ds_read_b128 v[20:23], v13 offset:1056
	s_waitcnt lgkmcnt(0)
	v_mul_f32_e32 v32, v21, v17
	v_mul_f32_e32 v17, v20, v17
	v_fmac_f32_e32 v17, v21, v16
	v_fma_f32 v32, v20, v16, -v32
	v_add_f32_e32 v27, v27, v17
	v_mul_f32_e32 v16, v21, v19
	v_mul_f32_e32 v17, v20, v19
	v_fma_f32 v16, v20, v18, -v16
	v_fmac_f32_e32 v17, v21, v18
	v_add_f32_e32 v20, v30, v16
	v_add_f32_e32 v21, v31, v17
	ds_read2_b64 v[16:19], v12 offset0:160 offset1:176
	v_add_f32_e32 v26, v26, v32
	s_waitcnt lgkmcnt(0)
	v_mul_f32_e32 v30, v35, v17
	v_fma_f32 v30, v34, v16, -v30
	v_add_f32_e32 v28, v28, v30
	v_mul_f32_e32 v30, v35, v19
	v_fma_f32 v30, v34, v18, -v30
	v_mul_f32_e32 v31, v34, v17
	v_add_f32_e32 v24, v24, v30
	v_mul_f32_e32 v30, v23, v17
	v_mul_f32_e32 v17, v22, v17
	v_fmac_f32_e32 v17, v23, v16
	v_fmac_f32_e32 v31, v35, v16
	v_fma_f32 v30, v22, v16, -v30
	v_add_f32_e32 v27, v27, v17
	v_mul_f32_e32 v16, v23, v19
	v_mul_f32_e32 v17, v22, v19
	v_add_f32_e32 v29, v29, v31
	v_mul_f32_e32 v31, v34, v19
	v_fma_f32 v16, v22, v18, -v16
	v_fmac_f32_e32 v17, v23, v18
	v_fmac_f32_e32 v31, v35, v18
	v_add_f32_e32 v20, v20, v16
	v_add_f32_e32 v21, v21, v17
	ds_read2_b64 v[16:19], v12 offset0:192 offset1:208
	v_add_f32_e32 v26, v26, v30
	v_add_f32_e32 v25, v25, v31
	s_waitcnt lgkmcnt(0)
	v_mul_f32_e32 v22, v3, v17
	v_fma_f32 v22, v2, v16, -v22
	v_add_f32_e32 v30, v28, v22
	v_mul_f32_e32 v22, v3, v19
	v_mul_f32_e32 v23, v2, v17
	v_fma_f32 v22, v2, v18, -v22
	v_mul_f32_e32 v2, v2, v19
	v_fmac_f32_e32 v23, v3, v16
	v_fmac_f32_e32 v2, v3, v18
	v_add_f32_e32 v31, v29, v23
	v_add_f32_e32 v3, v24, v22
	;; [unrolled: 1-line block ×3, first 2 shown]
	ds_read_b128 v[22:25], v13 offset:1072
	s_waitcnt lgkmcnt(0)
	v_mul_f32_e32 v28, v23, v17
	v_fma_f32 v28, v22, v16, -v28
	v_mul_f32_e32 v17, v22, v17
	v_fmac_f32_e32 v17, v23, v16
	v_add_f32_e32 v16, v26, v28
	v_mul_f32_e32 v26, v23, v19
	v_fma_f32 v26, v22, v18, -v26
	v_add_f32_e32 v17, v27, v17
	v_add_f32_e32 v32, v20, v26
	ds_read2_b64 v[26:29], v12 offset0:224 offset1:240
	v_mul_f32_e32 v19, v22, v19
	v_fmac_f32_e32 v19, v23, v18
	v_add_f32_e32 v33, v21, v19
	s_waitcnt lgkmcnt(0)
	v_mul_f32_e32 v18, v5, v27
	v_fma_f32 v18, v4, v26, -v18
	v_add_f32_e32 v22, v30, v18
	v_mul_f32_e32 v18, v5, v29
	v_mul_f32_e32 v19, v4, v27
	v_fma_f32 v18, v4, v28, -v18
	v_mul_f32_e32 v4, v4, v29
	v_fmac_f32_e32 v4, v5, v28
	v_add_f32_e32 v21, v3, v18
	v_add_f32_e32 v20, v2, v4
	v_mul_f32_e32 v2, v25, v27
	v_mul_f32_e32 v3, v24, v27
	v_fmac_f32_e32 v19, v5, v26
	v_fma_f32 v2, v24, v26, -v2
	v_fmac_f32_e32 v3, v25, v26
	v_add_f32_e32 v23, v31, v19
	v_add_f32_e32 v19, v16, v2
	;; [unrolled: 1-line block ×3, first 2 shown]
	v_mul_f32_e32 v2, v25, v29
	v_mul_f32_e32 v3, v24, v29
	v_fma_f32 v2, v24, v28, -v2
	v_fmac_f32_e32 v3, v25, v28
	v_add_f32_e32 v17, v32, v2
	v_add_f32_e32 v16, v33, v3
	v_mov_b32_e32 v2, s6
	v_mov_b32_e32 v3, s7
	v_cmp_le_u64_e32 vcc, s[12:13], v[2:3]
	s_barrier
	s_cbranch_vccz .LBB1257_2
	s_branch .LBB1257_4
.LBB1257_3:
	v_mov_b32_e32 v22, 0
	v_mov_b32_e32 v23, 0
	;; [unrolled: 1-line block ×8, first 2 shown]
.LBB1257_4:
	s_load_dwordx4 s[12:15], s[4:5], 0x48
	s_load_dword s6, s[4:5], 0x0
	v_add_u32_e32 v5, s10, v1
	v_ashrrev_i32_e32 v1, 31, v5
	v_add_u32_e32 v0, s9, v0
	s_waitcnt lgkmcnt(0)
	s_mul_i32 s1, s15, s8
	s_mul_hi_u32 s2, s14, s8
	s_add_i32 s1, s2, s1
	v_mul_lo_u32 v3, s12, v1
	v_mul_lo_u32 v4, s13, v5
	v_mad_u64_u32 v[1:2], s[2:3], s12, v5, 0
	s_mul_i32 s0, s14, s8
	s_lshl_b64 s[0:1], s[0:1], 3
	v_add3_u32 v2, v2, v3, v4
	s_add_u32 s4, s26, s0
	v_lshlrev_b64 v[1:2], 3, v[1:2]
	s_addc_u32 s5, s27, s1
	v_mov_b32_e32 v3, s5
	v_add_co_u32_e64 v4, s[0:1], s4, v1
	v_addc_co_u32_e64 v6, s[0:1], v3, v2, s[0:1]
	v_cmp_gt_i32_e32 vcc, s6, v5
	v_cmp_le_i32_e64 s[0:1], v0, v5
	s_and_b64 s[0:1], vcc, s[0:1]
	s_and_saveexec_b64 s[2:3], s[0:1]
	s_cbranch_execz .LBB1257_7
; %bb.5:
	v_ashrrev_i32_e32 v1, 31, v0
	v_lshlrev_b64 v[1:2], 3, v[0:1]
	v_xor_b32_e32 v7, 0x80000000, v22
	v_add_co_u32_e64 v1, s[0:1], v4, v1
	v_addc_co_u32_e64 v2, s[0:1], v6, v2, s[0:1]
	v_xor_b32_e32 v8, 0x80000000, v23
	v_cmp_eq_u32_e64 s[0:1], v5, v0
	global_store_dwordx2 v[1:2], v[7:8], off
	s_and_b64 exec, exec, s[0:1]
	s_cbranch_execz .LBB1257_7
; %bb.6:
	v_mov_b32_e32 v3, 0
	global_store_dword v[1:2], v3, off offset:4
.LBB1257_7:
	s_or_b64 exec, exec, s[2:3]
	v_add_u32_e32 v2, 16, v0
	v_cmp_le_i32_e64 s[0:1], v2, v5
	s_and_b64 s[2:3], vcc, s[0:1]
	s_and_saveexec_b64 s[0:1], s[2:3]
	s_cbranch_execz .LBB1257_10
; %bb.8:
	v_ashrrev_i32_e32 v3, 31, v2
	v_lshlrev_b64 v[9:10], 3, v[2:3]
	v_xor_b32_e32 v7, 0x80000000, v21
	v_add_co_u32_e32 v3, vcc, v4, v9
	v_addc_co_u32_e32 v4, vcc, v6, v10, vcc
	v_xor_b32_e32 v8, 0x80000000, v20
	v_cmp_eq_u32_e32 vcc, v5, v2
	global_store_dwordx2 v[3:4], v[7:8], off
	s_and_b64 exec, exec, vcc
	s_cbranch_execz .LBB1257_10
; %bb.9:
	v_mov_b32_e32 v1, 0
	global_store_dword v[3:4], v1, off offset:4
.LBB1257_10:
	s_or_b64 exec, exec, s[0:1]
	v_add_u32_e32 v8, 16, v5
	v_ashrrev_i32_e32 v1, 31, v8
	v_mul_lo_u32 v1, s12, v1
	v_mul_lo_u32 v6, s13, v8
	v_mad_u64_u32 v[3:4], s[0:1], s12, v8, 0
	v_cmp_gt_i32_e32 vcc, s6, v8
	v_add3_u32 v4, v4, v1, v6
	v_lshlrev_b64 v[3:4], 3, v[3:4]
	v_mov_b32_e32 v1, s5
	v_add_co_u32_e64 v6, s[0:1], s4, v3
	v_addc_co_u32_e64 v7, s[0:1], v1, v4, s[0:1]
	v_cmp_le_i32_e64 s[0:1], v0, v8
	s_and_b64 s[0:1], vcc, s[0:1]
	s_and_saveexec_b64 s[2:3], s[0:1]
	s_cbranch_execz .LBB1257_13
; %bb.11:
	v_ashrrev_i32_e32 v1, 31, v0
	v_lshlrev_b64 v[3:4], 3, v[0:1]
	v_xor_b32_e32 v9, 0x80000000, v19
	v_add_co_u32_e64 v3, s[0:1], v6, v3
	v_addc_co_u32_e64 v4, s[0:1], v7, v4, s[0:1]
	v_xor_b32_e32 v10, 0x80000000, v18
	v_cmp_eq_u32_e64 s[0:1], v8, v0
	global_store_dwordx2 v[3:4], v[9:10], off
	s_and_b64 exec, exec, s[0:1]
	s_cbranch_execz .LBB1257_13
; %bb.12:
	v_mov_b32_e32 v1, 0
	global_store_dword v[3:4], v1, off offset:4
.LBB1257_13:
	s_or_b64 exec, exec, s[2:3]
	v_cmp_le_i32_e64 s[0:1], v2, v8
	s_and_b64 s[0:1], vcc, s[0:1]
	s_and_saveexec_b64 s[2:3], s[0:1]
	s_cbranch_execz .LBB1257_16
; %bb.14:
	v_ashrrev_i32_e32 v3, 31, v2
	v_lshlrev_b64 v[1:2], 3, v[2:3]
	v_xor_b32_e32 v8, 0x80000000, v17
	v_add_co_u32_e32 v1, vcc, v6, v1
	v_addc_co_u32_e32 v2, vcc, v7, v2, vcc
	v_xor_b32_e32 v9, 0x80000000, v16
	v_cmp_eq_u32_e32 vcc, v5, v0
	global_store_dwordx2 v[1:2], v[8:9], off
	s_and_b64 exec, exec, vcc
	s_cbranch_execz .LBB1257_16
; %bb.15:
	v_mov_b32_e32 v0, 0
	global_store_dword v[1:2], v0, off offset:4
.LBB1257_16:
	s_endpgm
	.section	.rodata,"a",@progbits
	.p2align	6, 0x0
	.amdhsa_kernel _ZL37rocblas_syrkx_herkx_restricted_kernelIl19rocblas_complex_numIfELi16ELi32ELi8ELin1ELi0ELb1ELc78ELc85EKS1_S1_EviT_PT9_S3_lS5_S3_lPT10_S3_li
		.amdhsa_group_segment_fixed_size 4096
		.amdhsa_private_segment_fixed_size 0
		.amdhsa_kernarg_size 92
		.amdhsa_user_sgpr_count 6
		.amdhsa_user_sgpr_private_segment_buffer 1
		.amdhsa_user_sgpr_dispatch_ptr 0
		.amdhsa_user_sgpr_queue_ptr 0
		.amdhsa_user_sgpr_kernarg_segment_ptr 1
		.amdhsa_user_sgpr_dispatch_id 0
		.amdhsa_user_sgpr_flat_scratch_init 0
		.amdhsa_user_sgpr_private_segment_size 0
		.amdhsa_uses_dynamic_stack 0
		.amdhsa_system_sgpr_private_segment_wavefront_offset 0
		.amdhsa_system_sgpr_workgroup_id_x 1
		.amdhsa_system_sgpr_workgroup_id_y 1
		.amdhsa_system_sgpr_workgroup_id_z 1
		.amdhsa_system_sgpr_workgroup_info 0
		.amdhsa_system_vgpr_workitem_id 1
		.amdhsa_next_free_vgpr 43
		.amdhsa_next_free_sgpr 28
		.amdhsa_reserve_vcc 1
		.amdhsa_reserve_flat_scratch 0
		.amdhsa_float_round_mode_32 0
		.amdhsa_float_round_mode_16_64 0
		.amdhsa_float_denorm_mode_32 3
		.amdhsa_float_denorm_mode_16_64 3
		.amdhsa_dx10_clamp 1
		.amdhsa_ieee_mode 1
		.amdhsa_fp16_overflow 0
		.amdhsa_exception_fp_ieee_invalid_op 0
		.amdhsa_exception_fp_denorm_src 0
		.amdhsa_exception_fp_ieee_div_zero 0
		.amdhsa_exception_fp_ieee_overflow 0
		.amdhsa_exception_fp_ieee_underflow 0
		.amdhsa_exception_fp_ieee_inexact 0
		.amdhsa_exception_int_div_zero 0
	.end_amdhsa_kernel
	.section	.text._ZL37rocblas_syrkx_herkx_restricted_kernelIl19rocblas_complex_numIfELi16ELi32ELi8ELin1ELi0ELb1ELc78ELc85EKS1_S1_EviT_PT9_S3_lS5_S3_lPT10_S3_li,"axG",@progbits,_ZL37rocblas_syrkx_herkx_restricted_kernelIl19rocblas_complex_numIfELi16ELi32ELi8ELin1ELi0ELb1ELc78ELc85EKS1_S1_EviT_PT9_S3_lS5_S3_lPT10_S3_li,comdat
.Lfunc_end1257:
	.size	_ZL37rocblas_syrkx_herkx_restricted_kernelIl19rocblas_complex_numIfELi16ELi32ELi8ELin1ELi0ELb1ELc78ELc85EKS1_S1_EviT_PT9_S3_lS5_S3_lPT10_S3_li, .Lfunc_end1257-_ZL37rocblas_syrkx_herkx_restricted_kernelIl19rocblas_complex_numIfELi16ELi32ELi8ELin1ELi0ELb1ELc78ELc85EKS1_S1_EviT_PT9_S3_lS5_S3_lPT10_S3_li
                                        ; -- End function
	.set _ZL37rocblas_syrkx_herkx_restricted_kernelIl19rocblas_complex_numIfELi16ELi32ELi8ELin1ELi0ELb1ELc78ELc85EKS1_S1_EviT_PT9_S3_lS5_S3_lPT10_S3_li.num_vgpr, 43
	.set _ZL37rocblas_syrkx_herkx_restricted_kernelIl19rocblas_complex_numIfELi16ELi32ELi8ELin1ELi0ELb1ELc78ELc85EKS1_S1_EviT_PT9_S3_lS5_S3_lPT10_S3_li.num_agpr, 0
	.set _ZL37rocblas_syrkx_herkx_restricted_kernelIl19rocblas_complex_numIfELi16ELi32ELi8ELin1ELi0ELb1ELc78ELc85EKS1_S1_EviT_PT9_S3_lS5_S3_lPT10_S3_li.numbered_sgpr, 28
	.set _ZL37rocblas_syrkx_herkx_restricted_kernelIl19rocblas_complex_numIfELi16ELi32ELi8ELin1ELi0ELb1ELc78ELc85EKS1_S1_EviT_PT9_S3_lS5_S3_lPT10_S3_li.num_named_barrier, 0
	.set _ZL37rocblas_syrkx_herkx_restricted_kernelIl19rocblas_complex_numIfELi16ELi32ELi8ELin1ELi0ELb1ELc78ELc85EKS1_S1_EviT_PT9_S3_lS5_S3_lPT10_S3_li.private_seg_size, 0
	.set _ZL37rocblas_syrkx_herkx_restricted_kernelIl19rocblas_complex_numIfELi16ELi32ELi8ELin1ELi0ELb1ELc78ELc85EKS1_S1_EviT_PT9_S3_lS5_S3_lPT10_S3_li.uses_vcc, 1
	.set _ZL37rocblas_syrkx_herkx_restricted_kernelIl19rocblas_complex_numIfELi16ELi32ELi8ELin1ELi0ELb1ELc78ELc85EKS1_S1_EviT_PT9_S3_lS5_S3_lPT10_S3_li.uses_flat_scratch, 0
	.set _ZL37rocblas_syrkx_herkx_restricted_kernelIl19rocblas_complex_numIfELi16ELi32ELi8ELin1ELi0ELb1ELc78ELc85EKS1_S1_EviT_PT9_S3_lS5_S3_lPT10_S3_li.has_dyn_sized_stack, 0
	.set _ZL37rocblas_syrkx_herkx_restricted_kernelIl19rocblas_complex_numIfELi16ELi32ELi8ELin1ELi0ELb1ELc78ELc85EKS1_S1_EviT_PT9_S3_lS5_S3_lPT10_S3_li.has_recursion, 0
	.set _ZL37rocblas_syrkx_herkx_restricted_kernelIl19rocblas_complex_numIfELi16ELi32ELi8ELin1ELi0ELb1ELc78ELc85EKS1_S1_EviT_PT9_S3_lS5_S3_lPT10_S3_li.has_indirect_call, 0
	.section	.AMDGPU.csdata,"",@progbits
; Kernel info:
; codeLenInByte = 2124
; TotalNumSgprs: 32
; NumVgprs: 43
; ScratchSize: 0
; MemoryBound: 0
; FloatMode: 240
; IeeeMode: 1
; LDSByteSize: 4096 bytes/workgroup (compile time only)
; SGPRBlocks: 3
; VGPRBlocks: 10
; NumSGPRsForWavesPerEU: 32
; NumVGPRsForWavesPerEU: 43
; Occupancy: 5
; WaveLimiterHint : 1
; COMPUTE_PGM_RSRC2:SCRATCH_EN: 0
; COMPUTE_PGM_RSRC2:USER_SGPR: 6
; COMPUTE_PGM_RSRC2:TRAP_HANDLER: 0
; COMPUTE_PGM_RSRC2:TGID_X_EN: 1
; COMPUTE_PGM_RSRC2:TGID_Y_EN: 1
; COMPUTE_PGM_RSRC2:TGID_Z_EN: 1
; COMPUTE_PGM_RSRC2:TIDIG_COMP_CNT: 1
	.section	.text._ZL37rocblas_syrkx_herkx_restricted_kernelIl19rocblas_complex_numIfELi16ELi32ELi8ELb1ELb1ELc84ELc76EKS1_S1_EviT_T0_PT8_S3_lS6_S3_lS4_PT9_S3_li,"axG",@progbits,_ZL37rocblas_syrkx_herkx_restricted_kernelIl19rocblas_complex_numIfELi16ELi32ELi8ELb1ELb1ELc84ELc76EKS1_S1_EviT_T0_PT8_S3_lS6_S3_lS4_PT9_S3_li,comdat
	.globl	_ZL37rocblas_syrkx_herkx_restricted_kernelIl19rocblas_complex_numIfELi16ELi32ELi8ELb1ELb1ELc84ELc76EKS1_S1_EviT_T0_PT8_S3_lS6_S3_lS4_PT9_S3_li ; -- Begin function _ZL37rocblas_syrkx_herkx_restricted_kernelIl19rocblas_complex_numIfELi16ELi32ELi8ELb1ELb1ELc84ELc76EKS1_S1_EviT_T0_PT8_S3_lS6_S3_lS4_PT9_S3_li
	.p2align	8
	.type	_ZL37rocblas_syrkx_herkx_restricted_kernelIl19rocblas_complex_numIfELi16ELi32ELi8ELb1ELb1ELc84ELc76EKS1_S1_EviT_T0_PT8_S3_lS6_S3_lS4_PT9_S3_li,@function
_ZL37rocblas_syrkx_herkx_restricted_kernelIl19rocblas_complex_numIfELi16ELi32ELi8ELb1ELb1ELc84ELc76EKS1_S1_EviT_T0_PT8_S3_lS6_S3_lS4_PT9_S3_li: ; @_ZL37rocblas_syrkx_herkx_restricted_kernelIl19rocblas_complex_numIfELi16ELi32ELi8ELb1ELb1ELc84ELc76EKS1_S1_EviT_T0_PT8_S3_lS6_S3_lS4_PT9_S3_li
; %bb.0:
	s_load_dwordx16 s[12:27], s[4:5], 0x8
	s_lshl_b32 s2, s6, 5
	s_lshl_b32 s3, s7, 5
	s_waitcnt lgkmcnt(0)
	v_cmp_lt_i64_e64 s[0:1], s[12:13], 1
	s_and_b64 vcc, exec, s[0:1]
	s_cbranch_vccnz .LBB1258_3
; %bb.1:
	v_lshl_add_u32 v5, v1, 4, v0
	v_lshrrev_b32_e32 v6, 3, v5
	v_add_u32_e32 v2, s3, v6
	v_and_b32_e32 v9, 7, v0
	v_ashrrev_i32_e32 v3, 31, v2
	v_mov_b32_e32 v10, 0
	v_mul_lo_u32 v7, s24, v3
	v_mul_lo_u32 v8, s25, v2
	v_mad_u64_u32 v[2:3], s[0:1], s24, v2, v[9:10]
	v_and_b32_e32 v15, 31, v5
	v_lshrrev_b32_e32 v4, 5, v5
	v_add3_u32 v3, v8, v3, v7
	v_lshlrev_b32_e32 v7, 3, v15
	v_lshl_or_b32 v11, v4, 8, v7
	v_lshlrev_b32_e32 v7, 3, v9
	v_lshl_or_b32 v6, v6, 6, v7
	v_add_u32_e32 v12, 0x800, v6
	v_mov_b32_e32 v6, 0x800
	v_lshl_add_u32 v14, v1, 6, v6
	v_add_u32_e32 v6, s2, v15
	v_mov_b32_e32 v5, v10
	v_ashrrev_i32_e32 v7, 31, v6
	v_mul_lo_u32 v7, s18, v7
	v_mad_u64_u32 v[4:5], s[0:1], s18, v6, v[4:5]
	v_mul_lo_u32 v6, s19, v6
	s_mul_i32 s6, s21, s8
	s_mul_hi_u32 s7, s20, s8
	s_add_i32 s1, s7, s6
	s_mul_i32 s0, s20, s8
	s_lshl_b64 s[0:1], s[0:1], 3
	v_add3_u32 v5, v6, v5, v7
	v_lshlrev_b64 v[4:5], 3, v[4:5]
	s_add_u32 s0, s16, s0
	s_addc_u32 s1, s17, s1
	v_mov_b32_e32 v6, s1
	v_add_co_u32_e32 v4, vcc, s0, v4
	s_mul_i32 s0, s27, s8
	s_mul_hi_u32 s1, s26, s8
	s_add_i32 s1, s1, s0
	s_mul_i32 s0, s26, s8
	v_addc_co_u32_e32 v5, vcc, v6, v5, vcc
	s_lshl_b64 s[0:1], s[0:1], 3
	v_add_co_u32_e32 v6, vcc, 4, v4
	v_lshlrev_b64 v[2:3], 3, v[2:3]
	s_add_u32 s0, s22, s0
	v_addc_co_u32_e32 v7, vcc, 0, v5, vcc
	s_addc_u32 s1, s23, s1
	v_mov_b32_e32 v4, s1
	v_add_co_u32_e32 v2, vcc, s0, v2
	v_addc_co_u32_e32 v3, vcc, v4, v3, vcc
	v_add_co_u32_e32 v8, vcc, 4, v2
	v_lshlrev_b32_e32 v13, 3, v0
	v_addc_co_u32_e32 v9, vcc, 0, v3, vcc
	s_mov_b64 s[0:1], 0
	v_mov_b32_e32 v15, v10
	v_mov_b32_e32 v17, v10
	;; [unrolled: 1-line block ×7, first 2 shown]
.LBB1258_2:                             ; =>This Inner Loop Header: Depth=1
	global_load_dwordx2 v[2:3], v[6:7], off offset:-4
	s_add_u32 s0, s0, 8
	v_add_co_u32_e32 v6, vcc, 64, v6
	s_addc_u32 s1, s1, 0
	v_addc_co_u32_e32 v7, vcc, 0, v7, vcc
	s_waitcnt vmcnt(0)
	ds_write_b64 v11, v[2:3]
	global_load_dwordx2 v[2:3], v[8:9], off offset:-4
	v_add_co_u32_e32 v8, vcc, 64, v8
	v_addc_co_u32_e32 v9, vcc, 0, v9, vcc
	s_waitcnt vmcnt(0)
	ds_write_b64 v12, v[2:3]
	s_waitcnt lgkmcnt(0)
	s_barrier
	ds_read_b128 v[22:25], v14
	ds_read_b128 v[26:29], v14 offset:16
	ds_read_b128 v[30:33], v14 offset:32
	;; [unrolled: 1-line block ×3, first 2 shown]
	ds_read2_b64 v[34:37], v13 offset1:16
	s_waitcnt lgkmcnt(0)
	v_mul_f32_e32 v38, v23, v35
	v_mul_f32_e32 v39, v22, v35
	v_fma_f32 v38, v22, v34, -v38
	v_fmac_f32_e32 v39, v23, v34
	v_add_f32_e32 v38, v20, v38
	v_add_f32_e32 v39, v21, v39
	v_mul_f32_e32 v20, v23, v37
	v_mul_f32_e32 v21, v22, v37
	v_fma_f32 v20, v22, v36, -v20
	v_fmac_f32_e32 v21, v23, v36
	v_add_f32_e32 v22, v18, v20
	v_add_f32_e32 v23, v19, v21
	ds_read_b128 v[18:21], v14 offset:1024
	s_waitcnt lgkmcnt(0)
	v_mul_f32_e32 v40, v19, v35
	v_mul_f32_e32 v35, v18, v35
	v_fma_f32 v40, v18, v34, -v40
	v_fmac_f32_e32 v35, v19, v34
	v_add_f32_e32 v34, v16, v40
	v_add_f32_e32 v35, v17, v35
	v_mul_f32_e32 v16, v19, v37
	v_mul_f32_e32 v17, v18, v37
	v_fma_f32 v16, v18, v36, -v16
	v_fmac_f32_e32 v17, v19, v36
	v_add_f32_e32 v19, v15, v16
	v_add_f32_e32 v10, v10, v17
	ds_read2_b64 v[15:18], v13 offset0:32 offset1:48
	s_waitcnt lgkmcnt(0)
	v_mul_f32_e32 v36, v25, v16
	v_fma_f32 v36, v24, v15, -v36
	v_add_f32_e32 v36, v38, v36
	v_mul_f32_e32 v38, v25, v18
	v_mul_f32_e32 v37, v24, v16
	v_fma_f32 v38, v24, v17, -v38
	v_mul_f32_e32 v24, v24, v18
	v_fmac_f32_e32 v24, v25, v17
	v_add_f32_e32 v23, v23, v24
	v_mul_f32_e32 v24, v21, v16
	v_mul_f32_e32 v16, v20, v16
	v_fmac_f32_e32 v16, v21, v15
	v_fmac_f32_e32 v37, v25, v15
	v_fma_f32 v24, v20, v15, -v24
	v_add_f32_e32 v25, v35, v16
	v_mul_f32_e32 v15, v21, v18
	v_mul_f32_e32 v16, v20, v18
	v_fma_f32 v15, v20, v17, -v15
	v_fmac_f32_e32 v16, v21, v17
	v_add_f32_e32 v24, v34, v24
	v_add_f32_e32 v34, v19, v15
	;; [unrolled: 1-line block ×3, first 2 shown]
	ds_read2_b64 v[15:18], v13 offset0:64 offset1:80
	v_add_f32_e32 v37, v39, v37
	v_add_f32_e32 v22, v22, v38
	s_waitcnt lgkmcnt(0)
	v_mul_f32_e32 v19, v27, v16
	v_mul_f32_e32 v20, v26, v16
	v_fma_f32 v19, v26, v15, -v19
	v_fmac_f32_e32 v20, v27, v15
	v_add_f32_e32 v35, v36, v19
	v_add_f32_e32 v36, v37, v20
	v_mul_f32_e32 v19, v27, v18
	v_mul_f32_e32 v20, v26, v18
	v_fma_f32 v19, v26, v17, -v19
	v_fmac_f32_e32 v20, v27, v17
	v_add_f32_e32 v26, v22, v19
	v_add_f32_e32 v23, v23, v20
	ds_read_b128 v[19:22], v14 offset:1040
	s_waitcnt lgkmcnt(0)
	v_mul_f32_e32 v27, v20, v16
	v_mul_f32_e32 v16, v19, v16
	v_fmac_f32_e32 v16, v20, v15
	v_fma_f32 v27, v19, v15, -v27
	v_add_f32_e32 v25, v25, v16
	v_mul_f32_e32 v15, v20, v18
	v_mul_f32_e32 v16, v19, v18
	v_fma_f32 v15, v19, v17, -v15
	v_fmac_f32_e32 v16, v20, v17
	v_add_f32_e32 v19, v34, v15
	v_add_f32_e32 v10, v10, v16
	ds_read2_b64 v[15:18], v13 offset0:96 offset1:112
	v_add_f32_e32 v24, v24, v27
	s_waitcnt lgkmcnt(0)
	v_mul_f32_e32 v20, v29, v16
	v_mul_f32_e32 v34, v29, v18
	v_fma_f32 v20, v28, v15, -v20
	v_mul_f32_e32 v27, v28, v16
	v_fma_f32 v34, v28, v17, -v34
	v_mul_f32_e32 v28, v28, v18
	v_fmac_f32_e32 v28, v29, v17
	v_add_f32_e32 v23, v23, v28
	v_mul_f32_e32 v28, v22, v16
	v_mul_f32_e32 v16, v21, v16
	v_fmac_f32_e32 v16, v22, v15
	v_fmac_f32_e32 v27, v29, v15
	v_fma_f32 v28, v21, v15, -v28
	v_add_f32_e32 v25, v25, v16
	v_mul_f32_e32 v15, v22, v18
	v_mul_f32_e32 v16, v21, v18
	v_fma_f32 v15, v21, v17, -v15
	v_fmac_f32_e32 v16, v22, v17
	v_add_f32_e32 v24, v24, v28
	v_add_f32_e32 v28, v19, v15
	v_add_f32_e32 v10, v10, v16
	ds_read2_b64 v[15:18], v13 offset0:128 offset1:144
	v_add_f32_e32 v20, v35, v20
	v_add_f32_e32 v27, v36, v27
	;; [unrolled: 1-line block ×3, first 2 shown]
	s_waitcnt lgkmcnt(0)
	v_mul_f32_e32 v19, v31, v16
	v_fma_f32 v19, v30, v15, -v19
	v_mul_f32_e32 v21, v30, v16
	v_add_f32_e32 v29, v20, v19
	v_mul_f32_e32 v19, v31, v18
	v_mul_f32_e32 v20, v30, v18
	v_fmac_f32_e32 v21, v31, v15
	v_fma_f32 v19, v30, v17, -v19
	v_fmac_f32_e32 v20, v31, v17
	v_add_f32_e32 v27, v27, v21
	v_add_f32_e32 v26, v26, v19
	;; [unrolled: 1-line block ×3, first 2 shown]
	ds_read_b128 v[19:22], v14 offset:1056
	s_waitcnt lgkmcnt(0)
	v_mul_f32_e32 v30, v20, v16
	v_mul_f32_e32 v16, v19, v16
	v_fmac_f32_e32 v16, v20, v15
	v_fma_f32 v30, v19, v15, -v30
	v_add_f32_e32 v25, v25, v16
	v_mul_f32_e32 v15, v20, v18
	v_mul_f32_e32 v16, v19, v18
	v_fma_f32 v15, v19, v17, -v15
	v_fmac_f32_e32 v16, v20, v17
	v_add_f32_e32 v19, v28, v15
	v_add_f32_e32 v10, v10, v16
	ds_read2_b64 v[15:18], v13 offset0:160 offset1:176
	v_add_f32_e32 v24, v24, v30
	s_waitcnt lgkmcnt(0)
	v_mul_f32_e32 v28, v32, v16
	v_fmac_f32_e32 v28, v33, v15
	v_add_f32_e32 v27, v27, v28
	v_mul_f32_e32 v28, v33, v18
	v_fma_f32 v28, v32, v17, -v28
	v_mul_f32_e32 v20, v33, v16
	v_add_f32_e32 v26, v26, v28
	v_mul_f32_e32 v28, v22, v16
	v_mul_f32_e32 v16, v21, v16
	v_fmac_f32_e32 v16, v22, v15
	v_fma_f32 v20, v32, v15, -v20
	v_fma_f32 v28, v21, v15, -v28
	v_add_f32_e32 v25, v25, v16
	v_mul_f32_e32 v15, v22, v18
	v_mul_f32_e32 v16, v21, v18
	v_add_f32_e32 v20, v29, v20
	v_mul_f32_e32 v29, v32, v18
	v_fma_f32 v15, v21, v17, -v15
	v_fmac_f32_e32 v16, v22, v17
	v_fmac_f32_e32 v29, v33, v17
	v_add_f32_e32 v19, v19, v15
	v_add_f32_e32 v10, v10, v16
	ds_read2_b64 v[15:18], v13 offset0:192 offset1:208
	v_add_f32_e32 v24, v24, v28
	v_add_f32_e32 v23, v23, v29
	s_waitcnt lgkmcnt(0)
	v_mul_f32_e32 v21, v3, v16
	v_fma_f32 v21, v2, v15, -v21
	v_add_f32_e32 v28, v20, v21
	v_mul_f32_e32 v20, v3, v18
	v_mul_f32_e32 v22, v2, v16
	v_fma_f32 v20, v2, v17, -v20
	v_mul_f32_e32 v2, v2, v18
	v_fmac_f32_e32 v22, v3, v15
	v_fmac_f32_e32 v2, v3, v17
	v_add_f32_e32 v29, v27, v22
	v_add_f32_e32 v3, v26, v20
	;; [unrolled: 1-line block ×3, first 2 shown]
	ds_read_b128 v[20:23], v14 offset:1072
	s_waitcnt lgkmcnt(0)
	v_mul_f32_e32 v26, v21, v16
	v_mul_f32_e32 v16, v20, v16
	v_fma_f32 v26, v20, v15, -v26
	v_fmac_f32_e32 v16, v21, v15
	v_add_f32_e32 v15, v24, v26
	v_add_f32_e32 v30, v25, v16
	ds_read2_b64 v[24:27], v13 offset0:224 offset1:240
	v_mul_f32_e32 v16, v21, v18
	v_fma_f32 v16, v20, v17, -v16
	v_add_f32_e32 v31, v19, v16
	v_mul_f32_e32 v18, v20, v18
	s_waitcnt lgkmcnt(0)
	v_mul_f32_e32 v16, v5, v25
	v_fma_f32 v16, v4, v24, -v16
	v_add_f32_e32 v20, v28, v16
	v_mul_f32_e32 v16, v5, v27
	v_fmac_f32_e32 v18, v21, v17
	v_mul_f32_e32 v17, v4, v25
	v_fma_f32 v16, v4, v26, -v16
	v_mul_f32_e32 v4, v4, v27
	v_fmac_f32_e32 v4, v5, v26
	v_add_f32_e32 v10, v10, v18
	v_add_f32_e32 v18, v3, v16
	;; [unrolled: 1-line block ×3, first 2 shown]
	v_mul_f32_e32 v2, v23, v25
	v_mul_f32_e32 v3, v22, v25
	v_fmac_f32_e32 v17, v5, v24
	v_fma_f32 v2, v22, v24, -v2
	v_fmac_f32_e32 v3, v23, v24
	v_add_f32_e32 v21, v29, v17
	v_add_f32_e32 v16, v15, v2
	;; [unrolled: 1-line block ×3, first 2 shown]
	v_mul_f32_e32 v2, v23, v27
	v_mul_f32_e32 v3, v22, v27
	v_fma_f32 v2, v22, v26, -v2
	v_fmac_f32_e32 v3, v23, v26
	v_add_f32_e32 v15, v31, v2
	v_add_f32_e32 v10, v10, v3
	v_mov_b32_e32 v3, s1
	v_mov_b32_e32 v2, s0
	v_cmp_le_u64_e32 vcc, s[12:13], v[2:3]
	s_barrier
	s_cbranch_vccz .LBB1258_2
	s_branch .LBB1258_4
.LBB1258_3:
	v_mov_b32_e32 v20, 0
	v_mov_b32_e32 v21, 0
	v_mov_b32_e32 v18, 0
	v_mov_b32_e32 v19, 0
	v_mov_b32_e32 v16, 0
	v_mov_b32_e32 v17, 0
	v_mov_b32_e32 v15, 0
	v_mov_b32_e32 v10, 0
.LBB1258_4:
	s_load_dwordx2 s[0:1], s[4:5], 0x60
	s_load_dword s9, s[4:5], 0x0
	s_load_dwordx4 s[16:19], s[4:5], 0x50
	v_add_u32_e32 v5, s3, v1
	v_ashrrev_i32_e32 v1, 31, v5
	s_waitcnt lgkmcnt(0)
	s_mul_i32 s1, s1, s8
	s_mul_hi_u32 s4, s0, s8
	s_add_i32 s1, s4, s1
	v_mul_lo_u32 v3, s18, v1
	v_mul_lo_u32 v4, s19, v5
	v_mad_u64_u32 v[1:2], s[4:5], s18, v5, 0
	s_mul_i32 s0, s0, s8
	s_lshl_b64 s[0:1], s[0:1], 3
	v_add3_u32 v2, v2, v3, v4
	s_add_u32 s6, s16, s0
	v_lshlrev_b64 v[1:2], 3, v[1:2]
	s_addc_u32 s7, s17, s1
	v_mov_b32_e32 v3, s7
	v_add_co_u32_e32 v4, vcc, s6, v1
	v_add_u32_e32 v0, s2, v0
	v_addc_co_u32_e32 v6, vcc, v3, v2, vcc
	v_cmp_le_i32_e64 s[0:1], v5, v0
	v_cmp_gt_i32_e32 vcc, s9, v0
	s_and_b64 s[0:1], s[0:1], vcc
	s_and_saveexec_b64 s[2:3], s[0:1]
	s_cbranch_execz .LBB1258_7
; %bb.5:
	v_mul_f32_e32 v1, s15, v21
	v_fma_f32 v7, v20, s14, -v1
	v_ashrrev_i32_e32 v1, 31, v0
	v_lshlrev_b64 v[1:2], 3, v[0:1]
	v_mul_f32_e32 v8, s14, v21
	v_add_co_u32_e64 v1, s[0:1], v4, v1
	v_addc_co_u32_e64 v2, s[0:1], v6, v2, s[0:1]
	v_fmac_f32_e32 v8, s15, v20
	v_cmp_eq_u32_e64 s[0:1], v5, v0
	global_store_dwordx2 v[1:2], v[7:8], off
	s_and_b64 exec, exec, s[0:1]
	s_cbranch_execz .LBB1258_7
; %bb.6:
	v_mov_b32_e32 v3, 0
	global_store_dword v[1:2], v3, off offset:4
.LBB1258_7:
	s_or_b64 exec, exec, s[2:3]
	v_add_u32_e32 v2, 16, v0
	v_cmp_le_i32_e64 s[2:3], v5, v2
	v_cmp_gt_i32_e64 s[0:1], s9, v2
	s_and_b64 s[2:3], s[2:3], s[0:1]
	s_and_saveexec_b64 s[4:5], s[2:3]
	s_cbranch_execz .LBB1258_10
; %bb.8:
	v_ashrrev_i32_e32 v3, 31, v2
	v_lshlrev_b64 v[11:12], 3, v[2:3]
	v_mul_f32_e32 v1, s15, v19
	v_add_co_u32_e64 v3, s[2:3], v4, v11
	v_mul_f32_e32 v8, s14, v19
	v_addc_co_u32_e64 v4, s[2:3], v6, v12, s[2:3]
	v_fma_f32 v7, v18, s14, -v1
	v_fmac_f32_e32 v8, s15, v18
	v_cmp_eq_u32_e64 s[2:3], v5, v2
	global_store_dwordx2 v[3:4], v[7:8], off
	s_and_b64 exec, exec, s[2:3]
	s_cbranch_execz .LBB1258_10
; %bb.9:
	v_mov_b32_e32 v1, 0
	global_store_dword v[3:4], v1, off offset:4
.LBB1258_10:
	s_or_b64 exec, exec, s[4:5]
	v_add_u32_e32 v8, 16, v5
	v_ashrrev_i32_e32 v1, 31, v8
	v_mul_lo_u32 v6, s19, v8
	v_mad_u64_u32 v[3:4], s[2:3], s18, v8, 0
	v_mul_lo_u32 v1, s18, v1
	v_add3_u32 v4, v4, v1, v6
	v_lshlrev_b64 v[3:4], 3, v[3:4]
	v_mov_b32_e32 v1, s7
	v_add_co_u32_e64 v6, s[2:3], s6, v3
	v_addc_co_u32_e64 v7, s[2:3], v1, v4, s[2:3]
	v_cmp_le_i32_e64 s[2:3], v8, v0
	s_and_b64 s[4:5], s[2:3], vcc
	s_and_saveexec_b64 s[2:3], s[4:5]
	s_cbranch_execz .LBB1258_13
; %bb.11:
	v_mul_f32_e32 v1, s15, v17
	v_fma_f32 v11, v16, s14, -v1
	v_ashrrev_i32_e32 v1, 31, v0
	v_lshlrev_b64 v[3:4], 3, v[0:1]
	v_mul_f32_e32 v12, s14, v17
	v_add_co_u32_e32 v3, vcc, v6, v3
	v_addc_co_u32_e32 v4, vcc, v7, v4, vcc
	v_fmac_f32_e32 v12, s15, v16
	v_cmp_eq_u32_e32 vcc, v8, v0
	global_store_dwordx2 v[3:4], v[11:12], off
	s_and_b64 exec, exec, vcc
	s_cbranch_execz .LBB1258_13
; %bb.12:
	v_mov_b32_e32 v1, 0
	global_store_dword v[3:4], v1, off offset:4
.LBB1258_13:
	s_or_b64 exec, exec, s[2:3]
	v_cmp_le_i32_e32 vcc, v8, v2
	s_and_b64 s[0:1], vcc, s[0:1]
	s_and_saveexec_b64 s[2:3], s[0:1]
	s_cbranch_execz .LBB1258_16
; %bb.14:
	v_mul_f32_e32 v1, s15, v10
	v_ashrrev_i32_e32 v3, 31, v2
	v_fma_f32 v8, v15, s14, -v1
	v_lshlrev_b64 v[1:2], 3, v[2:3]
	v_mul_f32_e32 v9, s14, v10
	v_add_co_u32_e32 v1, vcc, v6, v1
	v_addc_co_u32_e32 v2, vcc, v7, v2, vcc
	v_fmac_f32_e32 v9, s15, v15
	v_cmp_eq_u32_e32 vcc, v5, v0
	global_store_dwordx2 v[1:2], v[8:9], off
	s_and_b64 exec, exec, vcc
	s_cbranch_execz .LBB1258_16
; %bb.15:
	v_mov_b32_e32 v0, 0
	global_store_dword v[1:2], v0, off offset:4
.LBB1258_16:
	s_endpgm
	.section	.rodata,"a",@progbits
	.p2align	6, 0x0
	.amdhsa_kernel _ZL37rocblas_syrkx_herkx_restricted_kernelIl19rocblas_complex_numIfELi16ELi32ELi8ELb1ELb1ELc84ELc76EKS1_S1_EviT_T0_PT8_S3_lS6_S3_lS4_PT9_S3_li
		.amdhsa_group_segment_fixed_size 4096
		.amdhsa_private_segment_fixed_size 0
		.amdhsa_kernarg_size 108
		.amdhsa_user_sgpr_count 6
		.amdhsa_user_sgpr_private_segment_buffer 1
		.amdhsa_user_sgpr_dispatch_ptr 0
		.amdhsa_user_sgpr_queue_ptr 0
		.amdhsa_user_sgpr_kernarg_segment_ptr 1
		.amdhsa_user_sgpr_dispatch_id 0
		.amdhsa_user_sgpr_flat_scratch_init 0
		.amdhsa_user_sgpr_private_segment_size 0
		.amdhsa_uses_dynamic_stack 0
		.amdhsa_system_sgpr_private_segment_wavefront_offset 0
		.amdhsa_system_sgpr_workgroup_id_x 1
		.amdhsa_system_sgpr_workgroup_id_y 1
		.amdhsa_system_sgpr_workgroup_id_z 1
		.amdhsa_system_sgpr_workgroup_info 0
		.amdhsa_system_vgpr_workitem_id 1
		.amdhsa_next_free_vgpr 41
		.amdhsa_next_free_sgpr 28
		.amdhsa_reserve_vcc 1
		.amdhsa_reserve_flat_scratch 0
		.amdhsa_float_round_mode_32 0
		.amdhsa_float_round_mode_16_64 0
		.amdhsa_float_denorm_mode_32 3
		.amdhsa_float_denorm_mode_16_64 3
		.amdhsa_dx10_clamp 1
		.amdhsa_ieee_mode 1
		.amdhsa_fp16_overflow 0
		.amdhsa_exception_fp_ieee_invalid_op 0
		.amdhsa_exception_fp_denorm_src 0
		.amdhsa_exception_fp_ieee_div_zero 0
		.amdhsa_exception_fp_ieee_overflow 0
		.amdhsa_exception_fp_ieee_underflow 0
		.amdhsa_exception_fp_ieee_inexact 0
		.amdhsa_exception_int_div_zero 0
	.end_amdhsa_kernel
	.section	.text._ZL37rocblas_syrkx_herkx_restricted_kernelIl19rocblas_complex_numIfELi16ELi32ELi8ELb1ELb1ELc84ELc76EKS1_S1_EviT_T0_PT8_S3_lS6_S3_lS4_PT9_S3_li,"axG",@progbits,_ZL37rocblas_syrkx_herkx_restricted_kernelIl19rocblas_complex_numIfELi16ELi32ELi8ELb1ELb1ELc84ELc76EKS1_S1_EviT_T0_PT8_S3_lS6_S3_lS4_PT9_S3_li,comdat
.Lfunc_end1258:
	.size	_ZL37rocblas_syrkx_herkx_restricted_kernelIl19rocblas_complex_numIfELi16ELi32ELi8ELb1ELb1ELc84ELc76EKS1_S1_EviT_T0_PT8_S3_lS6_S3_lS4_PT9_S3_li, .Lfunc_end1258-_ZL37rocblas_syrkx_herkx_restricted_kernelIl19rocblas_complex_numIfELi16ELi32ELi8ELb1ELb1ELc84ELc76EKS1_S1_EviT_T0_PT8_S3_lS6_S3_lS4_PT9_S3_li
                                        ; -- End function
	.set _ZL37rocblas_syrkx_herkx_restricted_kernelIl19rocblas_complex_numIfELi16ELi32ELi8ELb1ELb1ELc84ELc76EKS1_S1_EviT_T0_PT8_S3_lS6_S3_lS4_PT9_S3_li.num_vgpr, 41
	.set _ZL37rocblas_syrkx_herkx_restricted_kernelIl19rocblas_complex_numIfELi16ELi32ELi8ELb1ELb1ELc84ELc76EKS1_S1_EviT_T0_PT8_S3_lS6_S3_lS4_PT9_S3_li.num_agpr, 0
	.set _ZL37rocblas_syrkx_herkx_restricted_kernelIl19rocblas_complex_numIfELi16ELi32ELi8ELb1ELb1ELc84ELc76EKS1_S1_EviT_T0_PT8_S3_lS6_S3_lS4_PT9_S3_li.numbered_sgpr, 28
	.set _ZL37rocblas_syrkx_herkx_restricted_kernelIl19rocblas_complex_numIfELi16ELi32ELi8ELb1ELb1ELc84ELc76EKS1_S1_EviT_T0_PT8_S3_lS6_S3_lS4_PT9_S3_li.num_named_barrier, 0
	.set _ZL37rocblas_syrkx_herkx_restricted_kernelIl19rocblas_complex_numIfELi16ELi32ELi8ELb1ELb1ELc84ELc76EKS1_S1_EviT_T0_PT8_S3_lS6_S3_lS4_PT9_S3_li.private_seg_size, 0
	.set _ZL37rocblas_syrkx_herkx_restricted_kernelIl19rocblas_complex_numIfELi16ELi32ELi8ELb1ELb1ELc84ELc76EKS1_S1_EviT_T0_PT8_S3_lS6_S3_lS4_PT9_S3_li.uses_vcc, 1
	.set _ZL37rocblas_syrkx_herkx_restricted_kernelIl19rocblas_complex_numIfELi16ELi32ELi8ELb1ELb1ELc84ELc76EKS1_S1_EviT_T0_PT8_S3_lS6_S3_lS4_PT9_S3_li.uses_flat_scratch, 0
	.set _ZL37rocblas_syrkx_herkx_restricted_kernelIl19rocblas_complex_numIfELi16ELi32ELi8ELb1ELb1ELc84ELc76EKS1_S1_EviT_T0_PT8_S3_lS6_S3_lS4_PT9_S3_li.has_dyn_sized_stack, 0
	.set _ZL37rocblas_syrkx_herkx_restricted_kernelIl19rocblas_complex_numIfELi16ELi32ELi8ELb1ELb1ELc84ELc76EKS1_S1_EviT_T0_PT8_S3_lS6_S3_lS4_PT9_S3_li.has_recursion, 0
	.set _ZL37rocblas_syrkx_herkx_restricted_kernelIl19rocblas_complex_numIfELi16ELi32ELi8ELb1ELb1ELc84ELc76EKS1_S1_EviT_T0_PT8_S3_lS6_S3_lS4_PT9_S3_li.has_indirect_call, 0
	.section	.AMDGPU.csdata,"",@progbits
; Kernel info:
; codeLenInByte = 2152
; TotalNumSgprs: 32
; NumVgprs: 41
; ScratchSize: 0
; MemoryBound: 0
; FloatMode: 240
; IeeeMode: 1
; LDSByteSize: 4096 bytes/workgroup (compile time only)
; SGPRBlocks: 3
; VGPRBlocks: 10
; NumSGPRsForWavesPerEU: 32
; NumVGPRsForWavesPerEU: 41
; Occupancy: 5
; WaveLimiterHint : 1
; COMPUTE_PGM_RSRC2:SCRATCH_EN: 0
; COMPUTE_PGM_RSRC2:USER_SGPR: 6
; COMPUTE_PGM_RSRC2:TRAP_HANDLER: 0
; COMPUTE_PGM_RSRC2:TGID_X_EN: 1
; COMPUTE_PGM_RSRC2:TGID_Y_EN: 1
; COMPUTE_PGM_RSRC2:TGID_Z_EN: 1
; COMPUTE_PGM_RSRC2:TIDIG_COMP_CNT: 1
	.section	.text._ZL37rocblas_syrkx_herkx_restricted_kernelIl19rocblas_complex_numIfELi16ELi32ELi8ELb1ELb1ELc67ELc76EKS1_S1_EviT_T0_PT8_S3_lS6_S3_lS4_PT9_S3_li,"axG",@progbits,_ZL37rocblas_syrkx_herkx_restricted_kernelIl19rocblas_complex_numIfELi16ELi32ELi8ELb1ELb1ELc67ELc76EKS1_S1_EviT_T0_PT8_S3_lS6_S3_lS4_PT9_S3_li,comdat
	.globl	_ZL37rocblas_syrkx_herkx_restricted_kernelIl19rocblas_complex_numIfELi16ELi32ELi8ELb1ELb1ELc67ELc76EKS1_S1_EviT_T0_PT8_S3_lS6_S3_lS4_PT9_S3_li ; -- Begin function _ZL37rocblas_syrkx_herkx_restricted_kernelIl19rocblas_complex_numIfELi16ELi32ELi8ELb1ELb1ELc67ELc76EKS1_S1_EviT_T0_PT8_S3_lS6_S3_lS4_PT9_S3_li
	.p2align	8
	.type	_ZL37rocblas_syrkx_herkx_restricted_kernelIl19rocblas_complex_numIfELi16ELi32ELi8ELb1ELb1ELc67ELc76EKS1_S1_EviT_T0_PT8_S3_lS6_S3_lS4_PT9_S3_li,@function
_ZL37rocblas_syrkx_herkx_restricted_kernelIl19rocblas_complex_numIfELi16ELi32ELi8ELb1ELb1ELc67ELc76EKS1_S1_EviT_T0_PT8_S3_lS6_S3_lS4_PT9_S3_li: ; @_ZL37rocblas_syrkx_herkx_restricted_kernelIl19rocblas_complex_numIfELi16ELi32ELi8ELb1ELb1ELc67ELc76EKS1_S1_EviT_T0_PT8_S3_lS6_S3_lS4_PT9_S3_li
; %bb.0:
	s_load_dwordx16 s[12:27], s[4:5], 0x8
	s_lshl_b32 s2, s6, 5
	s_lshl_b32 s3, s7, 5
	s_waitcnt lgkmcnt(0)
	v_cmp_lt_i64_e64 s[0:1], s[12:13], 1
	s_and_b64 vcc, exec, s[0:1]
	s_cbranch_vccnz .LBB1259_3
; %bb.1:
	v_lshl_add_u32 v5, v1, 4, v0
	v_lshrrev_b32_e32 v6, 3, v5
	v_add_u32_e32 v2, s3, v6
	v_and_b32_e32 v9, 7, v0
	v_ashrrev_i32_e32 v3, 31, v2
	v_mov_b32_e32 v10, 0
	v_mul_lo_u32 v7, s24, v3
	v_mul_lo_u32 v8, s25, v2
	v_mad_u64_u32 v[2:3], s[0:1], s24, v2, v[9:10]
	v_and_b32_e32 v15, 31, v5
	v_lshrrev_b32_e32 v4, 5, v5
	v_add3_u32 v3, v8, v3, v7
	v_lshlrev_b32_e32 v7, 3, v15
	v_lshl_or_b32 v11, v4, 8, v7
	v_lshlrev_b32_e32 v7, 3, v9
	v_lshl_or_b32 v6, v6, 6, v7
	v_add_u32_e32 v12, 0x800, v6
	v_mov_b32_e32 v6, 0x800
	v_lshl_add_u32 v14, v1, 6, v6
	v_add_u32_e32 v6, s2, v15
	v_mov_b32_e32 v5, v10
	v_ashrrev_i32_e32 v7, 31, v6
	v_mul_lo_u32 v7, s18, v7
	v_mad_u64_u32 v[4:5], s[0:1], s18, v6, v[4:5]
	v_mul_lo_u32 v6, s19, v6
	s_mul_i32 s6, s21, s8
	s_mul_hi_u32 s7, s20, s8
	s_add_i32 s1, s7, s6
	s_mul_i32 s0, s20, s8
	s_lshl_b64 s[0:1], s[0:1], 3
	v_add3_u32 v5, v6, v5, v7
	v_lshlrev_b64 v[4:5], 3, v[4:5]
	s_add_u32 s0, s16, s0
	s_addc_u32 s1, s17, s1
	v_mov_b32_e32 v6, s1
	v_add_co_u32_e32 v4, vcc, s0, v4
	s_mul_i32 s0, s27, s8
	s_mul_hi_u32 s1, s26, s8
	s_add_i32 s1, s1, s0
	s_mul_i32 s0, s26, s8
	v_addc_co_u32_e32 v5, vcc, v6, v5, vcc
	s_lshl_b64 s[0:1], s[0:1], 3
	v_add_co_u32_e32 v6, vcc, 4, v4
	v_lshlrev_b64 v[2:3], 3, v[2:3]
	s_add_u32 s0, s22, s0
	v_addc_co_u32_e32 v7, vcc, 0, v5, vcc
	s_addc_u32 s1, s23, s1
	v_mov_b32_e32 v4, s1
	v_add_co_u32_e32 v2, vcc, s0, v2
	v_addc_co_u32_e32 v3, vcc, v4, v3, vcc
	v_add_co_u32_e32 v8, vcc, 4, v2
	v_lshlrev_b32_e32 v13, 3, v0
	v_addc_co_u32_e32 v9, vcc, 0, v3, vcc
	s_mov_b64 s[0:1], 0
	v_mov_b32_e32 v15, v10
	v_mov_b32_e32 v17, v10
	v_mov_b32_e32 v16, v10
	v_mov_b32_e32 v19, v10
	v_mov_b32_e32 v18, v10
	v_mov_b32_e32 v21, v10
	v_mov_b32_e32 v20, v10
.LBB1259_2:                             ; =>This Inner Loop Header: Depth=1
	global_load_dwordx2 v[2:3], v[6:7], off offset:-4
	v_add_co_u32_e32 v6, vcc, 64, v6
	s_add_u32 s0, s0, 8
	v_addc_co_u32_e32 v7, vcc, 0, v7, vcc
	s_addc_u32 s1, s1, 0
	s_waitcnt vmcnt(0)
	v_xor_b32_e32 v3, 0x80000000, v3
	ds_write_b64 v11, v[2:3]
	global_load_dwordx2 v[2:3], v[8:9], off offset:-4
	v_add_co_u32_e32 v8, vcc, 64, v8
	v_addc_co_u32_e32 v9, vcc, 0, v9, vcc
	s_waitcnt vmcnt(0)
	ds_write_b64 v12, v[2:3]
	s_waitcnt lgkmcnt(0)
	s_barrier
	ds_read_b128 v[22:25], v14
	ds_read_b128 v[26:29], v14 offset:16
	ds_read_b128 v[30:33], v14 offset:32
	;; [unrolled: 1-line block ×3, first 2 shown]
	ds_read2_b64 v[34:37], v13 offset1:16
	s_waitcnt lgkmcnt(0)
	v_mul_f32_e32 v38, v23, v35
	v_mul_f32_e32 v39, v22, v35
	v_fma_f32 v38, v22, v34, -v38
	v_fmac_f32_e32 v39, v23, v34
	v_add_f32_e32 v38, v20, v38
	v_add_f32_e32 v39, v21, v39
	v_mul_f32_e32 v20, v23, v37
	v_mul_f32_e32 v21, v22, v37
	v_fma_f32 v20, v22, v36, -v20
	v_fmac_f32_e32 v21, v23, v36
	v_add_f32_e32 v22, v18, v20
	v_add_f32_e32 v23, v19, v21
	ds_read_b128 v[18:21], v14 offset:1024
	s_waitcnt lgkmcnt(0)
	v_mul_f32_e32 v40, v19, v35
	v_mul_f32_e32 v35, v18, v35
	v_fma_f32 v40, v18, v34, -v40
	v_fmac_f32_e32 v35, v19, v34
	v_add_f32_e32 v34, v16, v40
	v_add_f32_e32 v35, v17, v35
	v_mul_f32_e32 v16, v19, v37
	v_mul_f32_e32 v17, v18, v37
	v_fma_f32 v16, v18, v36, -v16
	v_fmac_f32_e32 v17, v19, v36
	v_add_f32_e32 v19, v15, v16
	v_add_f32_e32 v10, v10, v17
	ds_read2_b64 v[15:18], v13 offset0:32 offset1:48
	s_waitcnt lgkmcnt(0)
	v_mul_f32_e32 v36, v25, v16
	v_fma_f32 v36, v24, v15, -v36
	v_add_f32_e32 v36, v38, v36
	v_mul_f32_e32 v38, v25, v18
	v_mul_f32_e32 v37, v24, v16
	v_fma_f32 v38, v24, v17, -v38
	v_mul_f32_e32 v24, v24, v18
	v_fmac_f32_e32 v24, v25, v17
	v_add_f32_e32 v23, v23, v24
	v_mul_f32_e32 v24, v21, v16
	v_mul_f32_e32 v16, v20, v16
	v_fmac_f32_e32 v16, v21, v15
	v_fmac_f32_e32 v37, v25, v15
	v_fma_f32 v24, v20, v15, -v24
	v_add_f32_e32 v25, v35, v16
	v_mul_f32_e32 v15, v21, v18
	v_mul_f32_e32 v16, v20, v18
	v_fma_f32 v15, v20, v17, -v15
	v_fmac_f32_e32 v16, v21, v17
	v_add_f32_e32 v24, v34, v24
	v_add_f32_e32 v34, v19, v15
	;; [unrolled: 1-line block ×3, first 2 shown]
	ds_read2_b64 v[15:18], v13 offset0:64 offset1:80
	v_add_f32_e32 v37, v39, v37
	v_add_f32_e32 v22, v22, v38
	s_waitcnt lgkmcnt(0)
	v_mul_f32_e32 v19, v27, v16
	v_mul_f32_e32 v20, v26, v16
	v_fma_f32 v19, v26, v15, -v19
	v_fmac_f32_e32 v20, v27, v15
	v_add_f32_e32 v35, v36, v19
	v_add_f32_e32 v36, v37, v20
	v_mul_f32_e32 v19, v27, v18
	v_mul_f32_e32 v20, v26, v18
	v_fma_f32 v19, v26, v17, -v19
	v_fmac_f32_e32 v20, v27, v17
	v_add_f32_e32 v26, v22, v19
	v_add_f32_e32 v23, v23, v20
	ds_read_b128 v[19:22], v14 offset:1040
	s_waitcnt lgkmcnt(0)
	v_mul_f32_e32 v27, v20, v16
	v_mul_f32_e32 v16, v19, v16
	v_fmac_f32_e32 v16, v20, v15
	v_fma_f32 v27, v19, v15, -v27
	v_add_f32_e32 v25, v25, v16
	v_mul_f32_e32 v15, v20, v18
	v_mul_f32_e32 v16, v19, v18
	v_fma_f32 v15, v19, v17, -v15
	v_fmac_f32_e32 v16, v20, v17
	v_add_f32_e32 v19, v34, v15
	v_add_f32_e32 v10, v10, v16
	ds_read2_b64 v[15:18], v13 offset0:96 offset1:112
	v_add_f32_e32 v24, v24, v27
	s_waitcnt lgkmcnt(0)
	v_mul_f32_e32 v20, v29, v16
	v_mul_f32_e32 v34, v29, v18
	v_fma_f32 v20, v28, v15, -v20
	v_mul_f32_e32 v27, v28, v16
	v_fma_f32 v34, v28, v17, -v34
	v_mul_f32_e32 v28, v28, v18
	v_fmac_f32_e32 v28, v29, v17
	v_add_f32_e32 v23, v23, v28
	v_mul_f32_e32 v28, v22, v16
	v_mul_f32_e32 v16, v21, v16
	v_fmac_f32_e32 v16, v22, v15
	v_fmac_f32_e32 v27, v29, v15
	v_fma_f32 v28, v21, v15, -v28
	v_add_f32_e32 v25, v25, v16
	v_mul_f32_e32 v15, v22, v18
	v_mul_f32_e32 v16, v21, v18
	v_fma_f32 v15, v21, v17, -v15
	v_fmac_f32_e32 v16, v22, v17
	v_add_f32_e32 v24, v24, v28
	v_add_f32_e32 v28, v19, v15
	;; [unrolled: 1-line block ×3, first 2 shown]
	ds_read2_b64 v[15:18], v13 offset0:128 offset1:144
	v_add_f32_e32 v20, v35, v20
	v_add_f32_e32 v27, v36, v27
	v_add_f32_e32 v26, v26, v34
	s_waitcnt lgkmcnt(0)
	v_mul_f32_e32 v19, v31, v16
	v_fma_f32 v19, v30, v15, -v19
	v_mul_f32_e32 v21, v30, v16
	v_add_f32_e32 v29, v20, v19
	v_mul_f32_e32 v19, v31, v18
	v_mul_f32_e32 v20, v30, v18
	v_fmac_f32_e32 v21, v31, v15
	v_fma_f32 v19, v30, v17, -v19
	v_fmac_f32_e32 v20, v31, v17
	v_add_f32_e32 v27, v27, v21
	v_add_f32_e32 v26, v26, v19
	;; [unrolled: 1-line block ×3, first 2 shown]
	ds_read_b128 v[19:22], v14 offset:1056
	s_waitcnt lgkmcnt(0)
	v_mul_f32_e32 v30, v20, v16
	v_mul_f32_e32 v16, v19, v16
	v_fmac_f32_e32 v16, v20, v15
	v_fma_f32 v30, v19, v15, -v30
	v_add_f32_e32 v25, v25, v16
	v_mul_f32_e32 v15, v20, v18
	v_mul_f32_e32 v16, v19, v18
	v_fma_f32 v15, v19, v17, -v15
	v_fmac_f32_e32 v16, v20, v17
	v_add_f32_e32 v19, v28, v15
	v_add_f32_e32 v10, v10, v16
	ds_read2_b64 v[15:18], v13 offset0:160 offset1:176
	v_add_f32_e32 v24, v24, v30
	s_waitcnt lgkmcnt(0)
	v_mul_f32_e32 v28, v32, v16
	v_fmac_f32_e32 v28, v33, v15
	v_add_f32_e32 v27, v27, v28
	v_mul_f32_e32 v28, v33, v18
	v_fma_f32 v28, v32, v17, -v28
	v_mul_f32_e32 v20, v33, v16
	v_add_f32_e32 v26, v26, v28
	v_mul_f32_e32 v28, v22, v16
	v_mul_f32_e32 v16, v21, v16
	v_fmac_f32_e32 v16, v22, v15
	v_fma_f32 v20, v32, v15, -v20
	v_fma_f32 v28, v21, v15, -v28
	v_add_f32_e32 v25, v25, v16
	v_mul_f32_e32 v15, v22, v18
	v_mul_f32_e32 v16, v21, v18
	v_add_f32_e32 v20, v29, v20
	v_mul_f32_e32 v29, v32, v18
	v_fma_f32 v15, v21, v17, -v15
	v_fmac_f32_e32 v16, v22, v17
	v_fmac_f32_e32 v29, v33, v17
	v_add_f32_e32 v19, v19, v15
	v_add_f32_e32 v10, v10, v16
	ds_read2_b64 v[15:18], v13 offset0:192 offset1:208
	v_add_f32_e32 v24, v24, v28
	v_add_f32_e32 v23, v23, v29
	s_waitcnt lgkmcnt(0)
	v_mul_f32_e32 v21, v3, v16
	v_fma_f32 v21, v2, v15, -v21
	v_add_f32_e32 v28, v20, v21
	v_mul_f32_e32 v20, v3, v18
	v_mul_f32_e32 v22, v2, v16
	v_fma_f32 v20, v2, v17, -v20
	v_mul_f32_e32 v2, v2, v18
	v_fmac_f32_e32 v22, v3, v15
	v_fmac_f32_e32 v2, v3, v17
	v_add_f32_e32 v29, v27, v22
	v_add_f32_e32 v3, v26, v20
	;; [unrolled: 1-line block ×3, first 2 shown]
	ds_read_b128 v[20:23], v14 offset:1072
	s_waitcnt lgkmcnt(0)
	v_mul_f32_e32 v26, v21, v16
	v_mul_f32_e32 v16, v20, v16
	v_fma_f32 v26, v20, v15, -v26
	v_fmac_f32_e32 v16, v21, v15
	v_add_f32_e32 v15, v24, v26
	v_add_f32_e32 v30, v25, v16
	ds_read2_b64 v[24:27], v13 offset0:224 offset1:240
	v_mul_f32_e32 v16, v21, v18
	v_fma_f32 v16, v20, v17, -v16
	v_add_f32_e32 v31, v19, v16
	v_mul_f32_e32 v18, v20, v18
	s_waitcnt lgkmcnt(0)
	v_mul_f32_e32 v16, v5, v25
	v_fma_f32 v16, v4, v24, -v16
	v_add_f32_e32 v20, v28, v16
	v_mul_f32_e32 v16, v5, v27
	v_fmac_f32_e32 v18, v21, v17
	v_mul_f32_e32 v17, v4, v25
	v_fma_f32 v16, v4, v26, -v16
	v_mul_f32_e32 v4, v4, v27
	v_fmac_f32_e32 v4, v5, v26
	v_add_f32_e32 v10, v10, v18
	v_add_f32_e32 v18, v3, v16
	;; [unrolled: 1-line block ×3, first 2 shown]
	v_mul_f32_e32 v2, v23, v25
	v_mul_f32_e32 v3, v22, v25
	v_fmac_f32_e32 v17, v5, v24
	v_fma_f32 v2, v22, v24, -v2
	v_fmac_f32_e32 v3, v23, v24
	v_add_f32_e32 v21, v29, v17
	v_add_f32_e32 v16, v15, v2
	;; [unrolled: 1-line block ×3, first 2 shown]
	v_mul_f32_e32 v2, v23, v27
	v_mul_f32_e32 v3, v22, v27
	v_fma_f32 v2, v22, v26, -v2
	v_fmac_f32_e32 v3, v23, v26
	v_add_f32_e32 v15, v31, v2
	v_add_f32_e32 v10, v10, v3
	v_mov_b32_e32 v3, s1
	v_mov_b32_e32 v2, s0
	v_cmp_le_u64_e32 vcc, s[12:13], v[2:3]
	s_barrier
	s_cbranch_vccz .LBB1259_2
	s_branch .LBB1259_4
.LBB1259_3:
	v_mov_b32_e32 v20, 0
	v_mov_b32_e32 v21, 0
	;; [unrolled: 1-line block ×8, first 2 shown]
.LBB1259_4:
	s_load_dwordx2 s[0:1], s[4:5], 0x60
	s_load_dword s9, s[4:5], 0x0
	s_load_dwordx4 s[16:19], s[4:5], 0x50
	v_add_u32_e32 v5, s3, v1
	v_ashrrev_i32_e32 v1, 31, v5
	s_waitcnt lgkmcnt(0)
	s_mul_i32 s1, s1, s8
	s_mul_hi_u32 s4, s0, s8
	s_add_i32 s1, s4, s1
	v_mul_lo_u32 v3, s18, v1
	v_mul_lo_u32 v4, s19, v5
	v_mad_u64_u32 v[1:2], s[4:5], s18, v5, 0
	s_mul_i32 s0, s0, s8
	s_lshl_b64 s[0:1], s[0:1], 3
	v_add3_u32 v2, v2, v3, v4
	s_add_u32 s6, s16, s0
	v_lshlrev_b64 v[1:2], 3, v[1:2]
	s_addc_u32 s7, s17, s1
	v_mov_b32_e32 v3, s7
	v_add_co_u32_e32 v4, vcc, s6, v1
	v_add_u32_e32 v0, s2, v0
	v_addc_co_u32_e32 v6, vcc, v3, v2, vcc
	v_cmp_le_i32_e64 s[0:1], v5, v0
	v_cmp_gt_i32_e32 vcc, s9, v0
	s_and_b64 s[0:1], s[0:1], vcc
	s_and_saveexec_b64 s[2:3], s[0:1]
	s_cbranch_execz .LBB1259_7
; %bb.5:
	v_mul_f32_e32 v1, s15, v21
	v_fma_f32 v7, v20, s14, -v1
	v_ashrrev_i32_e32 v1, 31, v0
	v_lshlrev_b64 v[1:2], 3, v[0:1]
	v_mul_f32_e32 v8, s14, v21
	v_add_co_u32_e64 v1, s[0:1], v4, v1
	v_addc_co_u32_e64 v2, s[0:1], v6, v2, s[0:1]
	v_fmac_f32_e32 v8, s15, v20
	v_cmp_eq_u32_e64 s[0:1], v5, v0
	global_store_dwordx2 v[1:2], v[7:8], off
	s_and_b64 exec, exec, s[0:1]
	s_cbranch_execz .LBB1259_7
; %bb.6:
	v_mov_b32_e32 v3, 0
	global_store_dword v[1:2], v3, off offset:4
.LBB1259_7:
	s_or_b64 exec, exec, s[2:3]
	v_add_u32_e32 v2, 16, v0
	v_cmp_le_i32_e64 s[2:3], v5, v2
	v_cmp_gt_i32_e64 s[0:1], s9, v2
	s_and_b64 s[2:3], s[2:3], s[0:1]
	s_and_saveexec_b64 s[4:5], s[2:3]
	s_cbranch_execz .LBB1259_10
; %bb.8:
	v_ashrrev_i32_e32 v3, 31, v2
	v_lshlrev_b64 v[11:12], 3, v[2:3]
	v_mul_f32_e32 v1, s15, v19
	v_add_co_u32_e64 v3, s[2:3], v4, v11
	v_mul_f32_e32 v8, s14, v19
	v_addc_co_u32_e64 v4, s[2:3], v6, v12, s[2:3]
	v_fma_f32 v7, v18, s14, -v1
	v_fmac_f32_e32 v8, s15, v18
	v_cmp_eq_u32_e64 s[2:3], v5, v2
	global_store_dwordx2 v[3:4], v[7:8], off
	s_and_b64 exec, exec, s[2:3]
	s_cbranch_execz .LBB1259_10
; %bb.9:
	v_mov_b32_e32 v1, 0
	global_store_dword v[3:4], v1, off offset:4
.LBB1259_10:
	s_or_b64 exec, exec, s[4:5]
	v_add_u32_e32 v8, 16, v5
	v_ashrrev_i32_e32 v1, 31, v8
	v_mul_lo_u32 v6, s19, v8
	v_mad_u64_u32 v[3:4], s[2:3], s18, v8, 0
	v_mul_lo_u32 v1, s18, v1
	v_add3_u32 v4, v4, v1, v6
	v_lshlrev_b64 v[3:4], 3, v[3:4]
	v_mov_b32_e32 v1, s7
	v_add_co_u32_e64 v6, s[2:3], s6, v3
	v_addc_co_u32_e64 v7, s[2:3], v1, v4, s[2:3]
	v_cmp_le_i32_e64 s[2:3], v8, v0
	s_and_b64 s[4:5], s[2:3], vcc
	s_and_saveexec_b64 s[2:3], s[4:5]
	s_cbranch_execz .LBB1259_13
; %bb.11:
	v_mul_f32_e32 v1, s15, v17
	v_fma_f32 v11, v16, s14, -v1
	v_ashrrev_i32_e32 v1, 31, v0
	v_lshlrev_b64 v[3:4], 3, v[0:1]
	v_mul_f32_e32 v12, s14, v17
	v_add_co_u32_e32 v3, vcc, v6, v3
	v_addc_co_u32_e32 v4, vcc, v7, v4, vcc
	v_fmac_f32_e32 v12, s15, v16
	v_cmp_eq_u32_e32 vcc, v8, v0
	global_store_dwordx2 v[3:4], v[11:12], off
	s_and_b64 exec, exec, vcc
	s_cbranch_execz .LBB1259_13
; %bb.12:
	v_mov_b32_e32 v1, 0
	global_store_dword v[3:4], v1, off offset:4
.LBB1259_13:
	s_or_b64 exec, exec, s[2:3]
	v_cmp_le_i32_e32 vcc, v8, v2
	s_and_b64 s[0:1], vcc, s[0:1]
	s_and_saveexec_b64 s[2:3], s[0:1]
	s_cbranch_execz .LBB1259_16
; %bb.14:
	v_mul_f32_e32 v1, s15, v10
	v_ashrrev_i32_e32 v3, 31, v2
	v_fma_f32 v8, v15, s14, -v1
	v_lshlrev_b64 v[1:2], 3, v[2:3]
	v_mul_f32_e32 v9, s14, v10
	v_add_co_u32_e32 v1, vcc, v6, v1
	v_addc_co_u32_e32 v2, vcc, v7, v2, vcc
	v_fmac_f32_e32 v9, s15, v15
	v_cmp_eq_u32_e32 vcc, v5, v0
	global_store_dwordx2 v[1:2], v[8:9], off
	s_and_b64 exec, exec, vcc
	s_cbranch_execz .LBB1259_16
; %bb.15:
	v_mov_b32_e32 v0, 0
	global_store_dword v[1:2], v0, off offset:4
.LBB1259_16:
	s_endpgm
	.section	.rodata,"a",@progbits
	.p2align	6, 0x0
	.amdhsa_kernel _ZL37rocblas_syrkx_herkx_restricted_kernelIl19rocblas_complex_numIfELi16ELi32ELi8ELb1ELb1ELc67ELc76EKS1_S1_EviT_T0_PT8_S3_lS6_S3_lS4_PT9_S3_li
		.amdhsa_group_segment_fixed_size 4096
		.amdhsa_private_segment_fixed_size 0
		.amdhsa_kernarg_size 108
		.amdhsa_user_sgpr_count 6
		.amdhsa_user_sgpr_private_segment_buffer 1
		.amdhsa_user_sgpr_dispatch_ptr 0
		.amdhsa_user_sgpr_queue_ptr 0
		.amdhsa_user_sgpr_kernarg_segment_ptr 1
		.amdhsa_user_sgpr_dispatch_id 0
		.amdhsa_user_sgpr_flat_scratch_init 0
		.amdhsa_user_sgpr_private_segment_size 0
		.amdhsa_uses_dynamic_stack 0
		.amdhsa_system_sgpr_private_segment_wavefront_offset 0
		.amdhsa_system_sgpr_workgroup_id_x 1
		.amdhsa_system_sgpr_workgroup_id_y 1
		.amdhsa_system_sgpr_workgroup_id_z 1
		.amdhsa_system_sgpr_workgroup_info 0
		.amdhsa_system_vgpr_workitem_id 1
		.amdhsa_next_free_vgpr 41
		.amdhsa_next_free_sgpr 28
		.amdhsa_reserve_vcc 1
		.amdhsa_reserve_flat_scratch 0
		.amdhsa_float_round_mode_32 0
		.amdhsa_float_round_mode_16_64 0
		.amdhsa_float_denorm_mode_32 3
		.amdhsa_float_denorm_mode_16_64 3
		.amdhsa_dx10_clamp 1
		.amdhsa_ieee_mode 1
		.amdhsa_fp16_overflow 0
		.amdhsa_exception_fp_ieee_invalid_op 0
		.amdhsa_exception_fp_denorm_src 0
		.amdhsa_exception_fp_ieee_div_zero 0
		.amdhsa_exception_fp_ieee_overflow 0
		.amdhsa_exception_fp_ieee_underflow 0
		.amdhsa_exception_fp_ieee_inexact 0
		.amdhsa_exception_int_div_zero 0
	.end_amdhsa_kernel
	.section	.text._ZL37rocblas_syrkx_herkx_restricted_kernelIl19rocblas_complex_numIfELi16ELi32ELi8ELb1ELb1ELc67ELc76EKS1_S1_EviT_T0_PT8_S3_lS6_S3_lS4_PT9_S3_li,"axG",@progbits,_ZL37rocblas_syrkx_herkx_restricted_kernelIl19rocblas_complex_numIfELi16ELi32ELi8ELb1ELb1ELc67ELc76EKS1_S1_EviT_T0_PT8_S3_lS6_S3_lS4_PT9_S3_li,comdat
.Lfunc_end1259:
	.size	_ZL37rocblas_syrkx_herkx_restricted_kernelIl19rocblas_complex_numIfELi16ELi32ELi8ELb1ELb1ELc67ELc76EKS1_S1_EviT_T0_PT8_S3_lS6_S3_lS4_PT9_S3_li, .Lfunc_end1259-_ZL37rocblas_syrkx_herkx_restricted_kernelIl19rocblas_complex_numIfELi16ELi32ELi8ELb1ELb1ELc67ELc76EKS1_S1_EviT_T0_PT8_S3_lS6_S3_lS4_PT9_S3_li
                                        ; -- End function
	.set _ZL37rocblas_syrkx_herkx_restricted_kernelIl19rocblas_complex_numIfELi16ELi32ELi8ELb1ELb1ELc67ELc76EKS1_S1_EviT_T0_PT8_S3_lS6_S3_lS4_PT9_S3_li.num_vgpr, 41
	.set _ZL37rocblas_syrkx_herkx_restricted_kernelIl19rocblas_complex_numIfELi16ELi32ELi8ELb1ELb1ELc67ELc76EKS1_S1_EviT_T0_PT8_S3_lS6_S3_lS4_PT9_S3_li.num_agpr, 0
	.set _ZL37rocblas_syrkx_herkx_restricted_kernelIl19rocblas_complex_numIfELi16ELi32ELi8ELb1ELb1ELc67ELc76EKS1_S1_EviT_T0_PT8_S3_lS6_S3_lS4_PT9_S3_li.numbered_sgpr, 28
	.set _ZL37rocblas_syrkx_herkx_restricted_kernelIl19rocblas_complex_numIfELi16ELi32ELi8ELb1ELb1ELc67ELc76EKS1_S1_EviT_T0_PT8_S3_lS6_S3_lS4_PT9_S3_li.num_named_barrier, 0
	.set _ZL37rocblas_syrkx_herkx_restricted_kernelIl19rocblas_complex_numIfELi16ELi32ELi8ELb1ELb1ELc67ELc76EKS1_S1_EviT_T0_PT8_S3_lS6_S3_lS4_PT9_S3_li.private_seg_size, 0
	.set _ZL37rocblas_syrkx_herkx_restricted_kernelIl19rocblas_complex_numIfELi16ELi32ELi8ELb1ELb1ELc67ELc76EKS1_S1_EviT_T0_PT8_S3_lS6_S3_lS4_PT9_S3_li.uses_vcc, 1
	.set _ZL37rocblas_syrkx_herkx_restricted_kernelIl19rocblas_complex_numIfELi16ELi32ELi8ELb1ELb1ELc67ELc76EKS1_S1_EviT_T0_PT8_S3_lS6_S3_lS4_PT9_S3_li.uses_flat_scratch, 0
	.set _ZL37rocblas_syrkx_herkx_restricted_kernelIl19rocblas_complex_numIfELi16ELi32ELi8ELb1ELb1ELc67ELc76EKS1_S1_EviT_T0_PT8_S3_lS6_S3_lS4_PT9_S3_li.has_dyn_sized_stack, 0
	.set _ZL37rocblas_syrkx_herkx_restricted_kernelIl19rocblas_complex_numIfELi16ELi32ELi8ELb1ELb1ELc67ELc76EKS1_S1_EviT_T0_PT8_S3_lS6_S3_lS4_PT9_S3_li.has_recursion, 0
	.set _ZL37rocblas_syrkx_herkx_restricted_kernelIl19rocblas_complex_numIfELi16ELi32ELi8ELb1ELb1ELc67ELc76EKS1_S1_EviT_T0_PT8_S3_lS6_S3_lS4_PT9_S3_li.has_indirect_call, 0
	.section	.AMDGPU.csdata,"",@progbits
; Kernel info:
; codeLenInByte = 2160
; TotalNumSgprs: 32
; NumVgprs: 41
; ScratchSize: 0
; MemoryBound: 0
; FloatMode: 240
; IeeeMode: 1
; LDSByteSize: 4096 bytes/workgroup (compile time only)
; SGPRBlocks: 3
; VGPRBlocks: 10
; NumSGPRsForWavesPerEU: 32
; NumVGPRsForWavesPerEU: 41
; Occupancy: 5
; WaveLimiterHint : 1
; COMPUTE_PGM_RSRC2:SCRATCH_EN: 0
; COMPUTE_PGM_RSRC2:USER_SGPR: 6
; COMPUTE_PGM_RSRC2:TRAP_HANDLER: 0
; COMPUTE_PGM_RSRC2:TGID_X_EN: 1
; COMPUTE_PGM_RSRC2:TGID_Y_EN: 1
; COMPUTE_PGM_RSRC2:TGID_Z_EN: 1
; COMPUTE_PGM_RSRC2:TIDIG_COMP_CNT: 1
	.section	.text._ZL37rocblas_syrkx_herkx_restricted_kernelIl19rocblas_complex_numIfELi16ELi32ELi8ELb1ELb1ELc78ELc76EKS1_S1_EviT_T0_PT8_S3_lS6_S3_lS4_PT9_S3_li,"axG",@progbits,_ZL37rocblas_syrkx_herkx_restricted_kernelIl19rocblas_complex_numIfELi16ELi32ELi8ELb1ELb1ELc78ELc76EKS1_S1_EviT_T0_PT8_S3_lS6_S3_lS4_PT9_S3_li,comdat
	.globl	_ZL37rocblas_syrkx_herkx_restricted_kernelIl19rocblas_complex_numIfELi16ELi32ELi8ELb1ELb1ELc78ELc76EKS1_S1_EviT_T0_PT8_S3_lS6_S3_lS4_PT9_S3_li ; -- Begin function _ZL37rocblas_syrkx_herkx_restricted_kernelIl19rocblas_complex_numIfELi16ELi32ELi8ELb1ELb1ELc78ELc76EKS1_S1_EviT_T0_PT8_S3_lS6_S3_lS4_PT9_S3_li
	.p2align	8
	.type	_ZL37rocblas_syrkx_herkx_restricted_kernelIl19rocblas_complex_numIfELi16ELi32ELi8ELb1ELb1ELc78ELc76EKS1_S1_EviT_T0_PT8_S3_lS6_S3_lS4_PT9_S3_li,@function
_ZL37rocblas_syrkx_herkx_restricted_kernelIl19rocblas_complex_numIfELi16ELi32ELi8ELb1ELb1ELc78ELc76EKS1_S1_EviT_T0_PT8_S3_lS6_S3_lS4_PT9_S3_li: ; @_ZL37rocblas_syrkx_herkx_restricted_kernelIl19rocblas_complex_numIfELi16ELi32ELi8ELb1ELb1ELc78ELc76EKS1_S1_EviT_T0_PT8_S3_lS6_S3_lS4_PT9_S3_li
; %bb.0:
	s_load_dwordx16 s[12:27], s[4:5], 0x8
	s_lshl_b32 s9, s6, 5
	s_lshl_b32 s10, s7, 5
	s_waitcnt lgkmcnt(0)
	v_cmp_lt_i64_e64 s[0:1], s[12:13], 1
	s_and_b64 vcc, exec, s[0:1]
	s_cbranch_vccnz .LBB1260_3
; %bb.1:
	v_lshl_add_u32 v5, v1, 4, v0
	v_lshrrev_b32_e32 v6, 3, v5
	v_add_u32_e32 v2, s10, v6
	v_and_b32_e32 v7, 7, v0
	v_ashrrev_i32_e32 v3, 31, v2
	v_mad_u64_u32 v[2:3], s[0:1], s24, v7, v[2:3]
	v_lshrrev_b32_e32 v8, 5, v5
	s_mul_i32 s2, s21, s8
	v_mad_u64_u32 v[3:4], s[0:1], s25, v7, v[3:4]
	v_and_b32_e32 v4, 31, v5
	v_lshlrev_b32_e32 v5, 3, v4
	v_lshl_or_b32 v10, v8, 8, v5
	v_lshlrev_b32_e32 v5, 3, v7
	v_lshl_or_b32 v5, v6, 6, v5
	v_add_u32_e32 v4, s9, v4
	v_add_u32_e32 v11, 0x800, v5
	v_ashrrev_i32_e32 v5, 31, v4
	v_mad_u64_u32 v[4:5], s[0:1], s18, v8, v[4:5]
	v_mov_b32_e32 v6, 0x800
	v_lshl_add_u32 v13, v1, 6, v6
	v_mad_u64_u32 v[5:6], s[0:1], s19, v8, v[5:6]
	s_mul_hi_u32 s3, s20, s8
	s_add_i32 s1, s3, s2
	s_mul_i32 s0, s20, s8
	s_lshl_b64 s[0:1], s[0:1], 3
	v_lshlrev_b64 v[4:5], 3, v[4:5]
	s_add_u32 s0, s16, s0
	s_addc_u32 s1, s17, s1
	s_mul_i32 s2, s27, s8
	s_mul_hi_u32 s3, s26, s8
	v_mov_b32_e32 v6, s1
	v_add_co_u32_e32 v4, vcc, s0, v4
	s_add_i32 s3, s3, s2
	s_mul_i32 s2, s26, s8
	v_addc_co_u32_e32 v5, vcc, v6, v5, vcc
	s_lshl_b64 s[0:1], s[18:19], 6
	s_lshl_b64 s[2:3], s[2:3], 3
	v_add_co_u32_e32 v6, vcc, 4, v4
	v_lshlrev_b64 v[2:3], 3, v[2:3]
	s_add_u32 s2, s22, s2
	v_addc_co_u32_e32 v7, vcc, 0, v5, vcc
	s_addc_u32 s3, s23, s3
	v_mov_b32_e32 v4, s3
	v_add_co_u32_e32 v2, vcc, s2, v2
	v_addc_co_u32_e32 v3, vcc, v4, v3, vcc
	v_add_co_u32_e32 v8, vcc, 4, v2
	s_lshl_b64 s[2:3], s[24:25], 6
	v_lshlrev_b32_e32 v12, 3, v0
	v_addc_co_u32_e32 v9, vcc, 0, v3, vcc
	v_mov_b32_e32 v16, 0
	s_mov_b64 s[6:7], 0
	v_mov_b32_e32 v14, s1
	v_mov_b32_e32 v15, s3
	;; [unrolled: 1-line block ×9, first 2 shown]
.LBB1260_2:                             ; =>This Inner Loop Header: Depth=1
	global_load_dwordx2 v[2:3], v[6:7], off offset:-4
	v_add_co_u32_e32 v6, vcc, s0, v6
	s_add_u32 s6, s6, 8
	v_addc_co_u32_e32 v7, vcc, v7, v14, vcc
	s_addc_u32 s7, s7, 0
	s_waitcnt vmcnt(0)
	ds_write_b64 v10, v[2:3]
	global_load_dwordx2 v[2:3], v[8:9], off offset:-4
	v_add_co_u32_e32 v8, vcc, s2, v8
	v_addc_co_u32_e32 v9, vcc, v9, v15, vcc
	s_waitcnt vmcnt(0)
	v_xor_b32_e32 v3, 0x80000000, v3
	ds_write_b64 v11, v[2:3]
	s_waitcnt lgkmcnt(0)
	s_barrier
	ds_read_b128 v[24:27], v13
	ds_read_b128 v[28:31], v13 offset:16
	ds_read_b128 v[32:35], v13 offset:32
	;; [unrolled: 1-line block ×3, first 2 shown]
	ds_read2_b64 v[36:39], v12 offset1:16
	s_waitcnt lgkmcnt(0)
	v_mul_f32_e32 v40, v25, v37
	v_mul_f32_e32 v41, v24, v37
	v_fma_f32 v40, v24, v36, -v40
	v_fmac_f32_e32 v41, v25, v36
	v_add_f32_e32 v40, v22, v40
	v_add_f32_e32 v41, v23, v41
	v_mul_f32_e32 v22, v25, v39
	v_mul_f32_e32 v23, v24, v39
	v_fma_f32 v22, v24, v38, -v22
	v_fmac_f32_e32 v23, v25, v38
	v_add_f32_e32 v24, v20, v22
	v_add_f32_e32 v25, v21, v23
	ds_read_b128 v[20:23], v13 offset:1024
	s_waitcnt lgkmcnt(0)
	v_mul_f32_e32 v42, v21, v37
	v_mul_f32_e32 v37, v20, v37
	v_fma_f32 v42, v20, v36, -v42
	v_fmac_f32_e32 v37, v21, v36
	v_add_f32_e32 v36, v18, v42
	v_add_f32_e32 v37, v19, v37
	v_mul_f32_e32 v18, v21, v39
	v_mul_f32_e32 v19, v20, v39
	v_fma_f32 v18, v20, v38, -v18
	v_fmac_f32_e32 v19, v21, v38
	v_add_f32_e32 v20, v17, v18
	v_add_f32_e32 v21, v16, v19
	ds_read2_b64 v[16:19], v12 offset0:32 offset1:48
	s_waitcnt lgkmcnt(0)
	v_mul_f32_e32 v38, v27, v17
	v_fma_f32 v38, v26, v16, -v38
	v_add_f32_e32 v38, v40, v38
	v_mul_f32_e32 v40, v27, v19
	v_mul_f32_e32 v39, v26, v17
	v_fma_f32 v40, v26, v18, -v40
	v_mul_f32_e32 v26, v26, v19
	v_fmac_f32_e32 v26, v27, v18
	v_add_f32_e32 v25, v25, v26
	v_mul_f32_e32 v26, v23, v17
	v_mul_f32_e32 v17, v22, v17
	v_fmac_f32_e32 v17, v23, v16
	v_fmac_f32_e32 v39, v27, v16
	v_fma_f32 v26, v22, v16, -v26
	v_add_f32_e32 v27, v37, v17
	v_mul_f32_e32 v16, v23, v19
	v_mul_f32_e32 v17, v22, v19
	v_fma_f32 v16, v22, v18, -v16
	v_fmac_f32_e32 v17, v23, v18
	v_add_f32_e32 v26, v36, v26
	v_add_f32_e32 v36, v20, v16
	;; [unrolled: 1-line block ×3, first 2 shown]
	ds_read2_b64 v[16:19], v12 offset0:64 offset1:80
	v_add_f32_e32 v39, v41, v39
	v_add_f32_e32 v24, v24, v40
	s_waitcnt lgkmcnt(0)
	v_mul_f32_e32 v20, v29, v17
	v_mul_f32_e32 v21, v28, v17
	v_fma_f32 v20, v28, v16, -v20
	v_fmac_f32_e32 v21, v29, v16
	v_add_f32_e32 v38, v38, v20
	v_add_f32_e32 v39, v39, v21
	v_mul_f32_e32 v20, v29, v19
	v_mul_f32_e32 v21, v28, v19
	v_fma_f32 v20, v28, v18, -v20
	v_fmac_f32_e32 v21, v29, v18
	v_add_f32_e32 v24, v24, v20
	v_add_f32_e32 v25, v25, v21
	ds_read_b128 v[20:23], v13 offset:1040
	s_waitcnt lgkmcnt(0)
	v_mul_f32_e32 v28, v21, v17
	v_mul_f32_e32 v17, v20, v17
	v_fmac_f32_e32 v17, v21, v16
	v_fma_f32 v28, v20, v16, -v28
	v_add_f32_e32 v27, v27, v17
	v_mul_f32_e32 v16, v21, v19
	v_mul_f32_e32 v17, v20, v19
	v_fma_f32 v16, v20, v18, -v16
	v_fmac_f32_e32 v17, v21, v18
	v_add_f32_e32 v20, v36, v16
	v_add_f32_e32 v21, v37, v17
	ds_read2_b64 v[16:19], v12 offset0:96 offset1:112
	v_add_f32_e32 v26, v26, v28
	s_waitcnt lgkmcnt(0)
	v_mul_f32_e32 v28, v31, v17
	v_mul_f32_e32 v36, v31, v19
	v_fma_f32 v28, v30, v16, -v28
	v_mul_f32_e32 v29, v30, v17
	v_fma_f32 v36, v30, v18, -v36
	v_mul_f32_e32 v30, v30, v19
	v_fmac_f32_e32 v30, v31, v18
	v_add_f32_e32 v25, v25, v30
	v_mul_f32_e32 v30, v23, v17
	v_mul_f32_e32 v17, v22, v17
	v_fmac_f32_e32 v17, v23, v16
	v_fmac_f32_e32 v29, v31, v16
	v_fma_f32 v30, v22, v16, -v30
	v_add_f32_e32 v27, v27, v17
	v_mul_f32_e32 v16, v23, v19
	v_mul_f32_e32 v17, v22, v19
	v_fma_f32 v16, v22, v18, -v16
	v_fmac_f32_e32 v17, v23, v18
	v_add_f32_e32 v26, v26, v30
	v_add_f32_e32 v30, v20, v16
	;; [unrolled: 1-line block ×3, first 2 shown]
	ds_read2_b64 v[16:19], v12 offset0:128 offset1:144
	v_add_f32_e32 v28, v38, v28
	v_add_f32_e32 v29, v39, v29
	v_add_f32_e32 v24, v24, v36
	s_waitcnt lgkmcnt(0)
	v_mul_f32_e32 v20, v33, v17
	v_mul_f32_e32 v21, v32, v17
	v_fma_f32 v20, v32, v16, -v20
	v_fmac_f32_e32 v21, v33, v16
	v_add_f32_e32 v28, v28, v20
	v_add_f32_e32 v29, v29, v21
	v_mul_f32_e32 v20, v33, v19
	v_mul_f32_e32 v21, v32, v19
	v_fma_f32 v20, v32, v18, -v20
	v_fmac_f32_e32 v21, v33, v18
	v_add_f32_e32 v24, v24, v20
	v_add_f32_e32 v25, v25, v21
	ds_read_b128 v[20:23], v13 offset:1056
	s_waitcnt lgkmcnt(0)
	v_mul_f32_e32 v32, v21, v17
	v_mul_f32_e32 v17, v20, v17
	v_fmac_f32_e32 v17, v21, v16
	v_fma_f32 v32, v20, v16, -v32
	v_add_f32_e32 v27, v27, v17
	v_mul_f32_e32 v16, v21, v19
	v_mul_f32_e32 v17, v20, v19
	v_fma_f32 v16, v20, v18, -v16
	v_fmac_f32_e32 v17, v21, v18
	v_add_f32_e32 v20, v30, v16
	v_add_f32_e32 v21, v31, v17
	ds_read2_b64 v[16:19], v12 offset0:160 offset1:176
	v_add_f32_e32 v26, v26, v32
	s_waitcnt lgkmcnt(0)
	v_mul_f32_e32 v30, v35, v17
	v_fma_f32 v30, v34, v16, -v30
	v_add_f32_e32 v28, v28, v30
	v_mul_f32_e32 v30, v35, v19
	v_fma_f32 v30, v34, v18, -v30
	v_mul_f32_e32 v31, v34, v17
	v_add_f32_e32 v24, v24, v30
	v_mul_f32_e32 v30, v23, v17
	v_mul_f32_e32 v17, v22, v17
	v_fmac_f32_e32 v17, v23, v16
	v_fmac_f32_e32 v31, v35, v16
	v_fma_f32 v30, v22, v16, -v30
	v_add_f32_e32 v27, v27, v17
	v_mul_f32_e32 v16, v23, v19
	v_mul_f32_e32 v17, v22, v19
	v_add_f32_e32 v29, v29, v31
	v_mul_f32_e32 v31, v34, v19
	v_fma_f32 v16, v22, v18, -v16
	v_fmac_f32_e32 v17, v23, v18
	v_fmac_f32_e32 v31, v35, v18
	v_add_f32_e32 v20, v20, v16
	v_add_f32_e32 v21, v21, v17
	ds_read2_b64 v[16:19], v12 offset0:192 offset1:208
	v_add_f32_e32 v26, v26, v30
	v_add_f32_e32 v25, v25, v31
	s_waitcnt lgkmcnt(0)
	v_mul_f32_e32 v22, v3, v17
	v_fma_f32 v22, v2, v16, -v22
	v_add_f32_e32 v30, v28, v22
	v_mul_f32_e32 v22, v3, v19
	v_mul_f32_e32 v23, v2, v17
	v_fma_f32 v22, v2, v18, -v22
	v_mul_f32_e32 v2, v2, v19
	v_fmac_f32_e32 v23, v3, v16
	v_fmac_f32_e32 v2, v3, v18
	v_add_f32_e32 v31, v29, v23
	v_add_f32_e32 v3, v24, v22
	;; [unrolled: 1-line block ×3, first 2 shown]
	ds_read_b128 v[22:25], v13 offset:1072
	s_waitcnt lgkmcnt(0)
	v_mul_f32_e32 v28, v23, v17
	v_fma_f32 v28, v22, v16, -v28
	v_mul_f32_e32 v17, v22, v17
	v_fmac_f32_e32 v17, v23, v16
	v_add_f32_e32 v16, v26, v28
	v_mul_f32_e32 v26, v23, v19
	v_fma_f32 v26, v22, v18, -v26
	v_add_f32_e32 v17, v27, v17
	v_add_f32_e32 v32, v20, v26
	ds_read2_b64 v[26:29], v12 offset0:224 offset1:240
	v_mul_f32_e32 v19, v22, v19
	v_fmac_f32_e32 v19, v23, v18
	v_add_f32_e32 v33, v21, v19
	s_waitcnt lgkmcnt(0)
	v_mul_f32_e32 v18, v5, v27
	v_fma_f32 v18, v4, v26, -v18
	v_add_f32_e32 v22, v30, v18
	v_mul_f32_e32 v18, v5, v29
	v_mul_f32_e32 v19, v4, v27
	v_fma_f32 v18, v4, v28, -v18
	v_mul_f32_e32 v4, v4, v29
	v_fmac_f32_e32 v4, v5, v28
	v_add_f32_e32 v20, v3, v18
	v_add_f32_e32 v21, v2, v4
	v_mul_f32_e32 v2, v25, v27
	v_mul_f32_e32 v3, v24, v27
	v_fmac_f32_e32 v19, v5, v26
	v_fma_f32 v2, v24, v26, -v2
	v_fmac_f32_e32 v3, v25, v26
	v_add_f32_e32 v23, v31, v19
	v_add_f32_e32 v18, v16, v2
	;; [unrolled: 1-line block ×3, first 2 shown]
	v_mul_f32_e32 v2, v25, v29
	v_mul_f32_e32 v3, v24, v29
	v_fma_f32 v2, v24, v28, -v2
	v_fmac_f32_e32 v3, v25, v28
	v_add_f32_e32 v17, v32, v2
	v_add_f32_e32 v16, v33, v3
	v_mov_b32_e32 v2, s6
	v_mov_b32_e32 v3, s7
	v_cmp_le_u64_e32 vcc, s[12:13], v[2:3]
	s_barrier
	s_cbranch_vccz .LBB1260_2
	s_branch .LBB1260_4
.LBB1260_3:
	v_mov_b32_e32 v22, 0
	v_mov_b32_e32 v23, 0
	;; [unrolled: 1-line block ×8, first 2 shown]
.LBB1260_4:
	s_load_dwordx2 s[0:1], s[4:5], 0x60
	s_load_dword s11, s[4:5], 0x0
	s_load_dwordx4 s[16:19], s[4:5], 0x50
	v_add_u32_e32 v5, s10, v1
	v_ashrrev_i32_e32 v1, 31, v5
	s_waitcnt lgkmcnt(0)
	s_mul_i32 s1, s1, s8
	s_mul_hi_u32 s2, s0, s8
	s_add_i32 s1, s2, s1
	v_mul_lo_u32 v3, s18, v1
	v_mul_lo_u32 v4, s19, v5
	v_mad_u64_u32 v[1:2], s[2:3], s18, v5, 0
	s_mul_i32 s0, s0, s8
	s_lshl_b64 s[0:1], s[0:1], 3
	v_add3_u32 v2, v2, v3, v4
	s_add_u32 s6, s16, s0
	v_lshlrev_b64 v[1:2], 3, v[1:2]
	s_addc_u32 s7, s17, s1
	v_mov_b32_e32 v3, s7
	v_add_co_u32_e32 v4, vcc, s6, v1
	v_add_u32_e32 v0, s9, v0
	v_addc_co_u32_e32 v6, vcc, v3, v2, vcc
	v_cmp_le_i32_e64 s[0:1], v5, v0
	v_cmp_gt_i32_e32 vcc, s11, v0
	s_and_b64 s[0:1], s[0:1], vcc
	s_and_saveexec_b64 s[2:3], s[0:1]
	s_cbranch_execz .LBB1260_7
; %bb.5:
	v_mul_f32_e32 v1, s15, v23
	v_fma_f32 v7, v22, s14, -v1
	v_ashrrev_i32_e32 v1, 31, v0
	v_lshlrev_b64 v[1:2], 3, v[0:1]
	v_mul_f32_e32 v8, s14, v23
	v_add_co_u32_e64 v1, s[0:1], v4, v1
	v_addc_co_u32_e64 v2, s[0:1], v6, v2, s[0:1]
	v_fmac_f32_e32 v8, s15, v22
	v_cmp_eq_u32_e64 s[0:1], v5, v0
	global_store_dwordx2 v[1:2], v[7:8], off
	s_and_b64 exec, exec, s[0:1]
	s_cbranch_execz .LBB1260_7
; %bb.6:
	v_mov_b32_e32 v3, 0
	global_store_dword v[1:2], v3, off offset:4
.LBB1260_7:
	s_or_b64 exec, exec, s[2:3]
	v_add_u32_e32 v2, 16, v0
	v_cmp_le_i32_e64 s[2:3], v5, v2
	v_cmp_gt_i32_e64 s[0:1], s11, v2
	s_and_b64 s[2:3], s[2:3], s[0:1]
	s_and_saveexec_b64 s[4:5], s[2:3]
	s_cbranch_execz .LBB1260_10
; %bb.8:
	v_ashrrev_i32_e32 v3, 31, v2
	v_lshlrev_b64 v[9:10], 3, v[2:3]
	v_mul_f32_e32 v1, s15, v21
	v_add_co_u32_e64 v3, s[2:3], v4, v9
	v_mul_f32_e32 v8, s14, v21
	v_addc_co_u32_e64 v4, s[2:3], v6, v10, s[2:3]
	v_fma_f32 v7, v20, s14, -v1
	v_fmac_f32_e32 v8, s15, v20
	v_cmp_eq_u32_e64 s[2:3], v5, v2
	global_store_dwordx2 v[3:4], v[7:8], off
	s_and_b64 exec, exec, s[2:3]
	s_cbranch_execz .LBB1260_10
; %bb.9:
	v_mov_b32_e32 v1, 0
	global_store_dword v[3:4], v1, off offset:4
.LBB1260_10:
	s_or_b64 exec, exec, s[4:5]
	v_add_u32_e32 v8, 16, v5
	v_ashrrev_i32_e32 v1, 31, v8
	v_mul_lo_u32 v6, s19, v8
	v_mad_u64_u32 v[3:4], s[2:3], s18, v8, 0
	v_mul_lo_u32 v1, s18, v1
	v_add3_u32 v4, v4, v1, v6
	v_lshlrev_b64 v[3:4], 3, v[3:4]
	v_mov_b32_e32 v1, s7
	v_add_co_u32_e64 v6, s[2:3], s6, v3
	v_addc_co_u32_e64 v7, s[2:3], v1, v4, s[2:3]
	v_cmp_le_i32_e64 s[2:3], v8, v0
	s_and_b64 s[4:5], s[2:3], vcc
	s_and_saveexec_b64 s[2:3], s[4:5]
	s_cbranch_execz .LBB1260_13
; %bb.11:
	v_mul_f32_e32 v1, s15, v19
	v_fma_f32 v9, v18, s14, -v1
	v_ashrrev_i32_e32 v1, 31, v0
	v_lshlrev_b64 v[3:4], 3, v[0:1]
	v_mul_f32_e32 v10, s14, v19
	v_add_co_u32_e32 v3, vcc, v6, v3
	v_addc_co_u32_e32 v4, vcc, v7, v4, vcc
	v_fmac_f32_e32 v10, s15, v18
	v_cmp_eq_u32_e32 vcc, v8, v0
	global_store_dwordx2 v[3:4], v[9:10], off
	s_and_b64 exec, exec, vcc
	s_cbranch_execz .LBB1260_13
; %bb.12:
	v_mov_b32_e32 v1, 0
	global_store_dword v[3:4], v1, off offset:4
.LBB1260_13:
	s_or_b64 exec, exec, s[2:3]
	v_cmp_le_i32_e32 vcc, v8, v2
	s_and_b64 s[0:1], vcc, s[0:1]
	s_and_saveexec_b64 s[2:3], s[0:1]
	s_cbranch_execz .LBB1260_16
; %bb.14:
	v_mul_f32_e32 v1, s15, v16
	v_ashrrev_i32_e32 v3, 31, v2
	v_fma_f32 v8, v17, s14, -v1
	v_lshlrev_b64 v[1:2], 3, v[2:3]
	v_mul_f32_e32 v9, s14, v16
	v_add_co_u32_e32 v1, vcc, v6, v1
	v_addc_co_u32_e32 v2, vcc, v7, v2, vcc
	v_fmac_f32_e32 v9, s15, v17
	v_cmp_eq_u32_e32 vcc, v5, v0
	global_store_dwordx2 v[1:2], v[8:9], off
	s_and_b64 exec, exec, vcc
	s_cbranch_execz .LBB1260_16
; %bb.15:
	v_mov_b32_e32 v0, 0
	global_store_dword v[1:2], v0, off offset:4
.LBB1260_16:
	s_endpgm
	.section	.rodata,"a",@progbits
	.p2align	6, 0x0
	.amdhsa_kernel _ZL37rocblas_syrkx_herkx_restricted_kernelIl19rocblas_complex_numIfELi16ELi32ELi8ELb1ELb1ELc78ELc76EKS1_S1_EviT_T0_PT8_S3_lS6_S3_lS4_PT9_S3_li
		.amdhsa_group_segment_fixed_size 4096
		.amdhsa_private_segment_fixed_size 0
		.amdhsa_kernarg_size 108
		.amdhsa_user_sgpr_count 6
		.amdhsa_user_sgpr_private_segment_buffer 1
		.amdhsa_user_sgpr_dispatch_ptr 0
		.amdhsa_user_sgpr_queue_ptr 0
		.amdhsa_user_sgpr_kernarg_segment_ptr 1
		.amdhsa_user_sgpr_dispatch_id 0
		.amdhsa_user_sgpr_flat_scratch_init 0
		.amdhsa_user_sgpr_private_segment_size 0
		.amdhsa_uses_dynamic_stack 0
		.amdhsa_system_sgpr_private_segment_wavefront_offset 0
		.amdhsa_system_sgpr_workgroup_id_x 1
		.amdhsa_system_sgpr_workgroup_id_y 1
		.amdhsa_system_sgpr_workgroup_id_z 1
		.amdhsa_system_sgpr_workgroup_info 0
		.amdhsa_system_vgpr_workitem_id 1
		.amdhsa_next_free_vgpr 43
		.amdhsa_next_free_sgpr 28
		.amdhsa_reserve_vcc 1
		.amdhsa_reserve_flat_scratch 0
		.amdhsa_float_round_mode_32 0
		.amdhsa_float_round_mode_16_64 0
		.amdhsa_float_denorm_mode_32 3
		.amdhsa_float_denorm_mode_16_64 3
		.amdhsa_dx10_clamp 1
		.amdhsa_ieee_mode 1
		.amdhsa_fp16_overflow 0
		.amdhsa_exception_fp_ieee_invalid_op 0
		.amdhsa_exception_fp_denorm_src 0
		.amdhsa_exception_fp_ieee_div_zero 0
		.amdhsa_exception_fp_ieee_overflow 0
		.amdhsa_exception_fp_ieee_underflow 0
		.amdhsa_exception_fp_ieee_inexact 0
		.amdhsa_exception_int_div_zero 0
	.end_amdhsa_kernel
	.section	.text._ZL37rocblas_syrkx_herkx_restricted_kernelIl19rocblas_complex_numIfELi16ELi32ELi8ELb1ELb1ELc78ELc76EKS1_S1_EviT_T0_PT8_S3_lS6_S3_lS4_PT9_S3_li,"axG",@progbits,_ZL37rocblas_syrkx_herkx_restricted_kernelIl19rocblas_complex_numIfELi16ELi32ELi8ELb1ELb1ELc78ELc76EKS1_S1_EviT_T0_PT8_S3_lS6_S3_lS4_PT9_S3_li,comdat
.Lfunc_end1260:
	.size	_ZL37rocblas_syrkx_herkx_restricted_kernelIl19rocblas_complex_numIfELi16ELi32ELi8ELb1ELb1ELc78ELc76EKS1_S1_EviT_T0_PT8_S3_lS6_S3_lS4_PT9_S3_li, .Lfunc_end1260-_ZL37rocblas_syrkx_herkx_restricted_kernelIl19rocblas_complex_numIfELi16ELi32ELi8ELb1ELb1ELc78ELc76EKS1_S1_EviT_T0_PT8_S3_lS6_S3_lS4_PT9_S3_li
                                        ; -- End function
	.set _ZL37rocblas_syrkx_herkx_restricted_kernelIl19rocblas_complex_numIfELi16ELi32ELi8ELb1ELb1ELc78ELc76EKS1_S1_EviT_T0_PT8_S3_lS6_S3_lS4_PT9_S3_li.num_vgpr, 43
	.set _ZL37rocblas_syrkx_herkx_restricted_kernelIl19rocblas_complex_numIfELi16ELi32ELi8ELb1ELb1ELc78ELc76EKS1_S1_EviT_T0_PT8_S3_lS6_S3_lS4_PT9_S3_li.num_agpr, 0
	.set _ZL37rocblas_syrkx_herkx_restricted_kernelIl19rocblas_complex_numIfELi16ELi32ELi8ELb1ELb1ELc78ELc76EKS1_S1_EviT_T0_PT8_S3_lS6_S3_lS4_PT9_S3_li.numbered_sgpr, 28
	.set _ZL37rocblas_syrkx_herkx_restricted_kernelIl19rocblas_complex_numIfELi16ELi32ELi8ELb1ELb1ELc78ELc76EKS1_S1_EviT_T0_PT8_S3_lS6_S3_lS4_PT9_S3_li.num_named_barrier, 0
	.set _ZL37rocblas_syrkx_herkx_restricted_kernelIl19rocblas_complex_numIfELi16ELi32ELi8ELb1ELb1ELc78ELc76EKS1_S1_EviT_T0_PT8_S3_lS6_S3_lS4_PT9_S3_li.private_seg_size, 0
	.set _ZL37rocblas_syrkx_herkx_restricted_kernelIl19rocblas_complex_numIfELi16ELi32ELi8ELb1ELb1ELc78ELc76EKS1_S1_EviT_T0_PT8_S3_lS6_S3_lS4_PT9_S3_li.uses_vcc, 1
	.set _ZL37rocblas_syrkx_herkx_restricted_kernelIl19rocblas_complex_numIfELi16ELi32ELi8ELb1ELb1ELc78ELc76EKS1_S1_EviT_T0_PT8_S3_lS6_S3_lS4_PT9_S3_li.uses_flat_scratch, 0
	.set _ZL37rocblas_syrkx_herkx_restricted_kernelIl19rocblas_complex_numIfELi16ELi32ELi8ELb1ELb1ELc78ELc76EKS1_S1_EviT_T0_PT8_S3_lS6_S3_lS4_PT9_S3_li.has_dyn_sized_stack, 0
	.set _ZL37rocblas_syrkx_herkx_restricted_kernelIl19rocblas_complex_numIfELi16ELi32ELi8ELb1ELb1ELc78ELc76EKS1_S1_EviT_T0_PT8_S3_lS6_S3_lS4_PT9_S3_li.has_recursion, 0
	.set _ZL37rocblas_syrkx_herkx_restricted_kernelIl19rocblas_complex_numIfELi16ELi32ELi8ELb1ELb1ELc78ELc76EKS1_S1_EviT_T0_PT8_S3_lS6_S3_lS4_PT9_S3_li.has_indirect_call, 0
	.section	.AMDGPU.csdata,"",@progbits
; Kernel info:
; codeLenInByte = 2140
; TotalNumSgprs: 32
; NumVgprs: 43
; ScratchSize: 0
; MemoryBound: 0
; FloatMode: 240
; IeeeMode: 1
; LDSByteSize: 4096 bytes/workgroup (compile time only)
; SGPRBlocks: 3
; VGPRBlocks: 10
; NumSGPRsForWavesPerEU: 32
; NumVGPRsForWavesPerEU: 43
; Occupancy: 5
; WaveLimiterHint : 1
; COMPUTE_PGM_RSRC2:SCRATCH_EN: 0
; COMPUTE_PGM_RSRC2:USER_SGPR: 6
; COMPUTE_PGM_RSRC2:TRAP_HANDLER: 0
; COMPUTE_PGM_RSRC2:TGID_X_EN: 1
; COMPUTE_PGM_RSRC2:TGID_Y_EN: 1
; COMPUTE_PGM_RSRC2:TGID_Z_EN: 1
; COMPUTE_PGM_RSRC2:TIDIG_COMP_CNT: 1
	.section	.text._ZL37rocblas_syrkx_herkx_restricted_kernelIl19rocblas_complex_numIfELi16ELi32ELi8ELb1ELb1ELc84ELc85EKS1_S1_EviT_T0_PT8_S3_lS6_S3_lS4_PT9_S3_li,"axG",@progbits,_ZL37rocblas_syrkx_herkx_restricted_kernelIl19rocblas_complex_numIfELi16ELi32ELi8ELb1ELb1ELc84ELc85EKS1_S1_EviT_T0_PT8_S3_lS6_S3_lS4_PT9_S3_li,comdat
	.globl	_ZL37rocblas_syrkx_herkx_restricted_kernelIl19rocblas_complex_numIfELi16ELi32ELi8ELb1ELb1ELc84ELc85EKS1_S1_EviT_T0_PT8_S3_lS6_S3_lS4_PT9_S3_li ; -- Begin function _ZL37rocblas_syrkx_herkx_restricted_kernelIl19rocblas_complex_numIfELi16ELi32ELi8ELb1ELb1ELc84ELc85EKS1_S1_EviT_T0_PT8_S3_lS6_S3_lS4_PT9_S3_li
	.p2align	8
	.type	_ZL37rocblas_syrkx_herkx_restricted_kernelIl19rocblas_complex_numIfELi16ELi32ELi8ELb1ELb1ELc84ELc85EKS1_S1_EviT_T0_PT8_S3_lS6_S3_lS4_PT9_S3_li,@function
_ZL37rocblas_syrkx_herkx_restricted_kernelIl19rocblas_complex_numIfELi16ELi32ELi8ELb1ELb1ELc84ELc85EKS1_S1_EviT_T0_PT8_S3_lS6_S3_lS4_PT9_S3_li: ; @_ZL37rocblas_syrkx_herkx_restricted_kernelIl19rocblas_complex_numIfELi16ELi32ELi8ELb1ELb1ELc84ELc85EKS1_S1_EviT_T0_PT8_S3_lS6_S3_lS4_PT9_S3_li
; %bb.0:
	s_load_dwordx16 s[12:27], s[4:5], 0x8
	s_lshl_b32 s6, s6, 5
	s_lshl_b32 s7, s7, 5
	s_waitcnt lgkmcnt(0)
	v_cmp_lt_i64_e64 s[0:1], s[12:13], 1
	s_and_b64 vcc, exec, s[0:1]
	s_cbranch_vccnz .LBB1261_3
; %bb.1:
	v_lshl_add_u32 v5, v1, 4, v0
	v_lshrrev_b32_e32 v6, 3, v5
	v_add_u32_e32 v2, s7, v6
	v_and_b32_e32 v9, 7, v0
	v_ashrrev_i32_e32 v3, 31, v2
	v_mov_b32_e32 v10, 0
	v_mul_lo_u32 v7, s24, v3
	v_mul_lo_u32 v8, s25, v2
	v_mad_u64_u32 v[2:3], s[0:1], s24, v2, v[9:10]
	v_and_b32_e32 v15, 31, v5
	v_lshrrev_b32_e32 v4, 5, v5
	v_add3_u32 v3, v8, v3, v7
	v_lshlrev_b32_e32 v7, 3, v15
	v_lshl_or_b32 v11, v4, 8, v7
	v_lshlrev_b32_e32 v7, 3, v9
	v_lshl_or_b32 v6, v6, 6, v7
	v_add_u32_e32 v12, 0x800, v6
	v_mov_b32_e32 v6, 0x800
	v_lshl_add_u32 v14, v1, 6, v6
	v_add_u32_e32 v6, s6, v15
	v_mov_b32_e32 v5, v10
	v_ashrrev_i32_e32 v7, 31, v6
	v_mul_lo_u32 v7, s18, v7
	v_mad_u64_u32 v[4:5], s[0:1], s18, v6, v[4:5]
	v_mul_lo_u32 v6, s19, v6
	s_mul_i32 s2, s21, s8
	s_mul_hi_u32 s3, s20, s8
	s_add_i32 s1, s3, s2
	s_mul_i32 s0, s20, s8
	s_lshl_b64 s[0:1], s[0:1], 3
	v_add3_u32 v5, v6, v5, v7
	v_lshlrev_b64 v[4:5], 3, v[4:5]
	s_add_u32 s0, s16, s0
	s_addc_u32 s1, s17, s1
	v_mov_b32_e32 v6, s1
	v_add_co_u32_e32 v4, vcc, s0, v4
	s_mul_i32 s0, s27, s8
	s_mul_hi_u32 s1, s26, s8
	s_add_i32 s1, s1, s0
	s_mul_i32 s0, s26, s8
	v_addc_co_u32_e32 v5, vcc, v6, v5, vcc
	s_lshl_b64 s[0:1], s[0:1], 3
	v_add_co_u32_e32 v6, vcc, 4, v4
	v_lshlrev_b64 v[2:3], 3, v[2:3]
	s_add_u32 s0, s22, s0
	v_addc_co_u32_e32 v7, vcc, 0, v5, vcc
	s_addc_u32 s1, s23, s1
	v_mov_b32_e32 v4, s1
	v_add_co_u32_e32 v2, vcc, s0, v2
	v_addc_co_u32_e32 v3, vcc, v4, v3, vcc
	v_add_co_u32_e32 v8, vcc, 4, v2
	v_lshlrev_b32_e32 v13, 3, v0
	v_addc_co_u32_e32 v9, vcc, 0, v3, vcc
	s_mov_b64 s[0:1], 0
	v_mov_b32_e32 v15, v10
	v_mov_b32_e32 v17, v10
	;; [unrolled: 1-line block ×7, first 2 shown]
.LBB1261_2:                             ; =>This Inner Loop Header: Depth=1
	global_load_dwordx2 v[2:3], v[6:7], off offset:-4
	s_add_u32 s0, s0, 8
	v_add_co_u32_e32 v6, vcc, 64, v6
	s_addc_u32 s1, s1, 0
	v_addc_co_u32_e32 v7, vcc, 0, v7, vcc
	s_waitcnt vmcnt(0)
	ds_write_b64 v11, v[2:3]
	global_load_dwordx2 v[2:3], v[8:9], off offset:-4
	v_add_co_u32_e32 v8, vcc, 64, v8
	v_addc_co_u32_e32 v9, vcc, 0, v9, vcc
	s_waitcnt vmcnt(0)
	ds_write_b64 v12, v[2:3]
	s_waitcnt lgkmcnt(0)
	s_barrier
	ds_read_b128 v[22:25], v14
	ds_read_b128 v[26:29], v14 offset:16
	ds_read_b128 v[30:33], v14 offset:32
	;; [unrolled: 1-line block ×3, first 2 shown]
	ds_read2_b64 v[34:37], v13 offset1:16
	s_waitcnt lgkmcnt(0)
	v_mul_f32_e32 v38, v23, v35
	v_mul_f32_e32 v39, v22, v35
	v_fma_f32 v38, v22, v34, -v38
	v_fmac_f32_e32 v39, v23, v34
	v_add_f32_e32 v38, v20, v38
	v_add_f32_e32 v39, v21, v39
	v_mul_f32_e32 v20, v23, v37
	v_mul_f32_e32 v21, v22, v37
	v_fma_f32 v20, v22, v36, -v20
	v_fmac_f32_e32 v21, v23, v36
	v_add_f32_e32 v22, v18, v20
	v_add_f32_e32 v23, v19, v21
	ds_read_b128 v[18:21], v14 offset:1024
	s_waitcnt lgkmcnt(0)
	v_mul_f32_e32 v40, v19, v35
	v_mul_f32_e32 v35, v18, v35
	v_fma_f32 v40, v18, v34, -v40
	v_fmac_f32_e32 v35, v19, v34
	v_add_f32_e32 v34, v16, v40
	v_add_f32_e32 v35, v17, v35
	v_mul_f32_e32 v16, v19, v37
	v_mul_f32_e32 v17, v18, v37
	v_fma_f32 v16, v18, v36, -v16
	v_fmac_f32_e32 v17, v19, v36
	v_add_f32_e32 v19, v15, v16
	v_add_f32_e32 v10, v10, v17
	ds_read2_b64 v[15:18], v13 offset0:32 offset1:48
	s_waitcnt lgkmcnt(0)
	v_mul_f32_e32 v36, v25, v16
	v_fma_f32 v36, v24, v15, -v36
	v_add_f32_e32 v36, v38, v36
	v_mul_f32_e32 v38, v25, v18
	v_mul_f32_e32 v37, v24, v16
	v_fma_f32 v38, v24, v17, -v38
	v_mul_f32_e32 v24, v24, v18
	v_fmac_f32_e32 v24, v25, v17
	v_add_f32_e32 v23, v23, v24
	v_mul_f32_e32 v24, v21, v16
	v_mul_f32_e32 v16, v20, v16
	v_fmac_f32_e32 v16, v21, v15
	v_fmac_f32_e32 v37, v25, v15
	v_fma_f32 v24, v20, v15, -v24
	v_add_f32_e32 v25, v35, v16
	v_mul_f32_e32 v15, v21, v18
	v_mul_f32_e32 v16, v20, v18
	v_fma_f32 v15, v20, v17, -v15
	v_fmac_f32_e32 v16, v21, v17
	v_add_f32_e32 v24, v34, v24
	v_add_f32_e32 v34, v19, v15
	;; [unrolled: 1-line block ×3, first 2 shown]
	ds_read2_b64 v[15:18], v13 offset0:64 offset1:80
	v_add_f32_e32 v37, v39, v37
	v_add_f32_e32 v22, v22, v38
	s_waitcnt lgkmcnt(0)
	v_mul_f32_e32 v19, v27, v16
	v_mul_f32_e32 v20, v26, v16
	v_fma_f32 v19, v26, v15, -v19
	v_fmac_f32_e32 v20, v27, v15
	v_add_f32_e32 v35, v36, v19
	v_add_f32_e32 v36, v37, v20
	v_mul_f32_e32 v19, v27, v18
	v_mul_f32_e32 v20, v26, v18
	v_fma_f32 v19, v26, v17, -v19
	v_fmac_f32_e32 v20, v27, v17
	v_add_f32_e32 v26, v22, v19
	v_add_f32_e32 v23, v23, v20
	ds_read_b128 v[19:22], v14 offset:1040
	s_waitcnt lgkmcnt(0)
	v_mul_f32_e32 v27, v20, v16
	v_mul_f32_e32 v16, v19, v16
	v_fmac_f32_e32 v16, v20, v15
	v_fma_f32 v27, v19, v15, -v27
	v_add_f32_e32 v25, v25, v16
	v_mul_f32_e32 v15, v20, v18
	v_mul_f32_e32 v16, v19, v18
	v_fma_f32 v15, v19, v17, -v15
	v_fmac_f32_e32 v16, v20, v17
	v_add_f32_e32 v19, v34, v15
	v_add_f32_e32 v10, v10, v16
	ds_read2_b64 v[15:18], v13 offset0:96 offset1:112
	v_add_f32_e32 v24, v24, v27
	s_waitcnt lgkmcnt(0)
	v_mul_f32_e32 v20, v29, v16
	v_mul_f32_e32 v34, v29, v18
	v_fma_f32 v20, v28, v15, -v20
	v_mul_f32_e32 v27, v28, v16
	v_fma_f32 v34, v28, v17, -v34
	v_mul_f32_e32 v28, v28, v18
	v_fmac_f32_e32 v28, v29, v17
	v_add_f32_e32 v23, v23, v28
	v_mul_f32_e32 v28, v22, v16
	v_mul_f32_e32 v16, v21, v16
	v_fmac_f32_e32 v16, v22, v15
	v_fmac_f32_e32 v27, v29, v15
	v_fma_f32 v28, v21, v15, -v28
	v_add_f32_e32 v25, v25, v16
	v_mul_f32_e32 v15, v22, v18
	v_mul_f32_e32 v16, v21, v18
	v_fma_f32 v15, v21, v17, -v15
	v_fmac_f32_e32 v16, v22, v17
	v_add_f32_e32 v24, v24, v28
	v_add_f32_e32 v28, v19, v15
	;; [unrolled: 1-line block ×3, first 2 shown]
	ds_read2_b64 v[15:18], v13 offset0:128 offset1:144
	v_add_f32_e32 v20, v35, v20
	v_add_f32_e32 v27, v36, v27
	;; [unrolled: 1-line block ×3, first 2 shown]
	s_waitcnt lgkmcnt(0)
	v_mul_f32_e32 v19, v31, v16
	v_fma_f32 v19, v30, v15, -v19
	v_mul_f32_e32 v21, v30, v16
	v_add_f32_e32 v29, v20, v19
	v_mul_f32_e32 v19, v31, v18
	v_mul_f32_e32 v20, v30, v18
	v_fmac_f32_e32 v21, v31, v15
	v_fma_f32 v19, v30, v17, -v19
	v_fmac_f32_e32 v20, v31, v17
	v_add_f32_e32 v27, v27, v21
	v_add_f32_e32 v26, v26, v19
	;; [unrolled: 1-line block ×3, first 2 shown]
	ds_read_b128 v[19:22], v14 offset:1056
	s_waitcnt lgkmcnt(0)
	v_mul_f32_e32 v30, v20, v16
	v_mul_f32_e32 v16, v19, v16
	v_fmac_f32_e32 v16, v20, v15
	v_fma_f32 v30, v19, v15, -v30
	v_add_f32_e32 v25, v25, v16
	v_mul_f32_e32 v15, v20, v18
	v_mul_f32_e32 v16, v19, v18
	v_fma_f32 v15, v19, v17, -v15
	v_fmac_f32_e32 v16, v20, v17
	v_add_f32_e32 v19, v28, v15
	v_add_f32_e32 v10, v10, v16
	ds_read2_b64 v[15:18], v13 offset0:160 offset1:176
	v_add_f32_e32 v24, v24, v30
	s_waitcnt lgkmcnt(0)
	v_mul_f32_e32 v28, v32, v16
	v_fmac_f32_e32 v28, v33, v15
	v_add_f32_e32 v27, v27, v28
	v_mul_f32_e32 v28, v33, v18
	v_fma_f32 v28, v32, v17, -v28
	v_mul_f32_e32 v20, v33, v16
	v_add_f32_e32 v26, v26, v28
	v_mul_f32_e32 v28, v22, v16
	v_mul_f32_e32 v16, v21, v16
	v_fmac_f32_e32 v16, v22, v15
	v_fma_f32 v20, v32, v15, -v20
	v_fma_f32 v28, v21, v15, -v28
	v_add_f32_e32 v25, v25, v16
	v_mul_f32_e32 v15, v22, v18
	v_mul_f32_e32 v16, v21, v18
	v_add_f32_e32 v20, v29, v20
	v_mul_f32_e32 v29, v32, v18
	v_fma_f32 v15, v21, v17, -v15
	v_fmac_f32_e32 v16, v22, v17
	v_fmac_f32_e32 v29, v33, v17
	v_add_f32_e32 v19, v19, v15
	v_add_f32_e32 v10, v10, v16
	ds_read2_b64 v[15:18], v13 offset0:192 offset1:208
	v_add_f32_e32 v24, v24, v28
	v_add_f32_e32 v23, v23, v29
	s_waitcnt lgkmcnt(0)
	v_mul_f32_e32 v21, v3, v16
	v_fma_f32 v21, v2, v15, -v21
	v_add_f32_e32 v28, v20, v21
	v_mul_f32_e32 v20, v3, v18
	v_mul_f32_e32 v22, v2, v16
	v_fma_f32 v20, v2, v17, -v20
	v_mul_f32_e32 v2, v2, v18
	v_fmac_f32_e32 v22, v3, v15
	v_fmac_f32_e32 v2, v3, v17
	v_add_f32_e32 v29, v27, v22
	v_add_f32_e32 v3, v26, v20
	;; [unrolled: 1-line block ×3, first 2 shown]
	ds_read_b128 v[20:23], v14 offset:1072
	s_waitcnt lgkmcnt(0)
	v_mul_f32_e32 v26, v21, v16
	v_mul_f32_e32 v16, v20, v16
	v_fma_f32 v26, v20, v15, -v26
	v_fmac_f32_e32 v16, v21, v15
	v_add_f32_e32 v15, v24, v26
	v_add_f32_e32 v30, v25, v16
	ds_read2_b64 v[24:27], v13 offset0:224 offset1:240
	v_mul_f32_e32 v16, v21, v18
	v_fma_f32 v16, v20, v17, -v16
	v_add_f32_e32 v31, v19, v16
	v_mul_f32_e32 v18, v20, v18
	s_waitcnt lgkmcnt(0)
	v_mul_f32_e32 v16, v5, v25
	v_fma_f32 v16, v4, v24, -v16
	v_add_f32_e32 v20, v28, v16
	v_mul_f32_e32 v16, v5, v27
	v_fmac_f32_e32 v18, v21, v17
	v_mul_f32_e32 v17, v4, v25
	v_fma_f32 v16, v4, v26, -v16
	v_mul_f32_e32 v4, v4, v27
	v_fmac_f32_e32 v4, v5, v26
	v_add_f32_e32 v10, v10, v18
	v_add_f32_e32 v18, v3, v16
	;; [unrolled: 1-line block ×3, first 2 shown]
	v_mul_f32_e32 v2, v23, v25
	v_mul_f32_e32 v3, v22, v25
	v_fmac_f32_e32 v17, v5, v24
	v_fma_f32 v2, v22, v24, -v2
	v_fmac_f32_e32 v3, v23, v24
	v_add_f32_e32 v21, v29, v17
	v_add_f32_e32 v16, v15, v2
	;; [unrolled: 1-line block ×3, first 2 shown]
	v_mul_f32_e32 v2, v23, v27
	v_mul_f32_e32 v3, v22, v27
	v_fma_f32 v2, v22, v26, -v2
	v_fmac_f32_e32 v3, v23, v26
	v_add_f32_e32 v15, v31, v2
	v_add_f32_e32 v10, v10, v3
	v_mov_b32_e32 v3, s1
	v_mov_b32_e32 v2, s0
	v_cmp_le_u64_e32 vcc, s[12:13], v[2:3]
	s_barrier
	s_cbranch_vccz .LBB1261_2
	s_branch .LBB1261_4
.LBB1261_3:
	v_mov_b32_e32 v20, 0
	v_mov_b32_e32 v21, 0
	;; [unrolled: 1-line block ×8, first 2 shown]
.LBB1261_4:
	s_load_dwordx2 s[10:11], s[4:5], 0x60
	s_load_dword s9, s[4:5], 0x0
	s_load_dwordx4 s[0:3], s[4:5], 0x50
	v_add_u32_e32 v5, s7, v1
	v_ashrrev_i32_e32 v1, 31, v5
	s_waitcnt lgkmcnt(0)
	s_mul_i32 s5, s11, s8
	s_mul_hi_u32 s11, s10, s8
	s_mul_i32 s4, s10, s8
	s_add_i32 s5, s11, s5
	v_mul_lo_u32 v3, s2, v1
	v_mul_lo_u32 v4, s3, v5
	v_mad_u64_u32 v[1:2], s[10:11], s2, v5, 0
	s_lshl_b64 s[4:5], s[4:5], 3
	s_add_u32 s8, s0, s4
	v_add3_u32 v2, v2, v3, v4
	v_lshlrev_b64 v[1:2], 3, v[1:2]
	s_addc_u32 s7, s1, s5
	v_mov_b32_e32 v3, s7
	v_add_co_u32_e64 v4, s[0:1], s8, v1
	v_add_u32_e32 v0, s6, v0
	v_addc_co_u32_e64 v6, s[0:1], v3, v2, s[0:1]
	v_cmp_gt_i32_e32 vcc, s9, v5
	v_cmp_le_i32_e64 s[0:1], v0, v5
	s_and_b64 s[0:1], vcc, s[0:1]
	s_and_saveexec_b64 s[4:5], s[0:1]
	s_cbranch_execz .LBB1261_7
; %bb.5:
	v_mul_f32_e32 v1, s15, v21
	v_fma_f32 v7, v20, s14, -v1
	v_ashrrev_i32_e32 v1, 31, v0
	v_lshlrev_b64 v[1:2], 3, v[0:1]
	v_mul_f32_e32 v8, s14, v21
	v_add_co_u32_e64 v1, s[0:1], v4, v1
	v_addc_co_u32_e64 v2, s[0:1], v6, v2, s[0:1]
	v_fmac_f32_e32 v8, s15, v20
	v_cmp_eq_u32_e64 s[0:1], v5, v0
	global_store_dwordx2 v[1:2], v[7:8], off
	s_and_b64 exec, exec, s[0:1]
	s_cbranch_execz .LBB1261_7
; %bb.6:
	v_mov_b32_e32 v3, 0
	global_store_dword v[1:2], v3, off offset:4
.LBB1261_7:
	s_or_b64 exec, exec, s[4:5]
	v_add_u32_e32 v2, 16, v0
	v_cmp_le_i32_e64 s[0:1], v2, v5
	s_and_b64 s[4:5], vcc, s[0:1]
	s_and_saveexec_b64 s[0:1], s[4:5]
	s_cbranch_execz .LBB1261_10
; %bb.8:
	v_ashrrev_i32_e32 v3, 31, v2
	v_lshlrev_b64 v[11:12], 3, v[2:3]
	v_mul_f32_e32 v1, s15, v19
	v_add_co_u32_e32 v3, vcc, v4, v11
	v_mul_f32_e32 v8, s14, v19
	v_addc_co_u32_e32 v4, vcc, v6, v12, vcc
	v_fma_f32 v7, v18, s14, -v1
	v_fmac_f32_e32 v8, s15, v18
	v_cmp_eq_u32_e32 vcc, v5, v2
	global_store_dwordx2 v[3:4], v[7:8], off
	s_and_b64 exec, exec, vcc
	s_cbranch_execz .LBB1261_10
; %bb.9:
	v_mov_b32_e32 v1, 0
	global_store_dword v[3:4], v1, off offset:4
.LBB1261_10:
	s_or_b64 exec, exec, s[0:1]
	v_add_u32_e32 v8, 16, v5
	v_ashrrev_i32_e32 v1, 31, v8
	v_mul_lo_u32 v1, s2, v1
	v_mul_lo_u32 v6, s3, v8
	v_mad_u64_u32 v[3:4], s[0:1], s2, v8, 0
	v_cmp_gt_i32_e32 vcc, s9, v8
	v_add3_u32 v4, v4, v1, v6
	v_lshlrev_b64 v[3:4], 3, v[3:4]
	v_mov_b32_e32 v1, s7
	v_add_co_u32_e64 v6, s[0:1], s8, v3
	v_addc_co_u32_e64 v7, s[0:1], v1, v4, s[0:1]
	v_cmp_le_i32_e64 s[0:1], v0, v8
	s_and_b64 s[0:1], vcc, s[0:1]
	s_and_saveexec_b64 s[2:3], s[0:1]
	s_cbranch_execz .LBB1261_13
; %bb.11:
	v_mul_f32_e32 v1, s15, v17
	v_fma_f32 v11, v16, s14, -v1
	v_ashrrev_i32_e32 v1, 31, v0
	v_lshlrev_b64 v[3:4], 3, v[0:1]
	v_mul_f32_e32 v12, s14, v17
	v_add_co_u32_e64 v3, s[0:1], v6, v3
	v_addc_co_u32_e64 v4, s[0:1], v7, v4, s[0:1]
	v_fmac_f32_e32 v12, s15, v16
	v_cmp_eq_u32_e64 s[0:1], v8, v0
	global_store_dwordx2 v[3:4], v[11:12], off
	s_and_b64 exec, exec, s[0:1]
	s_cbranch_execz .LBB1261_13
; %bb.12:
	v_mov_b32_e32 v1, 0
	global_store_dword v[3:4], v1, off offset:4
.LBB1261_13:
	s_or_b64 exec, exec, s[2:3]
	v_cmp_le_i32_e64 s[0:1], v2, v8
	s_and_b64 s[0:1], vcc, s[0:1]
	s_and_saveexec_b64 s[2:3], s[0:1]
	s_cbranch_execz .LBB1261_16
; %bb.14:
	v_mul_f32_e32 v1, s15, v10
	v_ashrrev_i32_e32 v3, 31, v2
	v_fma_f32 v8, v15, s14, -v1
	v_lshlrev_b64 v[1:2], 3, v[2:3]
	v_mul_f32_e32 v9, s14, v10
	v_add_co_u32_e32 v1, vcc, v6, v1
	v_addc_co_u32_e32 v2, vcc, v7, v2, vcc
	v_fmac_f32_e32 v9, s15, v15
	v_cmp_eq_u32_e32 vcc, v5, v0
	global_store_dwordx2 v[1:2], v[8:9], off
	s_and_b64 exec, exec, vcc
	s_cbranch_execz .LBB1261_16
; %bb.15:
	v_mov_b32_e32 v0, 0
	global_store_dword v[1:2], v0, off offset:4
.LBB1261_16:
	s_endpgm
	.section	.rodata,"a",@progbits
	.p2align	6, 0x0
	.amdhsa_kernel _ZL37rocblas_syrkx_herkx_restricted_kernelIl19rocblas_complex_numIfELi16ELi32ELi8ELb1ELb1ELc84ELc85EKS1_S1_EviT_T0_PT8_S3_lS6_S3_lS4_PT9_S3_li
		.amdhsa_group_segment_fixed_size 4096
		.amdhsa_private_segment_fixed_size 0
		.amdhsa_kernarg_size 108
		.amdhsa_user_sgpr_count 6
		.amdhsa_user_sgpr_private_segment_buffer 1
		.amdhsa_user_sgpr_dispatch_ptr 0
		.amdhsa_user_sgpr_queue_ptr 0
		.amdhsa_user_sgpr_kernarg_segment_ptr 1
		.amdhsa_user_sgpr_dispatch_id 0
		.amdhsa_user_sgpr_flat_scratch_init 0
		.amdhsa_user_sgpr_private_segment_size 0
		.amdhsa_uses_dynamic_stack 0
		.amdhsa_system_sgpr_private_segment_wavefront_offset 0
		.amdhsa_system_sgpr_workgroup_id_x 1
		.amdhsa_system_sgpr_workgroup_id_y 1
		.amdhsa_system_sgpr_workgroup_id_z 1
		.amdhsa_system_sgpr_workgroup_info 0
		.amdhsa_system_vgpr_workitem_id 1
		.amdhsa_next_free_vgpr 41
		.amdhsa_next_free_sgpr 28
		.amdhsa_reserve_vcc 1
		.amdhsa_reserve_flat_scratch 0
		.amdhsa_float_round_mode_32 0
		.amdhsa_float_round_mode_16_64 0
		.amdhsa_float_denorm_mode_32 3
		.amdhsa_float_denorm_mode_16_64 3
		.amdhsa_dx10_clamp 1
		.amdhsa_ieee_mode 1
		.amdhsa_fp16_overflow 0
		.amdhsa_exception_fp_ieee_invalid_op 0
		.amdhsa_exception_fp_denorm_src 0
		.amdhsa_exception_fp_ieee_div_zero 0
		.amdhsa_exception_fp_ieee_overflow 0
		.amdhsa_exception_fp_ieee_underflow 0
		.amdhsa_exception_fp_ieee_inexact 0
		.amdhsa_exception_int_div_zero 0
	.end_amdhsa_kernel
	.section	.text._ZL37rocblas_syrkx_herkx_restricted_kernelIl19rocblas_complex_numIfELi16ELi32ELi8ELb1ELb1ELc84ELc85EKS1_S1_EviT_T0_PT8_S3_lS6_S3_lS4_PT9_S3_li,"axG",@progbits,_ZL37rocblas_syrkx_herkx_restricted_kernelIl19rocblas_complex_numIfELi16ELi32ELi8ELb1ELb1ELc84ELc85EKS1_S1_EviT_T0_PT8_S3_lS6_S3_lS4_PT9_S3_li,comdat
.Lfunc_end1261:
	.size	_ZL37rocblas_syrkx_herkx_restricted_kernelIl19rocblas_complex_numIfELi16ELi32ELi8ELb1ELb1ELc84ELc85EKS1_S1_EviT_T0_PT8_S3_lS6_S3_lS4_PT9_S3_li, .Lfunc_end1261-_ZL37rocblas_syrkx_herkx_restricted_kernelIl19rocblas_complex_numIfELi16ELi32ELi8ELb1ELb1ELc84ELc85EKS1_S1_EviT_T0_PT8_S3_lS6_S3_lS4_PT9_S3_li
                                        ; -- End function
	.set _ZL37rocblas_syrkx_herkx_restricted_kernelIl19rocblas_complex_numIfELi16ELi32ELi8ELb1ELb1ELc84ELc85EKS1_S1_EviT_T0_PT8_S3_lS6_S3_lS4_PT9_S3_li.num_vgpr, 41
	.set _ZL37rocblas_syrkx_herkx_restricted_kernelIl19rocblas_complex_numIfELi16ELi32ELi8ELb1ELb1ELc84ELc85EKS1_S1_EviT_T0_PT8_S3_lS6_S3_lS4_PT9_S3_li.num_agpr, 0
	.set _ZL37rocblas_syrkx_herkx_restricted_kernelIl19rocblas_complex_numIfELi16ELi32ELi8ELb1ELb1ELc84ELc85EKS1_S1_EviT_T0_PT8_S3_lS6_S3_lS4_PT9_S3_li.numbered_sgpr, 28
	.set _ZL37rocblas_syrkx_herkx_restricted_kernelIl19rocblas_complex_numIfELi16ELi32ELi8ELb1ELb1ELc84ELc85EKS1_S1_EviT_T0_PT8_S3_lS6_S3_lS4_PT9_S3_li.num_named_barrier, 0
	.set _ZL37rocblas_syrkx_herkx_restricted_kernelIl19rocblas_complex_numIfELi16ELi32ELi8ELb1ELb1ELc84ELc85EKS1_S1_EviT_T0_PT8_S3_lS6_S3_lS4_PT9_S3_li.private_seg_size, 0
	.set _ZL37rocblas_syrkx_herkx_restricted_kernelIl19rocblas_complex_numIfELi16ELi32ELi8ELb1ELb1ELc84ELc85EKS1_S1_EviT_T0_PT8_S3_lS6_S3_lS4_PT9_S3_li.uses_vcc, 1
	.set _ZL37rocblas_syrkx_herkx_restricted_kernelIl19rocblas_complex_numIfELi16ELi32ELi8ELb1ELb1ELc84ELc85EKS1_S1_EviT_T0_PT8_S3_lS6_S3_lS4_PT9_S3_li.uses_flat_scratch, 0
	.set _ZL37rocblas_syrkx_herkx_restricted_kernelIl19rocblas_complex_numIfELi16ELi32ELi8ELb1ELb1ELc84ELc85EKS1_S1_EviT_T0_PT8_S3_lS6_S3_lS4_PT9_S3_li.has_dyn_sized_stack, 0
	.set _ZL37rocblas_syrkx_herkx_restricted_kernelIl19rocblas_complex_numIfELi16ELi32ELi8ELb1ELb1ELc84ELc85EKS1_S1_EviT_T0_PT8_S3_lS6_S3_lS4_PT9_S3_li.has_recursion, 0
	.set _ZL37rocblas_syrkx_herkx_restricted_kernelIl19rocblas_complex_numIfELi16ELi32ELi8ELb1ELb1ELc84ELc85EKS1_S1_EviT_T0_PT8_S3_lS6_S3_lS4_PT9_S3_li.has_indirect_call, 0
	.section	.AMDGPU.csdata,"",@progbits
; Kernel info:
; codeLenInByte = 2160
; TotalNumSgprs: 32
; NumVgprs: 41
; ScratchSize: 0
; MemoryBound: 0
; FloatMode: 240
; IeeeMode: 1
; LDSByteSize: 4096 bytes/workgroup (compile time only)
; SGPRBlocks: 3
; VGPRBlocks: 10
; NumSGPRsForWavesPerEU: 32
; NumVGPRsForWavesPerEU: 41
; Occupancy: 5
; WaveLimiterHint : 1
; COMPUTE_PGM_RSRC2:SCRATCH_EN: 0
; COMPUTE_PGM_RSRC2:USER_SGPR: 6
; COMPUTE_PGM_RSRC2:TRAP_HANDLER: 0
; COMPUTE_PGM_RSRC2:TGID_X_EN: 1
; COMPUTE_PGM_RSRC2:TGID_Y_EN: 1
; COMPUTE_PGM_RSRC2:TGID_Z_EN: 1
; COMPUTE_PGM_RSRC2:TIDIG_COMP_CNT: 1
	.section	.text._ZL37rocblas_syrkx_herkx_restricted_kernelIl19rocblas_complex_numIfELi16ELi32ELi8ELb1ELb1ELc67ELc85EKS1_S1_EviT_T0_PT8_S3_lS6_S3_lS4_PT9_S3_li,"axG",@progbits,_ZL37rocblas_syrkx_herkx_restricted_kernelIl19rocblas_complex_numIfELi16ELi32ELi8ELb1ELb1ELc67ELc85EKS1_S1_EviT_T0_PT8_S3_lS6_S3_lS4_PT9_S3_li,comdat
	.globl	_ZL37rocblas_syrkx_herkx_restricted_kernelIl19rocblas_complex_numIfELi16ELi32ELi8ELb1ELb1ELc67ELc85EKS1_S1_EviT_T0_PT8_S3_lS6_S3_lS4_PT9_S3_li ; -- Begin function _ZL37rocblas_syrkx_herkx_restricted_kernelIl19rocblas_complex_numIfELi16ELi32ELi8ELb1ELb1ELc67ELc85EKS1_S1_EviT_T0_PT8_S3_lS6_S3_lS4_PT9_S3_li
	.p2align	8
	.type	_ZL37rocblas_syrkx_herkx_restricted_kernelIl19rocblas_complex_numIfELi16ELi32ELi8ELb1ELb1ELc67ELc85EKS1_S1_EviT_T0_PT8_S3_lS6_S3_lS4_PT9_S3_li,@function
_ZL37rocblas_syrkx_herkx_restricted_kernelIl19rocblas_complex_numIfELi16ELi32ELi8ELb1ELb1ELc67ELc85EKS1_S1_EviT_T0_PT8_S3_lS6_S3_lS4_PT9_S3_li: ; @_ZL37rocblas_syrkx_herkx_restricted_kernelIl19rocblas_complex_numIfELi16ELi32ELi8ELb1ELb1ELc67ELc85EKS1_S1_EviT_T0_PT8_S3_lS6_S3_lS4_PT9_S3_li
; %bb.0:
	s_load_dwordx16 s[12:27], s[4:5], 0x8
	s_lshl_b32 s6, s6, 5
	s_lshl_b32 s7, s7, 5
	s_waitcnt lgkmcnt(0)
	v_cmp_lt_i64_e64 s[0:1], s[12:13], 1
	s_and_b64 vcc, exec, s[0:1]
	s_cbranch_vccnz .LBB1262_3
; %bb.1:
	v_lshl_add_u32 v5, v1, 4, v0
	v_lshrrev_b32_e32 v6, 3, v5
	v_add_u32_e32 v2, s7, v6
	v_and_b32_e32 v9, 7, v0
	v_ashrrev_i32_e32 v3, 31, v2
	v_mov_b32_e32 v10, 0
	v_mul_lo_u32 v7, s24, v3
	v_mul_lo_u32 v8, s25, v2
	v_mad_u64_u32 v[2:3], s[0:1], s24, v2, v[9:10]
	v_and_b32_e32 v15, 31, v5
	v_lshrrev_b32_e32 v4, 5, v5
	v_add3_u32 v3, v8, v3, v7
	v_lshlrev_b32_e32 v7, 3, v15
	v_lshl_or_b32 v11, v4, 8, v7
	v_lshlrev_b32_e32 v7, 3, v9
	v_lshl_or_b32 v6, v6, 6, v7
	v_add_u32_e32 v12, 0x800, v6
	v_mov_b32_e32 v6, 0x800
	v_lshl_add_u32 v14, v1, 6, v6
	v_add_u32_e32 v6, s6, v15
	v_mov_b32_e32 v5, v10
	v_ashrrev_i32_e32 v7, 31, v6
	v_mul_lo_u32 v7, s18, v7
	v_mad_u64_u32 v[4:5], s[0:1], s18, v6, v[4:5]
	v_mul_lo_u32 v6, s19, v6
	s_mul_i32 s2, s21, s8
	s_mul_hi_u32 s3, s20, s8
	s_add_i32 s1, s3, s2
	s_mul_i32 s0, s20, s8
	s_lshl_b64 s[0:1], s[0:1], 3
	v_add3_u32 v5, v6, v5, v7
	v_lshlrev_b64 v[4:5], 3, v[4:5]
	s_add_u32 s0, s16, s0
	s_addc_u32 s1, s17, s1
	v_mov_b32_e32 v6, s1
	v_add_co_u32_e32 v4, vcc, s0, v4
	s_mul_i32 s0, s27, s8
	s_mul_hi_u32 s1, s26, s8
	s_add_i32 s1, s1, s0
	s_mul_i32 s0, s26, s8
	v_addc_co_u32_e32 v5, vcc, v6, v5, vcc
	s_lshl_b64 s[0:1], s[0:1], 3
	v_add_co_u32_e32 v6, vcc, 4, v4
	v_lshlrev_b64 v[2:3], 3, v[2:3]
	s_add_u32 s0, s22, s0
	v_addc_co_u32_e32 v7, vcc, 0, v5, vcc
	s_addc_u32 s1, s23, s1
	v_mov_b32_e32 v4, s1
	v_add_co_u32_e32 v2, vcc, s0, v2
	v_addc_co_u32_e32 v3, vcc, v4, v3, vcc
	v_add_co_u32_e32 v8, vcc, 4, v2
	v_lshlrev_b32_e32 v13, 3, v0
	v_addc_co_u32_e32 v9, vcc, 0, v3, vcc
	s_mov_b64 s[0:1], 0
	v_mov_b32_e32 v15, v10
	v_mov_b32_e32 v17, v10
	;; [unrolled: 1-line block ×7, first 2 shown]
.LBB1262_2:                             ; =>This Inner Loop Header: Depth=1
	global_load_dwordx2 v[2:3], v[6:7], off offset:-4
	v_add_co_u32_e32 v6, vcc, 64, v6
	s_add_u32 s0, s0, 8
	v_addc_co_u32_e32 v7, vcc, 0, v7, vcc
	s_addc_u32 s1, s1, 0
	s_waitcnt vmcnt(0)
	v_xor_b32_e32 v3, 0x80000000, v3
	ds_write_b64 v11, v[2:3]
	global_load_dwordx2 v[2:3], v[8:9], off offset:-4
	v_add_co_u32_e32 v8, vcc, 64, v8
	v_addc_co_u32_e32 v9, vcc, 0, v9, vcc
	s_waitcnt vmcnt(0)
	ds_write_b64 v12, v[2:3]
	s_waitcnt lgkmcnt(0)
	s_barrier
	ds_read_b128 v[22:25], v14
	ds_read_b128 v[26:29], v14 offset:16
	ds_read_b128 v[30:33], v14 offset:32
	;; [unrolled: 1-line block ×3, first 2 shown]
	ds_read2_b64 v[34:37], v13 offset1:16
	s_waitcnt lgkmcnt(0)
	v_mul_f32_e32 v38, v23, v35
	v_mul_f32_e32 v39, v22, v35
	v_fma_f32 v38, v22, v34, -v38
	v_fmac_f32_e32 v39, v23, v34
	v_add_f32_e32 v38, v20, v38
	v_add_f32_e32 v39, v21, v39
	v_mul_f32_e32 v20, v23, v37
	v_mul_f32_e32 v21, v22, v37
	v_fma_f32 v20, v22, v36, -v20
	v_fmac_f32_e32 v21, v23, v36
	v_add_f32_e32 v22, v18, v20
	v_add_f32_e32 v23, v19, v21
	ds_read_b128 v[18:21], v14 offset:1024
	s_waitcnt lgkmcnt(0)
	v_mul_f32_e32 v40, v19, v35
	v_mul_f32_e32 v35, v18, v35
	v_fma_f32 v40, v18, v34, -v40
	v_fmac_f32_e32 v35, v19, v34
	v_add_f32_e32 v34, v16, v40
	v_add_f32_e32 v35, v17, v35
	v_mul_f32_e32 v16, v19, v37
	v_mul_f32_e32 v17, v18, v37
	v_fma_f32 v16, v18, v36, -v16
	v_fmac_f32_e32 v17, v19, v36
	v_add_f32_e32 v19, v15, v16
	v_add_f32_e32 v10, v10, v17
	ds_read2_b64 v[15:18], v13 offset0:32 offset1:48
	s_waitcnt lgkmcnt(0)
	v_mul_f32_e32 v36, v25, v16
	v_fma_f32 v36, v24, v15, -v36
	v_add_f32_e32 v36, v38, v36
	v_mul_f32_e32 v38, v25, v18
	v_mul_f32_e32 v37, v24, v16
	v_fma_f32 v38, v24, v17, -v38
	v_mul_f32_e32 v24, v24, v18
	v_fmac_f32_e32 v24, v25, v17
	v_add_f32_e32 v23, v23, v24
	v_mul_f32_e32 v24, v21, v16
	v_mul_f32_e32 v16, v20, v16
	v_fmac_f32_e32 v16, v21, v15
	v_fmac_f32_e32 v37, v25, v15
	v_fma_f32 v24, v20, v15, -v24
	v_add_f32_e32 v25, v35, v16
	v_mul_f32_e32 v15, v21, v18
	v_mul_f32_e32 v16, v20, v18
	v_fma_f32 v15, v20, v17, -v15
	v_fmac_f32_e32 v16, v21, v17
	v_add_f32_e32 v24, v34, v24
	v_add_f32_e32 v34, v19, v15
	;; [unrolled: 1-line block ×3, first 2 shown]
	ds_read2_b64 v[15:18], v13 offset0:64 offset1:80
	v_add_f32_e32 v37, v39, v37
	v_add_f32_e32 v22, v22, v38
	s_waitcnt lgkmcnt(0)
	v_mul_f32_e32 v19, v27, v16
	v_mul_f32_e32 v20, v26, v16
	v_fma_f32 v19, v26, v15, -v19
	v_fmac_f32_e32 v20, v27, v15
	v_add_f32_e32 v35, v36, v19
	v_add_f32_e32 v36, v37, v20
	v_mul_f32_e32 v19, v27, v18
	v_mul_f32_e32 v20, v26, v18
	v_fma_f32 v19, v26, v17, -v19
	v_fmac_f32_e32 v20, v27, v17
	v_add_f32_e32 v26, v22, v19
	v_add_f32_e32 v23, v23, v20
	ds_read_b128 v[19:22], v14 offset:1040
	s_waitcnt lgkmcnt(0)
	v_mul_f32_e32 v27, v20, v16
	v_mul_f32_e32 v16, v19, v16
	v_fmac_f32_e32 v16, v20, v15
	v_fma_f32 v27, v19, v15, -v27
	v_add_f32_e32 v25, v25, v16
	v_mul_f32_e32 v15, v20, v18
	v_mul_f32_e32 v16, v19, v18
	v_fma_f32 v15, v19, v17, -v15
	v_fmac_f32_e32 v16, v20, v17
	v_add_f32_e32 v19, v34, v15
	v_add_f32_e32 v10, v10, v16
	ds_read2_b64 v[15:18], v13 offset0:96 offset1:112
	v_add_f32_e32 v24, v24, v27
	s_waitcnt lgkmcnt(0)
	v_mul_f32_e32 v20, v29, v16
	v_mul_f32_e32 v34, v29, v18
	v_fma_f32 v20, v28, v15, -v20
	v_mul_f32_e32 v27, v28, v16
	v_fma_f32 v34, v28, v17, -v34
	v_mul_f32_e32 v28, v28, v18
	v_fmac_f32_e32 v28, v29, v17
	v_add_f32_e32 v23, v23, v28
	v_mul_f32_e32 v28, v22, v16
	v_mul_f32_e32 v16, v21, v16
	v_fmac_f32_e32 v16, v22, v15
	v_fmac_f32_e32 v27, v29, v15
	v_fma_f32 v28, v21, v15, -v28
	v_add_f32_e32 v25, v25, v16
	v_mul_f32_e32 v15, v22, v18
	v_mul_f32_e32 v16, v21, v18
	v_fma_f32 v15, v21, v17, -v15
	v_fmac_f32_e32 v16, v22, v17
	v_add_f32_e32 v24, v24, v28
	v_add_f32_e32 v28, v19, v15
	;; [unrolled: 1-line block ×3, first 2 shown]
	ds_read2_b64 v[15:18], v13 offset0:128 offset1:144
	v_add_f32_e32 v20, v35, v20
	v_add_f32_e32 v27, v36, v27
	v_add_f32_e32 v26, v26, v34
	s_waitcnt lgkmcnt(0)
	v_mul_f32_e32 v19, v31, v16
	v_fma_f32 v19, v30, v15, -v19
	v_mul_f32_e32 v21, v30, v16
	v_add_f32_e32 v29, v20, v19
	v_mul_f32_e32 v19, v31, v18
	v_mul_f32_e32 v20, v30, v18
	v_fmac_f32_e32 v21, v31, v15
	v_fma_f32 v19, v30, v17, -v19
	v_fmac_f32_e32 v20, v31, v17
	v_add_f32_e32 v27, v27, v21
	v_add_f32_e32 v26, v26, v19
	;; [unrolled: 1-line block ×3, first 2 shown]
	ds_read_b128 v[19:22], v14 offset:1056
	s_waitcnt lgkmcnt(0)
	v_mul_f32_e32 v30, v20, v16
	v_mul_f32_e32 v16, v19, v16
	v_fmac_f32_e32 v16, v20, v15
	v_fma_f32 v30, v19, v15, -v30
	v_add_f32_e32 v25, v25, v16
	v_mul_f32_e32 v15, v20, v18
	v_mul_f32_e32 v16, v19, v18
	v_fma_f32 v15, v19, v17, -v15
	v_fmac_f32_e32 v16, v20, v17
	v_add_f32_e32 v19, v28, v15
	v_add_f32_e32 v10, v10, v16
	ds_read2_b64 v[15:18], v13 offset0:160 offset1:176
	v_add_f32_e32 v24, v24, v30
	s_waitcnt lgkmcnt(0)
	v_mul_f32_e32 v28, v32, v16
	v_fmac_f32_e32 v28, v33, v15
	v_add_f32_e32 v27, v27, v28
	v_mul_f32_e32 v28, v33, v18
	v_fma_f32 v28, v32, v17, -v28
	v_mul_f32_e32 v20, v33, v16
	v_add_f32_e32 v26, v26, v28
	v_mul_f32_e32 v28, v22, v16
	v_mul_f32_e32 v16, v21, v16
	v_fmac_f32_e32 v16, v22, v15
	v_fma_f32 v20, v32, v15, -v20
	v_fma_f32 v28, v21, v15, -v28
	v_add_f32_e32 v25, v25, v16
	v_mul_f32_e32 v15, v22, v18
	v_mul_f32_e32 v16, v21, v18
	v_add_f32_e32 v20, v29, v20
	v_mul_f32_e32 v29, v32, v18
	v_fma_f32 v15, v21, v17, -v15
	v_fmac_f32_e32 v16, v22, v17
	v_fmac_f32_e32 v29, v33, v17
	v_add_f32_e32 v19, v19, v15
	v_add_f32_e32 v10, v10, v16
	ds_read2_b64 v[15:18], v13 offset0:192 offset1:208
	v_add_f32_e32 v24, v24, v28
	v_add_f32_e32 v23, v23, v29
	s_waitcnt lgkmcnt(0)
	v_mul_f32_e32 v21, v3, v16
	v_fma_f32 v21, v2, v15, -v21
	v_add_f32_e32 v28, v20, v21
	v_mul_f32_e32 v20, v3, v18
	v_mul_f32_e32 v22, v2, v16
	v_fma_f32 v20, v2, v17, -v20
	v_mul_f32_e32 v2, v2, v18
	v_fmac_f32_e32 v22, v3, v15
	v_fmac_f32_e32 v2, v3, v17
	v_add_f32_e32 v29, v27, v22
	v_add_f32_e32 v3, v26, v20
	;; [unrolled: 1-line block ×3, first 2 shown]
	ds_read_b128 v[20:23], v14 offset:1072
	s_waitcnt lgkmcnt(0)
	v_mul_f32_e32 v26, v21, v16
	v_mul_f32_e32 v16, v20, v16
	v_fma_f32 v26, v20, v15, -v26
	v_fmac_f32_e32 v16, v21, v15
	v_add_f32_e32 v15, v24, v26
	v_add_f32_e32 v30, v25, v16
	ds_read2_b64 v[24:27], v13 offset0:224 offset1:240
	v_mul_f32_e32 v16, v21, v18
	v_fma_f32 v16, v20, v17, -v16
	v_add_f32_e32 v31, v19, v16
	v_mul_f32_e32 v18, v20, v18
	s_waitcnt lgkmcnt(0)
	v_mul_f32_e32 v16, v5, v25
	v_fma_f32 v16, v4, v24, -v16
	v_add_f32_e32 v20, v28, v16
	v_mul_f32_e32 v16, v5, v27
	v_fmac_f32_e32 v18, v21, v17
	v_mul_f32_e32 v17, v4, v25
	v_fma_f32 v16, v4, v26, -v16
	v_mul_f32_e32 v4, v4, v27
	v_fmac_f32_e32 v4, v5, v26
	v_add_f32_e32 v10, v10, v18
	v_add_f32_e32 v18, v3, v16
	;; [unrolled: 1-line block ×3, first 2 shown]
	v_mul_f32_e32 v2, v23, v25
	v_mul_f32_e32 v3, v22, v25
	v_fmac_f32_e32 v17, v5, v24
	v_fma_f32 v2, v22, v24, -v2
	v_fmac_f32_e32 v3, v23, v24
	v_add_f32_e32 v21, v29, v17
	v_add_f32_e32 v16, v15, v2
	;; [unrolled: 1-line block ×3, first 2 shown]
	v_mul_f32_e32 v2, v23, v27
	v_mul_f32_e32 v3, v22, v27
	v_fma_f32 v2, v22, v26, -v2
	v_fmac_f32_e32 v3, v23, v26
	v_add_f32_e32 v15, v31, v2
	v_add_f32_e32 v10, v10, v3
	v_mov_b32_e32 v3, s1
	v_mov_b32_e32 v2, s0
	v_cmp_le_u64_e32 vcc, s[12:13], v[2:3]
	s_barrier
	s_cbranch_vccz .LBB1262_2
	s_branch .LBB1262_4
.LBB1262_3:
	v_mov_b32_e32 v20, 0
	v_mov_b32_e32 v21, 0
	;; [unrolled: 1-line block ×8, first 2 shown]
.LBB1262_4:
	s_load_dwordx2 s[10:11], s[4:5], 0x60
	s_load_dword s9, s[4:5], 0x0
	s_load_dwordx4 s[0:3], s[4:5], 0x50
	v_add_u32_e32 v5, s7, v1
	v_ashrrev_i32_e32 v1, 31, v5
	s_waitcnt lgkmcnt(0)
	s_mul_i32 s5, s11, s8
	s_mul_hi_u32 s11, s10, s8
	s_mul_i32 s4, s10, s8
	s_add_i32 s5, s11, s5
	v_mul_lo_u32 v3, s2, v1
	v_mul_lo_u32 v4, s3, v5
	v_mad_u64_u32 v[1:2], s[10:11], s2, v5, 0
	s_lshl_b64 s[4:5], s[4:5], 3
	s_add_u32 s8, s0, s4
	v_add3_u32 v2, v2, v3, v4
	v_lshlrev_b64 v[1:2], 3, v[1:2]
	s_addc_u32 s7, s1, s5
	v_mov_b32_e32 v3, s7
	v_add_co_u32_e64 v4, s[0:1], s8, v1
	v_add_u32_e32 v0, s6, v0
	v_addc_co_u32_e64 v6, s[0:1], v3, v2, s[0:1]
	v_cmp_gt_i32_e32 vcc, s9, v5
	v_cmp_le_i32_e64 s[0:1], v0, v5
	s_and_b64 s[0:1], vcc, s[0:1]
	s_and_saveexec_b64 s[4:5], s[0:1]
	s_cbranch_execz .LBB1262_7
; %bb.5:
	v_mul_f32_e32 v1, s15, v21
	v_fma_f32 v7, v20, s14, -v1
	v_ashrrev_i32_e32 v1, 31, v0
	v_lshlrev_b64 v[1:2], 3, v[0:1]
	v_mul_f32_e32 v8, s14, v21
	v_add_co_u32_e64 v1, s[0:1], v4, v1
	v_addc_co_u32_e64 v2, s[0:1], v6, v2, s[0:1]
	v_fmac_f32_e32 v8, s15, v20
	v_cmp_eq_u32_e64 s[0:1], v5, v0
	global_store_dwordx2 v[1:2], v[7:8], off
	s_and_b64 exec, exec, s[0:1]
	s_cbranch_execz .LBB1262_7
; %bb.6:
	v_mov_b32_e32 v3, 0
	global_store_dword v[1:2], v3, off offset:4
.LBB1262_7:
	s_or_b64 exec, exec, s[4:5]
	v_add_u32_e32 v2, 16, v0
	v_cmp_le_i32_e64 s[0:1], v2, v5
	s_and_b64 s[4:5], vcc, s[0:1]
	s_and_saveexec_b64 s[0:1], s[4:5]
	s_cbranch_execz .LBB1262_10
; %bb.8:
	v_ashrrev_i32_e32 v3, 31, v2
	v_lshlrev_b64 v[11:12], 3, v[2:3]
	v_mul_f32_e32 v1, s15, v19
	v_add_co_u32_e32 v3, vcc, v4, v11
	v_mul_f32_e32 v8, s14, v19
	v_addc_co_u32_e32 v4, vcc, v6, v12, vcc
	v_fma_f32 v7, v18, s14, -v1
	v_fmac_f32_e32 v8, s15, v18
	v_cmp_eq_u32_e32 vcc, v5, v2
	global_store_dwordx2 v[3:4], v[7:8], off
	s_and_b64 exec, exec, vcc
	s_cbranch_execz .LBB1262_10
; %bb.9:
	v_mov_b32_e32 v1, 0
	global_store_dword v[3:4], v1, off offset:4
.LBB1262_10:
	s_or_b64 exec, exec, s[0:1]
	v_add_u32_e32 v8, 16, v5
	v_ashrrev_i32_e32 v1, 31, v8
	v_mul_lo_u32 v1, s2, v1
	v_mul_lo_u32 v6, s3, v8
	v_mad_u64_u32 v[3:4], s[0:1], s2, v8, 0
	v_cmp_gt_i32_e32 vcc, s9, v8
	v_add3_u32 v4, v4, v1, v6
	v_lshlrev_b64 v[3:4], 3, v[3:4]
	v_mov_b32_e32 v1, s7
	v_add_co_u32_e64 v6, s[0:1], s8, v3
	v_addc_co_u32_e64 v7, s[0:1], v1, v4, s[0:1]
	v_cmp_le_i32_e64 s[0:1], v0, v8
	s_and_b64 s[0:1], vcc, s[0:1]
	s_and_saveexec_b64 s[2:3], s[0:1]
	s_cbranch_execz .LBB1262_13
; %bb.11:
	v_mul_f32_e32 v1, s15, v17
	v_fma_f32 v11, v16, s14, -v1
	v_ashrrev_i32_e32 v1, 31, v0
	v_lshlrev_b64 v[3:4], 3, v[0:1]
	v_mul_f32_e32 v12, s14, v17
	v_add_co_u32_e64 v3, s[0:1], v6, v3
	v_addc_co_u32_e64 v4, s[0:1], v7, v4, s[0:1]
	v_fmac_f32_e32 v12, s15, v16
	v_cmp_eq_u32_e64 s[0:1], v8, v0
	global_store_dwordx2 v[3:4], v[11:12], off
	s_and_b64 exec, exec, s[0:1]
	s_cbranch_execz .LBB1262_13
; %bb.12:
	v_mov_b32_e32 v1, 0
	global_store_dword v[3:4], v1, off offset:4
.LBB1262_13:
	s_or_b64 exec, exec, s[2:3]
	v_cmp_le_i32_e64 s[0:1], v2, v8
	s_and_b64 s[0:1], vcc, s[0:1]
	s_and_saveexec_b64 s[2:3], s[0:1]
	s_cbranch_execz .LBB1262_16
; %bb.14:
	v_mul_f32_e32 v1, s15, v10
	v_ashrrev_i32_e32 v3, 31, v2
	v_fma_f32 v8, v15, s14, -v1
	v_lshlrev_b64 v[1:2], 3, v[2:3]
	v_mul_f32_e32 v9, s14, v10
	v_add_co_u32_e32 v1, vcc, v6, v1
	v_addc_co_u32_e32 v2, vcc, v7, v2, vcc
	v_fmac_f32_e32 v9, s15, v15
	v_cmp_eq_u32_e32 vcc, v5, v0
	global_store_dwordx2 v[1:2], v[8:9], off
	s_and_b64 exec, exec, vcc
	s_cbranch_execz .LBB1262_16
; %bb.15:
	v_mov_b32_e32 v0, 0
	global_store_dword v[1:2], v0, off offset:4
.LBB1262_16:
	s_endpgm
	.section	.rodata,"a",@progbits
	.p2align	6, 0x0
	.amdhsa_kernel _ZL37rocblas_syrkx_herkx_restricted_kernelIl19rocblas_complex_numIfELi16ELi32ELi8ELb1ELb1ELc67ELc85EKS1_S1_EviT_T0_PT8_S3_lS6_S3_lS4_PT9_S3_li
		.amdhsa_group_segment_fixed_size 4096
		.amdhsa_private_segment_fixed_size 0
		.amdhsa_kernarg_size 108
		.amdhsa_user_sgpr_count 6
		.amdhsa_user_sgpr_private_segment_buffer 1
		.amdhsa_user_sgpr_dispatch_ptr 0
		.amdhsa_user_sgpr_queue_ptr 0
		.amdhsa_user_sgpr_kernarg_segment_ptr 1
		.amdhsa_user_sgpr_dispatch_id 0
		.amdhsa_user_sgpr_flat_scratch_init 0
		.amdhsa_user_sgpr_private_segment_size 0
		.amdhsa_uses_dynamic_stack 0
		.amdhsa_system_sgpr_private_segment_wavefront_offset 0
		.amdhsa_system_sgpr_workgroup_id_x 1
		.amdhsa_system_sgpr_workgroup_id_y 1
		.amdhsa_system_sgpr_workgroup_id_z 1
		.amdhsa_system_sgpr_workgroup_info 0
		.amdhsa_system_vgpr_workitem_id 1
		.amdhsa_next_free_vgpr 41
		.amdhsa_next_free_sgpr 28
		.amdhsa_reserve_vcc 1
		.amdhsa_reserve_flat_scratch 0
		.amdhsa_float_round_mode_32 0
		.amdhsa_float_round_mode_16_64 0
		.amdhsa_float_denorm_mode_32 3
		.amdhsa_float_denorm_mode_16_64 3
		.amdhsa_dx10_clamp 1
		.amdhsa_ieee_mode 1
		.amdhsa_fp16_overflow 0
		.amdhsa_exception_fp_ieee_invalid_op 0
		.amdhsa_exception_fp_denorm_src 0
		.amdhsa_exception_fp_ieee_div_zero 0
		.amdhsa_exception_fp_ieee_overflow 0
		.amdhsa_exception_fp_ieee_underflow 0
		.amdhsa_exception_fp_ieee_inexact 0
		.amdhsa_exception_int_div_zero 0
	.end_amdhsa_kernel
	.section	.text._ZL37rocblas_syrkx_herkx_restricted_kernelIl19rocblas_complex_numIfELi16ELi32ELi8ELb1ELb1ELc67ELc85EKS1_S1_EviT_T0_PT8_S3_lS6_S3_lS4_PT9_S3_li,"axG",@progbits,_ZL37rocblas_syrkx_herkx_restricted_kernelIl19rocblas_complex_numIfELi16ELi32ELi8ELb1ELb1ELc67ELc85EKS1_S1_EviT_T0_PT8_S3_lS6_S3_lS4_PT9_S3_li,comdat
.Lfunc_end1262:
	.size	_ZL37rocblas_syrkx_herkx_restricted_kernelIl19rocblas_complex_numIfELi16ELi32ELi8ELb1ELb1ELc67ELc85EKS1_S1_EviT_T0_PT8_S3_lS6_S3_lS4_PT9_S3_li, .Lfunc_end1262-_ZL37rocblas_syrkx_herkx_restricted_kernelIl19rocblas_complex_numIfELi16ELi32ELi8ELb1ELb1ELc67ELc85EKS1_S1_EviT_T0_PT8_S3_lS6_S3_lS4_PT9_S3_li
                                        ; -- End function
	.set _ZL37rocblas_syrkx_herkx_restricted_kernelIl19rocblas_complex_numIfELi16ELi32ELi8ELb1ELb1ELc67ELc85EKS1_S1_EviT_T0_PT8_S3_lS6_S3_lS4_PT9_S3_li.num_vgpr, 41
	.set _ZL37rocblas_syrkx_herkx_restricted_kernelIl19rocblas_complex_numIfELi16ELi32ELi8ELb1ELb1ELc67ELc85EKS1_S1_EviT_T0_PT8_S3_lS6_S3_lS4_PT9_S3_li.num_agpr, 0
	.set _ZL37rocblas_syrkx_herkx_restricted_kernelIl19rocblas_complex_numIfELi16ELi32ELi8ELb1ELb1ELc67ELc85EKS1_S1_EviT_T0_PT8_S3_lS6_S3_lS4_PT9_S3_li.numbered_sgpr, 28
	.set _ZL37rocblas_syrkx_herkx_restricted_kernelIl19rocblas_complex_numIfELi16ELi32ELi8ELb1ELb1ELc67ELc85EKS1_S1_EviT_T0_PT8_S3_lS6_S3_lS4_PT9_S3_li.num_named_barrier, 0
	.set _ZL37rocblas_syrkx_herkx_restricted_kernelIl19rocblas_complex_numIfELi16ELi32ELi8ELb1ELb1ELc67ELc85EKS1_S1_EviT_T0_PT8_S3_lS6_S3_lS4_PT9_S3_li.private_seg_size, 0
	.set _ZL37rocblas_syrkx_herkx_restricted_kernelIl19rocblas_complex_numIfELi16ELi32ELi8ELb1ELb1ELc67ELc85EKS1_S1_EviT_T0_PT8_S3_lS6_S3_lS4_PT9_S3_li.uses_vcc, 1
	.set _ZL37rocblas_syrkx_herkx_restricted_kernelIl19rocblas_complex_numIfELi16ELi32ELi8ELb1ELb1ELc67ELc85EKS1_S1_EviT_T0_PT8_S3_lS6_S3_lS4_PT9_S3_li.uses_flat_scratch, 0
	.set _ZL37rocblas_syrkx_herkx_restricted_kernelIl19rocblas_complex_numIfELi16ELi32ELi8ELb1ELb1ELc67ELc85EKS1_S1_EviT_T0_PT8_S3_lS6_S3_lS4_PT9_S3_li.has_dyn_sized_stack, 0
	.set _ZL37rocblas_syrkx_herkx_restricted_kernelIl19rocblas_complex_numIfELi16ELi32ELi8ELb1ELb1ELc67ELc85EKS1_S1_EviT_T0_PT8_S3_lS6_S3_lS4_PT9_S3_li.has_recursion, 0
	.set _ZL37rocblas_syrkx_herkx_restricted_kernelIl19rocblas_complex_numIfELi16ELi32ELi8ELb1ELb1ELc67ELc85EKS1_S1_EviT_T0_PT8_S3_lS6_S3_lS4_PT9_S3_li.has_indirect_call, 0
	.section	.AMDGPU.csdata,"",@progbits
; Kernel info:
; codeLenInByte = 2168
; TotalNumSgprs: 32
; NumVgprs: 41
; ScratchSize: 0
; MemoryBound: 0
; FloatMode: 240
; IeeeMode: 1
; LDSByteSize: 4096 bytes/workgroup (compile time only)
; SGPRBlocks: 3
; VGPRBlocks: 10
; NumSGPRsForWavesPerEU: 32
; NumVGPRsForWavesPerEU: 41
; Occupancy: 5
; WaveLimiterHint : 1
; COMPUTE_PGM_RSRC2:SCRATCH_EN: 0
; COMPUTE_PGM_RSRC2:USER_SGPR: 6
; COMPUTE_PGM_RSRC2:TRAP_HANDLER: 0
; COMPUTE_PGM_RSRC2:TGID_X_EN: 1
; COMPUTE_PGM_RSRC2:TGID_Y_EN: 1
; COMPUTE_PGM_RSRC2:TGID_Z_EN: 1
; COMPUTE_PGM_RSRC2:TIDIG_COMP_CNT: 1
	.section	.text._ZL37rocblas_syrkx_herkx_restricted_kernelIl19rocblas_complex_numIfELi16ELi32ELi8ELb1ELb1ELc78ELc85EKS1_S1_EviT_T0_PT8_S3_lS6_S3_lS4_PT9_S3_li,"axG",@progbits,_ZL37rocblas_syrkx_herkx_restricted_kernelIl19rocblas_complex_numIfELi16ELi32ELi8ELb1ELb1ELc78ELc85EKS1_S1_EviT_T0_PT8_S3_lS6_S3_lS4_PT9_S3_li,comdat
	.globl	_ZL37rocblas_syrkx_herkx_restricted_kernelIl19rocblas_complex_numIfELi16ELi32ELi8ELb1ELb1ELc78ELc85EKS1_S1_EviT_T0_PT8_S3_lS6_S3_lS4_PT9_S3_li ; -- Begin function _ZL37rocblas_syrkx_herkx_restricted_kernelIl19rocblas_complex_numIfELi16ELi32ELi8ELb1ELb1ELc78ELc85EKS1_S1_EviT_T0_PT8_S3_lS6_S3_lS4_PT9_S3_li
	.p2align	8
	.type	_ZL37rocblas_syrkx_herkx_restricted_kernelIl19rocblas_complex_numIfELi16ELi32ELi8ELb1ELb1ELc78ELc85EKS1_S1_EviT_T0_PT8_S3_lS6_S3_lS4_PT9_S3_li,@function
_ZL37rocblas_syrkx_herkx_restricted_kernelIl19rocblas_complex_numIfELi16ELi32ELi8ELb1ELb1ELc78ELc85EKS1_S1_EviT_T0_PT8_S3_lS6_S3_lS4_PT9_S3_li: ; @_ZL37rocblas_syrkx_herkx_restricted_kernelIl19rocblas_complex_numIfELi16ELi32ELi8ELb1ELb1ELc78ELc85EKS1_S1_EviT_T0_PT8_S3_lS6_S3_lS4_PT9_S3_li
; %bb.0:
	s_load_dwordx16 s[12:27], s[4:5], 0x8
	s_lshl_b32 s9, s6, 5
	s_lshl_b32 s10, s7, 5
	s_waitcnt lgkmcnt(0)
	v_cmp_lt_i64_e64 s[0:1], s[12:13], 1
	s_and_b64 vcc, exec, s[0:1]
	s_cbranch_vccnz .LBB1263_3
; %bb.1:
	v_lshl_add_u32 v5, v1, 4, v0
	v_lshrrev_b32_e32 v6, 3, v5
	v_add_u32_e32 v2, s10, v6
	v_and_b32_e32 v7, 7, v0
	v_ashrrev_i32_e32 v3, 31, v2
	v_mad_u64_u32 v[2:3], s[0:1], s24, v7, v[2:3]
	v_lshrrev_b32_e32 v8, 5, v5
	s_mul_i32 s2, s21, s8
	v_mad_u64_u32 v[3:4], s[0:1], s25, v7, v[3:4]
	v_and_b32_e32 v4, 31, v5
	v_lshlrev_b32_e32 v5, 3, v4
	v_lshl_or_b32 v10, v8, 8, v5
	v_lshlrev_b32_e32 v5, 3, v7
	v_lshl_or_b32 v5, v6, 6, v5
	v_add_u32_e32 v4, s9, v4
	v_add_u32_e32 v11, 0x800, v5
	v_ashrrev_i32_e32 v5, 31, v4
	v_mad_u64_u32 v[4:5], s[0:1], s18, v8, v[4:5]
	v_mov_b32_e32 v6, 0x800
	v_lshl_add_u32 v13, v1, 6, v6
	v_mad_u64_u32 v[5:6], s[0:1], s19, v8, v[5:6]
	s_mul_hi_u32 s3, s20, s8
	s_add_i32 s1, s3, s2
	s_mul_i32 s0, s20, s8
	s_lshl_b64 s[0:1], s[0:1], 3
	v_lshlrev_b64 v[4:5], 3, v[4:5]
	s_add_u32 s0, s16, s0
	s_addc_u32 s1, s17, s1
	s_mul_i32 s2, s27, s8
	s_mul_hi_u32 s3, s26, s8
	v_mov_b32_e32 v6, s1
	v_add_co_u32_e32 v4, vcc, s0, v4
	s_add_i32 s3, s3, s2
	s_mul_i32 s2, s26, s8
	v_addc_co_u32_e32 v5, vcc, v6, v5, vcc
	s_lshl_b64 s[0:1], s[18:19], 6
	s_lshl_b64 s[2:3], s[2:3], 3
	v_add_co_u32_e32 v6, vcc, 4, v4
	v_lshlrev_b64 v[2:3], 3, v[2:3]
	s_add_u32 s2, s22, s2
	v_addc_co_u32_e32 v7, vcc, 0, v5, vcc
	s_addc_u32 s3, s23, s3
	v_mov_b32_e32 v4, s3
	v_add_co_u32_e32 v2, vcc, s2, v2
	v_addc_co_u32_e32 v3, vcc, v4, v3, vcc
	v_add_co_u32_e32 v8, vcc, 4, v2
	s_lshl_b64 s[2:3], s[24:25], 6
	v_lshlrev_b32_e32 v12, 3, v0
	v_addc_co_u32_e32 v9, vcc, 0, v3, vcc
	v_mov_b32_e32 v16, 0
	s_mov_b64 s[6:7], 0
	v_mov_b32_e32 v14, s1
	v_mov_b32_e32 v15, s3
	;; [unrolled: 1-line block ×9, first 2 shown]
.LBB1263_2:                             ; =>This Inner Loop Header: Depth=1
	global_load_dwordx2 v[2:3], v[6:7], off offset:-4
	v_add_co_u32_e32 v6, vcc, s0, v6
	s_add_u32 s6, s6, 8
	v_addc_co_u32_e32 v7, vcc, v7, v14, vcc
	s_addc_u32 s7, s7, 0
	s_waitcnt vmcnt(0)
	ds_write_b64 v10, v[2:3]
	global_load_dwordx2 v[2:3], v[8:9], off offset:-4
	v_add_co_u32_e32 v8, vcc, s2, v8
	v_addc_co_u32_e32 v9, vcc, v9, v15, vcc
	s_waitcnt vmcnt(0)
	v_xor_b32_e32 v3, 0x80000000, v3
	ds_write_b64 v11, v[2:3]
	s_waitcnt lgkmcnt(0)
	s_barrier
	ds_read_b128 v[24:27], v13
	ds_read_b128 v[28:31], v13 offset:16
	ds_read_b128 v[32:35], v13 offset:32
	;; [unrolled: 1-line block ×3, first 2 shown]
	ds_read2_b64 v[36:39], v12 offset1:16
	s_waitcnt lgkmcnt(0)
	v_mul_f32_e32 v40, v25, v37
	v_mul_f32_e32 v41, v24, v37
	v_fma_f32 v40, v24, v36, -v40
	v_fmac_f32_e32 v41, v25, v36
	v_add_f32_e32 v40, v22, v40
	v_add_f32_e32 v41, v23, v41
	v_mul_f32_e32 v22, v25, v39
	v_mul_f32_e32 v23, v24, v39
	v_fma_f32 v22, v24, v38, -v22
	v_fmac_f32_e32 v23, v25, v38
	v_add_f32_e32 v24, v20, v22
	v_add_f32_e32 v25, v21, v23
	ds_read_b128 v[20:23], v13 offset:1024
	s_waitcnt lgkmcnt(0)
	v_mul_f32_e32 v42, v21, v37
	v_mul_f32_e32 v37, v20, v37
	v_fma_f32 v42, v20, v36, -v42
	v_fmac_f32_e32 v37, v21, v36
	v_add_f32_e32 v36, v18, v42
	v_add_f32_e32 v37, v19, v37
	v_mul_f32_e32 v18, v21, v39
	v_mul_f32_e32 v19, v20, v39
	v_fma_f32 v18, v20, v38, -v18
	v_fmac_f32_e32 v19, v21, v38
	v_add_f32_e32 v20, v17, v18
	v_add_f32_e32 v21, v16, v19
	ds_read2_b64 v[16:19], v12 offset0:32 offset1:48
	s_waitcnt lgkmcnt(0)
	v_mul_f32_e32 v38, v27, v17
	v_fma_f32 v38, v26, v16, -v38
	v_add_f32_e32 v38, v40, v38
	v_mul_f32_e32 v40, v27, v19
	v_mul_f32_e32 v39, v26, v17
	v_fma_f32 v40, v26, v18, -v40
	v_mul_f32_e32 v26, v26, v19
	v_fmac_f32_e32 v26, v27, v18
	v_add_f32_e32 v25, v25, v26
	v_mul_f32_e32 v26, v23, v17
	v_mul_f32_e32 v17, v22, v17
	v_fmac_f32_e32 v17, v23, v16
	v_fmac_f32_e32 v39, v27, v16
	v_fma_f32 v26, v22, v16, -v26
	v_add_f32_e32 v27, v37, v17
	v_mul_f32_e32 v16, v23, v19
	v_mul_f32_e32 v17, v22, v19
	v_fma_f32 v16, v22, v18, -v16
	v_fmac_f32_e32 v17, v23, v18
	v_add_f32_e32 v26, v36, v26
	v_add_f32_e32 v36, v20, v16
	;; [unrolled: 1-line block ×3, first 2 shown]
	ds_read2_b64 v[16:19], v12 offset0:64 offset1:80
	v_add_f32_e32 v39, v41, v39
	v_add_f32_e32 v24, v24, v40
	s_waitcnt lgkmcnt(0)
	v_mul_f32_e32 v20, v29, v17
	v_mul_f32_e32 v21, v28, v17
	v_fma_f32 v20, v28, v16, -v20
	v_fmac_f32_e32 v21, v29, v16
	v_add_f32_e32 v38, v38, v20
	v_add_f32_e32 v39, v39, v21
	v_mul_f32_e32 v20, v29, v19
	v_mul_f32_e32 v21, v28, v19
	v_fma_f32 v20, v28, v18, -v20
	v_fmac_f32_e32 v21, v29, v18
	v_add_f32_e32 v24, v24, v20
	v_add_f32_e32 v25, v25, v21
	ds_read_b128 v[20:23], v13 offset:1040
	s_waitcnt lgkmcnt(0)
	v_mul_f32_e32 v28, v21, v17
	v_mul_f32_e32 v17, v20, v17
	v_fmac_f32_e32 v17, v21, v16
	v_fma_f32 v28, v20, v16, -v28
	v_add_f32_e32 v27, v27, v17
	v_mul_f32_e32 v16, v21, v19
	v_mul_f32_e32 v17, v20, v19
	v_fma_f32 v16, v20, v18, -v16
	v_fmac_f32_e32 v17, v21, v18
	v_add_f32_e32 v20, v36, v16
	v_add_f32_e32 v21, v37, v17
	ds_read2_b64 v[16:19], v12 offset0:96 offset1:112
	v_add_f32_e32 v26, v26, v28
	s_waitcnt lgkmcnt(0)
	v_mul_f32_e32 v28, v31, v17
	v_mul_f32_e32 v36, v31, v19
	v_fma_f32 v28, v30, v16, -v28
	v_mul_f32_e32 v29, v30, v17
	v_fma_f32 v36, v30, v18, -v36
	v_mul_f32_e32 v30, v30, v19
	v_fmac_f32_e32 v30, v31, v18
	v_add_f32_e32 v25, v25, v30
	v_mul_f32_e32 v30, v23, v17
	v_mul_f32_e32 v17, v22, v17
	v_fmac_f32_e32 v17, v23, v16
	v_fmac_f32_e32 v29, v31, v16
	v_fma_f32 v30, v22, v16, -v30
	v_add_f32_e32 v27, v27, v17
	v_mul_f32_e32 v16, v23, v19
	v_mul_f32_e32 v17, v22, v19
	v_fma_f32 v16, v22, v18, -v16
	v_fmac_f32_e32 v17, v23, v18
	v_add_f32_e32 v26, v26, v30
	v_add_f32_e32 v30, v20, v16
	;; [unrolled: 1-line block ×3, first 2 shown]
	ds_read2_b64 v[16:19], v12 offset0:128 offset1:144
	v_add_f32_e32 v28, v38, v28
	v_add_f32_e32 v29, v39, v29
	;; [unrolled: 1-line block ×3, first 2 shown]
	s_waitcnt lgkmcnt(0)
	v_mul_f32_e32 v20, v33, v17
	v_mul_f32_e32 v21, v32, v17
	v_fma_f32 v20, v32, v16, -v20
	v_fmac_f32_e32 v21, v33, v16
	v_add_f32_e32 v28, v28, v20
	v_add_f32_e32 v29, v29, v21
	v_mul_f32_e32 v20, v33, v19
	v_mul_f32_e32 v21, v32, v19
	v_fma_f32 v20, v32, v18, -v20
	v_fmac_f32_e32 v21, v33, v18
	v_add_f32_e32 v24, v24, v20
	v_add_f32_e32 v25, v25, v21
	ds_read_b128 v[20:23], v13 offset:1056
	s_waitcnt lgkmcnt(0)
	v_mul_f32_e32 v32, v21, v17
	v_mul_f32_e32 v17, v20, v17
	v_fmac_f32_e32 v17, v21, v16
	v_fma_f32 v32, v20, v16, -v32
	v_add_f32_e32 v27, v27, v17
	v_mul_f32_e32 v16, v21, v19
	v_mul_f32_e32 v17, v20, v19
	v_fma_f32 v16, v20, v18, -v16
	v_fmac_f32_e32 v17, v21, v18
	v_add_f32_e32 v20, v30, v16
	v_add_f32_e32 v21, v31, v17
	ds_read2_b64 v[16:19], v12 offset0:160 offset1:176
	v_add_f32_e32 v26, v26, v32
	s_waitcnt lgkmcnt(0)
	v_mul_f32_e32 v30, v35, v17
	v_fma_f32 v30, v34, v16, -v30
	v_add_f32_e32 v28, v28, v30
	v_mul_f32_e32 v30, v35, v19
	v_fma_f32 v30, v34, v18, -v30
	v_mul_f32_e32 v31, v34, v17
	v_add_f32_e32 v24, v24, v30
	v_mul_f32_e32 v30, v23, v17
	v_mul_f32_e32 v17, v22, v17
	v_fmac_f32_e32 v17, v23, v16
	v_fmac_f32_e32 v31, v35, v16
	v_fma_f32 v30, v22, v16, -v30
	v_add_f32_e32 v27, v27, v17
	v_mul_f32_e32 v16, v23, v19
	v_mul_f32_e32 v17, v22, v19
	v_add_f32_e32 v29, v29, v31
	v_mul_f32_e32 v31, v34, v19
	v_fma_f32 v16, v22, v18, -v16
	v_fmac_f32_e32 v17, v23, v18
	v_fmac_f32_e32 v31, v35, v18
	v_add_f32_e32 v20, v20, v16
	v_add_f32_e32 v21, v21, v17
	ds_read2_b64 v[16:19], v12 offset0:192 offset1:208
	v_add_f32_e32 v26, v26, v30
	v_add_f32_e32 v25, v25, v31
	s_waitcnt lgkmcnt(0)
	v_mul_f32_e32 v22, v3, v17
	v_fma_f32 v22, v2, v16, -v22
	v_add_f32_e32 v30, v28, v22
	v_mul_f32_e32 v22, v3, v19
	v_mul_f32_e32 v23, v2, v17
	v_fma_f32 v22, v2, v18, -v22
	v_mul_f32_e32 v2, v2, v19
	v_fmac_f32_e32 v23, v3, v16
	v_fmac_f32_e32 v2, v3, v18
	v_add_f32_e32 v31, v29, v23
	v_add_f32_e32 v3, v24, v22
	;; [unrolled: 1-line block ×3, first 2 shown]
	ds_read_b128 v[22:25], v13 offset:1072
	s_waitcnt lgkmcnt(0)
	v_mul_f32_e32 v28, v23, v17
	v_fma_f32 v28, v22, v16, -v28
	v_mul_f32_e32 v17, v22, v17
	v_fmac_f32_e32 v17, v23, v16
	v_add_f32_e32 v16, v26, v28
	v_mul_f32_e32 v26, v23, v19
	v_fma_f32 v26, v22, v18, -v26
	v_add_f32_e32 v17, v27, v17
	v_add_f32_e32 v32, v20, v26
	ds_read2_b64 v[26:29], v12 offset0:224 offset1:240
	v_mul_f32_e32 v19, v22, v19
	v_fmac_f32_e32 v19, v23, v18
	v_add_f32_e32 v33, v21, v19
	s_waitcnt lgkmcnt(0)
	v_mul_f32_e32 v18, v5, v27
	v_fma_f32 v18, v4, v26, -v18
	v_add_f32_e32 v22, v30, v18
	v_mul_f32_e32 v18, v5, v29
	v_mul_f32_e32 v19, v4, v27
	v_fma_f32 v18, v4, v28, -v18
	v_mul_f32_e32 v4, v4, v29
	v_fmac_f32_e32 v4, v5, v28
	v_add_f32_e32 v20, v3, v18
	v_add_f32_e32 v21, v2, v4
	v_mul_f32_e32 v2, v25, v27
	v_mul_f32_e32 v3, v24, v27
	v_fmac_f32_e32 v19, v5, v26
	v_fma_f32 v2, v24, v26, -v2
	v_fmac_f32_e32 v3, v25, v26
	v_add_f32_e32 v23, v31, v19
	v_add_f32_e32 v18, v16, v2
	;; [unrolled: 1-line block ×3, first 2 shown]
	v_mul_f32_e32 v2, v25, v29
	v_mul_f32_e32 v3, v24, v29
	v_fma_f32 v2, v24, v28, -v2
	v_fmac_f32_e32 v3, v25, v28
	v_add_f32_e32 v17, v32, v2
	v_add_f32_e32 v16, v33, v3
	v_mov_b32_e32 v2, s6
	v_mov_b32_e32 v3, s7
	v_cmp_le_u64_e32 vcc, s[12:13], v[2:3]
	s_barrier
	s_cbranch_vccz .LBB1263_2
	s_branch .LBB1263_4
.LBB1263_3:
	v_mov_b32_e32 v22, 0
	v_mov_b32_e32 v23, 0
	;; [unrolled: 1-line block ×8, first 2 shown]
.LBB1263_4:
	s_load_dwordx2 s[12:13], s[4:5], 0x60
	s_load_dword s6, s[4:5], 0x0
	s_load_dwordx4 s[0:3], s[4:5], 0x50
	v_add_u32_e32 v5, s10, v1
	v_ashrrev_i32_e32 v1, 31, v5
	s_waitcnt lgkmcnt(0)
	s_mul_i32 s5, s13, s8
	s_mul_hi_u32 s7, s12, s8
	v_mul_lo_u32 v3, s2, v1
	v_mul_lo_u32 v4, s3, v5
	v_mad_u64_u32 v[1:2], s[10:11], s2, v5, 0
	s_mul_i32 s4, s12, s8
	s_add_i32 s5, s7, s5
	s_lshl_b64 s[4:5], s[4:5], 3
	v_add3_u32 v2, v2, v3, v4
	s_add_u32 s7, s0, s4
	v_lshlrev_b64 v[1:2], 3, v[1:2]
	s_addc_u32 s8, s1, s5
	v_mov_b32_e32 v3, s8
	v_add_co_u32_e64 v4, s[0:1], s7, v1
	v_add_u32_e32 v0, s9, v0
	v_addc_co_u32_e64 v6, s[0:1], v3, v2, s[0:1]
	v_cmp_gt_i32_e32 vcc, s6, v5
	v_cmp_le_i32_e64 s[0:1], v0, v5
	s_and_b64 s[0:1], vcc, s[0:1]
	s_and_saveexec_b64 s[4:5], s[0:1]
	s_cbranch_execz .LBB1263_7
; %bb.5:
	v_mul_f32_e32 v1, s15, v23
	v_fma_f32 v7, v22, s14, -v1
	v_ashrrev_i32_e32 v1, 31, v0
	v_lshlrev_b64 v[1:2], 3, v[0:1]
	v_mul_f32_e32 v8, s14, v23
	v_add_co_u32_e64 v1, s[0:1], v4, v1
	v_addc_co_u32_e64 v2, s[0:1], v6, v2, s[0:1]
	v_fmac_f32_e32 v8, s15, v22
	v_cmp_eq_u32_e64 s[0:1], v5, v0
	global_store_dwordx2 v[1:2], v[7:8], off
	s_and_b64 exec, exec, s[0:1]
	s_cbranch_execz .LBB1263_7
; %bb.6:
	v_mov_b32_e32 v3, 0
	global_store_dword v[1:2], v3, off offset:4
.LBB1263_7:
	s_or_b64 exec, exec, s[4:5]
	v_add_u32_e32 v2, 16, v0
	v_cmp_le_i32_e64 s[0:1], v2, v5
	s_and_b64 s[4:5], vcc, s[0:1]
	s_and_saveexec_b64 s[0:1], s[4:5]
	s_cbranch_execz .LBB1263_10
; %bb.8:
	v_ashrrev_i32_e32 v3, 31, v2
	v_lshlrev_b64 v[9:10], 3, v[2:3]
	v_mul_f32_e32 v1, s15, v21
	v_add_co_u32_e32 v3, vcc, v4, v9
	v_mul_f32_e32 v8, s14, v21
	v_addc_co_u32_e32 v4, vcc, v6, v10, vcc
	v_fma_f32 v7, v20, s14, -v1
	v_fmac_f32_e32 v8, s15, v20
	v_cmp_eq_u32_e32 vcc, v5, v2
	global_store_dwordx2 v[3:4], v[7:8], off
	s_and_b64 exec, exec, vcc
	s_cbranch_execz .LBB1263_10
; %bb.9:
	v_mov_b32_e32 v1, 0
	global_store_dword v[3:4], v1, off offset:4
.LBB1263_10:
	s_or_b64 exec, exec, s[0:1]
	v_add_u32_e32 v8, 16, v5
	v_ashrrev_i32_e32 v1, 31, v8
	v_mul_lo_u32 v1, s2, v1
	v_mul_lo_u32 v6, s3, v8
	v_mad_u64_u32 v[3:4], s[0:1], s2, v8, 0
	v_cmp_gt_i32_e32 vcc, s6, v8
	v_add3_u32 v4, v4, v1, v6
	v_lshlrev_b64 v[3:4], 3, v[3:4]
	v_mov_b32_e32 v1, s8
	v_add_co_u32_e64 v6, s[0:1], s7, v3
	v_addc_co_u32_e64 v7, s[0:1], v1, v4, s[0:1]
	v_cmp_le_i32_e64 s[0:1], v0, v8
	s_and_b64 s[0:1], vcc, s[0:1]
	s_and_saveexec_b64 s[2:3], s[0:1]
	s_cbranch_execz .LBB1263_13
; %bb.11:
	v_mul_f32_e32 v1, s15, v19
	v_fma_f32 v9, v18, s14, -v1
	v_ashrrev_i32_e32 v1, 31, v0
	v_lshlrev_b64 v[3:4], 3, v[0:1]
	v_mul_f32_e32 v10, s14, v19
	v_add_co_u32_e64 v3, s[0:1], v6, v3
	v_addc_co_u32_e64 v4, s[0:1], v7, v4, s[0:1]
	v_fmac_f32_e32 v10, s15, v18
	v_cmp_eq_u32_e64 s[0:1], v8, v0
	global_store_dwordx2 v[3:4], v[9:10], off
	s_and_b64 exec, exec, s[0:1]
	s_cbranch_execz .LBB1263_13
; %bb.12:
	v_mov_b32_e32 v1, 0
	global_store_dword v[3:4], v1, off offset:4
.LBB1263_13:
	s_or_b64 exec, exec, s[2:3]
	v_cmp_le_i32_e64 s[0:1], v2, v8
	s_and_b64 s[0:1], vcc, s[0:1]
	s_and_saveexec_b64 s[2:3], s[0:1]
	s_cbranch_execz .LBB1263_16
; %bb.14:
	v_mul_f32_e32 v1, s15, v16
	v_ashrrev_i32_e32 v3, 31, v2
	v_fma_f32 v8, v17, s14, -v1
	v_lshlrev_b64 v[1:2], 3, v[2:3]
	v_mul_f32_e32 v9, s14, v16
	v_add_co_u32_e32 v1, vcc, v6, v1
	v_addc_co_u32_e32 v2, vcc, v7, v2, vcc
	v_fmac_f32_e32 v9, s15, v17
	v_cmp_eq_u32_e32 vcc, v5, v0
	global_store_dwordx2 v[1:2], v[8:9], off
	s_and_b64 exec, exec, vcc
	s_cbranch_execz .LBB1263_16
; %bb.15:
	v_mov_b32_e32 v0, 0
	global_store_dword v[1:2], v0, off offset:4
.LBB1263_16:
	s_endpgm
	.section	.rodata,"a",@progbits
	.p2align	6, 0x0
	.amdhsa_kernel _ZL37rocblas_syrkx_herkx_restricted_kernelIl19rocblas_complex_numIfELi16ELi32ELi8ELb1ELb1ELc78ELc85EKS1_S1_EviT_T0_PT8_S3_lS6_S3_lS4_PT9_S3_li
		.amdhsa_group_segment_fixed_size 4096
		.amdhsa_private_segment_fixed_size 0
		.amdhsa_kernarg_size 108
		.amdhsa_user_sgpr_count 6
		.amdhsa_user_sgpr_private_segment_buffer 1
		.amdhsa_user_sgpr_dispatch_ptr 0
		.amdhsa_user_sgpr_queue_ptr 0
		.amdhsa_user_sgpr_kernarg_segment_ptr 1
		.amdhsa_user_sgpr_dispatch_id 0
		.amdhsa_user_sgpr_flat_scratch_init 0
		.amdhsa_user_sgpr_private_segment_size 0
		.amdhsa_uses_dynamic_stack 0
		.amdhsa_system_sgpr_private_segment_wavefront_offset 0
		.amdhsa_system_sgpr_workgroup_id_x 1
		.amdhsa_system_sgpr_workgroup_id_y 1
		.amdhsa_system_sgpr_workgroup_id_z 1
		.amdhsa_system_sgpr_workgroup_info 0
		.amdhsa_system_vgpr_workitem_id 1
		.amdhsa_next_free_vgpr 43
		.amdhsa_next_free_sgpr 28
		.amdhsa_reserve_vcc 1
		.amdhsa_reserve_flat_scratch 0
		.amdhsa_float_round_mode_32 0
		.amdhsa_float_round_mode_16_64 0
		.amdhsa_float_denorm_mode_32 3
		.amdhsa_float_denorm_mode_16_64 3
		.amdhsa_dx10_clamp 1
		.amdhsa_ieee_mode 1
		.amdhsa_fp16_overflow 0
		.amdhsa_exception_fp_ieee_invalid_op 0
		.amdhsa_exception_fp_denorm_src 0
		.amdhsa_exception_fp_ieee_div_zero 0
		.amdhsa_exception_fp_ieee_overflow 0
		.amdhsa_exception_fp_ieee_underflow 0
		.amdhsa_exception_fp_ieee_inexact 0
		.amdhsa_exception_int_div_zero 0
	.end_amdhsa_kernel
	.section	.text._ZL37rocblas_syrkx_herkx_restricted_kernelIl19rocblas_complex_numIfELi16ELi32ELi8ELb1ELb1ELc78ELc85EKS1_S1_EviT_T0_PT8_S3_lS6_S3_lS4_PT9_S3_li,"axG",@progbits,_ZL37rocblas_syrkx_herkx_restricted_kernelIl19rocblas_complex_numIfELi16ELi32ELi8ELb1ELb1ELc78ELc85EKS1_S1_EviT_T0_PT8_S3_lS6_S3_lS4_PT9_S3_li,comdat
.Lfunc_end1263:
	.size	_ZL37rocblas_syrkx_herkx_restricted_kernelIl19rocblas_complex_numIfELi16ELi32ELi8ELb1ELb1ELc78ELc85EKS1_S1_EviT_T0_PT8_S3_lS6_S3_lS4_PT9_S3_li, .Lfunc_end1263-_ZL37rocblas_syrkx_herkx_restricted_kernelIl19rocblas_complex_numIfELi16ELi32ELi8ELb1ELb1ELc78ELc85EKS1_S1_EviT_T0_PT8_S3_lS6_S3_lS4_PT9_S3_li
                                        ; -- End function
	.set _ZL37rocblas_syrkx_herkx_restricted_kernelIl19rocblas_complex_numIfELi16ELi32ELi8ELb1ELb1ELc78ELc85EKS1_S1_EviT_T0_PT8_S3_lS6_S3_lS4_PT9_S3_li.num_vgpr, 43
	.set _ZL37rocblas_syrkx_herkx_restricted_kernelIl19rocblas_complex_numIfELi16ELi32ELi8ELb1ELb1ELc78ELc85EKS1_S1_EviT_T0_PT8_S3_lS6_S3_lS4_PT9_S3_li.num_agpr, 0
	.set _ZL37rocblas_syrkx_herkx_restricted_kernelIl19rocblas_complex_numIfELi16ELi32ELi8ELb1ELb1ELc78ELc85EKS1_S1_EviT_T0_PT8_S3_lS6_S3_lS4_PT9_S3_li.numbered_sgpr, 28
	.set _ZL37rocblas_syrkx_herkx_restricted_kernelIl19rocblas_complex_numIfELi16ELi32ELi8ELb1ELb1ELc78ELc85EKS1_S1_EviT_T0_PT8_S3_lS6_S3_lS4_PT9_S3_li.num_named_barrier, 0
	.set _ZL37rocblas_syrkx_herkx_restricted_kernelIl19rocblas_complex_numIfELi16ELi32ELi8ELb1ELb1ELc78ELc85EKS1_S1_EviT_T0_PT8_S3_lS6_S3_lS4_PT9_S3_li.private_seg_size, 0
	.set _ZL37rocblas_syrkx_herkx_restricted_kernelIl19rocblas_complex_numIfELi16ELi32ELi8ELb1ELb1ELc78ELc85EKS1_S1_EviT_T0_PT8_S3_lS6_S3_lS4_PT9_S3_li.uses_vcc, 1
	.set _ZL37rocblas_syrkx_herkx_restricted_kernelIl19rocblas_complex_numIfELi16ELi32ELi8ELb1ELb1ELc78ELc85EKS1_S1_EviT_T0_PT8_S3_lS6_S3_lS4_PT9_S3_li.uses_flat_scratch, 0
	.set _ZL37rocblas_syrkx_herkx_restricted_kernelIl19rocblas_complex_numIfELi16ELi32ELi8ELb1ELb1ELc78ELc85EKS1_S1_EviT_T0_PT8_S3_lS6_S3_lS4_PT9_S3_li.has_dyn_sized_stack, 0
	.set _ZL37rocblas_syrkx_herkx_restricted_kernelIl19rocblas_complex_numIfELi16ELi32ELi8ELb1ELb1ELc78ELc85EKS1_S1_EviT_T0_PT8_S3_lS6_S3_lS4_PT9_S3_li.has_recursion, 0
	.set _ZL37rocblas_syrkx_herkx_restricted_kernelIl19rocblas_complex_numIfELi16ELi32ELi8ELb1ELb1ELc78ELc85EKS1_S1_EviT_T0_PT8_S3_lS6_S3_lS4_PT9_S3_li.has_indirect_call, 0
	.section	.AMDGPU.csdata,"",@progbits
; Kernel info:
; codeLenInByte = 2148
; TotalNumSgprs: 32
; NumVgprs: 43
; ScratchSize: 0
; MemoryBound: 0
; FloatMode: 240
; IeeeMode: 1
; LDSByteSize: 4096 bytes/workgroup (compile time only)
; SGPRBlocks: 3
; VGPRBlocks: 10
; NumSGPRsForWavesPerEU: 32
; NumVGPRsForWavesPerEU: 43
; Occupancy: 5
; WaveLimiterHint : 1
; COMPUTE_PGM_RSRC2:SCRATCH_EN: 0
; COMPUTE_PGM_RSRC2:USER_SGPR: 6
; COMPUTE_PGM_RSRC2:TRAP_HANDLER: 0
; COMPUTE_PGM_RSRC2:TGID_X_EN: 1
; COMPUTE_PGM_RSRC2:TGID_Y_EN: 1
; COMPUTE_PGM_RSRC2:TGID_Z_EN: 1
; COMPUTE_PGM_RSRC2:TIDIG_COMP_CNT: 1
	.section	.text._ZL37rocblas_syrkx_herkx_restricted_kernelIl19rocblas_complex_numIfELi16ELi32ELi8ELb0ELb1ELc84ELc76EKS1_S1_EviT_T0_PT8_S3_lS6_S3_lS4_PT9_S3_li,"axG",@progbits,_ZL37rocblas_syrkx_herkx_restricted_kernelIl19rocblas_complex_numIfELi16ELi32ELi8ELb0ELb1ELc84ELc76EKS1_S1_EviT_T0_PT8_S3_lS6_S3_lS4_PT9_S3_li,comdat
	.globl	_ZL37rocblas_syrkx_herkx_restricted_kernelIl19rocblas_complex_numIfELi16ELi32ELi8ELb0ELb1ELc84ELc76EKS1_S1_EviT_T0_PT8_S3_lS6_S3_lS4_PT9_S3_li ; -- Begin function _ZL37rocblas_syrkx_herkx_restricted_kernelIl19rocblas_complex_numIfELi16ELi32ELi8ELb0ELb1ELc84ELc76EKS1_S1_EviT_T0_PT8_S3_lS6_S3_lS4_PT9_S3_li
	.p2align	8
	.type	_ZL37rocblas_syrkx_herkx_restricted_kernelIl19rocblas_complex_numIfELi16ELi32ELi8ELb0ELb1ELc84ELc76EKS1_S1_EviT_T0_PT8_S3_lS6_S3_lS4_PT9_S3_li,@function
_ZL37rocblas_syrkx_herkx_restricted_kernelIl19rocblas_complex_numIfELi16ELi32ELi8ELb0ELb1ELc84ELc76EKS1_S1_EviT_T0_PT8_S3_lS6_S3_lS4_PT9_S3_li: ; @_ZL37rocblas_syrkx_herkx_restricted_kernelIl19rocblas_complex_numIfELi16ELi32ELi8ELb0ELb1ELc84ELc76EKS1_S1_EviT_T0_PT8_S3_lS6_S3_lS4_PT9_S3_li
; %bb.0:
	s_load_dwordx16 s[12:27], s[4:5], 0x8
	s_lshl_b32 s2, s6, 5
	s_lshl_b32 s3, s7, 5
	s_waitcnt lgkmcnt(0)
	v_cmp_lt_i64_e64 s[0:1], s[12:13], 1
	s_and_b64 vcc, exec, s[0:1]
	s_cbranch_vccnz .LBB1264_3
; %bb.1:
	v_lshl_add_u32 v5, v1, 4, v0
	v_lshrrev_b32_e32 v6, 3, v5
	v_add_u32_e32 v2, s3, v6
	v_and_b32_e32 v9, 7, v0
	v_ashrrev_i32_e32 v3, 31, v2
	v_mov_b32_e32 v10, 0
	v_mul_lo_u32 v7, s24, v3
	v_mul_lo_u32 v8, s25, v2
	v_mad_u64_u32 v[2:3], s[0:1], s24, v2, v[9:10]
	v_and_b32_e32 v15, 31, v5
	v_lshrrev_b32_e32 v4, 5, v5
	v_add3_u32 v3, v8, v3, v7
	v_lshlrev_b32_e32 v7, 3, v15
	v_lshl_or_b32 v11, v4, 8, v7
	v_lshlrev_b32_e32 v7, 3, v9
	v_lshl_or_b32 v6, v6, 6, v7
	v_add_u32_e32 v12, 0x800, v6
	v_mov_b32_e32 v6, 0x800
	v_lshl_add_u32 v14, v1, 6, v6
	v_add_u32_e32 v6, s2, v15
	v_mov_b32_e32 v5, v10
	v_ashrrev_i32_e32 v7, 31, v6
	v_mul_lo_u32 v7, s18, v7
	v_mad_u64_u32 v[4:5], s[0:1], s18, v6, v[4:5]
	v_mul_lo_u32 v6, s19, v6
	s_mul_i32 s6, s21, s8
	s_mul_hi_u32 s7, s20, s8
	s_add_i32 s1, s7, s6
	s_mul_i32 s0, s20, s8
	s_lshl_b64 s[0:1], s[0:1], 3
	v_add3_u32 v5, v6, v5, v7
	v_lshlrev_b64 v[4:5], 3, v[4:5]
	s_add_u32 s0, s16, s0
	s_addc_u32 s1, s17, s1
	v_mov_b32_e32 v6, s1
	v_add_co_u32_e32 v4, vcc, s0, v4
	s_mul_i32 s0, s27, s8
	s_mul_hi_u32 s1, s26, s8
	s_add_i32 s1, s1, s0
	s_mul_i32 s0, s26, s8
	v_addc_co_u32_e32 v5, vcc, v6, v5, vcc
	s_lshl_b64 s[0:1], s[0:1], 3
	v_add_co_u32_e32 v6, vcc, 4, v4
	v_lshlrev_b64 v[2:3], 3, v[2:3]
	s_add_u32 s0, s22, s0
	v_addc_co_u32_e32 v7, vcc, 0, v5, vcc
	s_addc_u32 s1, s23, s1
	v_mov_b32_e32 v4, s1
	v_add_co_u32_e32 v2, vcc, s0, v2
	v_addc_co_u32_e32 v3, vcc, v4, v3, vcc
	v_add_co_u32_e32 v8, vcc, 4, v2
	v_lshlrev_b32_e32 v13, 3, v0
	v_addc_co_u32_e32 v9, vcc, 0, v3, vcc
	s_mov_b64 s[0:1], 0
	v_mov_b32_e32 v15, v10
	v_mov_b32_e32 v17, v10
	;; [unrolled: 1-line block ×7, first 2 shown]
.LBB1264_2:                             ; =>This Inner Loop Header: Depth=1
	global_load_dwordx2 v[2:3], v[6:7], off offset:-4
	s_add_u32 s0, s0, 8
	v_add_co_u32_e32 v6, vcc, 64, v6
	s_addc_u32 s1, s1, 0
	v_addc_co_u32_e32 v7, vcc, 0, v7, vcc
	s_waitcnt vmcnt(0)
	ds_write_b64 v11, v[2:3]
	global_load_dwordx2 v[2:3], v[8:9], off offset:-4
	v_add_co_u32_e32 v8, vcc, 64, v8
	v_addc_co_u32_e32 v9, vcc, 0, v9, vcc
	s_waitcnt vmcnt(0)
	ds_write_b64 v12, v[2:3]
	s_waitcnt lgkmcnt(0)
	s_barrier
	ds_read_b128 v[22:25], v14
	ds_read_b128 v[26:29], v14 offset:16
	ds_read_b128 v[30:33], v14 offset:32
	ds_read_b128 v[2:5], v14 offset:48
	ds_read2_b64 v[34:37], v13 offset1:16
	s_waitcnt lgkmcnt(0)
	v_mul_f32_e32 v38, v23, v35
	v_mul_f32_e32 v39, v22, v35
	v_fma_f32 v38, v22, v34, -v38
	v_fmac_f32_e32 v39, v23, v34
	v_add_f32_e32 v38, v20, v38
	v_add_f32_e32 v39, v21, v39
	v_mul_f32_e32 v20, v23, v37
	v_mul_f32_e32 v21, v22, v37
	v_fma_f32 v20, v22, v36, -v20
	v_fmac_f32_e32 v21, v23, v36
	v_add_f32_e32 v22, v18, v20
	v_add_f32_e32 v23, v19, v21
	ds_read_b128 v[18:21], v14 offset:1024
	s_waitcnt lgkmcnt(0)
	v_mul_f32_e32 v40, v19, v35
	v_mul_f32_e32 v35, v18, v35
	v_fma_f32 v40, v18, v34, -v40
	v_fmac_f32_e32 v35, v19, v34
	v_add_f32_e32 v34, v16, v40
	v_add_f32_e32 v35, v17, v35
	v_mul_f32_e32 v16, v19, v37
	v_mul_f32_e32 v17, v18, v37
	v_fma_f32 v16, v18, v36, -v16
	v_fmac_f32_e32 v17, v19, v36
	v_add_f32_e32 v19, v15, v16
	v_add_f32_e32 v10, v10, v17
	ds_read2_b64 v[15:18], v13 offset0:32 offset1:48
	s_waitcnt lgkmcnt(0)
	v_mul_f32_e32 v36, v25, v16
	v_fma_f32 v36, v24, v15, -v36
	v_add_f32_e32 v36, v38, v36
	v_mul_f32_e32 v38, v25, v18
	v_mul_f32_e32 v37, v24, v16
	v_fma_f32 v38, v24, v17, -v38
	v_mul_f32_e32 v24, v24, v18
	v_fmac_f32_e32 v24, v25, v17
	v_add_f32_e32 v23, v23, v24
	v_mul_f32_e32 v24, v21, v16
	v_mul_f32_e32 v16, v20, v16
	v_fmac_f32_e32 v16, v21, v15
	v_fmac_f32_e32 v37, v25, v15
	v_fma_f32 v24, v20, v15, -v24
	v_add_f32_e32 v25, v35, v16
	v_mul_f32_e32 v15, v21, v18
	v_mul_f32_e32 v16, v20, v18
	v_fma_f32 v15, v20, v17, -v15
	v_fmac_f32_e32 v16, v21, v17
	v_add_f32_e32 v24, v34, v24
	v_add_f32_e32 v34, v19, v15
	;; [unrolled: 1-line block ×3, first 2 shown]
	ds_read2_b64 v[15:18], v13 offset0:64 offset1:80
	v_add_f32_e32 v37, v39, v37
	v_add_f32_e32 v22, v22, v38
	s_waitcnt lgkmcnt(0)
	v_mul_f32_e32 v19, v27, v16
	v_mul_f32_e32 v20, v26, v16
	v_fma_f32 v19, v26, v15, -v19
	v_fmac_f32_e32 v20, v27, v15
	v_add_f32_e32 v35, v36, v19
	v_add_f32_e32 v36, v37, v20
	v_mul_f32_e32 v19, v27, v18
	v_mul_f32_e32 v20, v26, v18
	v_fma_f32 v19, v26, v17, -v19
	v_fmac_f32_e32 v20, v27, v17
	v_add_f32_e32 v26, v22, v19
	v_add_f32_e32 v23, v23, v20
	ds_read_b128 v[19:22], v14 offset:1040
	s_waitcnt lgkmcnt(0)
	v_mul_f32_e32 v27, v20, v16
	v_mul_f32_e32 v16, v19, v16
	v_fmac_f32_e32 v16, v20, v15
	v_fma_f32 v27, v19, v15, -v27
	v_add_f32_e32 v25, v25, v16
	v_mul_f32_e32 v15, v20, v18
	v_mul_f32_e32 v16, v19, v18
	v_fma_f32 v15, v19, v17, -v15
	v_fmac_f32_e32 v16, v20, v17
	v_add_f32_e32 v19, v34, v15
	v_add_f32_e32 v10, v10, v16
	ds_read2_b64 v[15:18], v13 offset0:96 offset1:112
	v_add_f32_e32 v24, v24, v27
	s_waitcnt lgkmcnt(0)
	v_mul_f32_e32 v20, v29, v16
	v_mul_f32_e32 v34, v29, v18
	v_fma_f32 v20, v28, v15, -v20
	v_mul_f32_e32 v27, v28, v16
	v_fma_f32 v34, v28, v17, -v34
	v_mul_f32_e32 v28, v28, v18
	v_fmac_f32_e32 v28, v29, v17
	v_add_f32_e32 v23, v23, v28
	v_mul_f32_e32 v28, v22, v16
	v_mul_f32_e32 v16, v21, v16
	v_fmac_f32_e32 v16, v22, v15
	v_fmac_f32_e32 v27, v29, v15
	v_fma_f32 v28, v21, v15, -v28
	v_add_f32_e32 v25, v25, v16
	v_mul_f32_e32 v15, v22, v18
	v_mul_f32_e32 v16, v21, v18
	v_fma_f32 v15, v21, v17, -v15
	v_fmac_f32_e32 v16, v22, v17
	v_add_f32_e32 v24, v24, v28
	v_add_f32_e32 v28, v19, v15
	;; [unrolled: 1-line block ×3, first 2 shown]
	ds_read2_b64 v[15:18], v13 offset0:128 offset1:144
	v_add_f32_e32 v20, v35, v20
	v_add_f32_e32 v27, v36, v27
	;; [unrolled: 1-line block ×3, first 2 shown]
	s_waitcnt lgkmcnt(0)
	v_mul_f32_e32 v19, v31, v16
	v_fma_f32 v19, v30, v15, -v19
	v_mul_f32_e32 v21, v30, v16
	v_add_f32_e32 v29, v20, v19
	v_mul_f32_e32 v19, v31, v18
	v_mul_f32_e32 v20, v30, v18
	v_fmac_f32_e32 v21, v31, v15
	v_fma_f32 v19, v30, v17, -v19
	v_fmac_f32_e32 v20, v31, v17
	v_add_f32_e32 v27, v27, v21
	v_add_f32_e32 v26, v26, v19
	;; [unrolled: 1-line block ×3, first 2 shown]
	ds_read_b128 v[19:22], v14 offset:1056
	s_waitcnt lgkmcnt(0)
	v_mul_f32_e32 v30, v20, v16
	v_mul_f32_e32 v16, v19, v16
	v_fmac_f32_e32 v16, v20, v15
	v_fma_f32 v30, v19, v15, -v30
	v_add_f32_e32 v25, v25, v16
	v_mul_f32_e32 v15, v20, v18
	v_mul_f32_e32 v16, v19, v18
	v_fma_f32 v15, v19, v17, -v15
	v_fmac_f32_e32 v16, v20, v17
	v_add_f32_e32 v19, v28, v15
	v_add_f32_e32 v10, v10, v16
	ds_read2_b64 v[15:18], v13 offset0:160 offset1:176
	v_add_f32_e32 v24, v24, v30
	s_waitcnt lgkmcnt(0)
	v_mul_f32_e32 v28, v32, v16
	v_fmac_f32_e32 v28, v33, v15
	v_add_f32_e32 v27, v27, v28
	v_mul_f32_e32 v28, v33, v18
	v_fma_f32 v28, v32, v17, -v28
	v_mul_f32_e32 v20, v33, v16
	v_add_f32_e32 v26, v26, v28
	v_mul_f32_e32 v28, v22, v16
	v_mul_f32_e32 v16, v21, v16
	v_fmac_f32_e32 v16, v22, v15
	v_fma_f32 v20, v32, v15, -v20
	v_fma_f32 v28, v21, v15, -v28
	v_add_f32_e32 v25, v25, v16
	v_mul_f32_e32 v15, v22, v18
	v_mul_f32_e32 v16, v21, v18
	v_add_f32_e32 v20, v29, v20
	v_mul_f32_e32 v29, v32, v18
	v_fma_f32 v15, v21, v17, -v15
	v_fmac_f32_e32 v16, v22, v17
	v_fmac_f32_e32 v29, v33, v17
	v_add_f32_e32 v19, v19, v15
	v_add_f32_e32 v10, v10, v16
	ds_read2_b64 v[15:18], v13 offset0:192 offset1:208
	v_add_f32_e32 v24, v24, v28
	v_add_f32_e32 v23, v23, v29
	s_waitcnt lgkmcnt(0)
	v_mul_f32_e32 v21, v3, v16
	v_fma_f32 v21, v2, v15, -v21
	v_add_f32_e32 v28, v20, v21
	v_mul_f32_e32 v20, v3, v18
	v_mul_f32_e32 v22, v2, v16
	v_fma_f32 v20, v2, v17, -v20
	v_mul_f32_e32 v2, v2, v18
	v_fmac_f32_e32 v22, v3, v15
	v_fmac_f32_e32 v2, v3, v17
	v_add_f32_e32 v29, v27, v22
	v_add_f32_e32 v3, v26, v20
	;; [unrolled: 1-line block ×3, first 2 shown]
	ds_read_b128 v[20:23], v14 offset:1072
	s_waitcnt lgkmcnt(0)
	v_mul_f32_e32 v26, v21, v16
	v_mul_f32_e32 v16, v20, v16
	v_fma_f32 v26, v20, v15, -v26
	v_fmac_f32_e32 v16, v21, v15
	v_add_f32_e32 v15, v24, v26
	v_add_f32_e32 v30, v25, v16
	ds_read2_b64 v[24:27], v13 offset0:224 offset1:240
	v_mul_f32_e32 v16, v21, v18
	v_fma_f32 v16, v20, v17, -v16
	v_add_f32_e32 v31, v19, v16
	v_mul_f32_e32 v18, v20, v18
	s_waitcnt lgkmcnt(0)
	v_mul_f32_e32 v16, v5, v25
	v_fma_f32 v16, v4, v24, -v16
	v_add_f32_e32 v20, v28, v16
	v_mul_f32_e32 v16, v5, v27
	v_fmac_f32_e32 v18, v21, v17
	v_mul_f32_e32 v17, v4, v25
	v_fma_f32 v16, v4, v26, -v16
	v_mul_f32_e32 v4, v4, v27
	v_fmac_f32_e32 v4, v5, v26
	v_add_f32_e32 v10, v10, v18
	v_add_f32_e32 v18, v3, v16
	;; [unrolled: 1-line block ×3, first 2 shown]
	v_mul_f32_e32 v2, v23, v25
	v_mul_f32_e32 v3, v22, v25
	v_fmac_f32_e32 v17, v5, v24
	v_fma_f32 v2, v22, v24, -v2
	v_fmac_f32_e32 v3, v23, v24
	v_add_f32_e32 v21, v29, v17
	v_add_f32_e32 v16, v15, v2
	;; [unrolled: 1-line block ×3, first 2 shown]
	v_mul_f32_e32 v2, v23, v27
	v_mul_f32_e32 v3, v22, v27
	v_fma_f32 v2, v22, v26, -v2
	v_fmac_f32_e32 v3, v23, v26
	v_add_f32_e32 v15, v31, v2
	v_add_f32_e32 v10, v10, v3
	v_mov_b32_e32 v3, s1
	v_mov_b32_e32 v2, s0
	v_cmp_le_u64_e32 vcc, s[12:13], v[2:3]
	s_barrier
	s_cbranch_vccz .LBB1264_2
	s_branch .LBB1264_4
.LBB1264_3:
	v_mov_b32_e32 v20, 0
	v_mov_b32_e32 v21, 0
	;; [unrolled: 1-line block ×8, first 2 shown]
.LBB1264_4:
	s_load_dwordx8 s[16:23], s[4:5], 0x48
	s_nop 0
	s_load_dword s4, s[4:5], 0x0
	v_add_u32_e32 v5, s3, v1
	v_ashrrev_i32_e32 v1, 31, v5
	v_add_u32_e32 v0, s2, v0
	s_waitcnt lgkmcnt(0)
	v_mul_lo_u32 v3, s20, v1
	v_mul_lo_u32 v4, s21, v5
	v_mad_u64_u32 v[1:2], s[6:7], s20, v5, 0
	s_mul_i32 s0, s23, s8
	s_mul_hi_u32 s1, s22, s8
	s_add_i32 s1, s1, s0
	s_mul_i32 s0, s22, s8
	s_lshl_b64 s[0:1], s[0:1], 3
	v_add3_u32 v2, v2, v3, v4
	s_add_u32 s6, s18, s0
	v_lshlrev_b64 v[1:2], 3, v[1:2]
	s_addc_u32 s7, s19, s1
	v_mov_b32_e32 v3, s7
	v_add_co_u32_e32 v4, vcc, s6, v1
	v_addc_co_u32_e32 v6, vcc, v3, v2, vcc
	v_cmp_le_i32_e64 s[0:1], v5, v0
	v_cmp_gt_i32_e32 vcc, s4, v0
	s_and_b64 s[0:1], s[0:1], vcc
	s_and_saveexec_b64 s[2:3], s[0:1]
	s_cbranch_execz .LBB1264_7
; %bb.5:
	v_ashrrev_i32_e32 v1, 31, v0
	v_lshlrev_b64 v[1:2], 3, v[0:1]
	v_mul_f32_e32 v3, s15, v21
	v_add_co_u32_e64 v1, s[0:1], v4, v1
	v_addc_co_u32_e64 v2, s[0:1], v6, v2, s[0:1]
	global_load_dwordx2 v[7:8], v[1:2], off
	v_mul_f32_e32 v9, s14, v21
	v_fma_f32 v3, v20, s14, -v3
	v_fmac_f32_e32 v9, s15, v20
	v_cmp_eq_u32_e64 s[0:1], v5, v0
	s_waitcnt vmcnt(0)
	v_mul_f32_e32 v11, s17, v8
	v_mul_f32_e32 v8, s16, v8
	v_fma_f32 v11, v7, s16, -v11
	v_fmac_f32_e32 v8, s17, v7
	v_add_f32_e32 v7, v3, v11
	v_add_f32_e32 v8, v9, v8
	global_store_dwordx2 v[1:2], v[7:8], off
	s_and_b64 exec, exec, s[0:1]
	s_cbranch_execz .LBB1264_7
; %bb.6:
	v_mov_b32_e32 v3, 0
	global_store_dword v[1:2], v3, off offset:4
.LBB1264_7:
	s_or_b64 exec, exec, s[2:3]
	v_add_u32_e32 v2, 16, v0
	v_cmp_le_i32_e64 s[2:3], v5, v2
	v_cmp_gt_i32_e64 s[0:1], s4, v2
	s_and_b64 s[2:3], s[2:3], s[0:1]
	s_and_saveexec_b64 s[4:5], s[2:3]
	s_cbranch_execz .LBB1264_10
; %bb.8:
	v_ashrrev_i32_e32 v3, 31, v2
	v_lshlrev_b64 v[7:8], 3, v[2:3]
	v_mul_f32_e32 v1, s15, v19
	v_add_co_u32_e64 v3, s[2:3], v4, v7
	v_addc_co_u32_e64 v4, s[2:3], v6, v8, s[2:3]
	global_load_dwordx2 v[6:7], v[3:4], off
	v_mul_f32_e32 v8, s14, v19
	v_fma_f32 v1, v18, s14, -v1
	v_fmac_f32_e32 v8, s15, v18
	v_cmp_eq_u32_e64 s[2:3], v5, v2
	s_waitcnt vmcnt(0)
	v_mul_f32_e32 v9, s17, v7
	v_mul_f32_e32 v7, s16, v7
	v_fma_f32 v9, v6, s16, -v9
	v_fmac_f32_e32 v7, s17, v6
	v_add_f32_e32 v6, v1, v9
	v_add_f32_e32 v7, v8, v7
	global_store_dwordx2 v[3:4], v[6:7], off
	s_and_b64 exec, exec, s[2:3]
	s_cbranch_execz .LBB1264_10
; %bb.9:
	v_mov_b32_e32 v1, 0
	global_store_dword v[3:4], v1, off offset:4
.LBB1264_10:
	s_or_b64 exec, exec, s[4:5]
	v_add_u32_e32 v8, 16, v5
	v_ashrrev_i32_e32 v1, 31, v8
	v_mul_lo_u32 v6, s21, v8
	v_mad_u64_u32 v[3:4], s[2:3], s20, v8, 0
	v_mul_lo_u32 v1, s20, v1
	v_add3_u32 v4, v4, v1, v6
	v_lshlrev_b64 v[3:4], 3, v[3:4]
	v_mov_b32_e32 v1, s7
	v_add_co_u32_e64 v6, s[2:3], s6, v3
	v_addc_co_u32_e64 v7, s[2:3], v1, v4, s[2:3]
	v_cmp_le_i32_e64 s[2:3], v8, v0
	s_and_b64 s[4:5], s[2:3], vcc
	s_and_saveexec_b64 s[2:3], s[4:5]
	s_cbranch_execz .LBB1264_13
; %bb.11:
	v_ashrrev_i32_e32 v1, 31, v0
	v_lshlrev_b64 v[3:4], 3, v[0:1]
	v_mul_f32_e32 v1, s15, v17
	v_add_co_u32_e32 v3, vcc, v6, v3
	v_addc_co_u32_e32 v4, vcc, v7, v4, vcc
	global_load_dwordx2 v[11:12], v[3:4], off
	v_mul_f32_e32 v9, s14, v17
	v_fma_f32 v1, v16, s14, -v1
	v_fmac_f32_e32 v9, s15, v16
	v_cmp_eq_u32_e32 vcc, v8, v0
	s_waitcnt vmcnt(0)
	v_mul_f32_e32 v13, s17, v12
	v_mul_f32_e32 v12, s16, v12
	v_fma_f32 v13, v11, s16, -v13
	v_fmac_f32_e32 v12, s17, v11
	v_add_f32_e32 v11, v1, v13
	v_add_f32_e32 v12, v9, v12
	global_store_dwordx2 v[3:4], v[11:12], off
	s_and_b64 exec, exec, vcc
	s_cbranch_execz .LBB1264_13
; %bb.12:
	v_mov_b32_e32 v1, 0
	global_store_dword v[3:4], v1, off offset:4
.LBB1264_13:
	s_or_b64 exec, exec, s[2:3]
	v_cmp_le_i32_e32 vcc, v8, v2
	s_and_b64 s[0:1], vcc, s[0:1]
	s_and_saveexec_b64 s[2:3], s[0:1]
	s_cbranch_execz .LBB1264_16
; %bb.14:
	v_ashrrev_i32_e32 v3, 31, v2
	v_lshlrev_b64 v[1:2], 3, v[2:3]
	v_add_co_u32_e32 v1, vcc, v6, v1
	v_addc_co_u32_e32 v2, vcc, v7, v2, vcc
	global_load_dwordx2 v[3:4], v[1:2], off
	v_mul_f32_e32 v6, s15, v10
	v_mul_f32_e32 v7, s14, v10
	v_fma_f32 v6, v15, s14, -v6
	v_fmac_f32_e32 v7, s15, v15
	v_cmp_eq_u32_e32 vcc, v5, v0
	s_waitcnt vmcnt(0)
	v_mul_f32_e32 v8, s17, v4
	v_mul_f32_e32 v4, s16, v4
	v_fma_f32 v8, v3, s16, -v8
	v_fmac_f32_e32 v4, s17, v3
	v_add_f32_e32 v3, v6, v8
	v_add_f32_e32 v4, v7, v4
	global_store_dwordx2 v[1:2], v[3:4], off
	s_and_b64 exec, exec, vcc
	s_cbranch_execz .LBB1264_16
; %bb.15:
	v_mov_b32_e32 v0, 0
	global_store_dword v[1:2], v0, off offset:4
.LBB1264_16:
	s_endpgm
	.section	.rodata,"a",@progbits
	.p2align	6, 0x0
	.amdhsa_kernel _ZL37rocblas_syrkx_herkx_restricted_kernelIl19rocblas_complex_numIfELi16ELi32ELi8ELb0ELb1ELc84ELc76EKS1_S1_EviT_T0_PT8_S3_lS6_S3_lS4_PT9_S3_li
		.amdhsa_group_segment_fixed_size 4096
		.amdhsa_private_segment_fixed_size 0
		.amdhsa_kernarg_size 108
		.amdhsa_user_sgpr_count 6
		.amdhsa_user_sgpr_private_segment_buffer 1
		.amdhsa_user_sgpr_dispatch_ptr 0
		.amdhsa_user_sgpr_queue_ptr 0
		.amdhsa_user_sgpr_kernarg_segment_ptr 1
		.amdhsa_user_sgpr_dispatch_id 0
		.amdhsa_user_sgpr_flat_scratch_init 0
		.amdhsa_user_sgpr_private_segment_size 0
		.amdhsa_uses_dynamic_stack 0
		.amdhsa_system_sgpr_private_segment_wavefront_offset 0
		.amdhsa_system_sgpr_workgroup_id_x 1
		.amdhsa_system_sgpr_workgroup_id_y 1
		.amdhsa_system_sgpr_workgroup_id_z 1
		.amdhsa_system_sgpr_workgroup_info 0
		.amdhsa_system_vgpr_workitem_id 1
		.amdhsa_next_free_vgpr 41
		.amdhsa_next_free_sgpr 28
		.amdhsa_reserve_vcc 1
		.amdhsa_reserve_flat_scratch 0
		.amdhsa_float_round_mode_32 0
		.amdhsa_float_round_mode_16_64 0
		.amdhsa_float_denorm_mode_32 3
		.amdhsa_float_denorm_mode_16_64 3
		.amdhsa_dx10_clamp 1
		.amdhsa_ieee_mode 1
		.amdhsa_fp16_overflow 0
		.amdhsa_exception_fp_ieee_invalid_op 0
		.amdhsa_exception_fp_denorm_src 0
		.amdhsa_exception_fp_ieee_div_zero 0
		.amdhsa_exception_fp_ieee_overflow 0
		.amdhsa_exception_fp_ieee_underflow 0
		.amdhsa_exception_fp_ieee_inexact 0
		.amdhsa_exception_int_div_zero 0
	.end_amdhsa_kernel
	.section	.text._ZL37rocblas_syrkx_herkx_restricted_kernelIl19rocblas_complex_numIfELi16ELi32ELi8ELb0ELb1ELc84ELc76EKS1_S1_EviT_T0_PT8_S3_lS6_S3_lS4_PT9_S3_li,"axG",@progbits,_ZL37rocblas_syrkx_herkx_restricted_kernelIl19rocblas_complex_numIfELi16ELi32ELi8ELb0ELb1ELc84ELc76EKS1_S1_EviT_T0_PT8_S3_lS6_S3_lS4_PT9_S3_li,comdat
.Lfunc_end1264:
	.size	_ZL37rocblas_syrkx_herkx_restricted_kernelIl19rocblas_complex_numIfELi16ELi32ELi8ELb0ELb1ELc84ELc76EKS1_S1_EviT_T0_PT8_S3_lS6_S3_lS4_PT9_S3_li, .Lfunc_end1264-_ZL37rocblas_syrkx_herkx_restricted_kernelIl19rocblas_complex_numIfELi16ELi32ELi8ELb0ELb1ELc84ELc76EKS1_S1_EviT_T0_PT8_S3_lS6_S3_lS4_PT9_S3_li
                                        ; -- End function
	.set _ZL37rocblas_syrkx_herkx_restricted_kernelIl19rocblas_complex_numIfELi16ELi32ELi8ELb0ELb1ELc84ELc76EKS1_S1_EviT_T0_PT8_S3_lS6_S3_lS4_PT9_S3_li.num_vgpr, 41
	.set _ZL37rocblas_syrkx_herkx_restricted_kernelIl19rocblas_complex_numIfELi16ELi32ELi8ELb0ELb1ELc84ELc76EKS1_S1_EviT_T0_PT8_S3_lS6_S3_lS4_PT9_S3_li.num_agpr, 0
	.set _ZL37rocblas_syrkx_herkx_restricted_kernelIl19rocblas_complex_numIfELi16ELi32ELi8ELb0ELb1ELc84ELc76EKS1_S1_EviT_T0_PT8_S3_lS6_S3_lS4_PT9_S3_li.numbered_sgpr, 28
	.set _ZL37rocblas_syrkx_herkx_restricted_kernelIl19rocblas_complex_numIfELi16ELi32ELi8ELb0ELb1ELc84ELc76EKS1_S1_EviT_T0_PT8_S3_lS6_S3_lS4_PT9_S3_li.num_named_barrier, 0
	.set _ZL37rocblas_syrkx_herkx_restricted_kernelIl19rocblas_complex_numIfELi16ELi32ELi8ELb0ELb1ELc84ELc76EKS1_S1_EviT_T0_PT8_S3_lS6_S3_lS4_PT9_S3_li.private_seg_size, 0
	.set _ZL37rocblas_syrkx_herkx_restricted_kernelIl19rocblas_complex_numIfELi16ELi32ELi8ELb0ELb1ELc84ELc76EKS1_S1_EviT_T0_PT8_S3_lS6_S3_lS4_PT9_S3_li.uses_vcc, 1
	.set _ZL37rocblas_syrkx_herkx_restricted_kernelIl19rocblas_complex_numIfELi16ELi32ELi8ELb0ELb1ELc84ELc76EKS1_S1_EviT_T0_PT8_S3_lS6_S3_lS4_PT9_S3_li.uses_flat_scratch, 0
	.set _ZL37rocblas_syrkx_herkx_restricted_kernelIl19rocblas_complex_numIfELi16ELi32ELi8ELb0ELb1ELc84ELc76EKS1_S1_EviT_T0_PT8_S3_lS6_S3_lS4_PT9_S3_li.has_dyn_sized_stack, 0
	.set _ZL37rocblas_syrkx_herkx_restricted_kernelIl19rocblas_complex_numIfELi16ELi32ELi8ELb0ELb1ELc84ELc76EKS1_S1_EviT_T0_PT8_S3_lS6_S3_lS4_PT9_S3_li.has_recursion, 0
	.set _ZL37rocblas_syrkx_herkx_restricted_kernelIl19rocblas_complex_numIfELi16ELi32ELi8ELb0ELb1ELc84ELc76EKS1_S1_EviT_T0_PT8_S3_lS6_S3_lS4_PT9_S3_li.has_indirect_call, 0
	.section	.AMDGPU.csdata,"",@progbits
; Kernel info:
; codeLenInByte = 2308
; TotalNumSgprs: 32
; NumVgprs: 41
; ScratchSize: 0
; MemoryBound: 0
; FloatMode: 240
; IeeeMode: 1
; LDSByteSize: 4096 bytes/workgroup (compile time only)
; SGPRBlocks: 3
; VGPRBlocks: 10
; NumSGPRsForWavesPerEU: 32
; NumVGPRsForWavesPerEU: 41
; Occupancy: 5
; WaveLimiterHint : 0
; COMPUTE_PGM_RSRC2:SCRATCH_EN: 0
; COMPUTE_PGM_RSRC2:USER_SGPR: 6
; COMPUTE_PGM_RSRC2:TRAP_HANDLER: 0
; COMPUTE_PGM_RSRC2:TGID_X_EN: 1
; COMPUTE_PGM_RSRC2:TGID_Y_EN: 1
; COMPUTE_PGM_RSRC2:TGID_Z_EN: 1
; COMPUTE_PGM_RSRC2:TIDIG_COMP_CNT: 1
	.section	.text._ZL37rocblas_syrkx_herkx_restricted_kernelIl19rocblas_complex_numIfELi16ELi32ELi8ELb0ELb1ELc67ELc76EKS1_S1_EviT_T0_PT8_S3_lS6_S3_lS4_PT9_S3_li,"axG",@progbits,_ZL37rocblas_syrkx_herkx_restricted_kernelIl19rocblas_complex_numIfELi16ELi32ELi8ELb0ELb1ELc67ELc76EKS1_S1_EviT_T0_PT8_S3_lS6_S3_lS4_PT9_S3_li,comdat
	.globl	_ZL37rocblas_syrkx_herkx_restricted_kernelIl19rocblas_complex_numIfELi16ELi32ELi8ELb0ELb1ELc67ELc76EKS1_S1_EviT_T0_PT8_S3_lS6_S3_lS4_PT9_S3_li ; -- Begin function _ZL37rocblas_syrkx_herkx_restricted_kernelIl19rocblas_complex_numIfELi16ELi32ELi8ELb0ELb1ELc67ELc76EKS1_S1_EviT_T0_PT8_S3_lS6_S3_lS4_PT9_S3_li
	.p2align	8
	.type	_ZL37rocblas_syrkx_herkx_restricted_kernelIl19rocblas_complex_numIfELi16ELi32ELi8ELb0ELb1ELc67ELc76EKS1_S1_EviT_T0_PT8_S3_lS6_S3_lS4_PT9_S3_li,@function
_ZL37rocblas_syrkx_herkx_restricted_kernelIl19rocblas_complex_numIfELi16ELi32ELi8ELb0ELb1ELc67ELc76EKS1_S1_EviT_T0_PT8_S3_lS6_S3_lS4_PT9_S3_li: ; @_ZL37rocblas_syrkx_herkx_restricted_kernelIl19rocblas_complex_numIfELi16ELi32ELi8ELb0ELb1ELc67ELc76EKS1_S1_EviT_T0_PT8_S3_lS6_S3_lS4_PT9_S3_li
; %bb.0:
	s_load_dwordx16 s[12:27], s[4:5], 0x8
	s_lshl_b32 s2, s6, 5
	s_lshl_b32 s3, s7, 5
	s_waitcnt lgkmcnt(0)
	v_cmp_lt_i64_e64 s[0:1], s[12:13], 1
	s_and_b64 vcc, exec, s[0:1]
	s_cbranch_vccnz .LBB1265_3
; %bb.1:
	v_lshl_add_u32 v5, v1, 4, v0
	v_lshrrev_b32_e32 v6, 3, v5
	v_add_u32_e32 v2, s3, v6
	v_and_b32_e32 v9, 7, v0
	v_ashrrev_i32_e32 v3, 31, v2
	v_mov_b32_e32 v10, 0
	v_mul_lo_u32 v7, s24, v3
	v_mul_lo_u32 v8, s25, v2
	v_mad_u64_u32 v[2:3], s[0:1], s24, v2, v[9:10]
	v_and_b32_e32 v15, 31, v5
	v_lshrrev_b32_e32 v4, 5, v5
	v_add3_u32 v3, v8, v3, v7
	v_lshlrev_b32_e32 v7, 3, v15
	v_lshl_or_b32 v11, v4, 8, v7
	v_lshlrev_b32_e32 v7, 3, v9
	v_lshl_or_b32 v6, v6, 6, v7
	v_add_u32_e32 v12, 0x800, v6
	v_mov_b32_e32 v6, 0x800
	v_lshl_add_u32 v14, v1, 6, v6
	v_add_u32_e32 v6, s2, v15
	v_mov_b32_e32 v5, v10
	v_ashrrev_i32_e32 v7, 31, v6
	v_mul_lo_u32 v7, s18, v7
	v_mad_u64_u32 v[4:5], s[0:1], s18, v6, v[4:5]
	v_mul_lo_u32 v6, s19, v6
	s_mul_i32 s6, s21, s8
	s_mul_hi_u32 s7, s20, s8
	s_add_i32 s1, s7, s6
	s_mul_i32 s0, s20, s8
	s_lshl_b64 s[0:1], s[0:1], 3
	v_add3_u32 v5, v6, v5, v7
	v_lshlrev_b64 v[4:5], 3, v[4:5]
	s_add_u32 s0, s16, s0
	s_addc_u32 s1, s17, s1
	v_mov_b32_e32 v6, s1
	v_add_co_u32_e32 v4, vcc, s0, v4
	s_mul_i32 s0, s27, s8
	s_mul_hi_u32 s1, s26, s8
	s_add_i32 s1, s1, s0
	s_mul_i32 s0, s26, s8
	v_addc_co_u32_e32 v5, vcc, v6, v5, vcc
	s_lshl_b64 s[0:1], s[0:1], 3
	v_add_co_u32_e32 v6, vcc, 4, v4
	v_lshlrev_b64 v[2:3], 3, v[2:3]
	s_add_u32 s0, s22, s0
	v_addc_co_u32_e32 v7, vcc, 0, v5, vcc
	s_addc_u32 s1, s23, s1
	v_mov_b32_e32 v4, s1
	v_add_co_u32_e32 v2, vcc, s0, v2
	v_addc_co_u32_e32 v3, vcc, v4, v3, vcc
	v_add_co_u32_e32 v8, vcc, 4, v2
	v_lshlrev_b32_e32 v13, 3, v0
	v_addc_co_u32_e32 v9, vcc, 0, v3, vcc
	s_mov_b64 s[0:1], 0
	v_mov_b32_e32 v15, v10
	v_mov_b32_e32 v17, v10
	;; [unrolled: 1-line block ×7, first 2 shown]
.LBB1265_2:                             ; =>This Inner Loop Header: Depth=1
	global_load_dwordx2 v[2:3], v[6:7], off offset:-4
	v_add_co_u32_e32 v6, vcc, 64, v6
	s_add_u32 s0, s0, 8
	v_addc_co_u32_e32 v7, vcc, 0, v7, vcc
	s_addc_u32 s1, s1, 0
	s_waitcnt vmcnt(0)
	v_xor_b32_e32 v3, 0x80000000, v3
	ds_write_b64 v11, v[2:3]
	global_load_dwordx2 v[2:3], v[8:9], off offset:-4
	v_add_co_u32_e32 v8, vcc, 64, v8
	v_addc_co_u32_e32 v9, vcc, 0, v9, vcc
	s_waitcnt vmcnt(0)
	ds_write_b64 v12, v[2:3]
	s_waitcnt lgkmcnt(0)
	s_barrier
	ds_read_b128 v[22:25], v14
	ds_read_b128 v[26:29], v14 offset:16
	ds_read_b128 v[30:33], v14 offset:32
	ds_read_b128 v[2:5], v14 offset:48
	ds_read2_b64 v[34:37], v13 offset1:16
	s_waitcnt lgkmcnt(0)
	v_mul_f32_e32 v38, v23, v35
	v_mul_f32_e32 v39, v22, v35
	v_fma_f32 v38, v22, v34, -v38
	v_fmac_f32_e32 v39, v23, v34
	v_add_f32_e32 v38, v20, v38
	v_add_f32_e32 v39, v21, v39
	v_mul_f32_e32 v20, v23, v37
	v_mul_f32_e32 v21, v22, v37
	v_fma_f32 v20, v22, v36, -v20
	v_fmac_f32_e32 v21, v23, v36
	v_add_f32_e32 v22, v18, v20
	v_add_f32_e32 v23, v19, v21
	ds_read_b128 v[18:21], v14 offset:1024
	s_waitcnt lgkmcnt(0)
	v_mul_f32_e32 v40, v19, v35
	v_mul_f32_e32 v35, v18, v35
	v_fma_f32 v40, v18, v34, -v40
	v_fmac_f32_e32 v35, v19, v34
	v_add_f32_e32 v34, v16, v40
	v_add_f32_e32 v35, v17, v35
	v_mul_f32_e32 v16, v19, v37
	v_mul_f32_e32 v17, v18, v37
	v_fma_f32 v16, v18, v36, -v16
	v_fmac_f32_e32 v17, v19, v36
	v_add_f32_e32 v19, v15, v16
	v_add_f32_e32 v10, v10, v17
	ds_read2_b64 v[15:18], v13 offset0:32 offset1:48
	s_waitcnt lgkmcnt(0)
	v_mul_f32_e32 v36, v25, v16
	v_fma_f32 v36, v24, v15, -v36
	v_add_f32_e32 v36, v38, v36
	v_mul_f32_e32 v38, v25, v18
	v_mul_f32_e32 v37, v24, v16
	v_fma_f32 v38, v24, v17, -v38
	v_mul_f32_e32 v24, v24, v18
	v_fmac_f32_e32 v24, v25, v17
	v_add_f32_e32 v23, v23, v24
	v_mul_f32_e32 v24, v21, v16
	v_mul_f32_e32 v16, v20, v16
	v_fmac_f32_e32 v16, v21, v15
	v_fmac_f32_e32 v37, v25, v15
	v_fma_f32 v24, v20, v15, -v24
	v_add_f32_e32 v25, v35, v16
	v_mul_f32_e32 v15, v21, v18
	v_mul_f32_e32 v16, v20, v18
	v_fma_f32 v15, v20, v17, -v15
	v_fmac_f32_e32 v16, v21, v17
	v_add_f32_e32 v24, v34, v24
	v_add_f32_e32 v34, v19, v15
	;; [unrolled: 1-line block ×3, first 2 shown]
	ds_read2_b64 v[15:18], v13 offset0:64 offset1:80
	v_add_f32_e32 v37, v39, v37
	v_add_f32_e32 v22, v22, v38
	s_waitcnt lgkmcnt(0)
	v_mul_f32_e32 v19, v27, v16
	v_mul_f32_e32 v20, v26, v16
	v_fma_f32 v19, v26, v15, -v19
	v_fmac_f32_e32 v20, v27, v15
	v_add_f32_e32 v35, v36, v19
	v_add_f32_e32 v36, v37, v20
	v_mul_f32_e32 v19, v27, v18
	v_mul_f32_e32 v20, v26, v18
	v_fma_f32 v19, v26, v17, -v19
	v_fmac_f32_e32 v20, v27, v17
	v_add_f32_e32 v26, v22, v19
	v_add_f32_e32 v23, v23, v20
	ds_read_b128 v[19:22], v14 offset:1040
	s_waitcnt lgkmcnt(0)
	v_mul_f32_e32 v27, v20, v16
	v_mul_f32_e32 v16, v19, v16
	v_fmac_f32_e32 v16, v20, v15
	v_fma_f32 v27, v19, v15, -v27
	v_add_f32_e32 v25, v25, v16
	v_mul_f32_e32 v15, v20, v18
	v_mul_f32_e32 v16, v19, v18
	v_fma_f32 v15, v19, v17, -v15
	v_fmac_f32_e32 v16, v20, v17
	v_add_f32_e32 v19, v34, v15
	v_add_f32_e32 v10, v10, v16
	ds_read2_b64 v[15:18], v13 offset0:96 offset1:112
	v_add_f32_e32 v24, v24, v27
	s_waitcnt lgkmcnt(0)
	v_mul_f32_e32 v20, v29, v16
	v_mul_f32_e32 v34, v29, v18
	v_fma_f32 v20, v28, v15, -v20
	v_mul_f32_e32 v27, v28, v16
	v_fma_f32 v34, v28, v17, -v34
	v_mul_f32_e32 v28, v28, v18
	v_fmac_f32_e32 v28, v29, v17
	v_add_f32_e32 v23, v23, v28
	v_mul_f32_e32 v28, v22, v16
	v_mul_f32_e32 v16, v21, v16
	v_fmac_f32_e32 v16, v22, v15
	v_fmac_f32_e32 v27, v29, v15
	v_fma_f32 v28, v21, v15, -v28
	v_add_f32_e32 v25, v25, v16
	v_mul_f32_e32 v15, v22, v18
	v_mul_f32_e32 v16, v21, v18
	v_fma_f32 v15, v21, v17, -v15
	v_fmac_f32_e32 v16, v22, v17
	v_add_f32_e32 v24, v24, v28
	v_add_f32_e32 v28, v19, v15
	v_add_f32_e32 v10, v10, v16
	ds_read2_b64 v[15:18], v13 offset0:128 offset1:144
	v_add_f32_e32 v20, v35, v20
	v_add_f32_e32 v27, v36, v27
	v_add_f32_e32 v26, v26, v34
	s_waitcnt lgkmcnt(0)
	v_mul_f32_e32 v19, v31, v16
	v_fma_f32 v19, v30, v15, -v19
	v_mul_f32_e32 v21, v30, v16
	v_add_f32_e32 v29, v20, v19
	v_mul_f32_e32 v19, v31, v18
	v_mul_f32_e32 v20, v30, v18
	v_fmac_f32_e32 v21, v31, v15
	v_fma_f32 v19, v30, v17, -v19
	v_fmac_f32_e32 v20, v31, v17
	v_add_f32_e32 v27, v27, v21
	v_add_f32_e32 v26, v26, v19
	;; [unrolled: 1-line block ×3, first 2 shown]
	ds_read_b128 v[19:22], v14 offset:1056
	s_waitcnt lgkmcnt(0)
	v_mul_f32_e32 v30, v20, v16
	v_mul_f32_e32 v16, v19, v16
	v_fmac_f32_e32 v16, v20, v15
	v_fma_f32 v30, v19, v15, -v30
	v_add_f32_e32 v25, v25, v16
	v_mul_f32_e32 v15, v20, v18
	v_mul_f32_e32 v16, v19, v18
	v_fma_f32 v15, v19, v17, -v15
	v_fmac_f32_e32 v16, v20, v17
	v_add_f32_e32 v19, v28, v15
	v_add_f32_e32 v10, v10, v16
	ds_read2_b64 v[15:18], v13 offset0:160 offset1:176
	v_add_f32_e32 v24, v24, v30
	s_waitcnt lgkmcnt(0)
	v_mul_f32_e32 v28, v32, v16
	v_fmac_f32_e32 v28, v33, v15
	v_add_f32_e32 v27, v27, v28
	v_mul_f32_e32 v28, v33, v18
	v_fma_f32 v28, v32, v17, -v28
	v_mul_f32_e32 v20, v33, v16
	v_add_f32_e32 v26, v26, v28
	v_mul_f32_e32 v28, v22, v16
	v_mul_f32_e32 v16, v21, v16
	v_fmac_f32_e32 v16, v22, v15
	v_fma_f32 v20, v32, v15, -v20
	v_fma_f32 v28, v21, v15, -v28
	v_add_f32_e32 v25, v25, v16
	v_mul_f32_e32 v15, v22, v18
	v_mul_f32_e32 v16, v21, v18
	v_add_f32_e32 v20, v29, v20
	v_mul_f32_e32 v29, v32, v18
	v_fma_f32 v15, v21, v17, -v15
	v_fmac_f32_e32 v16, v22, v17
	v_fmac_f32_e32 v29, v33, v17
	v_add_f32_e32 v19, v19, v15
	v_add_f32_e32 v10, v10, v16
	ds_read2_b64 v[15:18], v13 offset0:192 offset1:208
	v_add_f32_e32 v24, v24, v28
	v_add_f32_e32 v23, v23, v29
	s_waitcnt lgkmcnt(0)
	v_mul_f32_e32 v21, v3, v16
	v_fma_f32 v21, v2, v15, -v21
	v_add_f32_e32 v28, v20, v21
	v_mul_f32_e32 v20, v3, v18
	v_mul_f32_e32 v22, v2, v16
	v_fma_f32 v20, v2, v17, -v20
	v_mul_f32_e32 v2, v2, v18
	v_fmac_f32_e32 v22, v3, v15
	v_fmac_f32_e32 v2, v3, v17
	v_add_f32_e32 v29, v27, v22
	v_add_f32_e32 v3, v26, v20
	;; [unrolled: 1-line block ×3, first 2 shown]
	ds_read_b128 v[20:23], v14 offset:1072
	s_waitcnt lgkmcnt(0)
	v_mul_f32_e32 v26, v21, v16
	v_mul_f32_e32 v16, v20, v16
	v_fma_f32 v26, v20, v15, -v26
	v_fmac_f32_e32 v16, v21, v15
	v_add_f32_e32 v15, v24, v26
	v_add_f32_e32 v30, v25, v16
	ds_read2_b64 v[24:27], v13 offset0:224 offset1:240
	v_mul_f32_e32 v16, v21, v18
	v_fma_f32 v16, v20, v17, -v16
	v_add_f32_e32 v31, v19, v16
	v_mul_f32_e32 v18, v20, v18
	s_waitcnt lgkmcnt(0)
	v_mul_f32_e32 v16, v5, v25
	v_fma_f32 v16, v4, v24, -v16
	v_add_f32_e32 v20, v28, v16
	v_mul_f32_e32 v16, v5, v27
	v_fmac_f32_e32 v18, v21, v17
	v_mul_f32_e32 v17, v4, v25
	v_fma_f32 v16, v4, v26, -v16
	v_mul_f32_e32 v4, v4, v27
	v_fmac_f32_e32 v4, v5, v26
	v_add_f32_e32 v10, v10, v18
	v_add_f32_e32 v18, v3, v16
	;; [unrolled: 1-line block ×3, first 2 shown]
	v_mul_f32_e32 v2, v23, v25
	v_mul_f32_e32 v3, v22, v25
	v_fmac_f32_e32 v17, v5, v24
	v_fma_f32 v2, v22, v24, -v2
	v_fmac_f32_e32 v3, v23, v24
	v_add_f32_e32 v21, v29, v17
	v_add_f32_e32 v16, v15, v2
	;; [unrolled: 1-line block ×3, first 2 shown]
	v_mul_f32_e32 v2, v23, v27
	v_mul_f32_e32 v3, v22, v27
	v_fma_f32 v2, v22, v26, -v2
	v_fmac_f32_e32 v3, v23, v26
	v_add_f32_e32 v15, v31, v2
	v_add_f32_e32 v10, v10, v3
	v_mov_b32_e32 v3, s1
	v_mov_b32_e32 v2, s0
	v_cmp_le_u64_e32 vcc, s[12:13], v[2:3]
	s_barrier
	s_cbranch_vccz .LBB1265_2
	s_branch .LBB1265_4
.LBB1265_3:
	v_mov_b32_e32 v20, 0
	v_mov_b32_e32 v21, 0
	;; [unrolled: 1-line block ×8, first 2 shown]
.LBB1265_4:
	s_load_dwordx8 s[16:23], s[4:5], 0x48
	s_nop 0
	s_load_dword s4, s[4:5], 0x0
	v_add_u32_e32 v5, s3, v1
	v_ashrrev_i32_e32 v1, 31, v5
	v_add_u32_e32 v0, s2, v0
	s_waitcnt lgkmcnt(0)
	v_mul_lo_u32 v3, s20, v1
	v_mul_lo_u32 v4, s21, v5
	v_mad_u64_u32 v[1:2], s[6:7], s20, v5, 0
	s_mul_i32 s0, s23, s8
	s_mul_hi_u32 s1, s22, s8
	s_add_i32 s1, s1, s0
	s_mul_i32 s0, s22, s8
	s_lshl_b64 s[0:1], s[0:1], 3
	v_add3_u32 v2, v2, v3, v4
	s_add_u32 s6, s18, s0
	v_lshlrev_b64 v[1:2], 3, v[1:2]
	s_addc_u32 s7, s19, s1
	v_mov_b32_e32 v3, s7
	v_add_co_u32_e32 v4, vcc, s6, v1
	v_addc_co_u32_e32 v6, vcc, v3, v2, vcc
	v_cmp_le_i32_e64 s[0:1], v5, v0
	v_cmp_gt_i32_e32 vcc, s4, v0
	s_and_b64 s[0:1], s[0:1], vcc
	s_and_saveexec_b64 s[2:3], s[0:1]
	s_cbranch_execz .LBB1265_7
; %bb.5:
	v_ashrrev_i32_e32 v1, 31, v0
	v_lshlrev_b64 v[1:2], 3, v[0:1]
	v_mul_f32_e32 v3, s15, v21
	v_add_co_u32_e64 v1, s[0:1], v4, v1
	v_addc_co_u32_e64 v2, s[0:1], v6, v2, s[0:1]
	global_load_dwordx2 v[7:8], v[1:2], off
	v_mul_f32_e32 v9, s14, v21
	v_fma_f32 v3, v20, s14, -v3
	v_fmac_f32_e32 v9, s15, v20
	v_cmp_eq_u32_e64 s[0:1], v5, v0
	s_waitcnt vmcnt(0)
	v_mul_f32_e32 v11, s17, v8
	v_mul_f32_e32 v8, s16, v8
	v_fma_f32 v11, v7, s16, -v11
	v_fmac_f32_e32 v8, s17, v7
	v_add_f32_e32 v7, v3, v11
	v_add_f32_e32 v8, v9, v8
	global_store_dwordx2 v[1:2], v[7:8], off
	s_and_b64 exec, exec, s[0:1]
	s_cbranch_execz .LBB1265_7
; %bb.6:
	v_mov_b32_e32 v3, 0
	global_store_dword v[1:2], v3, off offset:4
.LBB1265_7:
	s_or_b64 exec, exec, s[2:3]
	v_add_u32_e32 v2, 16, v0
	v_cmp_le_i32_e64 s[2:3], v5, v2
	v_cmp_gt_i32_e64 s[0:1], s4, v2
	s_and_b64 s[2:3], s[2:3], s[0:1]
	s_and_saveexec_b64 s[4:5], s[2:3]
	s_cbranch_execz .LBB1265_10
; %bb.8:
	v_ashrrev_i32_e32 v3, 31, v2
	v_lshlrev_b64 v[7:8], 3, v[2:3]
	v_mul_f32_e32 v1, s15, v19
	v_add_co_u32_e64 v3, s[2:3], v4, v7
	v_addc_co_u32_e64 v4, s[2:3], v6, v8, s[2:3]
	global_load_dwordx2 v[6:7], v[3:4], off
	v_mul_f32_e32 v8, s14, v19
	v_fma_f32 v1, v18, s14, -v1
	v_fmac_f32_e32 v8, s15, v18
	v_cmp_eq_u32_e64 s[2:3], v5, v2
	s_waitcnt vmcnt(0)
	v_mul_f32_e32 v9, s17, v7
	v_mul_f32_e32 v7, s16, v7
	v_fma_f32 v9, v6, s16, -v9
	v_fmac_f32_e32 v7, s17, v6
	v_add_f32_e32 v6, v1, v9
	v_add_f32_e32 v7, v8, v7
	global_store_dwordx2 v[3:4], v[6:7], off
	s_and_b64 exec, exec, s[2:3]
	s_cbranch_execz .LBB1265_10
; %bb.9:
	v_mov_b32_e32 v1, 0
	global_store_dword v[3:4], v1, off offset:4
.LBB1265_10:
	s_or_b64 exec, exec, s[4:5]
	v_add_u32_e32 v8, 16, v5
	v_ashrrev_i32_e32 v1, 31, v8
	v_mul_lo_u32 v6, s21, v8
	v_mad_u64_u32 v[3:4], s[2:3], s20, v8, 0
	v_mul_lo_u32 v1, s20, v1
	v_add3_u32 v4, v4, v1, v6
	v_lshlrev_b64 v[3:4], 3, v[3:4]
	v_mov_b32_e32 v1, s7
	v_add_co_u32_e64 v6, s[2:3], s6, v3
	v_addc_co_u32_e64 v7, s[2:3], v1, v4, s[2:3]
	v_cmp_le_i32_e64 s[2:3], v8, v0
	s_and_b64 s[4:5], s[2:3], vcc
	s_and_saveexec_b64 s[2:3], s[4:5]
	s_cbranch_execz .LBB1265_13
; %bb.11:
	v_ashrrev_i32_e32 v1, 31, v0
	v_lshlrev_b64 v[3:4], 3, v[0:1]
	v_mul_f32_e32 v1, s15, v17
	v_add_co_u32_e32 v3, vcc, v6, v3
	v_addc_co_u32_e32 v4, vcc, v7, v4, vcc
	global_load_dwordx2 v[11:12], v[3:4], off
	v_mul_f32_e32 v9, s14, v17
	v_fma_f32 v1, v16, s14, -v1
	v_fmac_f32_e32 v9, s15, v16
	v_cmp_eq_u32_e32 vcc, v8, v0
	s_waitcnt vmcnt(0)
	v_mul_f32_e32 v13, s17, v12
	v_mul_f32_e32 v12, s16, v12
	v_fma_f32 v13, v11, s16, -v13
	v_fmac_f32_e32 v12, s17, v11
	v_add_f32_e32 v11, v1, v13
	v_add_f32_e32 v12, v9, v12
	global_store_dwordx2 v[3:4], v[11:12], off
	s_and_b64 exec, exec, vcc
	s_cbranch_execz .LBB1265_13
; %bb.12:
	v_mov_b32_e32 v1, 0
	global_store_dword v[3:4], v1, off offset:4
.LBB1265_13:
	s_or_b64 exec, exec, s[2:3]
	v_cmp_le_i32_e32 vcc, v8, v2
	s_and_b64 s[0:1], vcc, s[0:1]
	s_and_saveexec_b64 s[2:3], s[0:1]
	s_cbranch_execz .LBB1265_16
; %bb.14:
	v_ashrrev_i32_e32 v3, 31, v2
	v_lshlrev_b64 v[1:2], 3, v[2:3]
	v_add_co_u32_e32 v1, vcc, v6, v1
	v_addc_co_u32_e32 v2, vcc, v7, v2, vcc
	global_load_dwordx2 v[3:4], v[1:2], off
	v_mul_f32_e32 v6, s15, v10
	v_mul_f32_e32 v7, s14, v10
	v_fma_f32 v6, v15, s14, -v6
	v_fmac_f32_e32 v7, s15, v15
	v_cmp_eq_u32_e32 vcc, v5, v0
	s_waitcnt vmcnt(0)
	v_mul_f32_e32 v8, s17, v4
	v_mul_f32_e32 v4, s16, v4
	v_fma_f32 v8, v3, s16, -v8
	v_fmac_f32_e32 v4, s17, v3
	v_add_f32_e32 v3, v6, v8
	v_add_f32_e32 v4, v7, v4
	global_store_dwordx2 v[1:2], v[3:4], off
	s_and_b64 exec, exec, vcc
	s_cbranch_execz .LBB1265_16
; %bb.15:
	v_mov_b32_e32 v0, 0
	global_store_dword v[1:2], v0, off offset:4
.LBB1265_16:
	s_endpgm
	.section	.rodata,"a",@progbits
	.p2align	6, 0x0
	.amdhsa_kernel _ZL37rocblas_syrkx_herkx_restricted_kernelIl19rocblas_complex_numIfELi16ELi32ELi8ELb0ELb1ELc67ELc76EKS1_S1_EviT_T0_PT8_S3_lS6_S3_lS4_PT9_S3_li
		.amdhsa_group_segment_fixed_size 4096
		.amdhsa_private_segment_fixed_size 0
		.amdhsa_kernarg_size 108
		.amdhsa_user_sgpr_count 6
		.amdhsa_user_sgpr_private_segment_buffer 1
		.amdhsa_user_sgpr_dispatch_ptr 0
		.amdhsa_user_sgpr_queue_ptr 0
		.amdhsa_user_sgpr_kernarg_segment_ptr 1
		.amdhsa_user_sgpr_dispatch_id 0
		.amdhsa_user_sgpr_flat_scratch_init 0
		.amdhsa_user_sgpr_private_segment_size 0
		.amdhsa_uses_dynamic_stack 0
		.amdhsa_system_sgpr_private_segment_wavefront_offset 0
		.amdhsa_system_sgpr_workgroup_id_x 1
		.amdhsa_system_sgpr_workgroup_id_y 1
		.amdhsa_system_sgpr_workgroup_id_z 1
		.amdhsa_system_sgpr_workgroup_info 0
		.amdhsa_system_vgpr_workitem_id 1
		.amdhsa_next_free_vgpr 41
		.amdhsa_next_free_sgpr 28
		.amdhsa_reserve_vcc 1
		.amdhsa_reserve_flat_scratch 0
		.amdhsa_float_round_mode_32 0
		.amdhsa_float_round_mode_16_64 0
		.amdhsa_float_denorm_mode_32 3
		.amdhsa_float_denorm_mode_16_64 3
		.amdhsa_dx10_clamp 1
		.amdhsa_ieee_mode 1
		.amdhsa_fp16_overflow 0
		.amdhsa_exception_fp_ieee_invalid_op 0
		.amdhsa_exception_fp_denorm_src 0
		.amdhsa_exception_fp_ieee_div_zero 0
		.amdhsa_exception_fp_ieee_overflow 0
		.amdhsa_exception_fp_ieee_underflow 0
		.amdhsa_exception_fp_ieee_inexact 0
		.amdhsa_exception_int_div_zero 0
	.end_amdhsa_kernel
	.section	.text._ZL37rocblas_syrkx_herkx_restricted_kernelIl19rocblas_complex_numIfELi16ELi32ELi8ELb0ELb1ELc67ELc76EKS1_S1_EviT_T0_PT8_S3_lS6_S3_lS4_PT9_S3_li,"axG",@progbits,_ZL37rocblas_syrkx_herkx_restricted_kernelIl19rocblas_complex_numIfELi16ELi32ELi8ELb0ELb1ELc67ELc76EKS1_S1_EviT_T0_PT8_S3_lS6_S3_lS4_PT9_S3_li,comdat
.Lfunc_end1265:
	.size	_ZL37rocblas_syrkx_herkx_restricted_kernelIl19rocblas_complex_numIfELi16ELi32ELi8ELb0ELb1ELc67ELc76EKS1_S1_EviT_T0_PT8_S3_lS6_S3_lS4_PT9_S3_li, .Lfunc_end1265-_ZL37rocblas_syrkx_herkx_restricted_kernelIl19rocblas_complex_numIfELi16ELi32ELi8ELb0ELb1ELc67ELc76EKS1_S1_EviT_T0_PT8_S3_lS6_S3_lS4_PT9_S3_li
                                        ; -- End function
	.set _ZL37rocblas_syrkx_herkx_restricted_kernelIl19rocblas_complex_numIfELi16ELi32ELi8ELb0ELb1ELc67ELc76EKS1_S1_EviT_T0_PT8_S3_lS6_S3_lS4_PT9_S3_li.num_vgpr, 41
	.set _ZL37rocblas_syrkx_herkx_restricted_kernelIl19rocblas_complex_numIfELi16ELi32ELi8ELb0ELb1ELc67ELc76EKS1_S1_EviT_T0_PT8_S3_lS6_S3_lS4_PT9_S3_li.num_agpr, 0
	.set _ZL37rocblas_syrkx_herkx_restricted_kernelIl19rocblas_complex_numIfELi16ELi32ELi8ELb0ELb1ELc67ELc76EKS1_S1_EviT_T0_PT8_S3_lS6_S3_lS4_PT9_S3_li.numbered_sgpr, 28
	.set _ZL37rocblas_syrkx_herkx_restricted_kernelIl19rocblas_complex_numIfELi16ELi32ELi8ELb0ELb1ELc67ELc76EKS1_S1_EviT_T0_PT8_S3_lS6_S3_lS4_PT9_S3_li.num_named_barrier, 0
	.set _ZL37rocblas_syrkx_herkx_restricted_kernelIl19rocblas_complex_numIfELi16ELi32ELi8ELb0ELb1ELc67ELc76EKS1_S1_EviT_T0_PT8_S3_lS6_S3_lS4_PT9_S3_li.private_seg_size, 0
	.set _ZL37rocblas_syrkx_herkx_restricted_kernelIl19rocblas_complex_numIfELi16ELi32ELi8ELb0ELb1ELc67ELc76EKS1_S1_EviT_T0_PT8_S3_lS6_S3_lS4_PT9_S3_li.uses_vcc, 1
	.set _ZL37rocblas_syrkx_herkx_restricted_kernelIl19rocblas_complex_numIfELi16ELi32ELi8ELb0ELb1ELc67ELc76EKS1_S1_EviT_T0_PT8_S3_lS6_S3_lS4_PT9_S3_li.uses_flat_scratch, 0
	.set _ZL37rocblas_syrkx_herkx_restricted_kernelIl19rocblas_complex_numIfELi16ELi32ELi8ELb0ELb1ELc67ELc76EKS1_S1_EviT_T0_PT8_S3_lS6_S3_lS4_PT9_S3_li.has_dyn_sized_stack, 0
	.set _ZL37rocblas_syrkx_herkx_restricted_kernelIl19rocblas_complex_numIfELi16ELi32ELi8ELb0ELb1ELc67ELc76EKS1_S1_EviT_T0_PT8_S3_lS6_S3_lS4_PT9_S3_li.has_recursion, 0
	.set _ZL37rocblas_syrkx_herkx_restricted_kernelIl19rocblas_complex_numIfELi16ELi32ELi8ELb0ELb1ELc67ELc76EKS1_S1_EviT_T0_PT8_S3_lS6_S3_lS4_PT9_S3_li.has_indirect_call, 0
	.section	.AMDGPU.csdata,"",@progbits
; Kernel info:
; codeLenInByte = 2316
; TotalNumSgprs: 32
; NumVgprs: 41
; ScratchSize: 0
; MemoryBound: 0
; FloatMode: 240
; IeeeMode: 1
; LDSByteSize: 4096 bytes/workgroup (compile time only)
; SGPRBlocks: 3
; VGPRBlocks: 10
; NumSGPRsForWavesPerEU: 32
; NumVGPRsForWavesPerEU: 41
; Occupancy: 5
; WaveLimiterHint : 0
; COMPUTE_PGM_RSRC2:SCRATCH_EN: 0
; COMPUTE_PGM_RSRC2:USER_SGPR: 6
; COMPUTE_PGM_RSRC2:TRAP_HANDLER: 0
; COMPUTE_PGM_RSRC2:TGID_X_EN: 1
; COMPUTE_PGM_RSRC2:TGID_Y_EN: 1
; COMPUTE_PGM_RSRC2:TGID_Z_EN: 1
; COMPUTE_PGM_RSRC2:TIDIG_COMP_CNT: 1
	.section	.text._ZL37rocblas_syrkx_herkx_restricted_kernelIl19rocblas_complex_numIfELi16ELi32ELi8ELb0ELb1ELc78ELc76EKS1_S1_EviT_T0_PT8_S3_lS6_S3_lS4_PT9_S3_li,"axG",@progbits,_ZL37rocblas_syrkx_herkx_restricted_kernelIl19rocblas_complex_numIfELi16ELi32ELi8ELb0ELb1ELc78ELc76EKS1_S1_EviT_T0_PT8_S3_lS6_S3_lS4_PT9_S3_li,comdat
	.globl	_ZL37rocblas_syrkx_herkx_restricted_kernelIl19rocblas_complex_numIfELi16ELi32ELi8ELb0ELb1ELc78ELc76EKS1_S1_EviT_T0_PT8_S3_lS6_S3_lS4_PT9_S3_li ; -- Begin function _ZL37rocblas_syrkx_herkx_restricted_kernelIl19rocblas_complex_numIfELi16ELi32ELi8ELb0ELb1ELc78ELc76EKS1_S1_EviT_T0_PT8_S3_lS6_S3_lS4_PT9_S3_li
	.p2align	8
	.type	_ZL37rocblas_syrkx_herkx_restricted_kernelIl19rocblas_complex_numIfELi16ELi32ELi8ELb0ELb1ELc78ELc76EKS1_S1_EviT_T0_PT8_S3_lS6_S3_lS4_PT9_S3_li,@function
_ZL37rocblas_syrkx_herkx_restricted_kernelIl19rocblas_complex_numIfELi16ELi32ELi8ELb0ELb1ELc78ELc76EKS1_S1_EviT_T0_PT8_S3_lS6_S3_lS4_PT9_S3_li: ; @_ZL37rocblas_syrkx_herkx_restricted_kernelIl19rocblas_complex_numIfELi16ELi32ELi8ELb0ELb1ELc78ELc76EKS1_S1_EviT_T0_PT8_S3_lS6_S3_lS4_PT9_S3_li
; %bb.0:
	s_load_dwordx16 s[12:27], s[4:5], 0x8
	s_lshl_b32 s9, s6, 5
	s_lshl_b32 s10, s7, 5
	s_waitcnt lgkmcnt(0)
	v_cmp_lt_i64_e64 s[0:1], s[12:13], 1
	s_and_b64 vcc, exec, s[0:1]
	s_cbranch_vccnz .LBB1266_3
; %bb.1:
	v_lshl_add_u32 v5, v1, 4, v0
	v_lshrrev_b32_e32 v6, 3, v5
	v_add_u32_e32 v2, s10, v6
	v_and_b32_e32 v7, 7, v0
	v_ashrrev_i32_e32 v3, 31, v2
	v_mad_u64_u32 v[2:3], s[0:1], s24, v7, v[2:3]
	v_lshrrev_b32_e32 v8, 5, v5
	s_mul_i32 s2, s21, s8
	v_mad_u64_u32 v[3:4], s[0:1], s25, v7, v[3:4]
	v_and_b32_e32 v4, 31, v5
	v_lshlrev_b32_e32 v5, 3, v4
	v_lshl_or_b32 v10, v8, 8, v5
	v_lshlrev_b32_e32 v5, 3, v7
	v_lshl_or_b32 v5, v6, 6, v5
	v_add_u32_e32 v4, s9, v4
	v_add_u32_e32 v11, 0x800, v5
	v_ashrrev_i32_e32 v5, 31, v4
	v_mad_u64_u32 v[4:5], s[0:1], s18, v8, v[4:5]
	v_mov_b32_e32 v6, 0x800
	v_lshl_add_u32 v13, v1, 6, v6
	v_mad_u64_u32 v[5:6], s[0:1], s19, v8, v[5:6]
	s_mul_hi_u32 s3, s20, s8
	s_add_i32 s1, s3, s2
	s_mul_i32 s0, s20, s8
	s_lshl_b64 s[0:1], s[0:1], 3
	v_lshlrev_b64 v[4:5], 3, v[4:5]
	s_add_u32 s0, s16, s0
	s_addc_u32 s1, s17, s1
	s_mul_i32 s2, s27, s8
	s_mul_hi_u32 s3, s26, s8
	v_mov_b32_e32 v6, s1
	v_add_co_u32_e32 v4, vcc, s0, v4
	s_add_i32 s3, s3, s2
	s_mul_i32 s2, s26, s8
	v_addc_co_u32_e32 v5, vcc, v6, v5, vcc
	s_lshl_b64 s[0:1], s[18:19], 6
	s_lshl_b64 s[2:3], s[2:3], 3
	v_add_co_u32_e32 v6, vcc, 4, v4
	v_lshlrev_b64 v[2:3], 3, v[2:3]
	s_add_u32 s2, s22, s2
	v_addc_co_u32_e32 v7, vcc, 0, v5, vcc
	s_addc_u32 s3, s23, s3
	v_mov_b32_e32 v4, s3
	v_add_co_u32_e32 v2, vcc, s2, v2
	v_addc_co_u32_e32 v3, vcc, v4, v3, vcc
	v_add_co_u32_e32 v8, vcc, 4, v2
	s_lshl_b64 s[2:3], s[24:25], 6
	v_lshlrev_b32_e32 v12, 3, v0
	v_addc_co_u32_e32 v9, vcc, 0, v3, vcc
	v_mov_b32_e32 v16, 0
	s_mov_b64 s[6:7], 0
	v_mov_b32_e32 v14, s1
	v_mov_b32_e32 v15, s3
	;; [unrolled: 1-line block ×9, first 2 shown]
.LBB1266_2:                             ; =>This Inner Loop Header: Depth=1
	global_load_dwordx2 v[2:3], v[6:7], off offset:-4
	v_add_co_u32_e32 v6, vcc, s0, v6
	s_add_u32 s6, s6, 8
	v_addc_co_u32_e32 v7, vcc, v7, v14, vcc
	s_addc_u32 s7, s7, 0
	s_waitcnt vmcnt(0)
	ds_write_b64 v10, v[2:3]
	global_load_dwordx2 v[2:3], v[8:9], off offset:-4
	v_add_co_u32_e32 v8, vcc, s2, v8
	v_addc_co_u32_e32 v9, vcc, v9, v15, vcc
	s_waitcnt vmcnt(0)
	v_xor_b32_e32 v3, 0x80000000, v3
	ds_write_b64 v11, v[2:3]
	s_waitcnt lgkmcnt(0)
	s_barrier
	ds_read_b128 v[24:27], v13
	ds_read_b128 v[28:31], v13 offset:16
	ds_read_b128 v[32:35], v13 offset:32
	;; [unrolled: 1-line block ×3, first 2 shown]
	ds_read2_b64 v[36:39], v12 offset1:16
	s_waitcnt lgkmcnt(0)
	v_mul_f32_e32 v40, v25, v37
	v_mul_f32_e32 v41, v24, v37
	v_fma_f32 v40, v24, v36, -v40
	v_fmac_f32_e32 v41, v25, v36
	v_add_f32_e32 v40, v22, v40
	v_add_f32_e32 v41, v23, v41
	v_mul_f32_e32 v22, v25, v39
	v_mul_f32_e32 v23, v24, v39
	v_fma_f32 v22, v24, v38, -v22
	v_fmac_f32_e32 v23, v25, v38
	v_add_f32_e32 v24, v20, v22
	v_add_f32_e32 v25, v21, v23
	ds_read_b128 v[20:23], v13 offset:1024
	s_waitcnt lgkmcnt(0)
	v_mul_f32_e32 v42, v21, v37
	v_mul_f32_e32 v37, v20, v37
	v_fma_f32 v42, v20, v36, -v42
	v_fmac_f32_e32 v37, v21, v36
	v_add_f32_e32 v36, v18, v42
	v_add_f32_e32 v37, v19, v37
	v_mul_f32_e32 v18, v21, v39
	v_mul_f32_e32 v19, v20, v39
	v_fma_f32 v18, v20, v38, -v18
	v_fmac_f32_e32 v19, v21, v38
	v_add_f32_e32 v20, v17, v18
	v_add_f32_e32 v21, v16, v19
	ds_read2_b64 v[16:19], v12 offset0:32 offset1:48
	s_waitcnt lgkmcnt(0)
	v_mul_f32_e32 v38, v27, v17
	v_fma_f32 v38, v26, v16, -v38
	v_add_f32_e32 v38, v40, v38
	v_mul_f32_e32 v40, v27, v19
	v_mul_f32_e32 v39, v26, v17
	v_fma_f32 v40, v26, v18, -v40
	v_mul_f32_e32 v26, v26, v19
	v_fmac_f32_e32 v26, v27, v18
	v_add_f32_e32 v25, v25, v26
	v_mul_f32_e32 v26, v23, v17
	v_mul_f32_e32 v17, v22, v17
	v_fmac_f32_e32 v17, v23, v16
	v_fmac_f32_e32 v39, v27, v16
	v_fma_f32 v26, v22, v16, -v26
	v_add_f32_e32 v27, v37, v17
	v_mul_f32_e32 v16, v23, v19
	v_mul_f32_e32 v17, v22, v19
	v_fma_f32 v16, v22, v18, -v16
	v_fmac_f32_e32 v17, v23, v18
	v_add_f32_e32 v26, v36, v26
	v_add_f32_e32 v36, v20, v16
	;; [unrolled: 1-line block ×3, first 2 shown]
	ds_read2_b64 v[16:19], v12 offset0:64 offset1:80
	v_add_f32_e32 v39, v41, v39
	v_add_f32_e32 v24, v24, v40
	s_waitcnt lgkmcnt(0)
	v_mul_f32_e32 v20, v29, v17
	v_mul_f32_e32 v21, v28, v17
	v_fma_f32 v20, v28, v16, -v20
	v_fmac_f32_e32 v21, v29, v16
	v_add_f32_e32 v38, v38, v20
	v_add_f32_e32 v39, v39, v21
	v_mul_f32_e32 v20, v29, v19
	v_mul_f32_e32 v21, v28, v19
	v_fma_f32 v20, v28, v18, -v20
	v_fmac_f32_e32 v21, v29, v18
	v_add_f32_e32 v24, v24, v20
	v_add_f32_e32 v25, v25, v21
	ds_read_b128 v[20:23], v13 offset:1040
	s_waitcnt lgkmcnt(0)
	v_mul_f32_e32 v28, v21, v17
	v_mul_f32_e32 v17, v20, v17
	v_fmac_f32_e32 v17, v21, v16
	v_fma_f32 v28, v20, v16, -v28
	v_add_f32_e32 v27, v27, v17
	v_mul_f32_e32 v16, v21, v19
	v_mul_f32_e32 v17, v20, v19
	v_fma_f32 v16, v20, v18, -v16
	v_fmac_f32_e32 v17, v21, v18
	v_add_f32_e32 v20, v36, v16
	v_add_f32_e32 v21, v37, v17
	ds_read2_b64 v[16:19], v12 offset0:96 offset1:112
	v_add_f32_e32 v26, v26, v28
	s_waitcnt lgkmcnt(0)
	v_mul_f32_e32 v28, v31, v17
	v_mul_f32_e32 v36, v31, v19
	v_fma_f32 v28, v30, v16, -v28
	v_mul_f32_e32 v29, v30, v17
	v_fma_f32 v36, v30, v18, -v36
	v_mul_f32_e32 v30, v30, v19
	v_fmac_f32_e32 v30, v31, v18
	v_add_f32_e32 v25, v25, v30
	v_mul_f32_e32 v30, v23, v17
	v_mul_f32_e32 v17, v22, v17
	v_fmac_f32_e32 v17, v23, v16
	v_fmac_f32_e32 v29, v31, v16
	v_fma_f32 v30, v22, v16, -v30
	v_add_f32_e32 v27, v27, v17
	v_mul_f32_e32 v16, v23, v19
	v_mul_f32_e32 v17, v22, v19
	v_fma_f32 v16, v22, v18, -v16
	v_fmac_f32_e32 v17, v23, v18
	v_add_f32_e32 v26, v26, v30
	v_add_f32_e32 v30, v20, v16
	;; [unrolled: 1-line block ×3, first 2 shown]
	ds_read2_b64 v[16:19], v12 offset0:128 offset1:144
	v_add_f32_e32 v28, v38, v28
	v_add_f32_e32 v29, v39, v29
	;; [unrolled: 1-line block ×3, first 2 shown]
	s_waitcnt lgkmcnt(0)
	v_mul_f32_e32 v20, v33, v17
	v_mul_f32_e32 v21, v32, v17
	v_fma_f32 v20, v32, v16, -v20
	v_fmac_f32_e32 v21, v33, v16
	v_add_f32_e32 v28, v28, v20
	v_add_f32_e32 v29, v29, v21
	v_mul_f32_e32 v20, v33, v19
	v_mul_f32_e32 v21, v32, v19
	v_fma_f32 v20, v32, v18, -v20
	v_fmac_f32_e32 v21, v33, v18
	v_add_f32_e32 v24, v24, v20
	v_add_f32_e32 v25, v25, v21
	ds_read_b128 v[20:23], v13 offset:1056
	s_waitcnt lgkmcnt(0)
	v_mul_f32_e32 v32, v21, v17
	v_mul_f32_e32 v17, v20, v17
	v_fmac_f32_e32 v17, v21, v16
	v_fma_f32 v32, v20, v16, -v32
	v_add_f32_e32 v27, v27, v17
	v_mul_f32_e32 v16, v21, v19
	v_mul_f32_e32 v17, v20, v19
	v_fma_f32 v16, v20, v18, -v16
	v_fmac_f32_e32 v17, v21, v18
	v_add_f32_e32 v20, v30, v16
	v_add_f32_e32 v21, v31, v17
	ds_read2_b64 v[16:19], v12 offset0:160 offset1:176
	v_add_f32_e32 v26, v26, v32
	s_waitcnt lgkmcnt(0)
	v_mul_f32_e32 v30, v35, v17
	v_fma_f32 v30, v34, v16, -v30
	v_add_f32_e32 v28, v28, v30
	v_mul_f32_e32 v30, v35, v19
	v_fma_f32 v30, v34, v18, -v30
	v_mul_f32_e32 v31, v34, v17
	v_add_f32_e32 v24, v24, v30
	v_mul_f32_e32 v30, v23, v17
	v_mul_f32_e32 v17, v22, v17
	v_fmac_f32_e32 v17, v23, v16
	v_fmac_f32_e32 v31, v35, v16
	v_fma_f32 v30, v22, v16, -v30
	v_add_f32_e32 v27, v27, v17
	v_mul_f32_e32 v16, v23, v19
	v_mul_f32_e32 v17, v22, v19
	v_add_f32_e32 v29, v29, v31
	v_mul_f32_e32 v31, v34, v19
	v_fma_f32 v16, v22, v18, -v16
	v_fmac_f32_e32 v17, v23, v18
	v_fmac_f32_e32 v31, v35, v18
	v_add_f32_e32 v20, v20, v16
	v_add_f32_e32 v21, v21, v17
	ds_read2_b64 v[16:19], v12 offset0:192 offset1:208
	v_add_f32_e32 v26, v26, v30
	v_add_f32_e32 v25, v25, v31
	s_waitcnt lgkmcnt(0)
	v_mul_f32_e32 v22, v3, v17
	v_fma_f32 v22, v2, v16, -v22
	v_add_f32_e32 v30, v28, v22
	v_mul_f32_e32 v22, v3, v19
	v_mul_f32_e32 v23, v2, v17
	v_fma_f32 v22, v2, v18, -v22
	v_mul_f32_e32 v2, v2, v19
	v_fmac_f32_e32 v23, v3, v16
	v_fmac_f32_e32 v2, v3, v18
	v_add_f32_e32 v31, v29, v23
	v_add_f32_e32 v3, v24, v22
	;; [unrolled: 1-line block ×3, first 2 shown]
	ds_read_b128 v[22:25], v13 offset:1072
	s_waitcnt lgkmcnt(0)
	v_mul_f32_e32 v28, v23, v17
	v_fma_f32 v28, v22, v16, -v28
	v_mul_f32_e32 v17, v22, v17
	v_fmac_f32_e32 v17, v23, v16
	v_add_f32_e32 v16, v26, v28
	v_mul_f32_e32 v26, v23, v19
	v_fma_f32 v26, v22, v18, -v26
	v_add_f32_e32 v17, v27, v17
	v_add_f32_e32 v32, v20, v26
	ds_read2_b64 v[26:29], v12 offset0:224 offset1:240
	v_mul_f32_e32 v19, v22, v19
	v_fmac_f32_e32 v19, v23, v18
	v_add_f32_e32 v33, v21, v19
	s_waitcnt lgkmcnt(0)
	v_mul_f32_e32 v18, v5, v27
	v_fma_f32 v18, v4, v26, -v18
	v_add_f32_e32 v22, v30, v18
	v_mul_f32_e32 v18, v5, v29
	v_mul_f32_e32 v19, v4, v27
	v_fma_f32 v18, v4, v28, -v18
	v_mul_f32_e32 v4, v4, v29
	v_fmac_f32_e32 v4, v5, v28
	v_add_f32_e32 v20, v3, v18
	v_add_f32_e32 v21, v2, v4
	v_mul_f32_e32 v2, v25, v27
	v_mul_f32_e32 v3, v24, v27
	v_fmac_f32_e32 v19, v5, v26
	v_fma_f32 v2, v24, v26, -v2
	v_fmac_f32_e32 v3, v25, v26
	v_add_f32_e32 v23, v31, v19
	v_add_f32_e32 v18, v16, v2
	;; [unrolled: 1-line block ×3, first 2 shown]
	v_mul_f32_e32 v2, v25, v29
	v_mul_f32_e32 v3, v24, v29
	v_fma_f32 v2, v24, v28, -v2
	v_fmac_f32_e32 v3, v25, v28
	v_add_f32_e32 v17, v32, v2
	v_add_f32_e32 v16, v33, v3
	v_mov_b32_e32 v2, s6
	v_mov_b32_e32 v3, s7
	v_cmp_le_u64_e32 vcc, s[12:13], v[2:3]
	s_barrier
	s_cbranch_vccz .LBB1266_2
	s_branch .LBB1266_4
.LBB1266_3:
	v_mov_b32_e32 v22, 0
	v_mov_b32_e32 v23, 0
	;; [unrolled: 1-line block ×8, first 2 shown]
.LBB1266_4:
	s_load_dwordx8 s[16:23], s[4:5], 0x48
	s_nop 0
	s_load_dword s4, s[4:5], 0x0
	v_add_u32_e32 v5, s10, v1
	v_ashrrev_i32_e32 v1, 31, v5
	v_add_u32_e32 v0, s9, v0
	s_waitcnt lgkmcnt(0)
	v_mul_lo_u32 v3, s20, v1
	v_mul_lo_u32 v4, s21, v5
	v_mad_u64_u32 v[1:2], s[2:3], s20, v5, 0
	s_mul_i32 s0, s23, s8
	s_mul_hi_u32 s1, s22, s8
	s_add_i32 s1, s1, s0
	s_mul_i32 s0, s22, s8
	s_lshl_b64 s[0:1], s[0:1], 3
	v_add3_u32 v2, v2, v3, v4
	s_add_u32 s6, s18, s0
	v_lshlrev_b64 v[1:2], 3, v[1:2]
	s_addc_u32 s7, s19, s1
	v_mov_b32_e32 v3, s7
	v_add_co_u32_e32 v4, vcc, s6, v1
	v_addc_co_u32_e32 v6, vcc, v3, v2, vcc
	v_cmp_le_i32_e64 s[0:1], v5, v0
	v_cmp_gt_i32_e32 vcc, s4, v0
	s_and_b64 s[0:1], s[0:1], vcc
	s_and_saveexec_b64 s[2:3], s[0:1]
	s_cbranch_execz .LBB1266_7
; %bb.5:
	v_ashrrev_i32_e32 v1, 31, v0
	v_lshlrev_b64 v[1:2], 3, v[0:1]
	v_mul_f32_e32 v3, s15, v23
	v_add_co_u32_e64 v1, s[0:1], v4, v1
	v_addc_co_u32_e64 v2, s[0:1], v6, v2, s[0:1]
	global_load_dwordx2 v[7:8], v[1:2], off
	v_mul_f32_e32 v9, s14, v23
	v_fma_f32 v3, v22, s14, -v3
	v_fmac_f32_e32 v9, s15, v22
	v_cmp_eq_u32_e64 s[0:1], v5, v0
	s_waitcnt vmcnt(0)
	v_mul_f32_e32 v10, s17, v8
	v_mul_f32_e32 v8, s16, v8
	v_fma_f32 v10, v7, s16, -v10
	v_fmac_f32_e32 v8, s17, v7
	v_add_f32_e32 v7, v3, v10
	v_add_f32_e32 v8, v9, v8
	global_store_dwordx2 v[1:2], v[7:8], off
	s_and_b64 exec, exec, s[0:1]
	s_cbranch_execz .LBB1266_7
; %bb.6:
	v_mov_b32_e32 v3, 0
	global_store_dword v[1:2], v3, off offset:4
.LBB1266_7:
	s_or_b64 exec, exec, s[2:3]
	v_add_u32_e32 v2, 16, v0
	v_cmp_le_i32_e64 s[2:3], v5, v2
	v_cmp_gt_i32_e64 s[0:1], s4, v2
	s_and_b64 s[2:3], s[2:3], s[0:1]
	s_and_saveexec_b64 s[4:5], s[2:3]
	s_cbranch_execz .LBB1266_10
; %bb.8:
	v_ashrrev_i32_e32 v3, 31, v2
	v_lshlrev_b64 v[7:8], 3, v[2:3]
	v_mul_f32_e32 v1, s15, v21
	v_add_co_u32_e64 v3, s[2:3], v4, v7
	v_addc_co_u32_e64 v4, s[2:3], v6, v8, s[2:3]
	global_load_dwordx2 v[6:7], v[3:4], off
	v_mul_f32_e32 v8, s14, v21
	v_fma_f32 v1, v20, s14, -v1
	v_fmac_f32_e32 v8, s15, v20
	v_cmp_eq_u32_e64 s[2:3], v5, v2
	s_waitcnt vmcnt(0)
	v_mul_f32_e32 v9, s17, v7
	v_mul_f32_e32 v7, s16, v7
	v_fma_f32 v9, v6, s16, -v9
	v_fmac_f32_e32 v7, s17, v6
	v_add_f32_e32 v6, v1, v9
	v_add_f32_e32 v7, v8, v7
	global_store_dwordx2 v[3:4], v[6:7], off
	s_and_b64 exec, exec, s[2:3]
	s_cbranch_execz .LBB1266_10
; %bb.9:
	v_mov_b32_e32 v1, 0
	global_store_dword v[3:4], v1, off offset:4
.LBB1266_10:
	s_or_b64 exec, exec, s[4:5]
	v_add_u32_e32 v8, 16, v5
	v_ashrrev_i32_e32 v1, 31, v8
	v_mul_lo_u32 v6, s21, v8
	v_mad_u64_u32 v[3:4], s[2:3], s20, v8, 0
	v_mul_lo_u32 v1, s20, v1
	v_add3_u32 v4, v4, v1, v6
	v_lshlrev_b64 v[3:4], 3, v[3:4]
	v_mov_b32_e32 v1, s7
	v_add_co_u32_e64 v6, s[2:3], s6, v3
	v_addc_co_u32_e64 v7, s[2:3], v1, v4, s[2:3]
	v_cmp_le_i32_e64 s[2:3], v8, v0
	s_and_b64 s[4:5], s[2:3], vcc
	s_and_saveexec_b64 s[2:3], s[4:5]
	s_cbranch_execz .LBB1266_13
; %bb.11:
	v_ashrrev_i32_e32 v1, 31, v0
	v_lshlrev_b64 v[3:4], 3, v[0:1]
	v_mul_f32_e32 v1, s15, v19
	v_add_co_u32_e32 v3, vcc, v6, v3
	v_addc_co_u32_e32 v4, vcc, v7, v4, vcc
	global_load_dwordx2 v[9:10], v[3:4], off
	v_mul_f32_e32 v11, s14, v19
	v_fma_f32 v1, v18, s14, -v1
	v_fmac_f32_e32 v11, s15, v18
	v_cmp_eq_u32_e32 vcc, v8, v0
	s_waitcnt vmcnt(0)
	v_mul_f32_e32 v12, s17, v10
	v_mul_f32_e32 v10, s16, v10
	v_fma_f32 v12, v9, s16, -v12
	v_fmac_f32_e32 v10, s17, v9
	v_add_f32_e32 v9, v1, v12
	v_add_f32_e32 v10, v11, v10
	global_store_dwordx2 v[3:4], v[9:10], off
	s_and_b64 exec, exec, vcc
	s_cbranch_execz .LBB1266_13
; %bb.12:
	v_mov_b32_e32 v1, 0
	global_store_dword v[3:4], v1, off offset:4
.LBB1266_13:
	s_or_b64 exec, exec, s[2:3]
	v_cmp_le_i32_e32 vcc, v8, v2
	s_and_b64 s[0:1], vcc, s[0:1]
	s_and_saveexec_b64 s[2:3], s[0:1]
	s_cbranch_execz .LBB1266_16
; %bb.14:
	v_ashrrev_i32_e32 v3, 31, v2
	v_lshlrev_b64 v[1:2], 3, v[2:3]
	v_add_co_u32_e32 v1, vcc, v6, v1
	v_addc_co_u32_e32 v2, vcc, v7, v2, vcc
	global_load_dwordx2 v[3:4], v[1:2], off
	v_mul_f32_e32 v6, s15, v16
	v_mul_f32_e32 v7, s14, v16
	v_fma_f32 v6, v17, s14, -v6
	v_fmac_f32_e32 v7, s15, v17
	v_cmp_eq_u32_e32 vcc, v5, v0
	s_waitcnt vmcnt(0)
	v_mul_f32_e32 v8, s17, v4
	v_mul_f32_e32 v4, s16, v4
	v_fma_f32 v8, v3, s16, -v8
	v_fmac_f32_e32 v4, s17, v3
	v_add_f32_e32 v3, v6, v8
	v_add_f32_e32 v4, v7, v4
	global_store_dwordx2 v[1:2], v[3:4], off
	s_and_b64 exec, exec, vcc
	s_cbranch_execz .LBB1266_16
; %bb.15:
	v_mov_b32_e32 v0, 0
	global_store_dword v[1:2], v0, off offset:4
.LBB1266_16:
	s_endpgm
	.section	.rodata,"a",@progbits
	.p2align	6, 0x0
	.amdhsa_kernel _ZL37rocblas_syrkx_herkx_restricted_kernelIl19rocblas_complex_numIfELi16ELi32ELi8ELb0ELb1ELc78ELc76EKS1_S1_EviT_T0_PT8_S3_lS6_S3_lS4_PT9_S3_li
		.amdhsa_group_segment_fixed_size 4096
		.amdhsa_private_segment_fixed_size 0
		.amdhsa_kernarg_size 108
		.amdhsa_user_sgpr_count 6
		.amdhsa_user_sgpr_private_segment_buffer 1
		.amdhsa_user_sgpr_dispatch_ptr 0
		.amdhsa_user_sgpr_queue_ptr 0
		.amdhsa_user_sgpr_kernarg_segment_ptr 1
		.amdhsa_user_sgpr_dispatch_id 0
		.amdhsa_user_sgpr_flat_scratch_init 0
		.amdhsa_user_sgpr_private_segment_size 0
		.amdhsa_uses_dynamic_stack 0
		.amdhsa_system_sgpr_private_segment_wavefront_offset 0
		.amdhsa_system_sgpr_workgroup_id_x 1
		.amdhsa_system_sgpr_workgroup_id_y 1
		.amdhsa_system_sgpr_workgroup_id_z 1
		.amdhsa_system_sgpr_workgroup_info 0
		.amdhsa_system_vgpr_workitem_id 1
		.amdhsa_next_free_vgpr 43
		.amdhsa_next_free_sgpr 28
		.amdhsa_reserve_vcc 1
		.amdhsa_reserve_flat_scratch 0
		.amdhsa_float_round_mode_32 0
		.amdhsa_float_round_mode_16_64 0
		.amdhsa_float_denorm_mode_32 3
		.amdhsa_float_denorm_mode_16_64 3
		.amdhsa_dx10_clamp 1
		.amdhsa_ieee_mode 1
		.amdhsa_fp16_overflow 0
		.amdhsa_exception_fp_ieee_invalid_op 0
		.amdhsa_exception_fp_denorm_src 0
		.amdhsa_exception_fp_ieee_div_zero 0
		.amdhsa_exception_fp_ieee_overflow 0
		.amdhsa_exception_fp_ieee_underflow 0
		.amdhsa_exception_fp_ieee_inexact 0
		.amdhsa_exception_int_div_zero 0
	.end_amdhsa_kernel
	.section	.text._ZL37rocblas_syrkx_herkx_restricted_kernelIl19rocblas_complex_numIfELi16ELi32ELi8ELb0ELb1ELc78ELc76EKS1_S1_EviT_T0_PT8_S3_lS6_S3_lS4_PT9_S3_li,"axG",@progbits,_ZL37rocblas_syrkx_herkx_restricted_kernelIl19rocblas_complex_numIfELi16ELi32ELi8ELb0ELb1ELc78ELc76EKS1_S1_EviT_T0_PT8_S3_lS6_S3_lS4_PT9_S3_li,comdat
.Lfunc_end1266:
	.size	_ZL37rocblas_syrkx_herkx_restricted_kernelIl19rocblas_complex_numIfELi16ELi32ELi8ELb0ELb1ELc78ELc76EKS1_S1_EviT_T0_PT8_S3_lS6_S3_lS4_PT9_S3_li, .Lfunc_end1266-_ZL37rocblas_syrkx_herkx_restricted_kernelIl19rocblas_complex_numIfELi16ELi32ELi8ELb0ELb1ELc78ELc76EKS1_S1_EviT_T0_PT8_S3_lS6_S3_lS4_PT9_S3_li
                                        ; -- End function
	.set _ZL37rocblas_syrkx_herkx_restricted_kernelIl19rocblas_complex_numIfELi16ELi32ELi8ELb0ELb1ELc78ELc76EKS1_S1_EviT_T0_PT8_S3_lS6_S3_lS4_PT9_S3_li.num_vgpr, 43
	.set _ZL37rocblas_syrkx_herkx_restricted_kernelIl19rocblas_complex_numIfELi16ELi32ELi8ELb0ELb1ELc78ELc76EKS1_S1_EviT_T0_PT8_S3_lS6_S3_lS4_PT9_S3_li.num_agpr, 0
	.set _ZL37rocblas_syrkx_herkx_restricted_kernelIl19rocblas_complex_numIfELi16ELi32ELi8ELb0ELb1ELc78ELc76EKS1_S1_EviT_T0_PT8_S3_lS6_S3_lS4_PT9_S3_li.numbered_sgpr, 28
	.set _ZL37rocblas_syrkx_herkx_restricted_kernelIl19rocblas_complex_numIfELi16ELi32ELi8ELb0ELb1ELc78ELc76EKS1_S1_EviT_T0_PT8_S3_lS6_S3_lS4_PT9_S3_li.num_named_barrier, 0
	.set _ZL37rocblas_syrkx_herkx_restricted_kernelIl19rocblas_complex_numIfELi16ELi32ELi8ELb0ELb1ELc78ELc76EKS1_S1_EviT_T0_PT8_S3_lS6_S3_lS4_PT9_S3_li.private_seg_size, 0
	.set _ZL37rocblas_syrkx_herkx_restricted_kernelIl19rocblas_complex_numIfELi16ELi32ELi8ELb0ELb1ELc78ELc76EKS1_S1_EviT_T0_PT8_S3_lS6_S3_lS4_PT9_S3_li.uses_vcc, 1
	.set _ZL37rocblas_syrkx_herkx_restricted_kernelIl19rocblas_complex_numIfELi16ELi32ELi8ELb0ELb1ELc78ELc76EKS1_S1_EviT_T0_PT8_S3_lS6_S3_lS4_PT9_S3_li.uses_flat_scratch, 0
	.set _ZL37rocblas_syrkx_herkx_restricted_kernelIl19rocblas_complex_numIfELi16ELi32ELi8ELb0ELb1ELc78ELc76EKS1_S1_EviT_T0_PT8_S3_lS6_S3_lS4_PT9_S3_li.has_dyn_sized_stack, 0
	.set _ZL37rocblas_syrkx_herkx_restricted_kernelIl19rocblas_complex_numIfELi16ELi32ELi8ELb0ELb1ELc78ELc76EKS1_S1_EviT_T0_PT8_S3_lS6_S3_lS4_PT9_S3_li.has_recursion, 0
	.set _ZL37rocblas_syrkx_herkx_restricted_kernelIl19rocblas_complex_numIfELi16ELi32ELi8ELb0ELb1ELc78ELc76EKS1_S1_EviT_T0_PT8_S3_lS6_S3_lS4_PT9_S3_li.has_indirect_call, 0
	.section	.AMDGPU.csdata,"",@progbits
; Kernel info:
; codeLenInByte = 2296
; TotalNumSgprs: 32
; NumVgprs: 43
; ScratchSize: 0
; MemoryBound: 0
; FloatMode: 240
; IeeeMode: 1
; LDSByteSize: 4096 bytes/workgroup (compile time only)
; SGPRBlocks: 3
; VGPRBlocks: 10
; NumSGPRsForWavesPerEU: 32
; NumVGPRsForWavesPerEU: 43
; Occupancy: 5
; WaveLimiterHint : 0
; COMPUTE_PGM_RSRC2:SCRATCH_EN: 0
; COMPUTE_PGM_RSRC2:USER_SGPR: 6
; COMPUTE_PGM_RSRC2:TRAP_HANDLER: 0
; COMPUTE_PGM_RSRC2:TGID_X_EN: 1
; COMPUTE_PGM_RSRC2:TGID_Y_EN: 1
; COMPUTE_PGM_RSRC2:TGID_Z_EN: 1
; COMPUTE_PGM_RSRC2:TIDIG_COMP_CNT: 1
	.section	.text._ZL37rocblas_syrkx_herkx_restricted_kernelIl19rocblas_complex_numIfELi16ELi32ELi8ELb0ELb1ELc84ELc85EKS1_S1_EviT_T0_PT8_S3_lS6_S3_lS4_PT9_S3_li,"axG",@progbits,_ZL37rocblas_syrkx_herkx_restricted_kernelIl19rocblas_complex_numIfELi16ELi32ELi8ELb0ELb1ELc84ELc85EKS1_S1_EviT_T0_PT8_S3_lS6_S3_lS4_PT9_S3_li,comdat
	.globl	_ZL37rocblas_syrkx_herkx_restricted_kernelIl19rocblas_complex_numIfELi16ELi32ELi8ELb0ELb1ELc84ELc85EKS1_S1_EviT_T0_PT8_S3_lS6_S3_lS4_PT9_S3_li ; -- Begin function _ZL37rocblas_syrkx_herkx_restricted_kernelIl19rocblas_complex_numIfELi16ELi32ELi8ELb0ELb1ELc84ELc85EKS1_S1_EviT_T0_PT8_S3_lS6_S3_lS4_PT9_S3_li
	.p2align	8
	.type	_ZL37rocblas_syrkx_herkx_restricted_kernelIl19rocblas_complex_numIfELi16ELi32ELi8ELb0ELb1ELc84ELc85EKS1_S1_EviT_T0_PT8_S3_lS6_S3_lS4_PT9_S3_li,@function
_ZL37rocblas_syrkx_herkx_restricted_kernelIl19rocblas_complex_numIfELi16ELi32ELi8ELb0ELb1ELc84ELc85EKS1_S1_EviT_T0_PT8_S3_lS6_S3_lS4_PT9_S3_li: ; @_ZL37rocblas_syrkx_herkx_restricted_kernelIl19rocblas_complex_numIfELi16ELi32ELi8ELb0ELb1ELc84ELc85EKS1_S1_EviT_T0_PT8_S3_lS6_S3_lS4_PT9_S3_li
; %bb.0:
	s_load_dwordx16 s[12:27], s[4:5], 0x8
	s_lshl_b32 s2, s6, 5
	s_lshl_b32 s3, s7, 5
	s_waitcnt lgkmcnt(0)
	v_cmp_lt_i64_e64 s[0:1], s[12:13], 1
	s_and_b64 vcc, exec, s[0:1]
	s_cbranch_vccnz .LBB1267_3
; %bb.1:
	v_lshl_add_u32 v5, v1, 4, v0
	v_lshrrev_b32_e32 v6, 3, v5
	v_add_u32_e32 v2, s3, v6
	v_and_b32_e32 v9, 7, v0
	v_ashrrev_i32_e32 v3, 31, v2
	v_mov_b32_e32 v10, 0
	v_mul_lo_u32 v7, s24, v3
	v_mul_lo_u32 v8, s25, v2
	v_mad_u64_u32 v[2:3], s[0:1], s24, v2, v[9:10]
	v_and_b32_e32 v15, 31, v5
	v_lshrrev_b32_e32 v4, 5, v5
	v_add3_u32 v3, v8, v3, v7
	v_lshlrev_b32_e32 v7, 3, v15
	v_lshl_or_b32 v11, v4, 8, v7
	v_lshlrev_b32_e32 v7, 3, v9
	v_lshl_or_b32 v6, v6, 6, v7
	v_add_u32_e32 v12, 0x800, v6
	v_mov_b32_e32 v6, 0x800
	v_lshl_add_u32 v14, v1, 6, v6
	v_add_u32_e32 v6, s2, v15
	v_mov_b32_e32 v5, v10
	v_ashrrev_i32_e32 v7, 31, v6
	v_mul_lo_u32 v7, s18, v7
	v_mad_u64_u32 v[4:5], s[0:1], s18, v6, v[4:5]
	v_mul_lo_u32 v6, s19, v6
	s_mul_i32 s6, s21, s8
	s_mul_hi_u32 s7, s20, s8
	s_add_i32 s1, s7, s6
	s_mul_i32 s0, s20, s8
	s_lshl_b64 s[0:1], s[0:1], 3
	v_add3_u32 v5, v6, v5, v7
	v_lshlrev_b64 v[4:5], 3, v[4:5]
	s_add_u32 s0, s16, s0
	s_addc_u32 s1, s17, s1
	v_mov_b32_e32 v6, s1
	v_add_co_u32_e32 v4, vcc, s0, v4
	s_mul_i32 s0, s27, s8
	s_mul_hi_u32 s1, s26, s8
	s_add_i32 s1, s1, s0
	s_mul_i32 s0, s26, s8
	v_addc_co_u32_e32 v5, vcc, v6, v5, vcc
	s_lshl_b64 s[0:1], s[0:1], 3
	v_add_co_u32_e32 v6, vcc, 4, v4
	v_lshlrev_b64 v[2:3], 3, v[2:3]
	s_add_u32 s0, s22, s0
	v_addc_co_u32_e32 v7, vcc, 0, v5, vcc
	s_addc_u32 s1, s23, s1
	v_mov_b32_e32 v4, s1
	v_add_co_u32_e32 v2, vcc, s0, v2
	v_addc_co_u32_e32 v3, vcc, v4, v3, vcc
	v_add_co_u32_e32 v8, vcc, 4, v2
	v_lshlrev_b32_e32 v13, 3, v0
	v_addc_co_u32_e32 v9, vcc, 0, v3, vcc
	s_mov_b64 s[0:1], 0
	v_mov_b32_e32 v15, v10
	v_mov_b32_e32 v17, v10
	;; [unrolled: 1-line block ×7, first 2 shown]
.LBB1267_2:                             ; =>This Inner Loop Header: Depth=1
	global_load_dwordx2 v[2:3], v[6:7], off offset:-4
	s_add_u32 s0, s0, 8
	v_add_co_u32_e32 v6, vcc, 64, v6
	s_addc_u32 s1, s1, 0
	v_addc_co_u32_e32 v7, vcc, 0, v7, vcc
	s_waitcnt vmcnt(0)
	ds_write_b64 v11, v[2:3]
	global_load_dwordx2 v[2:3], v[8:9], off offset:-4
	v_add_co_u32_e32 v8, vcc, 64, v8
	v_addc_co_u32_e32 v9, vcc, 0, v9, vcc
	s_waitcnt vmcnt(0)
	ds_write_b64 v12, v[2:3]
	s_waitcnt lgkmcnt(0)
	s_barrier
	ds_read_b128 v[22:25], v14
	ds_read_b128 v[26:29], v14 offset:16
	ds_read_b128 v[30:33], v14 offset:32
	;; [unrolled: 1-line block ×3, first 2 shown]
	ds_read2_b64 v[34:37], v13 offset1:16
	s_waitcnt lgkmcnt(0)
	v_mul_f32_e32 v38, v23, v35
	v_mul_f32_e32 v39, v22, v35
	v_fma_f32 v38, v22, v34, -v38
	v_fmac_f32_e32 v39, v23, v34
	v_add_f32_e32 v38, v20, v38
	v_add_f32_e32 v39, v21, v39
	v_mul_f32_e32 v20, v23, v37
	v_mul_f32_e32 v21, v22, v37
	v_fma_f32 v20, v22, v36, -v20
	v_fmac_f32_e32 v21, v23, v36
	v_add_f32_e32 v22, v18, v20
	v_add_f32_e32 v23, v19, v21
	ds_read_b128 v[18:21], v14 offset:1024
	s_waitcnt lgkmcnt(0)
	v_mul_f32_e32 v40, v19, v35
	v_mul_f32_e32 v35, v18, v35
	v_fma_f32 v40, v18, v34, -v40
	v_fmac_f32_e32 v35, v19, v34
	v_add_f32_e32 v34, v16, v40
	v_add_f32_e32 v35, v17, v35
	v_mul_f32_e32 v16, v19, v37
	v_mul_f32_e32 v17, v18, v37
	v_fma_f32 v16, v18, v36, -v16
	v_fmac_f32_e32 v17, v19, v36
	v_add_f32_e32 v19, v15, v16
	v_add_f32_e32 v10, v10, v17
	ds_read2_b64 v[15:18], v13 offset0:32 offset1:48
	s_waitcnt lgkmcnt(0)
	v_mul_f32_e32 v36, v25, v16
	v_fma_f32 v36, v24, v15, -v36
	v_add_f32_e32 v36, v38, v36
	v_mul_f32_e32 v38, v25, v18
	v_mul_f32_e32 v37, v24, v16
	v_fma_f32 v38, v24, v17, -v38
	v_mul_f32_e32 v24, v24, v18
	v_fmac_f32_e32 v24, v25, v17
	v_add_f32_e32 v23, v23, v24
	v_mul_f32_e32 v24, v21, v16
	v_mul_f32_e32 v16, v20, v16
	v_fmac_f32_e32 v16, v21, v15
	v_fmac_f32_e32 v37, v25, v15
	v_fma_f32 v24, v20, v15, -v24
	v_add_f32_e32 v25, v35, v16
	v_mul_f32_e32 v15, v21, v18
	v_mul_f32_e32 v16, v20, v18
	v_fma_f32 v15, v20, v17, -v15
	v_fmac_f32_e32 v16, v21, v17
	v_add_f32_e32 v24, v34, v24
	v_add_f32_e32 v34, v19, v15
	;; [unrolled: 1-line block ×3, first 2 shown]
	ds_read2_b64 v[15:18], v13 offset0:64 offset1:80
	v_add_f32_e32 v37, v39, v37
	v_add_f32_e32 v22, v22, v38
	s_waitcnt lgkmcnt(0)
	v_mul_f32_e32 v19, v27, v16
	v_mul_f32_e32 v20, v26, v16
	v_fma_f32 v19, v26, v15, -v19
	v_fmac_f32_e32 v20, v27, v15
	v_add_f32_e32 v35, v36, v19
	v_add_f32_e32 v36, v37, v20
	v_mul_f32_e32 v19, v27, v18
	v_mul_f32_e32 v20, v26, v18
	v_fma_f32 v19, v26, v17, -v19
	v_fmac_f32_e32 v20, v27, v17
	v_add_f32_e32 v26, v22, v19
	v_add_f32_e32 v23, v23, v20
	ds_read_b128 v[19:22], v14 offset:1040
	s_waitcnt lgkmcnt(0)
	v_mul_f32_e32 v27, v20, v16
	v_mul_f32_e32 v16, v19, v16
	v_fmac_f32_e32 v16, v20, v15
	v_fma_f32 v27, v19, v15, -v27
	v_add_f32_e32 v25, v25, v16
	v_mul_f32_e32 v15, v20, v18
	v_mul_f32_e32 v16, v19, v18
	v_fma_f32 v15, v19, v17, -v15
	v_fmac_f32_e32 v16, v20, v17
	v_add_f32_e32 v19, v34, v15
	v_add_f32_e32 v10, v10, v16
	ds_read2_b64 v[15:18], v13 offset0:96 offset1:112
	v_add_f32_e32 v24, v24, v27
	s_waitcnt lgkmcnt(0)
	v_mul_f32_e32 v20, v29, v16
	v_mul_f32_e32 v34, v29, v18
	v_fma_f32 v20, v28, v15, -v20
	v_mul_f32_e32 v27, v28, v16
	v_fma_f32 v34, v28, v17, -v34
	v_mul_f32_e32 v28, v28, v18
	v_fmac_f32_e32 v28, v29, v17
	v_add_f32_e32 v23, v23, v28
	v_mul_f32_e32 v28, v22, v16
	v_mul_f32_e32 v16, v21, v16
	v_fmac_f32_e32 v16, v22, v15
	v_fmac_f32_e32 v27, v29, v15
	v_fma_f32 v28, v21, v15, -v28
	v_add_f32_e32 v25, v25, v16
	v_mul_f32_e32 v15, v22, v18
	v_mul_f32_e32 v16, v21, v18
	v_fma_f32 v15, v21, v17, -v15
	v_fmac_f32_e32 v16, v22, v17
	v_add_f32_e32 v24, v24, v28
	v_add_f32_e32 v28, v19, v15
	;; [unrolled: 1-line block ×3, first 2 shown]
	ds_read2_b64 v[15:18], v13 offset0:128 offset1:144
	v_add_f32_e32 v20, v35, v20
	v_add_f32_e32 v27, v36, v27
	;; [unrolled: 1-line block ×3, first 2 shown]
	s_waitcnt lgkmcnt(0)
	v_mul_f32_e32 v19, v31, v16
	v_fma_f32 v19, v30, v15, -v19
	v_mul_f32_e32 v21, v30, v16
	v_add_f32_e32 v29, v20, v19
	v_mul_f32_e32 v19, v31, v18
	v_mul_f32_e32 v20, v30, v18
	v_fmac_f32_e32 v21, v31, v15
	v_fma_f32 v19, v30, v17, -v19
	v_fmac_f32_e32 v20, v31, v17
	v_add_f32_e32 v27, v27, v21
	v_add_f32_e32 v26, v26, v19
	;; [unrolled: 1-line block ×3, first 2 shown]
	ds_read_b128 v[19:22], v14 offset:1056
	s_waitcnt lgkmcnt(0)
	v_mul_f32_e32 v30, v20, v16
	v_mul_f32_e32 v16, v19, v16
	v_fmac_f32_e32 v16, v20, v15
	v_fma_f32 v30, v19, v15, -v30
	v_add_f32_e32 v25, v25, v16
	v_mul_f32_e32 v15, v20, v18
	v_mul_f32_e32 v16, v19, v18
	v_fma_f32 v15, v19, v17, -v15
	v_fmac_f32_e32 v16, v20, v17
	v_add_f32_e32 v19, v28, v15
	v_add_f32_e32 v10, v10, v16
	ds_read2_b64 v[15:18], v13 offset0:160 offset1:176
	v_add_f32_e32 v24, v24, v30
	s_waitcnt lgkmcnt(0)
	v_mul_f32_e32 v28, v32, v16
	v_fmac_f32_e32 v28, v33, v15
	v_add_f32_e32 v27, v27, v28
	v_mul_f32_e32 v28, v33, v18
	v_fma_f32 v28, v32, v17, -v28
	v_mul_f32_e32 v20, v33, v16
	v_add_f32_e32 v26, v26, v28
	v_mul_f32_e32 v28, v22, v16
	v_mul_f32_e32 v16, v21, v16
	v_fmac_f32_e32 v16, v22, v15
	v_fma_f32 v20, v32, v15, -v20
	v_fma_f32 v28, v21, v15, -v28
	v_add_f32_e32 v25, v25, v16
	v_mul_f32_e32 v15, v22, v18
	v_mul_f32_e32 v16, v21, v18
	v_add_f32_e32 v20, v29, v20
	v_mul_f32_e32 v29, v32, v18
	v_fma_f32 v15, v21, v17, -v15
	v_fmac_f32_e32 v16, v22, v17
	v_fmac_f32_e32 v29, v33, v17
	v_add_f32_e32 v19, v19, v15
	v_add_f32_e32 v10, v10, v16
	ds_read2_b64 v[15:18], v13 offset0:192 offset1:208
	v_add_f32_e32 v24, v24, v28
	v_add_f32_e32 v23, v23, v29
	s_waitcnt lgkmcnt(0)
	v_mul_f32_e32 v21, v3, v16
	v_fma_f32 v21, v2, v15, -v21
	v_add_f32_e32 v28, v20, v21
	v_mul_f32_e32 v20, v3, v18
	v_mul_f32_e32 v22, v2, v16
	v_fma_f32 v20, v2, v17, -v20
	v_mul_f32_e32 v2, v2, v18
	v_fmac_f32_e32 v22, v3, v15
	v_fmac_f32_e32 v2, v3, v17
	v_add_f32_e32 v29, v27, v22
	v_add_f32_e32 v3, v26, v20
	;; [unrolled: 1-line block ×3, first 2 shown]
	ds_read_b128 v[20:23], v14 offset:1072
	s_waitcnt lgkmcnt(0)
	v_mul_f32_e32 v26, v21, v16
	v_mul_f32_e32 v16, v20, v16
	v_fma_f32 v26, v20, v15, -v26
	v_fmac_f32_e32 v16, v21, v15
	v_add_f32_e32 v15, v24, v26
	v_add_f32_e32 v30, v25, v16
	ds_read2_b64 v[24:27], v13 offset0:224 offset1:240
	v_mul_f32_e32 v16, v21, v18
	v_fma_f32 v16, v20, v17, -v16
	v_add_f32_e32 v31, v19, v16
	v_mul_f32_e32 v18, v20, v18
	s_waitcnt lgkmcnt(0)
	v_mul_f32_e32 v16, v5, v25
	v_fma_f32 v16, v4, v24, -v16
	v_add_f32_e32 v20, v28, v16
	v_mul_f32_e32 v16, v5, v27
	v_fmac_f32_e32 v18, v21, v17
	v_mul_f32_e32 v17, v4, v25
	v_fma_f32 v16, v4, v26, -v16
	v_mul_f32_e32 v4, v4, v27
	v_fmac_f32_e32 v4, v5, v26
	v_add_f32_e32 v10, v10, v18
	v_add_f32_e32 v18, v3, v16
	v_add_f32_e32 v19, v2, v4
	v_mul_f32_e32 v2, v23, v25
	v_mul_f32_e32 v3, v22, v25
	v_fmac_f32_e32 v17, v5, v24
	v_fma_f32 v2, v22, v24, -v2
	v_fmac_f32_e32 v3, v23, v24
	v_add_f32_e32 v21, v29, v17
	v_add_f32_e32 v16, v15, v2
	;; [unrolled: 1-line block ×3, first 2 shown]
	v_mul_f32_e32 v2, v23, v27
	v_mul_f32_e32 v3, v22, v27
	v_fma_f32 v2, v22, v26, -v2
	v_fmac_f32_e32 v3, v23, v26
	v_add_f32_e32 v15, v31, v2
	v_add_f32_e32 v10, v10, v3
	v_mov_b32_e32 v3, s1
	v_mov_b32_e32 v2, s0
	v_cmp_le_u64_e32 vcc, s[12:13], v[2:3]
	s_barrier
	s_cbranch_vccz .LBB1267_2
	s_branch .LBB1267_4
.LBB1267_3:
	v_mov_b32_e32 v20, 0
	v_mov_b32_e32 v21, 0
	;; [unrolled: 1-line block ×8, first 2 shown]
.LBB1267_4:
	s_load_dwordx8 s[16:23], s[4:5], 0x48
	s_nop 0
	s_load_dword s4, s[4:5], 0x0
	v_add_u32_e32 v5, s3, v1
	v_ashrrev_i32_e32 v1, 31, v5
	v_add_u32_e32 v0, s2, v0
	s_waitcnt lgkmcnt(0)
	v_mul_lo_u32 v3, s20, v1
	v_mul_lo_u32 v4, s21, v5
	v_mad_u64_u32 v[1:2], s[6:7], s20, v5, 0
	s_mul_i32 s0, s23, s8
	s_mul_hi_u32 s1, s22, s8
	s_add_i32 s1, s1, s0
	s_mul_i32 s0, s22, s8
	s_lshl_b64 s[0:1], s[0:1], 3
	v_add3_u32 v2, v2, v3, v4
	s_add_u32 s5, s18, s0
	v_lshlrev_b64 v[1:2], 3, v[1:2]
	s_addc_u32 s6, s19, s1
	v_mov_b32_e32 v3, s6
	v_add_co_u32_e64 v4, s[0:1], s5, v1
	v_addc_co_u32_e64 v6, s[0:1], v3, v2, s[0:1]
	v_cmp_gt_i32_e32 vcc, s4, v5
	v_cmp_le_i32_e64 s[0:1], v0, v5
	s_and_b64 s[0:1], vcc, s[0:1]
	s_and_saveexec_b64 s[2:3], s[0:1]
	s_cbranch_execz .LBB1267_7
; %bb.5:
	v_ashrrev_i32_e32 v1, 31, v0
	v_lshlrev_b64 v[1:2], 3, v[0:1]
	v_mul_f32_e32 v3, s15, v21
	v_add_co_u32_e64 v1, s[0:1], v4, v1
	v_addc_co_u32_e64 v2, s[0:1], v6, v2, s[0:1]
	global_load_dwordx2 v[7:8], v[1:2], off
	v_mul_f32_e32 v9, s14, v21
	v_fma_f32 v3, v20, s14, -v3
	v_fmac_f32_e32 v9, s15, v20
	v_cmp_eq_u32_e64 s[0:1], v5, v0
	s_waitcnt vmcnt(0)
	v_mul_f32_e32 v11, s17, v8
	v_mul_f32_e32 v8, s16, v8
	v_fma_f32 v11, v7, s16, -v11
	v_fmac_f32_e32 v8, s17, v7
	v_add_f32_e32 v7, v3, v11
	v_add_f32_e32 v8, v9, v8
	global_store_dwordx2 v[1:2], v[7:8], off
	s_and_b64 exec, exec, s[0:1]
	s_cbranch_execz .LBB1267_7
; %bb.6:
	v_mov_b32_e32 v3, 0
	global_store_dword v[1:2], v3, off offset:4
.LBB1267_7:
	s_or_b64 exec, exec, s[2:3]
	v_add_u32_e32 v2, 16, v0
	v_cmp_le_i32_e64 s[0:1], v2, v5
	s_and_b64 s[2:3], vcc, s[0:1]
	s_and_saveexec_b64 s[0:1], s[2:3]
	s_cbranch_execz .LBB1267_10
; %bb.8:
	v_ashrrev_i32_e32 v3, 31, v2
	v_lshlrev_b64 v[7:8], 3, v[2:3]
	v_mul_f32_e32 v1, s15, v19
	v_add_co_u32_e32 v3, vcc, v4, v7
	v_addc_co_u32_e32 v4, vcc, v6, v8, vcc
	global_load_dwordx2 v[6:7], v[3:4], off
	v_mul_f32_e32 v8, s14, v19
	v_fma_f32 v1, v18, s14, -v1
	v_fmac_f32_e32 v8, s15, v18
	v_cmp_eq_u32_e32 vcc, v5, v2
	s_waitcnt vmcnt(0)
	v_mul_f32_e32 v9, s17, v7
	v_mul_f32_e32 v7, s16, v7
	v_fma_f32 v9, v6, s16, -v9
	v_fmac_f32_e32 v7, s17, v6
	v_add_f32_e32 v6, v1, v9
	v_add_f32_e32 v7, v8, v7
	global_store_dwordx2 v[3:4], v[6:7], off
	s_and_b64 exec, exec, vcc
	s_cbranch_execz .LBB1267_10
; %bb.9:
	v_mov_b32_e32 v1, 0
	global_store_dword v[3:4], v1, off offset:4
.LBB1267_10:
	s_or_b64 exec, exec, s[0:1]
	v_add_u32_e32 v8, 16, v5
	v_ashrrev_i32_e32 v1, 31, v8
	v_mul_lo_u32 v1, s20, v1
	v_mul_lo_u32 v6, s21, v8
	v_mad_u64_u32 v[3:4], s[0:1], s20, v8, 0
	v_cmp_gt_i32_e32 vcc, s4, v8
	v_add3_u32 v4, v4, v1, v6
	v_lshlrev_b64 v[3:4], 3, v[3:4]
	v_mov_b32_e32 v1, s6
	v_add_co_u32_e64 v6, s[0:1], s5, v3
	v_addc_co_u32_e64 v7, s[0:1], v1, v4, s[0:1]
	v_cmp_le_i32_e64 s[0:1], v0, v8
	s_and_b64 s[0:1], vcc, s[0:1]
	s_and_saveexec_b64 s[2:3], s[0:1]
	s_cbranch_execz .LBB1267_13
; %bb.11:
	v_ashrrev_i32_e32 v1, 31, v0
	v_lshlrev_b64 v[3:4], 3, v[0:1]
	v_mul_f32_e32 v1, s15, v17
	v_add_co_u32_e64 v3, s[0:1], v6, v3
	v_addc_co_u32_e64 v4, s[0:1], v7, v4, s[0:1]
	global_load_dwordx2 v[11:12], v[3:4], off
	v_mul_f32_e32 v9, s14, v17
	v_fma_f32 v1, v16, s14, -v1
	v_fmac_f32_e32 v9, s15, v16
	v_cmp_eq_u32_e64 s[0:1], v8, v0
	s_waitcnt vmcnt(0)
	v_mul_f32_e32 v13, s17, v12
	v_mul_f32_e32 v12, s16, v12
	v_fma_f32 v13, v11, s16, -v13
	v_fmac_f32_e32 v12, s17, v11
	v_add_f32_e32 v11, v1, v13
	v_add_f32_e32 v12, v9, v12
	global_store_dwordx2 v[3:4], v[11:12], off
	s_and_b64 exec, exec, s[0:1]
	s_cbranch_execz .LBB1267_13
; %bb.12:
	v_mov_b32_e32 v1, 0
	global_store_dword v[3:4], v1, off offset:4
.LBB1267_13:
	s_or_b64 exec, exec, s[2:3]
	v_cmp_le_i32_e64 s[0:1], v2, v8
	s_and_b64 s[0:1], vcc, s[0:1]
	s_and_saveexec_b64 s[2:3], s[0:1]
	s_cbranch_execz .LBB1267_16
; %bb.14:
	v_ashrrev_i32_e32 v3, 31, v2
	v_lshlrev_b64 v[1:2], 3, v[2:3]
	v_add_co_u32_e32 v1, vcc, v6, v1
	v_addc_co_u32_e32 v2, vcc, v7, v2, vcc
	global_load_dwordx2 v[3:4], v[1:2], off
	v_mul_f32_e32 v6, s15, v10
	v_mul_f32_e32 v7, s14, v10
	v_fma_f32 v6, v15, s14, -v6
	v_fmac_f32_e32 v7, s15, v15
	v_cmp_eq_u32_e32 vcc, v5, v0
	s_waitcnt vmcnt(0)
	v_mul_f32_e32 v8, s17, v4
	v_mul_f32_e32 v4, s16, v4
	v_fma_f32 v8, v3, s16, -v8
	v_fmac_f32_e32 v4, s17, v3
	v_add_f32_e32 v3, v6, v8
	v_add_f32_e32 v4, v7, v4
	global_store_dwordx2 v[1:2], v[3:4], off
	s_and_b64 exec, exec, vcc
	s_cbranch_execz .LBB1267_16
; %bb.15:
	v_mov_b32_e32 v0, 0
	global_store_dword v[1:2], v0, off offset:4
.LBB1267_16:
	s_endpgm
	.section	.rodata,"a",@progbits
	.p2align	6, 0x0
	.amdhsa_kernel _ZL37rocblas_syrkx_herkx_restricted_kernelIl19rocblas_complex_numIfELi16ELi32ELi8ELb0ELb1ELc84ELc85EKS1_S1_EviT_T0_PT8_S3_lS6_S3_lS4_PT9_S3_li
		.amdhsa_group_segment_fixed_size 4096
		.amdhsa_private_segment_fixed_size 0
		.amdhsa_kernarg_size 108
		.amdhsa_user_sgpr_count 6
		.amdhsa_user_sgpr_private_segment_buffer 1
		.amdhsa_user_sgpr_dispatch_ptr 0
		.amdhsa_user_sgpr_queue_ptr 0
		.amdhsa_user_sgpr_kernarg_segment_ptr 1
		.amdhsa_user_sgpr_dispatch_id 0
		.amdhsa_user_sgpr_flat_scratch_init 0
		.amdhsa_user_sgpr_private_segment_size 0
		.amdhsa_uses_dynamic_stack 0
		.amdhsa_system_sgpr_private_segment_wavefront_offset 0
		.amdhsa_system_sgpr_workgroup_id_x 1
		.amdhsa_system_sgpr_workgroup_id_y 1
		.amdhsa_system_sgpr_workgroup_id_z 1
		.amdhsa_system_sgpr_workgroup_info 0
		.amdhsa_system_vgpr_workitem_id 1
		.amdhsa_next_free_vgpr 41
		.amdhsa_next_free_sgpr 28
		.amdhsa_reserve_vcc 1
		.amdhsa_reserve_flat_scratch 0
		.amdhsa_float_round_mode_32 0
		.amdhsa_float_round_mode_16_64 0
		.amdhsa_float_denorm_mode_32 3
		.amdhsa_float_denorm_mode_16_64 3
		.amdhsa_dx10_clamp 1
		.amdhsa_ieee_mode 1
		.amdhsa_fp16_overflow 0
		.amdhsa_exception_fp_ieee_invalid_op 0
		.amdhsa_exception_fp_denorm_src 0
		.amdhsa_exception_fp_ieee_div_zero 0
		.amdhsa_exception_fp_ieee_overflow 0
		.amdhsa_exception_fp_ieee_underflow 0
		.amdhsa_exception_fp_ieee_inexact 0
		.amdhsa_exception_int_div_zero 0
	.end_amdhsa_kernel
	.section	.text._ZL37rocblas_syrkx_herkx_restricted_kernelIl19rocblas_complex_numIfELi16ELi32ELi8ELb0ELb1ELc84ELc85EKS1_S1_EviT_T0_PT8_S3_lS6_S3_lS4_PT9_S3_li,"axG",@progbits,_ZL37rocblas_syrkx_herkx_restricted_kernelIl19rocblas_complex_numIfELi16ELi32ELi8ELb0ELb1ELc84ELc85EKS1_S1_EviT_T0_PT8_S3_lS6_S3_lS4_PT9_S3_li,comdat
.Lfunc_end1267:
	.size	_ZL37rocblas_syrkx_herkx_restricted_kernelIl19rocblas_complex_numIfELi16ELi32ELi8ELb0ELb1ELc84ELc85EKS1_S1_EviT_T0_PT8_S3_lS6_S3_lS4_PT9_S3_li, .Lfunc_end1267-_ZL37rocblas_syrkx_herkx_restricted_kernelIl19rocblas_complex_numIfELi16ELi32ELi8ELb0ELb1ELc84ELc85EKS1_S1_EviT_T0_PT8_S3_lS6_S3_lS4_PT9_S3_li
                                        ; -- End function
	.set _ZL37rocblas_syrkx_herkx_restricted_kernelIl19rocblas_complex_numIfELi16ELi32ELi8ELb0ELb1ELc84ELc85EKS1_S1_EviT_T0_PT8_S3_lS6_S3_lS4_PT9_S3_li.num_vgpr, 41
	.set _ZL37rocblas_syrkx_herkx_restricted_kernelIl19rocblas_complex_numIfELi16ELi32ELi8ELb0ELb1ELc84ELc85EKS1_S1_EviT_T0_PT8_S3_lS6_S3_lS4_PT9_S3_li.num_agpr, 0
	.set _ZL37rocblas_syrkx_herkx_restricted_kernelIl19rocblas_complex_numIfELi16ELi32ELi8ELb0ELb1ELc84ELc85EKS1_S1_EviT_T0_PT8_S3_lS6_S3_lS4_PT9_S3_li.numbered_sgpr, 28
	.set _ZL37rocblas_syrkx_herkx_restricted_kernelIl19rocblas_complex_numIfELi16ELi32ELi8ELb0ELb1ELc84ELc85EKS1_S1_EviT_T0_PT8_S3_lS6_S3_lS4_PT9_S3_li.num_named_barrier, 0
	.set _ZL37rocblas_syrkx_herkx_restricted_kernelIl19rocblas_complex_numIfELi16ELi32ELi8ELb0ELb1ELc84ELc85EKS1_S1_EviT_T0_PT8_S3_lS6_S3_lS4_PT9_S3_li.private_seg_size, 0
	.set _ZL37rocblas_syrkx_herkx_restricted_kernelIl19rocblas_complex_numIfELi16ELi32ELi8ELb0ELb1ELc84ELc85EKS1_S1_EviT_T0_PT8_S3_lS6_S3_lS4_PT9_S3_li.uses_vcc, 1
	.set _ZL37rocblas_syrkx_herkx_restricted_kernelIl19rocblas_complex_numIfELi16ELi32ELi8ELb0ELb1ELc84ELc85EKS1_S1_EviT_T0_PT8_S3_lS6_S3_lS4_PT9_S3_li.uses_flat_scratch, 0
	.set _ZL37rocblas_syrkx_herkx_restricted_kernelIl19rocblas_complex_numIfELi16ELi32ELi8ELb0ELb1ELc84ELc85EKS1_S1_EviT_T0_PT8_S3_lS6_S3_lS4_PT9_S3_li.has_dyn_sized_stack, 0
	.set _ZL37rocblas_syrkx_herkx_restricted_kernelIl19rocblas_complex_numIfELi16ELi32ELi8ELb0ELb1ELc84ELc85EKS1_S1_EviT_T0_PT8_S3_lS6_S3_lS4_PT9_S3_li.has_recursion, 0
	.set _ZL37rocblas_syrkx_herkx_restricted_kernelIl19rocblas_complex_numIfELi16ELi32ELi8ELb0ELb1ELc84ELc85EKS1_S1_EviT_T0_PT8_S3_lS6_S3_lS4_PT9_S3_li.has_indirect_call, 0
	.section	.AMDGPU.csdata,"",@progbits
; Kernel info:
; codeLenInByte = 2316
; TotalNumSgprs: 32
; NumVgprs: 41
; ScratchSize: 0
; MemoryBound: 0
; FloatMode: 240
; IeeeMode: 1
; LDSByteSize: 4096 bytes/workgroup (compile time only)
; SGPRBlocks: 3
; VGPRBlocks: 10
; NumSGPRsForWavesPerEU: 32
; NumVGPRsForWavesPerEU: 41
; Occupancy: 5
; WaveLimiterHint : 0
; COMPUTE_PGM_RSRC2:SCRATCH_EN: 0
; COMPUTE_PGM_RSRC2:USER_SGPR: 6
; COMPUTE_PGM_RSRC2:TRAP_HANDLER: 0
; COMPUTE_PGM_RSRC2:TGID_X_EN: 1
; COMPUTE_PGM_RSRC2:TGID_Y_EN: 1
; COMPUTE_PGM_RSRC2:TGID_Z_EN: 1
; COMPUTE_PGM_RSRC2:TIDIG_COMP_CNT: 1
	.section	.text._ZL37rocblas_syrkx_herkx_restricted_kernelIl19rocblas_complex_numIfELi16ELi32ELi8ELb0ELb1ELc67ELc85EKS1_S1_EviT_T0_PT8_S3_lS6_S3_lS4_PT9_S3_li,"axG",@progbits,_ZL37rocblas_syrkx_herkx_restricted_kernelIl19rocblas_complex_numIfELi16ELi32ELi8ELb0ELb1ELc67ELc85EKS1_S1_EviT_T0_PT8_S3_lS6_S3_lS4_PT9_S3_li,comdat
	.globl	_ZL37rocblas_syrkx_herkx_restricted_kernelIl19rocblas_complex_numIfELi16ELi32ELi8ELb0ELb1ELc67ELc85EKS1_S1_EviT_T0_PT8_S3_lS6_S3_lS4_PT9_S3_li ; -- Begin function _ZL37rocblas_syrkx_herkx_restricted_kernelIl19rocblas_complex_numIfELi16ELi32ELi8ELb0ELb1ELc67ELc85EKS1_S1_EviT_T0_PT8_S3_lS6_S3_lS4_PT9_S3_li
	.p2align	8
	.type	_ZL37rocblas_syrkx_herkx_restricted_kernelIl19rocblas_complex_numIfELi16ELi32ELi8ELb0ELb1ELc67ELc85EKS1_S1_EviT_T0_PT8_S3_lS6_S3_lS4_PT9_S3_li,@function
_ZL37rocblas_syrkx_herkx_restricted_kernelIl19rocblas_complex_numIfELi16ELi32ELi8ELb0ELb1ELc67ELc85EKS1_S1_EviT_T0_PT8_S3_lS6_S3_lS4_PT9_S3_li: ; @_ZL37rocblas_syrkx_herkx_restricted_kernelIl19rocblas_complex_numIfELi16ELi32ELi8ELb0ELb1ELc67ELc85EKS1_S1_EviT_T0_PT8_S3_lS6_S3_lS4_PT9_S3_li
; %bb.0:
	s_load_dwordx16 s[12:27], s[4:5], 0x8
	s_lshl_b32 s2, s6, 5
	s_lshl_b32 s3, s7, 5
	s_waitcnt lgkmcnt(0)
	v_cmp_lt_i64_e64 s[0:1], s[12:13], 1
	s_and_b64 vcc, exec, s[0:1]
	s_cbranch_vccnz .LBB1268_3
; %bb.1:
	v_lshl_add_u32 v5, v1, 4, v0
	v_lshrrev_b32_e32 v6, 3, v5
	v_add_u32_e32 v2, s3, v6
	v_and_b32_e32 v9, 7, v0
	v_ashrrev_i32_e32 v3, 31, v2
	v_mov_b32_e32 v10, 0
	v_mul_lo_u32 v7, s24, v3
	v_mul_lo_u32 v8, s25, v2
	v_mad_u64_u32 v[2:3], s[0:1], s24, v2, v[9:10]
	v_and_b32_e32 v15, 31, v5
	v_lshrrev_b32_e32 v4, 5, v5
	v_add3_u32 v3, v8, v3, v7
	v_lshlrev_b32_e32 v7, 3, v15
	v_lshl_or_b32 v11, v4, 8, v7
	v_lshlrev_b32_e32 v7, 3, v9
	v_lshl_or_b32 v6, v6, 6, v7
	v_add_u32_e32 v12, 0x800, v6
	v_mov_b32_e32 v6, 0x800
	v_lshl_add_u32 v14, v1, 6, v6
	v_add_u32_e32 v6, s2, v15
	v_mov_b32_e32 v5, v10
	v_ashrrev_i32_e32 v7, 31, v6
	v_mul_lo_u32 v7, s18, v7
	v_mad_u64_u32 v[4:5], s[0:1], s18, v6, v[4:5]
	v_mul_lo_u32 v6, s19, v6
	s_mul_i32 s6, s21, s8
	s_mul_hi_u32 s7, s20, s8
	s_add_i32 s1, s7, s6
	s_mul_i32 s0, s20, s8
	s_lshl_b64 s[0:1], s[0:1], 3
	v_add3_u32 v5, v6, v5, v7
	v_lshlrev_b64 v[4:5], 3, v[4:5]
	s_add_u32 s0, s16, s0
	s_addc_u32 s1, s17, s1
	v_mov_b32_e32 v6, s1
	v_add_co_u32_e32 v4, vcc, s0, v4
	s_mul_i32 s0, s27, s8
	s_mul_hi_u32 s1, s26, s8
	s_add_i32 s1, s1, s0
	s_mul_i32 s0, s26, s8
	v_addc_co_u32_e32 v5, vcc, v6, v5, vcc
	s_lshl_b64 s[0:1], s[0:1], 3
	v_add_co_u32_e32 v6, vcc, 4, v4
	v_lshlrev_b64 v[2:3], 3, v[2:3]
	s_add_u32 s0, s22, s0
	v_addc_co_u32_e32 v7, vcc, 0, v5, vcc
	s_addc_u32 s1, s23, s1
	v_mov_b32_e32 v4, s1
	v_add_co_u32_e32 v2, vcc, s0, v2
	v_addc_co_u32_e32 v3, vcc, v4, v3, vcc
	v_add_co_u32_e32 v8, vcc, 4, v2
	v_lshlrev_b32_e32 v13, 3, v0
	v_addc_co_u32_e32 v9, vcc, 0, v3, vcc
	s_mov_b64 s[0:1], 0
	v_mov_b32_e32 v15, v10
	v_mov_b32_e32 v17, v10
	;; [unrolled: 1-line block ×7, first 2 shown]
.LBB1268_2:                             ; =>This Inner Loop Header: Depth=1
	global_load_dwordx2 v[2:3], v[6:7], off offset:-4
	v_add_co_u32_e32 v6, vcc, 64, v6
	s_add_u32 s0, s0, 8
	v_addc_co_u32_e32 v7, vcc, 0, v7, vcc
	s_addc_u32 s1, s1, 0
	s_waitcnt vmcnt(0)
	v_xor_b32_e32 v3, 0x80000000, v3
	ds_write_b64 v11, v[2:3]
	global_load_dwordx2 v[2:3], v[8:9], off offset:-4
	v_add_co_u32_e32 v8, vcc, 64, v8
	v_addc_co_u32_e32 v9, vcc, 0, v9, vcc
	s_waitcnt vmcnt(0)
	ds_write_b64 v12, v[2:3]
	s_waitcnt lgkmcnt(0)
	s_barrier
	ds_read_b128 v[22:25], v14
	ds_read_b128 v[26:29], v14 offset:16
	ds_read_b128 v[30:33], v14 offset:32
	;; [unrolled: 1-line block ×3, first 2 shown]
	ds_read2_b64 v[34:37], v13 offset1:16
	s_waitcnt lgkmcnt(0)
	v_mul_f32_e32 v38, v23, v35
	v_mul_f32_e32 v39, v22, v35
	v_fma_f32 v38, v22, v34, -v38
	v_fmac_f32_e32 v39, v23, v34
	v_add_f32_e32 v38, v20, v38
	v_add_f32_e32 v39, v21, v39
	v_mul_f32_e32 v20, v23, v37
	v_mul_f32_e32 v21, v22, v37
	v_fma_f32 v20, v22, v36, -v20
	v_fmac_f32_e32 v21, v23, v36
	v_add_f32_e32 v22, v18, v20
	v_add_f32_e32 v23, v19, v21
	ds_read_b128 v[18:21], v14 offset:1024
	s_waitcnt lgkmcnt(0)
	v_mul_f32_e32 v40, v19, v35
	v_mul_f32_e32 v35, v18, v35
	v_fma_f32 v40, v18, v34, -v40
	v_fmac_f32_e32 v35, v19, v34
	v_add_f32_e32 v34, v16, v40
	v_add_f32_e32 v35, v17, v35
	v_mul_f32_e32 v16, v19, v37
	v_mul_f32_e32 v17, v18, v37
	v_fma_f32 v16, v18, v36, -v16
	v_fmac_f32_e32 v17, v19, v36
	v_add_f32_e32 v19, v15, v16
	v_add_f32_e32 v10, v10, v17
	ds_read2_b64 v[15:18], v13 offset0:32 offset1:48
	s_waitcnt lgkmcnt(0)
	v_mul_f32_e32 v36, v25, v16
	v_fma_f32 v36, v24, v15, -v36
	v_add_f32_e32 v36, v38, v36
	v_mul_f32_e32 v38, v25, v18
	v_mul_f32_e32 v37, v24, v16
	v_fma_f32 v38, v24, v17, -v38
	v_mul_f32_e32 v24, v24, v18
	v_fmac_f32_e32 v24, v25, v17
	v_add_f32_e32 v23, v23, v24
	v_mul_f32_e32 v24, v21, v16
	v_mul_f32_e32 v16, v20, v16
	v_fmac_f32_e32 v16, v21, v15
	v_fmac_f32_e32 v37, v25, v15
	v_fma_f32 v24, v20, v15, -v24
	v_add_f32_e32 v25, v35, v16
	v_mul_f32_e32 v15, v21, v18
	v_mul_f32_e32 v16, v20, v18
	v_fma_f32 v15, v20, v17, -v15
	v_fmac_f32_e32 v16, v21, v17
	v_add_f32_e32 v24, v34, v24
	v_add_f32_e32 v34, v19, v15
	;; [unrolled: 1-line block ×3, first 2 shown]
	ds_read2_b64 v[15:18], v13 offset0:64 offset1:80
	v_add_f32_e32 v37, v39, v37
	v_add_f32_e32 v22, v22, v38
	s_waitcnt lgkmcnt(0)
	v_mul_f32_e32 v19, v27, v16
	v_mul_f32_e32 v20, v26, v16
	v_fma_f32 v19, v26, v15, -v19
	v_fmac_f32_e32 v20, v27, v15
	v_add_f32_e32 v35, v36, v19
	v_add_f32_e32 v36, v37, v20
	v_mul_f32_e32 v19, v27, v18
	v_mul_f32_e32 v20, v26, v18
	v_fma_f32 v19, v26, v17, -v19
	v_fmac_f32_e32 v20, v27, v17
	v_add_f32_e32 v26, v22, v19
	v_add_f32_e32 v23, v23, v20
	ds_read_b128 v[19:22], v14 offset:1040
	s_waitcnt lgkmcnt(0)
	v_mul_f32_e32 v27, v20, v16
	v_mul_f32_e32 v16, v19, v16
	v_fmac_f32_e32 v16, v20, v15
	v_fma_f32 v27, v19, v15, -v27
	v_add_f32_e32 v25, v25, v16
	v_mul_f32_e32 v15, v20, v18
	v_mul_f32_e32 v16, v19, v18
	v_fma_f32 v15, v19, v17, -v15
	v_fmac_f32_e32 v16, v20, v17
	v_add_f32_e32 v19, v34, v15
	v_add_f32_e32 v10, v10, v16
	ds_read2_b64 v[15:18], v13 offset0:96 offset1:112
	v_add_f32_e32 v24, v24, v27
	s_waitcnt lgkmcnt(0)
	v_mul_f32_e32 v20, v29, v16
	v_mul_f32_e32 v34, v29, v18
	v_fma_f32 v20, v28, v15, -v20
	v_mul_f32_e32 v27, v28, v16
	v_fma_f32 v34, v28, v17, -v34
	v_mul_f32_e32 v28, v28, v18
	v_fmac_f32_e32 v28, v29, v17
	v_add_f32_e32 v23, v23, v28
	v_mul_f32_e32 v28, v22, v16
	v_mul_f32_e32 v16, v21, v16
	v_fmac_f32_e32 v16, v22, v15
	v_fmac_f32_e32 v27, v29, v15
	v_fma_f32 v28, v21, v15, -v28
	v_add_f32_e32 v25, v25, v16
	v_mul_f32_e32 v15, v22, v18
	v_mul_f32_e32 v16, v21, v18
	v_fma_f32 v15, v21, v17, -v15
	v_fmac_f32_e32 v16, v22, v17
	v_add_f32_e32 v24, v24, v28
	v_add_f32_e32 v28, v19, v15
	;; [unrolled: 1-line block ×3, first 2 shown]
	ds_read2_b64 v[15:18], v13 offset0:128 offset1:144
	v_add_f32_e32 v20, v35, v20
	v_add_f32_e32 v27, v36, v27
	;; [unrolled: 1-line block ×3, first 2 shown]
	s_waitcnt lgkmcnt(0)
	v_mul_f32_e32 v19, v31, v16
	v_fma_f32 v19, v30, v15, -v19
	v_mul_f32_e32 v21, v30, v16
	v_add_f32_e32 v29, v20, v19
	v_mul_f32_e32 v19, v31, v18
	v_mul_f32_e32 v20, v30, v18
	v_fmac_f32_e32 v21, v31, v15
	v_fma_f32 v19, v30, v17, -v19
	v_fmac_f32_e32 v20, v31, v17
	v_add_f32_e32 v27, v27, v21
	v_add_f32_e32 v26, v26, v19
	;; [unrolled: 1-line block ×3, first 2 shown]
	ds_read_b128 v[19:22], v14 offset:1056
	s_waitcnt lgkmcnt(0)
	v_mul_f32_e32 v30, v20, v16
	v_mul_f32_e32 v16, v19, v16
	v_fmac_f32_e32 v16, v20, v15
	v_fma_f32 v30, v19, v15, -v30
	v_add_f32_e32 v25, v25, v16
	v_mul_f32_e32 v15, v20, v18
	v_mul_f32_e32 v16, v19, v18
	v_fma_f32 v15, v19, v17, -v15
	v_fmac_f32_e32 v16, v20, v17
	v_add_f32_e32 v19, v28, v15
	v_add_f32_e32 v10, v10, v16
	ds_read2_b64 v[15:18], v13 offset0:160 offset1:176
	v_add_f32_e32 v24, v24, v30
	s_waitcnt lgkmcnt(0)
	v_mul_f32_e32 v28, v32, v16
	v_fmac_f32_e32 v28, v33, v15
	v_add_f32_e32 v27, v27, v28
	v_mul_f32_e32 v28, v33, v18
	v_fma_f32 v28, v32, v17, -v28
	v_mul_f32_e32 v20, v33, v16
	v_add_f32_e32 v26, v26, v28
	v_mul_f32_e32 v28, v22, v16
	v_mul_f32_e32 v16, v21, v16
	v_fmac_f32_e32 v16, v22, v15
	v_fma_f32 v20, v32, v15, -v20
	v_fma_f32 v28, v21, v15, -v28
	v_add_f32_e32 v25, v25, v16
	v_mul_f32_e32 v15, v22, v18
	v_mul_f32_e32 v16, v21, v18
	v_add_f32_e32 v20, v29, v20
	v_mul_f32_e32 v29, v32, v18
	v_fma_f32 v15, v21, v17, -v15
	v_fmac_f32_e32 v16, v22, v17
	v_fmac_f32_e32 v29, v33, v17
	v_add_f32_e32 v19, v19, v15
	v_add_f32_e32 v10, v10, v16
	ds_read2_b64 v[15:18], v13 offset0:192 offset1:208
	v_add_f32_e32 v24, v24, v28
	v_add_f32_e32 v23, v23, v29
	s_waitcnt lgkmcnt(0)
	v_mul_f32_e32 v21, v3, v16
	v_fma_f32 v21, v2, v15, -v21
	v_add_f32_e32 v28, v20, v21
	v_mul_f32_e32 v20, v3, v18
	v_mul_f32_e32 v22, v2, v16
	v_fma_f32 v20, v2, v17, -v20
	v_mul_f32_e32 v2, v2, v18
	v_fmac_f32_e32 v22, v3, v15
	v_fmac_f32_e32 v2, v3, v17
	v_add_f32_e32 v29, v27, v22
	v_add_f32_e32 v3, v26, v20
	;; [unrolled: 1-line block ×3, first 2 shown]
	ds_read_b128 v[20:23], v14 offset:1072
	s_waitcnt lgkmcnt(0)
	v_mul_f32_e32 v26, v21, v16
	v_mul_f32_e32 v16, v20, v16
	v_fma_f32 v26, v20, v15, -v26
	v_fmac_f32_e32 v16, v21, v15
	v_add_f32_e32 v15, v24, v26
	v_add_f32_e32 v30, v25, v16
	ds_read2_b64 v[24:27], v13 offset0:224 offset1:240
	v_mul_f32_e32 v16, v21, v18
	v_fma_f32 v16, v20, v17, -v16
	v_add_f32_e32 v31, v19, v16
	v_mul_f32_e32 v18, v20, v18
	s_waitcnt lgkmcnt(0)
	v_mul_f32_e32 v16, v5, v25
	v_fma_f32 v16, v4, v24, -v16
	v_add_f32_e32 v20, v28, v16
	v_mul_f32_e32 v16, v5, v27
	v_fmac_f32_e32 v18, v21, v17
	v_mul_f32_e32 v17, v4, v25
	v_fma_f32 v16, v4, v26, -v16
	v_mul_f32_e32 v4, v4, v27
	v_fmac_f32_e32 v4, v5, v26
	v_add_f32_e32 v10, v10, v18
	v_add_f32_e32 v18, v3, v16
	v_add_f32_e32 v19, v2, v4
	v_mul_f32_e32 v2, v23, v25
	v_mul_f32_e32 v3, v22, v25
	v_fmac_f32_e32 v17, v5, v24
	v_fma_f32 v2, v22, v24, -v2
	v_fmac_f32_e32 v3, v23, v24
	v_add_f32_e32 v21, v29, v17
	v_add_f32_e32 v16, v15, v2
	;; [unrolled: 1-line block ×3, first 2 shown]
	v_mul_f32_e32 v2, v23, v27
	v_mul_f32_e32 v3, v22, v27
	v_fma_f32 v2, v22, v26, -v2
	v_fmac_f32_e32 v3, v23, v26
	v_add_f32_e32 v15, v31, v2
	v_add_f32_e32 v10, v10, v3
	v_mov_b32_e32 v3, s1
	v_mov_b32_e32 v2, s0
	v_cmp_le_u64_e32 vcc, s[12:13], v[2:3]
	s_barrier
	s_cbranch_vccz .LBB1268_2
	s_branch .LBB1268_4
.LBB1268_3:
	v_mov_b32_e32 v20, 0
	v_mov_b32_e32 v21, 0
	;; [unrolled: 1-line block ×8, first 2 shown]
.LBB1268_4:
	s_load_dwordx8 s[16:23], s[4:5], 0x48
	s_nop 0
	s_load_dword s4, s[4:5], 0x0
	v_add_u32_e32 v5, s3, v1
	v_ashrrev_i32_e32 v1, 31, v5
	v_add_u32_e32 v0, s2, v0
	s_waitcnt lgkmcnt(0)
	v_mul_lo_u32 v3, s20, v1
	v_mul_lo_u32 v4, s21, v5
	v_mad_u64_u32 v[1:2], s[6:7], s20, v5, 0
	s_mul_i32 s0, s23, s8
	s_mul_hi_u32 s1, s22, s8
	s_add_i32 s1, s1, s0
	s_mul_i32 s0, s22, s8
	s_lshl_b64 s[0:1], s[0:1], 3
	v_add3_u32 v2, v2, v3, v4
	s_add_u32 s5, s18, s0
	v_lshlrev_b64 v[1:2], 3, v[1:2]
	s_addc_u32 s6, s19, s1
	v_mov_b32_e32 v3, s6
	v_add_co_u32_e64 v4, s[0:1], s5, v1
	v_addc_co_u32_e64 v6, s[0:1], v3, v2, s[0:1]
	v_cmp_gt_i32_e32 vcc, s4, v5
	v_cmp_le_i32_e64 s[0:1], v0, v5
	s_and_b64 s[0:1], vcc, s[0:1]
	s_and_saveexec_b64 s[2:3], s[0:1]
	s_cbranch_execz .LBB1268_7
; %bb.5:
	v_ashrrev_i32_e32 v1, 31, v0
	v_lshlrev_b64 v[1:2], 3, v[0:1]
	v_mul_f32_e32 v3, s15, v21
	v_add_co_u32_e64 v1, s[0:1], v4, v1
	v_addc_co_u32_e64 v2, s[0:1], v6, v2, s[0:1]
	global_load_dwordx2 v[7:8], v[1:2], off
	v_mul_f32_e32 v9, s14, v21
	v_fma_f32 v3, v20, s14, -v3
	v_fmac_f32_e32 v9, s15, v20
	v_cmp_eq_u32_e64 s[0:1], v5, v0
	s_waitcnt vmcnt(0)
	v_mul_f32_e32 v11, s17, v8
	v_mul_f32_e32 v8, s16, v8
	v_fma_f32 v11, v7, s16, -v11
	v_fmac_f32_e32 v8, s17, v7
	v_add_f32_e32 v7, v3, v11
	v_add_f32_e32 v8, v9, v8
	global_store_dwordx2 v[1:2], v[7:8], off
	s_and_b64 exec, exec, s[0:1]
	s_cbranch_execz .LBB1268_7
; %bb.6:
	v_mov_b32_e32 v3, 0
	global_store_dword v[1:2], v3, off offset:4
.LBB1268_7:
	s_or_b64 exec, exec, s[2:3]
	v_add_u32_e32 v2, 16, v0
	v_cmp_le_i32_e64 s[0:1], v2, v5
	s_and_b64 s[2:3], vcc, s[0:1]
	s_and_saveexec_b64 s[0:1], s[2:3]
	s_cbranch_execz .LBB1268_10
; %bb.8:
	v_ashrrev_i32_e32 v3, 31, v2
	v_lshlrev_b64 v[7:8], 3, v[2:3]
	v_mul_f32_e32 v1, s15, v19
	v_add_co_u32_e32 v3, vcc, v4, v7
	v_addc_co_u32_e32 v4, vcc, v6, v8, vcc
	global_load_dwordx2 v[6:7], v[3:4], off
	v_mul_f32_e32 v8, s14, v19
	v_fma_f32 v1, v18, s14, -v1
	v_fmac_f32_e32 v8, s15, v18
	v_cmp_eq_u32_e32 vcc, v5, v2
	s_waitcnt vmcnt(0)
	v_mul_f32_e32 v9, s17, v7
	v_mul_f32_e32 v7, s16, v7
	v_fma_f32 v9, v6, s16, -v9
	v_fmac_f32_e32 v7, s17, v6
	v_add_f32_e32 v6, v1, v9
	v_add_f32_e32 v7, v8, v7
	global_store_dwordx2 v[3:4], v[6:7], off
	s_and_b64 exec, exec, vcc
	s_cbranch_execz .LBB1268_10
; %bb.9:
	v_mov_b32_e32 v1, 0
	global_store_dword v[3:4], v1, off offset:4
.LBB1268_10:
	s_or_b64 exec, exec, s[0:1]
	v_add_u32_e32 v8, 16, v5
	v_ashrrev_i32_e32 v1, 31, v8
	v_mul_lo_u32 v1, s20, v1
	v_mul_lo_u32 v6, s21, v8
	v_mad_u64_u32 v[3:4], s[0:1], s20, v8, 0
	v_cmp_gt_i32_e32 vcc, s4, v8
	v_add3_u32 v4, v4, v1, v6
	v_lshlrev_b64 v[3:4], 3, v[3:4]
	v_mov_b32_e32 v1, s6
	v_add_co_u32_e64 v6, s[0:1], s5, v3
	v_addc_co_u32_e64 v7, s[0:1], v1, v4, s[0:1]
	v_cmp_le_i32_e64 s[0:1], v0, v8
	s_and_b64 s[0:1], vcc, s[0:1]
	s_and_saveexec_b64 s[2:3], s[0:1]
	s_cbranch_execz .LBB1268_13
; %bb.11:
	v_ashrrev_i32_e32 v1, 31, v0
	v_lshlrev_b64 v[3:4], 3, v[0:1]
	v_mul_f32_e32 v1, s15, v17
	v_add_co_u32_e64 v3, s[0:1], v6, v3
	v_addc_co_u32_e64 v4, s[0:1], v7, v4, s[0:1]
	global_load_dwordx2 v[11:12], v[3:4], off
	v_mul_f32_e32 v9, s14, v17
	v_fma_f32 v1, v16, s14, -v1
	v_fmac_f32_e32 v9, s15, v16
	v_cmp_eq_u32_e64 s[0:1], v8, v0
	s_waitcnt vmcnt(0)
	v_mul_f32_e32 v13, s17, v12
	v_mul_f32_e32 v12, s16, v12
	v_fma_f32 v13, v11, s16, -v13
	v_fmac_f32_e32 v12, s17, v11
	v_add_f32_e32 v11, v1, v13
	v_add_f32_e32 v12, v9, v12
	global_store_dwordx2 v[3:4], v[11:12], off
	s_and_b64 exec, exec, s[0:1]
	s_cbranch_execz .LBB1268_13
; %bb.12:
	v_mov_b32_e32 v1, 0
	global_store_dword v[3:4], v1, off offset:4
.LBB1268_13:
	s_or_b64 exec, exec, s[2:3]
	v_cmp_le_i32_e64 s[0:1], v2, v8
	s_and_b64 s[0:1], vcc, s[0:1]
	s_and_saveexec_b64 s[2:3], s[0:1]
	s_cbranch_execz .LBB1268_16
; %bb.14:
	v_ashrrev_i32_e32 v3, 31, v2
	v_lshlrev_b64 v[1:2], 3, v[2:3]
	v_add_co_u32_e32 v1, vcc, v6, v1
	v_addc_co_u32_e32 v2, vcc, v7, v2, vcc
	global_load_dwordx2 v[3:4], v[1:2], off
	v_mul_f32_e32 v6, s15, v10
	v_mul_f32_e32 v7, s14, v10
	v_fma_f32 v6, v15, s14, -v6
	v_fmac_f32_e32 v7, s15, v15
	v_cmp_eq_u32_e32 vcc, v5, v0
	s_waitcnt vmcnt(0)
	v_mul_f32_e32 v8, s17, v4
	v_mul_f32_e32 v4, s16, v4
	v_fma_f32 v8, v3, s16, -v8
	v_fmac_f32_e32 v4, s17, v3
	v_add_f32_e32 v3, v6, v8
	v_add_f32_e32 v4, v7, v4
	global_store_dwordx2 v[1:2], v[3:4], off
	s_and_b64 exec, exec, vcc
	s_cbranch_execz .LBB1268_16
; %bb.15:
	v_mov_b32_e32 v0, 0
	global_store_dword v[1:2], v0, off offset:4
.LBB1268_16:
	s_endpgm
	.section	.rodata,"a",@progbits
	.p2align	6, 0x0
	.amdhsa_kernel _ZL37rocblas_syrkx_herkx_restricted_kernelIl19rocblas_complex_numIfELi16ELi32ELi8ELb0ELb1ELc67ELc85EKS1_S1_EviT_T0_PT8_S3_lS6_S3_lS4_PT9_S3_li
		.amdhsa_group_segment_fixed_size 4096
		.amdhsa_private_segment_fixed_size 0
		.amdhsa_kernarg_size 108
		.amdhsa_user_sgpr_count 6
		.amdhsa_user_sgpr_private_segment_buffer 1
		.amdhsa_user_sgpr_dispatch_ptr 0
		.amdhsa_user_sgpr_queue_ptr 0
		.amdhsa_user_sgpr_kernarg_segment_ptr 1
		.amdhsa_user_sgpr_dispatch_id 0
		.amdhsa_user_sgpr_flat_scratch_init 0
		.amdhsa_user_sgpr_private_segment_size 0
		.amdhsa_uses_dynamic_stack 0
		.amdhsa_system_sgpr_private_segment_wavefront_offset 0
		.amdhsa_system_sgpr_workgroup_id_x 1
		.amdhsa_system_sgpr_workgroup_id_y 1
		.amdhsa_system_sgpr_workgroup_id_z 1
		.amdhsa_system_sgpr_workgroup_info 0
		.amdhsa_system_vgpr_workitem_id 1
		.amdhsa_next_free_vgpr 41
		.amdhsa_next_free_sgpr 28
		.amdhsa_reserve_vcc 1
		.amdhsa_reserve_flat_scratch 0
		.amdhsa_float_round_mode_32 0
		.amdhsa_float_round_mode_16_64 0
		.amdhsa_float_denorm_mode_32 3
		.amdhsa_float_denorm_mode_16_64 3
		.amdhsa_dx10_clamp 1
		.amdhsa_ieee_mode 1
		.amdhsa_fp16_overflow 0
		.amdhsa_exception_fp_ieee_invalid_op 0
		.amdhsa_exception_fp_denorm_src 0
		.amdhsa_exception_fp_ieee_div_zero 0
		.amdhsa_exception_fp_ieee_overflow 0
		.amdhsa_exception_fp_ieee_underflow 0
		.amdhsa_exception_fp_ieee_inexact 0
		.amdhsa_exception_int_div_zero 0
	.end_amdhsa_kernel
	.section	.text._ZL37rocblas_syrkx_herkx_restricted_kernelIl19rocblas_complex_numIfELi16ELi32ELi8ELb0ELb1ELc67ELc85EKS1_S1_EviT_T0_PT8_S3_lS6_S3_lS4_PT9_S3_li,"axG",@progbits,_ZL37rocblas_syrkx_herkx_restricted_kernelIl19rocblas_complex_numIfELi16ELi32ELi8ELb0ELb1ELc67ELc85EKS1_S1_EviT_T0_PT8_S3_lS6_S3_lS4_PT9_S3_li,comdat
.Lfunc_end1268:
	.size	_ZL37rocblas_syrkx_herkx_restricted_kernelIl19rocblas_complex_numIfELi16ELi32ELi8ELb0ELb1ELc67ELc85EKS1_S1_EviT_T0_PT8_S3_lS6_S3_lS4_PT9_S3_li, .Lfunc_end1268-_ZL37rocblas_syrkx_herkx_restricted_kernelIl19rocblas_complex_numIfELi16ELi32ELi8ELb0ELb1ELc67ELc85EKS1_S1_EviT_T0_PT8_S3_lS6_S3_lS4_PT9_S3_li
                                        ; -- End function
	.set _ZL37rocblas_syrkx_herkx_restricted_kernelIl19rocblas_complex_numIfELi16ELi32ELi8ELb0ELb1ELc67ELc85EKS1_S1_EviT_T0_PT8_S3_lS6_S3_lS4_PT9_S3_li.num_vgpr, 41
	.set _ZL37rocblas_syrkx_herkx_restricted_kernelIl19rocblas_complex_numIfELi16ELi32ELi8ELb0ELb1ELc67ELc85EKS1_S1_EviT_T0_PT8_S3_lS6_S3_lS4_PT9_S3_li.num_agpr, 0
	.set _ZL37rocblas_syrkx_herkx_restricted_kernelIl19rocblas_complex_numIfELi16ELi32ELi8ELb0ELb1ELc67ELc85EKS1_S1_EviT_T0_PT8_S3_lS6_S3_lS4_PT9_S3_li.numbered_sgpr, 28
	.set _ZL37rocblas_syrkx_herkx_restricted_kernelIl19rocblas_complex_numIfELi16ELi32ELi8ELb0ELb1ELc67ELc85EKS1_S1_EviT_T0_PT8_S3_lS6_S3_lS4_PT9_S3_li.num_named_barrier, 0
	.set _ZL37rocblas_syrkx_herkx_restricted_kernelIl19rocblas_complex_numIfELi16ELi32ELi8ELb0ELb1ELc67ELc85EKS1_S1_EviT_T0_PT8_S3_lS6_S3_lS4_PT9_S3_li.private_seg_size, 0
	.set _ZL37rocblas_syrkx_herkx_restricted_kernelIl19rocblas_complex_numIfELi16ELi32ELi8ELb0ELb1ELc67ELc85EKS1_S1_EviT_T0_PT8_S3_lS6_S3_lS4_PT9_S3_li.uses_vcc, 1
	.set _ZL37rocblas_syrkx_herkx_restricted_kernelIl19rocblas_complex_numIfELi16ELi32ELi8ELb0ELb1ELc67ELc85EKS1_S1_EviT_T0_PT8_S3_lS6_S3_lS4_PT9_S3_li.uses_flat_scratch, 0
	.set _ZL37rocblas_syrkx_herkx_restricted_kernelIl19rocblas_complex_numIfELi16ELi32ELi8ELb0ELb1ELc67ELc85EKS1_S1_EviT_T0_PT8_S3_lS6_S3_lS4_PT9_S3_li.has_dyn_sized_stack, 0
	.set _ZL37rocblas_syrkx_herkx_restricted_kernelIl19rocblas_complex_numIfELi16ELi32ELi8ELb0ELb1ELc67ELc85EKS1_S1_EviT_T0_PT8_S3_lS6_S3_lS4_PT9_S3_li.has_recursion, 0
	.set _ZL37rocblas_syrkx_herkx_restricted_kernelIl19rocblas_complex_numIfELi16ELi32ELi8ELb0ELb1ELc67ELc85EKS1_S1_EviT_T0_PT8_S3_lS6_S3_lS4_PT9_S3_li.has_indirect_call, 0
	.section	.AMDGPU.csdata,"",@progbits
; Kernel info:
; codeLenInByte = 2324
; TotalNumSgprs: 32
; NumVgprs: 41
; ScratchSize: 0
; MemoryBound: 0
; FloatMode: 240
; IeeeMode: 1
; LDSByteSize: 4096 bytes/workgroup (compile time only)
; SGPRBlocks: 3
; VGPRBlocks: 10
; NumSGPRsForWavesPerEU: 32
; NumVGPRsForWavesPerEU: 41
; Occupancy: 5
; WaveLimiterHint : 0
; COMPUTE_PGM_RSRC2:SCRATCH_EN: 0
; COMPUTE_PGM_RSRC2:USER_SGPR: 6
; COMPUTE_PGM_RSRC2:TRAP_HANDLER: 0
; COMPUTE_PGM_RSRC2:TGID_X_EN: 1
; COMPUTE_PGM_RSRC2:TGID_Y_EN: 1
; COMPUTE_PGM_RSRC2:TGID_Z_EN: 1
; COMPUTE_PGM_RSRC2:TIDIG_COMP_CNT: 1
	.section	.text._ZL37rocblas_syrkx_herkx_restricted_kernelIl19rocblas_complex_numIfELi16ELi32ELi8ELb0ELb1ELc78ELc85EKS1_S1_EviT_T0_PT8_S3_lS6_S3_lS4_PT9_S3_li,"axG",@progbits,_ZL37rocblas_syrkx_herkx_restricted_kernelIl19rocblas_complex_numIfELi16ELi32ELi8ELb0ELb1ELc78ELc85EKS1_S1_EviT_T0_PT8_S3_lS6_S3_lS4_PT9_S3_li,comdat
	.globl	_ZL37rocblas_syrkx_herkx_restricted_kernelIl19rocblas_complex_numIfELi16ELi32ELi8ELb0ELb1ELc78ELc85EKS1_S1_EviT_T0_PT8_S3_lS6_S3_lS4_PT9_S3_li ; -- Begin function _ZL37rocblas_syrkx_herkx_restricted_kernelIl19rocblas_complex_numIfELi16ELi32ELi8ELb0ELb1ELc78ELc85EKS1_S1_EviT_T0_PT8_S3_lS6_S3_lS4_PT9_S3_li
	.p2align	8
	.type	_ZL37rocblas_syrkx_herkx_restricted_kernelIl19rocblas_complex_numIfELi16ELi32ELi8ELb0ELb1ELc78ELc85EKS1_S1_EviT_T0_PT8_S3_lS6_S3_lS4_PT9_S3_li,@function
_ZL37rocblas_syrkx_herkx_restricted_kernelIl19rocblas_complex_numIfELi16ELi32ELi8ELb0ELb1ELc78ELc85EKS1_S1_EviT_T0_PT8_S3_lS6_S3_lS4_PT9_S3_li: ; @_ZL37rocblas_syrkx_herkx_restricted_kernelIl19rocblas_complex_numIfELi16ELi32ELi8ELb0ELb1ELc78ELc85EKS1_S1_EviT_T0_PT8_S3_lS6_S3_lS4_PT9_S3_li
; %bb.0:
	s_load_dwordx16 s[12:27], s[4:5], 0x8
	s_lshl_b32 s9, s6, 5
	s_lshl_b32 s10, s7, 5
	s_waitcnt lgkmcnt(0)
	v_cmp_lt_i64_e64 s[0:1], s[12:13], 1
	s_and_b64 vcc, exec, s[0:1]
	s_cbranch_vccnz .LBB1269_3
; %bb.1:
	v_lshl_add_u32 v5, v1, 4, v0
	v_lshrrev_b32_e32 v6, 3, v5
	v_add_u32_e32 v2, s10, v6
	v_and_b32_e32 v7, 7, v0
	v_ashrrev_i32_e32 v3, 31, v2
	v_mad_u64_u32 v[2:3], s[0:1], s24, v7, v[2:3]
	v_lshrrev_b32_e32 v8, 5, v5
	s_mul_i32 s2, s21, s8
	v_mad_u64_u32 v[3:4], s[0:1], s25, v7, v[3:4]
	v_and_b32_e32 v4, 31, v5
	v_lshlrev_b32_e32 v5, 3, v4
	v_lshl_or_b32 v10, v8, 8, v5
	v_lshlrev_b32_e32 v5, 3, v7
	v_lshl_or_b32 v5, v6, 6, v5
	v_add_u32_e32 v4, s9, v4
	v_add_u32_e32 v11, 0x800, v5
	v_ashrrev_i32_e32 v5, 31, v4
	v_mad_u64_u32 v[4:5], s[0:1], s18, v8, v[4:5]
	v_mov_b32_e32 v6, 0x800
	v_lshl_add_u32 v13, v1, 6, v6
	v_mad_u64_u32 v[5:6], s[0:1], s19, v8, v[5:6]
	s_mul_hi_u32 s3, s20, s8
	s_add_i32 s1, s3, s2
	s_mul_i32 s0, s20, s8
	s_lshl_b64 s[0:1], s[0:1], 3
	v_lshlrev_b64 v[4:5], 3, v[4:5]
	s_add_u32 s0, s16, s0
	s_addc_u32 s1, s17, s1
	s_mul_i32 s2, s27, s8
	s_mul_hi_u32 s3, s26, s8
	v_mov_b32_e32 v6, s1
	v_add_co_u32_e32 v4, vcc, s0, v4
	s_add_i32 s3, s3, s2
	s_mul_i32 s2, s26, s8
	v_addc_co_u32_e32 v5, vcc, v6, v5, vcc
	s_lshl_b64 s[0:1], s[18:19], 6
	s_lshl_b64 s[2:3], s[2:3], 3
	v_add_co_u32_e32 v6, vcc, 4, v4
	v_lshlrev_b64 v[2:3], 3, v[2:3]
	s_add_u32 s2, s22, s2
	v_addc_co_u32_e32 v7, vcc, 0, v5, vcc
	s_addc_u32 s3, s23, s3
	v_mov_b32_e32 v4, s3
	v_add_co_u32_e32 v2, vcc, s2, v2
	v_addc_co_u32_e32 v3, vcc, v4, v3, vcc
	v_add_co_u32_e32 v8, vcc, 4, v2
	s_lshl_b64 s[2:3], s[24:25], 6
	v_lshlrev_b32_e32 v12, 3, v0
	v_addc_co_u32_e32 v9, vcc, 0, v3, vcc
	v_mov_b32_e32 v16, 0
	s_mov_b64 s[6:7], 0
	v_mov_b32_e32 v14, s1
	v_mov_b32_e32 v15, s3
	;; [unrolled: 1-line block ×9, first 2 shown]
.LBB1269_2:                             ; =>This Inner Loop Header: Depth=1
	global_load_dwordx2 v[2:3], v[6:7], off offset:-4
	v_add_co_u32_e32 v6, vcc, s0, v6
	s_add_u32 s6, s6, 8
	v_addc_co_u32_e32 v7, vcc, v7, v14, vcc
	s_addc_u32 s7, s7, 0
	s_waitcnt vmcnt(0)
	ds_write_b64 v10, v[2:3]
	global_load_dwordx2 v[2:3], v[8:9], off offset:-4
	v_add_co_u32_e32 v8, vcc, s2, v8
	v_addc_co_u32_e32 v9, vcc, v9, v15, vcc
	s_waitcnt vmcnt(0)
	v_xor_b32_e32 v3, 0x80000000, v3
	ds_write_b64 v11, v[2:3]
	s_waitcnt lgkmcnt(0)
	s_barrier
	ds_read_b128 v[24:27], v13
	ds_read_b128 v[28:31], v13 offset:16
	ds_read_b128 v[32:35], v13 offset:32
	;; [unrolled: 1-line block ×3, first 2 shown]
	ds_read2_b64 v[36:39], v12 offset1:16
	s_waitcnt lgkmcnt(0)
	v_mul_f32_e32 v40, v25, v37
	v_mul_f32_e32 v41, v24, v37
	v_fma_f32 v40, v24, v36, -v40
	v_fmac_f32_e32 v41, v25, v36
	v_add_f32_e32 v40, v22, v40
	v_add_f32_e32 v41, v23, v41
	v_mul_f32_e32 v22, v25, v39
	v_mul_f32_e32 v23, v24, v39
	v_fma_f32 v22, v24, v38, -v22
	v_fmac_f32_e32 v23, v25, v38
	v_add_f32_e32 v24, v20, v22
	v_add_f32_e32 v25, v21, v23
	ds_read_b128 v[20:23], v13 offset:1024
	s_waitcnt lgkmcnt(0)
	v_mul_f32_e32 v42, v21, v37
	v_mul_f32_e32 v37, v20, v37
	v_fma_f32 v42, v20, v36, -v42
	v_fmac_f32_e32 v37, v21, v36
	v_add_f32_e32 v36, v18, v42
	v_add_f32_e32 v37, v19, v37
	v_mul_f32_e32 v18, v21, v39
	v_mul_f32_e32 v19, v20, v39
	v_fma_f32 v18, v20, v38, -v18
	v_fmac_f32_e32 v19, v21, v38
	v_add_f32_e32 v20, v17, v18
	v_add_f32_e32 v21, v16, v19
	ds_read2_b64 v[16:19], v12 offset0:32 offset1:48
	s_waitcnt lgkmcnt(0)
	v_mul_f32_e32 v38, v27, v17
	v_fma_f32 v38, v26, v16, -v38
	v_add_f32_e32 v38, v40, v38
	v_mul_f32_e32 v40, v27, v19
	v_mul_f32_e32 v39, v26, v17
	v_fma_f32 v40, v26, v18, -v40
	v_mul_f32_e32 v26, v26, v19
	v_fmac_f32_e32 v26, v27, v18
	v_add_f32_e32 v25, v25, v26
	v_mul_f32_e32 v26, v23, v17
	v_mul_f32_e32 v17, v22, v17
	v_fmac_f32_e32 v17, v23, v16
	v_fmac_f32_e32 v39, v27, v16
	v_fma_f32 v26, v22, v16, -v26
	v_add_f32_e32 v27, v37, v17
	v_mul_f32_e32 v16, v23, v19
	v_mul_f32_e32 v17, v22, v19
	v_fma_f32 v16, v22, v18, -v16
	v_fmac_f32_e32 v17, v23, v18
	v_add_f32_e32 v26, v36, v26
	v_add_f32_e32 v36, v20, v16
	;; [unrolled: 1-line block ×3, first 2 shown]
	ds_read2_b64 v[16:19], v12 offset0:64 offset1:80
	v_add_f32_e32 v39, v41, v39
	v_add_f32_e32 v24, v24, v40
	s_waitcnt lgkmcnt(0)
	v_mul_f32_e32 v20, v29, v17
	v_mul_f32_e32 v21, v28, v17
	v_fma_f32 v20, v28, v16, -v20
	v_fmac_f32_e32 v21, v29, v16
	v_add_f32_e32 v38, v38, v20
	v_add_f32_e32 v39, v39, v21
	v_mul_f32_e32 v20, v29, v19
	v_mul_f32_e32 v21, v28, v19
	v_fma_f32 v20, v28, v18, -v20
	v_fmac_f32_e32 v21, v29, v18
	v_add_f32_e32 v24, v24, v20
	v_add_f32_e32 v25, v25, v21
	ds_read_b128 v[20:23], v13 offset:1040
	s_waitcnt lgkmcnt(0)
	v_mul_f32_e32 v28, v21, v17
	v_mul_f32_e32 v17, v20, v17
	v_fmac_f32_e32 v17, v21, v16
	v_fma_f32 v28, v20, v16, -v28
	v_add_f32_e32 v27, v27, v17
	v_mul_f32_e32 v16, v21, v19
	v_mul_f32_e32 v17, v20, v19
	v_fma_f32 v16, v20, v18, -v16
	v_fmac_f32_e32 v17, v21, v18
	v_add_f32_e32 v20, v36, v16
	v_add_f32_e32 v21, v37, v17
	ds_read2_b64 v[16:19], v12 offset0:96 offset1:112
	v_add_f32_e32 v26, v26, v28
	s_waitcnt lgkmcnt(0)
	v_mul_f32_e32 v28, v31, v17
	v_mul_f32_e32 v36, v31, v19
	v_fma_f32 v28, v30, v16, -v28
	v_mul_f32_e32 v29, v30, v17
	v_fma_f32 v36, v30, v18, -v36
	v_mul_f32_e32 v30, v30, v19
	v_fmac_f32_e32 v30, v31, v18
	v_add_f32_e32 v25, v25, v30
	v_mul_f32_e32 v30, v23, v17
	v_mul_f32_e32 v17, v22, v17
	v_fmac_f32_e32 v17, v23, v16
	v_fmac_f32_e32 v29, v31, v16
	v_fma_f32 v30, v22, v16, -v30
	v_add_f32_e32 v27, v27, v17
	v_mul_f32_e32 v16, v23, v19
	v_mul_f32_e32 v17, v22, v19
	v_fma_f32 v16, v22, v18, -v16
	v_fmac_f32_e32 v17, v23, v18
	v_add_f32_e32 v26, v26, v30
	v_add_f32_e32 v30, v20, v16
	;; [unrolled: 1-line block ×3, first 2 shown]
	ds_read2_b64 v[16:19], v12 offset0:128 offset1:144
	v_add_f32_e32 v28, v38, v28
	v_add_f32_e32 v29, v39, v29
	;; [unrolled: 1-line block ×3, first 2 shown]
	s_waitcnt lgkmcnt(0)
	v_mul_f32_e32 v20, v33, v17
	v_mul_f32_e32 v21, v32, v17
	v_fma_f32 v20, v32, v16, -v20
	v_fmac_f32_e32 v21, v33, v16
	v_add_f32_e32 v28, v28, v20
	v_add_f32_e32 v29, v29, v21
	v_mul_f32_e32 v20, v33, v19
	v_mul_f32_e32 v21, v32, v19
	v_fma_f32 v20, v32, v18, -v20
	v_fmac_f32_e32 v21, v33, v18
	v_add_f32_e32 v24, v24, v20
	v_add_f32_e32 v25, v25, v21
	ds_read_b128 v[20:23], v13 offset:1056
	s_waitcnt lgkmcnt(0)
	v_mul_f32_e32 v32, v21, v17
	v_mul_f32_e32 v17, v20, v17
	v_fmac_f32_e32 v17, v21, v16
	v_fma_f32 v32, v20, v16, -v32
	v_add_f32_e32 v27, v27, v17
	v_mul_f32_e32 v16, v21, v19
	v_mul_f32_e32 v17, v20, v19
	v_fma_f32 v16, v20, v18, -v16
	v_fmac_f32_e32 v17, v21, v18
	v_add_f32_e32 v20, v30, v16
	v_add_f32_e32 v21, v31, v17
	ds_read2_b64 v[16:19], v12 offset0:160 offset1:176
	v_add_f32_e32 v26, v26, v32
	s_waitcnt lgkmcnt(0)
	v_mul_f32_e32 v30, v35, v17
	v_fma_f32 v30, v34, v16, -v30
	v_add_f32_e32 v28, v28, v30
	v_mul_f32_e32 v30, v35, v19
	v_fma_f32 v30, v34, v18, -v30
	v_mul_f32_e32 v31, v34, v17
	v_add_f32_e32 v24, v24, v30
	v_mul_f32_e32 v30, v23, v17
	v_mul_f32_e32 v17, v22, v17
	v_fmac_f32_e32 v17, v23, v16
	v_fmac_f32_e32 v31, v35, v16
	v_fma_f32 v30, v22, v16, -v30
	v_add_f32_e32 v27, v27, v17
	v_mul_f32_e32 v16, v23, v19
	v_mul_f32_e32 v17, v22, v19
	v_add_f32_e32 v29, v29, v31
	v_mul_f32_e32 v31, v34, v19
	v_fma_f32 v16, v22, v18, -v16
	v_fmac_f32_e32 v17, v23, v18
	v_fmac_f32_e32 v31, v35, v18
	v_add_f32_e32 v20, v20, v16
	v_add_f32_e32 v21, v21, v17
	ds_read2_b64 v[16:19], v12 offset0:192 offset1:208
	v_add_f32_e32 v26, v26, v30
	v_add_f32_e32 v25, v25, v31
	s_waitcnt lgkmcnt(0)
	v_mul_f32_e32 v22, v3, v17
	v_fma_f32 v22, v2, v16, -v22
	v_add_f32_e32 v30, v28, v22
	v_mul_f32_e32 v22, v3, v19
	v_mul_f32_e32 v23, v2, v17
	v_fma_f32 v22, v2, v18, -v22
	v_mul_f32_e32 v2, v2, v19
	v_fmac_f32_e32 v23, v3, v16
	v_fmac_f32_e32 v2, v3, v18
	v_add_f32_e32 v31, v29, v23
	v_add_f32_e32 v3, v24, v22
	;; [unrolled: 1-line block ×3, first 2 shown]
	ds_read_b128 v[22:25], v13 offset:1072
	s_waitcnt lgkmcnt(0)
	v_mul_f32_e32 v28, v23, v17
	v_fma_f32 v28, v22, v16, -v28
	v_mul_f32_e32 v17, v22, v17
	v_fmac_f32_e32 v17, v23, v16
	v_add_f32_e32 v16, v26, v28
	v_mul_f32_e32 v26, v23, v19
	v_fma_f32 v26, v22, v18, -v26
	v_add_f32_e32 v17, v27, v17
	v_add_f32_e32 v32, v20, v26
	ds_read2_b64 v[26:29], v12 offset0:224 offset1:240
	v_mul_f32_e32 v19, v22, v19
	v_fmac_f32_e32 v19, v23, v18
	v_add_f32_e32 v33, v21, v19
	s_waitcnt lgkmcnt(0)
	v_mul_f32_e32 v18, v5, v27
	v_fma_f32 v18, v4, v26, -v18
	v_add_f32_e32 v22, v30, v18
	v_mul_f32_e32 v18, v5, v29
	v_mul_f32_e32 v19, v4, v27
	v_fma_f32 v18, v4, v28, -v18
	v_mul_f32_e32 v4, v4, v29
	v_fmac_f32_e32 v4, v5, v28
	v_add_f32_e32 v20, v3, v18
	v_add_f32_e32 v21, v2, v4
	v_mul_f32_e32 v2, v25, v27
	v_mul_f32_e32 v3, v24, v27
	v_fmac_f32_e32 v19, v5, v26
	v_fma_f32 v2, v24, v26, -v2
	v_fmac_f32_e32 v3, v25, v26
	v_add_f32_e32 v23, v31, v19
	v_add_f32_e32 v18, v16, v2
	;; [unrolled: 1-line block ×3, first 2 shown]
	v_mul_f32_e32 v2, v25, v29
	v_mul_f32_e32 v3, v24, v29
	v_fma_f32 v2, v24, v28, -v2
	v_fmac_f32_e32 v3, v25, v28
	v_add_f32_e32 v17, v32, v2
	v_add_f32_e32 v16, v33, v3
	v_mov_b32_e32 v2, s6
	v_mov_b32_e32 v3, s7
	v_cmp_le_u64_e32 vcc, s[12:13], v[2:3]
	s_barrier
	s_cbranch_vccz .LBB1269_2
	s_branch .LBB1269_4
.LBB1269_3:
	v_mov_b32_e32 v22, 0
	v_mov_b32_e32 v23, 0
	;; [unrolled: 1-line block ×8, first 2 shown]
.LBB1269_4:
	s_load_dwordx8 s[16:23], s[4:5], 0x48
	s_nop 0
	s_load_dword s4, s[4:5], 0x0
	v_add_u32_e32 v5, s10, v1
	v_ashrrev_i32_e32 v1, 31, v5
	v_add_u32_e32 v0, s9, v0
	s_waitcnt lgkmcnt(0)
	v_mul_lo_u32 v3, s20, v1
	v_mul_lo_u32 v4, s21, v5
	v_mad_u64_u32 v[1:2], s[2:3], s20, v5, 0
	s_mul_i32 s0, s23, s8
	s_mul_hi_u32 s1, s22, s8
	s_add_i32 s1, s1, s0
	s_mul_i32 s0, s22, s8
	s_lshl_b64 s[0:1], s[0:1], 3
	v_add3_u32 v2, v2, v3, v4
	s_add_u32 s5, s18, s0
	v_lshlrev_b64 v[1:2], 3, v[1:2]
	s_addc_u32 s6, s19, s1
	v_mov_b32_e32 v3, s6
	v_add_co_u32_e64 v4, s[0:1], s5, v1
	v_addc_co_u32_e64 v6, s[0:1], v3, v2, s[0:1]
	v_cmp_gt_i32_e32 vcc, s4, v5
	v_cmp_le_i32_e64 s[0:1], v0, v5
	s_and_b64 s[0:1], vcc, s[0:1]
	s_and_saveexec_b64 s[2:3], s[0:1]
	s_cbranch_execz .LBB1269_7
; %bb.5:
	v_ashrrev_i32_e32 v1, 31, v0
	v_lshlrev_b64 v[1:2], 3, v[0:1]
	v_mul_f32_e32 v3, s15, v23
	v_add_co_u32_e64 v1, s[0:1], v4, v1
	v_addc_co_u32_e64 v2, s[0:1], v6, v2, s[0:1]
	global_load_dwordx2 v[7:8], v[1:2], off
	v_mul_f32_e32 v9, s14, v23
	v_fma_f32 v3, v22, s14, -v3
	v_fmac_f32_e32 v9, s15, v22
	v_cmp_eq_u32_e64 s[0:1], v5, v0
	s_waitcnt vmcnt(0)
	v_mul_f32_e32 v10, s17, v8
	v_mul_f32_e32 v8, s16, v8
	v_fma_f32 v10, v7, s16, -v10
	v_fmac_f32_e32 v8, s17, v7
	v_add_f32_e32 v7, v3, v10
	v_add_f32_e32 v8, v9, v8
	global_store_dwordx2 v[1:2], v[7:8], off
	s_and_b64 exec, exec, s[0:1]
	s_cbranch_execz .LBB1269_7
; %bb.6:
	v_mov_b32_e32 v3, 0
	global_store_dword v[1:2], v3, off offset:4
.LBB1269_7:
	s_or_b64 exec, exec, s[2:3]
	v_add_u32_e32 v2, 16, v0
	v_cmp_le_i32_e64 s[0:1], v2, v5
	s_and_b64 s[2:3], vcc, s[0:1]
	s_and_saveexec_b64 s[0:1], s[2:3]
	s_cbranch_execz .LBB1269_10
; %bb.8:
	v_ashrrev_i32_e32 v3, 31, v2
	v_lshlrev_b64 v[7:8], 3, v[2:3]
	v_mul_f32_e32 v1, s15, v21
	v_add_co_u32_e32 v3, vcc, v4, v7
	v_addc_co_u32_e32 v4, vcc, v6, v8, vcc
	global_load_dwordx2 v[6:7], v[3:4], off
	v_mul_f32_e32 v8, s14, v21
	v_fma_f32 v1, v20, s14, -v1
	v_fmac_f32_e32 v8, s15, v20
	v_cmp_eq_u32_e32 vcc, v5, v2
	s_waitcnt vmcnt(0)
	v_mul_f32_e32 v9, s17, v7
	v_mul_f32_e32 v7, s16, v7
	v_fma_f32 v9, v6, s16, -v9
	v_fmac_f32_e32 v7, s17, v6
	v_add_f32_e32 v6, v1, v9
	v_add_f32_e32 v7, v8, v7
	global_store_dwordx2 v[3:4], v[6:7], off
	s_and_b64 exec, exec, vcc
	s_cbranch_execz .LBB1269_10
; %bb.9:
	v_mov_b32_e32 v1, 0
	global_store_dword v[3:4], v1, off offset:4
.LBB1269_10:
	s_or_b64 exec, exec, s[0:1]
	v_add_u32_e32 v8, 16, v5
	v_ashrrev_i32_e32 v1, 31, v8
	v_mul_lo_u32 v1, s20, v1
	v_mul_lo_u32 v6, s21, v8
	v_mad_u64_u32 v[3:4], s[0:1], s20, v8, 0
	v_cmp_gt_i32_e32 vcc, s4, v8
	v_add3_u32 v4, v4, v1, v6
	v_lshlrev_b64 v[3:4], 3, v[3:4]
	v_mov_b32_e32 v1, s6
	v_add_co_u32_e64 v6, s[0:1], s5, v3
	v_addc_co_u32_e64 v7, s[0:1], v1, v4, s[0:1]
	v_cmp_le_i32_e64 s[0:1], v0, v8
	s_and_b64 s[0:1], vcc, s[0:1]
	s_and_saveexec_b64 s[2:3], s[0:1]
	s_cbranch_execz .LBB1269_13
; %bb.11:
	v_ashrrev_i32_e32 v1, 31, v0
	v_lshlrev_b64 v[3:4], 3, v[0:1]
	v_mul_f32_e32 v1, s15, v19
	v_add_co_u32_e64 v3, s[0:1], v6, v3
	v_addc_co_u32_e64 v4, s[0:1], v7, v4, s[0:1]
	global_load_dwordx2 v[9:10], v[3:4], off
	v_mul_f32_e32 v11, s14, v19
	v_fma_f32 v1, v18, s14, -v1
	v_fmac_f32_e32 v11, s15, v18
	v_cmp_eq_u32_e64 s[0:1], v8, v0
	s_waitcnt vmcnt(0)
	v_mul_f32_e32 v12, s17, v10
	v_mul_f32_e32 v10, s16, v10
	v_fma_f32 v12, v9, s16, -v12
	v_fmac_f32_e32 v10, s17, v9
	v_add_f32_e32 v9, v1, v12
	v_add_f32_e32 v10, v11, v10
	global_store_dwordx2 v[3:4], v[9:10], off
	s_and_b64 exec, exec, s[0:1]
	s_cbranch_execz .LBB1269_13
; %bb.12:
	v_mov_b32_e32 v1, 0
	global_store_dword v[3:4], v1, off offset:4
.LBB1269_13:
	s_or_b64 exec, exec, s[2:3]
	v_cmp_le_i32_e64 s[0:1], v2, v8
	s_and_b64 s[0:1], vcc, s[0:1]
	s_and_saveexec_b64 s[2:3], s[0:1]
	s_cbranch_execz .LBB1269_16
; %bb.14:
	v_ashrrev_i32_e32 v3, 31, v2
	v_lshlrev_b64 v[1:2], 3, v[2:3]
	v_add_co_u32_e32 v1, vcc, v6, v1
	v_addc_co_u32_e32 v2, vcc, v7, v2, vcc
	global_load_dwordx2 v[3:4], v[1:2], off
	v_mul_f32_e32 v6, s15, v16
	v_mul_f32_e32 v7, s14, v16
	v_fma_f32 v6, v17, s14, -v6
	v_fmac_f32_e32 v7, s15, v17
	v_cmp_eq_u32_e32 vcc, v5, v0
	s_waitcnt vmcnt(0)
	v_mul_f32_e32 v8, s17, v4
	v_mul_f32_e32 v4, s16, v4
	v_fma_f32 v8, v3, s16, -v8
	v_fmac_f32_e32 v4, s17, v3
	v_add_f32_e32 v3, v6, v8
	v_add_f32_e32 v4, v7, v4
	global_store_dwordx2 v[1:2], v[3:4], off
	s_and_b64 exec, exec, vcc
	s_cbranch_execz .LBB1269_16
; %bb.15:
	v_mov_b32_e32 v0, 0
	global_store_dword v[1:2], v0, off offset:4
.LBB1269_16:
	s_endpgm
	.section	.rodata,"a",@progbits
	.p2align	6, 0x0
	.amdhsa_kernel _ZL37rocblas_syrkx_herkx_restricted_kernelIl19rocblas_complex_numIfELi16ELi32ELi8ELb0ELb1ELc78ELc85EKS1_S1_EviT_T0_PT8_S3_lS6_S3_lS4_PT9_S3_li
		.amdhsa_group_segment_fixed_size 4096
		.amdhsa_private_segment_fixed_size 0
		.amdhsa_kernarg_size 108
		.amdhsa_user_sgpr_count 6
		.amdhsa_user_sgpr_private_segment_buffer 1
		.amdhsa_user_sgpr_dispatch_ptr 0
		.amdhsa_user_sgpr_queue_ptr 0
		.amdhsa_user_sgpr_kernarg_segment_ptr 1
		.amdhsa_user_sgpr_dispatch_id 0
		.amdhsa_user_sgpr_flat_scratch_init 0
		.amdhsa_user_sgpr_private_segment_size 0
		.amdhsa_uses_dynamic_stack 0
		.amdhsa_system_sgpr_private_segment_wavefront_offset 0
		.amdhsa_system_sgpr_workgroup_id_x 1
		.amdhsa_system_sgpr_workgroup_id_y 1
		.amdhsa_system_sgpr_workgroup_id_z 1
		.amdhsa_system_sgpr_workgroup_info 0
		.amdhsa_system_vgpr_workitem_id 1
		.amdhsa_next_free_vgpr 43
		.amdhsa_next_free_sgpr 28
		.amdhsa_reserve_vcc 1
		.amdhsa_reserve_flat_scratch 0
		.amdhsa_float_round_mode_32 0
		.amdhsa_float_round_mode_16_64 0
		.amdhsa_float_denorm_mode_32 3
		.amdhsa_float_denorm_mode_16_64 3
		.amdhsa_dx10_clamp 1
		.amdhsa_ieee_mode 1
		.amdhsa_fp16_overflow 0
		.amdhsa_exception_fp_ieee_invalid_op 0
		.amdhsa_exception_fp_denorm_src 0
		.amdhsa_exception_fp_ieee_div_zero 0
		.amdhsa_exception_fp_ieee_overflow 0
		.amdhsa_exception_fp_ieee_underflow 0
		.amdhsa_exception_fp_ieee_inexact 0
		.amdhsa_exception_int_div_zero 0
	.end_amdhsa_kernel
	.section	.text._ZL37rocblas_syrkx_herkx_restricted_kernelIl19rocblas_complex_numIfELi16ELi32ELi8ELb0ELb1ELc78ELc85EKS1_S1_EviT_T0_PT8_S3_lS6_S3_lS4_PT9_S3_li,"axG",@progbits,_ZL37rocblas_syrkx_herkx_restricted_kernelIl19rocblas_complex_numIfELi16ELi32ELi8ELb0ELb1ELc78ELc85EKS1_S1_EviT_T0_PT8_S3_lS6_S3_lS4_PT9_S3_li,comdat
.Lfunc_end1269:
	.size	_ZL37rocblas_syrkx_herkx_restricted_kernelIl19rocblas_complex_numIfELi16ELi32ELi8ELb0ELb1ELc78ELc85EKS1_S1_EviT_T0_PT8_S3_lS6_S3_lS4_PT9_S3_li, .Lfunc_end1269-_ZL37rocblas_syrkx_herkx_restricted_kernelIl19rocblas_complex_numIfELi16ELi32ELi8ELb0ELb1ELc78ELc85EKS1_S1_EviT_T0_PT8_S3_lS6_S3_lS4_PT9_S3_li
                                        ; -- End function
	.set _ZL37rocblas_syrkx_herkx_restricted_kernelIl19rocblas_complex_numIfELi16ELi32ELi8ELb0ELb1ELc78ELc85EKS1_S1_EviT_T0_PT8_S3_lS6_S3_lS4_PT9_S3_li.num_vgpr, 43
	.set _ZL37rocblas_syrkx_herkx_restricted_kernelIl19rocblas_complex_numIfELi16ELi32ELi8ELb0ELb1ELc78ELc85EKS1_S1_EviT_T0_PT8_S3_lS6_S3_lS4_PT9_S3_li.num_agpr, 0
	.set _ZL37rocblas_syrkx_herkx_restricted_kernelIl19rocblas_complex_numIfELi16ELi32ELi8ELb0ELb1ELc78ELc85EKS1_S1_EviT_T0_PT8_S3_lS6_S3_lS4_PT9_S3_li.numbered_sgpr, 28
	.set _ZL37rocblas_syrkx_herkx_restricted_kernelIl19rocblas_complex_numIfELi16ELi32ELi8ELb0ELb1ELc78ELc85EKS1_S1_EviT_T0_PT8_S3_lS6_S3_lS4_PT9_S3_li.num_named_barrier, 0
	.set _ZL37rocblas_syrkx_herkx_restricted_kernelIl19rocblas_complex_numIfELi16ELi32ELi8ELb0ELb1ELc78ELc85EKS1_S1_EviT_T0_PT8_S3_lS6_S3_lS4_PT9_S3_li.private_seg_size, 0
	.set _ZL37rocblas_syrkx_herkx_restricted_kernelIl19rocblas_complex_numIfELi16ELi32ELi8ELb0ELb1ELc78ELc85EKS1_S1_EviT_T0_PT8_S3_lS6_S3_lS4_PT9_S3_li.uses_vcc, 1
	.set _ZL37rocblas_syrkx_herkx_restricted_kernelIl19rocblas_complex_numIfELi16ELi32ELi8ELb0ELb1ELc78ELc85EKS1_S1_EviT_T0_PT8_S3_lS6_S3_lS4_PT9_S3_li.uses_flat_scratch, 0
	.set _ZL37rocblas_syrkx_herkx_restricted_kernelIl19rocblas_complex_numIfELi16ELi32ELi8ELb0ELb1ELc78ELc85EKS1_S1_EviT_T0_PT8_S3_lS6_S3_lS4_PT9_S3_li.has_dyn_sized_stack, 0
	.set _ZL37rocblas_syrkx_herkx_restricted_kernelIl19rocblas_complex_numIfELi16ELi32ELi8ELb0ELb1ELc78ELc85EKS1_S1_EviT_T0_PT8_S3_lS6_S3_lS4_PT9_S3_li.has_recursion, 0
	.set _ZL37rocblas_syrkx_herkx_restricted_kernelIl19rocblas_complex_numIfELi16ELi32ELi8ELb0ELb1ELc78ELc85EKS1_S1_EviT_T0_PT8_S3_lS6_S3_lS4_PT9_S3_li.has_indirect_call, 0
	.section	.AMDGPU.csdata,"",@progbits
; Kernel info:
; codeLenInByte = 2304
; TotalNumSgprs: 32
; NumVgprs: 43
; ScratchSize: 0
; MemoryBound: 0
; FloatMode: 240
; IeeeMode: 1
; LDSByteSize: 4096 bytes/workgroup (compile time only)
; SGPRBlocks: 3
; VGPRBlocks: 10
; NumSGPRsForWavesPerEU: 32
; NumVGPRsForWavesPerEU: 43
; Occupancy: 5
; WaveLimiterHint : 0
; COMPUTE_PGM_RSRC2:SCRATCH_EN: 0
; COMPUTE_PGM_RSRC2:USER_SGPR: 6
; COMPUTE_PGM_RSRC2:TRAP_HANDLER: 0
; COMPUTE_PGM_RSRC2:TGID_X_EN: 1
; COMPUTE_PGM_RSRC2:TGID_Y_EN: 1
; COMPUTE_PGM_RSRC2:TGID_Z_EN: 1
; COMPUTE_PGM_RSRC2:TIDIG_COMP_CNT: 1
	.section	.text._ZL41rocblas_syrkx_herkx_small_restrict_kernelIl19rocblas_complex_numIfELi16ELb1ELb1ELc84ELc76EKS1_S1_EviT_T0_PT6_S3_lS6_S3_lS4_PT7_S3_li,"axG",@progbits,_ZL41rocblas_syrkx_herkx_small_restrict_kernelIl19rocblas_complex_numIfELi16ELb1ELb1ELc84ELc76EKS1_S1_EviT_T0_PT6_S3_lS6_S3_lS4_PT7_S3_li,comdat
	.globl	_ZL41rocblas_syrkx_herkx_small_restrict_kernelIl19rocblas_complex_numIfELi16ELb1ELb1ELc84ELc76EKS1_S1_EviT_T0_PT6_S3_lS6_S3_lS4_PT7_S3_li ; -- Begin function _ZL41rocblas_syrkx_herkx_small_restrict_kernelIl19rocblas_complex_numIfELi16ELb1ELb1ELc84ELc76EKS1_S1_EviT_T0_PT6_S3_lS6_S3_lS4_PT7_S3_li
	.p2align	8
	.type	_ZL41rocblas_syrkx_herkx_small_restrict_kernelIl19rocblas_complex_numIfELi16ELb1ELb1ELc84ELc76EKS1_S1_EviT_T0_PT6_S3_lS6_S3_lS4_PT7_S3_li,@function
_ZL41rocblas_syrkx_herkx_small_restrict_kernelIl19rocblas_complex_numIfELi16ELb1ELb1ELc84ELc76EKS1_S1_EviT_T0_PT6_S3_lS6_S3_lS4_PT7_S3_li: ; @_ZL41rocblas_syrkx_herkx_small_restrict_kernelIl19rocblas_complex_numIfELi16ELb1ELb1ELc84ELc76EKS1_S1_EviT_T0_PT6_S3_lS6_S3_lS4_PT7_S3_li
; %bb.0:
	s_load_dwordx16 s[12:27], s[4:5], 0x8
	v_lshl_add_u32 v2, s6, 4, v0
	v_lshl_add_u32 v8, s7, 4, v1
	v_ashrrev_i32_e32 v3, 31, v2
	v_ashrrev_i32_e32 v9, 31, v8
	s_waitcnt lgkmcnt(0)
	v_cmp_lt_i64_e64 s[0:1], s[12:13], 1
	s_and_b64 vcc, exec, s[0:1]
	s_cbranch_vccnz .LBB1270_5
; %bb.1:
	v_lshlrev_b32_e32 v10, 3, v0
	v_mul_lo_u32 v0, s25, v8
	v_mul_lo_u32 v7, s24, v9
	v_mad_u64_u32 v[4:5], s[0:1], s24, v8, 0
	s_mul_i32 s0, s27, s8
	s_mul_hi_u32 s1, s26, s8
	v_add3_u32 v5, v5, v7, v0
	v_lshlrev_b64 v[4:5], 3, v[4:5]
	s_add_i32 s1, s1, s0
	s_mul_i32 s0, s26, s8
	v_lshlrev_b32_e32 v6, 7, v1
	s_lshl_b64 s[0:1], s[0:1], 3
	v_add_u32_e32 v11, v10, v6
	v_add_u32_e32 v12, 0x800, v6
	v_mov_b32_e32 v0, s1
	v_add_co_u32_e32 v4, vcc, s0, v4
	v_mul_lo_u32 v15, s19, v2
	v_mul_lo_u32 v16, s18, v3
	v_mad_u64_u32 v[6:7], s[0:1], s18, v2, 0
	v_addc_co_u32_e32 v0, vcc, v5, v0, vcc
	v_add_co_u32_e32 v4, vcc, v4, v10
	v_addc_co_u32_e32 v0, vcc, 0, v0, vcc
	v_add3_u32 v7, v7, v16, v15
	s_mul_i32 s0, s21, s8
	s_mul_hi_u32 s1, s20, s8
	v_mov_b32_e32 v5, s23
	v_add_co_u32_e32 v4, vcc, s22, v4
	v_lshlrev_b64 v[6:7], 3, v[6:7]
	s_add_i32 s1, s1, s0
	s_mul_i32 s0, s20, s8
	v_addc_co_u32_e32 v5, vcc, v5, v0, vcc
	s_lshl_b64 s[0:1], s[0:1], 3
	v_mov_b32_e32 v0, s1
	v_add_co_u32_e32 v6, vcc, s0, v6
	v_addc_co_u32_e32 v0, vcc, v7, v0, vcc
	v_lshlrev_b32_e32 v1, 3, v1
	v_add_co_u32_e32 v1, vcc, v6, v1
	v_addc_co_u32_e32 v6, vcc, 0, v0, vcc
	v_mov_b32_e32 v7, s17
	v_add_co_u32_e32 v0, vcc, s16, v1
	v_addc_co_u32_e32 v1, vcc, v7, v6, vcc
	v_mov_b32_e32 v6, s12
	v_add_u32_e32 v13, v12, v10
	v_mov_b32_e32 v14, 0
	s_mov_b64 s[0:1], 0
	v_mov_b32_e32 v7, s13
	v_mov_b32_e32 v15, 0
.LBB1270_2:                             ; =>This Inner Loop Header: Depth=1
	global_load_dwordx2 v[16:17], v[0:1], off
	s_add_u32 s0, s0, 16
	s_addc_u32 s1, s1, 0
	s_waitcnt vmcnt(0)
	ds_write_b64 v11, v[16:17]
	global_load_dwordx2 v[16:17], v[4:5], off
	v_add_co_u32_e32 v4, vcc, 0x80, v4
	v_addc_co_u32_e32 v5, vcc, 0, v5, vcc
	v_add_co_u32_e32 v0, vcc, 0x80, v0
	v_addc_co_u32_e32 v1, vcc, 0, v1, vcc
	v_cmp_lt_i64_e32 vcc, s[0:1], v[6:7]
	s_and_b64 vcc, exec, vcc
	s_waitcnt vmcnt(0)
	ds_write_b64 v13, v[16:17]
	s_waitcnt lgkmcnt(0)
	s_barrier
	ds_read2_b64 v[16:19], v10 offset1:16
	ds_read_b128 v[20:23], v12
	ds_read_b128 v[24:27], v12 offset:16
	ds_read_b128 v[28:31], v12 offset:32
	;; [unrolled: 1-line block ×3, first 2 shown]
	s_waitcnt lgkmcnt(3)
	v_mul_f32_e32 v36, v21, v17
	v_mul_f32_e32 v17, v20, v17
	v_fmac_f32_e32 v17, v21, v16
	v_fma_f32 v36, v20, v16, -v36
	v_add_f32_e32 v14, v14, v17
	v_mul_f32_e32 v16, v23, v19
	v_mul_f32_e32 v17, v22, v19
	v_add_f32_e32 v15, v15, v36
	v_fma_f32 v16, v22, v18, -v16
	v_fmac_f32_e32 v17, v23, v18
	v_add_f32_e32 v18, v15, v16
	v_add_f32_e32 v19, v14, v17
	ds_read2_b64 v[14:17], v10 offset0:32 offset1:48
	s_waitcnt lgkmcnt(0)
	v_mul_f32_e32 v20, v25, v15
	v_fma_f32 v20, v24, v14, -v20
	v_mul_f32_e32 v15, v24, v15
	v_fmac_f32_e32 v15, v25, v14
	v_add_f32_e32 v14, v18, v20
	v_mul_f32_e32 v18, v27, v17
	v_mul_f32_e32 v17, v26, v17
	v_add_f32_e32 v15, v19, v15
	v_fma_f32 v18, v26, v16, -v18
	v_fmac_f32_e32 v17, v27, v16
	v_add_f32_e32 v18, v14, v18
	v_add_f32_e32 v19, v15, v17
	ds_read2_b64 v[14:17], v10 offset0:64 offset1:80
	s_waitcnt lgkmcnt(0)
	v_mul_f32_e32 v20, v29, v15
	v_fma_f32 v20, v28, v14, -v20
	v_mul_f32_e32 v15, v28, v15
	v_fmac_f32_e32 v15, v29, v14
	;; [unrolled: 14-line block ×3, first 2 shown]
	v_add_f32_e32 v14, v18, v20
	v_mul_f32_e32 v18, v35, v17
	v_mul_f32_e32 v17, v34, v17
	v_add_f32_e32 v15, v19, v15
	v_fma_f32 v18, v34, v16, -v18
	v_fmac_f32_e32 v17, v35, v16
	v_add_f32_e32 v22, v14, v18
	v_add_f32_e32 v23, v15, v17
	ds_read2_b64 v[14:17], v10 offset0:128 offset1:144
	ds_read_b128 v[18:21], v12 offset:64
	s_waitcnt lgkmcnt(0)
	v_mul_f32_e32 v24, v19, v15
	v_mul_f32_e32 v15, v18, v15
	v_fma_f32 v24, v18, v14, -v24
	v_fmac_f32_e32 v15, v19, v14
	v_mul_f32_e32 v18, v21, v17
	v_mul_f32_e32 v17, v20, v17
	v_add_f32_e32 v14, v22, v24
	v_add_f32_e32 v15, v23, v15
	v_fma_f32 v18, v20, v16, -v18
	v_fmac_f32_e32 v17, v21, v16
	v_add_f32_e32 v22, v14, v18
	v_add_f32_e32 v23, v15, v17
	ds_read2_b64 v[14:17], v10 offset0:160 offset1:176
	ds_read_b128 v[18:21], v12 offset:80
	s_waitcnt lgkmcnt(0)
	v_mul_f32_e32 v24, v19, v15
	v_mul_f32_e32 v15, v18, v15
	v_fma_f32 v24, v18, v14, -v24
	v_fmac_f32_e32 v15, v19, v14
	v_mul_f32_e32 v18, v21, v17
	v_mul_f32_e32 v17, v20, v17
	v_add_f32_e32 v14, v22, v24
	;; [unrolled: 15-line block ×3, first 2 shown]
	v_add_f32_e32 v15, v23, v15
	v_fma_f32 v18, v20, v16, -v18
	v_fmac_f32_e32 v17, v21, v16
	v_add_f32_e32 v22, v14, v18
	v_add_f32_e32 v23, v15, v17
	ds_read2_b64 v[14:17], v10 offset0:224 offset1:240
	ds_read_b128 v[18:21], v12 offset:112
	s_waitcnt lgkmcnt(0)
	s_barrier
	v_mul_f32_e32 v24, v19, v15
	v_mul_f32_e32 v15, v18, v15
	v_fmac_f32_e32 v15, v19, v14
	v_fma_f32 v24, v18, v14, -v24
	v_add_f32_e32 v18, v23, v15
	v_mul_f32_e32 v15, v21, v17
	v_mul_f32_e32 v17, v20, v17
	v_add_f32_e32 v14, v22, v24
	v_fma_f32 v15, v20, v16, -v15
	v_fmac_f32_e32 v17, v21, v16
	v_add_f32_e32 v15, v14, v15
	v_add_f32_e32 v14, v18, v17
	s_cbranch_vccnz .LBB1270_2
; %bb.3:
	v_cmp_le_i32_e32 vcc, v8, v2
	s_and_saveexec_b64 s[0:1], vcc
	s_cbranch_execnz .LBB1270_6
.LBB1270_4:
	s_endpgm
.LBB1270_5:
	v_mov_b32_e32 v14, 0
	v_mov_b32_e32 v15, 0
	v_cmp_le_i32_e32 vcc, v8, v2
	s_and_saveexec_b64 s[0:1], vcc
	s_cbranch_execz .LBB1270_4
.LBB1270_6:
	s_load_dwordx2 s[6:7], s[4:5], 0x60
	s_load_dwordx4 s[0:3], s[4:5], 0x50
	v_mul_f32_e32 v4, s15, v14
	v_mul_f32_e32 v5, s14, v14
	v_fma_f32 v4, v15, s14, -v4
	s_waitcnt lgkmcnt(0)
	s_mul_i32 s5, s7, s8
	s_mul_hi_u32 s7, s6, s8
	s_mul_i32 s4, s6, s8
	s_add_i32 s5, s7, s5
	s_lshl_b64 s[4:5], s[4:5], 3
	s_add_u32 s4, s0, s4
	s_addc_u32 s5, s1, s5
	v_mul_lo_u32 v6, s3, v8
	v_mul_lo_u32 v7, s2, v9
	v_mad_u64_u32 v[0:1], s[0:1], s2, v8, 0
	v_fmac_f32_e32 v5, s15, v15
	v_add3_u32 v1, v1, v7, v6
	v_lshlrev_b64 v[0:1], 3, v[0:1]
	v_mov_b32_e32 v6, s5
	v_add_co_u32_e32 v7, vcc, s4, v0
	v_addc_co_u32_e32 v6, vcc, v6, v1, vcc
	v_lshlrev_b64 v[0:1], 3, v[2:3]
	v_add_co_u32_e32 v0, vcc, v7, v0
	v_addc_co_u32_e32 v1, vcc, v6, v1, vcc
	v_cmp_eq_u32_e32 vcc, v2, v8
	global_store_dwordx2 v[0:1], v[4:5], off
	s_and_b64 exec, exec, vcc
	s_cbranch_execz .LBB1270_4
; %bb.7:
	v_mov_b32_e32 v2, 0
	global_store_dword v[0:1], v2, off offset:4
	s_endpgm
	.section	.rodata,"a",@progbits
	.p2align	6, 0x0
	.amdhsa_kernel _ZL41rocblas_syrkx_herkx_small_restrict_kernelIl19rocblas_complex_numIfELi16ELb1ELb1ELc84ELc76EKS1_S1_EviT_T0_PT6_S3_lS6_S3_lS4_PT7_S3_li
		.amdhsa_group_segment_fixed_size 4096
		.amdhsa_private_segment_fixed_size 0
		.amdhsa_kernarg_size 108
		.amdhsa_user_sgpr_count 6
		.amdhsa_user_sgpr_private_segment_buffer 1
		.amdhsa_user_sgpr_dispatch_ptr 0
		.amdhsa_user_sgpr_queue_ptr 0
		.amdhsa_user_sgpr_kernarg_segment_ptr 1
		.amdhsa_user_sgpr_dispatch_id 0
		.amdhsa_user_sgpr_flat_scratch_init 0
		.amdhsa_user_sgpr_private_segment_size 0
		.amdhsa_uses_dynamic_stack 0
		.amdhsa_system_sgpr_private_segment_wavefront_offset 0
		.amdhsa_system_sgpr_workgroup_id_x 1
		.amdhsa_system_sgpr_workgroup_id_y 1
		.amdhsa_system_sgpr_workgroup_id_z 1
		.amdhsa_system_sgpr_workgroup_info 0
		.amdhsa_system_vgpr_workitem_id 1
		.amdhsa_next_free_vgpr 37
		.amdhsa_next_free_sgpr 28
		.amdhsa_reserve_vcc 1
		.amdhsa_reserve_flat_scratch 0
		.amdhsa_float_round_mode_32 0
		.amdhsa_float_round_mode_16_64 0
		.amdhsa_float_denorm_mode_32 3
		.amdhsa_float_denorm_mode_16_64 3
		.amdhsa_dx10_clamp 1
		.amdhsa_ieee_mode 1
		.amdhsa_fp16_overflow 0
		.amdhsa_exception_fp_ieee_invalid_op 0
		.amdhsa_exception_fp_denorm_src 0
		.amdhsa_exception_fp_ieee_div_zero 0
		.amdhsa_exception_fp_ieee_overflow 0
		.amdhsa_exception_fp_ieee_underflow 0
		.amdhsa_exception_fp_ieee_inexact 0
		.amdhsa_exception_int_div_zero 0
	.end_amdhsa_kernel
	.section	.text._ZL41rocblas_syrkx_herkx_small_restrict_kernelIl19rocblas_complex_numIfELi16ELb1ELb1ELc84ELc76EKS1_S1_EviT_T0_PT6_S3_lS6_S3_lS4_PT7_S3_li,"axG",@progbits,_ZL41rocblas_syrkx_herkx_small_restrict_kernelIl19rocblas_complex_numIfELi16ELb1ELb1ELc84ELc76EKS1_S1_EviT_T0_PT6_S3_lS6_S3_lS4_PT7_S3_li,comdat
.Lfunc_end1270:
	.size	_ZL41rocblas_syrkx_herkx_small_restrict_kernelIl19rocblas_complex_numIfELi16ELb1ELb1ELc84ELc76EKS1_S1_EviT_T0_PT6_S3_lS6_S3_lS4_PT7_S3_li, .Lfunc_end1270-_ZL41rocblas_syrkx_herkx_small_restrict_kernelIl19rocblas_complex_numIfELi16ELb1ELb1ELc84ELc76EKS1_S1_EviT_T0_PT6_S3_lS6_S3_lS4_PT7_S3_li
                                        ; -- End function
	.set _ZL41rocblas_syrkx_herkx_small_restrict_kernelIl19rocblas_complex_numIfELi16ELb1ELb1ELc84ELc76EKS1_S1_EviT_T0_PT6_S3_lS6_S3_lS4_PT7_S3_li.num_vgpr, 37
	.set _ZL41rocblas_syrkx_herkx_small_restrict_kernelIl19rocblas_complex_numIfELi16ELb1ELb1ELc84ELc76EKS1_S1_EviT_T0_PT6_S3_lS6_S3_lS4_PT7_S3_li.num_agpr, 0
	.set _ZL41rocblas_syrkx_herkx_small_restrict_kernelIl19rocblas_complex_numIfELi16ELb1ELb1ELc84ELc76EKS1_S1_EviT_T0_PT6_S3_lS6_S3_lS4_PT7_S3_li.numbered_sgpr, 28
	.set _ZL41rocblas_syrkx_herkx_small_restrict_kernelIl19rocblas_complex_numIfELi16ELb1ELb1ELc84ELc76EKS1_S1_EviT_T0_PT6_S3_lS6_S3_lS4_PT7_S3_li.num_named_barrier, 0
	.set _ZL41rocblas_syrkx_herkx_small_restrict_kernelIl19rocblas_complex_numIfELi16ELb1ELb1ELc84ELc76EKS1_S1_EviT_T0_PT6_S3_lS6_S3_lS4_PT7_S3_li.private_seg_size, 0
	.set _ZL41rocblas_syrkx_herkx_small_restrict_kernelIl19rocblas_complex_numIfELi16ELb1ELb1ELc84ELc76EKS1_S1_EviT_T0_PT6_S3_lS6_S3_lS4_PT7_S3_li.uses_vcc, 1
	.set _ZL41rocblas_syrkx_herkx_small_restrict_kernelIl19rocblas_complex_numIfELi16ELb1ELb1ELc84ELc76EKS1_S1_EviT_T0_PT6_S3_lS6_S3_lS4_PT7_S3_li.uses_flat_scratch, 0
	.set _ZL41rocblas_syrkx_herkx_small_restrict_kernelIl19rocblas_complex_numIfELi16ELb1ELb1ELc84ELc76EKS1_S1_EviT_T0_PT6_S3_lS6_S3_lS4_PT7_S3_li.has_dyn_sized_stack, 0
	.set _ZL41rocblas_syrkx_herkx_small_restrict_kernelIl19rocblas_complex_numIfELi16ELb1ELb1ELc84ELc76EKS1_S1_EviT_T0_PT6_S3_lS6_S3_lS4_PT7_S3_li.has_recursion, 0
	.set _ZL41rocblas_syrkx_herkx_small_restrict_kernelIl19rocblas_complex_numIfELi16ELb1ELb1ELc84ELc76EKS1_S1_EviT_T0_PT6_S3_lS6_S3_lS4_PT7_S3_li.has_indirect_call, 0
	.section	.AMDGPU.csdata,"",@progbits
; Kernel info:
; codeLenInByte = 1196
; TotalNumSgprs: 32
; NumVgprs: 37
; ScratchSize: 0
; MemoryBound: 0
; FloatMode: 240
; IeeeMode: 1
; LDSByteSize: 4096 bytes/workgroup (compile time only)
; SGPRBlocks: 3
; VGPRBlocks: 9
; NumSGPRsForWavesPerEU: 32
; NumVGPRsForWavesPerEU: 37
; Occupancy: 6
; WaveLimiterHint : 0
; COMPUTE_PGM_RSRC2:SCRATCH_EN: 0
; COMPUTE_PGM_RSRC2:USER_SGPR: 6
; COMPUTE_PGM_RSRC2:TRAP_HANDLER: 0
; COMPUTE_PGM_RSRC2:TGID_X_EN: 1
; COMPUTE_PGM_RSRC2:TGID_Y_EN: 1
; COMPUTE_PGM_RSRC2:TGID_Z_EN: 1
; COMPUTE_PGM_RSRC2:TIDIG_COMP_CNT: 1
	.section	.text._ZL41rocblas_syrkx_herkx_small_restrict_kernelIl19rocblas_complex_numIfELi16ELb1ELb1ELc67ELc76EKS1_S1_EviT_T0_PT6_S3_lS6_S3_lS4_PT7_S3_li,"axG",@progbits,_ZL41rocblas_syrkx_herkx_small_restrict_kernelIl19rocblas_complex_numIfELi16ELb1ELb1ELc67ELc76EKS1_S1_EviT_T0_PT6_S3_lS6_S3_lS4_PT7_S3_li,comdat
	.globl	_ZL41rocblas_syrkx_herkx_small_restrict_kernelIl19rocblas_complex_numIfELi16ELb1ELb1ELc67ELc76EKS1_S1_EviT_T0_PT6_S3_lS6_S3_lS4_PT7_S3_li ; -- Begin function _ZL41rocblas_syrkx_herkx_small_restrict_kernelIl19rocblas_complex_numIfELi16ELb1ELb1ELc67ELc76EKS1_S1_EviT_T0_PT6_S3_lS6_S3_lS4_PT7_S3_li
	.p2align	8
	.type	_ZL41rocblas_syrkx_herkx_small_restrict_kernelIl19rocblas_complex_numIfELi16ELb1ELb1ELc67ELc76EKS1_S1_EviT_T0_PT6_S3_lS6_S3_lS4_PT7_S3_li,@function
_ZL41rocblas_syrkx_herkx_small_restrict_kernelIl19rocblas_complex_numIfELi16ELb1ELb1ELc67ELc76EKS1_S1_EviT_T0_PT6_S3_lS6_S3_lS4_PT7_S3_li: ; @_ZL41rocblas_syrkx_herkx_small_restrict_kernelIl19rocblas_complex_numIfELi16ELb1ELb1ELc67ELc76EKS1_S1_EviT_T0_PT6_S3_lS6_S3_lS4_PT7_S3_li
; %bb.0:
	s_load_dwordx16 s[12:27], s[4:5], 0x8
	v_lshl_add_u32 v2, s6, 4, v0
	v_lshl_add_u32 v8, s7, 4, v1
	v_ashrrev_i32_e32 v3, 31, v2
	v_ashrrev_i32_e32 v9, 31, v8
	s_waitcnt lgkmcnt(0)
	v_cmp_lt_i64_e64 s[0:1], s[12:13], 1
	s_and_b64 vcc, exec, s[0:1]
	s_cbranch_vccnz .LBB1271_5
; %bb.1:
	v_lshlrev_b32_e32 v10, 3, v0
	v_mul_lo_u32 v0, s25, v8
	v_mul_lo_u32 v7, s24, v9
	v_mad_u64_u32 v[4:5], s[0:1], s24, v8, 0
	s_mul_i32 s0, s27, s8
	s_mul_hi_u32 s1, s26, s8
	v_add3_u32 v5, v5, v7, v0
	v_lshlrev_b64 v[4:5], 3, v[4:5]
	s_add_i32 s1, s1, s0
	s_mul_i32 s0, s26, s8
	v_lshlrev_b32_e32 v6, 7, v1
	s_lshl_b64 s[0:1], s[0:1], 3
	v_add_u32_e32 v11, v10, v6
	v_add_u32_e32 v12, 0x800, v6
	v_mov_b32_e32 v0, s1
	v_add_co_u32_e32 v4, vcc, s0, v4
	v_mul_lo_u32 v15, s19, v2
	v_mul_lo_u32 v16, s18, v3
	v_mad_u64_u32 v[6:7], s[0:1], s18, v2, 0
	v_addc_co_u32_e32 v0, vcc, v5, v0, vcc
	v_add_co_u32_e32 v4, vcc, v4, v10
	v_addc_co_u32_e32 v0, vcc, 0, v0, vcc
	v_add3_u32 v7, v7, v16, v15
	s_mul_i32 s0, s21, s8
	s_mul_hi_u32 s1, s20, s8
	v_mov_b32_e32 v5, s23
	v_add_co_u32_e32 v4, vcc, s22, v4
	v_lshlrev_b64 v[6:7], 3, v[6:7]
	s_add_i32 s1, s1, s0
	s_mul_i32 s0, s20, s8
	v_addc_co_u32_e32 v5, vcc, v5, v0, vcc
	s_lshl_b64 s[0:1], s[0:1], 3
	v_mov_b32_e32 v0, s1
	v_add_co_u32_e32 v6, vcc, s0, v6
	v_addc_co_u32_e32 v0, vcc, v7, v0, vcc
	v_lshlrev_b32_e32 v1, 3, v1
	v_add_co_u32_e32 v1, vcc, v6, v1
	v_addc_co_u32_e32 v0, vcc, 0, v0, vcc
	v_mov_b32_e32 v6, s17
	v_add_co_u32_e32 v1, vcc, s16, v1
	v_addc_co_u32_e32 v6, vcc, v6, v0, vcc
	v_add_co_u32_e32 v0, vcc, 4, v1
	v_addc_co_u32_e32 v1, vcc, 0, v6, vcc
	v_mov_b32_e32 v6, s12
	v_add_u32_e32 v13, v12, v10
	v_mov_b32_e32 v14, 0
	s_mov_b64 s[0:1], 0
	v_mov_b32_e32 v7, s13
	v_mov_b32_e32 v15, 0
.LBB1271_2:                             ; =>This Inner Loop Header: Depth=1
	global_load_dwordx2 v[16:17], v[0:1], off offset:-4
	s_add_u32 s0, s0, 16
	s_addc_u32 s1, s1, 0
	s_waitcnt vmcnt(0)
	v_xor_b32_e32 v17, 0x80000000, v17
	ds_write_b64 v11, v[16:17]
	global_load_dwordx2 v[16:17], v[4:5], off
	v_add_co_u32_e32 v4, vcc, 0x80, v4
	v_addc_co_u32_e32 v5, vcc, 0, v5, vcc
	v_add_co_u32_e32 v0, vcc, 0x80, v0
	v_addc_co_u32_e32 v1, vcc, 0, v1, vcc
	v_cmp_lt_i64_e32 vcc, s[0:1], v[6:7]
	s_and_b64 vcc, exec, vcc
	s_waitcnt vmcnt(0)
	ds_write_b64 v13, v[16:17]
	s_waitcnt lgkmcnt(0)
	s_barrier
	ds_read2_b64 v[16:19], v10 offset1:16
	ds_read_b128 v[20:23], v12
	ds_read_b128 v[24:27], v12 offset:16
	ds_read_b128 v[28:31], v12 offset:32
	ds_read_b128 v[32:35], v12 offset:48
	s_waitcnt lgkmcnt(3)
	v_mul_f32_e32 v36, v21, v17
	v_mul_f32_e32 v17, v20, v17
	v_fmac_f32_e32 v17, v21, v16
	v_fma_f32 v36, v20, v16, -v36
	v_add_f32_e32 v14, v14, v17
	v_mul_f32_e32 v16, v23, v19
	v_mul_f32_e32 v17, v22, v19
	v_add_f32_e32 v15, v15, v36
	v_fma_f32 v16, v22, v18, -v16
	v_fmac_f32_e32 v17, v23, v18
	v_add_f32_e32 v18, v15, v16
	v_add_f32_e32 v19, v14, v17
	ds_read2_b64 v[14:17], v10 offset0:32 offset1:48
	s_waitcnt lgkmcnt(0)
	v_mul_f32_e32 v20, v25, v15
	v_fma_f32 v20, v24, v14, -v20
	v_mul_f32_e32 v15, v24, v15
	v_fmac_f32_e32 v15, v25, v14
	v_add_f32_e32 v14, v18, v20
	v_mul_f32_e32 v18, v27, v17
	v_mul_f32_e32 v17, v26, v17
	v_add_f32_e32 v15, v19, v15
	v_fma_f32 v18, v26, v16, -v18
	v_fmac_f32_e32 v17, v27, v16
	v_add_f32_e32 v18, v14, v18
	v_add_f32_e32 v19, v15, v17
	ds_read2_b64 v[14:17], v10 offset0:64 offset1:80
	s_waitcnt lgkmcnt(0)
	v_mul_f32_e32 v20, v29, v15
	v_fma_f32 v20, v28, v14, -v20
	v_mul_f32_e32 v15, v28, v15
	v_fmac_f32_e32 v15, v29, v14
	;; [unrolled: 14-line block ×3, first 2 shown]
	v_add_f32_e32 v14, v18, v20
	v_mul_f32_e32 v18, v35, v17
	v_mul_f32_e32 v17, v34, v17
	v_add_f32_e32 v15, v19, v15
	v_fma_f32 v18, v34, v16, -v18
	v_fmac_f32_e32 v17, v35, v16
	v_add_f32_e32 v22, v14, v18
	v_add_f32_e32 v23, v15, v17
	ds_read2_b64 v[14:17], v10 offset0:128 offset1:144
	ds_read_b128 v[18:21], v12 offset:64
	s_waitcnt lgkmcnt(0)
	v_mul_f32_e32 v24, v19, v15
	v_mul_f32_e32 v15, v18, v15
	v_fma_f32 v24, v18, v14, -v24
	v_fmac_f32_e32 v15, v19, v14
	v_mul_f32_e32 v18, v21, v17
	v_mul_f32_e32 v17, v20, v17
	v_add_f32_e32 v14, v22, v24
	v_add_f32_e32 v15, v23, v15
	v_fma_f32 v18, v20, v16, -v18
	v_fmac_f32_e32 v17, v21, v16
	v_add_f32_e32 v22, v14, v18
	v_add_f32_e32 v23, v15, v17
	ds_read2_b64 v[14:17], v10 offset0:160 offset1:176
	ds_read_b128 v[18:21], v12 offset:80
	s_waitcnt lgkmcnt(0)
	v_mul_f32_e32 v24, v19, v15
	v_mul_f32_e32 v15, v18, v15
	v_fma_f32 v24, v18, v14, -v24
	v_fmac_f32_e32 v15, v19, v14
	v_mul_f32_e32 v18, v21, v17
	v_mul_f32_e32 v17, v20, v17
	v_add_f32_e32 v14, v22, v24
	v_add_f32_e32 v15, v23, v15
	v_fma_f32 v18, v20, v16, -v18
	v_fmac_f32_e32 v17, v21, v16
	v_add_f32_e32 v22, v14, v18
	v_add_f32_e32 v23, v15, v17
	ds_read2_b64 v[14:17], v10 offset0:192 offset1:208
	ds_read_b128 v[18:21], v12 offset:96
	s_waitcnt lgkmcnt(0)
	v_mul_f32_e32 v24, v19, v15
	v_mul_f32_e32 v15, v18, v15
	v_fma_f32 v24, v18, v14, -v24
	v_fmac_f32_e32 v15, v19, v14
	v_mul_f32_e32 v18, v21, v17
	v_mul_f32_e32 v17, v20, v17
	v_add_f32_e32 v14, v22, v24
	v_add_f32_e32 v15, v23, v15
	v_fma_f32 v18, v20, v16, -v18
	v_fmac_f32_e32 v17, v21, v16
	v_add_f32_e32 v22, v14, v18
	v_add_f32_e32 v23, v15, v17
	ds_read2_b64 v[14:17], v10 offset0:224 offset1:240
	ds_read_b128 v[18:21], v12 offset:112
	s_waitcnt lgkmcnt(0)
	s_barrier
	v_mul_f32_e32 v24, v19, v15
	v_mul_f32_e32 v15, v18, v15
	v_fmac_f32_e32 v15, v19, v14
	v_fma_f32 v24, v18, v14, -v24
	v_add_f32_e32 v18, v23, v15
	v_mul_f32_e32 v15, v21, v17
	v_mul_f32_e32 v17, v20, v17
	v_add_f32_e32 v14, v22, v24
	v_fma_f32 v15, v20, v16, -v15
	v_fmac_f32_e32 v17, v21, v16
	v_add_f32_e32 v15, v14, v15
	v_add_f32_e32 v14, v18, v17
	s_cbranch_vccnz .LBB1271_2
; %bb.3:
	v_cmp_le_i32_e32 vcc, v8, v2
	s_and_saveexec_b64 s[0:1], vcc
	s_cbranch_execnz .LBB1271_6
.LBB1271_4:
	s_endpgm
.LBB1271_5:
	v_mov_b32_e32 v14, 0
	v_mov_b32_e32 v15, 0
	v_cmp_le_i32_e32 vcc, v8, v2
	s_and_saveexec_b64 s[0:1], vcc
	s_cbranch_execz .LBB1271_4
.LBB1271_6:
	s_load_dwordx2 s[6:7], s[4:5], 0x60
	s_load_dwordx4 s[0:3], s[4:5], 0x50
	v_mul_f32_e32 v4, s15, v14
	v_mul_f32_e32 v5, s14, v14
	v_fma_f32 v4, v15, s14, -v4
	s_waitcnt lgkmcnt(0)
	s_mul_i32 s5, s7, s8
	s_mul_hi_u32 s7, s6, s8
	s_mul_i32 s4, s6, s8
	s_add_i32 s5, s7, s5
	s_lshl_b64 s[4:5], s[4:5], 3
	s_add_u32 s4, s0, s4
	s_addc_u32 s5, s1, s5
	v_mul_lo_u32 v6, s3, v8
	v_mul_lo_u32 v7, s2, v9
	v_mad_u64_u32 v[0:1], s[0:1], s2, v8, 0
	v_fmac_f32_e32 v5, s15, v15
	v_add3_u32 v1, v1, v7, v6
	v_lshlrev_b64 v[0:1], 3, v[0:1]
	v_mov_b32_e32 v6, s5
	v_add_co_u32_e32 v7, vcc, s4, v0
	v_addc_co_u32_e32 v6, vcc, v6, v1, vcc
	v_lshlrev_b64 v[0:1], 3, v[2:3]
	v_add_co_u32_e32 v0, vcc, v7, v0
	v_addc_co_u32_e32 v1, vcc, v6, v1, vcc
	v_cmp_eq_u32_e32 vcc, v2, v8
	global_store_dwordx2 v[0:1], v[4:5], off
	s_and_b64 exec, exec, vcc
	s_cbranch_execz .LBB1271_4
; %bb.7:
	v_mov_b32_e32 v2, 0
	global_store_dword v[0:1], v2, off offset:4
	s_endpgm
	.section	.rodata,"a",@progbits
	.p2align	6, 0x0
	.amdhsa_kernel _ZL41rocblas_syrkx_herkx_small_restrict_kernelIl19rocblas_complex_numIfELi16ELb1ELb1ELc67ELc76EKS1_S1_EviT_T0_PT6_S3_lS6_S3_lS4_PT7_S3_li
		.amdhsa_group_segment_fixed_size 4096
		.amdhsa_private_segment_fixed_size 0
		.amdhsa_kernarg_size 108
		.amdhsa_user_sgpr_count 6
		.amdhsa_user_sgpr_private_segment_buffer 1
		.amdhsa_user_sgpr_dispatch_ptr 0
		.amdhsa_user_sgpr_queue_ptr 0
		.amdhsa_user_sgpr_kernarg_segment_ptr 1
		.amdhsa_user_sgpr_dispatch_id 0
		.amdhsa_user_sgpr_flat_scratch_init 0
		.amdhsa_user_sgpr_private_segment_size 0
		.amdhsa_uses_dynamic_stack 0
		.amdhsa_system_sgpr_private_segment_wavefront_offset 0
		.amdhsa_system_sgpr_workgroup_id_x 1
		.amdhsa_system_sgpr_workgroup_id_y 1
		.amdhsa_system_sgpr_workgroup_id_z 1
		.amdhsa_system_sgpr_workgroup_info 0
		.amdhsa_system_vgpr_workitem_id 1
		.amdhsa_next_free_vgpr 37
		.amdhsa_next_free_sgpr 28
		.amdhsa_reserve_vcc 1
		.amdhsa_reserve_flat_scratch 0
		.amdhsa_float_round_mode_32 0
		.amdhsa_float_round_mode_16_64 0
		.amdhsa_float_denorm_mode_32 3
		.amdhsa_float_denorm_mode_16_64 3
		.amdhsa_dx10_clamp 1
		.amdhsa_ieee_mode 1
		.amdhsa_fp16_overflow 0
		.amdhsa_exception_fp_ieee_invalid_op 0
		.amdhsa_exception_fp_denorm_src 0
		.amdhsa_exception_fp_ieee_div_zero 0
		.amdhsa_exception_fp_ieee_overflow 0
		.amdhsa_exception_fp_ieee_underflow 0
		.amdhsa_exception_fp_ieee_inexact 0
		.amdhsa_exception_int_div_zero 0
	.end_amdhsa_kernel
	.section	.text._ZL41rocblas_syrkx_herkx_small_restrict_kernelIl19rocblas_complex_numIfELi16ELb1ELb1ELc67ELc76EKS1_S1_EviT_T0_PT6_S3_lS6_S3_lS4_PT7_S3_li,"axG",@progbits,_ZL41rocblas_syrkx_herkx_small_restrict_kernelIl19rocblas_complex_numIfELi16ELb1ELb1ELc67ELc76EKS1_S1_EviT_T0_PT6_S3_lS6_S3_lS4_PT7_S3_li,comdat
.Lfunc_end1271:
	.size	_ZL41rocblas_syrkx_herkx_small_restrict_kernelIl19rocblas_complex_numIfELi16ELb1ELb1ELc67ELc76EKS1_S1_EviT_T0_PT6_S3_lS6_S3_lS4_PT7_S3_li, .Lfunc_end1271-_ZL41rocblas_syrkx_herkx_small_restrict_kernelIl19rocblas_complex_numIfELi16ELb1ELb1ELc67ELc76EKS1_S1_EviT_T0_PT6_S3_lS6_S3_lS4_PT7_S3_li
                                        ; -- End function
	.set _ZL41rocblas_syrkx_herkx_small_restrict_kernelIl19rocblas_complex_numIfELi16ELb1ELb1ELc67ELc76EKS1_S1_EviT_T0_PT6_S3_lS6_S3_lS4_PT7_S3_li.num_vgpr, 37
	.set _ZL41rocblas_syrkx_herkx_small_restrict_kernelIl19rocblas_complex_numIfELi16ELb1ELb1ELc67ELc76EKS1_S1_EviT_T0_PT6_S3_lS6_S3_lS4_PT7_S3_li.num_agpr, 0
	.set _ZL41rocblas_syrkx_herkx_small_restrict_kernelIl19rocblas_complex_numIfELi16ELb1ELb1ELc67ELc76EKS1_S1_EviT_T0_PT6_S3_lS6_S3_lS4_PT7_S3_li.numbered_sgpr, 28
	.set _ZL41rocblas_syrkx_herkx_small_restrict_kernelIl19rocblas_complex_numIfELi16ELb1ELb1ELc67ELc76EKS1_S1_EviT_T0_PT6_S3_lS6_S3_lS4_PT7_S3_li.num_named_barrier, 0
	.set _ZL41rocblas_syrkx_herkx_small_restrict_kernelIl19rocblas_complex_numIfELi16ELb1ELb1ELc67ELc76EKS1_S1_EviT_T0_PT6_S3_lS6_S3_lS4_PT7_S3_li.private_seg_size, 0
	.set _ZL41rocblas_syrkx_herkx_small_restrict_kernelIl19rocblas_complex_numIfELi16ELb1ELb1ELc67ELc76EKS1_S1_EviT_T0_PT6_S3_lS6_S3_lS4_PT7_S3_li.uses_vcc, 1
	.set _ZL41rocblas_syrkx_herkx_small_restrict_kernelIl19rocblas_complex_numIfELi16ELb1ELb1ELc67ELc76EKS1_S1_EviT_T0_PT6_S3_lS6_S3_lS4_PT7_S3_li.uses_flat_scratch, 0
	.set _ZL41rocblas_syrkx_herkx_small_restrict_kernelIl19rocblas_complex_numIfELi16ELb1ELb1ELc67ELc76EKS1_S1_EviT_T0_PT6_S3_lS6_S3_lS4_PT7_S3_li.has_dyn_sized_stack, 0
	.set _ZL41rocblas_syrkx_herkx_small_restrict_kernelIl19rocblas_complex_numIfELi16ELb1ELb1ELc67ELc76EKS1_S1_EviT_T0_PT6_S3_lS6_S3_lS4_PT7_S3_li.has_recursion, 0
	.set _ZL41rocblas_syrkx_herkx_small_restrict_kernelIl19rocblas_complex_numIfELi16ELb1ELb1ELc67ELc76EKS1_S1_EviT_T0_PT6_S3_lS6_S3_lS4_PT7_S3_li.has_indirect_call, 0
	.section	.AMDGPU.csdata,"",@progbits
; Kernel info:
; codeLenInByte = 1212
; TotalNumSgprs: 32
; NumVgprs: 37
; ScratchSize: 0
; MemoryBound: 0
; FloatMode: 240
; IeeeMode: 1
; LDSByteSize: 4096 bytes/workgroup (compile time only)
; SGPRBlocks: 3
; VGPRBlocks: 9
; NumSGPRsForWavesPerEU: 32
; NumVGPRsForWavesPerEU: 37
; Occupancy: 6
; WaveLimiterHint : 0
; COMPUTE_PGM_RSRC2:SCRATCH_EN: 0
; COMPUTE_PGM_RSRC2:USER_SGPR: 6
; COMPUTE_PGM_RSRC2:TRAP_HANDLER: 0
; COMPUTE_PGM_RSRC2:TGID_X_EN: 1
; COMPUTE_PGM_RSRC2:TGID_Y_EN: 1
; COMPUTE_PGM_RSRC2:TGID_Z_EN: 1
; COMPUTE_PGM_RSRC2:TIDIG_COMP_CNT: 1
	.section	.text._ZL41rocblas_syrkx_herkx_small_restrict_kernelIl19rocblas_complex_numIfELi16ELb1ELb1ELc78ELc76EKS1_S1_EviT_T0_PT6_S3_lS6_S3_lS4_PT7_S3_li,"axG",@progbits,_ZL41rocblas_syrkx_herkx_small_restrict_kernelIl19rocblas_complex_numIfELi16ELb1ELb1ELc78ELc76EKS1_S1_EviT_T0_PT6_S3_lS6_S3_lS4_PT7_S3_li,comdat
	.globl	_ZL41rocblas_syrkx_herkx_small_restrict_kernelIl19rocblas_complex_numIfELi16ELb1ELb1ELc78ELc76EKS1_S1_EviT_T0_PT6_S3_lS6_S3_lS4_PT7_S3_li ; -- Begin function _ZL41rocblas_syrkx_herkx_small_restrict_kernelIl19rocblas_complex_numIfELi16ELb1ELb1ELc78ELc76EKS1_S1_EviT_T0_PT6_S3_lS6_S3_lS4_PT7_S3_li
	.p2align	8
	.type	_ZL41rocblas_syrkx_herkx_small_restrict_kernelIl19rocblas_complex_numIfELi16ELb1ELb1ELc78ELc76EKS1_S1_EviT_T0_PT6_S3_lS6_S3_lS4_PT7_S3_li,@function
_ZL41rocblas_syrkx_herkx_small_restrict_kernelIl19rocblas_complex_numIfELi16ELb1ELb1ELc78ELc76EKS1_S1_EviT_T0_PT6_S3_lS6_S3_lS4_PT7_S3_li: ; @_ZL41rocblas_syrkx_herkx_small_restrict_kernelIl19rocblas_complex_numIfELi16ELb1ELb1ELc78ELc76EKS1_S1_EviT_T0_PT6_S3_lS6_S3_lS4_PT7_S3_li
; %bb.0:
	s_load_dwordx16 s[12:27], s[4:5], 0x8
	v_lshl_add_u32 v2, s6, 4, v0
	v_lshl_add_u32 v4, s7, 4, v1
	v_ashrrev_i32_e32 v3, 31, v2
	v_ashrrev_i32_e32 v5, 31, v4
	s_waitcnt lgkmcnt(0)
	v_cmp_lt_i64_e64 s[0:1], s[12:13], 1
	s_and_b64 vcc, exec, s[0:1]
	s_cbranch_vccnz .LBB1272_5
; %bb.1:
	v_lshlrev_b32_e32 v6, 7, v1
	v_lshlrev_b32_e32 v10, 3, v0
	v_add_u32_e32 v11, v10, v6
	v_add_u32_e32 v12, 0x800, v6
	v_mad_u64_u32 v[6:7], s[0:1], s24, v0, 0
	s_mul_i32 s2, s27, s8
	s_mul_hi_u32 s3, s26, s8
	v_mad_u64_u32 v[7:8], s[0:1], s25, v0, v[7:8]
	s_add_i32 s1, s3, s2
	s_mul_i32 s0, s26, s8
	v_lshlrev_b64 v[6:7], 3, v[6:7]
	s_lshl_b64 s[0:1], s[0:1], 3
	v_mov_b32_e32 v0, s1
	v_add_co_u32_e32 v8, vcc, s0, v6
	v_addc_co_u32_e32 v0, vcc, v0, v7, vcc
	v_lshlrev_b64 v[6:7], 3, v[4:5]
	s_mul_i32 s6, s21, s8
	v_add_co_u32_e32 v6, vcc, v8, v6
	v_addc_co_u32_e32 v0, vcc, v0, v7, vcc
	v_mad_u64_u32 v[8:9], s[0:1], s18, v1, 0
	v_mov_b32_e32 v7, s23
	v_add_co_u32_e32 v6, vcc, s22, v6
	v_addc_co_u32_e32 v0, vcc, v7, v0, vcc
	v_add_co_u32_e32 v6, vcc, 4, v6
	v_addc_co_u32_e32 v7, vcc, 0, v0, vcc
	v_mov_b32_e32 v0, v9
	v_mad_u64_u32 v[0:1], s[2:3], s19, v1, v[0:1]
	s_mul_hi_u32 s7, s20, s8
	s_add_i32 s3, s7, s6
	v_mov_b32_e32 v9, v0
	s_mul_i32 s2, s20, s8
	v_lshlrev_b64 v[0:1], 3, v[8:9]
	s_lshl_b64 s[2:3], s[2:3], 3
	v_mov_b32_e32 v8, s3
	v_add_co_u32_e32 v9, vcc, s2, v0
	v_addc_co_u32_e32 v8, vcc, v8, v1, vcc
	v_lshlrev_b64 v[0:1], 3, v[2:3]
	s_lshl_b64 s[0:1], s[24:25], 7
	v_add_co_u32_e32 v0, vcc, v9, v0
	v_addc_co_u32_e32 v1, vcc, v8, v1, vcc
	v_mov_b32_e32 v8, s17
	v_add_co_u32_e32 v0, vcc, s16, v0
	v_addc_co_u32_e32 v1, vcc, v8, v1, vcc
	s_lshl_b64 s[2:3], s[18:19], 7
	v_mov_b32_e32 v8, s12
	v_add_u32_e32 v13, v12, v10
	v_mov_b32_e32 v16, 0
	s_mov_b64 s[6:7], 0
	v_mov_b32_e32 v14, s1
	v_mov_b32_e32 v15, s3
	;; [unrolled: 1-line block ×4, first 2 shown]
.LBB1272_2:                             ; =>This Inner Loop Header: Depth=1
	global_load_dwordx2 v[18:19], v[0:1], off
	s_add_u32 s6, s6, 16
	s_addc_u32 s7, s7, 0
	s_waitcnt vmcnt(0)
	ds_write_b64 v11, v[18:19]
	global_load_dwordx2 v[18:19], v[6:7], off offset:-4
	v_add_co_u32_e32 v6, vcc, s0, v6
	v_addc_co_u32_e32 v7, vcc, v7, v14, vcc
	v_add_co_u32_e32 v0, vcc, s2, v0
	v_addc_co_u32_e32 v1, vcc, v1, v15, vcc
	v_cmp_lt_i64_e32 vcc, s[6:7], v[8:9]
	s_and_b64 vcc, exec, vcc
	s_waitcnt vmcnt(0)
	v_xor_b32_e32 v19, 0x80000000, v19
	ds_write_b64 v13, v[18:19]
	s_waitcnt lgkmcnt(0)
	s_barrier
	ds_read2_b64 v[18:21], v10 offset1:16
	ds_read_b128 v[22:25], v12
	ds_read_b128 v[26:29], v12 offset:16
	ds_read_b128 v[30:33], v12 offset:32
	;; [unrolled: 1-line block ×3, first 2 shown]
	s_waitcnt lgkmcnt(3)
	v_mul_f32_e32 v38, v23, v19
	v_mul_f32_e32 v19, v22, v19
	v_fmac_f32_e32 v19, v23, v18
	v_fma_f32 v38, v22, v18, -v38
	v_add_f32_e32 v16, v16, v19
	v_mul_f32_e32 v18, v25, v21
	v_mul_f32_e32 v19, v24, v21
	v_add_f32_e32 v17, v17, v38
	v_fma_f32 v18, v24, v20, -v18
	v_fmac_f32_e32 v19, v25, v20
	v_add_f32_e32 v20, v17, v18
	v_add_f32_e32 v21, v16, v19
	ds_read2_b64 v[16:19], v10 offset0:32 offset1:48
	s_waitcnt lgkmcnt(0)
	v_mul_f32_e32 v22, v27, v17
	v_fma_f32 v22, v26, v16, -v22
	v_mul_f32_e32 v17, v26, v17
	v_fmac_f32_e32 v17, v27, v16
	v_add_f32_e32 v16, v20, v22
	v_mul_f32_e32 v20, v29, v19
	v_mul_f32_e32 v19, v28, v19
	v_add_f32_e32 v17, v21, v17
	v_fma_f32 v20, v28, v18, -v20
	v_fmac_f32_e32 v19, v29, v18
	v_add_f32_e32 v20, v16, v20
	v_add_f32_e32 v21, v17, v19
	ds_read2_b64 v[16:19], v10 offset0:64 offset1:80
	s_waitcnt lgkmcnt(0)
	v_mul_f32_e32 v22, v31, v17
	v_fma_f32 v22, v30, v16, -v22
	v_mul_f32_e32 v17, v30, v17
	v_fmac_f32_e32 v17, v31, v16
	v_add_f32_e32 v16, v20, v22
	v_mul_f32_e32 v20, v33, v19
	v_mul_f32_e32 v19, v32, v19
	v_add_f32_e32 v17, v21, v17
	v_fma_f32 v20, v32, v18, -v20
	v_fmac_f32_e32 v19, v33, v18
	v_add_f32_e32 v20, v16, v20
	v_add_f32_e32 v21, v17, v19
	ds_read2_b64 v[16:19], v10 offset0:96 offset1:112
	s_waitcnt lgkmcnt(0)
	v_mul_f32_e32 v22, v35, v17
	v_fma_f32 v22, v34, v16, -v22
	v_mul_f32_e32 v17, v34, v17
	v_fmac_f32_e32 v17, v35, v16
	v_add_f32_e32 v16, v20, v22
	v_mul_f32_e32 v20, v37, v19
	v_mul_f32_e32 v19, v36, v19
	v_add_f32_e32 v17, v21, v17
	v_fma_f32 v20, v36, v18, -v20
	v_fmac_f32_e32 v19, v37, v18
	v_add_f32_e32 v24, v16, v20
	v_add_f32_e32 v25, v17, v19
	ds_read2_b64 v[16:19], v10 offset0:128 offset1:144
	ds_read_b128 v[20:23], v12 offset:64
	s_waitcnt lgkmcnt(0)
	v_mul_f32_e32 v26, v21, v17
	v_mul_f32_e32 v17, v20, v17
	v_fma_f32 v26, v20, v16, -v26
	v_fmac_f32_e32 v17, v21, v16
	v_mul_f32_e32 v20, v23, v19
	v_mul_f32_e32 v19, v22, v19
	v_add_f32_e32 v16, v24, v26
	v_add_f32_e32 v17, v25, v17
	v_fma_f32 v20, v22, v18, -v20
	v_fmac_f32_e32 v19, v23, v18
	v_add_f32_e32 v24, v16, v20
	v_add_f32_e32 v25, v17, v19
	ds_read2_b64 v[16:19], v10 offset0:160 offset1:176
	ds_read_b128 v[20:23], v12 offset:80
	s_waitcnt lgkmcnt(0)
	v_mul_f32_e32 v26, v21, v17
	v_mul_f32_e32 v17, v20, v17
	v_fma_f32 v26, v20, v16, -v26
	v_fmac_f32_e32 v17, v21, v16
	v_mul_f32_e32 v20, v23, v19
	v_mul_f32_e32 v19, v22, v19
	v_add_f32_e32 v16, v24, v26
	;; [unrolled: 15-line block ×3, first 2 shown]
	v_add_f32_e32 v17, v25, v17
	v_fma_f32 v20, v22, v18, -v20
	v_fmac_f32_e32 v19, v23, v18
	v_add_f32_e32 v24, v16, v20
	v_add_f32_e32 v25, v17, v19
	ds_read2_b64 v[16:19], v10 offset0:224 offset1:240
	ds_read_b128 v[20:23], v12 offset:112
	s_waitcnt lgkmcnt(0)
	s_barrier
	v_mul_f32_e32 v26, v21, v17
	v_mul_f32_e32 v17, v20, v17
	v_fmac_f32_e32 v17, v21, v16
	v_fma_f32 v26, v20, v16, -v26
	v_add_f32_e32 v20, v25, v17
	v_mul_f32_e32 v17, v23, v19
	v_mul_f32_e32 v19, v22, v19
	v_add_f32_e32 v16, v24, v26
	v_fma_f32 v17, v22, v18, -v17
	v_fmac_f32_e32 v19, v23, v18
	v_add_f32_e32 v17, v16, v17
	v_add_f32_e32 v16, v20, v19
	s_cbranch_vccnz .LBB1272_2
; %bb.3:
	v_cmp_le_i32_e32 vcc, v4, v2
	s_and_saveexec_b64 s[0:1], vcc
	s_cbranch_execnz .LBB1272_6
.LBB1272_4:
	s_endpgm
.LBB1272_5:
	v_mov_b32_e32 v16, 0
	v_mov_b32_e32 v17, 0
	v_cmp_le_i32_e32 vcc, v4, v2
	s_and_saveexec_b64 s[0:1], vcc
	s_cbranch_execz .LBB1272_4
.LBB1272_6:
	s_load_dwordx2 s[6:7], s[4:5], 0x60
	s_load_dwordx4 s[0:3], s[4:5], 0x50
	v_mul_f32_e32 v6, s15, v16
	s_waitcnt lgkmcnt(0)
	s_mul_i32 s5, s7, s8
	s_mul_hi_u32 s7, s6, s8
	s_mul_i32 s4, s6, s8
	s_add_i32 s5, s7, s5
	s_lshl_b64 s[4:5], s[4:5], 3
	s_add_u32 s4, s0, s4
	s_addc_u32 s5, s1, s5
	v_mul_lo_u32 v7, s3, v4
	v_mul_lo_u32 v8, s2, v5
	v_mad_u64_u32 v[0:1], s[0:1], s2, v4, 0
	v_fma_f32 v5, v17, s14, -v6
	v_mul_f32_e32 v6, s14, v16
	v_add3_u32 v1, v1, v8, v7
	v_lshlrev_b64 v[0:1], 3, v[0:1]
	v_mov_b32_e32 v7, s5
	v_add_co_u32_e32 v8, vcc, s4, v0
	v_addc_co_u32_e32 v7, vcc, v7, v1, vcc
	v_lshlrev_b64 v[0:1], 3, v[2:3]
	v_fmac_f32_e32 v6, s15, v17
	v_add_co_u32_e32 v0, vcc, v8, v0
	v_addc_co_u32_e32 v1, vcc, v7, v1, vcc
	v_cmp_eq_u32_e32 vcc, v2, v4
	global_store_dwordx2 v[0:1], v[5:6], off
	s_and_b64 exec, exec, vcc
	s_cbranch_execz .LBB1272_4
; %bb.7:
	v_mov_b32_e32 v2, 0
	global_store_dword v[0:1], v2, off offset:4
	s_endpgm
	.section	.rodata,"a",@progbits
	.p2align	6, 0x0
	.amdhsa_kernel _ZL41rocblas_syrkx_herkx_small_restrict_kernelIl19rocblas_complex_numIfELi16ELb1ELb1ELc78ELc76EKS1_S1_EviT_T0_PT6_S3_lS6_S3_lS4_PT7_S3_li
		.amdhsa_group_segment_fixed_size 4096
		.amdhsa_private_segment_fixed_size 0
		.amdhsa_kernarg_size 108
		.amdhsa_user_sgpr_count 6
		.amdhsa_user_sgpr_private_segment_buffer 1
		.amdhsa_user_sgpr_dispatch_ptr 0
		.amdhsa_user_sgpr_queue_ptr 0
		.amdhsa_user_sgpr_kernarg_segment_ptr 1
		.amdhsa_user_sgpr_dispatch_id 0
		.amdhsa_user_sgpr_flat_scratch_init 0
		.amdhsa_user_sgpr_private_segment_size 0
		.amdhsa_uses_dynamic_stack 0
		.amdhsa_system_sgpr_private_segment_wavefront_offset 0
		.amdhsa_system_sgpr_workgroup_id_x 1
		.amdhsa_system_sgpr_workgroup_id_y 1
		.amdhsa_system_sgpr_workgroup_id_z 1
		.amdhsa_system_sgpr_workgroup_info 0
		.amdhsa_system_vgpr_workitem_id 1
		.amdhsa_next_free_vgpr 39
		.amdhsa_next_free_sgpr 28
		.amdhsa_reserve_vcc 1
		.amdhsa_reserve_flat_scratch 0
		.amdhsa_float_round_mode_32 0
		.amdhsa_float_round_mode_16_64 0
		.amdhsa_float_denorm_mode_32 3
		.amdhsa_float_denorm_mode_16_64 3
		.amdhsa_dx10_clamp 1
		.amdhsa_ieee_mode 1
		.amdhsa_fp16_overflow 0
		.amdhsa_exception_fp_ieee_invalid_op 0
		.amdhsa_exception_fp_denorm_src 0
		.amdhsa_exception_fp_ieee_div_zero 0
		.amdhsa_exception_fp_ieee_overflow 0
		.amdhsa_exception_fp_ieee_underflow 0
		.amdhsa_exception_fp_ieee_inexact 0
		.amdhsa_exception_int_div_zero 0
	.end_amdhsa_kernel
	.section	.text._ZL41rocblas_syrkx_herkx_small_restrict_kernelIl19rocblas_complex_numIfELi16ELb1ELb1ELc78ELc76EKS1_S1_EviT_T0_PT6_S3_lS6_S3_lS4_PT7_S3_li,"axG",@progbits,_ZL41rocblas_syrkx_herkx_small_restrict_kernelIl19rocblas_complex_numIfELi16ELb1ELb1ELc78ELc76EKS1_S1_EviT_T0_PT6_S3_lS6_S3_lS4_PT7_S3_li,comdat
.Lfunc_end1272:
	.size	_ZL41rocblas_syrkx_herkx_small_restrict_kernelIl19rocblas_complex_numIfELi16ELb1ELb1ELc78ELc76EKS1_S1_EviT_T0_PT6_S3_lS6_S3_lS4_PT7_S3_li, .Lfunc_end1272-_ZL41rocblas_syrkx_herkx_small_restrict_kernelIl19rocblas_complex_numIfELi16ELb1ELb1ELc78ELc76EKS1_S1_EviT_T0_PT6_S3_lS6_S3_lS4_PT7_S3_li
                                        ; -- End function
	.set _ZL41rocblas_syrkx_herkx_small_restrict_kernelIl19rocblas_complex_numIfELi16ELb1ELb1ELc78ELc76EKS1_S1_EviT_T0_PT6_S3_lS6_S3_lS4_PT7_S3_li.num_vgpr, 39
	.set _ZL41rocblas_syrkx_herkx_small_restrict_kernelIl19rocblas_complex_numIfELi16ELb1ELb1ELc78ELc76EKS1_S1_EviT_T0_PT6_S3_lS6_S3_lS4_PT7_S3_li.num_agpr, 0
	.set _ZL41rocblas_syrkx_herkx_small_restrict_kernelIl19rocblas_complex_numIfELi16ELb1ELb1ELc78ELc76EKS1_S1_EviT_T0_PT6_S3_lS6_S3_lS4_PT7_S3_li.numbered_sgpr, 28
	.set _ZL41rocblas_syrkx_herkx_small_restrict_kernelIl19rocblas_complex_numIfELi16ELb1ELb1ELc78ELc76EKS1_S1_EviT_T0_PT6_S3_lS6_S3_lS4_PT7_S3_li.num_named_barrier, 0
	.set _ZL41rocblas_syrkx_herkx_small_restrict_kernelIl19rocblas_complex_numIfELi16ELb1ELb1ELc78ELc76EKS1_S1_EviT_T0_PT6_S3_lS6_S3_lS4_PT7_S3_li.private_seg_size, 0
	.set _ZL41rocblas_syrkx_herkx_small_restrict_kernelIl19rocblas_complex_numIfELi16ELb1ELb1ELc78ELc76EKS1_S1_EviT_T0_PT6_S3_lS6_S3_lS4_PT7_S3_li.uses_vcc, 1
	.set _ZL41rocblas_syrkx_herkx_small_restrict_kernelIl19rocblas_complex_numIfELi16ELb1ELb1ELc78ELc76EKS1_S1_EviT_T0_PT6_S3_lS6_S3_lS4_PT7_S3_li.uses_flat_scratch, 0
	.set _ZL41rocblas_syrkx_herkx_small_restrict_kernelIl19rocblas_complex_numIfELi16ELb1ELb1ELc78ELc76EKS1_S1_EviT_T0_PT6_S3_lS6_S3_lS4_PT7_S3_li.has_dyn_sized_stack, 0
	.set _ZL41rocblas_syrkx_herkx_small_restrict_kernelIl19rocblas_complex_numIfELi16ELb1ELb1ELc78ELc76EKS1_S1_EviT_T0_PT6_S3_lS6_S3_lS4_PT7_S3_li.has_recursion, 0
	.set _ZL41rocblas_syrkx_herkx_small_restrict_kernelIl19rocblas_complex_numIfELi16ELb1ELb1ELc78ELc76EKS1_S1_EviT_T0_PT6_S3_lS6_S3_lS4_PT7_S3_li.has_indirect_call, 0
	.section	.AMDGPU.csdata,"",@progbits
; Kernel info:
; codeLenInByte = 1208
; TotalNumSgprs: 32
; NumVgprs: 39
; ScratchSize: 0
; MemoryBound: 0
; FloatMode: 240
; IeeeMode: 1
; LDSByteSize: 4096 bytes/workgroup (compile time only)
; SGPRBlocks: 3
; VGPRBlocks: 9
; NumSGPRsForWavesPerEU: 32
; NumVGPRsForWavesPerEU: 39
; Occupancy: 6
; WaveLimiterHint : 0
; COMPUTE_PGM_RSRC2:SCRATCH_EN: 0
; COMPUTE_PGM_RSRC2:USER_SGPR: 6
; COMPUTE_PGM_RSRC2:TRAP_HANDLER: 0
; COMPUTE_PGM_RSRC2:TGID_X_EN: 1
; COMPUTE_PGM_RSRC2:TGID_Y_EN: 1
; COMPUTE_PGM_RSRC2:TGID_Z_EN: 1
; COMPUTE_PGM_RSRC2:TIDIG_COMP_CNT: 1
	.section	.text._ZL41rocblas_syrkx_herkx_small_restrict_kernelIl19rocblas_complex_numIfELi16ELb1ELb1ELc84ELc85EKS1_S1_EviT_T0_PT6_S3_lS6_S3_lS4_PT7_S3_li,"axG",@progbits,_ZL41rocblas_syrkx_herkx_small_restrict_kernelIl19rocblas_complex_numIfELi16ELb1ELb1ELc84ELc85EKS1_S1_EviT_T0_PT6_S3_lS6_S3_lS4_PT7_S3_li,comdat
	.globl	_ZL41rocblas_syrkx_herkx_small_restrict_kernelIl19rocblas_complex_numIfELi16ELb1ELb1ELc84ELc85EKS1_S1_EviT_T0_PT6_S3_lS6_S3_lS4_PT7_S3_li ; -- Begin function _ZL41rocblas_syrkx_herkx_small_restrict_kernelIl19rocblas_complex_numIfELi16ELb1ELb1ELc84ELc85EKS1_S1_EviT_T0_PT6_S3_lS6_S3_lS4_PT7_S3_li
	.p2align	8
	.type	_ZL41rocblas_syrkx_herkx_small_restrict_kernelIl19rocblas_complex_numIfELi16ELb1ELb1ELc84ELc85EKS1_S1_EviT_T0_PT6_S3_lS6_S3_lS4_PT7_S3_li,@function
_ZL41rocblas_syrkx_herkx_small_restrict_kernelIl19rocblas_complex_numIfELi16ELb1ELb1ELc84ELc85EKS1_S1_EviT_T0_PT6_S3_lS6_S3_lS4_PT7_S3_li: ; @_ZL41rocblas_syrkx_herkx_small_restrict_kernelIl19rocblas_complex_numIfELi16ELb1ELb1ELc84ELc85EKS1_S1_EviT_T0_PT6_S3_lS6_S3_lS4_PT7_S3_li
; %bb.0:
	s_load_dwordx16 s[12:27], s[4:5], 0x8
	v_lshl_add_u32 v2, s6, 4, v0
	v_lshl_add_u32 v8, s7, 4, v1
	v_ashrrev_i32_e32 v3, 31, v2
	v_ashrrev_i32_e32 v9, 31, v8
	s_waitcnt lgkmcnt(0)
	v_cmp_lt_i64_e64 s[0:1], s[12:13], 1
	s_and_b64 vcc, exec, s[0:1]
	s_cbranch_vccnz .LBB1273_5
; %bb.1:
	v_lshlrev_b32_e32 v10, 3, v0
	v_mul_lo_u32 v0, s25, v8
	v_mul_lo_u32 v7, s24, v9
	v_mad_u64_u32 v[4:5], s[0:1], s24, v8, 0
	s_mul_i32 s0, s27, s8
	s_mul_hi_u32 s1, s26, s8
	v_add3_u32 v5, v5, v7, v0
	v_lshlrev_b64 v[4:5], 3, v[4:5]
	s_add_i32 s1, s1, s0
	s_mul_i32 s0, s26, s8
	v_lshlrev_b32_e32 v6, 7, v1
	s_lshl_b64 s[0:1], s[0:1], 3
	v_add_u32_e32 v11, v10, v6
	v_add_u32_e32 v12, 0x800, v6
	v_mov_b32_e32 v0, s1
	v_add_co_u32_e32 v4, vcc, s0, v4
	v_mul_lo_u32 v15, s19, v2
	v_mul_lo_u32 v16, s18, v3
	v_mad_u64_u32 v[6:7], s[0:1], s18, v2, 0
	v_addc_co_u32_e32 v0, vcc, v5, v0, vcc
	v_add_co_u32_e32 v4, vcc, v4, v10
	v_addc_co_u32_e32 v0, vcc, 0, v0, vcc
	v_add3_u32 v7, v7, v16, v15
	s_mul_i32 s0, s21, s8
	s_mul_hi_u32 s1, s20, s8
	v_mov_b32_e32 v5, s23
	v_add_co_u32_e32 v4, vcc, s22, v4
	v_lshlrev_b64 v[6:7], 3, v[6:7]
	s_add_i32 s1, s1, s0
	s_mul_i32 s0, s20, s8
	v_addc_co_u32_e32 v5, vcc, v5, v0, vcc
	s_lshl_b64 s[0:1], s[0:1], 3
	v_mov_b32_e32 v0, s1
	v_add_co_u32_e32 v6, vcc, s0, v6
	v_addc_co_u32_e32 v0, vcc, v7, v0, vcc
	v_lshlrev_b32_e32 v1, 3, v1
	v_add_co_u32_e32 v1, vcc, v6, v1
	v_addc_co_u32_e32 v6, vcc, 0, v0, vcc
	v_mov_b32_e32 v7, s17
	v_add_co_u32_e32 v0, vcc, s16, v1
	v_addc_co_u32_e32 v1, vcc, v7, v6, vcc
	v_mov_b32_e32 v6, s12
	v_add_u32_e32 v13, v12, v10
	v_mov_b32_e32 v14, 0
	s_mov_b64 s[0:1], 0
	v_mov_b32_e32 v7, s13
	v_mov_b32_e32 v15, 0
.LBB1273_2:                             ; =>This Inner Loop Header: Depth=1
	global_load_dwordx2 v[16:17], v[0:1], off
	s_add_u32 s0, s0, 16
	s_addc_u32 s1, s1, 0
	s_waitcnt vmcnt(0)
	ds_write_b64 v11, v[16:17]
	global_load_dwordx2 v[16:17], v[4:5], off
	v_add_co_u32_e32 v4, vcc, 0x80, v4
	v_addc_co_u32_e32 v5, vcc, 0, v5, vcc
	v_add_co_u32_e32 v0, vcc, 0x80, v0
	v_addc_co_u32_e32 v1, vcc, 0, v1, vcc
	v_cmp_lt_i64_e32 vcc, s[0:1], v[6:7]
	s_and_b64 vcc, exec, vcc
	s_waitcnt vmcnt(0)
	ds_write_b64 v13, v[16:17]
	s_waitcnt lgkmcnt(0)
	s_barrier
	ds_read2_b64 v[16:19], v10 offset1:16
	ds_read_b128 v[20:23], v12
	ds_read_b128 v[24:27], v12 offset:16
	ds_read_b128 v[28:31], v12 offset:32
	;; [unrolled: 1-line block ×3, first 2 shown]
	s_waitcnt lgkmcnt(3)
	v_mul_f32_e32 v36, v21, v17
	v_mul_f32_e32 v17, v20, v17
	v_fmac_f32_e32 v17, v21, v16
	v_fma_f32 v36, v20, v16, -v36
	v_add_f32_e32 v14, v14, v17
	v_mul_f32_e32 v16, v23, v19
	v_mul_f32_e32 v17, v22, v19
	v_add_f32_e32 v15, v15, v36
	v_fma_f32 v16, v22, v18, -v16
	v_fmac_f32_e32 v17, v23, v18
	v_add_f32_e32 v18, v15, v16
	v_add_f32_e32 v19, v14, v17
	ds_read2_b64 v[14:17], v10 offset0:32 offset1:48
	s_waitcnt lgkmcnt(0)
	v_mul_f32_e32 v20, v25, v15
	v_fma_f32 v20, v24, v14, -v20
	v_mul_f32_e32 v15, v24, v15
	v_fmac_f32_e32 v15, v25, v14
	v_add_f32_e32 v14, v18, v20
	v_mul_f32_e32 v18, v27, v17
	v_mul_f32_e32 v17, v26, v17
	v_add_f32_e32 v15, v19, v15
	v_fma_f32 v18, v26, v16, -v18
	v_fmac_f32_e32 v17, v27, v16
	v_add_f32_e32 v18, v14, v18
	v_add_f32_e32 v19, v15, v17
	ds_read2_b64 v[14:17], v10 offset0:64 offset1:80
	s_waitcnt lgkmcnt(0)
	v_mul_f32_e32 v20, v29, v15
	v_fma_f32 v20, v28, v14, -v20
	v_mul_f32_e32 v15, v28, v15
	v_fmac_f32_e32 v15, v29, v14
	;; [unrolled: 14-line block ×3, first 2 shown]
	v_add_f32_e32 v14, v18, v20
	v_mul_f32_e32 v18, v35, v17
	v_mul_f32_e32 v17, v34, v17
	v_add_f32_e32 v15, v19, v15
	v_fma_f32 v18, v34, v16, -v18
	v_fmac_f32_e32 v17, v35, v16
	v_add_f32_e32 v22, v14, v18
	v_add_f32_e32 v23, v15, v17
	ds_read2_b64 v[14:17], v10 offset0:128 offset1:144
	ds_read_b128 v[18:21], v12 offset:64
	s_waitcnt lgkmcnt(0)
	v_mul_f32_e32 v24, v19, v15
	v_mul_f32_e32 v15, v18, v15
	v_fma_f32 v24, v18, v14, -v24
	v_fmac_f32_e32 v15, v19, v14
	v_mul_f32_e32 v18, v21, v17
	v_mul_f32_e32 v17, v20, v17
	v_add_f32_e32 v14, v22, v24
	v_add_f32_e32 v15, v23, v15
	v_fma_f32 v18, v20, v16, -v18
	v_fmac_f32_e32 v17, v21, v16
	v_add_f32_e32 v22, v14, v18
	v_add_f32_e32 v23, v15, v17
	ds_read2_b64 v[14:17], v10 offset0:160 offset1:176
	ds_read_b128 v[18:21], v12 offset:80
	s_waitcnt lgkmcnt(0)
	v_mul_f32_e32 v24, v19, v15
	v_mul_f32_e32 v15, v18, v15
	v_fma_f32 v24, v18, v14, -v24
	v_fmac_f32_e32 v15, v19, v14
	v_mul_f32_e32 v18, v21, v17
	v_mul_f32_e32 v17, v20, v17
	v_add_f32_e32 v14, v22, v24
	;; [unrolled: 15-line block ×3, first 2 shown]
	v_add_f32_e32 v15, v23, v15
	v_fma_f32 v18, v20, v16, -v18
	v_fmac_f32_e32 v17, v21, v16
	v_add_f32_e32 v22, v14, v18
	v_add_f32_e32 v23, v15, v17
	ds_read2_b64 v[14:17], v10 offset0:224 offset1:240
	ds_read_b128 v[18:21], v12 offset:112
	s_waitcnt lgkmcnt(0)
	s_barrier
	v_mul_f32_e32 v24, v19, v15
	v_mul_f32_e32 v15, v18, v15
	v_fmac_f32_e32 v15, v19, v14
	v_fma_f32 v24, v18, v14, -v24
	v_add_f32_e32 v18, v23, v15
	v_mul_f32_e32 v15, v21, v17
	v_mul_f32_e32 v17, v20, v17
	v_add_f32_e32 v14, v22, v24
	v_fma_f32 v15, v20, v16, -v15
	v_fmac_f32_e32 v17, v21, v16
	v_add_f32_e32 v15, v14, v15
	v_add_f32_e32 v14, v18, v17
	s_cbranch_vccnz .LBB1273_2
; %bb.3:
	v_cmp_le_i32_e32 vcc, v2, v8
	s_and_saveexec_b64 s[0:1], vcc
	s_cbranch_execnz .LBB1273_6
.LBB1273_4:
	s_endpgm
.LBB1273_5:
	v_mov_b32_e32 v14, 0
	v_mov_b32_e32 v15, 0
	v_cmp_le_i32_e32 vcc, v2, v8
	s_and_saveexec_b64 s[0:1], vcc
	s_cbranch_execz .LBB1273_4
.LBB1273_6:
	s_load_dwordx2 s[6:7], s[4:5], 0x60
	s_load_dwordx4 s[0:3], s[4:5], 0x50
	v_mul_f32_e32 v4, s15, v14
	v_mul_f32_e32 v5, s14, v14
	v_fma_f32 v4, v15, s14, -v4
	s_waitcnt lgkmcnt(0)
	s_mul_i32 s5, s7, s8
	s_mul_hi_u32 s7, s6, s8
	s_mul_i32 s4, s6, s8
	s_add_i32 s5, s7, s5
	s_lshl_b64 s[4:5], s[4:5], 3
	s_add_u32 s4, s0, s4
	s_addc_u32 s5, s1, s5
	v_mul_lo_u32 v6, s3, v8
	v_mul_lo_u32 v7, s2, v9
	v_mad_u64_u32 v[0:1], s[0:1], s2, v8, 0
	v_fmac_f32_e32 v5, s15, v15
	v_add3_u32 v1, v1, v7, v6
	v_lshlrev_b64 v[0:1], 3, v[0:1]
	v_mov_b32_e32 v6, s5
	v_add_co_u32_e32 v7, vcc, s4, v0
	v_addc_co_u32_e32 v6, vcc, v6, v1, vcc
	v_lshlrev_b64 v[0:1], 3, v[2:3]
	v_add_co_u32_e32 v0, vcc, v7, v0
	v_addc_co_u32_e32 v1, vcc, v6, v1, vcc
	v_cmp_eq_u32_e32 vcc, v2, v8
	global_store_dwordx2 v[0:1], v[4:5], off
	s_and_b64 exec, exec, vcc
	s_cbranch_execz .LBB1273_4
; %bb.7:
	v_mov_b32_e32 v2, 0
	global_store_dword v[0:1], v2, off offset:4
	s_endpgm
	.section	.rodata,"a",@progbits
	.p2align	6, 0x0
	.amdhsa_kernel _ZL41rocblas_syrkx_herkx_small_restrict_kernelIl19rocblas_complex_numIfELi16ELb1ELb1ELc84ELc85EKS1_S1_EviT_T0_PT6_S3_lS6_S3_lS4_PT7_S3_li
		.amdhsa_group_segment_fixed_size 4096
		.amdhsa_private_segment_fixed_size 0
		.amdhsa_kernarg_size 108
		.amdhsa_user_sgpr_count 6
		.amdhsa_user_sgpr_private_segment_buffer 1
		.amdhsa_user_sgpr_dispatch_ptr 0
		.amdhsa_user_sgpr_queue_ptr 0
		.amdhsa_user_sgpr_kernarg_segment_ptr 1
		.amdhsa_user_sgpr_dispatch_id 0
		.amdhsa_user_sgpr_flat_scratch_init 0
		.amdhsa_user_sgpr_private_segment_size 0
		.amdhsa_uses_dynamic_stack 0
		.amdhsa_system_sgpr_private_segment_wavefront_offset 0
		.amdhsa_system_sgpr_workgroup_id_x 1
		.amdhsa_system_sgpr_workgroup_id_y 1
		.amdhsa_system_sgpr_workgroup_id_z 1
		.amdhsa_system_sgpr_workgroup_info 0
		.amdhsa_system_vgpr_workitem_id 1
		.amdhsa_next_free_vgpr 37
		.amdhsa_next_free_sgpr 28
		.amdhsa_reserve_vcc 1
		.amdhsa_reserve_flat_scratch 0
		.amdhsa_float_round_mode_32 0
		.amdhsa_float_round_mode_16_64 0
		.amdhsa_float_denorm_mode_32 3
		.amdhsa_float_denorm_mode_16_64 3
		.amdhsa_dx10_clamp 1
		.amdhsa_ieee_mode 1
		.amdhsa_fp16_overflow 0
		.amdhsa_exception_fp_ieee_invalid_op 0
		.amdhsa_exception_fp_denorm_src 0
		.amdhsa_exception_fp_ieee_div_zero 0
		.amdhsa_exception_fp_ieee_overflow 0
		.amdhsa_exception_fp_ieee_underflow 0
		.amdhsa_exception_fp_ieee_inexact 0
		.amdhsa_exception_int_div_zero 0
	.end_amdhsa_kernel
	.section	.text._ZL41rocblas_syrkx_herkx_small_restrict_kernelIl19rocblas_complex_numIfELi16ELb1ELb1ELc84ELc85EKS1_S1_EviT_T0_PT6_S3_lS6_S3_lS4_PT7_S3_li,"axG",@progbits,_ZL41rocblas_syrkx_herkx_small_restrict_kernelIl19rocblas_complex_numIfELi16ELb1ELb1ELc84ELc85EKS1_S1_EviT_T0_PT6_S3_lS6_S3_lS4_PT7_S3_li,comdat
.Lfunc_end1273:
	.size	_ZL41rocblas_syrkx_herkx_small_restrict_kernelIl19rocblas_complex_numIfELi16ELb1ELb1ELc84ELc85EKS1_S1_EviT_T0_PT6_S3_lS6_S3_lS4_PT7_S3_li, .Lfunc_end1273-_ZL41rocblas_syrkx_herkx_small_restrict_kernelIl19rocblas_complex_numIfELi16ELb1ELb1ELc84ELc85EKS1_S1_EviT_T0_PT6_S3_lS6_S3_lS4_PT7_S3_li
                                        ; -- End function
	.set _ZL41rocblas_syrkx_herkx_small_restrict_kernelIl19rocblas_complex_numIfELi16ELb1ELb1ELc84ELc85EKS1_S1_EviT_T0_PT6_S3_lS6_S3_lS4_PT7_S3_li.num_vgpr, 37
	.set _ZL41rocblas_syrkx_herkx_small_restrict_kernelIl19rocblas_complex_numIfELi16ELb1ELb1ELc84ELc85EKS1_S1_EviT_T0_PT6_S3_lS6_S3_lS4_PT7_S3_li.num_agpr, 0
	.set _ZL41rocblas_syrkx_herkx_small_restrict_kernelIl19rocblas_complex_numIfELi16ELb1ELb1ELc84ELc85EKS1_S1_EviT_T0_PT6_S3_lS6_S3_lS4_PT7_S3_li.numbered_sgpr, 28
	.set _ZL41rocblas_syrkx_herkx_small_restrict_kernelIl19rocblas_complex_numIfELi16ELb1ELb1ELc84ELc85EKS1_S1_EviT_T0_PT6_S3_lS6_S3_lS4_PT7_S3_li.num_named_barrier, 0
	.set _ZL41rocblas_syrkx_herkx_small_restrict_kernelIl19rocblas_complex_numIfELi16ELb1ELb1ELc84ELc85EKS1_S1_EviT_T0_PT6_S3_lS6_S3_lS4_PT7_S3_li.private_seg_size, 0
	.set _ZL41rocblas_syrkx_herkx_small_restrict_kernelIl19rocblas_complex_numIfELi16ELb1ELb1ELc84ELc85EKS1_S1_EviT_T0_PT6_S3_lS6_S3_lS4_PT7_S3_li.uses_vcc, 1
	.set _ZL41rocblas_syrkx_herkx_small_restrict_kernelIl19rocblas_complex_numIfELi16ELb1ELb1ELc84ELc85EKS1_S1_EviT_T0_PT6_S3_lS6_S3_lS4_PT7_S3_li.uses_flat_scratch, 0
	.set _ZL41rocblas_syrkx_herkx_small_restrict_kernelIl19rocblas_complex_numIfELi16ELb1ELb1ELc84ELc85EKS1_S1_EviT_T0_PT6_S3_lS6_S3_lS4_PT7_S3_li.has_dyn_sized_stack, 0
	.set _ZL41rocblas_syrkx_herkx_small_restrict_kernelIl19rocblas_complex_numIfELi16ELb1ELb1ELc84ELc85EKS1_S1_EviT_T0_PT6_S3_lS6_S3_lS4_PT7_S3_li.has_recursion, 0
	.set _ZL41rocblas_syrkx_herkx_small_restrict_kernelIl19rocblas_complex_numIfELi16ELb1ELb1ELc84ELc85EKS1_S1_EviT_T0_PT6_S3_lS6_S3_lS4_PT7_S3_li.has_indirect_call, 0
	.section	.AMDGPU.csdata,"",@progbits
; Kernel info:
; codeLenInByte = 1196
; TotalNumSgprs: 32
; NumVgprs: 37
; ScratchSize: 0
; MemoryBound: 0
; FloatMode: 240
; IeeeMode: 1
; LDSByteSize: 4096 bytes/workgroup (compile time only)
; SGPRBlocks: 3
; VGPRBlocks: 9
; NumSGPRsForWavesPerEU: 32
; NumVGPRsForWavesPerEU: 37
; Occupancy: 6
; WaveLimiterHint : 0
; COMPUTE_PGM_RSRC2:SCRATCH_EN: 0
; COMPUTE_PGM_RSRC2:USER_SGPR: 6
; COMPUTE_PGM_RSRC2:TRAP_HANDLER: 0
; COMPUTE_PGM_RSRC2:TGID_X_EN: 1
; COMPUTE_PGM_RSRC2:TGID_Y_EN: 1
; COMPUTE_PGM_RSRC2:TGID_Z_EN: 1
; COMPUTE_PGM_RSRC2:TIDIG_COMP_CNT: 1
	.section	.text._ZL41rocblas_syrkx_herkx_small_restrict_kernelIl19rocblas_complex_numIfELi16ELb1ELb1ELc67ELc85EKS1_S1_EviT_T0_PT6_S3_lS6_S3_lS4_PT7_S3_li,"axG",@progbits,_ZL41rocblas_syrkx_herkx_small_restrict_kernelIl19rocblas_complex_numIfELi16ELb1ELb1ELc67ELc85EKS1_S1_EviT_T0_PT6_S3_lS6_S3_lS4_PT7_S3_li,comdat
	.globl	_ZL41rocblas_syrkx_herkx_small_restrict_kernelIl19rocblas_complex_numIfELi16ELb1ELb1ELc67ELc85EKS1_S1_EviT_T0_PT6_S3_lS6_S3_lS4_PT7_S3_li ; -- Begin function _ZL41rocblas_syrkx_herkx_small_restrict_kernelIl19rocblas_complex_numIfELi16ELb1ELb1ELc67ELc85EKS1_S1_EviT_T0_PT6_S3_lS6_S3_lS4_PT7_S3_li
	.p2align	8
	.type	_ZL41rocblas_syrkx_herkx_small_restrict_kernelIl19rocblas_complex_numIfELi16ELb1ELb1ELc67ELc85EKS1_S1_EviT_T0_PT6_S3_lS6_S3_lS4_PT7_S3_li,@function
_ZL41rocblas_syrkx_herkx_small_restrict_kernelIl19rocblas_complex_numIfELi16ELb1ELb1ELc67ELc85EKS1_S1_EviT_T0_PT6_S3_lS6_S3_lS4_PT7_S3_li: ; @_ZL41rocblas_syrkx_herkx_small_restrict_kernelIl19rocblas_complex_numIfELi16ELb1ELb1ELc67ELc85EKS1_S1_EviT_T0_PT6_S3_lS6_S3_lS4_PT7_S3_li
; %bb.0:
	s_load_dwordx16 s[12:27], s[4:5], 0x8
	v_lshl_add_u32 v2, s6, 4, v0
	v_lshl_add_u32 v8, s7, 4, v1
	v_ashrrev_i32_e32 v3, 31, v2
	v_ashrrev_i32_e32 v9, 31, v8
	s_waitcnt lgkmcnt(0)
	v_cmp_lt_i64_e64 s[0:1], s[12:13], 1
	s_and_b64 vcc, exec, s[0:1]
	s_cbranch_vccnz .LBB1274_5
; %bb.1:
	v_lshlrev_b32_e32 v10, 3, v0
	v_mul_lo_u32 v0, s25, v8
	v_mul_lo_u32 v7, s24, v9
	v_mad_u64_u32 v[4:5], s[0:1], s24, v8, 0
	s_mul_i32 s0, s27, s8
	s_mul_hi_u32 s1, s26, s8
	v_add3_u32 v5, v5, v7, v0
	v_lshlrev_b64 v[4:5], 3, v[4:5]
	s_add_i32 s1, s1, s0
	s_mul_i32 s0, s26, s8
	v_lshlrev_b32_e32 v6, 7, v1
	s_lshl_b64 s[0:1], s[0:1], 3
	v_add_u32_e32 v11, v10, v6
	v_add_u32_e32 v12, 0x800, v6
	v_mov_b32_e32 v0, s1
	v_add_co_u32_e32 v4, vcc, s0, v4
	v_mul_lo_u32 v15, s19, v2
	v_mul_lo_u32 v16, s18, v3
	v_mad_u64_u32 v[6:7], s[0:1], s18, v2, 0
	v_addc_co_u32_e32 v0, vcc, v5, v0, vcc
	v_add_co_u32_e32 v4, vcc, v4, v10
	v_addc_co_u32_e32 v0, vcc, 0, v0, vcc
	v_add3_u32 v7, v7, v16, v15
	s_mul_i32 s0, s21, s8
	s_mul_hi_u32 s1, s20, s8
	v_mov_b32_e32 v5, s23
	v_add_co_u32_e32 v4, vcc, s22, v4
	v_lshlrev_b64 v[6:7], 3, v[6:7]
	s_add_i32 s1, s1, s0
	s_mul_i32 s0, s20, s8
	v_addc_co_u32_e32 v5, vcc, v5, v0, vcc
	s_lshl_b64 s[0:1], s[0:1], 3
	v_mov_b32_e32 v0, s1
	v_add_co_u32_e32 v6, vcc, s0, v6
	v_addc_co_u32_e32 v0, vcc, v7, v0, vcc
	v_lshlrev_b32_e32 v1, 3, v1
	v_add_co_u32_e32 v1, vcc, v6, v1
	v_addc_co_u32_e32 v0, vcc, 0, v0, vcc
	v_mov_b32_e32 v6, s17
	v_add_co_u32_e32 v1, vcc, s16, v1
	v_addc_co_u32_e32 v6, vcc, v6, v0, vcc
	v_add_co_u32_e32 v0, vcc, 4, v1
	v_addc_co_u32_e32 v1, vcc, 0, v6, vcc
	v_mov_b32_e32 v6, s12
	v_add_u32_e32 v13, v12, v10
	v_mov_b32_e32 v14, 0
	s_mov_b64 s[0:1], 0
	v_mov_b32_e32 v7, s13
	v_mov_b32_e32 v15, 0
.LBB1274_2:                             ; =>This Inner Loop Header: Depth=1
	global_load_dwordx2 v[16:17], v[0:1], off offset:-4
	s_add_u32 s0, s0, 16
	s_addc_u32 s1, s1, 0
	s_waitcnt vmcnt(0)
	v_xor_b32_e32 v17, 0x80000000, v17
	ds_write_b64 v11, v[16:17]
	global_load_dwordx2 v[16:17], v[4:5], off
	v_add_co_u32_e32 v4, vcc, 0x80, v4
	v_addc_co_u32_e32 v5, vcc, 0, v5, vcc
	v_add_co_u32_e32 v0, vcc, 0x80, v0
	v_addc_co_u32_e32 v1, vcc, 0, v1, vcc
	v_cmp_lt_i64_e32 vcc, s[0:1], v[6:7]
	s_and_b64 vcc, exec, vcc
	s_waitcnt vmcnt(0)
	ds_write_b64 v13, v[16:17]
	s_waitcnt lgkmcnt(0)
	s_barrier
	ds_read2_b64 v[16:19], v10 offset1:16
	ds_read_b128 v[20:23], v12
	ds_read_b128 v[24:27], v12 offset:16
	ds_read_b128 v[28:31], v12 offset:32
	;; [unrolled: 1-line block ×3, first 2 shown]
	s_waitcnt lgkmcnt(3)
	v_mul_f32_e32 v36, v21, v17
	v_mul_f32_e32 v17, v20, v17
	v_fmac_f32_e32 v17, v21, v16
	v_fma_f32 v36, v20, v16, -v36
	v_add_f32_e32 v14, v14, v17
	v_mul_f32_e32 v16, v23, v19
	v_mul_f32_e32 v17, v22, v19
	v_add_f32_e32 v15, v15, v36
	v_fma_f32 v16, v22, v18, -v16
	v_fmac_f32_e32 v17, v23, v18
	v_add_f32_e32 v18, v15, v16
	v_add_f32_e32 v19, v14, v17
	ds_read2_b64 v[14:17], v10 offset0:32 offset1:48
	s_waitcnt lgkmcnt(0)
	v_mul_f32_e32 v20, v25, v15
	v_fma_f32 v20, v24, v14, -v20
	v_mul_f32_e32 v15, v24, v15
	v_fmac_f32_e32 v15, v25, v14
	v_add_f32_e32 v14, v18, v20
	v_mul_f32_e32 v18, v27, v17
	v_mul_f32_e32 v17, v26, v17
	v_add_f32_e32 v15, v19, v15
	v_fma_f32 v18, v26, v16, -v18
	v_fmac_f32_e32 v17, v27, v16
	v_add_f32_e32 v18, v14, v18
	v_add_f32_e32 v19, v15, v17
	ds_read2_b64 v[14:17], v10 offset0:64 offset1:80
	s_waitcnt lgkmcnt(0)
	v_mul_f32_e32 v20, v29, v15
	v_fma_f32 v20, v28, v14, -v20
	v_mul_f32_e32 v15, v28, v15
	v_fmac_f32_e32 v15, v29, v14
	;; [unrolled: 14-line block ×3, first 2 shown]
	v_add_f32_e32 v14, v18, v20
	v_mul_f32_e32 v18, v35, v17
	v_mul_f32_e32 v17, v34, v17
	v_add_f32_e32 v15, v19, v15
	v_fma_f32 v18, v34, v16, -v18
	v_fmac_f32_e32 v17, v35, v16
	v_add_f32_e32 v22, v14, v18
	v_add_f32_e32 v23, v15, v17
	ds_read2_b64 v[14:17], v10 offset0:128 offset1:144
	ds_read_b128 v[18:21], v12 offset:64
	s_waitcnt lgkmcnt(0)
	v_mul_f32_e32 v24, v19, v15
	v_mul_f32_e32 v15, v18, v15
	v_fma_f32 v24, v18, v14, -v24
	v_fmac_f32_e32 v15, v19, v14
	v_mul_f32_e32 v18, v21, v17
	v_mul_f32_e32 v17, v20, v17
	v_add_f32_e32 v14, v22, v24
	v_add_f32_e32 v15, v23, v15
	v_fma_f32 v18, v20, v16, -v18
	v_fmac_f32_e32 v17, v21, v16
	v_add_f32_e32 v22, v14, v18
	v_add_f32_e32 v23, v15, v17
	ds_read2_b64 v[14:17], v10 offset0:160 offset1:176
	ds_read_b128 v[18:21], v12 offset:80
	s_waitcnt lgkmcnt(0)
	v_mul_f32_e32 v24, v19, v15
	v_mul_f32_e32 v15, v18, v15
	v_fma_f32 v24, v18, v14, -v24
	v_fmac_f32_e32 v15, v19, v14
	v_mul_f32_e32 v18, v21, v17
	v_mul_f32_e32 v17, v20, v17
	v_add_f32_e32 v14, v22, v24
	;; [unrolled: 15-line block ×3, first 2 shown]
	v_add_f32_e32 v15, v23, v15
	v_fma_f32 v18, v20, v16, -v18
	v_fmac_f32_e32 v17, v21, v16
	v_add_f32_e32 v22, v14, v18
	v_add_f32_e32 v23, v15, v17
	ds_read2_b64 v[14:17], v10 offset0:224 offset1:240
	ds_read_b128 v[18:21], v12 offset:112
	s_waitcnt lgkmcnt(0)
	s_barrier
	v_mul_f32_e32 v24, v19, v15
	v_mul_f32_e32 v15, v18, v15
	v_fmac_f32_e32 v15, v19, v14
	v_fma_f32 v24, v18, v14, -v24
	v_add_f32_e32 v18, v23, v15
	v_mul_f32_e32 v15, v21, v17
	v_mul_f32_e32 v17, v20, v17
	v_add_f32_e32 v14, v22, v24
	v_fma_f32 v15, v20, v16, -v15
	v_fmac_f32_e32 v17, v21, v16
	v_add_f32_e32 v15, v14, v15
	v_add_f32_e32 v14, v18, v17
	s_cbranch_vccnz .LBB1274_2
; %bb.3:
	v_cmp_le_i32_e32 vcc, v2, v8
	s_and_saveexec_b64 s[0:1], vcc
	s_cbranch_execnz .LBB1274_6
.LBB1274_4:
	s_endpgm
.LBB1274_5:
	v_mov_b32_e32 v14, 0
	v_mov_b32_e32 v15, 0
	v_cmp_le_i32_e32 vcc, v2, v8
	s_and_saveexec_b64 s[0:1], vcc
	s_cbranch_execz .LBB1274_4
.LBB1274_6:
	s_load_dwordx2 s[6:7], s[4:5], 0x60
	s_load_dwordx4 s[0:3], s[4:5], 0x50
	v_mul_f32_e32 v4, s15, v14
	v_mul_f32_e32 v5, s14, v14
	v_fma_f32 v4, v15, s14, -v4
	s_waitcnt lgkmcnt(0)
	s_mul_i32 s5, s7, s8
	s_mul_hi_u32 s7, s6, s8
	s_mul_i32 s4, s6, s8
	s_add_i32 s5, s7, s5
	s_lshl_b64 s[4:5], s[4:5], 3
	s_add_u32 s4, s0, s4
	s_addc_u32 s5, s1, s5
	v_mul_lo_u32 v6, s3, v8
	v_mul_lo_u32 v7, s2, v9
	v_mad_u64_u32 v[0:1], s[0:1], s2, v8, 0
	v_fmac_f32_e32 v5, s15, v15
	v_add3_u32 v1, v1, v7, v6
	v_lshlrev_b64 v[0:1], 3, v[0:1]
	v_mov_b32_e32 v6, s5
	v_add_co_u32_e32 v7, vcc, s4, v0
	v_addc_co_u32_e32 v6, vcc, v6, v1, vcc
	v_lshlrev_b64 v[0:1], 3, v[2:3]
	v_add_co_u32_e32 v0, vcc, v7, v0
	v_addc_co_u32_e32 v1, vcc, v6, v1, vcc
	v_cmp_eq_u32_e32 vcc, v2, v8
	global_store_dwordx2 v[0:1], v[4:5], off
	s_and_b64 exec, exec, vcc
	s_cbranch_execz .LBB1274_4
; %bb.7:
	v_mov_b32_e32 v2, 0
	global_store_dword v[0:1], v2, off offset:4
	s_endpgm
	.section	.rodata,"a",@progbits
	.p2align	6, 0x0
	.amdhsa_kernel _ZL41rocblas_syrkx_herkx_small_restrict_kernelIl19rocblas_complex_numIfELi16ELb1ELb1ELc67ELc85EKS1_S1_EviT_T0_PT6_S3_lS6_S3_lS4_PT7_S3_li
		.amdhsa_group_segment_fixed_size 4096
		.amdhsa_private_segment_fixed_size 0
		.amdhsa_kernarg_size 108
		.amdhsa_user_sgpr_count 6
		.amdhsa_user_sgpr_private_segment_buffer 1
		.amdhsa_user_sgpr_dispatch_ptr 0
		.amdhsa_user_sgpr_queue_ptr 0
		.amdhsa_user_sgpr_kernarg_segment_ptr 1
		.amdhsa_user_sgpr_dispatch_id 0
		.amdhsa_user_sgpr_flat_scratch_init 0
		.amdhsa_user_sgpr_private_segment_size 0
		.amdhsa_uses_dynamic_stack 0
		.amdhsa_system_sgpr_private_segment_wavefront_offset 0
		.amdhsa_system_sgpr_workgroup_id_x 1
		.amdhsa_system_sgpr_workgroup_id_y 1
		.amdhsa_system_sgpr_workgroup_id_z 1
		.amdhsa_system_sgpr_workgroup_info 0
		.amdhsa_system_vgpr_workitem_id 1
		.amdhsa_next_free_vgpr 37
		.amdhsa_next_free_sgpr 28
		.amdhsa_reserve_vcc 1
		.amdhsa_reserve_flat_scratch 0
		.amdhsa_float_round_mode_32 0
		.amdhsa_float_round_mode_16_64 0
		.amdhsa_float_denorm_mode_32 3
		.amdhsa_float_denorm_mode_16_64 3
		.amdhsa_dx10_clamp 1
		.amdhsa_ieee_mode 1
		.amdhsa_fp16_overflow 0
		.amdhsa_exception_fp_ieee_invalid_op 0
		.amdhsa_exception_fp_denorm_src 0
		.amdhsa_exception_fp_ieee_div_zero 0
		.amdhsa_exception_fp_ieee_overflow 0
		.amdhsa_exception_fp_ieee_underflow 0
		.amdhsa_exception_fp_ieee_inexact 0
		.amdhsa_exception_int_div_zero 0
	.end_amdhsa_kernel
	.section	.text._ZL41rocblas_syrkx_herkx_small_restrict_kernelIl19rocblas_complex_numIfELi16ELb1ELb1ELc67ELc85EKS1_S1_EviT_T0_PT6_S3_lS6_S3_lS4_PT7_S3_li,"axG",@progbits,_ZL41rocblas_syrkx_herkx_small_restrict_kernelIl19rocblas_complex_numIfELi16ELb1ELb1ELc67ELc85EKS1_S1_EviT_T0_PT6_S3_lS6_S3_lS4_PT7_S3_li,comdat
.Lfunc_end1274:
	.size	_ZL41rocblas_syrkx_herkx_small_restrict_kernelIl19rocblas_complex_numIfELi16ELb1ELb1ELc67ELc85EKS1_S1_EviT_T0_PT6_S3_lS6_S3_lS4_PT7_S3_li, .Lfunc_end1274-_ZL41rocblas_syrkx_herkx_small_restrict_kernelIl19rocblas_complex_numIfELi16ELb1ELb1ELc67ELc85EKS1_S1_EviT_T0_PT6_S3_lS6_S3_lS4_PT7_S3_li
                                        ; -- End function
	.set _ZL41rocblas_syrkx_herkx_small_restrict_kernelIl19rocblas_complex_numIfELi16ELb1ELb1ELc67ELc85EKS1_S1_EviT_T0_PT6_S3_lS6_S3_lS4_PT7_S3_li.num_vgpr, 37
	.set _ZL41rocblas_syrkx_herkx_small_restrict_kernelIl19rocblas_complex_numIfELi16ELb1ELb1ELc67ELc85EKS1_S1_EviT_T0_PT6_S3_lS6_S3_lS4_PT7_S3_li.num_agpr, 0
	.set _ZL41rocblas_syrkx_herkx_small_restrict_kernelIl19rocblas_complex_numIfELi16ELb1ELb1ELc67ELc85EKS1_S1_EviT_T0_PT6_S3_lS6_S3_lS4_PT7_S3_li.numbered_sgpr, 28
	.set _ZL41rocblas_syrkx_herkx_small_restrict_kernelIl19rocblas_complex_numIfELi16ELb1ELb1ELc67ELc85EKS1_S1_EviT_T0_PT6_S3_lS6_S3_lS4_PT7_S3_li.num_named_barrier, 0
	.set _ZL41rocblas_syrkx_herkx_small_restrict_kernelIl19rocblas_complex_numIfELi16ELb1ELb1ELc67ELc85EKS1_S1_EviT_T0_PT6_S3_lS6_S3_lS4_PT7_S3_li.private_seg_size, 0
	.set _ZL41rocblas_syrkx_herkx_small_restrict_kernelIl19rocblas_complex_numIfELi16ELb1ELb1ELc67ELc85EKS1_S1_EviT_T0_PT6_S3_lS6_S3_lS4_PT7_S3_li.uses_vcc, 1
	.set _ZL41rocblas_syrkx_herkx_small_restrict_kernelIl19rocblas_complex_numIfELi16ELb1ELb1ELc67ELc85EKS1_S1_EviT_T0_PT6_S3_lS6_S3_lS4_PT7_S3_li.uses_flat_scratch, 0
	.set _ZL41rocblas_syrkx_herkx_small_restrict_kernelIl19rocblas_complex_numIfELi16ELb1ELb1ELc67ELc85EKS1_S1_EviT_T0_PT6_S3_lS6_S3_lS4_PT7_S3_li.has_dyn_sized_stack, 0
	.set _ZL41rocblas_syrkx_herkx_small_restrict_kernelIl19rocblas_complex_numIfELi16ELb1ELb1ELc67ELc85EKS1_S1_EviT_T0_PT6_S3_lS6_S3_lS4_PT7_S3_li.has_recursion, 0
	.set _ZL41rocblas_syrkx_herkx_small_restrict_kernelIl19rocblas_complex_numIfELi16ELb1ELb1ELc67ELc85EKS1_S1_EviT_T0_PT6_S3_lS6_S3_lS4_PT7_S3_li.has_indirect_call, 0
	.section	.AMDGPU.csdata,"",@progbits
; Kernel info:
; codeLenInByte = 1212
; TotalNumSgprs: 32
; NumVgprs: 37
; ScratchSize: 0
; MemoryBound: 0
; FloatMode: 240
; IeeeMode: 1
; LDSByteSize: 4096 bytes/workgroup (compile time only)
; SGPRBlocks: 3
; VGPRBlocks: 9
; NumSGPRsForWavesPerEU: 32
; NumVGPRsForWavesPerEU: 37
; Occupancy: 6
; WaveLimiterHint : 0
; COMPUTE_PGM_RSRC2:SCRATCH_EN: 0
; COMPUTE_PGM_RSRC2:USER_SGPR: 6
; COMPUTE_PGM_RSRC2:TRAP_HANDLER: 0
; COMPUTE_PGM_RSRC2:TGID_X_EN: 1
; COMPUTE_PGM_RSRC2:TGID_Y_EN: 1
; COMPUTE_PGM_RSRC2:TGID_Z_EN: 1
; COMPUTE_PGM_RSRC2:TIDIG_COMP_CNT: 1
	.section	.text._ZL41rocblas_syrkx_herkx_small_restrict_kernelIl19rocblas_complex_numIfELi16ELb1ELb1ELc78ELc85EKS1_S1_EviT_T0_PT6_S3_lS6_S3_lS4_PT7_S3_li,"axG",@progbits,_ZL41rocblas_syrkx_herkx_small_restrict_kernelIl19rocblas_complex_numIfELi16ELb1ELb1ELc78ELc85EKS1_S1_EviT_T0_PT6_S3_lS6_S3_lS4_PT7_S3_li,comdat
	.globl	_ZL41rocblas_syrkx_herkx_small_restrict_kernelIl19rocblas_complex_numIfELi16ELb1ELb1ELc78ELc85EKS1_S1_EviT_T0_PT6_S3_lS6_S3_lS4_PT7_S3_li ; -- Begin function _ZL41rocblas_syrkx_herkx_small_restrict_kernelIl19rocblas_complex_numIfELi16ELb1ELb1ELc78ELc85EKS1_S1_EviT_T0_PT6_S3_lS6_S3_lS4_PT7_S3_li
	.p2align	8
	.type	_ZL41rocblas_syrkx_herkx_small_restrict_kernelIl19rocblas_complex_numIfELi16ELb1ELb1ELc78ELc85EKS1_S1_EviT_T0_PT6_S3_lS6_S3_lS4_PT7_S3_li,@function
_ZL41rocblas_syrkx_herkx_small_restrict_kernelIl19rocblas_complex_numIfELi16ELb1ELb1ELc78ELc85EKS1_S1_EviT_T0_PT6_S3_lS6_S3_lS4_PT7_S3_li: ; @_ZL41rocblas_syrkx_herkx_small_restrict_kernelIl19rocblas_complex_numIfELi16ELb1ELb1ELc78ELc85EKS1_S1_EviT_T0_PT6_S3_lS6_S3_lS4_PT7_S3_li
; %bb.0:
	s_load_dwordx16 s[12:27], s[4:5], 0x8
	v_lshl_add_u32 v2, s6, 4, v0
	v_lshl_add_u32 v4, s7, 4, v1
	v_ashrrev_i32_e32 v3, 31, v2
	v_ashrrev_i32_e32 v5, 31, v4
	s_waitcnt lgkmcnt(0)
	v_cmp_lt_i64_e64 s[0:1], s[12:13], 1
	s_and_b64 vcc, exec, s[0:1]
	s_cbranch_vccnz .LBB1275_5
; %bb.1:
	v_lshlrev_b32_e32 v6, 7, v1
	v_lshlrev_b32_e32 v10, 3, v0
	v_add_u32_e32 v11, v10, v6
	v_add_u32_e32 v12, 0x800, v6
	v_mad_u64_u32 v[6:7], s[0:1], s24, v0, 0
	s_mul_i32 s2, s27, s8
	s_mul_hi_u32 s3, s26, s8
	v_mad_u64_u32 v[7:8], s[0:1], s25, v0, v[7:8]
	s_add_i32 s1, s3, s2
	s_mul_i32 s0, s26, s8
	v_lshlrev_b64 v[6:7], 3, v[6:7]
	s_lshl_b64 s[0:1], s[0:1], 3
	v_mov_b32_e32 v0, s1
	v_add_co_u32_e32 v8, vcc, s0, v6
	v_addc_co_u32_e32 v0, vcc, v0, v7, vcc
	v_lshlrev_b64 v[6:7], 3, v[4:5]
	s_mul_i32 s6, s21, s8
	v_add_co_u32_e32 v6, vcc, v8, v6
	v_addc_co_u32_e32 v0, vcc, v0, v7, vcc
	v_mad_u64_u32 v[8:9], s[0:1], s18, v1, 0
	v_mov_b32_e32 v7, s23
	v_add_co_u32_e32 v6, vcc, s22, v6
	v_addc_co_u32_e32 v0, vcc, v7, v0, vcc
	v_add_co_u32_e32 v6, vcc, 4, v6
	v_addc_co_u32_e32 v7, vcc, 0, v0, vcc
	v_mov_b32_e32 v0, v9
	v_mad_u64_u32 v[0:1], s[2:3], s19, v1, v[0:1]
	s_mul_hi_u32 s7, s20, s8
	s_add_i32 s3, s7, s6
	v_mov_b32_e32 v9, v0
	s_mul_i32 s2, s20, s8
	v_lshlrev_b64 v[0:1], 3, v[8:9]
	s_lshl_b64 s[2:3], s[2:3], 3
	v_mov_b32_e32 v8, s3
	v_add_co_u32_e32 v9, vcc, s2, v0
	v_addc_co_u32_e32 v8, vcc, v8, v1, vcc
	v_lshlrev_b64 v[0:1], 3, v[2:3]
	s_lshl_b64 s[0:1], s[24:25], 7
	v_add_co_u32_e32 v0, vcc, v9, v0
	v_addc_co_u32_e32 v1, vcc, v8, v1, vcc
	v_mov_b32_e32 v8, s17
	v_add_co_u32_e32 v0, vcc, s16, v0
	v_addc_co_u32_e32 v1, vcc, v8, v1, vcc
	s_lshl_b64 s[2:3], s[18:19], 7
	v_mov_b32_e32 v8, s12
	v_add_u32_e32 v13, v12, v10
	v_mov_b32_e32 v16, 0
	s_mov_b64 s[6:7], 0
	v_mov_b32_e32 v14, s1
	v_mov_b32_e32 v15, s3
	;; [unrolled: 1-line block ×4, first 2 shown]
.LBB1275_2:                             ; =>This Inner Loop Header: Depth=1
	global_load_dwordx2 v[18:19], v[0:1], off
	s_add_u32 s6, s6, 16
	s_addc_u32 s7, s7, 0
	s_waitcnt vmcnt(0)
	ds_write_b64 v11, v[18:19]
	global_load_dwordx2 v[18:19], v[6:7], off offset:-4
	v_add_co_u32_e32 v6, vcc, s0, v6
	v_addc_co_u32_e32 v7, vcc, v7, v14, vcc
	v_add_co_u32_e32 v0, vcc, s2, v0
	v_addc_co_u32_e32 v1, vcc, v1, v15, vcc
	v_cmp_lt_i64_e32 vcc, s[6:7], v[8:9]
	s_and_b64 vcc, exec, vcc
	s_waitcnt vmcnt(0)
	v_xor_b32_e32 v19, 0x80000000, v19
	ds_write_b64 v13, v[18:19]
	s_waitcnt lgkmcnt(0)
	s_barrier
	ds_read2_b64 v[18:21], v10 offset1:16
	ds_read_b128 v[22:25], v12
	ds_read_b128 v[26:29], v12 offset:16
	ds_read_b128 v[30:33], v12 offset:32
	;; [unrolled: 1-line block ×3, first 2 shown]
	s_waitcnt lgkmcnt(3)
	v_mul_f32_e32 v38, v23, v19
	v_mul_f32_e32 v19, v22, v19
	v_fmac_f32_e32 v19, v23, v18
	v_fma_f32 v38, v22, v18, -v38
	v_add_f32_e32 v16, v16, v19
	v_mul_f32_e32 v18, v25, v21
	v_mul_f32_e32 v19, v24, v21
	v_add_f32_e32 v17, v17, v38
	v_fma_f32 v18, v24, v20, -v18
	v_fmac_f32_e32 v19, v25, v20
	v_add_f32_e32 v20, v17, v18
	v_add_f32_e32 v21, v16, v19
	ds_read2_b64 v[16:19], v10 offset0:32 offset1:48
	s_waitcnt lgkmcnt(0)
	v_mul_f32_e32 v22, v27, v17
	v_fma_f32 v22, v26, v16, -v22
	v_mul_f32_e32 v17, v26, v17
	v_fmac_f32_e32 v17, v27, v16
	v_add_f32_e32 v16, v20, v22
	v_mul_f32_e32 v20, v29, v19
	v_mul_f32_e32 v19, v28, v19
	v_add_f32_e32 v17, v21, v17
	v_fma_f32 v20, v28, v18, -v20
	v_fmac_f32_e32 v19, v29, v18
	v_add_f32_e32 v20, v16, v20
	v_add_f32_e32 v21, v17, v19
	ds_read2_b64 v[16:19], v10 offset0:64 offset1:80
	s_waitcnt lgkmcnt(0)
	v_mul_f32_e32 v22, v31, v17
	v_fma_f32 v22, v30, v16, -v22
	v_mul_f32_e32 v17, v30, v17
	v_fmac_f32_e32 v17, v31, v16
	;; [unrolled: 14-line block ×3, first 2 shown]
	v_add_f32_e32 v16, v20, v22
	v_mul_f32_e32 v20, v37, v19
	v_mul_f32_e32 v19, v36, v19
	v_add_f32_e32 v17, v21, v17
	v_fma_f32 v20, v36, v18, -v20
	v_fmac_f32_e32 v19, v37, v18
	v_add_f32_e32 v24, v16, v20
	v_add_f32_e32 v25, v17, v19
	ds_read2_b64 v[16:19], v10 offset0:128 offset1:144
	ds_read_b128 v[20:23], v12 offset:64
	s_waitcnt lgkmcnt(0)
	v_mul_f32_e32 v26, v21, v17
	v_mul_f32_e32 v17, v20, v17
	v_fma_f32 v26, v20, v16, -v26
	v_fmac_f32_e32 v17, v21, v16
	v_mul_f32_e32 v20, v23, v19
	v_mul_f32_e32 v19, v22, v19
	v_add_f32_e32 v16, v24, v26
	v_add_f32_e32 v17, v25, v17
	v_fma_f32 v20, v22, v18, -v20
	v_fmac_f32_e32 v19, v23, v18
	v_add_f32_e32 v24, v16, v20
	v_add_f32_e32 v25, v17, v19
	ds_read2_b64 v[16:19], v10 offset0:160 offset1:176
	ds_read_b128 v[20:23], v12 offset:80
	s_waitcnt lgkmcnt(0)
	v_mul_f32_e32 v26, v21, v17
	v_mul_f32_e32 v17, v20, v17
	v_fma_f32 v26, v20, v16, -v26
	v_fmac_f32_e32 v17, v21, v16
	v_mul_f32_e32 v20, v23, v19
	v_mul_f32_e32 v19, v22, v19
	v_add_f32_e32 v16, v24, v26
	;; [unrolled: 15-line block ×3, first 2 shown]
	v_add_f32_e32 v17, v25, v17
	v_fma_f32 v20, v22, v18, -v20
	v_fmac_f32_e32 v19, v23, v18
	v_add_f32_e32 v24, v16, v20
	v_add_f32_e32 v25, v17, v19
	ds_read2_b64 v[16:19], v10 offset0:224 offset1:240
	ds_read_b128 v[20:23], v12 offset:112
	s_waitcnt lgkmcnt(0)
	s_barrier
	v_mul_f32_e32 v26, v21, v17
	v_mul_f32_e32 v17, v20, v17
	v_fmac_f32_e32 v17, v21, v16
	v_fma_f32 v26, v20, v16, -v26
	v_add_f32_e32 v20, v25, v17
	v_mul_f32_e32 v17, v23, v19
	v_mul_f32_e32 v19, v22, v19
	v_add_f32_e32 v16, v24, v26
	v_fma_f32 v17, v22, v18, -v17
	v_fmac_f32_e32 v19, v23, v18
	v_add_f32_e32 v17, v16, v17
	v_add_f32_e32 v16, v20, v19
	s_cbranch_vccnz .LBB1275_2
; %bb.3:
	v_cmp_le_i32_e32 vcc, v2, v4
	s_and_saveexec_b64 s[0:1], vcc
	s_cbranch_execnz .LBB1275_6
.LBB1275_4:
	s_endpgm
.LBB1275_5:
	v_mov_b32_e32 v16, 0
	v_mov_b32_e32 v17, 0
	v_cmp_le_i32_e32 vcc, v2, v4
	s_and_saveexec_b64 s[0:1], vcc
	s_cbranch_execz .LBB1275_4
.LBB1275_6:
	s_load_dwordx2 s[6:7], s[4:5], 0x60
	s_load_dwordx4 s[0:3], s[4:5], 0x50
	v_mul_f32_e32 v6, s15, v16
	s_waitcnt lgkmcnt(0)
	s_mul_i32 s5, s7, s8
	s_mul_hi_u32 s7, s6, s8
	s_mul_i32 s4, s6, s8
	s_add_i32 s5, s7, s5
	s_lshl_b64 s[4:5], s[4:5], 3
	s_add_u32 s4, s0, s4
	s_addc_u32 s5, s1, s5
	v_mul_lo_u32 v7, s3, v4
	v_mul_lo_u32 v8, s2, v5
	v_mad_u64_u32 v[0:1], s[0:1], s2, v4, 0
	v_fma_f32 v5, v17, s14, -v6
	v_mul_f32_e32 v6, s14, v16
	v_add3_u32 v1, v1, v8, v7
	v_lshlrev_b64 v[0:1], 3, v[0:1]
	v_mov_b32_e32 v7, s5
	v_add_co_u32_e32 v8, vcc, s4, v0
	v_addc_co_u32_e32 v7, vcc, v7, v1, vcc
	v_lshlrev_b64 v[0:1], 3, v[2:3]
	v_fmac_f32_e32 v6, s15, v17
	v_add_co_u32_e32 v0, vcc, v8, v0
	v_addc_co_u32_e32 v1, vcc, v7, v1, vcc
	v_cmp_eq_u32_e32 vcc, v2, v4
	global_store_dwordx2 v[0:1], v[5:6], off
	s_and_b64 exec, exec, vcc
	s_cbranch_execz .LBB1275_4
; %bb.7:
	v_mov_b32_e32 v2, 0
	global_store_dword v[0:1], v2, off offset:4
	s_endpgm
	.section	.rodata,"a",@progbits
	.p2align	6, 0x0
	.amdhsa_kernel _ZL41rocblas_syrkx_herkx_small_restrict_kernelIl19rocblas_complex_numIfELi16ELb1ELb1ELc78ELc85EKS1_S1_EviT_T0_PT6_S3_lS6_S3_lS4_PT7_S3_li
		.amdhsa_group_segment_fixed_size 4096
		.amdhsa_private_segment_fixed_size 0
		.amdhsa_kernarg_size 108
		.amdhsa_user_sgpr_count 6
		.amdhsa_user_sgpr_private_segment_buffer 1
		.amdhsa_user_sgpr_dispatch_ptr 0
		.amdhsa_user_sgpr_queue_ptr 0
		.amdhsa_user_sgpr_kernarg_segment_ptr 1
		.amdhsa_user_sgpr_dispatch_id 0
		.amdhsa_user_sgpr_flat_scratch_init 0
		.amdhsa_user_sgpr_private_segment_size 0
		.amdhsa_uses_dynamic_stack 0
		.amdhsa_system_sgpr_private_segment_wavefront_offset 0
		.amdhsa_system_sgpr_workgroup_id_x 1
		.amdhsa_system_sgpr_workgroup_id_y 1
		.amdhsa_system_sgpr_workgroup_id_z 1
		.amdhsa_system_sgpr_workgroup_info 0
		.amdhsa_system_vgpr_workitem_id 1
		.amdhsa_next_free_vgpr 39
		.amdhsa_next_free_sgpr 28
		.amdhsa_reserve_vcc 1
		.amdhsa_reserve_flat_scratch 0
		.amdhsa_float_round_mode_32 0
		.amdhsa_float_round_mode_16_64 0
		.amdhsa_float_denorm_mode_32 3
		.amdhsa_float_denorm_mode_16_64 3
		.amdhsa_dx10_clamp 1
		.amdhsa_ieee_mode 1
		.amdhsa_fp16_overflow 0
		.amdhsa_exception_fp_ieee_invalid_op 0
		.amdhsa_exception_fp_denorm_src 0
		.amdhsa_exception_fp_ieee_div_zero 0
		.amdhsa_exception_fp_ieee_overflow 0
		.amdhsa_exception_fp_ieee_underflow 0
		.amdhsa_exception_fp_ieee_inexact 0
		.amdhsa_exception_int_div_zero 0
	.end_amdhsa_kernel
	.section	.text._ZL41rocblas_syrkx_herkx_small_restrict_kernelIl19rocblas_complex_numIfELi16ELb1ELb1ELc78ELc85EKS1_S1_EviT_T0_PT6_S3_lS6_S3_lS4_PT7_S3_li,"axG",@progbits,_ZL41rocblas_syrkx_herkx_small_restrict_kernelIl19rocblas_complex_numIfELi16ELb1ELb1ELc78ELc85EKS1_S1_EviT_T0_PT6_S3_lS6_S3_lS4_PT7_S3_li,comdat
.Lfunc_end1275:
	.size	_ZL41rocblas_syrkx_herkx_small_restrict_kernelIl19rocblas_complex_numIfELi16ELb1ELb1ELc78ELc85EKS1_S1_EviT_T0_PT6_S3_lS6_S3_lS4_PT7_S3_li, .Lfunc_end1275-_ZL41rocblas_syrkx_herkx_small_restrict_kernelIl19rocblas_complex_numIfELi16ELb1ELb1ELc78ELc85EKS1_S1_EviT_T0_PT6_S3_lS6_S3_lS4_PT7_S3_li
                                        ; -- End function
	.set _ZL41rocblas_syrkx_herkx_small_restrict_kernelIl19rocblas_complex_numIfELi16ELb1ELb1ELc78ELc85EKS1_S1_EviT_T0_PT6_S3_lS6_S3_lS4_PT7_S3_li.num_vgpr, 39
	.set _ZL41rocblas_syrkx_herkx_small_restrict_kernelIl19rocblas_complex_numIfELi16ELb1ELb1ELc78ELc85EKS1_S1_EviT_T0_PT6_S3_lS6_S3_lS4_PT7_S3_li.num_agpr, 0
	.set _ZL41rocblas_syrkx_herkx_small_restrict_kernelIl19rocblas_complex_numIfELi16ELb1ELb1ELc78ELc85EKS1_S1_EviT_T0_PT6_S3_lS6_S3_lS4_PT7_S3_li.numbered_sgpr, 28
	.set _ZL41rocblas_syrkx_herkx_small_restrict_kernelIl19rocblas_complex_numIfELi16ELb1ELb1ELc78ELc85EKS1_S1_EviT_T0_PT6_S3_lS6_S3_lS4_PT7_S3_li.num_named_barrier, 0
	.set _ZL41rocblas_syrkx_herkx_small_restrict_kernelIl19rocblas_complex_numIfELi16ELb1ELb1ELc78ELc85EKS1_S1_EviT_T0_PT6_S3_lS6_S3_lS4_PT7_S3_li.private_seg_size, 0
	.set _ZL41rocblas_syrkx_herkx_small_restrict_kernelIl19rocblas_complex_numIfELi16ELb1ELb1ELc78ELc85EKS1_S1_EviT_T0_PT6_S3_lS6_S3_lS4_PT7_S3_li.uses_vcc, 1
	.set _ZL41rocblas_syrkx_herkx_small_restrict_kernelIl19rocblas_complex_numIfELi16ELb1ELb1ELc78ELc85EKS1_S1_EviT_T0_PT6_S3_lS6_S3_lS4_PT7_S3_li.uses_flat_scratch, 0
	.set _ZL41rocblas_syrkx_herkx_small_restrict_kernelIl19rocblas_complex_numIfELi16ELb1ELb1ELc78ELc85EKS1_S1_EviT_T0_PT6_S3_lS6_S3_lS4_PT7_S3_li.has_dyn_sized_stack, 0
	.set _ZL41rocblas_syrkx_herkx_small_restrict_kernelIl19rocblas_complex_numIfELi16ELb1ELb1ELc78ELc85EKS1_S1_EviT_T0_PT6_S3_lS6_S3_lS4_PT7_S3_li.has_recursion, 0
	.set _ZL41rocblas_syrkx_herkx_small_restrict_kernelIl19rocblas_complex_numIfELi16ELb1ELb1ELc78ELc85EKS1_S1_EviT_T0_PT6_S3_lS6_S3_lS4_PT7_S3_li.has_indirect_call, 0
	.section	.AMDGPU.csdata,"",@progbits
; Kernel info:
; codeLenInByte = 1208
; TotalNumSgprs: 32
; NumVgprs: 39
; ScratchSize: 0
; MemoryBound: 0
; FloatMode: 240
; IeeeMode: 1
; LDSByteSize: 4096 bytes/workgroup (compile time only)
; SGPRBlocks: 3
; VGPRBlocks: 9
; NumSGPRsForWavesPerEU: 32
; NumVGPRsForWavesPerEU: 39
; Occupancy: 6
; WaveLimiterHint : 0
; COMPUTE_PGM_RSRC2:SCRATCH_EN: 0
; COMPUTE_PGM_RSRC2:USER_SGPR: 6
; COMPUTE_PGM_RSRC2:TRAP_HANDLER: 0
; COMPUTE_PGM_RSRC2:TGID_X_EN: 1
; COMPUTE_PGM_RSRC2:TGID_Y_EN: 1
; COMPUTE_PGM_RSRC2:TGID_Z_EN: 1
; COMPUTE_PGM_RSRC2:TIDIG_COMP_CNT: 1
	.section	.text._ZL41rocblas_syrkx_herkx_small_restrict_kernelIl19rocblas_complex_numIfELi16ELb0ELb1ELc84ELc76EKS1_S1_EviT_T0_PT6_S3_lS6_S3_lS4_PT7_S3_li,"axG",@progbits,_ZL41rocblas_syrkx_herkx_small_restrict_kernelIl19rocblas_complex_numIfELi16ELb0ELb1ELc84ELc76EKS1_S1_EviT_T0_PT6_S3_lS6_S3_lS4_PT7_S3_li,comdat
	.globl	_ZL41rocblas_syrkx_herkx_small_restrict_kernelIl19rocblas_complex_numIfELi16ELb0ELb1ELc84ELc76EKS1_S1_EviT_T0_PT6_S3_lS6_S3_lS4_PT7_S3_li ; -- Begin function _ZL41rocblas_syrkx_herkx_small_restrict_kernelIl19rocblas_complex_numIfELi16ELb0ELb1ELc84ELc76EKS1_S1_EviT_T0_PT6_S3_lS6_S3_lS4_PT7_S3_li
	.p2align	8
	.type	_ZL41rocblas_syrkx_herkx_small_restrict_kernelIl19rocblas_complex_numIfELi16ELb0ELb1ELc84ELc76EKS1_S1_EviT_T0_PT6_S3_lS6_S3_lS4_PT7_S3_li,@function
_ZL41rocblas_syrkx_herkx_small_restrict_kernelIl19rocblas_complex_numIfELi16ELb0ELb1ELc84ELc76EKS1_S1_EviT_T0_PT6_S3_lS6_S3_lS4_PT7_S3_li: ; @_ZL41rocblas_syrkx_herkx_small_restrict_kernelIl19rocblas_complex_numIfELi16ELb0ELb1ELc84ELc76EKS1_S1_EviT_T0_PT6_S3_lS6_S3_lS4_PT7_S3_li
; %bb.0:
	s_load_dwordx16 s[12:27], s[4:5], 0x8
	v_lshl_add_u32 v2, s6, 4, v0
	v_lshl_add_u32 v8, s7, 4, v1
	v_ashrrev_i32_e32 v3, 31, v2
	v_ashrrev_i32_e32 v9, 31, v8
	s_waitcnt lgkmcnt(0)
	v_cmp_lt_i64_e64 s[0:1], s[12:13], 1
	s_and_b64 vcc, exec, s[0:1]
	s_cbranch_vccnz .LBB1276_5
; %bb.1:
	v_lshlrev_b32_e32 v10, 3, v0
	v_mul_lo_u32 v0, s25, v8
	v_mul_lo_u32 v7, s24, v9
	v_mad_u64_u32 v[4:5], s[0:1], s24, v8, 0
	s_mul_i32 s0, s27, s8
	s_mul_hi_u32 s1, s26, s8
	v_add3_u32 v5, v5, v7, v0
	v_lshlrev_b64 v[4:5], 3, v[4:5]
	s_add_i32 s1, s1, s0
	s_mul_i32 s0, s26, s8
	v_lshlrev_b32_e32 v6, 7, v1
	s_lshl_b64 s[0:1], s[0:1], 3
	v_add_u32_e32 v11, v10, v6
	v_add_u32_e32 v12, 0x800, v6
	v_mov_b32_e32 v0, s1
	v_add_co_u32_e32 v4, vcc, s0, v4
	v_mul_lo_u32 v15, s19, v2
	v_mul_lo_u32 v16, s18, v3
	v_mad_u64_u32 v[6:7], s[0:1], s18, v2, 0
	v_addc_co_u32_e32 v0, vcc, v5, v0, vcc
	v_add_co_u32_e32 v4, vcc, v4, v10
	v_addc_co_u32_e32 v0, vcc, 0, v0, vcc
	v_add3_u32 v7, v7, v16, v15
	s_mul_i32 s0, s21, s8
	s_mul_hi_u32 s1, s20, s8
	v_mov_b32_e32 v5, s23
	v_add_co_u32_e32 v4, vcc, s22, v4
	v_lshlrev_b64 v[6:7], 3, v[6:7]
	s_add_i32 s1, s1, s0
	s_mul_i32 s0, s20, s8
	v_addc_co_u32_e32 v5, vcc, v5, v0, vcc
	s_lshl_b64 s[0:1], s[0:1], 3
	v_mov_b32_e32 v0, s1
	v_add_co_u32_e32 v6, vcc, s0, v6
	v_addc_co_u32_e32 v0, vcc, v7, v0, vcc
	v_lshlrev_b32_e32 v1, 3, v1
	v_add_co_u32_e32 v1, vcc, v6, v1
	v_addc_co_u32_e32 v6, vcc, 0, v0, vcc
	v_mov_b32_e32 v7, s17
	v_add_co_u32_e32 v0, vcc, s16, v1
	v_addc_co_u32_e32 v1, vcc, v7, v6, vcc
	v_mov_b32_e32 v6, s12
	v_add_u32_e32 v13, v12, v10
	v_mov_b32_e32 v14, 0
	s_mov_b64 s[0:1], 0
	v_mov_b32_e32 v7, s13
	v_mov_b32_e32 v15, 0
.LBB1276_2:                             ; =>This Inner Loop Header: Depth=1
	global_load_dwordx2 v[16:17], v[0:1], off
	s_add_u32 s0, s0, 16
	s_addc_u32 s1, s1, 0
	s_waitcnt vmcnt(0)
	ds_write_b64 v11, v[16:17]
	global_load_dwordx2 v[16:17], v[4:5], off
	v_add_co_u32_e32 v4, vcc, 0x80, v4
	v_addc_co_u32_e32 v5, vcc, 0, v5, vcc
	v_add_co_u32_e32 v0, vcc, 0x80, v0
	v_addc_co_u32_e32 v1, vcc, 0, v1, vcc
	v_cmp_lt_i64_e32 vcc, s[0:1], v[6:7]
	s_and_b64 vcc, exec, vcc
	s_waitcnt vmcnt(0)
	ds_write_b64 v13, v[16:17]
	s_waitcnt lgkmcnt(0)
	s_barrier
	ds_read2_b64 v[16:19], v10 offset1:16
	ds_read_b128 v[20:23], v12
	ds_read_b128 v[24:27], v12 offset:16
	ds_read_b128 v[28:31], v12 offset:32
	;; [unrolled: 1-line block ×3, first 2 shown]
	s_waitcnt lgkmcnt(3)
	v_mul_f32_e32 v36, v21, v17
	v_mul_f32_e32 v17, v20, v17
	v_fmac_f32_e32 v17, v21, v16
	v_fma_f32 v36, v20, v16, -v36
	v_add_f32_e32 v14, v14, v17
	v_mul_f32_e32 v16, v23, v19
	v_mul_f32_e32 v17, v22, v19
	v_add_f32_e32 v15, v15, v36
	v_fma_f32 v16, v22, v18, -v16
	v_fmac_f32_e32 v17, v23, v18
	v_add_f32_e32 v18, v15, v16
	v_add_f32_e32 v19, v14, v17
	ds_read2_b64 v[14:17], v10 offset0:32 offset1:48
	s_waitcnt lgkmcnt(0)
	v_mul_f32_e32 v20, v25, v15
	v_fma_f32 v20, v24, v14, -v20
	v_mul_f32_e32 v15, v24, v15
	v_fmac_f32_e32 v15, v25, v14
	v_add_f32_e32 v14, v18, v20
	v_mul_f32_e32 v18, v27, v17
	v_mul_f32_e32 v17, v26, v17
	v_add_f32_e32 v15, v19, v15
	v_fma_f32 v18, v26, v16, -v18
	v_fmac_f32_e32 v17, v27, v16
	v_add_f32_e32 v18, v14, v18
	v_add_f32_e32 v19, v15, v17
	ds_read2_b64 v[14:17], v10 offset0:64 offset1:80
	s_waitcnt lgkmcnt(0)
	v_mul_f32_e32 v20, v29, v15
	v_fma_f32 v20, v28, v14, -v20
	v_mul_f32_e32 v15, v28, v15
	v_fmac_f32_e32 v15, v29, v14
	;; [unrolled: 14-line block ×3, first 2 shown]
	v_add_f32_e32 v14, v18, v20
	v_mul_f32_e32 v18, v35, v17
	v_mul_f32_e32 v17, v34, v17
	v_add_f32_e32 v15, v19, v15
	v_fma_f32 v18, v34, v16, -v18
	v_fmac_f32_e32 v17, v35, v16
	v_add_f32_e32 v22, v14, v18
	v_add_f32_e32 v23, v15, v17
	ds_read2_b64 v[14:17], v10 offset0:128 offset1:144
	ds_read_b128 v[18:21], v12 offset:64
	s_waitcnt lgkmcnt(0)
	v_mul_f32_e32 v24, v19, v15
	v_mul_f32_e32 v15, v18, v15
	v_fma_f32 v24, v18, v14, -v24
	v_fmac_f32_e32 v15, v19, v14
	v_mul_f32_e32 v18, v21, v17
	v_mul_f32_e32 v17, v20, v17
	v_add_f32_e32 v14, v22, v24
	v_add_f32_e32 v15, v23, v15
	v_fma_f32 v18, v20, v16, -v18
	v_fmac_f32_e32 v17, v21, v16
	v_add_f32_e32 v22, v14, v18
	v_add_f32_e32 v23, v15, v17
	ds_read2_b64 v[14:17], v10 offset0:160 offset1:176
	ds_read_b128 v[18:21], v12 offset:80
	s_waitcnt lgkmcnt(0)
	v_mul_f32_e32 v24, v19, v15
	v_mul_f32_e32 v15, v18, v15
	v_fma_f32 v24, v18, v14, -v24
	v_fmac_f32_e32 v15, v19, v14
	v_mul_f32_e32 v18, v21, v17
	v_mul_f32_e32 v17, v20, v17
	v_add_f32_e32 v14, v22, v24
	;; [unrolled: 15-line block ×3, first 2 shown]
	v_add_f32_e32 v15, v23, v15
	v_fma_f32 v18, v20, v16, -v18
	v_fmac_f32_e32 v17, v21, v16
	v_add_f32_e32 v22, v14, v18
	v_add_f32_e32 v23, v15, v17
	ds_read2_b64 v[14:17], v10 offset0:224 offset1:240
	ds_read_b128 v[18:21], v12 offset:112
	s_waitcnt lgkmcnt(0)
	s_barrier
	v_mul_f32_e32 v24, v19, v15
	v_mul_f32_e32 v15, v18, v15
	v_fmac_f32_e32 v15, v19, v14
	v_fma_f32 v24, v18, v14, -v24
	v_add_f32_e32 v18, v23, v15
	v_mul_f32_e32 v15, v21, v17
	v_mul_f32_e32 v17, v20, v17
	v_add_f32_e32 v14, v22, v24
	v_fma_f32 v15, v20, v16, -v15
	v_fmac_f32_e32 v17, v21, v16
	v_add_f32_e32 v15, v14, v15
	v_add_f32_e32 v14, v18, v17
	s_cbranch_vccnz .LBB1276_2
; %bb.3:
	s_load_dwordx8 s[16:23], s[4:5], 0x48
	v_cmp_le_i32_e32 vcc, v8, v2
	s_and_saveexec_b64 s[0:1], vcc
	s_cbranch_execnz .LBB1276_6
.LBB1276_4:
	s_endpgm
.LBB1276_5:
	v_mov_b32_e32 v14, 0
	v_mov_b32_e32 v15, 0
	s_load_dwordx8 s[16:23], s[4:5], 0x48
	v_cmp_le_i32_e32 vcc, v8, v2
	s_and_saveexec_b64 s[0:1], vcc
	s_cbranch_execz .LBB1276_4
.LBB1276_6:
	s_waitcnt lgkmcnt(0)
	v_mul_lo_u32 v4, s21, v8
	v_mul_lo_u32 v5, s20, v9
	v_mad_u64_u32 v[0:1], s[2:3], s20, v8, 0
	s_mul_i32 s0, s23, s8
	s_mul_hi_u32 s1, s22, s8
	s_add_i32 s1, s1, s0
	s_mul_i32 s0, s22, s8
	s_lshl_b64 s[0:1], s[0:1], 3
	v_add3_u32 v1, v1, v5, v4
	s_add_u32 s0, s18, s0
	v_lshlrev_b64 v[0:1], 3, v[0:1]
	s_addc_u32 s1, s19, s1
	v_mov_b32_e32 v4, s1
	v_add_co_u32_e32 v5, vcc, s0, v0
	v_addc_co_u32_e32 v4, vcc, v4, v1, vcc
	v_lshlrev_b64 v[0:1], 3, v[2:3]
	v_mul_f32_e32 v6, s14, v14
	v_add_co_u32_e32 v0, vcc, v5, v0
	v_addc_co_u32_e32 v1, vcc, v4, v1, vcc
	global_load_dwordx2 v[3:4], v[0:1], off
	v_mul_f32_e32 v5, s15, v14
	v_fma_f32 v5, v15, s14, -v5
	v_fmac_f32_e32 v6, s15, v15
	v_cmp_eq_u32_e32 vcc, v2, v8
	s_waitcnt vmcnt(0)
	v_mul_f32_e32 v7, s17, v4
	v_mul_f32_e32 v4, s16, v4
	v_fma_f32 v7, v3, s16, -v7
	v_fmac_f32_e32 v4, s17, v3
	v_add_f32_e32 v3, v5, v7
	v_add_f32_e32 v4, v6, v4
	global_store_dwordx2 v[0:1], v[3:4], off
	s_and_b64 exec, exec, vcc
	s_cbranch_execz .LBB1276_4
; %bb.7:
	v_mov_b32_e32 v2, 0
	global_store_dword v[0:1], v2, off offset:4
	s_endpgm
	.section	.rodata,"a",@progbits
	.p2align	6, 0x0
	.amdhsa_kernel _ZL41rocblas_syrkx_herkx_small_restrict_kernelIl19rocblas_complex_numIfELi16ELb0ELb1ELc84ELc76EKS1_S1_EviT_T0_PT6_S3_lS6_S3_lS4_PT7_S3_li
		.amdhsa_group_segment_fixed_size 4096
		.amdhsa_private_segment_fixed_size 0
		.amdhsa_kernarg_size 108
		.amdhsa_user_sgpr_count 6
		.amdhsa_user_sgpr_private_segment_buffer 1
		.amdhsa_user_sgpr_dispatch_ptr 0
		.amdhsa_user_sgpr_queue_ptr 0
		.amdhsa_user_sgpr_kernarg_segment_ptr 1
		.amdhsa_user_sgpr_dispatch_id 0
		.amdhsa_user_sgpr_flat_scratch_init 0
		.amdhsa_user_sgpr_private_segment_size 0
		.amdhsa_uses_dynamic_stack 0
		.amdhsa_system_sgpr_private_segment_wavefront_offset 0
		.amdhsa_system_sgpr_workgroup_id_x 1
		.amdhsa_system_sgpr_workgroup_id_y 1
		.amdhsa_system_sgpr_workgroup_id_z 1
		.amdhsa_system_sgpr_workgroup_info 0
		.amdhsa_system_vgpr_workitem_id 1
		.amdhsa_next_free_vgpr 37
		.amdhsa_next_free_sgpr 28
		.amdhsa_reserve_vcc 1
		.amdhsa_reserve_flat_scratch 0
		.amdhsa_float_round_mode_32 0
		.amdhsa_float_round_mode_16_64 0
		.amdhsa_float_denorm_mode_32 3
		.amdhsa_float_denorm_mode_16_64 3
		.amdhsa_dx10_clamp 1
		.amdhsa_ieee_mode 1
		.amdhsa_fp16_overflow 0
		.amdhsa_exception_fp_ieee_invalid_op 0
		.amdhsa_exception_fp_denorm_src 0
		.amdhsa_exception_fp_ieee_div_zero 0
		.amdhsa_exception_fp_ieee_overflow 0
		.amdhsa_exception_fp_ieee_underflow 0
		.amdhsa_exception_fp_ieee_inexact 0
		.amdhsa_exception_int_div_zero 0
	.end_amdhsa_kernel
	.section	.text._ZL41rocblas_syrkx_herkx_small_restrict_kernelIl19rocblas_complex_numIfELi16ELb0ELb1ELc84ELc76EKS1_S1_EviT_T0_PT6_S3_lS6_S3_lS4_PT7_S3_li,"axG",@progbits,_ZL41rocblas_syrkx_herkx_small_restrict_kernelIl19rocblas_complex_numIfELi16ELb0ELb1ELc84ELc76EKS1_S1_EviT_T0_PT6_S3_lS6_S3_lS4_PT7_S3_li,comdat
.Lfunc_end1276:
	.size	_ZL41rocblas_syrkx_herkx_small_restrict_kernelIl19rocblas_complex_numIfELi16ELb0ELb1ELc84ELc76EKS1_S1_EviT_T0_PT6_S3_lS6_S3_lS4_PT7_S3_li, .Lfunc_end1276-_ZL41rocblas_syrkx_herkx_small_restrict_kernelIl19rocblas_complex_numIfELi16ELb0ELb1ELc84ELc76EKS1_S1_EviT_T0_PT6_S3_lS6_S3_lS4_PT7_S3_li
                                        ; -- End function
	.set _ZL41rocblas_syrkx_herkx_small_restrict_kernelIl19rocblas_complex_numIfELi16ELb0ELb1ELc84ELc76EKS1_S1_EviT_T0_PT6_S3_lS6_S3_lS4_PT7_S3_li.num_vgpr, 37
	.set _ZL41rocblas_syrkx_herkx_small_restrict_kernelIl19rocblas_complex_numIfELi16ELb0ELb1ELc84ELc76EKS1_S1_EviT_T0_PT6_S3_lS6_S3_lS4_PT7_S3_li.num_agpr, 0
	.set _ZL41rocblas_syrkx_herkx_small_restrict_kernelIl19rocblas_complex_numIfELi16ELb0ELb1ELc84ELc76EKS1_S1_EviT_T0_PT6_S3_lS6_S3_lS4_PT7_S3_li.numbered_sgpr, 28
	.set _ZL41rocblas_syrkx_herkx_small_restrict_kernelIl19rocblas_complex_numIfELi16ELb0ELb1ELc84ELc76EKS1_S1_EviT_T0_PT6_S3_lS6_S3_lS4_PT7_S3_li.num_named_barrier, 0
	.set _ZL41rocblas_syrkx_herkx_small_restrict_kernelIl19rocblas_complex_numIfELi16ELb0ELb1ELc84ELc76EKS1_S1_EviT_T0_PT6_S3_lS6_S3_lS4_PT7_S3_li.private_seg_size, 0
	.set _ZL41rocblas_syrkx_herkx_small_restrict_kernelIl19rocblas_complex_numIfELi16ELb0ELb1ELc84ELc76EKS1_S1_EviT_T0_PT6_S3_lS6_S3_lS4_PT7_S3_li.uses_vcc, 1
	.set _ZL41rocblas_syrkx_herkx_small_restrict_kernelIl19rocblas_complex_numIfELi16ELb0ELb1ELc84ELc76EKS1_S1_EviT_T0_PT6_S3_lS6_S3_lS4_PT7_S3_li.uses_flat_scratch, 0
	.set _ZL41rocblas_syrkx_herkx_small_restrict_kernelIl19rocblas_complex_numIfELi16ELb0ELb1ELc84ELc76EKS1_S1_EviT_T0_PT6_S3_lS6_S3_lS4_PT7_S3_li.has_dyn_sized_stack, 0
	.set _ZL41rocblas_syrkx_herkx_small_restrict_kernelIl19rocblas_complex_numIfELi16ELb0ELb1ELc84ELc76EKS1_S1_EviT_T0_PT6_S3_lS6_S3_lS4_PT7_S3_li.has_recursion, 0
	.set _ZL41rocblas_syrkx_herkx_small_restrict_kernelIl19rocblas_complex_numIfELi16ELb0ELb1ELc84ELc76EKS1_S1_EviT_T0_PT6_S3_lS6_S3_lS4_PT7_S3_li.has_indirect_call, 0
	.section	.AMDGPU.csdata,"",@progbits
; Kernel info:
; codeLenInByte = 1236
; TotalNumSgprs: 32
; NumVgprs: 37
; ScratchSize: 0
; MemoryBound: 0
; FloatMode: 240
; IeeeMode: 1
; LDSByteSize: 4096 bytes/workgroup (compile time only)
; SGPRBlocks: 3
; VGPRBlocks: 9
; NumSGPRsForWavesPerEU: 32
; NumVGPRsForWavesPerEU: 37
; Occupancy: 6
; WaveLimiterHint : 0
; COMPUTE_PGM_RSRC2:SCRATCH_EN: 0
; COMPUTE_PGM_RSRC2:USER_SGPR: 6
; COMPUTE_PGM_RSRC2:TRAP_HANDLER: 0
; COMPUTE_PGM_RSRC2:TGID_X_EN: 1
; COMPUTE_PGM_RSRC2:TGID_Y_EN: 1
; COMPUTE_PGM_RSRC2:TGID_Z_EN: 1
; COMPUTE_PGM_RSRC2:TIDIG_COMP_CNT: 1
	.section	.text._ZL41rocblas_syrkx_herkx_small_restrict_kernelIl19rocblas_complex_numIfELi16ELb0ELb1ELc67ELc76EKS1_S1_EviT_T0_PT6_S3_lS6_S3_lS4_PT7_S3_li,"axG",@progbits,_ZL41rocblas_syrkx_herkx_small_restrict_kernelIl19rocblas_complex_numIfELi16ELb0ELb1ELc67ELc76EKS1_S1_EviT_T0_PT6_S3_lS6_S3_lS4_PT7_S3_li,comdat
	.globl	_ZL41rocblas_syrkx_herkx_small_restrict_kernelIl19rocblas_complex_numIfELi16ELb0ELb1ELc67ELc76EKS1_S1_EviT_T0_PT6_S3_lS6_S3_lS4_PT7_S3_li ; -- Begin function _ZL41rocblas_syrkx_herkx_small_restrict_kernelIl19rocblas_complex_numIfELi16ELb0ELb1ELc67ELc76EKS1_S1_EviT_T0_PT6_S3_lS6_S3_lS4_PT7_S3_li
	.p2align	8
	.type	_ZL41rocblas_syrkx_herkx_small_restrict_kernelIl19rocblas_complex_numIfELi16ELb0ELb1ELc67ELc76EKS1_S1_EviT_T0_PT6_S3_lS6_S3_lS4_PT7_S3_li,@function
_ZL41rocblas_syrkx_herkx_small_restrict_kernelIl19rocblas_complex_numIfELi16ELb0ELb1ELc67ELc76EKS1_S1_EviT_T0_PT6_S3_lS6_S3_lS4_PT7_S3_li: ; @_ZL41rocblas_syrkx_herkx_small_restrict_kernelIl19rocblas_complex_numIfELi16ELb0ELb1ELc67ELc76EKS1_S1_EviT_T0_PT6_S3_lS6_S3_lS4_PT7_S3_li
; %bb.0:
	s_load_dwordx16 s[12:27], s[4:5], 0x8
	v_lshl_add_u32 v2, s6, 4, v0
	v_lshl_add_u32 v8, s7, 4, v1
	v_ashrrev_i32_e32 v3, 31, v2
	v_ashrrev_i32_e32 v9, 31, v8
	s_waitcnt lgkmcnt(0)
	v_cmp_lt_i64_e64 s[0:1], s[12:13], 1
	s_and_b64 vcc, exec, s[0:1]
	s_cbranch_vccnz .LBB1277_5
; %bb.1:
	v_lshlrev_b32_e32 v10, 3, v0
	v_mul_lo_u32 v0, s25, v8
	v_mul_lo_u32 v7, s24, v9
	v_mad_u64_u32 v[4:5], s[0:1], s24, v8, 0
	s_mul_i32 s0, s27, s8
	s_mul_hi_u32 s1, s26, s8
	v_add3_u32 v5, v5, v7, v0
	v_lshlrev_b64 v[4:5], 3, v[4:5]
	s_add_i32 s1, s1, s0
	s_mul_i32 s0, s26, s8
	v_lshlrev_b32_e32 v6, 7, v1
	s_lshl_b64 s[0:1], s[0:1], 3
	v_add_u32_e32 v11, v10, v6
	v_add_u32_e32 v12, 0x800, v6
	v_mov_b32_e32 v0, s1
	v_add_co_u32_e32 v4, vcc, s0, v4
	v_mul_lo_u32 v15, s19, v2
	v_mul_lo_u32 v16, s18, v3
	v_mad_u64_u32 v[6:7], s[0:1], s18, v2, 0
	v_addc_co_u32_e32 v0, vcc, v5, v0, vcc
	v_add_co_u32_e32 v4, vcc, v4, v10
	v_addc_co_u32_e32 v0, vcc, 0, v0, vcc
	v_add3_u32 v7, v7, v16, v15
	s_mul_i32 s0, s21, s8
	s_mul_hi_u32 s1, s20, s8
	v_mov_b32_e32 v5, s23
	v_add_co_u32_e32 v4, vcc, s22, v4
	v_lshlrev_b64 v[6:7], 3, v[6:7]
	s_add_i32 s1, s1, s0
	s_mul_i32 s0, s20, s8
	v_addc_co_u32_e32 v5, vcc, v5, v0, vcc
	s_lshl_b64 s[0:1], s[0:1], 3
	v_mov_b32_e32 v0, s1
	v_add_co_u32_e32 v6, vcc, s0, v6
	v_addc_co_u32_e32 v0, vcc, v7, v0, vcc
	v_lshlrev_b32_e32 v1, 3, v1
	v_add_co_u32_e32 v1, vcc, v6, v1
	v_addc_co_u32_e32 v0, vcc, 0, v0, vcc
	v_mov_b32_e32 v6, s17
	v_add_co_u32_e32 v1, vcc, s16, v1
	v_addc_co_u32_e32 v6, vcc, v6, v0, vcc
	v_add_co_u32_e32 v0, vcc, 4, v1
	v_addc_co_u32_e32 v1, vcc, 0, v6, vcc
	v_mov_b32_e32 v6, s12
	v_add_u32_e32 v13, v12, v10
	v_mov_b32_e32 v14, 0
	s_mov_b64 s[0:1], 0
	v_mov_b32_e32 v7, s13
	v_mov_b32_e32 v15, 0
.LBB1277_2:                             ; =>This Inner Loop Header: Depth=1
	global_load_dwordx2 v[16:17], v[0:1], off offset:-4
	s_add_u32 s0, s0, 16
	s_addc_u32 s1, s1, 0
	s_waitcnt vmcnt(0)
	v_xor_b32_e32 v17, 0x80000000, v17
	ds_write_b64 v11, v[16:17]
	global_load_dwordx2 v[16:17], v[4:5], off
	v_add_co_u32_e32 v4, vcc, 0x80, v4
	v_addc_co_u32_e32 v5, vcc, 0, v5, vcc
	v_add_co_u32_e32 v0, vcc, 0x80, v0
	v_addc_co_u32_e32 v1, vcc, 0, v1, vcc
	v_cmp_lt_i64_e32 vcc, s[0:1], v[6:7]
	s_and_b64 vcc, exec, vcc
	s_waitcnt vmcnt(0)
	ds_write_b64 v13, v[16:17]
	s_waitcnt lgkmcnt(0)
	s_barrier
	ds_read2_b64 v[16:19], v10 offset1:16
	ds_read_b128 v[20:23], v12
	ds_read_b128 v[24:27], v12 offset:16
	ds_read_b128 v[28:31], v12 offset:32
	;; [unrolled: 1-line block ×3, first 2 shown]
	s_waitcnt lgkmcnt(3)
	v_mul_f32_e32 v36, v21, v17
	v_mul_f32_e32 v17, v20, v17
	v_fmac_f32_e32 v17, v21, v16
	v_fma_f32 v36, v20, v16, -v36
	v_add_f32_e32 v14, v14, v17
	v_mul_f32_e32 v16, v23, v19
	v_mul_f32_e32 v17, v22, v19
	v_add_f32_e32 v15, v15, v36
	v_fma_f32 v16, v22, v18, -v16
	v_fmac_f32_e32 v17, v23, v18
	v_add_f32_e32 v18, v15, v16
	v_add_f32_e32 v19, v14, v17
	ds_read2_b64 v[14:17], v10 offset0:32 offset1:48
	s_waitcnt lgkmcnt(0)
	v_mul_f32_e32 v20, v25, v15
	v_fma_f32 v20, v24, v14, -v20
	v_mul_f32_e32 v15, v24, v15
	v_fmac_f32_e32 v15, v25, v14
	v_add_f32_e32 v14, v18, v20
	v_mul_f32_e32 v18, v27, v17
	v_mul_f32_e32 v17, v26, v17
	v_add_f32_e32 v15, v19, v15
	v_fma_f32 v18, v26, v16, -v18
	v_fmac_f32_e32 v17, v27, v16
	v_add_f32_e32 v18, v14, v18
	v_add_f32_e32 v19, v15, v17
	ds_read2_b64 v[14:17], v10 offset0:64 offset1:80
	s_waitcnt lgkmcnt(0)
	v_mul_f32_e32 v20, v29, v15
	v_fma_f32 v20, v28, v14, -v20
	v_mul_f32_e32 v15, v28, v15
	v_fmac_f32_e32 v15, v29, v14
	;; [unrolled: 14-line block ×3, first 2 shown]
	v_add_f32_e32 v14, v18, v20
	v_mul_f32_e32 v18, v35, v17
	v_mul_f32_e32 v17, v34, v17
	v_add_f32_e32 v15, v19, v15
	v_fma_f32 v18, v34, v16, -v18
	v_fmac_f32_e32 v17, v35, v16
	v_add_f32_e32 v22, v14, v18
	v_add_f32_e32 v23, v15, v17
	ds_read2_b64 v[14:17], v10 offset0:128 offset1:144
	ds_read_b128 v[18:21], v12 offset:64
	s_waitcnt lgkmcnt(0)
	v_mul_f32_e32 v24, v19, v15
	v_mul_f32_e32 v15, v18, v15
	v_fma_f32 v24, v18, v14, -v24
	v_fmac_f32_e32 v15, v19, v14
	v_mul_f32_e32 v18, v21, v17
	v_mul_f32_e32 v17, v20, v17
	v_add_f32_e32 v14, v22, v24
	v_add_f32_e32 v15, v23, v15
	v_fma_f32 v18, v20, v16, -v18
	v_fmac_f32_e32 v17, v21, v16
	v_add_f32_e32 v22, v14, v18
	v_add_f32_e32 v23, v15, v17
	ds_read2_b64 v[14:17], v10 offset0:160 offset1:176
	ds_read_b128 v[18:21], v12 offset:80
	s_waitcnt lgkmcnt(0)
	v_mul_f32_e32 v24, v19, v15
	v_mul_f32_e32 v15, v18, v15
	v_fma_f32 v24, v18, v14, -v24
	v_fmac_f32_e32 v15, v19, v14
	v_mul_f32_e32 v18, v21, v17
	v_mul_f32_e32 v17, v20, v17
	v_add_f32_e32 v14, v22, v24
	v_add_f32_e32 v15, v23, v15
	v_fma_f32 v18, v20, v16, -v18
	v_fmac_f32_e32 v17, v21, v16
	v_add_f32_e32 v22, v14, v18
	v_add_f32_e32 v23, v15, v17
	ds_read2_b64 v[14:17], v10 offset0:192 offset1:208
	ds_read_b128 v[18:21], v12 offset:96
	s_waitcnt lgkmcnt(0)
	v_mul_f32_e32 v24, v19, v15
	v_mul_f32_e32 v15, v18, v15
	v_fma_f32 v24, v18, v14, -v24
	v_fmac_f32_e32 v15, v19, v14
	v_mul_f32_e32 v18, v21, v17
	v_mul_f32_e32 v17, v20, v17
	v_add_f32_e32 v14, v22, v24
	v_add_f32_e32 v15, v23, v15
	v_fma_f32 v18, v20, v16, -v18
	v_fmac_f32_e32 v17, v21, v16
	v_add_f32_e32 v22, v14, v18
	v_add_f32_e32 v23, v15, v17
	ds_read2_b64 v[14:17], v10 offset0:224 offset1:240
	ds_read_b128 v[18:21], v12 offset:112
	s_waitcnt lgkmcnt(0)
	s_barrier
	v_mul_f32_e32 v24, v19, v15
	v_mul_f32_e32 v15, v18, v15
	v_fmac_f32_e32 v15, v19, v14
	v_fma_f32 v24, v18, v14, -v24
	v_add_f32_e32 v18, v23, v15
	v_mul_f32_e32 v15, v21, v17
	v_mul_f32_e32 v17, v20, v17
	v_add_f32_e32 v14, v22, v24
	v_fma_f32 v15, v20, v16, -v15
	v_fmac_f32_e32 v17, v21, v16
	v_add_f32_e32 v15, v14, v15
	v_add_f32_e32 v14, v18, v17
	s_cbranch_vccnz .LBB1277_2
; %bb.3:
	s_load_dwordx8 s[16:23], s[4:5], 0x48
	v_cmp_le_i32_e32 vcc, v8, v2
	s_and_saveexec_b64 s[0:1], vcc
	s_cbranch_execnz .LBB1277_6
.LBB1277_4:
	s_endpgm
.LBB1277_5:
	v_mov_b32_e32 v14, 0
	v_mov_b32_e32 v15, 0
	s_load_dwordx8 s[16:23], s[4:5], 0x48
	v_cmp_le_i32_e32 vcc, v8, v2
	s_and_saveexec_b64 s[0:1], vcc
	s_cbranch_execz .LBB1277_4
.LBB1277_6:
	s_waitcnt lgkmcnt(0)
	v_mul_lo_u32 v4, s21, v8
	v_mul_lo_u32 v5, s20, v9
	v_mad_u64_u32 v[0:1], s[2:3], s20, v8, 0
	s_mul_i32 s0, s23, s8
	s_mul_hi_u32 s1, s22, s8
	s_add_i32 s1, s1, s0
	s_mul_i32 s0, s22, s8
	s_lshl_b64 s[0:1], s[0:1], 3
	v_add3_u32 v1, v1, v5, v4
	s_add_u32 s0, s18, s0
	v_lshlrev_b64 v[0:1], 3, v[0:1]
	s_addc_u32 s1, s19, s1
	v_mov_b32_e32 v4, s1
	v_add_co_u32_e32 v5, vcc, s0, v0
	v_addc_co_u32_e32 v4, vcc, v4, v1, vcc
	v_lshlrev_b64 v[0:1], 3, v[2:3]
	v_mul_f32_e32 v6, s14, v14
	v_add_co_u32_e32 v0, vcc, v5, v0
	v_addc_co_u32_e32 v1, vcc, v4, v1, vcc
	global_load_dwordx2 v[3:4], v[0:1], off
	v_mul_f32_e32 v5, s15, v14
	v_fma_f32 v5, v15, s14, -v5
	v_fmac_f32_e32 v6, s15, v15
	v_cmp_eq_u32_e32 vcc, v2, v8
	s_waitcnt vmcnt(0)
	v_mul_f32_e32 v7, s17, v4
	v_mul_f32_e32 v4, s16, v4
	v_fma_f32 v7, v3, s16, -v7
	v_fmac_f32_e32 v4, s17, v3
	v_add_f32_e32 v3, v5, v7
	v_add_f32_e32 v4, v6, v4
	global_store_dwordx2 v[0:1], v[3:4], off
	s_and_b64 exec, exec, vcc
	s_cbranch_execz .LBB1277_4
; %bb.7:
	v_mov_b32_e32 v2, 0
	global_store_dword v[0:1], v2, off offset:4
	s_endpgm
	.section	.rodata,"a",@progbits
	.p2align	6, 0x0
	.amdhsa_kernel _ZL41rocblas_syrkx_herkx_small_restrict_kernelIl19rocblas_complex_numIfELi16ELb0ELb1ELc67ELc76EKS1_S1_EviT_T0_PT6_S3_lS6_S3_lS4_PT7_S3_li
		.amdhsa_group_segment_fixed_size 4096
		.amdhsa_private_segment_fixed_size 0
		.amdhsa_kernarg_size 108
		.amdhsa_user_sgpr_count 6
		.amdhsa_user_sgpr_private_segment_buffer 1
		.amdhsa_user_sgpr_dispatch_ptr 0
		.amdhsa_user_sgpr_queue_ptr 0
		.amdhsa_user_sgpr_kernarg_segment_ptr 1
		.amdhsa_user_sgpr_dispatch_id 0
		.amdhsa_user_sgpr_flat_scratch_init 0
		.amdhsa_user_sgpr_private_segment_size 0
		.amdhsa_uses_dynamic_stack 0
		.amdhsa_system_sgpr_private_segment_wavefront_offset 0
		.amdhsa_system_sgpr_workgroup_id_x 1
		.amdhsa_system_sgpr_workgroup_id_y 1
		.amdhsa_system_sgpr_workgroup_id_z 1
		.amdhsa_system_sgpr_workgroup_info 0
		.amdhsa_system_vgpr_workitem_id 1
		.amdhsa_next_free_vgpr 37
		.amdhsa_next_free_sgpr 28
		.amdhsa_reserve_vcc 1
		.amdhsa_reserve_flat_scratch 0
		.amdhsa_float_round_mode_32 0
		.amdhsa_float_round_mode_16_64 0
		.amdhsa_float_denorm_mode_32 3
		.amdhsa_float_denorm_mode_16_64 3
		.amdhsa_dx10_clamp 1
		.amdhsa_ieee_mode 1
		.amdhsa_fp16_overflow 0
		.amdhsa_exception_fp_ieee_invalid_op 0
		.amdhsa_exception_fp_denorm_src 0
		.amdhsa_exception_fp_ieee_div_zero 0
		.amdhsa_exception_fp_ieee_overflow 0
		.amdhsa_exception_fp_ieee_underflow 0
		.amdhsa_exception_fp_ieee_inexact 0
		.amdhsa_exception_int_div_zero 0
	.end_amdhsa_kernel
	.section	.text._ZL41rocblas_syrkx_herkx_small_restrict_kernelIl19rocblas_complex_numIfELi16ELb0ELb1ELc67ELc76EKS1_S1_EviT_T0_PT6_S3_lS6_S3_lS4_PT7_S3_li,"axG",@progbits,_ZL41rocblas_syrkx_herkx_small_restrict_kernelIl19rocblas_complex_numIfELi16ELb0ELb1ELc67ELc76EKS1_S1_EviT_T0_PT6_S3_lS6_S3_lS4_PT7_S3_li,comdat
.Lfunc_end1277:
	.size	_ZL41rocblas_syrkx_herkx_small_restrict_kernelIl19rocblas_complex_numIfELi16ELb0ELb1ELc67ELc76EKS1_S1_EviT_T0_PT6_S3_lS6_S3_lS4_PT7_S3_li, .Lfunc_end1277-_ZL41rocblas_syrkx_herkx_small_restrict_kernelIl19rocblas_complex_numIfELi16ELb0ELb1ELc67ELc76EKS1_S1_EviT_T0_PT6_S3_lS6_S3_lS4_PT7_S3_li
                                        ; -- End function
	.set _ZL41rocblas_syrkx_herkx_small_restrict_kernelIl19rocblas_complex_numIfELi16ELb0ELb1ELc67ELc76EKS1_S1_EviT_T0_PT6_S3_lS6_S3_lS4_PT7_S3_li.num_vgpr, 37
	.set _ZL41rocblas_syrkx_herkx_small_restrict_kernelIl19rocblas_complex_numIfELi16ELb0ELb1ELc67ELc76EKS1_S1_EviT_T0_PT6_S3_lS6_S3_lS4_PT7_S3_li.num_agpr, 0
	.set _ZL41rocblas_syrkx_herkx_small_restrict_kernelIl19rocblas_complex_numIfELi16ELb0ELb1ELc67ELc76EKS1_S1_EviT_T0_PT6_S3_lS6_S3_lS4_PT7_S3_li.numbered_sgpr, 28
	.set _ZL41rocblas_syrkx_herkx_small_restrict_kernelIl19rocblas_complex_numIfELi16ELb0ELb1ELc67ELc76EKS1_S1_EviT_T0_PT6_S3_lS6_S3_lS4_PT7_S3_li.num_named_barrier, 0
	.set _ZL41rocblas_syrkx_herkx_small_restrict_kernelIl19rocblas_complex_numIfELi16ELb0ELb1ELc67ELc76EKS1_S1_EviT_T0_PT6_S3_lS6_S3_lS4_PT7_S3_li.private_seg_size, 0
	.set _ZL41rocblas_syrkx_herkx_small_restrict_kernelIl19rocblas_complex_numIfELi16ELb0ELb1ELc67ELc76EKS1_S1_EviT_T0_PT6_S3_lS6_S3_lS4_PT7_S3_li.uses_vcc, 1
	.set _ZL41rocblas_syrkx_herkx_small_restrict_kernelIl19rocblas_complex_numIfELi16ELb0ELb1ELc67ELc76EKS1_S1_EviT_T0_PT6_S3_lS6_S3_lS4_PT7_S3_li.uses_flat_scratch, 0
	.set _ZL41rocblas_syrkx_herkx_small_restrict_kernelIl19rocblas_complex_numIfELi16ELb0ELb1ELc67ELc76EKS1_S1_EviT_T0_PT6_S3_lS6_S3_lS4_PT7_S3_li.has_dyn_sized_stack, 0
	.set _ZL41rocblas_syrkx_herkx_small_restrict_kernelIl19rocblas_complex_numIfELi16ELb0ELb1ELc67ELc76EKS1_S1_EviT_T0_PT6_S3_lS6_S3_lS4_PT7_S3_li.has_recursion, 0
	.set _ZL41rocblas_syrkx_herkx_small_restrict_kernelIl19rocblas_complex_numIfELi16ELb0ELb1ELc67ELc76EKS1_S1_EviT_T0_PT6_S3_lS6_S3_lS4_PT7_S3_li.has_indirect_call, 0
	.section	.AMDGPU.csdata,"",@progbits
; Kernel info:
; codeLenInByte = 1252
; TotalNumSgprs: 32
; NumVgprs: 37
; ScratchSize: 0
; MemoryBound: 0
; FloatMode: 240
; IeeeMode: 1
; LDSByteSize: 4096 bytes/workgroup (compile time only)
; SGPRBlocks: 3
; VGPRBlocks: 9
; NumSGPRsForWavesPerEU: 32
; NumVGPRsForWavesPerEU: 37
; Occupancy: 6
; WaveLimiterHint : 0
; COMPUTE_PGM_RSRC2:SCRATCH_EN: 0
; COMPUTE_PGM_RSRC2:USER_SGPR: 6
; COMPUTE_PGM_RSRC2:TRAP_HANDLER: 0
; COMPUTE_PGM_RSRC2:TGID_X_EN: 1
; COMPUTE_PGM_RSRC2:TGID_Y_EN: 1
; COMPUTE_PGM_RSRC2:TGID_Z_EN: 1
; COMPUTE_PGM_RSRC2:TIDIG_COMP_CNT: 1
	.section	.text._ZL41rocblas_syrkx_herkx_small_restrict_kernelIl19rocblas_complex_numIfELi16ELb0ELb1ELc78ELc76EKS1_S1_EviT_T0_PT6_S3_lS6_S3_lS4_PT7_S3_li,"axG",@progbits,_ZL41rocblas_syrkx_herkx_small_restrict_kernelIl19rocblas_complex_numIfELi16ELb0ELb1ELc78ELc76EKS1_S1_EviT_T0_PT6_S3_lS6_S3_lS4_PT7_S3_li,comdat
	.globl	_ZL41rocblas_syrkx_herkx_small_restrict_kernelIl19rocblas_complex_numIfELi16ELb0ELb1ELc78ELc76EKS1_S1_EviT_T0_PT6_S3_lS6_S3_lS4_PT7_S3_li ; -- Begin function _ZL41rocblas_syrkx_herkx_small_restrict_kernelIl19rocblas_complex_numIfELi16ELb0ELb1ELc78ELc76EKS1_S1_EviT_T0_PT6_S3_lS6_S3_lS4_PT7_S3_li
	.p2align	8
	.type	_ZL41rocblas_syrkx_herkx_small_restrict_kernelIl19rocblas_complex_numIfELi16ELb0ELb1ELc78ELc76EKS1_S1_EviT_T0_PT6_S3_lS6_S3_lS4_PT7_S3_li,@function
_ZL41rocblas_syrkx_herkx_small_restrict_kernelIl19rocblas_complex_numIfELi16ELb0ELb1ELc78ELc76EKS1_S1_EviT_T0_PT6_S3_lS6_S3_lS4_PT7_S3_li: ; @_ZL41rocblas_syrkx_herkx_small_restrict_kernelIl19rocblas_complex_numIfELi16ELb0ELb1ELc78ELc76EKS1_S1_EviT_T0_PT6_S3_lS6_S3_lS4_PT7_S3_li
; %bb.0:
	s_load_dwordx16 s[12:27], s[4:5], 0x8
	v_lshl_add_u32 v2, s6, 4, v0
	v_lshl_add_u32 v4, s7, 4, v1
	v_ashrrev_i32_e32 v3, 31, v2
	v_ashrrev_i32_e32 v5, 31, v4
	s_waitcnt lgkmcnt(0)
	v_cmp_lt_i64_e64 s[0:1], s[12:13], 1
	s_and_b64 vcc, exec, s[0:1]
	s_cbranch_vccnz .LBB1278_5
; %bb.1:
	v_lshlrev_b32_e32 v6, 7, v1
	v_lshlrev_b32_e32 v10, 3, v0
	v_add_u32_e32 v11, v10, v6
	v_add_u32_e32 v12, 0x800, v6
	v_mad_u64_u32 v[6:7], s[0:1], s24, v0, 0
	s_mul_i32 s2, s27, s8
	s_mul_hi_u32 s3, s26, s8
	v_mad_u64_u32 v[7:8], s[0:1], s25, v0, v[7:8]
	s_add_i32 s1, s3, s2
	s_mul_i32 s0, s26, s8
	v_lshlrev_b64 v[6:7], 3, v[6:7]
	s_lshl_b64 s[0:1], s[0:1], 3
	v_mov_b32_e32 v0, s1
	v_add_co_u32_e32 v8, vcc, s0, v6
	v_addc_co_u32_e32 v0, vcc, v0, v7, vcc
	v_lshlrev_b64 v[6:7], 3, v[4:5]
	s_mul_i32 s6, s21, s8
	v_add_co_u32_e32 v6, vcc, v8, v6
	v_addc_co_u32_e32 v0, vcc, v0, v7, vcc
	v_mad_u64_u32 v[8:9], s[0:1], s18, v1, 0
	v_mov_b32_e32 v7, s23
	v_add_co_u32_e32 v6, vcc, s22, v6
	v_addc_co_u32_e32 v0, vcc, v7, v0, vcc
	v_add_co_u32_e32 v6, vcc, 4, v6
	v_addc_co_u32_e32 v7, vcc, 0, v0, vcc
	v_mov_b32_e32 v0, v9
	v_mad_u64_u32 v[0:1], s[2:3], s19, v1, v[0:1]
	s_mul_hi_u32 s7, s20, s8
	s_add_i32 s3, s7, s6
	v_mov_b32_e32 v9, v0
	s_mul_i32 s2, s20, s8
	v_lshlrev_b64 v[0:1], 3, v[8:9]
	s_lshl_b64 s[2:3], s[2:3], 3
	v_mov_b32_e32 v8, s3
	v_add_co_u32_e32 v9, vcc, s2, v0
	v_addc_co_u32_e32 v8, vcc, v8, v1, vcc
	v_lshlrev_b64 v[0:1], 3, v[2:3]
	s_lshl_b64 s[0:1], s[24:25], 7
	v_add_co_u32_e32 v0, vcc, v9, v0
	v_addc_co_u32_e32 v1, vcc, v8, v1, vcc
	v_mov_b32_e32 v8, s17
	v_add_co_u32_e32 v0, vcc, s16, v0
	v_addc_co_u32_e32 v1, vcc, v8, v1, vcc
	s_lshl_b64 s[2:3], s[18:19], 7
	v_mov_b32_e32 v8, s12
	v_add_u32_e32 v13, v12, v10
	v_mov_b32_e32 v16, 0
	s_mov_b64 s[6:7], 0
	v_mov_b32_e32 v14, s1
	v_mov_b32_e32 v15, s3
	v_mov_b32_e32 v9, s13
	v_mov_b32_e32 v17, 0
.LBB1278_2:                             ; =>This Inner Loop Header: Depth=1
	global_load_dwordx2 v[18:19], v[0:1], off
	s_add_u32 s6, s6, 16
	s_addc_u32 s7, s7, 0
	s_waitcnt vmcnt(0)
	ds_write_b64 v11, v[18:19]
	global_load_dwordx2 v[18:19], v[6:7], off offset:-4
	v_add_co_u32_e32 v6, vcc, s0, v6
	v_addc_co_u32_e32 v7, vcc, v7, v14, vcc
	v_add_co_u32_e32 v0, vcc, s2, v0
	v_addc_co_u32_e32 v1, vcc, v1, v15, vcc
	v_cmp_lt_i64_e32 vcc, s[6:7], v[8:9]
	s_and_b64 vcc, exec, vcc
	s_waitcnt vmcnt(0)
	v_xor_b32_e32 v19, 0x80000000, v19
	ds_write_b64 v13, v[18:19]
	s_waitcnt lgkmcnt(0)
	s_barrier
	ds_read2_b64 v[18:21], v10 offset1:16
	ds_read_b128 v[22:25], v12
	ds_read_b128 v[26:29], v12 offset:16
	ds_read_b128 v[30:33], v12 offset:32
	;; [unrolled: 1-line block ×3, first 2 shown]
	s_waitcnt lgkmcnt(3)
	v_mul_f32_e32 v38, v23, v19
	v_mul_f32_e32 v19, v22, v19
	v_fmac_f32_e32 v19, v23, v18
	v_fma_f32 v38, v22, v18, -v38
	v_add_f32_e32 v16, v16, v19
	v_mul_f32_e32 v18, v25, v21
	v_mul_f32_e32 v19, v24, v21
	v_add_f32_e32 v17, v17, v38
	v_fma_f32 v18, v24, v20, -v18
	v_fmac_f32_e32 v19, v25, v20
	v_add_f32_e32 v20, v17, v18
	v_add_f32_e32 v21, v16, v19
	ds_read2_b64 v[16:19], v10 offset0:32 offset1:48
	s_waitcnt lgkmcnt(0)
	v_mul_f32_e32 v22, v27, v17
	v_fma_f32 v22, v26, v16, -v22
	v_mul_f32_e32 v17, v26, v17
	v_fmac_f32_e32 v17, v27, v16
	v_add_f32_e32 v16, v20, v22
	v_mul_f32_e32 v20, v29, v19
	v_mul_f32_e32 v19, v28, v19
	v_add_f32_e32 v17, v21, v17
	v_fma_f32 v20, v28, v18, -v20
	v_fmac_f32_e32 v19, v29, v18
	v_add_f32_e32 v20, v16, v20
	v_add_f32_e32 v21, v17, v19
	ds_read2_b64 v[16:19], v10 offset0:64 offset1:80
	s_waitcnt lgkmcnt(0)
	v_mul_f32_e32 v22, v31, v17
	v_fma_f32 v22, v30, v16, -v22
	v_mul_f32_e32 v17, v30, v17
	v_fmac_f32_e32 v17, v31, v16
	;; [unrolled: 14-line block ×3, first 2 shown]
	v_add_f32_e32 v16, v20, v22
	v_mul_f32_e32 v20, v37, v19
	v_mul_f32_e32 v19, v36, v19
	v_add_f32_e32 v17, v21, v17
	v_fma_f32 v20, v36, v18, -v20
	v_fmac_f32_e32 v19, v37, v18
	v_add_f32_e32 v24, v16, v20
	v_add_f32_e32 v25, v17, v19
	ds_read2_b64 v[16:19], v10 offset0:128 offset1:144
	ds_read_b128 v[20:23], v12 offset:64
	s_waitcnt lgkmcnt(0)
	v_mul_f32_e32 v26, v21, v17
	v_mul_f32_e32 v17, v20, v17
	v_fma_f32 v26, v20, v16, -v26
	v_fmac_f32_e32 v17, v21, v16
	v_mul_f32_e32 v20, v23, v19
	v_mul_f32_e32 v19, v22, v19
	v_add_f32_e32 v16, v24, v26
	v_add_f32_e32 v17, v25, v17
	v_fma_f32 v20, v22, v18, -v20
	v_fmac_f32_e32 v19, v23, v18
	v_add_f32_e32 v24, v16, v20
	v_add_f32_e32 v25, v17, v19
	ds_read2_b64 v[16:19], v10 offset0:160 offset1:176
	ds_read_b128 v[20:23], v12 offset:80
	s_waitcnt lgkmcnt(0)
	v_mul_f32_e32 v26, v21, v17
	v_mul_f32_e32 v17, v20, v17
	v_fma_f32 v26, v20, v16, -v26
	v_fmac_f32_e32 v17, v21, v16
	v_mul_f32_e32 v20, v23, v19
	v_mul_f32_e32 v19, v22, v19
	v_add_f32_e32 v16, v24, v26
	v_add_f32_e32 v17, v25, v17
	v_fma_f32 v20, v22, v18, -v20
	v_fmac_f32_e32 v19, v23, v18
	v_add_f32_e32 v24, v16, v20
	v_add_f32_e32 v25, v17, v19
	ds_read2_b64 v[16:19], v10 offset0:192 offset1:208
	ds_read_b128 v[20:23], v12 offset:96
	s_waitcnt lgkmcnt(0)
	v_mul_f32_e32 v26, v21, v17
	v_mul_f32_e32 v17, v20, v17
	v_fma_f32 v26, v20, v16, -v26
	v_fmac_f32_e32 v17, v21, v16
	v_mul_f32_e32 v20, v23, v19
	v_mul_f32_e32 v19, v22, v19
	v_add_f32_e32 v16, v24, v26
	v_add_f32_e32 v17, v25, v17
	v_fma_f32 v20, v22, v18, -v20
	v_fmac_f32_e32 v19, v23, v18
	v_add_f32_e32 v24, v16, v20
	v_add_f32_e32 v25, v17, v19
	ds_read2_b64 v[16:19], v10 offset0:224 offset1:240
	ds_read_b128 v[20:23], v12 offset:112
	s_waitcnt lgkmcnt(0)
	s_barrier
	v_mul_f32_e32 v26, v21, v17
	v_mul_f32_e32 v17, v20, v17
	v_fmac_f32_e32 v17, v21, v16
	v_fma_f32 v26, v20, v16, -v26
	v_add_f32_e32 v20, v25, v17
	v_mul_f32_e32 v17, v23, v19
	v_mul_f32_e32 v19, v22, v19
	v_add_f32_e32 v16, v24, v26
	v_fma_f32 v17, v22, v18, -v17
	v_fmac_f32_e32 v19, v23, v18
	v_add_f32_e32 v17, v16, v17
	v_add_f32_e32 v16, v20, v19
	s_cbranch_vccnz .LBB1278_2
; %bb.3:
	s_load_dwordx8 s[16:23], s[4:5], 0x48
	v_cmp_le_i32_e32 vcc, v4, v2
	s_and_saveexec_b64 s[0:1], vcc
	s_cbranch_execnz .LBB1278_6
.LBB1278_4:
	s_endpgm
.LBB1278_5:
	v_mov_b32_e32 v16, 0
	v_mov_b32_e32 v17, 0
	s_load_dwordx8 s[16:23], s[4:5], 0x48
	v_cmp_le_i32_e32 vcc, v4, v2
	s_and_saveexec_b64 s[0:1], vcc
	s_cbranch_execz .LBB1278_4
.LBB1278_6:
	s_waitcnt lgkmcnt(0)
	v_mul_lo_u32 v6, s21, v4
	v_mul_lo_u32 v5, s20, v5
	v_mad_u64_u32 v[0:1], s[2:3], s20, v4, 0
	s_mul_i32 s0, s23, s8
	s_mul_hi_u32 s1, s22, s8
	s_add_i32 s1, s1, s0
	s_mul_i32 s0, s22, s8
	s_lshl_b64 s[0:1], s[0:1], 3
	v_add3_u32 v1, v1, v5, v6
	s_add_u32 s0, s18, s0
	v_lshlrev_b64 v[0:1], 3, v[0:1]
	s_addc_u32 s1, s19, s1
	v_mov_b32_e32 v5, s1
	v_add_co_u32_e32 v6, vcc, s0, v0
	v_addc_co_u32_e32 v5, vcc, v5, v1, vcc
	v_lshlrev_b64 v[0:1], 3, v[2:3]
	v_mul_f32_e32 v3, s15, v16
	v_add_co_u32_e32 v0, vcc, v6, v0
	v_addc_co_u32_e32 v1, vcc, v5, v1, vcc
	global_load_dwordx2 v[5:6], v[0:1], off
	v_mul_f32_e32 v7, s14, v16
	v_fma_f32 v3, v17, s14, -v3
	v_fmac_f32_e32 v7, s15, v17
	v_cmp_eq_u32_e32 vcc, v2, v4
	s_waitcnt vmcnt(0)
	v_mul_f32_e32 v8, s17, v6
	v_mul_f32_e32 v6, s16, v6
	v_fma_f32 v8, v5, s16, -v8
	v_fmac_f32_e32 v6, s17, v5
	v_add_f32_e32 v5, v3, v8
	v_add_f32_e32 v6, v7, v6
	global_store_dwordx2 v[0:1], v[5:6], off
	s_and_b64 exec, exec, vcc
	s_cbranch_execz .LBB1278_4
; %bb.7:
	v_mov_b32_e32 v2, 0
	global_store_dword v[0:1], v2, off offset:4
	s_endpgm
	.section	.rodata,"a",@progbits
	.p2align	6, 0x0
	.amdhsa_kernel _ZL41rocblas_syrkx_herkx_small_restrict_kernelIl19rocblas_complex_numIfELi16ELb0ELb1ELc78ELc76EKS1_S1_EviT_T0_PT6_S3_lS6_S3_lS4_PT7_S3_li
		.amdhsa_group_segment_fixed_size 4096
		.amdhsa_private_segment_fixed_size 0
		.amdhsa_kernarg_size 108
		.amdhsa_user_sgpr_count 6
		.amdhsa_user_sgpr_private_segment_buffer 1
		.amdhsa_user_sgpr_dispatch_ptr 0
		.amdhsa_user_sgpr_queue_ptr 0
		.amdhsa_user_sgpr_kernarg_segment_ptr 1
		.amdhsa_user_sgpr_dispatch_id 0
		.amdhsa_user_sgpr_flat_scratch_init 0
		.amdhsa_user_sgpr_private_segment_size 0
		.amdhsa_uses_dynamic_stack 0
		.amdhsa_system_sgpr_private_segment_wavefront_offset 0
		.amdhsa_system_sgpr_workgroup_id_x 1
		.amdhsa_system_sgpr_workgroup_id_y 1
		.amdhsa_system_sgpr_workgroup_id_z 1
		.amdhsa_system_sgpr_workgroup_info 0
		.amdhsa_system_vgpr_workitem_id 1
		.amdhsa_next_free_vgpr 39
		.amdhsa_next_free_sgpr 28
		.amdhsa_reserve_vcc 1
		.amdhsa_reserve_flat_scratch 0
		.amdhsa_float_round_mode_32 0
		.amdhsa_float_round_mode_16_64 0
		.amdhsa_float_denorm_mode_32 3
		.amdhsa_float_denorm_mode_16_64 3
		.amdhsa_dx10_clamp 1
		.amdhsa_ieee_mode 1
		.amdhsa_fp16_overflow 0
		.amdhsa_exception_fp_ieee_invalid_op 0
		.amdhsa_exception_fp_denorm_src 0
		.amdhsa_exception_fp_ieee_div_zero 0
		.amdhsa_exception_fp_ieee_overflow 0
		.amdhsa_exception_fp_ieee_underflow 0
		.amdhsa_exception_fp_ieee_inexact 0
		.amdhsa_exception_int_div_zero 0
	.end_amdhsa_kernel
	.section	.text._ZL41rocblas_syrkx_herkx_small_restrict_kernelIl19rocblas_complex_numIfELi16ELb0ELb1ELc78ELc76EKS1_S1_EviT_T0_PT6_S3_lS6_S3_lS4_PT7_S3_li,"axG",@progbits,_ZL41rocblas_syrkx_herkx_small_restrict_kernelIl19rocblas_complex_numIfELi16ELb0ELb1ELc78ELc76EKS1_S1_EviT_T0_PT6_S3_lS6_S3_lS4_PT7_S3_li,comdat
.Lfunc_end1278:
	.size	_ZL41rocblas_syrkx_herkx_small_restrict_kernelIl19rocblas_complex_numIfELi16ELb0ELb1ELc78ELc76EKS1_S1_EviT_T0_PT6_S3_lS6_S3_lS4_PT7_S3_li, .Lfunc_end1278-_ZL41rocblas_syrkx_herkx_small_restrict_kernelIl19rocblas_complex_numIfELi16ELb0ELb1ELc78ELc76EKS1_S1_EviT_T0_PT6_S3_lS6_S3_lS4_PT7_S3_li
                                        ; -- End function
	.set _ZL41rocblas_syrkx_herkx_small_restrict_kernelIl19rocblas_complex_numIfELi16ELb0ELb1ELc78ELc76EKS1_S1_EviT_T0_PT6_S3_lS6_S3_lS4_PT7_S3_li.num_vgpr, 39
	.set _ZL41rocblas_syrkx_herkx_small_restrict_kernelIl19rocblas_complex_numIfELi16ELb0ELb1ELc78ELc76EKS1_S1_EviT_T0_PT6_S3_lS6_S3_lS4_PT7_S3_li.num_agpr, 0
	.set _ZL41rocblas_syrkx_herkx_small_restrict_kernelIl19rocblas_complex_numIfELi16ELb0ELb1ELc78ELc76EKS1_S1_EviT_T0_PT6_S3_lS6_S3_lS4_PT7_S3_li.numbered_sgpr, 28
	.set _ZL41rocblas_syrkx_herkx_small_restrict_kernelIl19rocblas_complex_numIfELi16ELb0ELb1ELc78ELc76EKS1_S1_EviT_T0_PT6_S3_lS6_S3_lS4_PT7_S3_li.num_named_barrier, 0
	.set _ZL41rocblas_syrkx_herkx_small_restrict_kernelIl19rocblas_complex_numIfELi16ELb0ELb1ELc78ELc76EKS1_S1_EviT_T0_PT6_S3_lS6_S3_lS4_PT7_S3_li.private_seg_size, 0
	.set _ZL41rocblas_syrkx_herkx_small_restrict_kernelIl19rocblas_complex_numIfELi16ELb0ELb1ELc78ELc76EKS1_S1_EviT_T0_PT6_S3_lS6_S3_lS4_PT7_S3_li.uses_vcc, 1
	.set _ZL41rocblas_syrkx_herkx_small_restrict_kernelIl19rocblas_complex_numIfELi16ELb0ELb1ELc78ELc76EKS1_S1_EviT_T0_PT6_S3_lS6_S3_lS4_PT7_S3_li.uses_flat_scratch, 0
	.set _ZL41rocblas_syrkx_herkx_small_restrict_kernelIl19rocblas_complex_numIfELi16ELb0ELb1ELc78ELc76EKS1_S1_EviT_T0_PT6_S3_lS6_S3_lS4_PT7_S3_li.has_dyn_sized_stack, 0
	.set _ZL41rocblas_syrkx_herkx_small_restrict_kernelIl19rocblas_complex_numIfELi16ELb0ELb1ELc78ELc76EKS1_S1_EviT_T0_PT6_S3_lS6_S3_lS4_PT7_S3_li.has_recursion, 0
	.set _ZL41rocblas_syrkx_herkx_small_restrict_kernelIl19rocblas_complex_numIfELi16ELb0ELb1ELc78ELc76EKS1_S1_EviT_T0_PT6_S3_lS6_S3_lS4_PT7_S3_li.has_indirect_call, 0
	.section	.AMDGPU.csdata,"",@progbits
; Kernel info:
; codeLenInByte = 1248
; TotalNumSgprs: 32
; NumVgprs: 39
; ScratchSize: 0
; MemoryBound: 0
; FloatMode: 240
; IeeeMode: 1
; LDSByteSize: 4096 bytes/workgroup (compile time only)
; SGPRBlocks: 3
; VGPRBlocks: 9
; NumSGPRsForWavesPerEU: 32
; NumVGPRsForWavesPerEU: 39
; Occupancy: 6
; WaveLimiterHint : 0
; COMPUTE_PGM_RSRC2:SCRATCH_EN: 0
; COMPUTE_PGM_RSRC2:USER_SGPR: 6
; COMPUTE_PGM_RSRC2:TRAP_HANDLER: 0
; COMPUTE_PGM_RSRC2:TGID_X_EN: 1
; COMPUTE_PGM_RSRC2:TGID_Y_EN: 1
; COMPUTE_PGM_RSRC2:TGID_Z_EN: 1
; COMPUTE_PGM_RSRC2:TIDIG_COMP_CNT: 1
	.section	.text._ZL41rocblas_syrkx_herkx_small_restrict_kernelIl19rocblas_complex_numIfELi16ELb0ELb1ELc84ELc85EKS1_S1_EviT_T0_PT6_S3_lS6_S3_lS4_PT7_S3_li,"axG",@progbits,_ZL41rocblas_syrkx_herkx_small_restrict_kernelIl19rocblas_complex_numIfELi16ELb0ELb1ELc84ELc85EKS1_S1_EviT_T0_PT6_S3_lS6_S3_lS4_PT7_S3_li,comdat
	.globl	_ZL41rocblas_syrkx_herkx_small_restrict_kernelIl19rocblas_complex_numIfELi16ELb0ELb1ELc84ELc85EKS1_S1_EviT_T0_PT6_S3_lS6_S3_lS4_PT7_S3_li ; -- Begin function _ZL41rocblas_syrkx_herkx_small_restrict_kernelIl19rocblas_complex_numIfELi16ELb0ELb1ELc84ELc85EKS1_S1_EviT_T0_PT6_S3_lS6_S3_lS4_PT7_S3_li
	.p2align	8
	.type	_ZL41rocblas_syrkx_herkx_small_restrict_kernelIl19rocblas_complex_numIfELi16ELb0ELb1ELc84ELc85EKS1_S1_EviT_T0_PT6_S3_lS6_S3_lS4_PT7_S3_li,@function
_ZL41rocblas_syrkx_herkx_small_restrict_kernelIl19rocblas_complex_numIfELi16ELb0ELb1ELc84ELc85EKS1_S1_EviT_T0_PT6_S3_lS6_S3_lS4_PT7_S3_li: ; @_ZL41rocblas_syrkx_herkx_small_restrict_kernelIl19rocblas_complex_numIfELi16ELb0ELb1ELc84ELc85EKS1_S1_EviT_T0_PT6_S3_lS6_S3_lS4_PT7_S3_li
; %bb.0:
	s_load_dwordx16 s[12:27], s[4:5], 0x8
	v_lshl_add_u32 v2, s6, 4, v0
	v_lshl_add_u32 v8, s7, 4, v1
	v_ashrrev_i32_e32 v3, 31, v2
	v_ashrrev_i32_e32 v9, 31, v8
	s_waitcnt lgkmcnt(0)
	v_cmp_lt_i64_e64 s[0:1], s[12:13], 1
	s_and_b64 vcc, exec, s[0:1]
	s_cbranch_vccnz .LBB1279_5
; %bb.1:
	v_lshlrev_b32_e32 v10, 3, v0
	v_mul_lo_u32 v0, s25, v8
	v_mul_lo_u32 v7, s24, v9
	v_mad_u64_u32 v[4:5], s[0:1], s24, v8, 0
	s_mul_i32 s0, s27, s8
	s_mul_hi_u32 s1, s26, s8
	v_add3_u32 v5, v5, v7, v0
	v_lshlrev_b64 v[4:5], 3, v[4:5]
	s_add_i32 s1, s1, s0
	s_mul_i32 s0, s26, s8
	v_lshlrev_b32_e32 v6, 7, v1
	s_lshl_b64 s[0:1], s[0:1], 3
	v_add_u32_e32 v11, v10, v6
	v_add_u32_e32 v12, 0x800, v6
	v_mov_b32_e32 v0, s1
	v_add_co_u32_e32 v4, vcc, s0, v4
	v_mul_lo_u32 v15, s19, v2
	v_mul_lo_u32 v16, s18, v3
	v_mad_u64_u32 v[6:7], s[0:1], s18, v2, 0
	v_addc_co_u32_e32 v0, vcc, v5, v0, vcc
	v_add_co_u32_e32 v4, vcc, v4, v10
	v_addc_co_u32_e32 v0, vcc, 0, v0, vcc
	v_add3_u32 v7, v7, v16, v15
	s_mul_i32 s0, s21, s8
	s_mul_hi_u32 s1, s20, s8
	v_mov_b32_e32 v5, s23
	v_add_co_u32_e32 v4, vcc, s22, v4
	v_lshlrev_b64 v[6:7], 3, v[6:7]
	s_add_i32 s1, s1, s0
	s_mul_i32 s0, s20, s8
	v_addc_co_u32_e32 v5, vcc, v5, v0, vcc
	s_lshl_b64 s[0:1], s[0:1], 3
	v_mov_b32_e32 v0, s1
	v_add_co_u32_e32 v6, vcc, s0, v6
	v_addc_co_u32_e32 v0, vcc, v7, v0, vcc
	v_lshlrev_b32_e32 v1, 3, v1
	v_add_co_u32_e32 v1, vcc, v6, v1
	v_addc_co_u32_e32 v6, vcc, 0, v0, vcc
	v_mov_b32_e32 v7, s17
	v_add_co_u32_e32 v0, vcc, s16, v1
	v_addc_co_u32_e32 v1, vcc, v7, v6, vcc
	v_mov_b32_e32 v6, s12
	v_add_u32_e32 v13, v12, v10
	v_mov_b32_e32 v14, 0
	s_mov_b64 s[0:1], 0
	v_mov_b32_e32 v7, s13
	v_mov_b32_e32 v15, 0
.LBB1279_2:                             ; =>This Inner Loop Header: Depth=1
	global_load_dwordx2 v[16:17], v[0:1], off
	s_add_u32 s0, s0, 16
	s_addc_u32 s1, s1, 0
	s_waitcnt vmcnt(0)
	ds_write_b64 v11, v[16:17]
	global_load_dwordx2 v[16:17], v[4:5], off
	v_add_co_u32_e32 v4, vcc, 0x80, v4
	v_addc_co_u32_e32 v5, vcc, 0, v5, vcc
	v_add_co_u32_e32 v0, vcc, 0x80, v0
	v_addc_co_u32_e32 v1, vcc, 0, v1, vcc
	v_cmp_lt_i64_e32 vcc, s[0:1], v[6:7]
	s_and_b64 vcc, exec, vcc
	s_waitcnt vmcnt(0)
	ds_write_b64 v13, v[16:17]
	s_waitcnt lgkmcnt(0)
	s_barrier
	ds_read2_b64 v[16:19], v10 offset1:16
	ds_read_b128 v[20:23], v12
	ds_read_b128 v[24:27], v12 offset:16
	ds_read_b128 v[28:31], v12 offset:32
	;; [unrolled: 1-line block ×3, first 2 shown]
	s_waitcnt lgkmcnt(3)
	v_mul_f32_e32 v36, v21, v17
	v_mul_f32_e32 v17, v20, v17
	v_fmac_f32_e32 v17, v21, v16
	v_fma_f32 v36, v20, v16, -v36
	v_add_f32_e32 v14, v14, v17
	v_mul_f32_e32 v16, v23, v19
	v_mul_f32_e32 v17, v22, v19
	v_add_f32_e32 v15, v15, v36
	v_fma_f32 v16, v22, v18, -v16
	v_fmac_f32_e32 v17, v23, v18
	v_add_f32_e32 v18, v15, v16
	v_add_f32_e32 v19, v14, v17
	ds_read2_b64 v[14:17], v10 offset0:32 offset1:48
	s_waitcnt lgkmcnt(0)
	v_mul_f32_e32 v20, v25, v15
	v_fma_f32 v20, v24, v14, -v20
	v_mul_f32_e32 v15, v24, v15
	v_fmac_f32_e32 v15, v25, v14
	v_add_f32_e32 v14, v18, v20
	v_mul_f32_e32 v18, v27, v17
	v_mul_f32_e32 v17, v26, v17
	v_add_f32_e32 v15, v19, v15
	v_fma_f32 v18, v26, v16, -v18
	v_fmac_f32_e32 v17, v27, v16
	v_add_f32_e32 v18, v14, v18
	v_add_f32_e32 v19, v15, v17
	ds_read2_b64 v[14:17], v10 offset0:64 offset1:80
	s_waitcnt lgkmcnt(0)
	v_mul_f32_e32 v20, v29, v15
	v_fma_f32 v20, v28, v14, -v20
	v_mul_f32_e32 v15, v28, v15
	v_fmac_f32_e32 v15, v29, v14
	;; [unrolled: 14-line block ×3, first 2 shown]
	v_add_f32_e32 v14, v18, v20
	v_mul_f32_e32 v18, v35, v17
	v_mul_f32_e32 v17, v34, v17
	v_add_f32_e32 v15, v19, v15
	v_fma_f32 v18, v34, v16, -v18
	v_fmac_f32_e32 v17, v35, v16
	v_add_f32_e32 v22, v14, v18
	v_add_f32_e32 v23, v15, v17
	ds_read2_b64 v[14:17], v10 offset0:128 offset1:144
	ds_read_b128 v[18:21], v12 offset:64
	s_waitcnt lgkmcnt(0)
	v_mul_f32_e32 v24, v19, v15
	v_mul_f32_e32 v15, v18, v15
	v_fma_f32 v24, v18, v14, -v24
	v_fmac_f32_e32 v15, v19, v14
	v_mul_f32_e32 v18, v21, v17
	v_mul_f32_e32 v17, v20, v17
	v_add_f32_e32 v14, v22, v24
	v_add_f32_e32 v15, v23, v15
	v_fma_f32 v18, v20, v16, -v18
	v_fmac_f32_e32 v17, v21, v16
	v_add_f32_e32 v22, v14, v18
	v_add_f32_e32 v23, v15, v17
	ds_read2_b64 v[14:17], v10 offset0:160 offset1:176
	ds_read_b128 v[18:21], v12 offset:80
	s_waitcnt lgkmcnt(0)
	v_mul_f32_e32 v24, v19, v15
	v_mul_f32_e32 v15, v18, v15
	v_fma_f32 v24, v18, v14, -v24
	v_fmac_f32_e32 v15, v19, v14
	v_mul_f32_e32 v18, v21, v17
	v_mul_f32_e32 v17, v20, v17
	v_add_f32_e32 v14, v22, v24
	;; [unrolled: 15-line block ×3, first 2 shown]
	v_add_f32_e32 v15, v23, v15
	v_fma_f32 v18, v20, v16, -v18
	v_fmac_f32_e32 v17, v21, v16
	v_add_f32_e32 v22, v14, v18
	v_add_f32_e32 v23, v15, v17
	ds_read2_b64 v[14:17], v10 offset0:224 offset1:240
	ds_read_b128 v[18:21], v12 offset:112
	s_waitcnt lgkmcnt(0)
	s_barrier
	v_mul_f32_e32 v24, v19, v15
	v_mul_f32_e32 v15, v18, v15
	v_fmac_f32_e32 v15, v19, v14
	v_fma_f32 v24, v18, v14, -v24
	v_add_f32_e32 v18, v23, v15
	v_mul_f32_e32 v15, v21, v17
	v_mul_f32_e32 v17, v20, v17
	v_add_f32_e32 v14, v22, v24
	v_fma_f32 v15, v20, v16, -v15
	v_fmac_f32_e32 v17, v21, v16
	v_add_f32_e32 v15, v14, v15
	v_add_f32_e32 v14, v18, v17
	s_cbranch_vccnz .LBB1279_2
; %bb.3:
	s_load_dwordx8 s[16:23], s[4:5], 0x48
	v_cmp_le_i32_e32 vcc, v2, v8
	s_and_saveexec_b64 s[0:1], vcc
	s_cbranch_execnz .LBB1279_6
.LBB1279_4:
	s_endpgm
.LBB1279_5:
	v_mov_b32_e32 v14, 0
	v_mov_b32_e32 v15, 0
	s_load_dwordx8 s[16:23], s[4:5], 0x48
	v_cmp_le_i32_e32 vcc, v2, v8
	s_and_saveexec_b64 s[0:1], vcc
	s_cbranch_execz .LBB1279_4
.LBB1279_6:
	s_waitcnt lgkmcnt(0)
	v_mul_lo_u32 v4, s21, v8
	v_mul_lo_u32 v5, s20, v9
	v_mad_u64_u32 v[0:1], s[2:3], s20, v8, 0
	s_mul_i32 s0, s23, s8
	s_mul_hi_u32 s1, s22, s8
	s_add_i32 s1, s1, s0
	s_mul_i32 s0, s22, s8
	s_lshl_b64 s[0:1], s[0:1], 3
	v_add3_u32 v1, v1, v5, v4
	s_add_u32 s0, s18, s0
	v_lshlrev_b64 v[0:1], 3, v[0:1]
	s_addc_u32 s1, s19, s1
	v_mov_b32_e32 v4, s1
	v_add_co_u32_e32 v5, vcc, s0, v0
	v_addc_co_u32_e32 v4, vcc, v4, v1, vcc
	v_lshlrev_b64 v[0:1], 3, v[2:3]
	v_mul_f32_e32 v6, s14, v14
	v_add_co_u32_e32 v0, vcc, v5, v0
	v_addc_co_u32_e32 v1, vcc, v4, v1, vcc
	global_load_dwordx2 v[3:4], v[0:1], off
	v_mul_f32_e32 v5, s15, v14
	v_fma_f32 v5, v15, s14, -v5
	v_fmac_f32_e32 v6, s15, v15
	v_cmp_eq_u32_e32 vcc, v2, v8
	s_waitcnt vmcnt(0)
	v_mul_f32_e32 v7, s17, v4
	v_mul_f32_e32 v4, s16, v4
	v_fma_f32 v7, v3, s16, -v7
	v_fmac_f32_e32 v4, s17, v3
	v_add_f32_e32 v3, v5, v7
	v_add_f32_e32 v4, v6, v4
	global_store_dwordx2 v[0:1], v[3:4], off
	s_and_b64 exec, exec, vcc
	s_cbranch_execz .LBB1279_4
; %bb.7:
	v_mov_b32_e32 v2, 0
	global_store_dword v[0:1], v2, off offset:4
	s_endpgm
	.section	.rodata,"a",@progbits
	.p2align	6, 0x0
	.amdhsa_kernel _ZL41rocblas_syrkx_herkx_small_restrict_kernelIl19rocblas_complex_numIfELi16ELb0ELb1ELc84ELc85EKS1_S1_EviT_T0_PT6_S3_lS6_S3_lS4_PT7_S3_li
		.amdhsa_group_segment_fixed_size 4096
		.amdhsa_private_segment_fixed_size 0
		.amdhsa_kernarg_size 108
		.amdhsa_user_sgpr_count 6
		.amdhsa_user_sgpr_private_segment_buffer 1
		.amdhsa_user_sgpr_dispatch_ptr 0
		.amdhsa_user_sgpr_queue_ptr 0
		.amdhsa_user_sgpr_kernarg_segment_ptr 1
		.amdhsa_user_sgpr_dispatch_id 0
		.amdhsa_user_sgpr_flat_scratch_init 0
		.amdhsa_user_sgpr_private_segment_size 0
		.amdhsa_uses_dynamic_stack 0
		.amdhsa_system_sgpr_private_segment_wavefront_offset 0
		.amdhsa_system_sgpr_workgroup_id_x 1
		.amdhsa_system_sgpr_workgroup_id_y 1
		.amdhsa_system_sgpr_workgroup_id_z 1
		.amdhsa_system_sgpr_workgroup_info 0
		.amdhsa_system_vgpr_workitem_id 1
		.amdhsa_next_free_vgpr 37
		.amdhsa_next_free_sgpr 28
		.amdhsa_reserve_vcc 1
		.amdhsa_reserve_flat_scratch 0
		.amdhsa_float_round_mode_32 0
		.amdhsa_float_round_mode_16_64 0
		.amdhsa_float_denorm_mode_32 3
		.amdhsa_float_denorm_mode_16_64 3
		.amdhsa_dx10_clamp 1
		.amdhsa_ieee_mode 1
		.amdhsa_fp16_overflow 0
		.amdhsa_exception_fp_ieee_invalid_op 0
		.amdhsa_exception_fp_denorm_src 0
		.amdhsa_exception_fp_ieee_div_zero 0
		.amdhsa_exception_fp_ieee_overflow 0
		.amdhsa_exception_fp_ieee_underflow 0
		.amdhsa_exception_fp_ieee_inexact 0
		.amdhsa_exception_int_div_zero 0
	.end_amdhsa_kernel
	.section	.text._ZL41rocblas_syrkx_herkx_small_restrict_kernelIl19rocblas_complex_numIfELi16ELb0ELb1ELc84ELc85EKS1_S1_EviT_T0_PT6_S3_lS6_S3_lS4_PT7_S3_li,"axG",@progbits,_ZL41rocblas_syrkx_herkx_small_restrict_kernelIl19rocblas_complex_numIfELi16ELb0ELb1ELc84ELc85EKS1_S1_EviT_T0_PT6_S3_lS6_S3_lS4_PT7_S3_li,comdat
.Lfunc_end1279:
	.size	_ZL41rocblas_syrkx_herkx_small_restrict_kernelIl19rocblas_complex_numIfELi16ELb0ELb1ELc84ELc85EKS1_S1_EviT_T0_PT6_S3_lS6_S3_lS4_PT7_S3_li, .Lfunc_end1279-_ZL41rocblas_syrkx_herkx_small_restrict_kernelIl19rocblas_complex_numIfELi16ELb0ELb1ELc84ELc85EKS1_S1_EviT_T0_PT6_S3_lS6_S3_lS4_PT7_S3_li
                                        ; -- End function
	.set _ZL41rocblas_syrkx_herkx_small_restrict_kernelIl19rocblas_complex_numIfELi16ELb0ELb1ELc84ELc85EKS1_S1_EviT_T0_PT6_S3_lS6_S3_lS4_PT7_S3_li.num_vgpr, 37
	.set _ZL41rocblas_syrkx_herkx_small_restrict_kernelIl19rocblas_complex_numIfELi16ELb0ELb1ELc84ELc85EKS1_S1_EviT_T0_PT6_S3_lS6_S3_lS4_PT7_S3_li.num_agpr, 0
	.set _ZL41rocblas_syrkx_herkx_small_restrict_kernelIl19rocblas_complex_numIfELi16ELb0ELb1ELc84ELc85EKS1_S1_EviT_T0_PT6_S3_lS6_S3_lS4_PT7_S3_li.numbered_sgpr, 28
	.set _ZL41rocblas_syrkx_herkx_small_restrict_kernelIl19rocblas_complex_numIfELi16ELb0ELb1ELc84ELc85EKS1_S1_EviT_T0_PT6_S3_lS6_S3_lS4_PT7_S3_li.num_named_barrier, 0
	.set _ZL41rocblas_syrkx_herkx_small_restrict_kernelIl19rocblas_complex_numIfELi16ELb0ELb1ELc84ELc85EKS1_S1_EviT_T0_PT6_S3_lS6_S3_lS4_PT7_S3_li.private_seg_size, 0
	.set _ZL41rocblas_syrkx_herkx_small_restrict_kernelIl19rocblas_complex_numIfELi16ELb0ELb1ELc84ELc85EKS1_S1_EviT_T0_PT6_S3_lS6_S3_lS4_PT7_S3_li.uses_vcc, 1
	.set _ZL41rocblas_syrkx_herkx_small_restrict_kernelIl19rocblas_complex_numIfELi16ELb0ELb1ELc84ELc85EKS1_S1_EviT_T0_PT6_S3_lS6_S3_lS4_PT7_S3_li.uses_flat_scratch, 0
	.set _ZL41rocblas_syrkx_herkx_small_restrict_kernelIl19rocblas_complex_numIfELi16ELb0ELb1ELc84ELc85EKS1_S1_EviT_T0_PT6_S3_lS6_S3_lS4_PT7_S3_li.has_dyn_sized_stack, 0
	.set _ZL41rocblas_syrkx_herkx_small_restrict_kernelIl19rocblas_complex_numIfELi16ELb0ELb1ELc84ELc85EKS1_S1_EviT_T0_PT6_S3_lS6_S3_lS4_PT7_S3_li.has_recursion, 0
	.set _ZL41rocblas_syrkx_herkx_small_restrict_kernelIl19rocblas_complex_numIfELi16ELb0ELb1ELc84ELc85EKS1_S1_EviT_T0_PT6_S3_lS6_S3_lS4_PT7_S3_li.has_indirect_call, 0
	.section	.AMDGPU.csdata,"",@progbits
; Kernel info:
; codeLenInByte = 1236
; TotalNumSgprs: 32
; NumVgprs: 37
; ScratchSize: 0
; MemoryBound: 0
; FloatMode: 240
; IeeeMode: 1
; LDSByteSize: 4096 bytes/workgroup (compile time only)
; SGPRBlocks: 3
; VGPRBlocks: 9
; NumSGPRsForWavesPerEU: 32
; NumVGPRsForWavesPerEU: 37
; Occupancy: 6
; WaveLimiterHint : 0
; COMPUTE_PGM_RSRC2:SCRATCH_EN: 0
; COMPUTE_PGM_RSRC2:USER_SGPR: 6
; COMPUTE_PGM_RSRC2:TRAP_HANDLER: 0
; COMPUTE_PGM_RSRC2:TGID_X_EN: 1
; COMPUTE_PGM_RSRC2:TGID_Y_EN: 1
; COMPUTE_PGM_RSRC2:TGID_Z_EN: 1
; COMPUTE_PGM_RSRC2:TIDIG_COMP_CNT: 1
	.section	.text._ZL41rocblas_syrkx_herkx_small_restrict_kernelIl19rocblas_complex_numIfELi16ELb0ELb1ELc67ELc85EKS1_S1_EviT_T0_PT6_S3_lS6_S3_lS4_PT7_S3_li,"axG",@progbits,_ZL41rocblas_syrkx_herkx_small_restrict_kernelIl19rocblas_complex_numIfELi16ELb0ELb1ELc67ELc85EKS1_S1_EviT_T0_PT6_S3_lS6_S3_lS4_PT7_S3_li,comdat
	.globl	_ZL41rocblas_syrkx_herkx_small_restrict_kernelIl19rocblas_complex_numIfELi16ELb0ELb1ELc67ELc85EKS1_S1_EviT_T0_PT6_S3_lS6_S3_lS4_PT7_S3_li ; -- Begin function _ZL41rocblas_syrkx_herkx_small_restrict_kernelIl19rocblas_complex_numIfELi16ELb0ELb1ELc67ELc85EKS1_S1_EviT_T0_PT6_S3_lS6_S3_lS4_PT7_S3_li
	.p2align	8
	.type	_ZL41rocblas_syrkx_herkx_small_restrict_kernelIl19rocblas_complex_numIfELi16ELb0ELb1ELc67ELc85EKS1_S1_EviT_T0_PT6_S3_lS6_S3_lS4_PT7_S3_li,@function
_ZL41rocblas_syrkx_herkx_small_restrict_kernelIl19rocblas_complex_numIfELi16ELb0ELb1ELc67ELc85EKS1_S1_EviT_T0_PT6_S3_lS6_S3_lS4_PT7_S3_li: ; @_ZL41rocblas_syrkx_herkx_small_restrict_kernelIl19rocblas_complex_numIfELi16ELb0ELb1ELc67ELc85EKS1_S1_EviT_T0_PT6_S3_lS6_S3_lS4_PT7_S3_li
; %bb.0:
	s_load_dwordx16 s[12:27], s[4:5], 0x8
	v_lshl_add_u32 v2, s6, 4, v0
	v_lshl_add_u32 v8, s7, 4, v1
	v_ashrrev_i32_e32 v3, 31, v2
	v_ashrrev_i32_e32 v9, 31, v8
	s_waitcnt lgkmcnt(0)
	v_cmp_lt_i64_e64 s[0:1], s[12:13], 1
	s_and_b64 vcc, exec, s[0:1]
	s_cbranch_vccnz .LBB1280_5
; %bb.1:
	v_lshlrev_b32_e32 v10, 3, v0
	v_mul_lo_u32 v0, s25, v8
	v_mul_lo_u32 v7, s24, v9
	v_mad_u64_u32 v[4:5], s[0:1], s24, v8, 0
	s_mul_i32 s0, s27, s8
	s_mul_hi_u32 s1, s26, s8
	v_add3_u32 v5, v5, v7, v0
	v_lshlrev_b64 v[4:5], 3, v[4:5]
	s_add_i32 s1, s1, s0
	s_mul_i32 s0, s26, s8
	v_lshlrev_b32_e32 v6, 7, v1
	s_lshl_b64 s[0:1], s[0:1], 3
	v_add_u32_e32 v11, v10, v6
	v_add_u32_e32 v12, 0x800, v6
	v_mov_b32_e32 v0, s1
	v_add_co_u32_e32 v4, vcc, s0, v4
	v_mul_lo_u32 v15, s19, v2
	v_mul_lo_u32 v16, s18, v3
	v_mad_u64_u32 v[6:7], s[0:1], s18, v2, 0
	v_addc_co_u32_e32 v0, vcc, v5, v0, vcc
	v_add_co_u32_e32 v4, vcc, v4, v10
	v_addc_co_u32_e32 v0, vcc, 0, v0, vcc
	v_add3_u32 v7, v7, v16, v15
	s_mul_i32 s0, s21, s8
	s_mul_hi_u32 s1, s20, s8
	v_mov_b32_e32 v5, s23
	v_add_co_u32_e32 v4, vcc, s22, v4
	v_lshlrev_b64 v[6:7], 3, v[6:7]
	s_add_i32 s1, s1, s0
	s_mul_i32 s0, s20, s8
	v_addc_co_u32_e32 v5, vcc, v5, v0, vcc
	s_lshl_b64 s[0:1], s[0:1], 3
	v_mov_b32_e32 v0, s1
	v_add_co_u32_e32 v6, vcc, s0, v6
	v_addc_co_u32_e32 v0, vcc, v7, v0, vcc
	v_lshlrev_b32_e32 v1, 3, v1
	v_add_co_u32_e32 v1, vcc, v6, v1
	v_addc_co_u32_e32 v0, vcc, 0, v0, vcc
	v_mov_b32_e32 v6, s17
	v_add_co_u32_e32 v1, vcc, s16, v1
	v_addc_co_u32_e32 v6, vcc, v6, v0, vcc
	v_add_co_u32_e32 v0, vcc, 4, v1
	v_addc_co_u32_e32 v1, vcc, 0, v6, vcc
	v_mov_b32_e32 v6, s12
	v_add_u32_e32 v13, v12, v10
	v_mov_b32_e32 v14, 0
	s_mov_b64 s[0:1], 0
	v_mov_b32_e32 v7, s13
	v_mov_b32_e32 v15, 0
.LBB1280_2:                             ; =>This Inner Loop Header: Depth=1
	global_load_dwordx2 v[16:17], v[0:1], off offset:-4
	s_add_u32 s0, s0, 16
	s_addc_u32 s1, s1, 0
	s_waitcnt vmcnt(0)
	v_xor_b32_e32 v17, 0x80000000, v17
	ds_write_b64 v11, v[16:17]
	global_load_dwordx2 v[16:17], v[4:5], off
	v_add_co_u32_e32 v4, vcc, 0x80, v4
	v_addc_co_u32_e32 v5, vcc, 0, v5, vcc
	v_add_co_u32_e32 v0, vcc, 0x80, v0
	v_addc_co_u32_e32 v1, vcc, 0, v1, vcc
	v_cmp_lt_i64_e32 vcc, s[0:1], v[6:7]
	s_and_b64 vcc, exec, vcc
	s_waitcnt vmcnt(0)
	ds_write_b64 v13, v[16:17]
	s_waitcnt lgkmcnt(0)
	s_barrier
	ds_read2_b64 v[16:19], v10 offset1:16
	ds_read_b128 v[20:23], v12
	ds_read_b128 v[24:27], v12 offset:16
	ds_read_b128 v[28:31], v12 offset:32
	ds_read_b128 v[32:35], v12 offset:48
	s_waitcnt lgkmcnt(3)
	v_mul_f32_e32 v36, v21, v17
	v_mul_f32_e32 v17, v20, v17
	v_fmac_f32_e32 v17, v21, v16
	v_fma_f32 v36, v20, v16, -v36
	v_add_f32_e32 v14, v14, v17
	v_mul_f32_e32 v16, v23, v19
	v_mul_f32_e32 v17, v22, v19
	v_add_f32_e32 v15, v15, v36
	v_fma_f32 v16, v22, v18, -v16
	v_fmac_f32_e32 v17, v23, v18
	v_add_f32_e32 v18, v15, v16
	v_add_f32_e32 v19, v14, v17
	ds_read2_b64 v[14:17], v10 offset0:32 offset1:48
	s_waitcnt lgkmcnt(0)
	v_mul_f32_e32 v20, v25, v15
	v_fma_f32 v20, v24, v14, -v20
	v_mul_f32_e32 v15, v24, v15
	v_fmac_f32_e32 v15, v25, v14
	v_add_f32_e32 v14, v18, v20
	v_mul_f32_e32 v18, v27, v17
	v_mul_f32_e32 v17, v26, v17
	v_add_f32_e32 v15, v19, v15
	v_fma_f32 v18, v26, v16, -v18
	v_fmac_f32_e32 v17, v27, v16
	v_add_f32_e32 v18, v14, v18
	v_add_f32_e32 v19, v15, v17
	ds_read2_b64 v[14:17], v10 offset0:64 offset1:80
	s_waitcnt lgkmcnt(0)
	v_mul_f32_e32 v20, v29, v15
	v_fma_f32 v20, v28, v14, -v20
	v_mul_f32_e32 v15, v28, v15
	v_fmac_f32_e32 v15, v29, v14
	;; [unrolled: 14-line block ×3, first 2 shown]
	v_add_f32_e32 v14, v18, v20
	v_mul_f32_e32 v18, v35, v17
	v_mul_f32_e32 v17, v34, v17
	v_add_f32_e32 v15, v19, v15
	v_fma_f32 v18, v34, v16, -v18
	v_fmac_f32_e32 v17, v35, v16
	v_add_f32_e32 v22, v14, v18
	v_add_f32_e32 v23, v15, v17
	ds_read2_b64 v[14:17], v10 offset0:128 offset1:144
	ds_read_b128 v[18:21], v12 offset:64
	s_waitcnt lgkmcnt(0)
	v_mul_f32_e32 v24, v19, v15
	v_mul_f32_e32 v15, v18, v15
	v_fma_f32 v24, v18, v14, -v24
	v_fmac_f32_e32 v15, v19, v14
	v_mul_f32_e32 v18, v21, v17
	v_mul_f32_e32 v17, v20, v17
	v_add_f32_e32 v14, v22, v24
	v_add_f32_e32 v15, v23, v15
	v_fma_f32 v18, v20, v16, -v18
	v_fmac_f32_e32 v17, v21, v16
	v_add_f32_e32 v22, v14, v18
	v_add_f32_e32 v23, v15, v17
	ds_read2_b64 v[14:17], v10 offset0:160 offset1:176
	ds_read_b128 v[18:21], v12 offset:80
	s_waitcnt lgkmcnt(0)
	v_mul_f32_e32 v24, v19, v15
	v_mul_f32_e32 v15, v18, v15
	v_fma_f32 v24, v18, v14, -v24
	v_fmac_f32_e32 v15, v19, v14
	v_mul_f32_e32 v18, v21, v17
	v_mul_f32_e32 v17, v20, v17
	v_add_f32_e32 v14, v22, v24
	;; [unrolled: 15-line block ×3, first 2 shown]
	v_add_f32_e32 v15, v23, v15
	v_fma_f32 v18, v20, v16, -v18
	v_fmac_f32_e32 v17, v21, v16
	v_add_f32_e32 v22, v14, v18
	v_add_f32_e32 v23, v15, v17
	ds_read2_b64 v[14:17], v10 offset0:224 offset1:240
	ds_read_b128 v[18:21], v12 offset:112
	s_waitcnt lgkmcnt(0)
	s_barrier
	v_mul_f32_e32 v24, v19, v15
	v_mul_f32_e32 v15, v18, v15
	v_fmac_f32_e32 v15, v19, v14
	v_fma_f32 v24, v18, v14, -v24
	v_add_f32_e32 v18, v23, v15
	v_mul_f32_e32 v15, v21, v17
	v_mul_f32_e32 v17, v20, v17
	v_add_f32_e32 v14, v22, v24
	v_fma_f32 v15, v20, v16, -v15
	v_fmac_f32_e32 v17, v21, v16
	v_add_f32_e32 v15, v14, v15
	v_add_f32_e32 v14, v18, v17
	s_cbranch_vccnz .LBB1280_2
; %bb.3:
	s_load_dwordx8 s[16:23], s[4:5], 0x48
	v_cmp_le_i32_e32 vcc, v2, v8
	s_and_saveexec_b64 s[0:1], vcc
	s_cbranch_execnz .LBB1280_6
.LBB1280_4:
	s_endpgm
.LBB1280_5:
	v_mov_b32_e32 v14, 0
	v_mov_b32_e32 v15, 0
	s_load_dwordx8 s[16:23], s[4:5], 0x48
	v_cmp_le_i32_e32 vcc, v2, v8
	s_and_saveexec_b64 s[0:1], vcc
	s_cbranch_execz .LBB1280_4
.LBB1280_6:
	s_waitcnt lgkmcnt(0)
	v_mul_lo_u32 v4, s21, v8
	v_mul_lo_u32 v5, s20, v9
	v_mad_u64_u32 v[0:1], s[2:3], s20, v8, 0
	s_mul_i32 s0, s23, s8
	s_mul_hi_u32 s1, s22, s8
	s_add_i32 s1, s1, s0
	s_mul_i32 s0, s22, s8
	s_lshl_b64 s[0:1], s[0:1], 3
	v_add3_u32 v1, v1, v5, v4
	s_add_u32 s0, s18, s0
	v_lshlrev_b64 v[0:1], 3, v[0:1]
	s_addc_u32 s1, s19, s1
	v_mov_b32_e32 v4, s1
	v_add_co_u32_e32 v5, vcc, s0, v0
	v_addc_co_u32_e32 v4, vcc, v4, v1, vcc
	v_lshlrev_b64 v[0:1], 3, v[2:3]
	v_mul_f32_e32 v6, s14, v14
	v_add_co_u32_e32 v0, vcc, v5, v0
	v_addc_co_u32_e32 v1, vcc, v4, v1, vcc
	global_load_dwordx2 v[3:4], v[0:1], off
	v_mul_f32_e32 v5, s15, v14
	v_fma_f32 v5, v15, s14, -v5
	v_fmac_f32_e32 v6, s15, v15
	v_cmp_eq_u32_e32 vcc, v2, v8
	s_waitcnt vmcnt(0)
	v_mul_f32_e32 v7, s17, v4
	v_mul_f32_e32 v4, s16, v4
	v_fma_f32 v7, v3, s16, -v7
	v_fmac_f32_e32 v4, s17, v3
	v_add_f32_e32 v3, v5, v7
	v_add_f32_e32 v4, v6, v4
	global_store_dwordx2 v[0:1], v[3:4], off
	s_and_b64 exec, exec, vcc
	s_cbranch_execz .LBB1280_4
; %bb.7:
	v_mov_b32_e32 v2, 0
	global_store_dword v[0:1], v2, off offset:4
	s_endpgm
	.section	.rodata,"a",@progbits
	.p2align	6, 0x0
	.amdhsa_kernel _ZL41rocblas_syrkx_herkx_small_restrict_kernelIl19rocblas_complex_numIfELi16ELb0ELb1ELc67ELc85EKS1_S1_EviT_T0_PT6_S3_lS6_S3_lS4_PT7_S3_li
		.amdhsa_group_segment_fixed_size 4096
		.amdhsa_private_segment_fixed_size 0
		.amdhsa_kernarg_size 108
		.amdhsa_user_sgpr_count 6
		.amdhsa_user_sgpr_private_segment_buffer 1
		.amdhsa_user_sgpr_dispatch_ptr 0
		.amdhsa_user_sgpr_queue_ptr 0
		.amdhsa_user_sgpr_kernarg_segment_ptr 1
		.amdhsa_user_sgpr_dispatch_id 0
		.amdhsa_user_sgpr_flat_scratch_init 0
		.amdhsa_user_sgpr_private_segment_size 0
		.amdhsa_uses_dynamic_stack 0
		.amdhsa_system_sgpr_private_segment_wavefront_offset 0
		.amdhsa_system_sgpr_workgroup_id_x 1
		.amdhsa_system_sgpr_workgroup_id_y 1
		.amdhsa_system_sgpr_workgroup_id_z 1
		.amdhsa_system_sgpr_workgroup_info 0
		.amdhsa_system_vgpr_workitem_id 1
		.amdhsa_next_free_vgpr 37
		.amdhsa_next_free_sgpr 28
		.amdhsa_reserve_vcc 1
		.amdhsa_reserve_flat_scratch 0
		.amdhsa_float_round_mode_32 0
		.amdhsa_float_round_mode_16_64 0
		.amdhsa_float_denorm_mode_32 3
		.amdhsa_float_denorm_mode_16_64 3
		.amdhsa_dx10_clamp 1
		.amdhsa_ieee_mode 1
		.amdhsa_fp16_overflow 0
		.amdhsa_exception_fp_ieee_invalid_op 0
		.amdhsa_exception_fp_denorm_src 0
		.amdhsa_exception_fp_ieee_div_zero 0
		.amdhsa_exception_fp_ieee_overflow 0
		.amdhsa_exception_fp_ieee_underflow 0
		.amdhsa_exception_fp_ieee_inexact 0
		.amdhsa_exception_int_div_zero 0
	.end_amdhsa_kernel
	.section	.text._ZL41rocblas_syrkx_herkx_small_restrict_kernelIl19rocblas_complex_numIfELi16ELb0ELb1ELc67ELc85EKS1_S1_EviT_T0_PT6_S3_lS6_S3_lS4_PT7_S3_li,"axG",@progbits,_ZL41rocblas_syrkx_herkx_small_restrict_kernelIl19rocblas_complex_numIfELi16ELb0ELb1ELc67ELc85EKS1_S1_EviT_T0_PT6_S3_lS6_S3_lS4_PT7_S3_li,comdat
.Lfunc_end1280:
	.size	_ZL41rocblas_syrkx_herkx_small_restrict_kernelIl19rocblas_complex_numIfELi16ELb0ELb1ELc67ELc85EKS1_S1_EviT_T0_PT6_S3_lS6_S3_lS4_PT7_S3_li, .Lfunc_end1280-_ZL41rocblas_syrkx_herkx_small_restrict_kernelIl19rocblas_complex_numIfELi16ELb0ELb1ELc67ELc85EKS1_S1_EviT_T0_PT6_S3_lS6_S3_lS4_PT7_S3_li
                                        ; -- End function
	.set _ZL41rocblas_syrkx_herkx_small_restrict_kernelIl19rocblas_complex_numIfELi16ELb0ELb1ELc67ELc85EKS1_S1_EviT_T0_PT6_S3_lS6_S3_lS4_PT7_S3_li.num_vgpr, 37
	.set _ZL41rocblas_syrkx_herkx_small_restrict_kernelIl19rocblas_complex_numIfELi16ELb0ELb1ELc67ELc85EKS1_S1_EviT_T0_PT6_S3_lS6_S3_lS4_PT7_S3_li.num_agpr, 0
	.set _ZL41rocblas_syrkx_herkx_small_restrict_kernelIl19rocblas_complex_numIfELi16ELb0ELb1ELc67ELc85EKS1_S1_EviT_T0_PT6_S3_lS6_S3_lS4_PT7_S3_li.numbered_sgpr, 28
	.set _ZL41rocblas_syrkx_herkx_small_restrict_kernelIl19rocblas_complex_numIfELi16ELb0ELb1ELc67ELc85EKS1_S1_EviT_T0_PT6_S3_lS6_S3_lS4_PT7_S3_li.num_named_barrier, 0
	.set _ZL41rocblas_syrkx_herkx_small_restrict_kernelIl19rocblas_complex_numIfELi16ELb0ELb1ELc67ELc85EKS1_S1_EviT_T0_PT6_S3_lS6_S3_lS4_PT7_S3_li.private_seg_size, 0
	.set _ZL41rocblas_syrkx_herkx_small_restrict_kernelIl19rocblas_complex_numIfELi16ELb0ELb1ELc67ELc85EKS1_S1_EviT_T0_PT6_S3_lS6_S3_lS4_PT7_S3_li.uses_vcc, 1
	.set _ZL41rocblas_syrkx_herkx_small_restrict_kernelIl19rocblas_complex_numIfELi16ELb0ELb1ELc67ELc85EKS1_S1_EviT_T0_PT6_S3_lS6_S3_lS4_PT7_S3_li.uses_flat_scratch, 0
	.set _ZL41rocblas_syrkx_herkx_small_restrict_kernelIl19rocblas_complex_numIfELi16ELb0ELb1ELc67ELc85EKS1_S1_EviT_T0_PT6_S3_lS6_S3_lS4_PT7_S3_li.has_dyn_sized_stack, 0
	.set _ZL41rocblas_syrkx_herkx_small_restrict_kernelIl19rocblas_complex_numIfELi16ELb0ELb1ELc67ELc85EKS1_S1_EviT_T0_PT6_S3_lS6_S3_lS4_PT7_S3_li.has_recursion, 0
	.set _ZL41rocblas_syrkx_herkx_small_restrict_kernelIl19rocblas_complex_numIfELi16ELb0ELb1ELc67ELc85EKS1_S1_EviT_T0_PT6_S3_lS6_S3_lS4_PT7_S3_li.has_indirect_call, 0
	.section	.AMDGPU.csdata,"",@progbits
; Kernel info:
; codeLenInByte = 1252
; TotalNumSgprs: 32
; NumVgprs: 37
; ScratchSize: 0
; MemoryBound: 0
; FloatMode: 240
; IeeeMode: 1
; LDSByteSize: 4096 bytes/workgroup (compile time only)
; SGPRBlocks: 3
; VGPRBlocks: 9
; NumSGPRsForWavesPerEU: 32
; NumVGPRsForWavesPerEU: 37
; Occupancy: 6
; WaveLimiterHint : 0
; COMPUTE_PGM_RSRC2:SCRATCH_EN: 0
; COMPUTE_PGM_RSRC2:USER_SGPR: 6
; COMPUTE_PGM_RSRC2:TRAP_HANDLER: 0
; COMPUTE_PGM_RSRC2:TGID_X_EN: 1
; COMPUTE_PGM_RSRC2:TGID_Y_EN: 1
; COMPUTE_PGM_RSRC2:TGID_Z_EN: 1
; COMPUTE_PGM_RSRC2:TIDIG_COMP_CNT: 1
	.section	.text._ZL41rocblas_syrkx_herkx_small_restrict_kernelIl19rocblas_complex_numIfELi16ELb0ELb1ELc78ELc85EKS1_S1_EviT_T0_PT6_S3_lS6_S3_lS4_PT7_S3_li,"axG",@progbits,_ZL41rocblas_syrkx_herkx_small_restrict_kernelIl19rocblas_complex_numIfELi16ELb0ELb1ELc78ELc85EKS1_S1_EviT_T0_PT6_S3_lS6_S3_lS4_PT7_S3_li,comdat
	.globl	_ZL41rocblas_syrkx_herkx_small_restrict_kernelIl19rocblas_complex_numIfELi16ELb0ELb1ELc78ELc85EKS1_S1_EviT_T0_PT6_S3_lS6_S3_lS4_PT7_S3_li ; -- Begin function _ZL41rocblas_syrkx_herkx_small_restrict_kernelIl19rocblas_complex_numIfELi16ELb0ELb1ELc78ELc85EKS1_S1_EviT_T0_PT6_S3_lS6_S3_lS4_PT7_S3_li
	.p2align	8
	.type	_ZL41rocblas_syrkx_herkx_small_restrict_kernelIl19rocblas_complex_numIfELi16ELb0ELb1ELc78ELc85EKS1_S1_EviT_T0_PT6_S3_lS6_S3_lS4_PT7_S3_li,@function
_ZL41rocblas_syrkx_herkx_small_restrict_kernelIl19rocblas_complex_numIfELi16ELb0ELb1ELc78ELc85EKS1_S1_EviT_T0_PT6_S3_lS6_S3_lS4_PT7_S3_li: ; @_ZL41rocblas_syrkx_herkx_small_restrict_kernelIl19rocblas_complex_numIfELi16ELb0ELb1ELc78ELc85EKS1_S1_EviT_T0_PT6_S3_lS6_S3_lS4_PT7_S3_li
; %bb.0:
	s_load_dwordx16 s[12:27], s[4:5], 0x8
	v_lshl_add_u32 v2, s6, 4, v0
	v_lshl_add_u32 v4, s7, 4, v1
	v_ashrrev_i32_e32 v3, 31, v2
	v_ashrrev_i32_e32 v5, 31, v4
	s_waitcnt lgkmcnt(0)
	v_cmp_lt_i64_e64 s[0:1], s[12:13], 1
	s_and_b64 vcc, exec, s[0:1]
	s_cbranch_vccnz .LBB1281_5
; %bb.1:
	v_lshlrev_b32_e32 v6, 7, v1
	v_lshlrev_b32_e32 v10, 3, v0
	v_add_u32_e32 v11, v10, v6
	v_add_u32_e32 v12, 0x800, v6
	v_mad_u64_u32 v[6:7], s[0:1], s24, v0, 0
	s_mul_i32 s2, s27, s8
	s_mul_hi_u32 s3, s26, s8
	v_mad_u64_u32 v[7:8], s[0:1], s25, v0, v[7:8]
	s_add_i32 s1, s3, s2
	s_mul_i32 s0, s26, s8
	v_lshlrev_b64 v[6:7], 3, v[6:7]
	s_lshl_b64 s[0:1], s[0:1], 3
	v_mov_b32_e32 v0, s1
	v_add_co_u32_e32 v8, vcc, s0, v6
	v_addc_co_u32_e32 v0, vcc, v0, v7, vcc
	v_lshlrev_b64 v[6:7], 3, v[4:5]
	s_mul_i32 s6, s21, s8
	v_add_co_u32_e32 v6, vcc, v8, v6
	v_addc_co_u32_e32 v0, vcc, v0, v7, vcc
	v_mad_u64_u32 v[8:9], s[0:1], s18, v1, 0
	v_mov_b32_e32 v7, s23
	v_add_co_u32_e32 v6, vcc, s22, v6
	v_addc_co_u32_e32 v0, vcc, v7, v0, vcc
	v_add_co_u32_e32 v6, vcc, 4, v6
	v_addc_co_u32_e32 v7, vcc, 0, v0, vcc
	v_mov_b32_e32 v0, v9
	v_mad_u64_u32 v[0:1], s[2:3], s19, v1, v[0:1]
	s_mul_hi_u32 s7, s20, s8
	s_add_i32 s3, s7, s6
	v_mov_b32_e32 v9, v0
	s_mul_i32 s2, s20, s8
	v_lshlrev_b64 v[0:1], 3, v[8:9]
	s_lshl_b64 s[2:3], s[2:3], 3
	v_mov_b32_e32 v8, s3
	v_add_co_u32_e32 v9, vcc, s2, v0
	v_addc_co_u32_e32 v8, vcc, v8, v1, vcc
	v_lshlrev_b64 v[0:1], 3, v[2:3]
	s_lshl_b64 s[0:1], s[24:25], 7
	v_add_co_u32_e32 v0, vcc, v9, v0
	v_addc_co_u32_e32 v1, vcc, v8, v1, vcc
	v_mov_b32_e32 v8, s17
	v_add_co_u32_e32 v0, vcc, s16, v0
	v_addc_co_u32_e32 v1, vcc, v8, v1, vcc
	s_lshl_b64 s[2:3], s[18:19], 7
	v_mov_b32_e32 v8, s12
	v_add_u32_e32 v13, v12, v10
	v_mov_b32_e32 v16, 0
	s_mov_b64 s[6:7], 0
	v_mov_b32_e32 v14, s1
	v_mov_b32_e32 v15, s3
	;; [unrolled: 1-line block ×4, first 2 shown]
.LBB1281_2:                             ; =>This Inner Loop Header: Depth=1
	global_load_dwordx2 v[18:19], v[0:1], off
	s_add_u32 s6, s6, 16
	s_addc_u32 s7, s7, 0
	s_waitcnt vmcnt(0)
	ds_write_b64 v11, v[18:19]
	global_load_dwordx2 v[18:19], v[6:7], off offset:-4
	v_add_co_u32_e32 v6, vcc, s0, v6
	v_addc_co_u32_e32 v7, vcc, v7, v14, vcc
	v_add_co_u32_e32 v0, vcc, s2, v0
	v_addc_co_u32_e32 v1, vcc, v1, v15, vcc
	v_cmp_lt_i64_e32 vcc, s[6:7], v[8:9]
	s_and_b64 vcc, exec, vcc
	s_waitcnt vmcnt(0)
	v_xor_b32_e32 v19, 0x80000000, v19
	ds_write_b64 v13, v[18:19]
	s_waitcnt lgkmcnt(0)
	s_barrier
	ds_read2_b64 v[18:21], v10 offset1:16
	ds_read_b128 v[22:25], v12
	ds_read_b128 v[26:29], v12 offset:16
	ds_read_b128 v[30:33], v12 offset:32
	;; [unrolled: 1-line block ×3, first 2 shown]
	s_waitcnt lgkmcnt(3)
	v_mul_f32_e32 v38, v23, v19
	v_mul_f32_e32 v19, v22, v19
	v_fmac_f32_e32 v19, v23, v18
	v_fma_f32 v38, v22, v18, -v38
	v_add_f32_e32 v16, v16, v19
	v_mul_f32_e32 v18, v25, v21
	v_mul_f32_e32 v19, v24, v21
	v_add_f32_e32 v17, v17, v38
	v_fma_f32 v18, v24, v20, -v18
	v_fmac_f32_e32 v19, v25, v20
	v_add_f32_e32 v20, v17, v18
	v_add_f32_e32 v21, v16, v19
	ds_read2_b64 v[16:19], v10 offset0:32 offset1:48
	s_waitcnt lgkmcnt(0)
	v_mul_f32_e32 v22, v27, v17
	v_fma_f32 v22, v26, v16, -v22
	v_mul_f32_e32 v17, v26, v17
	v_fmac_f32_e32 v17, v27, v16
	v_add_f32_e32 v16, v20, v22
	v_mul_f32_e32 v20, v29, v19
	v_mul_f32_e32 v19, v28, v19
	v_add_f32_e32 v17, v21, v17
	v_fma_f32 v20, v28, v18, -v20
	v_fmac_f32_e32 v19, v29, v18
	v_add_f32_e32 v20, v16, v20
	v_add_f32_e32 v21, v17, v19
	ds_read2_b64 v[16:19], v10 offset0:64 offset1:80
	s_waitcnt lgkmcnt(0)
	v_mul_f32_e32 v22, v31, v17
	v_fma_f32 v22, v30, v16, -v22
	v_mul_f32_e32 v17, v30, v17
	v_fmac_f32_e32 v17, v31, v16
	;; [unrolled: 14-line block ×3, first 2 shown]
	v_add_f32_e32 v16, v20, v22
	v_mul_f32_e32 v20, v37, v19
	v_mul_f32_e32 v19, v36, v19
	v_add_f32_e32 v17, v21, v17
	v_fma_f32 v20, v36, v18, -v20
	v_fmac_f32_e32 v19, v37, v18
	v_add_f32_e32 v24, v16, v20
	v_add_f32_e32 v25, v17, v19
	ds_read2_b64 v[16:19], v10 offset0:128 offset1:144
	ds_read_b128 v[20:23], v12 offset:64
	s_waitcnt lgkmcnt(0)
	v_mul_f32_e32 v26, v21, v17
	v_mul_f32_e32 v17, v20, v17
	v_fma_f32 v26, v20, v16, -v26
	v_fmac_f32_e32 v17, v21, v16
	v_mul_f32_e32 v20, v23, v19
	v_mul_f32_e32 v19, v22, v19
	v_add_f32_e32 v16, v24, v26
	v_add_f32_e32 v17, v25, v17
	v_fma_f32 v20, v22, v18, -v20
	v_fmac_f32_e32 v19, v23, v18
	v_add_f32_e32 v24, v16, v20
	v_add_f32_e32 v25, v17, v19
	ds_read2_b64 v[16:19], v10 offset0:160 offset1:176
	ds_read_b128 v[20:23], v12 offset:80
	s_waitcnt lgkmcnt(0)
	v_mul_f32_e32 v26, v21, v17
	v_mul_f32_e32 v17, v20, v17
	v_fma_f32 v26, v20, v16, -v26
	v_fmac_f32_e32 v17, v21, v16
	v_mul_f32_e32 v20, v23, v19
	v_mul_f32_e32 v19, v22, v19
	v_add_f32_e32 v16, v24, v26
	;; [unrolled: 15-line block ×3, first 2 shown]
	v_add_f32_e32 v17, v25, v17
	v_fma_f32 v20, v22, v18, -v20
	v_fmac_f32_e32 v19, v23, v18
	v_add_f32_e32 v24, v16, v20
	v_add_f32_e32 v25, v17, v19
	ds_read2_b64 v[16:19], v10 offset0:224 offset1:240
	ds_read_b128 v[20:23], v12 offset:112
	s_waitcnt lgkmcnt(0)
	s_barrier
	v_mul_f32_e32 v26, v21, v17
	v_mul_f32_e32 v17, v20, v17
	v_fmac_f32_e32 v17, v21, v16
	v_fma_f32 v26, v20, v16, -v26
	v_add_f32_e32 v20, v25, v17
	v_mul_f32_e32 v17, v23, v19
	v_mul_f32_e32 v19, v22, v19
	v_add_f32_e32 v16, v24, v26
	v_fma_f32 v17, v22, v18, -v17
	v_fmac_f32_e32 v19, v23, v18
	v_add_f32_e32 v17, v16, v17
	v_add_f32_e32 v16, v20, v19
	s_cbranch_vccnz .LBB1281_2
; %bb.3:
	s_load_dwordx8 s[16:23], s[4:5], 0x48
	v_cmp_le_i32_e32 vcc, v2, v4
	s_and_saveexec_b64 s[0:1], vcc
	s_cbranch_execnz .LBB1281_6
.LBB1281_4:
	s_endpgm
.LBB1281_5:
	v_mov_b32_e32 v16, 0
	v_mov_b32_e32 v17, 0
	s_load_dwordx8 s[16:23], s[4:5], 0x48
	v_cmp_le_i32_e32 vcc, v2, v4
	s_and_saveexec_b64 s[0:1], vcc
	s_cbranch_execz .LBB1281_4
.LBB1281_6:
	s_waitcnt lgkmcnt(0)
	v_mul_lo_u32 v6, s21, v4
	v_mul_lo_u32 v5, s20, v5
	v_mad_u64_u32 v[0:1], s[2:3], s20, v4, 0
	s_mul_i32 s0, s23, s8
	s_mul_hi_u32 s1, s22, s8
	s_add_i32 s1, s1, s0
	s_mul_i32 s0, s22, s8
	s_lshl_b64 s[0:1], s[0:1], 3
	v_add3_u32 v1, v1, v5, v6
	s_add_u32 s0, s18, s0
	v_lshlrev_b64 v[0:1], 3, v[0:1]
	s_addc_u32 s1, s19, s1
	v_mov_b32_e32 v5, s1
	v_add_co_u32_e32 v6, vcc, s0, v0
	v_addc_co_u32_e32 v5, vcc, v5, v1, vcc
	v_lshlrev_b64 v[0:1], 3, v[2:3]
	v_mul_f32_e32 v3, s15, v16
	v_add_co_u32_e32 v0, vcc, v6, v0
	v_addc_co_u32_e32 v1, vcc, v5, v1, vcc
	global_load_dwordx2 v[5:6], v[0:1], off
	v_mul_f32_e32 v7, s14, v16
	v_fma_f32 v3, v17, s14, -v3
	v_fmac_f32_e32 v7, s15, v17
	v_cmp_eq_u32_e32 vcc, v2, v4
	s_waitcnt vmcnt(0)
	v_mul_f32_e32 v8, s17, v6
	v_mul_f32_e32 v6, s16, v6
	v_fma_f32 v8, v5, s16, -v8
	v_fmac_f32_e32 v6, s17, v5
	v_add_f32_e32 v5, v3, v8
	v_add_f32_e32 v6, v7, v6
	global_store_dwordx2 v[0:1], v[5:6], off
	s_and_b64 exec, exec, vcc
	s_cbranch_execz .LBB1281_4
; %bb.7:
	v_mov_b32_e32 v2, 0
	global_store_dword v[0:1], v2, off offset:4
	s_endpgm
	.section	.rodata,"a",@progbits
	.p2align	6, 0x0
	.amdhsa_kernel _ZL41rocblas_syrkx_herkx_small_restrict_kernelIl19rocblas_complex_numIfELi16ELb0ELb1ELc78ELc85EKS1_S1_EviT_T0_PT6_S3_lS6_S3_lS4_PT7_S3_li
		.amdhsa_group_segment_fixed_size 4096
		.amdhsa_private_segment_fixed_size 0
		.amdhsa_kernarg_size 108
		.amdhsa_user_sgpr_count 6
		.amdhsa_user_sgpr_private_segment_buffer 1
		.amdhsa_user_sgpr_dispatch_ptr 0
		.amdhsa_user_sgpr_queue_ptr 0
		.amdhsa_user_sgpr_kernarg_segment_ptr 1
		.amdhsa_user_sgpr_dispatch_id 0
		.amdhsa_user_sgpr_flat_scratch_init 0
		.amdhsa_user_sgpr_private_segment_size 0
		.amdhsa_uses_dynamic_stack 0
		.amdhsa_system_sgpr_private_segment_wavefront_offset 0
		.amdhsa_system_sgpr_workgroup_id_x 1
		.amdhsa_system_sgpr_workgroup_id_y 1
		.amdhsa_system_sgpr_workgroup_id_z 1
		.amdhsa_system_sgpr_workgroup_info 0
		.amdhsa_system_vgpr_workitem_id 1
		.amdhsa_next_free_vgpr 39
		.amdhsa_next_free_sgpr 28
		.amdhsa_reserve_vcc 1
		.amdhsa_reserve_flat_scratch 0
		.amdhsa_float_round_mode_32 0
		.amdhsa_float_round_mode_16_64 0
		.amdhsa_float_denorm_mode_32 3
		.amdhsa_float_denorm_mode_16_64 3
		.amdhsa_dx10_clamp 1
		.amdhsa_ieee_mode 1
		.amdhsa_fp16_overflow 0
		.amdhsa_exception_fp_ieee_invalid_op 0
		.amdhsa_exception_fp_denorm_src 0
		.amdhsa_exception_fp_ieee_div_zero 0
		.amdhsa_exception_fp_ieee_overflow 0
		.amdhsa_exception_fp_ieee_underflow 0
		.amdhsa_exception_fp_ieee_inexact 0
		.amdhsa_exception_int_div_zero 0
	.end_amdhsa_kernel
	.section	.text._ZL41rocblas_syrkx_herkx_small_restrict_kernelIl19rocblas_complex_numIfELi16ELb0ELb1ELc78ELc85EKS1_S1_EviT_T0_PT6_S3_lS6_S3_lS4_PT7_S3_li,"axG",@progbits,_ZL41rocblas_syrkx_herkx_small_restrict_kernelIl19rocblas_complex_numIfELi16ELb0ELb1ELc78ELc85EKS1_S1_EviT_T0_PT6_S3_lS6_S3_lS4_PT7_S3_li,comdat
.Lfunc_end1281:
	.size	_ZL41rocblas_syrkx_herkx_small_restrict_kernelIl19rocblas_complex_numIfELi16ELb0ELb1ELc78ELc85EKS1_S1_EviT_T0_PT6_S3_lS6_S3_lS4_PT7_S3_li, .Lfunc_end1281-_ZL41rocblas_syrkx_herkx_small_restrict_kernelIl19rocblas_complex_numIfELi16ELb0ELb1ELc78ELc85EKS1_S1_EviT_T0_PT6_S3_lS6_S3_lS4_PT7_S3_li
                                        ; -- End function
	.set _ZL41rocblas_syrkx_herkx_small_restrict_kernelIl19rocblas_complex_numIfELi16ELb0ELb1ELc78ELc85EKS1_S1_EviT_T0_PT6_S3_lS6_S3_lS4_PT7_S3_li.num_vgpr, 39
	.set _ZL41rocblas_syrkx_herkx_small_restrict_kernelIl19rocblas_complex_numIfELi16ELb0ELb1ELc78ELc85EKS1_S1_EviT_T0_PT6_S3_lS6_S3_lS4_PT7_S3_li.num_agpr, 0
	.set _ZL41rocblas_syrkx_herkx_small_restrict_kernelIl19rocblas_complex_numIfELi16ELb0ELb1ELc78ELc85EKS1_S1_EviT_T0_PT6_S3_lS6_S3_lS4_PT7_S3_li.numbered_sgpr, 28
	.set _ZL41rocblas_syrkx_herkx_small_restrict_kernelIl19rocblas_complex_numIfELi16ELb0ELb1ELc78ELc85EKS1_S1_EviT_T0_PT6_S3_lS6_S3_lS4_PT7_S3_li.num_named_barrier, 0
	.set _ZL41rocblas_syrkx_herkx_small_restrict_kernelIl19rocblas_complex_numIfELi16ELb0ELb1ELc78ELc85EKS1_S1_EviT_T0_PT6_S3_lS6_S3_lS4_PT7_S3_li.private_seg_size, 0
	.set _ZL41rocblas_syrkx_herkx_small_restrict_kernelIl19rocblas_complex_numIfELi16ELb0ELb1ELc78ELc85EKS1_S1_EviT_T0_PT6_S3_lS6_S3_lS4_PT7_S3_li.uses_vcc, 1
	.set _ZL41rocblas_syrkx_herkx_small_restrict_kernelIl19rocblas_complex_numIfELi16ELb0ELb1ELc78ELc85EKS1_S1_EviT_T0_PT6_S3_lS6_S3_lS4_PT7_S3_li.uses_flat_scratch, 0
	.set _ZL41rocblas_syrkx_herkx_small_restrict_kernelIl19rocblas_complex_numIfELi16ELb0ELb1ELc78ELc85EKS1_S1_EviT_T0_PT6_S3_lS6_S3_lS4_PT7_S3_li.has_dyn_sized_stack, 0
	.set _ZL41rocblas_syrkx_herkx_small_restrict_kernelIl19rocblas_complex_numIfELi16ELb0ELb1ELc78ELc85EKS1_S1_EviT_T0_PT6_S3_lS6_S3_lS4_PT7_S3_li.has_recursion, 0
	.set _ZL41rocblas_syrkx_herkx_small_restrict_kernelIl19rocblas_complex_numIfELi16ELb0ELb1ELc78ELc85EKS1_S1_EviT_T0_PT6_S3_lS6_S3_lS4_PT7_S3_li.has_indirect_call, 0
	.section	.AMDGPU.csdata,"",@progbits
; Kernel info:
; codeLenInByte = 1248
; TotalNumSgprs: 32
; NumVgprs: 39
; ScratchSize: 0
; MemoryBound: 0
; FloatMode: 240
; IeeeMode: 1
; LDSByteSize: 4096 bytes/workgroup (compile time only)
; SGPRBlocks: 3
; VGPRBlocks: 9
; NumSGPRsForWavesPerEU: 32
; NumVGPRsForWavesPerEU: 39
; Occupancy: 6
; WaveLimiterHint : 0
; COMPUTE_PGM_RSRC2:SCRATCH_EN: 0
; COMPUTE_PGM_RSRC2:USER_SGPR: 6
; COMPUTE_PGM_RSRC2:TRAP_HANDLER: 0
; COMPUTE_PGM_RSRC2:TGID_X_EN: 1
; COMPUTE_PGM_RSRC2:TGID_Y_EN: 1
; COMPUTE_PGM_RSRC2:TGID_Z_EN: 1
; COMPUTE_PGM_RSRC2:TIDIG_COMP_CNT: 1
	.section	.text._ZL32rocblas_syrkx_herkx_small_kernelIl19rocblas_complex_numIfELi16ELb1ELb1ELc84ELc76EKS1_S1_EviT_T0_PT6_S3_lS6_S3_lS4_PT7_S3_li,"axG",@progbits,_ZL32rocblas_syrkx_herkx_small_kernelIl19rocblas_complex_numIfELi16ELb1ELb1ELc84ELc76EKS1_S1_EviT_T0_PT6_S3_lS6_S3_lS4_PT7_S3_li,comdat
	.globl	_ZL32rocblas_syrkx_herkx_small_kernelIl19rocblas_complex_numIfELi16ELb1ELb1ELc84ELc76EKS1_S1_EviT_T0_PT6_S3_lS6_S3_lS4_PT7_S3_li ; -- Begin function _ZL32rocblas_syrkx_herkx_small_kernelIl19rocblas_complex_numIfELi16ELb1ELb1ELc84ELc76EKS1_S1_EviT_T0_PT6_S3_lS6_S3_lS4_PT7_S3_li
	.p2align	8
	.type	_ZL32rocblas_syrkx_herkx_small_kernelIl19rocblas_complex_numIfELi16ELb1ELb1ELc84ELc76EKS1_S1_EviT_T0_PT6_S3_lS6_S3_lS4_PT7_S3_li,@function
_ZL32rocblas_syrkx_herkx_small_kernelIl19rocblas_complex_numIfELi16ELb1ELb1ELc84ELc76EKS1_S1_EviT_T0_PT6_S3_lS6_S3_lS4_PT7_S3_li: ; @_ZL32rocblas_syrkx_herkx_small_kernelIl19rocblas_complex_numIfELi16ELb1ELb1ELc84ELc76EKS1_S1_EviT_T0_PT6_S3_lS6_S3_lS4_PT7_S3_li
; %bb.0:
	s_load_dwordx16 s[12:27], s[4:5], 0x8
	s_load_dword s9, s[4:5], 0x0
	v_lshl_add_u32 v2, s6, 4, v0
	v_lshl_add_u32 v12, s7, 4, v1
	v_ashrrev_i32_e32 v3, 31, v2
	s_waitcnt lgkmcnt(0)
	v_cmp_lt_i64_e64 s[0:1], s[12:13], 1
	v_ashrrev_i32_e32 v13, 31, v12
	s_and_b64 vcc, exec, s[0:1]
	v_cmp_gt_i32_e64 s[0:1], s9, v2
	s_cbranch_vccnz .LBB1282_11
; %bb.1:
	v_mul_lo_u32 v8, s25, v12
	v_mul_lo_u32 v9, s24, v13
	v_mad_u64_u32 v[5:6], s[2:3], s24, v12, 0
	s_mul_i32 s2, s27, s8
	s_mul_hi_u32 s3, s26, s8
	v_add3_u32 v6, v6, v9, v8
	v_lshlrev_b64 v[5:6], 3, v[5:6]
	s_add_i32 s3, s3, s2
	s_mul_i32 s2, s26, s8
	v_lshlrev_b32_e32 v7, 7, v1
	v_lshlrev_b32_e32 v14, 3, v0
	s_lshl_b64 s[2:3], s[2:3], 3
	v_add_u32_e32 v15, v14, v7
	v_add_u32_e32 v16, 0x800, v7
	v_mov_b32_e32 v7, s3
	v_add_co_u32_e64 v5, s[2:3], s2, v5
	v_addc_co_u32_e64 v6, s[2:3], v6, v7, s[2:3]
	v_add_co_u32_e64 v5, s[2:3], v5, v14
	v_addc_co_u32_e64 v7, s[2:3], 0, v6, s[2:3]
	v_mul_lo_u32 v11, s19, v2
	v_mul_lo_u32 v18, s18, v3
	v_mad_u64_u32 v[8:9], s[2:3], s18, v2, 0
	v_mov_b32_e32 v10, s23
	v_add_co_u32_e64 v6, s[2:3], s22, v5
	v_addc_co_u32_e64 v7, s[2:3], v10, v7, s[2:3]
	v_add3_u32 v9, v9, v18, v11
	s_mul_i32 s2, s21, s8
	s_mul_hi_u32 s3, s20, s8
	v_lshlrev_b64 v[8:9], 3, v[8:9]
	s_add_i32 s3, s3, s2
	s_mul_i32 s2, s20, s8
	s_lshl_b64 s[2:3], s[2:3], 3
	v_mov_b32_e32 v5, s3
	v_add_co_u32_e64 v8, s[2:3], s2, v8
	v_addc_co_u32_e64 v5, s[2:3], v9, v5, s[2:3]
	v_lshlrev_b32_e32 v9, 3, v1
	v_add_co_u32_e64 v8, s[2:3], v8, v9
	v_addc_co_u32_e64 v5, s[2:3], 0, v5, s[2:3]
	v_mov_b32_e32 v9, s17
	v_add_co_u32_e64 v8, s[2:3], s16, v8
	v_cmp_gt_i32_e32 vcc, s9, v12
	v_addc_co_u32_e64 v9, s[2:3], v9, v5, s[2:3]
	v_mov_b32_e32 v10, s12
	v_mov_b32_e32 v4, 0
	v_add_u32_e32 v17, v16, v14
	s_mov_b64 s[2:3], 0
	s_xor_b64 s[6:7], s[0:1], -1
	s_xor_b64 s[10:11], vcc, -1
	v_mov_b32_e32 v11, s13
	v_mov_b32_e32 v18, 0
	;; [unrolled: 1-line block ×3, first 2 shown]
	s_branch .LBB1282_3
.LBB1282_2:                             ;   in Loop: Header=BB1282_3 Depth=1
	s_or_b64 exec, exec, s[0:1]
	s_waitcnt lgkmcnt(0)
	s_barrier
	ds_read2_b64 v[20:23], v14 offset1:16
	ds_read_b128 v[24:27], v16
	ds_read_b128 v[28:31], v16 offset:16
	ds_read2_b64 v[32:35], v14 offset0:32 offset1:48
	s_add_u32 s2, s2, 16
	v_add_co_u32_e32 v6, vcc, 0x80, v6
	s_waitcnt lgkmcnt(2)
	v_mul_f32_e32 v5, v25, v21
	v_mul_f32_e32 v36, v24, v21
	v_fma_f32 v5, v24, v20, -v5
	v_fmac_f32_e32 v36, v25, v20
	v_mul_f32_e32 v20, v27, v23
	v_fma_f32 v37, v26, v22, -v20
	v_mul_f32_e32 v38, v26, v23
	s_waitcnt lgkmcnt(0)
	v_mul_f32_e32 v20, v29, v33
	v_fmac_f32_e32 v38, v27, v22
	v_fma_f32 v39, v28, v32, -v20
	ds_read2_b64 v[20:23], v14 offset0:64 offset1:80
	ds_read_b128 v[24:27], v16 offset:32
	v_mul_f32_e32 v40, v28, v33
	v_fmac_f32_e32 v40, v29, v32
	v_mul_f32_e32 v28, v31, v35
	v_mul_f32_e32 v42, v30, v35
	s_waitcnt lgkmcnt(0)
	v_mul_f32_e32 v32, v25, v21
	v_fma_f32 v41, v30, v34, -v28
	v_fmac_f32_e32 v42, v31, v34
	ds_read_b128 v[28:31], v16 offset:48
	v_fma_f32 v43, v24, v20, -v32
	ds_read2_b64 v[32:35], v14 offset0:96 offset1:112
	v_mul_f32_e32 v44, v24, v21
	v_fmac_f32_e32 v44, v25, v20
	v_mul_f32_e32 v20, v27, v23
	v_fma_f32 v45, v26, v22, -v20
	v_mul_f32_e32 v46, v26, v23
	s_waitcnt lgkmcnt(0)
	v_mul_f32_e32 v20, v29, v33
	v_fmac_f32_e32 v46, v27, v22
	v_fma_f32 v47, v28, v32, -v20
	ds_read2_b64 v[20:23], v14 offset0:128 offset1:144
	ds_read_b128 v[24:27], v16 offset:64
	v_mul_f32_e32 v48, v28, v33
	v_fmac_f32_e32 v48, v29, v32
	v_mul_f32_e32 v28, v31, v35
	v_mul_f32_e32 v50, v30, v35
	s_waitcnt lgkmcnt(0)
	v_mul_f32_e32 v32, v25, v21
	v_fma_f32 v49, v30, v34, -v28
	v_fmac_f32_e32 v50, v31, v34
	ds_read_b128 v[28:31], v16 offset:80
	v_fma_f32 v51, v24, v20, -v32
	ds_read2_b64 v[32:35], v14 offset0:160 offset1:176
	v_mul_f32_e32 v52, v24, v21
	v_add_f32_e32 v18, v18, v36
	v_fmac_f32_e32 v52, v25, v20
	v_mul_f32_e32 v20, v27, v23
	v_add_f32_e32 v18, v18, v38
	v_fma_f32 v53, v26, v22, -v20
	v_mul_f32_e32 v54, v26, v23
	s_waitcnt lgkmcnt(0)
	v_mul_f32_e32 v20, v29, v33
	v_add_f32_e32 v18, v18, v40
	v_fmac_f32_e32 v54, v27, v22
	v_fma_f32 v55, v28, v32, -v20
	ds_read2_b64 v[20:23], v14 offset0:192 offset1:208
	ds_read_b128 v[24:27], v16 offset:96
	v_add_f32_e32 v18, v18, v42
	v_add_f32_e32 v18, v18, v44
	;; [unrolled: 1-line block ×6, first 2 shown]
	v_mul_f32_e32 v33, v28, v33
	v_mul_f32_e32 v28, v31, v35
	;; [unrolled: 1-line block ×3, first 2 shown]
	v_add_f32_e32 v5, v5, v39
	v_add_f32_e32 v18, v18, v50
	v_fmac_f32_e32 v33, v29, v32
	v_fma_f32 v32, v30, v34, -v28
	v_fmac_f32_e32 v35, v31, v34
	s_waitcnt lgkmcnt(0)
	v_mul_f32_e32 v34, v25, v21
	v_add_f32_e32 v5, v5, v41
	v_add_f32_e32 v18, v18, v52
	v_fma_f32 v34, v24, v20, -v34
	v_mul_f32_e32 v24, v24, v21
	v_add_f32_e32 v5, v5, v43
	v_add_f32_e32 v18, v18, v54
	v_fmac_f32_e32 v24, v25, v20
	v_mul_f32_e32 v20, v27, v23
	v_mul_f32_e32 v23, v26, v23
	v_add_f32_e32 v5, v5, v45
	v_add_f32_e32 v18, v18, v33
	ds_read_b128 v[28:31], v16 offset:112
	v_fma_f32 v25, v26, v22, -v20
	v_fmac_f32_e32 v23, v27, v22
	v_add_f32_e32 v5, v5, v47
	v_add_f32_e32 v22, v18, v35
	ds_read2_b64 v[18:21], v14 offset0:224 offset1:240
	v_add_f32_e32 v5, v5, v49
	v_add_f32_e32 v5, v5, v51
	;; [unrolled: 1-line block ×7, first 2 shown]
	s_waitcnt lgkmcnt(0)
	v_mul_f32_e32 v23, v29, v19
	v_mul_f32_e32 v19, v28, v19
	v_add_f32_e32 v5, v5, v34
	v_fmac_f32_e32 v19, v29, v18
	s_addc_u32 s3, s3, 0
	v_addc_co_u32_e32 v7, vcc, 0, v7, vcc
	v_add_f32_e32 v5, v5, v25
	v_fma_f32 v23, v28, v18, -v23
	v_add_f32_e32 v18, v22, v19
	v_mul_f32_e32 v19, v31, v21
	v_mul_f32_e32 v21, v30, v21
	v_add_co_u32_e32 v8, vcc, 0x80, v8
	v_cmp_ge_i64_e64 s[0:1], s[2:3], v[10:11]
	v_add_f32_e32 v5, v5, v23
	v_fma_f32 v19, v30, v20, -v19
	v_fmac_f32_e32 v21, v31, v20
	v_addc_co_u32_e32 v9, vcc, 0, v9, vcc
	v_add_f32_e32 v19, v5, v19
	v_add_f32_e32 v18, v18, v21
	s_and_b64 vcc, exec, s[0:1]
	s_barrier
	s_cbranch_vccnz .LBB1282_12
.LBB1282_3:                             ; =>This Inner Loop Header: Depth=1
	v_mov_b32_e32 v5, s3
	v_add_co_u32_e32 v20, vcc, s2, v1
	v_addc_co_u32_e32 v21, vcc, 0, v5, vcc
	v_cmp_le_i64_e32 vcc, s[12:13], v[20:21]
	s_or_b64 s[0:1], s[6:7], vcc
	s_and_saveexec_b64 s[16:17], s[0:1]
	s_xor_b64 s[0:1], exec, s[16:17]
; %bb.4:                                ;   in Loop: Header=BB1282_3 Depth=1
	v_mov_b32_e32 v5, v4
	ds_write_b64 v15, v[4:5]
; %bb.5:                                ;   in Loop: Header=BB1282_3 Depth=1
	s_andn2_saveexec_b64 s[0:1], s[0:1]
	s_cbranch_execz .LBB1282_7
; %bb.6:                                ;   in Loop: Header=BB1282_3 Depth=1
	global_load_dwordx2 v[20:21], v[8:9], off
	s_waitcnt vmcnt(0)
	ds_write_b64 v15, v[20:21]
.LBB1282_7:                             ;   in Loop: Header=BB1282_3 Depth=1
	s_or_b64 exec, exec, s[0:1]
	v_mov_b32_e32 v5, s3
	v_add_co_u32_e32 v20, vcc, s2, v0
	v_addc_co_u32_e32 v21, vcc, 0, v5, vcc
	v_cmp_le_i64_e32 vcc, s[12:13], v[20:21]
	s_or_b64 s[0:1], s[10:11], vcc
	s_and_saveexec_b64 s[16:17], s[0:1]
	s_xor_b64 s[0:1], exec, s[16:17]
; %bb.8:                                ;   in Loop: Header=BB1282_3 Depth=1
	v_mov_b32_e32 v5, v4
	ds_write_b64 v17, v[4:5]
; %bb.9:                                ;   in Loop: Header=BB1282_3 Depth=1
	s_andn2_saveexec_b64 s[0:1], s[0:1]
	s_cbranch_execz .LBB1282_2
; %bb.10:                               ;   in Loop: Header=BB1282_3 Depth=1
	global_load_dwordx2 v[20:21], v[6:7], off
	s_waitcnt vmcnt(0)
	ds_write_b64 v17, v[20:21]
	s_branch .LBB1282_2
.LBB1282_11:
	v_mov_b32_e32 v18, 0
	v_mov_b32_e32 v19, 0
.LBB1282_12:
	v_cmp_le_i32_e32 vcc, v12, v2
	v_cmp_gt_i32_e64 s[0:1], s9, v2
	s_and_b64 s[0:1], vcc, s[0:1]
	s_and_saveexec_b64 s[2:3], s[0:1]
	s_cbranch_execz .LBB1282_15
; %bb.13:
	s_load_dwordx2 s[6:7], s[4:5], 0x60
	s_load_dwordx4 s[0:3], s[4:5], 0x50
	v_mul_f32_e32 v4, s15, v18
	v_mul_f32_e32 v5, s14, v18
	v_fma_f32 v4, v19, s14, -v4
	s_waitcnt lgkmcnt(0)
	s_mul_i32 s5, s7, s8
	s_mul_hi_u32 s7, s6, s8
	s_mul_i32 s4, s6, s8
	s_add_i32 s5, s7, s5
	s_lshl_b64 s[4:5], s[4:5], 3
	s_add_u32 s4, s0, s4
	s_addc_u32 s5, s1, s5
	v_mul_lo_u32 v6, s3, v12
	v_mul_lo_u32 v7, s2, v13
	v_mad_u64_u32 v[0:1], s[0:1], s2, v12, 0
	v_fmac_f32_e32 v5, s15, v19
	v_add3_u32 v1, v1, v7, v6
	v_lshlrev_b64 v[0:1], 3, v[0:1]
	v_mov_b32_e32 v6, s5
	v_add_co_u32_e32 v7, vcc, s4, v0
	v_addc_co_u32_e32 v6, vcc, v6, v1, vcc
	v_lshlrev_b64 v[0:1], 3, v[2:3]
	v_add_co_u32_e32 v0, vcc, v7, v0
	v_addc_co_u32_e32 v1, vcc, v6, v1, vcc
	v_cmp_eq_u32_e32 vcc, v2, v12
	global_store_dwordx2 v[0:1], v[4:5], off
	s_and_b64 exec, exec, vcc
	s_cbranch_execz .LBB1282_15
; %bb.14:
	v_mov_b32_e32 v2, 0
	global_store_dword v[0:1], v2, off offset:4
.LBB1282_15:
	s_endpgm
	.section	.rodata,"a",@progbits
	.p2align	6, 0x0
	.amdhsa_kernel _ZL32rocblas_syrkx_herkx_small_kernelIl19rocblas_complex_numIfELi16ELb1ELb1ELc84ELc76EKS1_S1_EviT_T0_PT6_S3_lS6_S3_lS4_PT7_S3_li
		.amdhsa_group_segment_fixed_size 4096
		.amdhsa_private_segment_fixed_size 0
		.amdhsa_kernarg_size 108
		.amdhsa_user_sgpr_count 6
		.amdhsa_user_sgpr_private_segment_buffer 1
		.amdhsa_user_sgpr_dispatch_ptr 0
		.amdhsa_user_sgpr_queue_ptr 0
		.amdhsa_user_sgpr_kernarg_segment_ptr 1
		.amdhsa_user_sgpr_dispatch_id 0
		.amdhsa_user_sgpr_flat_scratch_init 0
		.amdhsa_user_sgpr_private_segment_size 0
		.amdhsa_uses_dynamic_stack 0
		.amdhsa_system_sgpr_private_segment_wavefront_offset 0
		.amdhsa_system_sgpr_workgroup_id_x 1
		.amdhsa_system_sgpr_workgroup_id_y 1
		.amdhsa_system_sgpr_workgroup_id_z 1
		.amdhsa_system_sgpr_workgroup_info 0
		.amdhsa_system_vgpr_workitem_id 1
		.amdhsa_next_free_vgpr 56
		.amdhsa_next_free_sgpr 28
		.amdhsa_reserve_vcc 1
		.amdhsa_reserve_flat_scratch 0
		.amdhsa_float_round_mode_32 0
		.amdhsa_float_round_mode_16_64 0
		.amdhsa_float_denorm_mode_32 3
		.amdhsa_float_denorm_mode_16_64 3
		.amdhsa_dx10_clamp 1
		.amdhsa_ieee_mode 1
		.amdhsa_fp16_overflow 0
		.amdhsa_exception_fp_ieee_invalid_op 0
		.amdhsa_exception_fp_denorm_src 0
		.amdhsa_exception_fp_ieee_div_zero 0
		.amdhsa_exception_fp_ieee_overflow 0
		.amdhsa_exception_fp_ieee_underflow 0
		.amdhsa_exception_fp_ieee_inexact 0
		.amdhsa_exception_int_div_zero 0
	.end_amdhsa_kernel
	.section	.text._ZL32rocblas_syrkx_herkx_small_kernelIl19rocblas_complex_numIfELi16ELb1ELb1ELc84ELc76EKS1_S1_EviT_T0_PT6_S3_lS6_S3_lS4_PT7_S3_li,"axG",@progbits,_ZL32rocblas_syrkx_herkx_small_kernelIl19rocblas_complex_numIfELi16ELb1ELb1ELc84ELc76EKS1_S1_EviT_T0_PT6_S3_lS6_S3_lS4_PT7_S3_li,comdat
.Lfunc_end1282:
	.size	_ZL32rocblas_syrkx_herkx_small_kernelIl19rocblas_complex_numIfELi16ELb1ELb1ELc84ELc76EKS1_S1_EviT_T0_PT6_S3_lS6_S3_lS4_PT7_S3_li, .Lfunc_end1282-_ZL32rocblas_syrkx_herkx_small_kernelIl19rocblas_complex_numIfELi16ELb1ELb1ELc84ELc76EKS1_S1_EviT_T0_PT6_S3_lS6_S3_lS4_PT7_S3_li
                                        ; -- End function
	.set _ZL32rocblas_syrkx_herkx_small_kernelIl19rocblas_complex_numIfELi16ELb1ELb1ELc84ELc76EKS1_S1_EviT_T0_PT6_S3_lS6_S3_lS4_PT7_S3_li.num_vgpr, 56
	.set _ZL32rocblas_syrkx_herkx_small_kernelIl19rocblas_complex_numIfELi16ELb1ELb1ELc84ELc76EKS1_S1_EviT_T0_PT6_S3_lS6_S3_lS4_PT7_S3_li.num_agpr, 0
	.set _ZL32rocblas_syrkx_herkx_small_kernelIl19rocblas_complex_numIfELi16ELb1ELb1ELc84ELc76EKS1_S1_EviT_T0_PT6_S3_lS6_S3_lS4_PT7_S3_li.numbered_sgpr, 28
	.set _ZL32rocblas_syrkx_herkx_small_kernelIl19rocblas_complex_numIfELi16ELb1ELb1ELc84ELc76EKS1_S1_EviT_T0_PT6_S3_lS6_S3_lS4_PT7_S3_li.num_named_barrier, 0
	.set _ZL32rocblas_syrkx_herkx_small_kernelIl19rocblas_complex_numIfELi16ELb1ELb1ELc84ELc76EKS1_S1_EviT_T0_PT6_S3_lS6_S3_lS4_PT7_S3_li.private_seg_size, 0
	.set _ZL32rocblas_syrkx_herkx_small_kernelIl19rocblas_complex_numIfELi16ELb1ELb1ELc84ELc76EKS1_S1_EviT_T0_PT6_S3_lS6_S3_lS4_PT7_S3_li.uses_vcc, 1
	.set _ZL32rocblas_syrkx_herkx_small_kernelIl19rocblas_complex_numIfELi16ELb1ELb1ELc84ELc76EKS1_S1_EviT_T0_PT6_S3_lS6_S3_lS4_PT7_S3_li.uses_flat_scratch, 0
	.set _ZL32rocblas_syrkx_herkx_small_kernelIl19rocblas_complex_numIfELi16ELb1ELb1ELc84ELc76EKS1_S1_EviT_T0_PT6_S3_lS6_S3_lS4_PT7_S3_li.has_dyn_sized_stack, 0
	.set _ZL32rocblas_syrkx_herkx_small_kernelIl19rocblas_complex_numIfELi16ELb1ELb1ELc84ELc76EKS1_S1_EviT_T0_PT6_S3_lS6_S3_lS4_PT7_S3_li.has_recursion, 0
	.set _ZL32rocblas_syrkx_herkx_small_kernelIl19rocblas_complex_numIfELi16ELb1ELb1ELc84ELc76EKS1_S1_EviT_T0_PT6_S3_lS6_S3_lS4_PT7_S3_li.has_indirect_call, 0
	.section	.AMDGPU.csdata,"",@progbits
; Kernel info:
; codeLenInByte = 1388
; TotalNumSgprs: 32
; NumVgprs: 56
; ScratchSize: 0
; MemoryBound: 1
; FloatMode: 240
; IeeeMode: 1
; LDSByteSize: 4096 bytes/workgroup (compile time only)
; SGPRBlocks: 3
; VGPRBlocks: 13
; NumSGPRsForWavesPerEU: 32
; NumVGPRsForWavesPerEU: 56
; Occupancy: 4
; WaveLimiterHint : 0
; COMPUTE_PGM_RSRC2:SCRATCH_EN: 0
; COMPUTE_PGM_RSRC2:USER_SGPR: 6
; COMPUTE_PGM_RSRC2:TRAP_HANDLER: 0
; COMPUTE_PGM_RSRC2:TGID_X_EN: 1
; COMPUTE_PGM_RSRC2:TGID_Y_EN: 1
; COMPUTE_PGM_RSRC2:TGID_Z_EN: 1
; COMPUTE_PGM_RSRC2:TIDIG_COMP_CNT: 1
	.section	.text._ZL32rocblas_syrkx_herkx_small_kernelIl19rocblas_complex_numIfELi16ELb1ELb1ELc67ELc76EKS1_S1_EviT_T0_PT6_S3_lS6_S3_lS4_PT7_S3_li,"axG",@progbits,_ZL32rocblas_syrkx_herkx_small_kernelIl19rocblas_complex_numIfELi16ELb1ELb1ELc67ELc76EKS1_S1_EviT_T0_PT6_S3_lS6_S3_lS4_PT7_S3_li,comdat
	.globl	_ZL32rocblas_syrkx_herkx_small_kernelIl19rocblas_complex_numIfELi16ELb1ELb1ELc67ELc76EKS1_S1_EviT_T0_PT6_S3_lS6_S3_lS4_PT7_S3_li ; -- Begin function _ZL32rocblas_syrkx_herkx_small_kernelIl19rocblas_complex_numIfELi16ELb1ELb1ELc67ELc76EKS1_S1_EviT_T0_PT6_S3_lS6_S3_lS4_PT7_S3_li
	.p2align	8
	.type	_ZL32rocblas_syrkx_herkx_small_kernelIl19rocblas_complex_numIfELi16ELb1ELb1ELc67ELc76EKS1_S1_EviT_T0_PT6_S3_lS6_S3_lS4_PT7_S3_li,@function
_ZL32rocblas_syrkx_herkx_small_kernelIl19rocblas_complex_numIfELi16ELb1ELb1ELc67ELc76EKS1_S1_EviT_T0_PT6_S3_lS6_S3_lS4_PT7_S3_li: ; @_ZL32rocblas_syrkx_herkx_small_kernelIl19rocblas_complex_numIfELi16ELb1ELb1ELc67ELc76EKS1_S1_EviT_T0_PT6_S3_lS6_S3_lS4_PT7_S3_li
; %bb.0:
	s_load_dwordx16 s[12:27], s[4:5], 0x8
	s_load_dword s9, s[4:5], 0x0
	v_lshl_add_u32 v2, s6, 4, v0
	v_lshl_add_u32 v12, s7, 4, v1
	v_ashrrev_i32_e32 v3, 31, v2
	s_waitcnt lgkmcnt(0)
	v_cmp_lt_i64_e64 s[0:1], s[12:13], 1
	v_ashrrev_i32_e32 v13, 31, v12
	s_and_b64 vcc, exec, s[0:1]
	v_cmp_gt_i32_e64 s[0:1], s9, v2
	s_cbranch_vccnz .LBB1283_11
; %bb.1:
	v_mul_lo_u32 v8, s25, v12
	v_mul_lo_u32 v9, s24, v13
	v_mad_u64_u32 v[5:6], s[2:3], s24, v12, 0
	s_mul_i32 s2, s27, s8
	s_mul_hi_u32 s3, s26, s8
	v_add3_u32 v6, v6, v9, v8
	v_lshlrev_b64 v[5:6], 3, v[5:6]
	s_add_i32 s3, s3, s2
	s_mul_i32 s2, s26, s8
	v_lshlrev_b32_e32 v7, 7, v1
	v_lshlrev_b32_e32 v14, 3, v0
	s_lshl_b64 s[2:3], s[2:3], 3
	v_add_u32_e32 v15, v14, v7
	v_add_u32_e32 v16, 0x800, v7
	v_mov_b32_e32 v7, s3
	v_add_co_u32_e64 v5, s[2:3], s2, v5
	v_addc_co_u32_e64 v6, s[2:3], v6, v7, s[2:3]
	v_add_co_u32_e64 v5, s[2:3], v5, v14
	v_addc_co_u32_e64 v7, s[2:3], 0, v6, s[2:3]
	v_mul_lo_u32 v11, s19, v2
	v_mul_lo_u32 v18, s18, v3
	v_mad_u64_u32 v[8:9], s[2:3], s18, v2, 0
	v_mov_b32_e32 v10, s23
	v_add_co_u32_e64 v6, s[2:3], s22, v5
	v_addc_co_u32_e64 v7, s[2:3], v10, v7, s[2:3]
	v_add3_u32 v9, v9, v18, v11
	s_mul_i32 s2, s21, s8
	s_mul_hi_u32 s3, s20, s8
	v_lshlrev_b64 v[8:9], 3, v[8:9]
	s_add_i32 s3, s3, s2
	s_mul_i32 s2, s20, s8
	s_lshl_b64 s[2:3], s[2:3], 3
	v_mov_b32_e32 v5, s3
	v_add_co_u32_e64 v8, s[2:3], s2, v8
	v_addc_co_u32_e64 v5, s[2:3], v9, v5, s[2:3]
	v_lshlrev_b32_e32 v9, 3, v1
	v_add_co_u32_e64 v8, s[2:3], v8, v9
	v_addc_co_u32_e64 v5, s[2:3], 0, v5, s[2:3]
	v_mov_b32_e32 v9, s17
	v_add_co_u32_e64 v8, s[2:3], s16, v8
	v_addc_co_u32_e64 v5, s[2:3], v9, v5, s[2:3]
	v_add_co_u32_e64 v8, s[2:3], 4, v8
	v_cmp_gt_i32_e32 vcc, s9, v12
	v_addc_co_u32_e64 v9, s[2:3], 0, v5, s[2:3]
	v_mov_b32_e32 v10, s12
	v_mov_b32_e32 v4, 0
	v_add_u32_e32 v17, v16, v14
	s_mov_b64 s[2:3], 0
	s_xor_b64 s[6:7], s[0:1], -1
	s_xor_b64 s[10:11], vcc, -1
	v_mov_b32_e32 v11, s13
	v_mov_b32_e32 v18, 0
	;; [unrolled: 1-line block ×3, first 2 shown]
	s_branch .LBB1283_3
.LBB1283_2:                             ;   in Loop: Header=BB1283_3 Depth=1
	s_or_b64 exec, exec, s[0:1]
	s_waitcnt lgkmcnt(0)
	s_barrier
	ds_read2_b64 v[20:23], v14 offset1:16
	ds_read_b128 v[24:27], v16
	ds_read_b128 v[28:31], v16 offset:16
	ds_read2_b64 v[32:35], v14 offset0:32 offset1:48
	s_add_u32 s2, s2, 16
	v_add_co_u32_e32 v6, vcc, 0x80, v6
	s_waitcnt lgkmcnt(2)
	v_mul_f32_e32 v5, v25, v21
	v_mul_f32_e32 v36, v24, v21
	v_fma_f32 v5, v24, v20, -v5
	v_fmac_f32_e32 v36, v25, v20
	v_mul_f32_e32 v20, v27, v23
	v_fma_f32 v37, v26, v22, -v20
	v_mul_f32_e32 v38, v26, v23
	s_waitcnt lgkmcnt(0)
	v_mul_f32_e32 v20, v29, v33
	v_fmac_f32_e32 v38, v27, v22
	v_fma_f32 v39, v28, v32, -v20
	ds_read2_b64 v[20:23], v14 offset0:64 offset1:80
	ds_read_b128 v[24:27], v16 offset:32
	v_mul_f32_e32 v40, v28, v33
	v_fmac_f32_e32 v40, v29, v32
	v_mul_f32_e32 v28, v31, v35
	v_mul_f32_e32 v42, v30, v35
	s_waitcnt lgkmcnt(0)
	v_mul_f32_e32 v32, v25, v21
	v_fma_f32 v41, v30, v34, -v28
	v_fmac_f32_e32 v42, v31, v34
	ds_read_b128 v[28:31], v16 offset:48
	v_fma_f32 v43, v24, v20, -v32
	ds_read2_b64 v[32:35], v14 offset0:96 offset1:112
	v_mul_f32_e32 v44, v24, v21
	v_fmac_f32_e32 v44, v25, v20
	v_mul_f32_e32 v20, v27, v23
	v_fma_f32 v45, v26, v22, -v20
	v_mul_f32_e32 v46, v26, v23
	s_waitcnt lgkmcnt(0)
	v_mul_f32_e32 v20, v29, v33
	v_fmac_f32_e32 v46, v27, v22
	v_fma_f32 v47, v28, v32, -v20
	ds_read2_b64 v[20:23], v14 offset0:128 offset1:144
	ds_read_b128 v[24:27], v16 offset:64
	v_mul_f32_e32 v48, v28, v33
	v_fmac_f32_e32 v48, v29, v32
	v_mul_f32_e32 v28, v31, v35
	v_mul_f32_e32 v50, v30, v35
	s_waitcnt lgkmcnt(0)
	v_mul_f32_e32 v32, v25, v21
	v_fma_f32 v49, v30, v34, -v28
	v_fmac_f32_e32 v50, v31, v34
	ds_read_b128 v[28:31], v16 offset:80
	v_fma_f32 v51, v24, v20, -v32
	ds_read2_b64 v[32:35], v14 offset0:160 offset1:176
	v_mul_f32_e32 v52, v24, v21
	v_add_f32_e32 v18, v18, v36
	v_fmac_f32_e32 v52, v25, v20
	v_mul_f32_e32 v20, v27, v23
	v_add_f32_e32 v18, v18, v38
	v_fma_f32 v53, v26, v22, -v20
	v_mul_f32_e32 v54, v26, v23
	s_waitcnt lgkmcnt(0)
	v_mul_f32_e32 v20, v29, v33
	v_add_f32_e32 v18, v18, v40
	v_fmac_f32_e32 v54, v27, v22
	v_fma_f32 v55, v28, v32, -v20
	ds_read2_b64 v[20:23], v14 offset0:192 offset1:208
	ds_read_b128 v[24:27], v16 offset:96
	v_add_f32_e32 v18, v18, v42
	v_add_f32_e32 v18, v18, v44
	;; [unrolled: 1-line block ×6, first 2 shown]
	v_mul_f32_e32 v33, v28, v33
	v_mul_f32_e32 v28, v31, v35
	;; [unrolled: 1-line block ×3, first 2 shown]
	v_add_f32_e32 v5, v5, v39
	v_add_f32_e32 v18, v18, v50
	v_fmac_f32_e32 v33, v29, v32
	v_fma_f32 v32, v30, v34, -v28
	v_fmac_f32_e32 v35, v31, v34
	s_waitcnt lgkmcnt(0)
	v_mul_f32_e32 v34, v25, v21
	v_add_f32_e32 v5, v5, v41
	v_add_f32_e32 v18, v18, v52
	v_fma_f32 v34, v24, v20, -v34
	v_mul_f32_e32 v24, v24, v21
	v_add_f32_e32 v5, v5, v43
	v_add_f32_e32 v18, v18, v54
	v_fmac_f32_e32 v24, v25, v20
	v_mul_f32_e32 v20, v27, v23
	v_mul_f32_e32 v23, v26, v23
	v_add_f32_e32 v5, v5, v45
	v_add_f32_e32 v18, v18, v33
	ds_read_b128 v[28:31], v16 offset:112
	v_fma_f32 v25, v26, v22, -v20
	v_fmac_f32_e32 v23, v27, v22
	v_add_f32_e32 v5, v5, v47
	v_add_f32_e32 v22, v18, v35
	ds_read2_b64 v[18:21], v14 offset0:224 offset1:240
	v_add_f32_e32 v5, v5, v49
	v_add_f32_e32 v5, v5, v51
	;; [unrolled: 1-line block ×7, first 2 shown]
	s_waitcnt lgkmcnt(0)
	v_mul_f32_e32 v23, v29, v19
	v_mul_f32_e32 v19, v28, v19
	v_add_f32_e32 v5, v5, v34
	v_fmac_f32_e32 v19, v29, v18
	s_addc_u32 s3, s3, 0
	v_addc_co_u32_e32 v7, vcc, 0, v7, vcc
	v_add_f32_e32 v5, v5, v25
	v_fma_f32 v23, v28, v18, -v23
	v_add_f32_e32 v18, v22, v19
	v_mul_f32_e32 v19, v31, v21
	v_mul_f32_e32 v21, v30, v21
	v_add_co_u32_e32 v8, vcc, 0x80, v8
	v_cmp_ge_i64_e64 s[0:1], s[2:3], v[10:11]
	v_add_f32_e32 v5, v5, v23
	v_fma_f32 v19, v30, v20, -v19
	v_fmac_f32_e32 v21, v31, v20
	v_addc_co_u32_e32 v9, vcc, 0, v9, vcc
	v_add_f32_e32 v19, v5, v19
	v_add_f32_e32 v18, v18, v21
	s_and_b64 vcc, exec, s[0:1]
	s_barrier
	s_cbranch_vccnz .LBB1283_12
.LBB1283_3:                             ; =>This Inner Loop Header: Depth=1
	v_mov_b32_e32 v5, s3
	v_add_co_u32_e32 v20, vcc, s2, v1
	v_addc_co_u32_e32 v21, vcc, 0, v5, vcc
	v_cmp_le_i64_e32 vcc, s[12:13], v[20:21]
	s_or_b64 s[0:1], s[6:7], vcc
	s_and_saveexec_b64 s[16:17], s[0:1]
	s_xor_b64 s[0:1], exec, s[16:17]
; %bb.4:                                ;   in Loop: Header=BB1283_3 Depth=1
	ds_write_b32 v15, v4
; %bb.5:                                ;   in Loop: Header=BB1283_3 Depth=1
	s_or_saveexec_b64 s[0:1], s[0:1]
	v_mov_b32_e32 v5, 0
	s_xor_b64 exec, exec, s[0:1]
	s_cbranch_execz .LBB1283_7
; %bb.6:                                ;   in Loop: Header=BB1283_3 Depth=1
	global_load_dwordx2 v[20:21], v[8:9], off offset:-4
	s_waitcnt vmcnt(0)
	v_xor_b32_e32 v5, 0x80000000, v21
	ds_write_b32 v15, v20
.LBB1283_7:                             ;   in Loop: Header=BB1283_3 Depth=1
	s_or_b64 exec, exec, s[0:1]
	v_mov_b32_e32 v21, s3
	v_add_co_u32_e32 v20, vcc, s2, v0
	v_addc_co_u32_e32 v21, vcc, 0, v21, vcc
	v_cmp_le_i64_e32 vcc, s[12:13], v[20:21]
	ds_write_b32 v15, v5 offset:4
	s_or_b64 s[0:1], s[10:11], vcc
	s_and_saveexec_b64 s[16:17], s[0:1]
	s_xor_b64 s[0:1], exec, s[16:17]
; %bb.8:                                ;   in Loop: Header=BB1283_3 Depth=1
	v_mov_b32_e32 v5, v4
	ds_write_b64 v17, v[4:5]
; %bb.9:                                ;   in Loop: Header=BB1283_3 Depth=1
	s_andn2_saveexec_b64 s[0:1], s[0:1]
	s_cbranch_execz .LBB1283_2
; %bb.10:                               ;   in Loop: Header=BB1283_3 Depth=1
	global_load_dwordx2 v[20:21], v[6:7], off
	s_waitcnt vmcnt(0)
	ds_write_b64 v17, v[20:21]
	s_branch .LBB1283_2
.LBB1283_11:
	v_mov_b32_e32 v18, 0
	v_mov_b32_e32 v19, 0
.LBB1283_12:
	v_cmp_le_i32_e32 vcc, v12, v2
	v_cmp_gt_i32_e64 s[0:1], s9, v2
	s_and_b64 s[0:1], vcc, s[0:1]
	s_and_saveexec_b64 s[2:3], s[0:1]
	s_cbranch_execz .LBB1283_15
; %bb.13:
	s_load_dwordx2 s[6:7], s[4:5], 0x60
	s_load_dwordx4 s[0:3], s[4:5], 0x50
	v_mul_f32_e32 v4, s15, v18
	v_mul_f32_e32 v5, s14, v18
	v_fma_f32 v4, v19, s14, -v4
	s_waitcnt lgkmcnt(0)
	s_mul_i32 s5, s7, s8
	s_mul_hi_u32 s7, s6, s8
	s_mul_i32 s4, s6, s8
	s_add_i32 s5, s7, s5
	s_lshl_b64 s[4:5], s[4:5], 3
	s_add_u32 s4, s0, s4
	s_addc_u32 s5, s1, s5
	v_mul_lo_u32 v6, s3, v12
	v_mul_lo_u32 v7, s2, v13
	v_mad_u64_u32 v[0:1], s[0:1], s2, v12, 0
	v_fmac_f32_e32 v5, s15, v19
	v_add3_u32 v1, v1, v7, v6
	v_lshlrev_b64 v[0:1], 3, v[0:1]
	v_mov_b32_e32 v6, s5
	v_add_co_u32_e32 v7, vcc, s4, v0
	v_addc_co_u32_e32 v6, vcc, v6, v1, vcc
	v_lshlrev_b64 v[0:1], 3, v[2:3]
	v_add_co_u32_e32 v0, vcc, v7, v0
	v_addc_co_u32_e32 v1, vcc, v6, v1, vcc
	v_cmp_eq_u32_e32 vcc, v2, v12
	global_store_dwordx2 v[0:1], v[4:5], off
	s_and_b64 exec, exec, vcc
	s_cbranch_execz .LBB1283_15
; %bb.14:
	v_mov_b32_e32 v2, 0
	global_store_dword v[0:1], v2, off offset:4
.LBB1283_15:
	s_endpgm
	.section	.rodata,"a",@progbits
	.p2align	6, 0x0
	.amdhsa_kernel _ZL32rocblas_syrkx_herkx_small_kernelIl19rocblas_complex_numIfELi16ELb1ELb1ELc67ELc76EKS1_S1_EviT_T0_PT6_S3_lS6_S3_lS4_PT7_S3_li
		.amdhsa_group_segment_fixed_size 4096
		.amdhsa_private_segment_fixed_size 0
		.amdhsa_kernarg_size 108
		.amdhsa_user_sgpr_count 6
		.amdhsa_user_sgpr_private_segment_buffer 1
		.amdhsa_user_sgpr_dispatch_ptr 0
		.amdhsa_user_sgpr_queue_ptr 0
		.amdhsa_user_sgpr_kernarg_segment_ptr 1
		.amdhsa_user_sgpr_dispatch_id 0
		.amdhsa_user_sgpr_flat_scratch_init 0
		.amdhsa_user_sgpr_private_segment_size 0
		.amdhsa_uses_dynamic_stack 0
		.amdhsa_system_sgpr_private_segment_wavefront_offset 0
		.amdhsa_system_sgpr_workgroup_id_x 1
		.amdhsa_system_sgpr_workgroup_id_y 1
		.amdhsa_system_sgpr_workgroup_id_z 1
		.amdhsa_system_sgpr_workgroup_info 0
		.amdhsa_system_vgpr_workitem_id 1
		.amdhsa_next_free_vgpr 56
		.amdhsa_next_free_sgpr 28
		.amdhsa_reserve_vcc 1
		.amdhsa_reserve_flat_scratch 0
		.amdhsa_float_round_mode_32 0
		.amdhsa_float_round_mode_16_64 0
		.amdhsa_float_denorm_mode_32 3
		.amdhsa_float_denorm_mode_16_64 3
		.amdhsa_dx10_clamp 1
		.amdhsa_ieee_mode 1
		.amdhsa_fp16_overflow 0
		.amdhsa_exception_fp_ieee_invalid_op 0
		.amdhsa_exception_fp_denorm_src 0
		.amdhsa_exception_fp_ieee_div_zero 0
		.amdhsa_exception_fp_ieee_overflow 0
		.amdhsa_exception_fp_ieee_underflow 0
		.amdhsa_exception_fp_ieee_inexact 0
		.amdhsa_exception_int_div_zero 0
	.end_amdhsa_kernel
	.section	.text._ZL32rocblas_syrkx_herkx_small_kernelIl19rocblas_complex_numIfELi16ELb1ELb1ELc67ELc76EKS1_S1_EviT_T0_PT6_S3_lS6_S3_lS4_PT7_S3_li,"axG",@progbits,_ZL32rocblas_syrkx_herkx_small_kernelIl19rocblas_complex_numIfELi16ELb1ELb1ELc67ELc76EKS1_S1_EviT_T0_PT6_S3_lS6_S3_lS4_PT7_S3_li,comdat
.Lfunc_end1283:
	.size	_ZL32rocblas_syrkx_herkx_small_kernelIl19rocblas_complex_numIfELi16ELb1ELb1ELc67ELc76EKS1_S1_EviT_T0_PT6_S3_lS6_S3_lS4_PT7_S3_li, .Lfunc_end1283-_ZL32rocblas_syrkx_herkx_small_kernelIl19rocblas_complex_numIfELi16ELb1ELb1ELc67ELc76EKS1_S1_EviT_T0_PT6_S3_lS6_S3_lS4_PT7_S3_li
                                        ; -- End function
	.set _ZL32rocblas_syrkx_herkx_small_kernelIl19rocblas_complex_numIfELi16ELb1ELb1ELc67ELc76EKS1_S1_EviT_T0_PT6_S3_lS6_S3_lS4_PT7_S3_li.num_vgpr, 56
	.set _ZL32rocblas_syrkx_herkx_small_kernelIl19rocblas_complex_numIfELi16ELb1ELb1ELc67ELc76EKS1_S1_EviT_T0_PT6_S3_lS6_S3_lS4_PT7_S3_li.num_agpr, 0
	.set _ZL32rocblas_syrkx_herkx_small_kernelIl19rocblas_complex_numIfELi16ELb1ELb1ELc67ELc76EKS1_S1_EviT_T0_PT6_S3_lS6_S3_lS4_PT7_S3_li.numbered_sgpr, 28
	.set _ZL32rocblas_syrkx_herkx_small_kernelIl19rocblas_complex_numIfELi16ELb1ELb1ELc67ELc76EKS1_S1_EviT_T0_PT6_S3_lS6_S3_lS4_PT7_S3_li.num_named_barrier, 0
	.set _ZL32rocblas_syrkx_herkx_small_kernelIl19rocblas_complex_numIfELi16ELb1ELb1ELc67ELc76EKS1_S1_EviT_T0_PT6_S3_lS6_S3_lS4_PT7_S3_li.private_seg_size, 0
	.set _ZL32rocblas_syrkx_herkx_small_kernelIl19rocblas_complex_numIfELi16ELb1ELb1ELc67ELc76EKS1_S1_EviT_T0_PT6_S3_lS6_S3_lS4_PT7_S3_li.uses_vcc, 1
	.set _ZL32rocblas_syrkx_herkx_small_kernelIl19rocblas_complex_numIfELi16ELb1ELb1ELc67ELc76EKS1_S1_EviT_T0_PT6_S3_lS6_S3_lS4_PT7_S3_li.uses_flat_scratch, 0
	.set _ZL32rocblas_syrkx_herkx_small_kernelIl19rocblas_complex_numIfELi16ELb1ELb1ELc67ELc76EKS1_S1_EviT_T0_PT6_S3_lS6_S3_lS4_PT7_S3_li.has_dyn_sized_stack, 0
	.set _ZL32rocblas_syrkx_herkx_small_kernelIl19rocblas_complex_numIfELi16ELb1ELb1ELc67ELc76EKS1_S1_EviT_T0_PT6_S3_lS6_S3_lS4_PT7_S3_li.has_recursion, 0
	.set _ZL32rocblas_syrkx_herkx_small_kernelIl19rocblas_complex_numIfELi16ELb1ELb1ELc67ELc76EKS1_S1_EviT_T0_PT6_S3_lS6_S3_lS4_PT7_S3_li.has_indirect_call, 0
	.section	.AMDGPU.csdata,"",@progbits
; Kernel info:
; codeLenInByte = 1424
; TotalNumSgprs: 32
; NumVgprs: 56
; ScratchSize: 0
; MemoryBound: 1
; FloatMode: 240
; IeeeMode: 1
; LDSByteSize: 4096 bytes/workgroup (compile time only)
; SGPRBlocks: 3
; VGPRBlocks: 13
; NumSGPRsForWavesPerEU: 32
; NumVGPRsForWavesPerEU: 56
; Occupancy: 4
; WaveLimiterHint : 0
; COMPUTE_PGM_RSRC2:SCRATCH_EN: 0
; COMPUTE_PGM_RSRC2:USER_SGPR: 6
; COMPUTE_PGM_RSRC2:TRAP_HANDLER: 0
; COMPUTE_PGM_RSRC2:TGID_X_EN: 1
; COMPUTE_PGM_RSRC2:TGID_Y_EN: 1
; COMPUTE_PGM_RSRC2:TGID_Z_EN: 1
; COMPUTE_PGM_RSRC2:TIDIG_COMP_CNT: 1
	.section	.text._ZL32rocblas_syrkx_herkx_small_kernelIl19rocblas_complex_numIfELi16ELb1ELb1ELc78ELc76EKS1_S1_EviT_T0_PT6_S3_lS6_S3_lS4_PT7_S3_li,"axG",@progbits,_ZL32rocblas_syrkx_herkx_small_kernelIl19rocblas_complex_numIfELi16ELb1ELb1ELc78ELc76EKS1_S1_EviT_T0_PT6_S3_lS6_S3_lS4_PT7_S3_li,comdat
	.globl	_ZL32rocblas_syrkx_herkx_small_kernelIl19rocblas_complex_numIfELi16ELb1ELb1ELc78ELc76EKS1_S1_EviT_T0_PT6_S3_lS6_S3_lS4_PT7_S3_li ; -- Begin function _ZL32rocblas_syrkx_herkx_small_kernelIl19rocblas_complex_numIfELi16ELb1ELb1ELc78ELc76EKS1_S1_EviT_T0_PT6_S3_lS6_S3_lS4_PT7_S3_li
	.p2align	8
	.type	_ZL32rocblas_syrkx_herkx_small_kernelIl19rocblas_complex_numIfELi16ELb1ELb1ELc78ELc76EKS1_S1_EviT_T0_PT6_S3_lS6_S3_lS4_PT7_S3_li,@function
_ZL32rocblas_syrkx_herkx_small_kernelIl19rocblas_complex_numIfELi16ELb1ELb1ELc78ELc76EKS1_S1_EviT_T0_PT6_S3_lS6_S3_lS4_PT7_S3_li: ; @_ZL32rocblas_syrkx_herkx_small_kernelIl19rocblas_complex_numIfELi16ELb1ELb1ELc78ELc76EKS1_S1_EviT_T0_PT6_S3_lS6_S3_lS4_PT7_S3_li
; %bb.0:
	s_load_dwordx16 s[12:27], s[4:5], 0x8
	s_load_dword s9, s[4:5], 0x0
	v_lshl_add_u32 v2, s6, 4, v0
	v_lshl_add_u32 v4, s7, 4, v1
	v_ashrrev_i32_e32 v3, 31, v2
	s_waitcnt lgkmcnt(0)
	v_cmp_lt_i64_e64 s[0:1], s[12:13], 1
	v_ashrrev_i32_e32 v5, 31, v4
	s_and_b64 vcc, exec, s[0:1]
	v_cmp_gt_i32_e64 s[0:1], s9, v2
	s_cbranch_vccnz .LBB1284_11
; %bb.1:
	v_lshlrev_b32_e32 v7, 7, v1
	v_lshlrev_b32_e32 v14, 3, v0
	v_add_u32_e32 v15, v14, v7
	v_add_u32_e32 v16, 0x800, v7
	v_mad_u64_u32 v[7:8], s[2:3], s24, v0, 0
	s_mul_i32 s6, s27, s8
	s_mul_hi_u32 s7, s26, s8
	v_mad_u64_u32 v[8:9], s[2:3], s25, v0, v[8:9]
	s_add_i32 s3, s7, s6
	s_mul_i32 s2, s26, s8
	v_lshlrev_b64 v[7:8], 3, v[7:8]
	s_lshl_b64 s[2:3], s[2:3], 3
	v_mov_b32_e32 v9, s3
	v_add_co_u32_e64 v10, s[2:3], s2, v7
	v_addc_co_u32_e64 v9, s[2:3], v9, v8, s[2:3]
	v_lshlrev_b64 v[7:8], 3, v[4:5]
	s_mul_i32 s10, s21, s8
	v_add_co_u32_e64 v7, s[2:3], v10, v7
	v_addc_co_u32_e64 v8, s[2:3], v9, v8, s[2:3]
	v_mov_b32_e32 v9, s23
	v_add_co_u32_e64 v7, s[2:3], s22, v7
	v_addc_co_u32_e64 v9, s[2:3], v9, v8, s[2:3]
	v_add_co_u32_e64 v8, s[2:3], 4, v7
	v_addc_co_u32_e64 v9, s[2:3], 0, v9, s[2:3]
	v_mad_u64_u32 v[10:11], s[2:3], s18, v1, 0
	s_mul_hi_u32 s11, s20, s8
	v_cmp_gt_i32_e32 vcc, s9, v4
	v_mov_b32_e32 v7, v11
	v_mad_u64_u32 v[11:12], s[2:3], s19, v1, v[7:8]
	s_add_i32 s3, s11, s10
	s_mul_i32 s2, s20, s8
	v_lshlrev_b64 v[10:11], 3, v[10:11]
	s_lshl_b64 s[2:3], s[2:3], 3
	v_mov_b32_e32 v7, s3
	v_add_co_u32_e64 v12, s[2:3], s2, v10
	v_addc_co_u32_e64 v7, s[2:3], v7, v11, s[2:3]
	v_lshlrev_b64 v[10:11], 3, v[2:3]
	s_lshl_b64 s[6:7], s[24:25], 7
	v_add_co_u32_e64 v10, s[2:3], v12, v10
	v_addc_co_u32_e64 v7, s[2:3], v7, v11, s[2:3]
	v_mov_b32_e32 v11, s17
	v_add_co_u32_e64 v10, s[2:3], s16, v10
	v_addc_co_u32_e64 v11, s[2:3], v11, v7, s[2:3]
	s_lshl_b64 s[2:3], s[18:19], 7
	v_mov_b32_e32 v12, s12
	v_mov_b32_e32 v6, 0
	v_add_u32_e32 v17, v16, v14
	s_mov_b64 s[10:11], 0
	s_xor_b64 s[16:17], s[0:1], -1
	s_xor_b64 s[18:19], vcc, -1
	v_mov_b32_e32 v20, s7
	v_mov_b32_e32 v21, s3
	;; [unrolled: 1-line block ×5, first 2 shown]
	s_branch .LBB1284_3
.LBB1284_2:                             ;   in Loop: Header=BB1284_3 Depth=1
	s_or_b64 exec, exec, s[0:1]
	ds_write_b32 v17, v7 offset:4
	s_waitcnt lgkmcnt(0)
	s_barrier
	ds_read2_b64 v[22:25], v14 offset1:16
	ds_read_b128 v[26:29], v16
	ds_read_b128 v[30:33], v16 offset:16
	ds_read2_b64 v[34:37], v14 offset0:32 offset1:48
	s_add_u32 s10, s10, 16
	v_add_co_u32_e32 v8, vcc, s6, v8
	s_waitcnt lgkmcnt(2)
	v_mul_f32_e32 v7, v27, v23
	v_mul_f32_e32 v38, v26, v23
	v_fma_f32 v7, v26, v22, -v7
	v_fmac_f32_e32 v38, v27, v22
	v_mul_f32_e32 v22, v29, v25
	v_fma_f32 v39, v28, v24, -v22
	v_mul_f32_e32 v40, v28, v25
	s_waitcnt lgkmcnt(0)
	v_mul_f32_e32 v22, v31, v35
	v_fmac_f32_e32 v40, v29, v24
	v_fma_f32 v41, v30, v34, -v22
	ds_read2_b64 v[22:25], v14 offset0:64 offset1:80
	ds_read_b128 v[26:29], v16 offset:32
	v_mul_f32_e32 v42, v30, v35
	v_fmac_f32_e32 v42, v31, v34
	v_mul_f32_e32 v30, v33, v37
	v_mul_f32_e32 v44, v32, v37
	s_waitcnt lgkmcnt(0)
	v_mul_f32_e32 v34, v27, v23
	v_fma_f32 v43, v32, v36, -v30
	v_fmac_f32_e32 v44, v33, v36
	ds_read_b128 v[30:33], v16 offset:48
	v_fma_f32 v45, v26, v22, -v34
	ds_read2_b64 v[34:37], v14 offset0:96 offset1:112
	v_mul_f32_e32 v46, v26, v23
	v_fmac_f32_e32 v46, v27, v22
	v_mul_f32_e32 v22, v29, v25
	v_fma_f32 v47, v28, v24, -v22
	v_mul_f32_e32 v48, v28, v25
	s_waitcnt lgkmcnt(0)
	v_mul_f32_e32 v22, v31, v35
	v_fmac_f32_e32 v48, v29, v24
	v_fma_f32 v49, v30, v34, -v22
	ds_read2_b64 v[22:25], v14 offset0:128 offset1:144
	ds_read_b128 v[26:29], v16 offset:64
	v_mul_f32_e32 v50, v30, v35
	v_fmac_f32_e32 v50, v31, v34
	v_mul_f32_e32 v30, v33, v37
	v_mul_f32_e32 v52, v32, v37
	s_waitcnt lgkmcnt(0)
	v_mul_f32_e32 v34, v27, v23
	v_fma_f32 v51, v32, v36, -v30
	v_fmac_f32_e32 v52, v33, v36
	ds_read_b128 v[30:33], v16 offset:80
	v_fma_f32 v53, v26, v22, -v34
	ds_read2_b64 v[34:37], v14 offset0:160 offset1:176
	v_mul_f32_e32 v54, v26, v23
	v_fmac_f32_e32 v54, v27, v22
	v_mul_f32_e32 v22, v29, v25
	v_fma_f32 v55, v28, v24, -v22
	v_mul_f32_e32 v56, v28, v25
	s_waitcnt lgkmcnt(0)
	v_mul_f32_e32 v22, v31, v35
	v_add_f32_e32 v7, v19, v7
	v_add_f32_e32 v18, v18, v38
	v_fmac_f32_e32 v56, v29, v24
	v_fma_f32 v57, v30, v34, -v22
	ds_read2_b64 v[22:25], v14 offset0:192 offset1:208
	ds_read_b128 v[26:29], v16 offset:96
	v_add_f32_e32 v7, v7, v39
	v_add_f32_e32 v18, v18, v40
	;; [unrolled: 1-line block ×8, first 2 shown]
	v_mul_f32_e32 v58, v30, v35
	v_add_f32_e32 v7, v7, v47
	v_add_f32_e32 v18, v18, v48
	v_fmac_f32_e32 v58, v31, v34
	v_mul_f32_e32 v30, v33, v37
	v_mul_f32_e32 v60, v32, v37
	s_waitcnt lgkmcnt(0)
	v_mul_f32_e32 v34, v27, v23
	v_add_f32_e32 v7, v7, v49
	v_add_f32_e32 v18, v18, v50
	v_fma_f32 v59, v32, v36, -v30
	v_fmac_f32_e32 v60, v33, v36
	ds_read_b128 v[30:33], v16 offset:112
	v_fma_f32 v61, v26, v22, -v34
	ds_read2_b64 v[34:37], v14 offset0:224 offset1:240
	v_add_f32_e32 v7, v7, v51
	v_add_f32_e32 v18, v18, v52
	;; [unrolled: 1-line block ×6, first 2 shown]
	v_mul_f32_e32 v23, v26, v23
	v_add_f32_e32 v7, v7, v57
	v_add_f32_e32 v18, v18, v58
	v_fmac_f32_e32 v23, v27, v22
	v_mul_f32_e32 v22, v29, v25
	v_mul_f32_e32 v25, v28, v25
	v_add_f32_e32 v7, v7, v59
	v_add_f32_e32 v18, v18, v60
	v_fma_f32 v22, v28, v24, -v22
	v_fmac_f32_e32 v25, v29, v24
	s_waitcnt lgkmcnt(0)
	v_mul_f32_e32 v24, v31, v35
	v_mul_f32_e32 v26, v30, v35
	v_add_f32_e32 v7, v7, v61
	v_add_f32_e32 v18, v18, v23
	s_addc_u32 s11, s11, 0
	v_addc_co_u32_e32 v9, vcc, v9, v20, vcc
	v_fma_f32 v24, v30, v34, -v24
	v_fmac_f32_e32 v26, v31, v34
	v_mul_f32_e32 v27, v33, v37
	v_mul_f32_e32 v28, v32, v37
	v_add_f32_e32 v7, v7, v22
	v_add_f32_e32 v18, v18, v25
	v_cmp_ge_i64_e32 vcc, s[10:11], v[12:13]
	v_fma_f32 v27, v32, v36, -v27
	v_fmac_f32_e32 v28, v33, v36
	v_add_f32_e32 v7, v7, v24
	v_add_f32_e32 v18, v18, v26
	v_add_co_u32_e64 v10, s[0:1], s2, v10
	v_add_f32_e32 v19, v7, v27
	v_add_f32_e32 v18, v18, v28
	v_addc_co_u32_e64 v11, s[0:1], v11, v21, s[0:1]
	s_barrier
	s_cbranch_vccnz .LBB1284_12
.LBB1284_3:                             ; =>This Inner Loop Header: Depth=1
	v_mov_b32_e32 v7, s11
	v_add_co_u32_e32 v22, vcc, s10, v1
	v_addc_co_u32_e32 v23, vcc, 0, v7, vcc
	v_cmp_le_i64_e32 vcc, s[12:13], v[22:23]
	s_or_b64 s[0:1], s[16:17], vcc
	s_and_saveexec_b64 s[20:21], s[0:1]
	s_xor_b64 s[0:1], exec, s[20:21]
; %bb.4:                                ;   in Loop: Header=BB1284_3 Depth=1
	v_mov_b32_e32 v7, v6
	ds_write_b64 v15, v[6:7]
; %bb.5:                                ;   in Loop: Header=BB1284_3 Depth=1
	s_andn2_saveexec_b64 s[0:1], s[0:1]
	s_cbranch_execz .LBB1284_7
; %bb.6:                                ;   in Loop: Header=BB1284_3 Depth=1
	global_load_dwordx2 v[22:23], v[10:11], off
	s_waitcnt vmcnt(0)
	ds_write_b64 v15, v[22:23]
.LBB1284_7:                             ;   in Loop: Header=BB1284_3 Depth=1
	s_or_b64 exec, exec, s[0:1]
	v_mov_b32_e32 v7, s11
	v_add_co_u32_e32 v22, vcc, s10, v0
	v_addc_co_u32_e32 v23, vcc, 0, v7, vcc
	v_cmp_le_i64_e32 vcc, s[12:13], v[22:23]
	s_or_b64 s[0:1], s[18:19], vcc
	s_and_saveexec_b64 s[20:21], s[0:1]
	s_xor_b64 s[0:1], exec, s[20:21]
; %bb.8:                                ;   in Loop: Header=BB1284_3 Depth=1
	ds_write_b32 v17, v6
; %bb.9:                                ;   in Loop: Header=BB1284_3 Depth=1
	s_or_saveexec_b64 s[0:1], s[0:1]
	v_mov_b32_e32 v7, 0
	s_xor_b64 exec, exec, s[0:1]
	s_cbranch_execz .LBB1284_2
; %bb.10:                               ;   in Loop: Header=BB1284_3 Depth=1
	global_load_dwordx2 v[22:23], v[8:9], off offset:-4
	s_waitcnt vmcnt(0)
	v_xor_b32_e32 v7, 0x80000000, v23
	ds_write_b32 v17, v22
	s_branch .LBB1284_2
.LBB1284_11:
	v_mov_b32_e32 v18, 0
	v_mov_b32_e32 v19, 0
.LBB1284_12:
	v_cmp_le_i32_e32 vcc, v4, v2
	v_cmp_gt_i32_e64 s[0:1], s9, v2
	s_and_b64 s[0:1], vcc, s[0:1]
	s_and_saveexec_b64 s[2:3], s[0:1]
	s_cbranch_execz .LBB1284_15
; %bb.13:
	s_load_dwordx2 s[6:7], s[4:5], 0x60
	s_load_dwordx4 s[0:3], s[4:5], 0x50
	v_mul_f32_e32 v6, s15, v18
	s_waitcnt lgkmcnt(0)
	s_mul_i32 s5, s7, s8
	s_mul_hi_u32 s7, s6, s8
	s_mul_i32 s4, s6, s8
	s_add_i32 s5, s7, s5
	s_lshl_b64 s[4:5], s[4:5], 3
	s_add_u32 s4, s0, s4
	s_addc_u32 s5, s1, s5
	v_mul_lo_u32 v7, s3, v4
	v_mul_lo_u32 v8, s2, v5
	v_mad_u64_u32 v[0:1], s[0:1], s2, v4, 0
	v_fma_f32 v5, v19, s14, -v6
	v_mul_f32_e32 v6, s14, v18
	v_add3_u32 v1, v1, v8, v7
	v_lshlrev_b64 v[0:1], 3, v[0:1]
	v_mov_b32_e32 v7, s5
	v_add_co_u32_e32 v8, vcc, s4, v0
	v_addc_co_u32_e32 v7, vcc, v7, v1, vcc
	v_lshlrev_b64 v[0:1], 3, v[2:3]
	v_fmac_f32_e32 v6, s15, v19
	v_add_co_u32_e32 v0, vcc, v8, v0
	v_addc_co_u32_e32 v1, vcc, v7, v1, vcc
	v_cmp_eq_u32_e32 vcc, v2, v4
	global_store_dwordx2 v[0:1], v[5:6], off
	s_and_b64 exec, exec, vcc
	s_cbranch_execz .LBB1284_15
; %bb.14:
	v_mov_b32_e32 v2, 0
	global_store_dword v[0:1], v2, off offset:4
.LBB1284_15:
	s_endpgm
	.section	.rodata,"a",@progbits
	.p2align	6, 0x0
	.amdhsa_kernel _ZL32rocblas_syrkx_herkx_small_kernelIl19rocblas_complex_numIfELi16ELb1ELb1ELc78ELc76EKS1_S1_EviT_T0_PT6_S3_lS6_S3_lS4_PT7_S3_li
		.amdhsa_group_segment_fixed_size 4096
		.amdhsa_private_segment_fixed_size 0
		.amdhsa_kernarg_size 108
		.amdhsa_user_sgpr_count 6
		.amdhsa_user_sgpr_private_segment_buffer 1
		.amdhsa_user_sgpr_dispatch_ptr 0
		.amdhsa_user_sgpr_queue_ptr 0
		.amdhsa_user_sgpr_kernarg_segment_ptr 1
		.amdhsa_user_sgpr_dispatch_id 0
		.amdhsa_user_sgpr_flat_scratch_init 0
		.amdhsa_user_sgpr_private_segment_size 0
		.amdhsa_uses_dynamic_stack 0
		.amdhsa_system_sgpr_private_segment_wavefront_offset 0
		.amdhsa_system_sgpr_workgroup_id_x 1
		.amdhsa_system_sgpr_workgroup_id_y 1
		.amdhsa_system_sgpr_workgroup_id_z 1
		.amdhsa_system_sgpr_workgroup_info 0
		.amdhsa_system_vgpr_workitem_id 1
		.amdhsa_next_free_vgpr 62
		.amdhsa_next_free_sgpr 28
		.amdhsa_reserve_vcc 1
		.amdhsa_reserve_flat_scratch 0
		.amdhsa_float_round_mode_32 0
		.amdhsa_float_round_mode_16_64 0
		.amdhsa_float_denorm_mode_32 3
		.amdhsa_float_denorm_mode_16_64 3
		.amdhsa_dx10_clamp 1
		.amdhsa_ieee_mode 1
		.amdhsa_fp16_overflow 0
		.amdhsa_exception_fp_ieee_invalid_op 0
		.amdhsa_exception_fp_denorm_src 0
		.amdhsa_exception_fp_ieee_div_zero 0
		.amdhsa_exception_fp_ieee_overflow 0
		.amdhsa_exception_fp_ieee_underflow 0
		.amdhsa_exception_fp_ieee_inexact 0
		.amdhsa_exception_int_div_zero 0
	.end_amdhsa_kernel
	.section	.text._ZL32rocblas_syrkx_herkx_small_kernelIl19rocblas_complex_numIfELi16ELb1ELb1ELc78ELc76EKS1_S1_EviT_T0_PT6_S3_lS6_S3_lS4_PT7_S3_li,"axG",@progbits,_ZL32rocblas_syrkx_herkx_small_kernelIl19rocblas_complex_numIfELi16ELb1ELb1ELc78ELc76EKS1_S1_EviT_T0_PT6_S3_lS6_S3_lS4_PT7_S3_li,comdat
.Lfunc_end1284:
	.size	_ZL32rocblas_syrkx_herkx_small_kernelIl19rocblas_complex_numIfELi16ELb1ELb1ELc78ELc76EKS1_S1_EviT_T0_PT6_S3_lS6_S3_lS4_PT7_S3_li, .Lfunc_end1284-_ZL32rocblas_syrkx_herkx_small_kernelIl19rocblas_complex_numIfELi16ELb1ELb1ELc78ELc76EKS1_S1_EviT_T0_PT6_S3_lS6_S3_lS4_PT7_S3_li
                                        ; -- End function
	.set _ZL32rocblas_syrkx_herkx_small_kernelIl19rocblas_complex_numIfELi16ELb1ELb1ELc78ELc76EKS1_S1_EviT_T0_PT6_S3_lS6_S3_lS4_PT7_S3_li.num_vgpr, 62
	.set _ZL32rocblas_syrkx_herkx_small_kernelIl19rocblas_complex_numIfELi16ELb1ELb1ELc78ELc76EKS1_S1_EviT_T0_PT6_S3_lS6_S3_lS4_PT7_S3_li.num_agpr, 0
	.set _ZL32rocblas_syrkx_herkx_small_kernelIl19rocblas_complex_numIfELi16ELb1ELb1ELc78ELc76EKS1_S1_EviT_T0_PT6_S3_lS6_S3_lS4_PT7_S3_li.numbered_sgpr, 28
	.set _ZL32rocblas_syrkx_herkx_small_kernelIl19rocblas_complex_numIfELi16ELb1ELb1ELc78ELc76EKS1_S1_EviT_T0_PT6_S3_lS6_S3_lS4_PT7_S3_li.num_named_barrier, 0
	.set _ZL32rocblas_syrkx_herkx_small_kernelIl19rocblas_complex_numIfELi16ELb1ELb1ELc78ELc76EKS1_S1_EviT_T0_PT6_S3_lS6_S3_lS4_PT7_S3_li.private_seg_size, 0
	.set _ZL32rocblas_syrkx_herkx_small_kernelIl19rocblas_complex_numIfELi16ELb1ELb1ELc78ELc76EKS1_S1_EviT_T0_PT6_S3_lS6_S3_lS4_PT7_S3_li.uses_vcc, 1
	.set _ZL32rocblas_syrkx_herkx_small_kernelIl19rocblas_complex_numIfELi16ELb1ELb1ELc78ELc76EKS1_S1_EviT_T0_PT6_S3_lS6_S3_lS4_PT7_S3_li.uses_flat_scratch, 0
	.set _ZL32rocblas_syrkx_herkx_small_kernelIl19rocblas_complex_numIfELi16ELb1ELb1ELc78ELc76EKS1_S1_EviT_T0_PT6_S3_lS6_S3_lS4_PT7_S3_li.has_dyn_sized_stack, 0
	.set _ZL32rocblas_syrkx_herkx_small_kernelIl19rocblas_complex_numIfELi16ELb1ELb1ELc78ELc76EKS1_S1_EviT_T0_PT6_S3_lS6_S3_lS4_PT7_S3_li.has_recursion, 0
	.set _ZL32rocblas_syrkx_herkx_small_kernelIl19rocblas_complex_numIfELi16ELb1ELb1ELc78ELc76EKS1_S1_EviT_T0_PT6_S3_lS6_S3_lS4_PT7_S3_li.has_indirect_call, 0
	.section	.AMDGPU.csdata,"",@progbits
; Kernel info:
; codeLenInByte = 1416
; TotalNumSgprs: 32
; NumVgprs: 62
; ScratchSize: 0
; MemoryBound: 1
; FloatMode: 240
; IeeeMode: 1
; LDSByteSize: 4096 bytes/workgroup (compile time only)
; SGPRBlocks: 3
; VGPRBlocks: 15
; NumSGPRsForWavesPerEU: 32
; NumVGPRsForWavesPerEU: 62
; Occupancy: 4
; WaveLimiterHint : 0
; COMPUTE_PGM_RSRC2:SCRATCH_EN: 0
; COMPUTE_PGM_RSRC2:USER_SGPR: 6
; COMPUTE_PGM_RSRC2:TRAP_HANDLER: 0
; COMPUTE_PGM_RSRC2:TGID_X_EN: 1
; COMPUTE_PGM_RSRC2:TGID_Y_EN: 1
; COMPUTE_PGM_RSRC2:TGID_Z_EN: 1
; COMPUTE_PGM_RSRC2:TIDIG_COMP_CNT: 1
	.section	.text._ZL32rocblas_syrkx_herkx_small_kernelIl19rocblas_complex_numIfELi16ELb1ELb1ELc84ELc85EKS1_S1_EviT_T0_PT6_S3_lS6_S3_lS4_PT7_S3_li,"axG",@progbits,_ZL32rocblas_syrkx_herkx_small_kernelIl19rocblas_complex_numIfELi16ELb1ELb1ELc84ELc85EKS1_S1_EviT_T0_PT6_S3_lS6_S3_lS4_PT7_S3_li,comdat
	.globl	_ZL32rocblas_syrkx_herkx_small_kernelIl19rocblas_complex_numIfELi16ELb1ELb1ELc84ELc85EKS1_S1_EviT_T0_PT6_S3_lS6_S3_lS4_PT7_S3_li ; -- Begin function _ZL32rocblas_syrkx_herkx_small_kernelIl19rocblas_complex_numIfELi16ELb1ELb1ELc84ELc85EKS1_S1_EviT_T0_PT6_S3_lS6_S3_lS4_PT7_S3_li
	.p2align	8
	.type	_ZL32rocblas_syrkx_herkx_small_kernelIl19rocblas_complex_numIfELi16ELb1ELb1ELc84ELc85EKS1_S1_EviT_T0_PT6_S3_lS6_S3_lS4_PT7_S3_li,@function
_ZL32rocblas_syrkx_herkx_small_kernelIl19rocblas_complex_numIfELi16ELb1ELb1ELc84ELc85EKS1_S1_EviT_T0_PT6_S3_lS6_S3_lS4_PT7_S3_li: ; @_ZL32rocblas_syrkx_herkx_small_kernelIl19rocblas_complex_numIfELi16ELb1ELb1ELc84ELc85EKS1_S1_EviT_T0_PT6_S3_lS6_S3_lS4_PT7_S3_li
; %bb.0:
	s_load_dwordx16 s[12:27], s[4:5], 0x8
	s_load_dword s9, s[4:5], 0x0
	v_lshl_add_u32 v2, s6, 4, v0
	v_lshl_add_u32 v12, s7, 4, v1
	v_ashrrev_i32_e32 v3, 31, v2
	s_waitcnt lgkmcnt(0)
	v_cmp_lt_i64_e64 s[0:1], s[12:13], 1
	v_ashrrev_i32_e32 v13, 31, v12
	s_and_b64 vcc, exec, s[0:1]
	v_cmp_gt_i32_e64 s[0:1], s9, v12
	s_cbranch_vccnz .LBB1285_11
; %bb.1:
	v_mul_lo_u32 v8, s25, v12
	v_mul_lo_u32 v9, s24, v13
	v_mad_u64_u32 v[5:6], s[2:3], s24, v12, 0
	s_mul_i32 s2, s27, s8
	s_mul_hi_u32 s3, s26, s8
	v_add3_u32 v6, v6, v9, v8
	v_lshlrev_b64 v[5:6], 3, v[5:6]
	s_add_i32 s3, s3, s2
	s_mul_i32 s2, s26, s8
	v_lshlrev_b32_e32 v7, 7, v1
	v_lshlrev_b32_e32 v14, 3, v0
	s_lshl_b64 s[2:3], s[2:3], 3
	v_add_u32_e32 v15, v14, v7
	v_add_u32_e32 v16, 0x800, v7
	v_mov_b32_e32 v7, s3
	v_add_co_u32_e64 v5, s[2:3], s2, v5
	v_addc_co_u32_e64 v6, s[2:3], v6, v7, s[2:3]
	v_add_co_u32_e64 v5, s[2:3], v5, v14
	v_addc_co_u32_e64 v7, s[2:3], 0, v6, s[2:3]
	v_mul_lo_u32 v11, s19, v2
	v_mul_lo_u32 v18, s18, v3
	v_mad_u64_u32 v[8:9], s[2:3], s18, v2, 0
	v_mov_b32_e32 v10, s23
	v_add_co_u32_e64 v6, s[2:3], s22, v5
	v_addc_co_u32_e64 v7, s[2:3], v10, v7, s[2:3]
	v_add3_u32 v9, v9, v18, v11
	s_mul_i32 s2, s21, s8
	s_mul_hi_u32 s3, s20, s8
	v_lshlrev_b64 v[8:9], 3, v[8:9]
	s_add_i32 s3, s3, s2
	s_mul_i32 s2, s20, s8
	s_lshl_b64 s[2:3], s[2:3], 3
	v_mov_b32_e32 v5, s3
	v_add_co_u32_e64 v8, s[2:3], s2, v8
	v_addc_co_u32_e64 v5, s[2:3], v9, v5, s[2:3]
	v_lshlrev_b32_e32 v9, 3, v1
	v_add_co_u32_e64 v8, s[2:3], v8, v9
	v_addc_co_u32_e64 v5, s[2:3], 0, v5, s[2:3]
	v_mov_b32_e32 v9, s17
	v_add_co_u32_e64 v8, s[2:3], s16, v8
	v_cmp_gt_i32_e32 vcc, s9, v2
	v_addc_co_u32_e64 v9, s[2:3], v9, v5, s[2:3]
	v_mov_b32_e32 v10, s12
	v_mov_b32_e32 v4, 0
	v_add_u32_e32 v17, v16, v14
	s_mov_b64 s[2:3], 0
	s_xor_b64 s[6:7], vcc, -1
	s_xor_b64 s[10:11], s[0:1], -1
	v_mov_b32_e32 v11, s13
	v_mov_b32_e32 v18, 0
	;; [unrolled: 1-line block ×3, first 2 shown]
	s_branch .LBB1285_3
.LBB1285_2:                             ;   in Loop: Header=BB1285_3 Depth=1
	s_or_b64 exec, exec, s[0:1]
	s_waitcnt lgkmcnt(0)
	s_barrier
	ds_read2_b64 v[20:23], v14 offset1:16
	ds_read_b128 v[24:27], v16
	ds_read_b128 v[28:31], v16 offset:16
	ds_read2_b64 v[32:35], v14 offset0:32 offset1:48
	s_add_u32 s2, s2, 16
	v_add_co_u32_e32 v6, vcc, 0x80, v6
	s_waitcnt lgkmcnt(2)
	v_mul_f32_e32 v5, v25, v21
	v_mul_f32_e32 v36, v24, v21
	v_fma_f32 v5, v24, v20, -v5
	v_fmac_f32_e32 v36, v25, v20
	v_mul_f32_e32 v20, v27, v23
	v_fma_f32 v37, v26, v22, -v20
	v_mul_f32_e32 v38, v26, v23
	s_waitcnt lgkmcnt(0)
	v_mul_f32_e32 v20, v29, v33
	v_fmac_f32_e32 v38, v27, v22
	v_fma_f32 v39, v28, v32, -v20
	ds_read2_b64 v[20:23], v14 offset0:64 offset1:80
	ds_read_b128 v[24:27], v16 offset:32
	v_mul_f32_e32 v40, v28, v33
	v_fmac_f32_e32 v40, v29, v32
	v_mul_f32_e32 v28, v31, v35
	v_mul_f32_e32 v42, v30, v35
	s_waitcnt lgkmcnt(0)
	v_mul_f32_e32 v32, v25, v21
	v_fma_f32 v41, v30, v34, -v28
	v_fmac_f32_e32 v42, v31, v34
	ds_read_b128 v[28:31], v16 offset:48
	v_fma_f32 v43, v24, v20, -v32
	ds_read2_b64 v[32:35], v14 offset0:96 offset1:112
	v_mul_f32_e32 v44, v24, v21
	v_fmac_f32_e32 v44, v25, v20
	v_mul_f32_e32 v20, v27, v23
	v_fma_f32 v45, v26, v22, -v20
	v_mul_f32_e32 v46, v26, v23
	s_waitcnt lgkmcnt(0)
	v_mul_f32_e32 v20, v29, v33
	v_fmac_f32_e32 v46, v27, v22
	v_fma_f32 v47, v28, v32, -v20
	ds_read2_b64 v[20:23], v14 offset0:128 offset1:144
	ds_read_b128 v[24:27], v16 offset:64
	v_mul_f32_e32 v48, v28, v33
	v_fmac_f32_e32 v48, v29, v32
	v_mul_f32_e32 v28, v31, v35
	v_mul_f32_e32 v50, v30, v35
	s_waitcnt lgkmcnt(0)
	v_mul_f32_e32 v32, v25, v21
	v_fma_f32 v49, v30, v34, -v28
	v_fmac_f32_e32 v50, v31, v34
	ds_read_b128 v[28:31], v16 offset:80
	v_fma_f32 v51, v24, v20, -v32
	ds_read2_b64 v[32:35], v14 offset0:160 offset1:176
	v_mul_f32_e32 v52, v24, v21
	v_add_f32_e32 v18, v18, v36
	v_fmac_f32_e32 v52, v25, v20
	v_mul_f32_e32 v20, v27, v23
	v_add_f32_e32 v18, v18, v38
	v_fma_f32 v53, v26, v22, -v20
	v_mul_f32_e32 v54, v26, v23
	s_waitcnt lgkmcnt(0)
	v_mul_f32_e32 v20, v29, v33
	v_add_f32_e32 v18, v18, v40
	v_fmac_f32_e32 v54, v27, v22
	v_fma_f32 v55, v28, v32, -v20
	ds_read2_b64 v[20:23], v14 offset0:192 offset1:208
	ds_read_b128 v[24:27], v16 offset:96
	v_add_f32_e32 v18, v18, v42
	v_add_f32_e32 v18, v18, v44
	;; [unrolled: 1-line block ×6, first 2 shown]
	v_mul_f32_e32 v33, v28, v33
	v_mul_f32_e32 v28, v31, v35
	;; [unrolled: 1-line block ×3, first 2 shown]
	v_add_f32_e32 v5, v5, v39
	v_add_f32_e32 v18, v18, v50
	v_fmac_f32_e32 v33, v29, v32
	v_fma_f32 v32, v30, v34, -v28
	v_fmac_f32_e32 v35, v31, v34
	s_waitcnt lgkmcnt(0)
	v_mul_f32_e32 v34, v25, v21
	v_add_f32_e32 v5, v5, v41
	v_add_f32_e32 v18, v18, v52
	v_fma_f32 v34, v24, v20, -v34
	v_mul_f32_e32 v24, v24, v21
	v_add_f32_e32 v5, v5, v43
	v_add_f32_e32 v18, v18, v54
	v_fmac_f32_e32 v24, v25, v20
	v_mul_f32_e32 v20, v27, v23
	v_mul_f32_e32 v23, v26, v23
	v_add_f32_e32 v5, v5, v45
	v_add_f32_e32 v18, v18, v33
	ds_read_b128 v[28:31], v16 offset:112
	v_fma_f32 v25, v26, v22, -v20
	v_fmac_f32_e32 v23, v27, v22
	v_add_f32_e32 v5, v5, v47
	v_add_f32_e32 v22, v18, v35
	ds_read2_b64 v[18:21], v14 offset0:224 offset1:240
	v_add_f32_e32 v5, v5, v49
	v_add_f32_e32 v5, v5, v51
	;; [unrolled: 1-line block ×7, first 2 shown]
	s_waitcnt lgkmcnt(0)
	v_mul_f32_e32 v23, v29, v19
	v_mul_f32_e32 v19, v28, v19
	v_add_f32_e32 v5, v5, v34
	v_fmac_f32_e32 v19, v29, v18
	s_addc_u32 s3, s3, 0
	v_addc_co_u32_e32 v7, vcc, 0, v7, vcc
	v_add_f32_e32 v5, v5, v25
	v_fma_f32 v23, v28, v18, -v23
	v_add_f32_e32 v18, v22, v19
	v_mul_f32_e32 v19, v31, v21
	v_mul_f32_e32 v21, v30, v21
	v_add_co_u32_e32 v8, vcc, 0x80, v8
	v_cmp_ge_i64_e64 s[0:1], s[2:3], v[10:11]
	v_add_f32_e32 v5, v5, v23
	v_fma_f32 v19, v30, v20, -v19
	v_fmac_f32_e32 v21, v31, v20
	v_addc_co_u32_e32 v9, vcc, 0, v9, vcc
	v_add_f32_e32 v19, v5, v19
	v_add_f32_e32 v18, v18, v21
	s_and_b64 vcc, exec, s[0:1]
	s_barrier
	s_cbranch_vccnz .LBB1285_12
.LBB1285_3:                             ; =>This Inner Loop Header: Depth=1
	v_mov_b32_e32 v5, s3
	v_add_co_u32_e32 v20, vcc, s2, v1
	v_addc_co_u32_e32 v21, vcc, 0, v5, vcc
	v_cmp_le_i64_e32 vcc, s[12:13], v[20:21]
	s_or_b64 s[0:1], s[6:7], vcc
	s_and_saveexec_b64 s[16:17], s[0:1]
	s_xor_b64 s[0:1], exec, s[16:17]
; %bb.4:                                ;   in Loop: Header=BB1285_3 Depth=1
	v_mov_b32_e32 v5, v4
	ds_write_b64 v15, v[4:5]
; %bb.5:                                ;   in Loop: Header=BB1285_3 Depth=1
	s_andn2_saveexec_b64 s[0:1], s[0:1]
	s_cbranch_execz .LBB1285_7
; %bb.6:                                ;   in Loop: Header=BB1285_3 Depth=1
	global_load_dwordx2 v[20:21], v[8:9], off
	s_waitcnt vmcnt(0)
	ds_write_b64 v15, v[20:21]
.LBB1285_7:                             ;   in Loop: Header=BB1285_3 Depth=1
	s_or_b64 exec, exec, s[0:1]
	v_mov_b32_e32 v5, s3
	v_add_co_u32_e32 v20, vcc, s2, v0
	v_addc_co_u32_e32 v21, vcc, 0, v5, vcc
	v_cmp_le_i64_e32 vcc, s[12:13], v[20:21]
	s_or_b64 s[0:1], s[10:11], vcc
	s_and_saveexec_b64 s[16:17], s[0:1]
	s_xor_b64 s[0:1], exec, s[16:17]
; %bb.8:                                ;   in Loop: Header=BB1285_3 Depth=1
	v_mov_b32_e32 v5, v4
	ds_write_b64 v17, v[4:5]
; %bb.9:                                ;   in Loop: Header=BB1285_3 Depth=1
	s_andn2_saveexec_b64 s[0:1], s[0:1]
	s_cbranch_execz .LBB1285_2
; %bb.10:                               ;   in Loop: Header=BB1285_3 Depth=1
	global_load_dwordx2 v[20:21], v[6:7], off
	s_waitcnt vmcnt(0)
	ds_write_b64 v17, v[20:21]
	s_branch .LBB1285_2
.LBB1285_11:
	v_mov_b32_e32 v18, 0
	v_mov_b32_e32 v19, 0
.LBB1285_12:
	v_cmp_le_i32_e32 vcc, v2, v12
	v_cmp_gt_i32_e64 s[0:1], s9, v12
	s_and_b64 s[0:1], vcc, s[0:1]
	s_and_saveexec_b64 s[2:3], s[0:1]
	s_cbranch_execz .LBB1285_15
; %bb.13:
	s_load_dwordx2 s[6:7], s[4:5], 0x60
	s_load_dwordx4 s[0:3], s[4:5], 0x50
	v_mul_f32_e32 v4, s15, v18
	v_mul_f32_e32 v5, s14, v18
	v_fma_f32 v4, v19, s14, -v4
	s_waitcnt lgkmcnt(0)
	s_mul_i32 s5, s7, s8
	s_mul_hi_u32 s7, s6, s8
	s_mul_i32 s4, s6, s8
	s_add_i32 s5, s7, s5
	s_lshl_b64 s[4:5], s[4:5], 3
	s_add_u32 s4, s0, s4
	s_addc_u32 s5, s1, s5
	v_mul_lo_u32 v6, s3, v12
	v_mul_lo_u32 v7, s2, v13
	v_mad_u64_u32 v[0:1], s[0:1], s2, v12, 0
	v_fmac_f32_e32 v5, s15, v19
	v_add3_u32 v1, v1, v7, v6
	v_lshlrev_b64 v[0:1], 3, v[0:1]
	v_mov_b32_e32 v6, s5
	v_add_co_u32_e32 v7, vcc, s4, v0
	v_addc_co_u32_e32 v6, vcc, v6, v1, vcc
	v_lshlrev_b64 v[0:1], 3, v[2:3]
	v_add_co_u32_e32 v0, vcc, v7, v0
	v_addc_co_u32_e32 v1, vcc, v6, v1, vcc
	v_cmp_eq_u32_e32 vcc, v2, v12
	global_store_dwordx2 v[0:1], v[4:5], off
	s_and_b64 exec, exec, vcc
	s_cbranch_execz .LBB1285_15
; %bb.14:
	v_mov_b32_e32 v2, 0
	global_store_dword v[0:1], v2, off offset:4
.LBB1285_15:
	s_endpgm
	.section	.rodata,"a",@progbits
	.p2align	6, 0x0
	.amdhsa_kernel _ZL32rocblas_syrkx_herkx_small_kernelIl19rocblas_complex_numIfELi16ELb1ELb1ELc84ELc85EKS1_S1_EviT_T0_PT6_S3_lS6_S3_lS4_PT7_S3_li
		.amdhsa_group_segment_fixed_size 4096
		.amdhsa_private_segment_fixed_size 0
		.amdhsa_kernarg_size 108
		.amdhsa_user_sgpr_count 6
		.amdhsa_user_sgpr_private_segment_buffer 1
		.amdhsa_user_sgpr_dispatch_ptr 0
		.amdhsa_user_sgpr_queue_ptr 0
		.amdhsa_user_sgpr_kernarg_segment_ptr 1
		.amdhsa_user_sgpr_dispatch_id 0
		.amdhsa_user_sgpr_flat_scratch_init 0
		.amdhsa_user_sgpr_private_segment_size 0
		.amdhsa_uses_dynamic_stack 0
		.amdhsa_system_sgpr_private_segment_wavefront_offset 0
		.amdhsa_system_sgpr_workgroup_id_x 1
		.amdhsa_system_sgpr_workgroup_id_y 1
		.amdhsa_system_sgpr_workgroup_id_z 1
		.amdhsa_system_sgpr_workgroup_info 0
		.amdhsa_system_vgpr_workitem_id 1
		.amdhsa_next_free_vgpr 56
		.amdhsa_next_free_sgpr 28
		.amdhsa_reserve_vcc 1
		.amdhsa_reserve_flat_scratch 0
		.amdhsa_float_round_mode_32 0
		.amdhsa_float_round_mode_16_64 0
		.amdhsa_float_denorm_mode_32 3
		.amdhsa_float_denorm_mode_16_64 3
		.amdhsa_dx10_clamp 1
		.amdhsa_ieee_mode 1
		.amdhsa_fp16_overflow 0
		.amdhsa_exception_fp_ieee_invalid_op 0
		.amdhsa_exception_fp_denorm_src 0
		.amdhsa_exception_fp_ieee_div_zero 0
		.amdhsa_exception_fp_ieee_overflow 0
		.amdhsa_exception_fp_ieee_underflow 0
		.amdhsa_exception_fp_ieee_inexact 0
		.amdhsa_exception_int_div_zero 0
	.end_amdhsa_kernel
	.section	.text._ZL32rocblas_syrkx_herkx_small_kernelIl19rocblas_complex_numIfELi16ELb1ELb1ELc84ELc85EKS1_S1_EviT_T0_PT6_S3_lS6_S3_lS4_PT7_S3_li,"axG",@progbits,_ZL32rocblas_syrkx_herkx_small_kernelIl19rocblas_complex_numIfELi16ELb1ELb1ELc84ELc85EKS1_S1_EviT_T0_PT6_S3_lS6_S3_lS4_PT7_S3_li,comdat
.Lfunc_end1285:
	.size	_ZL32rocblas_syrkx_herkx_small_kernelIl19rocblas_complex_numIfELi16ELb1ELb1ELc84ELc85EKS1_S1_EviT_T0_PT6_S3_lS6_S3_lS4_PT7_S3_li, .Lfunc_end1285-_ZL32rocblas_syrkx_herkx_small_kernelIl19rocblas_complex_numIfELi16ELb1ELb1ELc84ELc85EKS1_S1_EviT_T0_PT6_S3_lS6_S3_lS4_PT7_S3_li
                                        ; -- End function
	.set _ZL32rocblas_syrkx_herkx_small_kernelIl19rocblas_complex_numIfELi16ELb1ELb1ELc84ELc85EKS1_S1_EviT_T0_PT6_S3_lS6_S3_lS4_PT7_S3_li.num_vgpr, 56
	.set _ZL32rocblas_syrkx_herkx_small_kernelIl19rocblas_complex_numIfELi16ELb1ELb1ELc84ELc85EKS1_S1_EviT_T0_PT6_S3_lS6_S3_lS4_PT7_S3_li.num_agpr, 0
	.set _ZL32rocblas_syrkx_herkx_small_kernelIl19rocblas_complex_numIfELi16ELb1ELb1ELc84ELc85EKS1_S1_EviT_T0_PT6_S3_lS6_S3_lS4_PT7_S3_li.numbered_sgpr, 28
	.set _ZL32rocblas_syrkx_herkx_small_kernelIl19rocblas_complex_numIfELi16ELb1ELb1ELc84ELc85EKS1_S1_EviT_T0_PT6_S3_lS6_S3_lS4_PT7_S3_li.num_named_barrier, 0
	.set _ZL32rocblas_syrkx_herkx_small_kernelIl19rocblas_complex_numIfELi16ELb1ELb1ELc84ELc85EKS1_S1_EviT_T0_PT6_S3_lS6_S3_lS4_PT7_S3_li.private_seg_size, 0
	.set _ZL32rocblas_syrkx_herkx_small_kernelIl19rocblas_complex_numIfELi16ELb1ELb1ELc84ELc85EKS1_S1_EviT_T0_PT6_S3_lS6_S3_lS4_PT7_S3_li.uses_vcc, 1
	.set _ZL32rocblas_syrkx_herkx_small_kernelIl19rocblas_complex_numIfELi16ELb1ELb1ELc84ELc85EKS1_S1_EviT_T0_PT6_S3_lS6_S3_lS4_PT7_S3_li.uses_flat_scratch, 0
	.set _ZL32rocblas_syrkx_herkx_small_kernelIl19rocblas_complex_numIfELi16ELb1ELb1ELc84ELc85EKS1_S1_EviT_T0_PT6_S3_lS6_S3_lS4_PT7_S3_li.has_dyn_sized_stack, 0
	.set _ZL32rocblas_syrkx_herkx_small_kernelIl19rocblas_complex_numIfELi16ELb1ELb1ELc84ELc85EKS1_S1_EviT_T0_PT6_S3_lS6_S3_lS4_PT7_S3_li.has_recursion, 0
	.set _ZL32rocblas_syrkx_herkx_small_kernelIl19rocblas_complex_numIfELi16ELb1ELb1ELc84ELc85EKS1_S1_EviT_T0_PT6_S3_lS6_S3_lS4_PT7_S3_li.has_indirect_call, 0
	.section	.AMDGPU.csdata,"",@progbits
; Kernel info:
; codeLenInByte = 1388
; TotalNumSgprs: 32
; NumVgprs: 56
; ScratchSize: 0
; MemoryBound: 1
; FloatMode: 240
; IeeeMode: 1
; LDSByteSize: 4096 bytes/workgroup (compile time only)
; SGPRBlocks: 3
; VGPRBlocks: 13
; NumSGPRsForWavesPerEU: 32
; NumVGPRsForWavesPerEU: 56
; Occupancy: 4
; WaveLimiterHint : 0
; COMPUTE_PGM_RSRC2:SCRATCH_EN: 0
; COMPUTE_PGM_RSRC2:USER_SGPR: 6
; COMPUTE_PGM_RSRC2:TRAP_HANDLER: 0
; COMPUTE_PGM_RSRC2:TGID_X_EN: 1
; COMPUTE_PGM_RSRC2:TGID_Y_EN: 1
; COMPUTE_PGM_RSRC2:TGID_Z_EN: 1
; COMPUTE_PGM_RSRC2:TIDIG_COMP_CNT: 1
	.section	.text._ZL32rocblas_syrkx_herkx_small_kernelIl19rocblas_complex_numIfELi16ELb1ELb1ELc67ELc85EKS1_S1_EviT_T0_PT6_S3_lS6_S3_lS4_PT7_S3_li,"axG",@progbits,_ZL32rocblas_syrkx_herkx_small_kernelIl19rocblas_complex_numIfELi16ELb1ELb1ELc67ELc85EKS1_S1_EviT_T0_PT6_S3_lS6_S3_lS4_PT7_S3_li,comdat
	.globl	_ZL32rocblas_syrkx_herkx_small_kernelIl19rocblas_complex_numIfELi16ELb1ELb1ELc67ELc85EKS1_S1_EviT_T0_PT6_S3_lS6_S3_lS4_PT7_S3_li ; -- Begin function _ZL32rocblas_syrkx_herkx_small_kernelIl19rocblas_complex_numIfELi16ELb1ELb1ELc67ELc85EKS1_S1_EviT_T0_PT6_S3_lS6_S3_lS4_PT7_S3_li
	.p2align	8
	.type	_ZL32rocblas_syrkx_herkx_small_kernelIl19rocblas_complex_numIfELi16ELb1ELb1ELc67ELc85EKS1_S1_EviT_T0_PT6_S3_lS6_S3_lS4_PT7_S3_li,@function
_ZL32rocblas_syrkx_herkx_small_kernelIl19rocblas_complex_numIfELi16ELb1ELb1ELc67ELc85EKS1_S1_EviT_T0_PT6_S3_lS6_S3_lS4_PT7_S3_li: ; @_ZL32rocblas_syrkx_herkx_small_kernelIl19rocblas_complex_numIfELi16ELb1ELb1ELc67ELc85EKS1_S1_EviT_T0_PT6_S3_lS6_S3_lS4_PT7_S3_li
; %bb.0:
	s_load_dwordx16 s[12:27], s[4:5], 0x8
	s_load_dword s9, s[4:5], 0x0
	v_lshl_add_u32 v2, s6, 4, v0
	v_lshl_add_u32 v12, s7, 4, v1
	v_ashrrev_i32_e32 v3, 31, v2
	s_waitcnt lgkmcnt(0)
	v_cmp_lt_i64_e64 s[0:1], s[12:13], 1
	v_ashrrev_i32_e32 v13, 31, v12
	s_and_b64 vcc, exec, s[0:1]
	v_cmp_gt_i32_e64 s[0:1], s9, v12
	s_cbranch_vccnz .LBB1286_11
; %bb.1:
	v_mul_lo_u32 v8, s25, v12
	v_mul_lo_u32 v9, s24, v13
	v_mad_u64_u32 v[5:6], s[2:3], s24, v12, 0
	s_mul_i32 s2, s27, s8
	s_mul_hi_u32 s3, s26, s8
	v_add3_u32 v6, v6, v9, v8
	v_lshlrev_b64 v[5:6], 3, v[5:6]
	s_add_i32 s3, s3, s2
	s_mul_i32 s2, s26, s8
	v_lshlrev_b32_e32 v7, 7, v1
	v_lshlrev_b32_e32 v14, 3, v0
	s_lshl_b64 s[2:3], s[2:3], 3
	v_add_u32_e32 v15, v14, v7
	v_add_u32_e32 v16, 0x800, v7
	v_mov_b32_e32 v7, s3
	v_add_co_u32_e64 v5, s[2:3], s2, v5
	v_addc_co_u32_e64 v6, s[2:3], v6, v7, s[2:3]
	v_add_co_u32_e64 v5, s[2:3], v5, v14
	v_addc_co_u32_e64 v7, s[2:3], 0, v6, s[2:3]
	v_mul_lo_u32 v11, s19, v2
	v_mul_lo_u32 v18, s18, v3
	v_mad_u64_u32 v[8:9], s[2:3], s18, v2, 0
	v_mov_b32_e32 v10, s23
	v_add_co_u32_e64 v6, s[2:3], s22, v5
	v_addc_co_u32_e64 v7, s[2:3], v10, v7, s[2:3]
	v_add3_u32 v9, v9, v18, v11
	s_mul_i32 s2, s21, s8
	s_mul_hi_u32 s3, s20, s8
	v_lshlrev_b64 v[8:9], 3, v[8:9]
	s_add_i32 s3, s3, s2
	s_mul_i32 s2, s20, s8
	s_lshl_b64 s[2:3], s[2:3], 3
	v_mov_b32_e32 v5, s3
	v_add_co_u32_e64 v8, s[2:3], s2, v8
	v_addc_co_u32_e64 v5, s[2:3], v9, v5, s[2:3]
	v_lshlrev_b32_e32 v9, 3, v1
	v_add_co_u32_e64 v8, s[2:3], v8, v9
	v_addc_co_u32_e64 v5, s[2:3], 0, v5, s[2:3]
	v_mov_b32_e32 v9, s17
	v_add_co_u32_e64 v8, s[2:3], s16, v8
	v_addc_co_u32_e64 v5, s[2:3], v9, v5, s[2:3]
	v_add_co_u32_e64 v8, s[2:3], 4, v8
	v_cmp_gt_i32_e32 vcc, s9, v2
	v_addc_co_u32_e64 v9, s[2:3], 0, v5, s[2:3]
	v_mov_b32_e32 v10, s12
	v_mov_b32_e32 v4, 0
	v_add_u32_e32 v17, v16, v14
	s_mov_b64 s[2:3], 0
	s_xor_b64 s[6:7], vcc, -1
	s_xor_b64 s[10:11], s[0:1], -1
	v_mov_b32_e32 v11, s13
	v_mov_b32_e32 v18, 0
	;; [unrolled: 1-line block ×3, first 2 shown]
	s_branch .LBB1286_3
.LBB1286_2:                             ;   in Loop: Header=BB1286_3 Depth=1
	s_or_b64 exec, exec, s[0:1]
	s_waitcnt lgkmcnt(0)
	s_barrier
	ds_read2_b64 v[20:23], v14 offset1:16
	ds_read_b128 v[24:27], v16
	ds_read_b128 v[28:31], v16 offset:16
	ds_read2_b64 v[32:35], v14 offset0:32 offset1:48
	s_add_u32 s2, s2, 16
	v_add_co_u32_e32 v6, vcc, 0x80, v6
	s_waitcnt lgkmcnt(2)
	v_mul_f32_e32 v5, v25, v21
	v_mul_f32_e32 v36, v24, v21
	v_fma_f32 v5, v24, v20, -v5
	v_fmac_f32_e32 v36, v25, v20
	v_mul_f32_e32 v20, v27, v23
	v_fma_f32 v37, v26, v22, -v20
	v_mul_f32_e32 v38, v26, v23
	s_waitcnt lgkmcnt(0)
	v_mul_f32_e32 v20, v29, v33
	v_fmac_f32_e32 v38, v27, v22
	v_fma_f32 v39, v28, v32, -v20
	ds_read2_b64 v[20:23], v14 offset0:64 offset1:80
	ds_read_b128 v[24:27], v16 offset:32
	v_mul_f32_e32 v40, v28, v33
	v_fmac_f32_e32 v40, v29, v32
	v_mul_f32_e32 v28, v31, v35
	v_mul_f32_e32 v42, v30, v35
	s_waitcnt lgkmcnt(0)
	v_mul_f32_e32 v32, v25, v21
	v_fma_f32 v41, v30, v34, -v28
	v_fmac_f32_e32 v42, v31, v34
	ds_read_b128 v[28:31], v16 offset:48
	v_fma_f32 v43, v24, v20, -v32
	ds_read2_b64 v[32:35], v14 offset0:96 offset1:112
	v_mul_f32_e32 v44, v24, v21
	v_fmac_f32_e32 v44, v25, v20
	v_mul_f32_e32 v20, v27, v23
	v_fma_f32 v45, v26, v22, -v20
	v_mul_f32_e32 v46, v26, v23
	s_waitcnt lgkmcnt(0)
	v_mul_f32_e32 v20, v29, v33
	v_fmac_f32_e32 v46, v27, v22
	v_fma_f32 v47, v28, v32, -v20
	ds_read2_b64 v[20:23], v14 offset0:128 offset1:144
	ds_read_b128 v[24:27], v16 offset:64
	v_mul_f32_e32 v48, v28, v33
	v_fmac_f32_e32 v48, v29, v32
	v_mul_f32_e32 v28, v31, v35
	v_mul_f32_e32 v50, v30, v35
	s_waitcnt lgkmcnt(0)
	v_mul_f32_e32 v32, v25, v21
	v_fma_f32 v49, v30, v34, -v28
	v_fmac_f32_e32 v50, v31, v34
	ds_read_b128 v[28:31], v16 offset:80
	v_fma_f32 v51, v24, v20, -v32
	ds_read2_b64 v[32:35], v14 offset0:160 offset1:176
	v_mul_f32_e32 v52, v24, v21
	v_add_f32_e32 v18, v18, v36
	v_fmac_f32_e32 v52, v25, v20
	v_mul_f32_e32 v20, v27, v23
	v_add_f32_e32 v18, v18, v38
	v_fma_f32 v53, v26, v22, -v20
	v_mul_f32_e32 v54, v26, v23
	s_waitcnt lgkmcnt(0)
	v_mul_f32_e32 v20, v29, v33
	v_add_f32_e32 v18, v18, v40
	v_fmac_f32_e32 v54, v27, v22
	v_fma_f32 v55, v28, v32, -v20
	ds_read2_b64 v[20:23], v14 offset0:192 offset1:208
	ds_read_b128 v[24:27], v16 offset:96
	v_add_f32_e32 v18, v18, v42
	v_add_f32_e32 v18, v18, v44
	;; [unrolled: 1-line block ×6, first 2 shown]
	v_mul_f32_e32 v33, v28, v33
	v_mul_f32_e32 v28, v31, v35
	;; [unrolled: 1-line block ×3, first 2 shown]
	v_add_f32_e32 v5, v5, v39
	v_add_f32_e32 v18, v18, v50
	v_fmac_f32_e32 v33, v29, v32
	v_fma_f32 v32, v30, v34, -v28
	v_fmac_f32_e32 v35, v31, v34
	s_waitcnt lgkmcnt(0)
	v_mul_f32_e32 v34, v25, v21
	v_add_f32_e32 v5, v5, v41
	v_add_f32_e32 v18, v18, v52
	v_fma_f32 v34, v24, v20, -v34
	v_mul_f32_e32 v24, v24, v21
	v_add_f32_e32 v5, v5, v43
	v_add_f32_e32 v18, v18, v54
	v_fmac_f32_e32 v24, v25, v20
	v_mul_f32_e32 v20, v27, v23
	v_mul_f32_e32 v23, v26, v23
	v_add_f32_e32 v5, v5, v45
	v_add_f32_e32 v18, v18, v33
	ds_read_b128 v[28:31], v16 offset:112
	v_fma_f32 v25, v26, v22, -v20
	v_fmac_f32_e32 v23, v27, v22
	v_add_f32_e32 v5, v5, v47
	v_add_f32_e32 v22, v18, v35
	ds_read2_b64 v[18:21], v14 offset0:224 offset1:240
	v_add_f32_e32 v5, v5, v49
	v_add_f32_e32 v5, v5, v51
	;; [unrolled: 1-line block ×7, first 2 shown]
	s_waitcnt lgkmcnt(0)
	v_mul_f32_e32 v23, v29, v19
	v_mul_f32_e32 v19, v28, v19
	v_add_f32_e32 v5, v5, v34
	v_fmac_f32_e32 v19, v29, v18
	s_addc_u32 s3, s3, 0
	v_addc_co_u32_e32 v7, vcc, 0, v7, vcc
	v_add_f32_e32 v5, v5, v25
	v_fma_f32 v23, v28, v18, -v23
	v_add_f32_e32 v18, v22, v19
	v_mul_f32_e32 v19, v31, v21
	v_mul_f32_e32 v21, v30, v21
	v_add_co_u32_e32 v8, vcc, 0x80, v8
	v_cmp_ge_i64_e64 s[0:1], s[2:3], v[10:11]
	v_add_f32_e32 v5, v5, v23
	v_fma_f32 v19, v30, v20, -v19
	v_fmac_f32_e32 v21, v31, v20
	v_addc_co_u32_e32 v9, vcc, 0, v9, vcc
	v_add_f32_e32 v19, v5, v19
	v_add_f32_e32 v18, v18, v21
	s_and_b64 vcc, exec, s[0:1]
	s_barrier
	s_cbranch_vccnz .LBB1286_12
.LBB1286_3:                             ; =>This Inner Loop Header: Depth=1
	v_mov_b32_e32 v5, s3
	v_add_co_u32_e32 v20, vcc, s2, v1
	v_addc_co_u32_e32 v21, vcc, 0, v5, vcc
	v_cmp_le_i64_e32 vcc, s[12:13], v[20:21]
	s_or_b64 s[0:1], s[6:7], vcc
	s_and_saveexec_b64 s[16:17], s[0:1]
	s_xor_b64 s[0:1], exec, s[16:17]
; %bb.4:                                ;   in Loop: Header=BB1286_3 Depth=1
	ds_write_b32 v15, v4
; %bb.5:                                ;   in Loop: Header=BB1286_3 Depth=1
	s_or_saveexec_b64 s[0:1], s[0:1]
	v_mov_b32_e32 v5, 0
	s_xor_b64 exec, exec, s[0:1]
	s_cbranch_execz .LBB1286_7
; %bb.6:                                ;   in Loop: Header=BB1286_3 Depth=1
	global_load_dwordx2 v[20:21], v[8:9], off offset:-4
	s_waitcnt vmcnt(0)
	v_xor_b32_e32 v5, 0x80000000, v21
	ds_write_b32 v15, v20
.LBB1286_7:                             ;   in Loop: Header=BB1286_3 Depth=1
	s_or_b64 exec, exec, s[0:1]
	v_mov_b32_e32 v21, s3
	v_add_co_u32_e32 v20, vcc, s2, v0
	v_addc_co_u32_e32 v21, vcc, 0, v21, vcc
	v_cmp_le_i64_e32 vcc, s[12:13], v[20:21]
	ds_write_b32 v15, v5 offset:4
	s_or_b64 s[0:1], s[10:11], vcc
	s_and_saveexec_b64 s[16:17], s[0:1]
	s_xor_b64 s[0:1], exec, s[16:17]
; %bb.8:                                ;   in Loop: Header=BB1286_3 Depth=1
	v_mov_b32_e32 v5, v4
	ds_write_b64 v17, v[4:5]
; %bb.9:                                ;   in Loop: Header=BB1286_3 Depth=1
	s_andn2_saveexec_b64 s[0:1], s[0:1]
	s_cbranch_execz .LBB1286_2
; %bb.10:                               ;   in Loop: Header=BB1286_3 Depth=1
	global_load_dwordx2 v[20:21], v[6:7], off
	s_waitcnt vmcnt(0)
	ds_write_b64 v17, v[20:21]
	s_branch .LBB1286_2
.LBB1286_11:
	v_mov_b32_e32 v18, 0
	v_mov_b32_e32 v19, 0
.LBB1286_12:
	v_cmp_le_i32_e32 vcc, v2, v12
	v_cmp_gt_i32_e64 s[0:1], s9, v12
	s_and_b64 s[0:1], vcc, s[0:1]
	s_and_saveexec_b64 s[2:3], s[0:1]
	s_cbranch_execz .LBB1286_15
; %bb.13:
	s_load_dwordx2 s[6:7], s[4:5], 0x60
	s_load_dwordx4 s[0:3], s[4:5], 0x50
	v_mul_f32_e32 v4, s15, v18
	v_mul_f32_e32 v5, s14, v18
	v_fma_f32 v4, v19, s14, -v4
	s_waitcnt lgkmcnt(0)
	s_mul_i32 s5, s7, s8
	s_mul_hi_u32 s7, s6, s8
	s_mul_i32 s4, s6, s8
	s_add_i32 s5, s7, s5
	s_lshl_b64 s[4:5], s[4:5], 3
	s_add_u32 s4, s0, s4
	s_addc_u32 s5, s1, s5
	v_mul_lo_u32 v6, s3, v12
	v_mul_lo_u32 v7, s2, v13
	v_mad_u64_u32 v[0:1], s[0:1], s2, v12, 0
	v_fmac_f32_e32 v5, s15, v19
	v_add3_u32 v1, v1, v7, v6
	v_lshlrev_b64 v[0:1], 3, v[0:1]
	v_mov_b32_e32 v6, s5
	v_add_co_u32_e32 v7, vcc, s4, v0
	v_addc_co_u32_e32 v6, vcc, v6, v1, vcc
	v_lshlrev_b64 v[0:1], 3, v[2:3]
	v_add_co_u32_e32 v0, vcc, v7, v0
	v_addc_co_u32_e32 v1, vcc, v6, v1, vcc
	v_cmp_eq_u32_e32 vcc, v2, v12
	global_store_dwordx2 v[0:1], v[4:5], off
	s_and_b64 exec, exec, vcc
	s_cbranch_execz .LBB1286_15
; %bb.14:
	v_mov_b32_e32 v2, 0
	global_store_dword v[0:1], v2, off offset:4
.LBB1286_15:
	s_endpgm
	.section	.rodata,"a",@progbits
	.p2align	6, 0x0
	.amdhsa_kernel _ZL32rocblas_syrkx_herkx_small_kernelIl19rocblas_complex_numIfELi16ELb1ELb1ELc67ELc85EKS1_S1_EviT_T0_PT6_S3_lS6_S3_lS4_PT7_S3_li
		.amdhsa_group_segment_fixed_size 4096
		.amdhsa_private_segment_fixed_size 0
		.amdhsa_kernarg_size 108
		.amdhsa_user_sgpr_count 6
		.amdhsa_user_sgpr_private_segment_buffer 1
		.amdhsa_user_sgpr_dispatch_ptr 0
		.amdhsa_user_sgpr_queue_ptr 0
		.amdhsa_user_sgpr_kernarg_segment_ptr 1
		.amdhsa_user_sgpr_dispatch_id 0
		.amdhsa_user_sgpr_flat_scratch_init 0
		.amdhsa_user_sgpr_private_segment_size 0
		.amdhsa_uses_dynamic_stack 0
		.amdhsa_system_sgpr_private_segment_wavefront_offset 0
		.amdhsa_system_sgpr_workgroup_id_x 1
		.amdhsa_system_sgpr_workgroup_id_y 1
		.amdhsa_system_sgpr_workgroup_id_z 1
		.amdhsa_system_sgpr_workgroup_info 0
		.amdhsa_system_vgpr_workitem_id 1
		.amdhsa_next_free_vgpr 56
		.amdhsa_next_free_sgpr 28
		.amdhsa_reserve_vcc 1
		.amdhsa_reserve_flat_scratch 0
		.amdhsa_float_round_mode_32 0
		.amdhsa_float_round_mode_16_64 0
		.amdhsa_float_denorm_mode_32 3
		.amdhsa_float_denorm_mode_16_64 3
		.amdhsa_dx10_clamp 1
		.amdhsa_ieee_mode 1
		.amdhsa_fp16_overflow 0
		.amdhsa_exception_fp_ieee_invalid_op 0
		.amdhsa_exception_fp_denorm_src 0
		.amdhsa_exception_fp_ieee_div_zero 0
		.amdhsa_exception_fp_ieee_overflow 0
		.amdhsa_exception_fp_ieee_underflow 0
		.amdhsa_exception_fp_ieee_inexact 0
		.amdhsa_exception_int_div_zero 0
	.end_amdhsa_kernel
	.section	.text._ZL32rocblas_syrkx_herkx_small_kernelIl19rocblas_complex_numIfELi16ELb1ELb1ELc67ELc85EKS1_S1_EviT_T0_PT6_S3_lS6_S3_lS4_PT7_S3_li,"axG",@progbits,_ZL32rocblas_syrkx_herkx_small_kernelIl19rocblas_complex_numIfELi16ELb1ELb1ELc67ELc85EKS1_S1_EviT_T0_PT6_S3_lS6_S3_lS4_PT7_S3_li,comdat
.Lfunc_end1286:
	.size	_ZL32rocblas_syrkx_herkx_small_kernelIl19rocblas_complex_numIfELi16ELb1ELb1ELc67ELc85EKS1_S1_EviT_T0_PT6_S3_lS6_S3_lS4_PT7_S3_li, .Lfunc_end1286-_ZL32rocblas_syrkx_herkx_small_kernelIl19rocblas_complex_numIfELi16ELb1ELb1ELc67ELc85EKS1_S1_EviT_T0_PT6_S3_lS6_S3_lS4_PT7_S3_li
                                        ; -- End function
	.set _ZL32rocblas_syrkx_herkx_small_kernelIl19rocblas_complex_numIfELi16ELb1ELb1ELc67ELc85EKS1_S1_EviT_T0_PT6_S3_lS6_S3_lS4_PT7_S3_li.num_vgpr, 56
	.set _ZL32rocblas_syrkx_herkx_small_kernelIl19rocblas_complex_numIfELi16ELb1ELb1ELc67ELc85EKS1_S1_EviT_T0_PT6_S3_lS6_S3_lS4_PT7_S3_li.num_agpr, 0
	.set _ZL32rocblas_syrkx_herkx_small_kernelIl19rocblas_complex_numIfELi16ELb1ELb1ELc67ELc85EKS1_S1_EviT_T0_PT6_S3_lS6_S3_lS4_PT7_S3_li.numbered_sgpr, 28
	.set _ZL32rocblas_syrkx_herkx_small_kernelIl19rocblas_complex_numIfELi16ELb1ELb1ELc67ELc85EKS1_S1_EviT_T0_PT6_S3_lS6_S3_lS4_PT7_S3_li.num_named_barrier, 0
	.set _ZL32rocblas_syrkx_herkx_small_kernelIl19rocblas_complex_numIfELi16ELb1ELb1ELc67ELc85EKS1_S1_EviT_T0_PT6_S3_lS6_S3_lS4_PT7_S3_li.private_seg_size, 0
	.set _ZL32rocblas_syrkx_herkx_small_kernelIl19rocblas_complex_numIfELi16ELb1ELb1ELc67ELc85EKS1_S1_EviT_T0_PT6_S3_lS6_S3_lS4_PT7_S3_li.uses_vcc, 1
	.set _ZL32rocblas_syrkx_herkx_small_kernelIl19rocblas_complex_numIfELi16ELb1ELb1ELc67ELc85EKS1_S1_EviT_T0_PT6_S3_lS6_S3_lS4_PT7_S3_li.uses_flat_scratch, 0
	.set _ZL32rocblas_syrkx_herkx_small_kernelIl19rocblas_complex_numIfELi16ELb1ELb1ELc67ELc85EKS1_S1_EviT_T0_PT6_S3_lS6_S3_lS4_PT7_S3_li.has_dyn_sized_stack, 0
	.set _ZL32rocblas_syrkx_herkx_small_kernelIl19rocblas_complex_numIfELi16ELb1ELb1ELc67ELc85EKS1_S1_EviT_T0_PT6_S3_lS6_S3_lS4_PT7_S3_li.has_recursion, 0
	.set _ZL32rocblas_syrkx_herkx_small_kernelIl19rocblas_complex_numIfELi16ELb1ELb1ELc67ELc85EKS1_S1_EviT_T0_PT6_S3_lS6_S3_lS4_PT7_S3_li.has_indirect_call, 0
	.section	.AMDGPU.csdata,"",@progbits
; Kernel info:
; codeLenInByte = 1424
; TotalNumSgprs: 32
; NumVgprs: 56
; ScratchSize: 0
; MemoryBound: 1
; FloatMode: 240
; IeeeMode: 1
; LDSByteSize: 4096 bytes/workgroup (compile time only)
; SGPRBlocks: 3
; VGPRBlocks: 13
; NumSGPRsForWavesPerEU: 32
; NumVGPRsForWavesPerEU: 56
; Occupancy: 4
; WaveLimiterHint : 0
; COMPUTE_PGM_RSRC2:SCRATCH_EN: 0
; COMPUTE_PGM_RSRC2:USER_SGPR: 6
; COMPUTE_PGM_RSRC2:TRAP_HANDLER: 0
; COMPUTE_PGM_RSRC2:TGID_X_EN: 1
; COMPUTE_PGM_RSRC2:TGID_Y_EN: 1
; COMPUTE_PGM_RSRC2:TGID_Z_EN: 1
; COMPUTE_PGM_RSRC2:TIDIG_COMP_CNT: 1
	.section	.text._ZL32rocblas_syrkx_herkx_small_kernelIl19rocblas_complex_numIfELi16ELb1ELb1ELc78ELc85EKS1_S1_EviT_T0_PT6_S3_lS6_S3_lS4_PT7_S3_li,"axG",@progbits,_ZL32rocblas_syrkx_herkx_small_kernelIl19rocblas_complex_numIfELi16ELb1ELb1ELc78ELc85EKS1_S1_EviT_T0_PT6_S3_lS6_S3_lS4_PT7_S3_li,comdat
	.globl	_ZL32rocblas_syrkx_herkx_small_kernelIl19rocblas_complex_numIfELi16ELb1ELb1ELc78ELc85EKS1_S1_EviT_T0_PT6_S3_lS6_S3_lS4_PT7_S3_li ; -- Begin function _ZL32rocblas_syrkx_herkx_small_kernelIl19rocblas_complex_numIfELi16ELb1ELb1ELc78ELc85EKS1_S1_EviT_T0_PT6_S3_lS6_S3_lS4_PT7_S3_li
	.p2align	8
	.type	_ZL32rocblas_syrkx_herkx_small_kernelIl19rocblas_complex_numIfELi16ELb1ELb1ELc78ELc85EKS1_S1_EviT_T0_PT6_S3_lS6_S3_lS4_PT7_S3_li,@function
_ZL32rocblas_syrkx_herkx_small_kernelIl19rocblas_complex_numIfELi16ELb1ELb1ELc78ELc85EKS1_S1_EviT_T0_PT6_S3_lS6_S3_lS4_PT7_S3_li: ; @_ZL32rocblas_syrkx_herkx_small_kernelIl19rocblas_complex_numIfELi16ELb1ELb1ELc78ELc85EKS1_S1_EviT_T0_PT6_S3_lS6_S3_lS4_PT7_S3_li
; %bb.0:
	s_load_dwordx16 s[12:27], s[4:5], 0x8
	s_load_dword s9, s[4:5], 0x0
	v_lshl_add_u32 v2, s6, 4, v0
	v_lshl_add_u32 v4, s7, 4, v1
	v_ashrrev_i32_e32 v3, 31, v2
	s_waitcnt lgkmcnt(0)
	v_cmp_lt_i64_e64 s[0:1], s[12:13], 1
	v_ashrrev_i32_e32 v5, 31, v4
	s_and_b64 vcc, exec, s[0:1]
	v_cmp_gt_i32_e64 s[0:1], s9, v4
	s_cbranch_vccnz .LBB1287_11
; %bb.1:
	v_lshlrev_b32_e32 v7, 7, v1
	v_lshlrev_b32_e32 v14, 3, v0
	v_add_u32_e32 v15, v14, v7
	v_add_u32_e32 v16, 0x800, v7
	v_mad_u64_u32 v[7:8], s[2:3], s24, v0, 0
	s_mul_i32 s6, s27, s8
	s_mul_hi_u32 s7, s26, s8
	v_mad_u64_u32 v[8:9], s[2:3], s25, v0, v[8:9]
	s_add_i32 s3, s7, s6
	s_mul_i32 s2, s26, s8
	v_lshlrev_b64 v[7:8], 3, v[7:8]
	s_lshl_b64 s[2:3], s[2:3], 3
	v_mov_b32_e32 v9, s3
	v_add_co_u32_e64 v10, s[2:3], s2, v7
	v_addc_co_u32_e64 v9, s[2:3], v9, v8, s[2:3]
	v_lshlrev_b64 v[7:8], 3, v[4:5]
	s_mul_i32 s10, s21, s8
	v_add_co_u32_e64 v7, s[2:3], v10, v7
	v_addc_co_u32_e64 v8, s[2:3], v9, v8, s[2:3]
	v_mov_b32_e32 v9, s23
	v_add_co_u32_e64 v7, s[2:3], s22, v7
	v_addc_co_u32_e64 v9, s[2:3], v9, v8, s[2:3]
	v_add_co_u32_e64 v8, s[2:3], 4, v7
	v_addc_co_u32_e64 v9, s[2:3], 0, v9, s[2:3]
	v_mad_u64_u32 v[10:11], s[2:3], s18, v1, 0
	s_mul_hi_u32 s11, s20, s8
	v_cmp_gt_i32_e32 vcc, s9, v2
	v_mov_b32_e32 v7, v11
	v_mad_u64_u32 v[11:12], s[2:3], s19, v1, v[7:8]
	s_add_i32 s3, s11, s10
	s_mul_i32 s2, s20, s8
	v_lshlrev_b64 v[10:11], 3, v[10:11]
	s_lshl_b64 s[2:3], s[2:3], 3
	v_mov_b32_e32 v7, s3
	v_add_co_u32_e64 v12, s[2:3], s2, v10
	v_addc_co_u32_e64 v7, s[2:3], v7, v11, s[2:3]
	v_lshlrev_b64 v[10:11], 3, v[2:3]
	s_lshl_b64 s[6:7], s[24:25], 7
	v_add_co_u32_e64 v10, s[2:3], v12, v10
	v_addc_co_u32_e64 v7, s[2:3], v7, v11, s[2:3]
	v_mov_b32_e32 v11, s17
	v_add_co_u32_e64 v10, s[2:3], s16, v10
	v_addc_co_u32_e64 v11, s[2:3], v11, v7, s[2:3]
	s_lshl_b64 s[2:3], s[18:19], 7
	v_mov_b32_e32 v12, s12
	v_mov_b32_e32 v6, 0
	v_add_u32_e32 v17, v16, v14
	s_mov_b64 s[10:11], 0
	s_xor_b64 s[16:17], vcc, -1
	s_xor_b64 s[18:19], s[0:1], -1
	v_mov_b32_e32 v20, s7
	v_mov_b32_e32 v21, s3
	;; [unrolled: 1-line block ×5, first 2 shown]
	s_branch .LBB1287_3
.LBB1287_2:                             ;   in Loop: Header=BB1287_3 Depth=1
	s_or_b64 exec, exec, s[0:1]
	ds_write_b32 v17, v7 offset:4
	s_waitcnt lgkmcnt(0)
	s_barrier
	ds_read2_b64 v[22:25], v14 offset1:16
	ds_read_b128 v[26:29], v16
	ds_read_b128 v[30:33], v16 offset:16
	ds_read2_b64 v[34:37], v14 offset0:32 offset1:48
	s_add_u32 s10, s10, 16
	v_add_co_u32_e32 v8, vcc, s6, v8
	s_waitcnt lgkmcnt(2)
	v_mul_f32_e32 v7, v27, v23
	v_mul_f32_e32 v38, v26, v23
	v_fma_f32 v7, v26, v22, -v7
	v_fmac_f32_e32 v38, v27, v22
	v_mul_f32_e32 v22, v29, v25
	v_fma_f32 v39, v28, v24, -v22
	v_mul_f32_e32 v40, v28, v25
	s_waitcnt lgkmcnt(0)
	v_mul_f32_e32 v22, v31, v35
	v_fmac_f32_e32 v40, v29, v24
	v_fma_f32 v41, v30, v34, -v22
	ds_read2_b64 v[22:25], v14 offset0:64 offset1:80
	ds_read_b128 v[26:29], v16 offset:32
	v_mul_f32_e32 v42, v30, v35
	v_fmac_f32_e32 v42, v31, v34
	v_mul_f32_e32 v30, v33, v37
	v_mul_f32_e32 v44, v32, v37
	s_waitcnt lgkmcnt(0)
	v_mul_f32_e32 v34, v27, v23
	v_fma_f32 v43, v32, v36, -v30
	v_fmac_f32_e32 v44, v33, v36
	ds_read_b128 v[30:33], v16 offset:48
	v_fma_f32 v45, v26, v22, -v34
	ds_read2_b64 v[34:37], v14 offset0:96 offset1:112
	v_mul_f32_e32 v46, v26, v23
	v_fmac_f32_e32 v46, v27, v22
	v_mul_f32_e32 v22, v29, v25
	v_fma_f32 v47, v28, v24, -v22
	v_mul_f32_e32 v48, v28, v25
	s_waitcnt lgkmcnt(0)
	v_mul_f32_e32 v22, v31, v35
	v_fmac_f32_e32 v48, v29, v24
	v_fma_f32 v49, v30, v34, -v22
	ds_read2_b64 v[22:25], v14 offset0:128 offset1:144
	ds_read_b128 v[26:29], v16 offset:64
	v_mul_f32_e32 v50, v30, v35
	v_fmac_f32_e32 v50, v31, v34
	v_mul_f32_e32 v30, v33, v37
	v_mul_f32_e32 v52, v32, v37
	s_waitcnt lgkmcnt(0)
	v_mul_f32_e32 v34, v27, v23
	v_fma_f32 v51, v32, v36, -v30
	v_fmac_f32_e32 v52, v33, v36
	ds_read_b128 v[30:33], v16 offset:80
	v_fma_f32 v53, v26, v22, -v34
	ds_read2_b64 v[34:37], v14 offset0:160 offset1:176
	v_mul_f32_e32 v54, v26, v23
	v_fmac_f32_e32 v54, v27, v22
	v_mul_f32_e32 v22, v29, v25
	v_fma_f32 v55, v28, v24, -v22
	v_mul_f32_e32 v56, v28, v25
	s_waitcnt lgkmcnt(0)
	v_mul_f32_e32 v22, v31, v35
	v_add_f32_e32 v7, v19, v7
	v_add_f32_e32 v18, v18, v38
	v_fmac_f32_e32 v56, v29, v24
	v_fma_f32 v57, v30, v34, -v22
	ds_read2_b64 v[22:25], v14 offset0:192 offset1:208
	ds_read_b128 v[26:29], v16 offset:96
	v_add_f32_e32 v7, v7, v39
	v_add_f32_e32 v18, v18, v40
	;; [unrolled: 1-line block ×8, first 2 shown]
	v_mul_f32_e32 v58, v30, v35
	v_add_f32_e32 v7, v7, v47
	v_add_f32_e32 v18, v18, v48
	v_fmac_f32_e32 v58, v31, v34
	v_mul_f32_e32 v30, v33, v37
	v_mul_f32_e32 v60, v32, v37
	s_waitcnt lgkmcnt(0)
	v_mul_f32_e32 v34, v27, v23
	v_add_f32_e32 v7, v7, v49
	v_add_f32_e32 v18, v18, v50
	v_fma_f32 v59, v32, v36, -v30
	v_fmac_f32_e32 v60, v33, v36
	ds_read_b128 v[30:33], v16 offset:112
	v_fma_f32 v61, v26, v22, -v34
	ds_read2_b64 v[34:37], v14 offset0:224 offset1:240
	v_add_f32_e32 v7, v7, v51
	v_add_f32_e32 v18, v18, v52
	;; [unrolled: 1-line block ×6, first 2 shown]
	v_mul_f32_e32 v23, v26, v23
	v_add_f32_e32 v7, v7, v57
	v_add_f32_e32 v18, v18, v58
	v_fmac_f32_e32 v23, v27, v22
	v_mul_f32_e32 v22, v29, v25
	v_mul_f32_e32 v25, v28, v25
	v_add_f32_e32 v7, v7, v59
	v_add_f32_e32 v18, v18, v60
	v_fma_f32 v22, v28, v24, -v22
	v_fmac_f32_e32 v25, v29, v24
	s_waitcnt lgkmcnt(0)
	v_mul_f32_e32 v24, v31, v35
	v_mul_f32_e32 v26, v30, v35
	v_add_f32_e32 v7, v7, v61
	v_add_f32_e32 v18, v18, v23
	s_addc_u32 s11, s11, 0
	v_addc_co_u32_e32 v9, vcc, v9, v20, vcc
	v_fma_f32 v24, v30, v34, -v24
	v_fmac_f32_e32 v26, v31, v34
	v_mul_f32_e32 v27, v33, v37
	v_mul_f32_e32 v28, v32, v37
	v_add_f32_e32 v7, v7, v22
	v_add_f32_e32 v18, v18, v25
	v_cmp_ge_i64_e32 vcc, s[10:11], v[12:13]
	v_fma_f32 v27, v32, v36, -v27
	v_fmac_f32_e32 v28, v33, v36
	v_add_f32_e32 v7, v7, v24
	v_add_f32_e32 v18, v18, v26
	v_add_co_u32_e64 v10, s[0:1], s2, v10
	v_add_f32_e32 v19, v7, v27
	v_add_f32_e32 v18, v18, v28
	v_addc_co_u32_e64 v11, s[0:1], v11, v21, s[0:1]
	s_barrier
	s_cbranch_vccnz .LBB1287_12
.LBB1287_3:                             ; =>This Inner Loop Header: Depth=1
	v_mov_b32_e32 v7, s11
	v_add_co_u32_e32 v22, vcc, s10, v1
	v_addc_co_u32_e32 v23, vcc, 0, v7, vcc
	v_cmp_le_i64_e32 vcc, s[12:13], v[22:23]
	s_or_b64 s[0:1], s[16:17], vcc
	s_and_saveexec_b64 s[20:21], s[0:1]
	s_xor_b64 s[0:1], exec, s[20:21]
; %bb.4:                                ;   in Loop: Header=BB1287_3 Depth=1
	v_mov_b32_e32 v7, v6
	ds_write_b64 v15, v[6:7]
; %bb.5:                                ;   in Loop: Header=BB1287_3 Depth=1
	s_andn2_saveexec_b64 s[0:1], s[0:1]
	s_cbranch_execz .LBB1287_7
; %bb.6:                                ;   in Loop: Header=BB1287_3 Depth=1
	global_load_dwordx2 v[22:23], v[10:11], off
	s_waitcnt vmcnt(0)
	ds_write_b64 v15, v[22:23]
.LBB1287_7:                             ;   in Loop: Header=BB1287_3 Depth=1
	s_or_b64 exec, exec, s[0:1]
	v_mov_b32_e32 v7, s11
	v_add_co_u32_e32 v22, vcc, s10, v0
	v_addc_co_u32_e32 v23, vcc, 0, v7, vcc
	v_cmp_le_i64_e32 vcc, s[12:13], v[22:23]
	s_or_b64 s[0:1], s[18:19], vcc
	s_and_saveexec_b64 s[20:21], s[0:1]
	s_xor_b64 s[0:1], exec, s[20:21]
; %bb.8:                                ;   in Loop: Header=BB1287_3 Depth=1
	ds_write_b32 v17, v6
; %bb.9:                                ;   in Loop: Header=BB1287_3 Depth=1
	s_or_saveexec_b64 s[0:1], s[0:1]
	v_mov_b32_e32 v7, 0
	s_xor_b64 exec, exec, s[0:1]
	s_cbranch_execz .LBB1287_2
; %bb.10:                               ;   in Loop: Header=BB1287_3 Depth=1
	global_load_dwordx2 v[22:23], v[8:9], off offset:-4
	s_waitcnt vmcnt(0)
	v_xor_b32_e32 v7, 0x80000000, v23
	ds_write_b32 v17, v22
	s_branch .LBB1287_2
.LBB1287_11:
	v_mov_b32_e32 v18, 0
	v_mov_b32_e32 v19, 0
.LBB1287_12:
	v_cmp_le_i32_e32 vcc, v2, v4
	v_cmp_gt_i32_e64 s[0:1], s9, v4
	s_and_b64 s[0:1], vcc, s[0:1]
	s_and_saveexec_b64 s[2:3], s[0:1]
	s_cbranch_execz .LBB1287_15
; %bb.13:
	s_load_dwordx2 s[6:7], s[4:5], 0x60
	s_load_dwordx4 s[0:3], s[4:5], 0x50
	v_mul_f32_e32 v6, s15, v18
	s_waitcnt lgkmcnt(0)
	s_mul_i32 s5, s7, s8
	s_mul_hi_u32 s7, s6, s8
	s_mul_i32 s4, s6, s8
	s_add_i32 s5, s7, s5
	s_lshl_b64 s[4:5], s[4:5], 3
	s_add_u32 s4, s0, s4
	s_addc_u32 s5, s1, s5
	v_mul_lo_u32 v7, s3, v4
	v_mul_lo_u32 v8, s2, v5
	v_mad_u64_u32 v[0:1], s[0:1], s2, v4, 0
	v_fma_f32 v5, v19, s14, -v6
	v_mul_f32_e32 v6, s14, v18
	v_add3_u32 v1, v1, v8, v7
	v_lshlrev_b64 v[0:1], 3, v[0:1]
	v_mov_b32_e32 v7, s5
	v_add_co_u32_e32 v8, vcc, s4, v0
	v_addc_co_u32_e32 v7, vcc, v7, v1, vcc
	v_lshlrev_b64 v[0:1], 3, v[2:3]
	v_fmac_f32_e32 v6, s15, v19
	v_add_co_u32_e32 v0, vcc, v8, v0
	v_addc_co_u32_e32 v1, vcc, v7, v1, vcc
	v_cmp_eq_u32_e32 vcc, v2, v4
	global_store_dwordx2 v[0:1], v[5:6], off
	s_and_b64 exec, exec, vcc
	s_cbranch_execz .LBB1287_15
; %bb.14:
	v_mov_b32_e32 v2, 0
	global_store_dword v[0:1], v2, off offset:4
.LBB1287_15:
	s_endpgm
	.section	.rodata,"a",@progbits
	.p2align	6, 0x0
	.amdhsa_kernel _ZL32rocblas_syrkx_herkx_small_kernelIl19rocblas_complex_numIfELi16ELb1ELb1ELc78ELc85EKS1_S1_EviT_T0_PT6_S3_lS6_S3_lS4_PT7_S3_li
		.amdhsa_group_segment_fixed_size 4096
		.amdhsa_private_segment_fixed_size 0
		.amdhsa_kernarg_size 108
		.amdhsa_user_sgpr_count 6
		.amdhsa_user_sgpr_private_segment_buffer 1
		.amdhsa_user_sgpr_dispatch_ptr 0
		.amdhsa_user_sgpr_queue_ptr 0
		.amdhsa_user_sgpr_kernarg_segment_ptr 1
		.amdhsa_user_sgpr_dispatch_id 0
		.amdhsa_user_sgpr_flat_scratch_init 0
		.amdhsa_user_sgpr_private_segment_size 0
		.amdhsa_uses_dynamic_stack 0
		.amdhsa_system_sgpr_private_segment_wavefront_offset 0
		.amdhsa_system_sgpr_workgroup_id_x 1
		.amdhsa_system_sgpr_workgroup_id_y 1
		.amdhsa_system_sgpr_workgroup_id_z 1
		.amdhsa_system_sgpr_workgroup_info 0
		.amdhsa_system_vgpr_workitem_id 1
		.amdhsa_next_free_vgpr 62
		.amdhsa_next_free_sgpr 28
		.amdhsa_reserve_vcc 1
		.amdhsa_reserve_flat_scratch 0
		.amdhsa_float_round_mode_32 0
		.amdhsa_float_round_mode_16_64 0
		.amdhsa_float_denorm_mode_32 3
		.amdhsa_float_denorm_mode_16_64 3
		.amdhsa_dx10_clamp 1
		.amdhsa_ieee_mode 1
		.amdhsa_fp16_overflow 0
		.amdhsa_exception_fp_ieee_invalid_op 0
		.amdhsa_exception_fp_denorm_src 0
		.amdhsa_exception_fp_ieee_div_zero 0
		.amdhsa_exception_fp_ieee_overflow 0
		.amdhsa_exception_fp_ieee_underflow 0
		.amdhsa_exception_fp_ieee_inexact 0
		.amdhsa_exception_int_div_zero 0
	.end_amdhsa_kernel
	.section	.text._ZL32rocblas_syrkx_herkx_small_kernelIl19rocblas_complex_numIfELi16ELb1ELb1ELc78ELc85EKS1_S1_EviT_T0_PT6_S3_lS6_S3_lS4_PT7_S3_li,"axG",@progbits,_ZL32rocblas_syrkx_herkx_small_kernelIl19rocblas_complex_numIfELi16ELb1ELb1ELc78ELc85EKS1_S1_EviT_T0_PT6_S3_lS6_S3_lS4_PT7_S3_li,comdat
.Lfunc_end1287:
	.size	_ZL32rocblas_syrkx_herkx_small_kernelIl19rocblas_complex_numIfELi16ELb1ELb1ELc78ELc85EKS1_S1_EviT_T0_PT6_S3_lS6_S3_lS4_PT7_S3_li, .Lfunc_end1287-_ZL32rocblas_syrkx_herkx_small_kernelIl19rocblas_complex_numIfELi16ELb1ELb1ELc78ELc85EKS1_S1_EviT_T0_PT6_S3_lS6_S3_lS4_PT7_S3_li
                                        ; -- End function
	.set _ZL32rocblas_syrkx_herkx_small_kernelIl19rocblas_complex_numIfELi16ELb1ELb1ELc78ELc85EKS1_S1_EviT_T0_PT6_S3_lS6_S3_lS4_PT7_S3_li.num_vgpr, 62
	.set _ZL32rocblas_syrkx_herkx_small_kernelIl19rocblas_complex_numIfELi16ELb1ELb1ELc78ELc85EKS1_S1_EviT_T0_PT6_S3_lS6_S3_lS4_PT7_S3_li.num_agpr, 0
	.set _ZL32rocblas_syrkx_herkx_small_kernelIl19rocblas_complex_numIfELi16ELb1ELb1ELc78ELc85EKS1_S1_EviT_T0_PT6_S3_lS6_S3_lS4_PT7_S3_li.numbered_sgpr, 28
	.set _ZL32rocblas_syrkx_herkx_small_kernelIl19rocblas_complex_numIfELi16ELb1ELb1ELc78ELc85EKS1_S1_EviT_T0_PT6_S3_lS6_S3_lS4_PT7_S3_li.num_named_barrier, 0
	.set _ZL32rocblas_syrkx_herkx_small_kernelIl19rocblas_complex_numIfELi16ELb1ELb1ELc78ELc85EKS1_S1_EviT_T0_PT6_S3_lS6_S3_lS4_PT7_S3_li.private_seg_size, 0
	.set _ZL32rocblas_syrkx_herkx_small_kernelIl19rocblas_complex_numIfELi16ELb1ELb1ELc78ELc85EKS1_S1_EviT_T0_PT6_S3_lS6_S3_lS4_PT7_S3_li.uses_vcc, 1
	.set _ZL32rocblas_syrkx_herkx_small_kernelIl19rocblas_complex_numIfELi16ELb1ELb1ELc78ELc85EKS1_S1_EviT_T0_PT6_S3_lS6_S3_lS4_PT7_S3_li.uses_flat_scratch, 0
	.set _ZL32rocblas_syrkx_herkx_small_kernelIl19rocblas_complex_numIfELi16ELb1ELb1ELc78ELc85EKS1_S1_EviT_T0_PT6_S3_lS6_S3_lS4_PT7_S3_li.has_dyn_sized_stack, 0
	.set _ZL32rocblas_syrkx_herkx_small_kernelIl19rocblas_complex_numIfELi16ELb1ELb1ELc78ELc85EKS1_S1_EviT_T0_PT6_S3_lS6_S3_lS4_PT7_S3_li.has_recursion, 0
	.set _ZL32rocblas_syrkx_herkx_small_kernelIl19rocblas_complex_numIfELi16ELb1ELb1ELc78ELc85EKS1_S1_EviT_T0_PT6_S3_lS6_S3_lS4_PT7_S3_li.has_indirect_call, 0
	.section	.AMDGPU.csdata,"",@progbits
; Kernel info:
; codeLenInByte = 1416
; TotalNumSgprs: 32
; NumVgprs: 62
; ScratchSize: 0
; MemoryBound: 1
; FloatMode: 240
; IeeeMode: 1
; LDSByteSize: 4096 bytes/workgroup (compile time only)
; SGPRBlocks: 3
; VGPRBlocks: 15
; NumSGPRsForWavesPerEU: 32
; NumVGPRsForWavesPerEU: 62
; Occupancy: 4
; WaveLimiterHint : 0
; COMPUTE_PGM_RSRC2:SCRATCH_EN: 0
; COMPUTE_PGM_RSRC2:USER_SGPR: 6
; COMPUTE_PGM_RSRC2:TRAP_HANDLER: 0
; COMPUTE_PGM_RSRC2:TGID_X_EN: 1
; COMPUTE_PGM_RSRC2:TGID_Y_EN: 1
; COMPUTE_PGM_RSRC2:TGID_Z_EN: 1
; COMPUTE_PGM_RSRC2:TIDIG_COMP_CNT: 1
	.section	.text._ZL32rocblas_syrkx_herkx_small_kernelIl19rocblas_complex_numIfELi16ELb0ELb1ELc84ELc76EKS1_S1_EviT_T0_PT6_S3_lS6_S3_lS4_PT7_S3_li,"axG",@progbits,_ZL32rocblas_syrkx_herkx_small_kernelIl19rocblas_complex_numIfELi16ELb0ELb1ELc84ELc76EKS1_S1_EviT_T0_PT6_S3_lS6_S3_lS4_PT7_S3_li,comdat
	.globl	_ZL32rocblas_syrkx_herkx_small_kernelIl19rocblas_complex_numIfELi16ELb0ELb1ELc84ELc76EKS1_S1_EviT_T0_PT6_S3_lS6_S3_lS4_PT7_S3_li ; -- Begin function _ZL32rocblas_syrkx_herkx_small_kernelIl19rocblas_complex_numIfELi16ELb0ELb1ELc84ELc76EKS1_S1_EviT_T0_PT6_S3_lS6_S3_lS4_PT7_S3_li
	.p2align	8
	.type	_ZL32rocblas_syrkx_herkx_small_kernelIl19rocblas_complex_numIfELi16ELb0ELb1ELc84ELc76EKS1_S1_EviT_T0_PT6_S3_lS6_S3_lS4_PT7_S3_li,@function
_ZL32rocblas_syrkx_herkx_small_kernelIl19rocblas_complex_numIfELi16ELb0ELb1ELc84ELc76EKS1_S1_EviT_T0_PT6_S3_lS6_S3_lS4_PT7_S3_li: ; @_ZL32rocblas_syrkx_herkx_small_kernelIl19rocblas_complex_numIfELi16ELb0ELb1ELc84ELc76EKS1_S1_EviT_T0_PT6_S3_lS6_S3_lS4_PT7_S3_li
; %bb.0:
	s_load_dwordx16 s[12:27], s[4:5], 0x8
	s_load_dword s9, s[4:5], 0x0
	v_lshl_add_u32 v2, s6, 4, v0
	v_lshl_add_u32 v12, s7, 4, v1
	v_ashrrev_i32_e32 v3, 31, v2
	s_waitcnt lgkmcnt(0)
	v_cmp_lt_i64_e64 s[0:1], s[12:13], 1
	v_ashrrev_i32_e32 v13, 31, v12
	s_and_b64 vcc, exec, s[0:1]
	v_cmp_gt_i32_e64 s[0:1], s9, v2
	s_cbranch_vccnz .LBB1288_11
; %bb.1:
	v_mul_lo_u32 v8, s25, v12
	v_mul_lo_u32 v9, s24, v13
	v_mad_u64_u32 v[5:6], s[2:3], s24, v12, 0
	s_mul_i32 s2, s27, s8
	s_mul_hi_u32 s3, s26, s8
	v_add3_u32 v6, v6, v9, v8
	v_lshlrev_b64 v[5:6], 3, v[5:6]
	s_add_i32 s3, s3, s2
	s_mul_i32 s2, s26, s8
	v_lshlrev_b32_e32 v7, 7, v1
	v_lshlrev_b32_e32 v14, 3, v0
	s_lshl_b64 s[2:3], s[2:3], 3
	v_add_u32_e32 v15, v14, v7
	v_add_u32_e32 v16, 0x800, v7
	v_mov_b32_e32 v7, s3
	v_add_co_u32_e64 v5, s[2:3], s2, v5
	v_addc_co_u32_e64 v6, s[2:3], v6, v7, s[2:3]
	v_add_co_u32_e64 v5, s[2:3], v5, v14
	v_addc_co_u32_e64 v7, s[2:3], 0, v6, s[2:3]
	v_mul_lo_u32 v11, s19, v2
	v_mul_lo_u32 v18, s18, v3
	v_mad_u64_u32 v[8:9], s[2:3], s18, v2, 0
	v_mov_b32_e32 v10, s23
	v_add_co_u32_e64 v6, s[2:3], s22, v5
	v_addc_co_u32_e64 v7, s[2:3], v10, v7, s[2:3]
	v_add3_u32 v9, v9, v18, v11
	s_mul_i32 s2, s21, s8
	s_mul_hi_u32 s3, s20, s8
	v_lshlrev_b64 v[8:9], 3, v[8:9]
	s_add_i32 s3, s3, s2
	s_mul_i32 s2, s20, s8
	s_lshl_b64 s[2:3], s[2:3], 3
	v_mov_b32_e32 v5, s3
	v_add_co_u32_e64 v8, s[2:3], s2, v8
	v_addc_co_u32_e64 v5, s[2:3], v9, v5, s[2:3]
	v_lshlrev_b32_e32 v9, 3, v1
	v_add_co_u32_e64 v8, s[2:3], v8, v9
	v_addc_co_u32_e64 v5, s[2:3], 0, v5, s[2:3]
	v_mov_b32_e32 v9, s17
	v_add_co_u32_e64 v8, s[2:3], s16, v8
	v_cmp_gt_i32_e32 vcc, s9, v12
	v_addc_co_u32_e64 v9, s[2:3], v9, v5, s[2:3]
	v_mov_b32_e32 v10, s12
	v_mov_b32_e32 v4, 0
	v_add_u32_e32 v17, v16, v14
	s_mov_b64 s[2:3], 0
	s_xor_b64 s[6:7], s[0:1], -1
	s_xor_b64 s[10:11], vcc, -1
	v_mov_b32_e32 v11, s13
	v_mov_b32_e32 v18, 0
	;; [unrolled: 1-line block ×3, first 2 shown]
	s_branch .LBB1288_3
.LBB1288_2:                             ;   in Loop: Header=BB1288_3 Depth=1
	s_or_b64 exec, exec, s[0:1]
	s_waitcnt lgkmcnt(0)
	s_barrier
	ds_read2_b64 v[20:23], v14 offset1:16
	ds_read_b128 v[24:27], v16
	ds_read_b128 v[28:31], v16 offset:16
	ds_read2_b64 v[32:35], v14 offset0:32 offset1:48
	s_add_u32 s2, s2, 16
	v_add_co_u32_e32 v6, vcc, 0x80, v6
	s_waitcnt lgkmcnt(2)
	v_mul_f32_e32 v5, v25, v21
	v_mul_f32_e32 v36, v24, v21
	v_fma_f32 v5, v24, v20, -v5
	v_fmac_f32_e32 v36, v25, v20
	v_mul_f32_e32 v20, v27, v23
	v_fma_f32 v37, v26, v22, -v20
	v_mul_f32_e32 v38, v26, v23
	s_waitcnt lgkmcnt(0)
	v_mul_f32_e32 v20, v29, v33
	v_fmac_f32_e32 v38, v27, v22
	v_fma_f32 v39, v28, v32, -v20
	ds_read2_b64 v[20:23], v14 offset0:64 offset1:80
	ds_read_b128 v[24:27], v16 offset:32
	v_mul_f32_e32 v40, v28, v33
	v_fmac_f32_e32 v40, v29, v32
	v_mul_f32_e32 v28, v31, v35
	v_mul_f32_e32 v42, v30, v35
	s_waitcnt lgkmcnt(0)
	v_mul_f32_e32 v32, v25, v21
	v_fma_f32 v41, v30, v34, -v28
	v_fmac_f32_e32 v42, v31, v34
	ds_read_b128 v[28:31], v16 offset:48
	v_fma_f32 v43, v24, v20, -v32
	ds_read2_b64 v[32:35], v14 offset0:96 offset1:112
	v_mul_f32_e32 v44, v24, v21
	v_fmac_f32_e32 v44, v25, v20
	v_mul_f32_e32 v20, v27, v23
	v_fma_f32 v45, v26, v22, -v20
	v_mul_f32_e32 v46, v26, v23
	s_waitcnt lgkmcnt(0)
	v_mul_f32_e32 v20, v29, v33
	v_fmac_f32_e32 v46, v27, v22
	v_fma_f32 v47, v28, v32, -v20
	ds_read2_b64 v[20:23], v14 offset0:128 offset1:144
	ds_read_b128 v[24:27], v16 offset:64
	v_mul_f32_e32 v48, v28, v33
	v_fmac_f32_e32 v48, v29, v32
	v_mul_f32_e32 v28, v31, v35
	v_mul_f32_e32 v50, v30, v35
	s_waitcnt lgkmcnt(0)
	v_mul_f32_e32 v32, v25, v21
	v_fma_f32 v49, v30, v34, -v28
	v_fmac_f32_e32 v50, v31, v34
	ds_read_b128 v[28:31], v16 offset:80
	v_fma_f32 v51, v24, v20, -v32
	ds_read2_b64 v[32:35], v14 offset0:160 offset1:176
	v_mul_f32_e32 v52, v24, v21
	v_add_f32_e32 v18, v18, v36
	v_fmac_f32_e32 v52, v25, v20
	v_mul_f32_e32 v20, v27, v23
	v_add_f32_e32 v18, v18, v38
	v_fma_f32 v53, v26, v22, -v20
	v_mul_f32_e32 v54, v26, v23
	s_waitcnt lgkmcnt(0)
	v_mul_f32_e32 v20, v29, v33
	v_add_f32_e32 v18, v18, v40
	v_fmac_f32_e32 v54, v27, v22
	v_fma_f32 v55, v28, v32, -v20
	ds_read2_b64 v[20:23], v14 offset0:192 offset1:208
	ds_read_b128 v[24:27], v16 offset:96
	v_add_f32_e32 v18, v18, v42
	v_add_f32_e32 v18, v18, v44
	;; [unrolled: 1-line block ×6, first 2 shown]
	v_mul_f32_e32 v33, v28, v33
	v_mul_f32_e32 v28, v31, v35
	;; [unrolled: 1-line block ×3, first 2 shown]
	v_add_f32_e32 v5, v5, v39
	v_add_f32_e32 v18, v18, v50
	v_fmac_f32_e32 v33, v29, v32
	v_fma_f32 v32, v30, v34, -v28
	v_fmac_f32_e32 v35, v31, v34
	s_waitcnt lgkmcnt(0)
	v_mul_f32_e32 v34, v25, v21
	v_add_f32_e32 v5, v5, v41
	v_add_f32_e32 v18, v18, v52
	v_fma_f32 v34, v24, v20, -v34
	v_mul_f32_e32 v24, v24, v21
	v_add_f32_e32 v5, v5, v43
	v_add_f32_e32 v18, v18, v54
	v_fmac_f32_e32 v24, v25, v20
	v_mul_f32_e32 v20, v27, v23
	v_mul_f32_e32 v23, v26, v23
	v_add_f32_e32 v5, v5, v45
	v_add_f32_e32 v18, v18, v33
	ds_read_b128 v[28:31], v16 offset:112
	v_fma_f32 v25, v26, v22, -v20
	v_fmac_f32_e32 v23, v27, v22
	v_add_f32_e32 v5, v5, v47
	v_add_f32_e32 v22, v18, v35
	ds_read2_b64 v[18:21], v14 offset0:224 offset1:240
	v_add_f32_e32 v5, v5, v49
	v_add_f32_e32 v5, v5, v51
	;; [unrolled: 1-line block ×7, first 2 shown]
	s_waitcnt lgkmcnt(0)
	v_mul_f32_e32 v23, v29, v19
	v_mul_f32_e32 v19, v28, v19
	v_add_f32_e32 v5, v5, v34
	v_fmac_f32_e32 v19, v29, v18
	s_addc_u32 s3, s3, 0
	v_addc_co_u32_e32 v7, vcc, 0, v7, vcc
	v_add_f32_e32 v5, v5, v25
	v_fma_f32 v23, v28, v18, -v23
	v_add_f32_e32 v18, v22, v19
	v_mul_f32_e32 v19, v31, v21
	v_mul_f32_e32 v21, v30, v21
	v_add_co_u32_e32 v8, vcc, 0x80, v8
	v_cmp_ge_i64_e64 s[0:1], s[2:3], v[10:11]
	v_add_f32_e32 v5, v5, v23
	v_fma_f32 v19, v30, v20, -v19
	v_fmac_f32_e32 v21, v31, v20
	v_addc_co_u32_e32 v9, vcc, 0, v9, vcc
	v_add_f32_e32 v19, v5, v19
	v_add_f32_e32 v18, v18, v21
	s_and_b64 vcc, exec, s[0:1]
	s_barrier
	s_cbranch_vccnz .LBB1288_12
.LBB1288_3:                             ; =>This Inner Loop Header: Depth=1
	v_mov_b32_e32 v5, s3
	v_add_co_u32_e32 v20, vcc, s2, v1
	v_addc_co_u32_e32 v21, vcc, 0, v5, vcc
	v_cmp_le_i64_e32 vcc, s[12:13], v[20:21]
	s_or_b64 s[0:1], s[6:7], vcc
	s_and_saveexec_b64 s[16:17], s[0:1]
	s_xor_b64 s[0:1], exec, s[16:17]
; %bb.4:                                ;   in Loop: Header=BB1288_3 Depth=1
	v_mov_b32_e32 v5, v4
	ds_write_b64 v15, v[4:5]
; %bb.5:                                ;   in Loop: Header=BB1288_3 Depth=1
	s_andn2_saveexec_b64 s[0:1], s[0:1]
	s_cbranch_execz .LBB1288_7
; %bb.6:                                ;   in Loop: Header=BB1288_3 Depth=1
	global_load_dwordx2 v[20:21], v[8:9], off
	s_waitcnt vmcnt(0)
	ds_write_b64 v15, v[20:21]
.LBB1288_7:                             ;   in Loop: Header=BB1288_3 Depth=1
	s_or_b64 exec, exec, s[0:1]
	v_mov_b32_e32 v5, s3
	v_add_co_u32_e32 v20, vcc, s2, v0
	v_addc_co_u32_e32 v21, vcc, 0, v5, vcc
	v_cmp_le_i64_e32 vcc, s[12:13], v[20:21]
	s_or_b64 s[0:1], s[10:11], vcc
	s_and_saveexec_b64 s[16:17], s[0:1]
	s_xor_b64 s[0:1], exec, s[16:17]
; %bb.8:                                ;   in Loop: Header=BB1288_3 Depth=1
	v_mov_b32_e32 v5, v4
	ds_write_b64 v17, v[4:5]
; %bb.9:                                ;   in Loop: Header=BB1288_3 Depth=1
	s_andn2_saveexec_b64 s[0:1], s[0:1]
	s_cbranch_execz .LBB1288_2
; %bb.10:                               ;   in Loop: Header=BB1288_3 Depth=1
	global_load_dwordx2 v[20:21], v[6:7], off
	s_waitcnt vmcnt(0)
	ds_write_b64 v17, v[20:21]
	s_branch .LBB1288_2
.LBB1288_11:
	v_mov_b32_e32 v18, 0
	v_mov_b32_e32 v19, 0
.LBB1288_12:
	s_load_dwordx8 s[16:23], s[4:5], 0x48
	v_cmp_le_i32_e32 vcc, v12, v2
	v_cmp_gt_i32_e64 s[0:1], s9, v2
	s_and_b64 s[0:1], vcc, s[0:1]
	s_and_saveexec_b64 s[2:3], s[0:1]
	s_cbranch_execz .LBB1288_15
; %bb.13:
	s_waitcnt lgkmcnt(0)
	v_mul_lo_u32 v4, s21, v12
	v_mul_lo_u32 v5, s20, v13
	v_mad_u64_u32 v[0:1], s[2:3], s20, v12, 0
	s_mul_i32 s0, s23, s8
	s_mul_hi_u32 s1, s22, s8
	s_add_i32 s1, s1, s0
	s_mul_i32 s0, s22, s8
	s_lshl_b64 s[0:1], s[0:1], 3
	v_add3_u32 v1, v1, v5, v4
	s_add_u32 s0, s18, s0
	v_lshlrev_b64 v[0:1], 3, v[0:1]
	s_addc_u32 s1, s19, s1
	v_mov_b32_e32 v4, s1
	v_add_co_u32_e32 v5, vcc, s0, v0
	v_addc_co_u32_e32 v4, vcc, v4, v1, vcc
	v_lshlrev_b64 v[0:1], 3, v[2:3]
	v_mul_f32_e32 v6, s14, v18
	v_add_co_u32_e32 v0, vcc, v5, v0
	v_addc_co_u32_e32 v1, vcc, v4, v1, vcc
	global_load_dwordx2 v[3:4], v[0:1], off
	v_mul_f32_e32 v5, s15, v18
	v_fma_f32 v5, v19, s14, -v5
	v_fmac_f32_e32 v6, s15, v19
	v_cmp_eq_u32_e32 vcc, v2, v12
	s_waitcnt vmcnt(0)
	v_mul_f32_e32 v7, s17, v4
	v_mul_f32_e32 v4, s16, v4
	v_fma_f32 v7, v3, s16, -v7
	v_fmac_f32_e32 v4, s17, v3
	v_add_f32_e32 v3, v5, v7
	v_add_f32_e32 v4, v6, v4
	global_store_dwordx2 v[0:1], v[3:4], off
	s_and_b64 exec, exec, vcc
	s_cbranch_execz .LBB1288_15
; %bb.14:
	v_mov_b32_e32 v2, 0
	global_store_dword v[0:1], v2, off offset:4
.LBB1288_15:
	s_endpgm
	.section	.rodata,"a",@progbits
	.p2align	6, 0x0
	.amdhsa_kernel _ZL32rocblas_syrkx_herkx_small_kernelIl19rocblas_complex_numIfELi16ELb0ELb1ELc84ELc76EKS1_S1_EviT_T0_PT6_S3_lS6_S3_lS4_PT7_S3_li
		.amdhsa_group_segment_fixed_size 4096
		.amdhsa_private_segment_fixed_size 0
		.amdhsa_kernarg_size 108
		.amdhsa_user_sgpr_count 6
		.amdhsa_user_sgpr_private_segment_buffer 1
		.amdhsa_user_sgpr_dispatch_ptr 0
		.amdhsa_user_sgpr_queue_ptr 0
		.amdhsa_user_sgpr_kernarg_segment_ptr 1
		.amdhsa_user_sgpr_dispatch_id 0
		.amdhsa_user_sgpr_flat_scratch_init 0
		.amdhsa_user_sgpr_private_segment_size 0
		.amdhsa_uses_dynamic_stack 0
		.amdhsa_system_sgpr_private_segment_wavefront_offset 0
		.amdhsa_system_sgpr_workgroup_id_x 1
		.amdhsa_system_sgpr_workgroup_id_y 1
		.amdhsa_system_sgpr_workgroup_id_z 1
		.amdhsa_system_sgpr_workgroup_info 0
		.amdhsa_system_vgpr_workitem_id 1
		.amdhsa_next_free_vgpr 56
		.amdhsa_next_free_sgpr 28
		.amdhsa_reserve_vcc 1
		.amdhsa_reserve_flat_scratch 0
		.amdhsa_float_round_mode_32 0
		.amdhsa_float_round_mode_16_64 0
		.amdhsa_float_denorm_mode_32 3
		.amdhsa_float_denorm_mode_16_64 3
		.amdhsa_dx10_clamp 1
		.amdhsa_ieee_mode 1
		.amdhsa_fp16_overflow 0
		.amdhsa_exception_fp_ieee_invalid_op 0
		.amdhsa_exception_fp_denorm_src 0
		.amdhsa_exception_fp_ieee_div_zero 0
		.amdhsa_exception_fp_ieee_overflow 0
		.amdhsa_exception_fp_ieee_underflow 0
		.amdhsa_exception_fp_ieee_inexact 0
		.amdhsa_exception_int_div_zero 0
	.end_amdhsa_kernel
	.section	.text._ZL32rocblas_syrkx_herkx_small_kernelIl19rocblas_complex_numIfELi16ELb0ELb1ELc84ELc76EKS1_S1_EviT_T0_PT6_S3_lS6_S3_lS4_PT7_S3_li,"axG",@progbits,_ZL32rocblas_syrkx_herkx_small_kernelIl19rocblas_complex_numIfELi16ELb0ELb1ELc84ELc76EKS1_S1_EviT_T0_PT6_S3_lS6_S3_lS4_PT7_S3_li,comdat
.Lfunc_end1288:
	.size	_ZL32rocblas_syrkx_herkx_small_kernelIl19rocblas_complex_numIfELi16ELb0ELb1ELc84ELc76EKS1_S1_EviT_T0_PT6_S3_lS6_S3_lS4_PT7_S3_li, .Lfunc_end1288-_ZL32rocblas_syrkx_herkx_small_kernelIl19rocblas_complex_numIfELi16ELb0ELb1ELc84ELc76EKS1_S1_EviT_T0_PT6_S3_lS6_S3_lS4_PT7_S3_li
                                        ; -- End function
	.set _ZL32rocblas_syrkx_herkx_small_kernelIl19rocblas_complex_numIfELi16ELb0ELb1ELc84ELc76EKS1_S1_EviT_T0_PT6_S3_lS6_S3_lS4_PT7_S3_li.num_vgpr, 56
	.set _ZL32rocblas_syrkx_herkx_small_kernelIl19rocblas_complex_numIfELi16ELb0ELb1ELc84ELc76EKS1_S1_EviT_T0_PT6_S3_lS6_S3_lS4_PT7_S3_li.num_agpr, 0
	.set _ZL32rocblas_syrkx_herkx_small_kernelIl19rocblas_complex_numIfELi16ELb0ELb1ELc84ELc76EKS1_S1_EviT_T0_PT6_S3_lS6_S3_lS4_PT7_S3_li.numbered_sgpr, 28
	.set _ZL32rocblas_syrkx_herkx_small_kernelIl19rocblas_complex_numIfELi16ELb0ELb1ELc84ELc76EKS1_S1_EviT_T0_PT6_S3_lS6_S3_lS4_PT7_S3_li.num_named_barrier, 0
	.set _ZL32rocblas_syrkx_herkx_small_kernelIl19rocblas_complex_numIfELi16ELb0ELb1ELc84ELc76EKS1_S1_EviT_T0_PT6_S3_lS6_S3_lS4_PT7_S3_li.private_seg_size, 0
	.set _ZL32rocblas_syrkx_herkx_small_kernelIl19rocblas_complex_numIfELi16ELb0ELb1ELc84ELc76EKS1_S1_EviT_T0_PT6_S3_lS6_S3_lS4_PT7_S3_li.uses_vcc, 1
	.set _ZL32rocblas_syrkx_herkx_small_kernelIl19rocblas_complex_numIfELi16ELb0ELb1ELc84ELc76EKS1_S1_EviT_T0_PT6_S3_lS6_S3_lS4_PT7_S3_li.uses_flat_scratch, 0
	.set _ZL32rocblas_syrkx_herkx_small_kernelIl19rocblas_complex_numIfELi16ELb0ELb1ELc84ELc76EKS1_S1_EviT_T0_PT6_S3_lS6_S3_lS4_PT7_S3_li.has_dyn_sized_stack, 0
	.set _ZL32rocblas_syrkx_herkx_small_kernelIl19rocblas_complex_numIfELi16ELb0ELb1ELc84ELc76EKS1_S1_EviT_T0_PT6_S3_lS6_S3_lS4_PT7_S3_li.has_recursion, 0
	.set _ZL32rocblas_syrkx_herkx_small_kernelIl19rocblas_complex_numIfELi16ELb0ELb1ELc84ELc76EKS1_S1_EviT_T0_PT6_S3_lS6_S3_lS4_PT7_S3_li.has_indirect_call, 0
	.section	.AMDGPU.csdata,"",@progbits
; Kernel info:
; codeLenInByte = 1420
; TotalNumSgprs: 32
; NumVgprs: 56
; ScratchSize: 0
; MemoryBound: 1
; FloatMode: 240
; IeeeMode: 1
; LDSByteSize: 4096 bytes/workgroup (compile time only)
; SGPRBlocks: 3
; VGPRBlocks: 13
; NumSGPRsForWavesPerEU: 32
; NumVGPRsForWavesPerEU: 56
; Occupancy: 4
; WaveLimiterHint : 0
; COMPUTE_PGM_RSRC2:SCRATCH_EN: 0
; COMPUTE_PGM_RSRC2:USER_SGPR: 6
; COMPUTE_PGM_RSRC2:TRAP_HANDLER: 0
; COMPUTE_PGM_RSRC2:TGID_X_EN: 1
; COMPUTE_PGM_RSRC2:TGID_Y_EN: 1
; COMPUTE_PGM_RSRC2:TGID_Z_EN: 1
; COMPUTE_PGM_RSRC2:TIDIG_COMP_CNT: 1
	.section	.text._ZL32rocblas_syrkx_herkx_small_kernelIl19rocblas_complex_numIfELi16ELb0ELb1ELc67ELc76EKS1_S1_EviT_T0_PT6_S3_lS6_S3_lS4_PT7_S3_li,"axG",@progbits,_ZL32rocblas_syrkx_herkx_small_kernelIl19rocblas_complex_numIfELi16ELb0ELb1ELc67ELc76EKS1_S1_EviT_T0_PT6_S3_lS6_S3_lS4_PT7_S3_li,comdat
	.globl	_ZL32rocblas_syrkx_herkx_small_kernelIl19rocblas_complex_numIfELi16ELb0ELb1ELc67ELc76EKS1_S1_EviT_T0_PT6_S3_lS6_S3_lS4_PT7_S3_li ; -- Begin function _ZL32rocblas_syrkx_herkx_small_kernelIl19rocblas_complex_numIfELi16ELb0ELb1ELc67ELc76EKS1_S1_EviT_T0_PT6_S3_lS6_S3_lS4_PT7_S3_li
	.p2align	8
	.type	_ZL32rocblas_syrkx_herkx_small_kernelIl19rocblas_complex_numIfELi16ELb0ELb1ELc67ELc76EKS1_S1_EviT_T0_PT6_S3_lS6_S3_lS4_PT7_S3_li,@function
_ZL32rocblas_syrkx_herkx_small_kernelIl19rocblas_complex_numIfELi16ELb0ELb1ELc67ELc76EKS1_S1_EviT_T0_PT6_S3_lS6_S3_lS4_PT7_S3_li: ; @_ZL32rocblas_syrkx_herkx_small_kernelIl19rocblas_complex_numIfELi16ELb0ELb1ELc67ELc76EKS1_S1_EviT_T0_PT6_S3_lS6_S3_lS4_PT7_S3_li
; %bb.0:
	s_load_dwordx16 s[12:27], s[4:5], 0x8
	s_load_dword s9, s[4:5], 0x0
	v_lshl_add_u32 v2, s6, 4, v0
	v_lshl_add_u32 v12, s7, 4, v1
	v_ashrrev_i32_e32 v3, 31, v2
	s_waitcnt lgkmcnt(0)
	v_cmp_lt_i64_e64 s[0:1], s[12:13], 1
	v_ashrrev_i32_e32 v13, 31, v12
	s_and_b64 vcc, exec, s[0:1]
	v_cmp_gt_i32_e64 s[0:1], s9, v2
	s_cbranch_vccnz .LBB1289_11
; %bb.1:
	v_mul_lo_u32 v8, s25, v12
	v_mul_lo_u32 v9, s24, v13
	v_mad_u64_u32 v[5:6], s[2:3], s24, v12, 0
	s_mul_i32 s2, s27, s8
	s_mul_hi_u32 s3, s26, s8
	v_add3_u32 v6, v6, v9, v8
	v_lshlrev_b64 v[5:6], 3, v[5:6]
	s_add_i32 s3, s3, s2
	s_mul_i32 s2, s26, s8
	v_lshlrev_b32_e32 v7, 7, v1
	v_lshlrev_b32_e32 v14, 3, v0
	s_lshl_b64 s[2:3], s[2:3], 3
	v_add_u32_e32 v15, v14, v7
	v_add_u32_e32 v16, 0x800, v7
	v_mov_b32_e32 v7, s3
	v_add_co_u32_e64 v5, s[2:3], s2, v5
	v_addc_co_u32_e64 v6, s[2:3], v6, v7, s[2:3]
	v_add_co_u32_e64 v5, s[2:3], v5, v14
	v_addc_co_u32_e64 v7, s[2:3], 0, v6, s[2:3]
	v_mul_lo_u32 v11, s19, v2
	v_mul_lo_u32 v18, s18, v3
	v_mad_u64_u32 v[8:9], s[2:3], s18, v2, 0
	v_mov_b32_e32 v10, s23
	v_add_co_u32_e64 v6, s[2:3], s22, v5
	v_addc_co_u32_e64 v7, s[2:3], v10, v7, s[2:3]
	v_add3_u32 v9, v9, v18, v11
	s_mul_i32 s2, s21, s8
	s_mul_hi_u32 s3, s20, s8
	v_lshlrev_b64 v[8:9], 3, v[8:9]
	s_add_i32 s3, s3, s2
	s_mul_i32 s2, s20, s8
	s_lshl_b64 s[2:3], s[2:3], 3
	v_mov_b32_e32 v5, s3
	v_add_co_u32_e64 v8, s[2:3], s2, v8
	v_addc_co_u32_e64 v5, s[2:3], v9, v5, s[2:3]
	v_lshlrev_b32_e32 v9, 3, v1
	v_add_co_u32_e64 v8, s[2:3], v8, v9
	v_addc_co_u32_e64 v5, s[2:3], 0, v5, s[2:3]
	v_mov_b32_e32 v9, s17
	v_add_co_u32_e64 v8, s[2:3], s16, v8
	v_addc_co_u32_e64 v5, s[2:3], v9, v5, s[2:3]
	v_add_co_u32_e64 v8, s[2:3], 4, v8
	v_cmp_gt_i32_e32 vcc, s9, v12
	v_addc_co_u32_e64 v9, s[2:3], 0, v5, s[2:3]
	v_mov_b32_e32 v10, s12
	v_mov_b32_e32 v4, 0
	v_add_u32_e32 v17, v16, v14
	s_mov_b64 s[2:3], 0
	s_xor_b64 s[6:7], s[0:1], -1
	s_xor_b64 s[10:11], vcc, -1
	v_mov_b32_e32 v11, s13
	v_mov_b32_e32 v18, 0
	;; [unrolled: 1-line block ×3, first 2 shown]
	s_branch .LBB1289_3
.LBB1289_2:                             ;   in Loop: Header=BB1289_3 Depth=1
	s_or_b64 exec, exec, s[0:1]
	s_waitcnt lgkmcnt(0)
	s_barrier
	ds_read2_b64 v[20:23], v14 offset1:16
	ds_read_b128 v[24:27], v16
	ds_read_b128 v[28:31], v16 offset:16
	ds_read2_b64 v[32:35], v14 offset0:32 offset1:48
	s_add_u32 s2, s2, 16
	v_add_co_u32_e32 v6, vcc, 0x80, v6
	s_waitcnt lgkmcnt(2)
	v_mul_f32_e32 v5, v25, v21
	v_mul_f32_e32 v36, v24, v21
	v_fma_f32 v5, v24, v20, -v5
	v_fmac_f32_e32 v36, v25, v20
	v_mul_f32_e32 v20, v27, v23
	v_fma_f32 v37, v26, v22, -v20
	v_mul_f32_e32 v38, v26, v23
	s_waitcnt lgkmcnt(0)
	v_mul_f32_e32 v20, v29, v33
	v_fmac_f32_e32 v38, v27, v22
	v_fma_f32 v39, v28, v32, -v20
	ds_read2_b64 v[20:23], v14 offset0:64 offset1:80
	ds_read_b128 v[24:27], v16 offset:32
	v_mul_f32_e32 v40, v28, v33
	v_fmac_f32_e32 v40, v29, v32
	v_mul_f32_e32 v28, v31, v35
	v_mul_f32_e32 v42, v30, v35
	s_waitcnt lgkmcnt(0)
	v_mul_f32_e32 v32, v25, v21
	v_fma_f32 v41, v30, v34, -v28
	v_fmac_f32_e32 v42, v31, v34
	ds_read_b128 v[28:31], v16 offset:48
	v_fma_f32 v43, v24, v20, -v32
	ds_read2_b64 v[32:35], v14 offset0:96 offset1:112
	v_mul_f32_e32 v44, v24, v21
	v_fmac_f32_e32 v44, v25, v20
	v_mul_f32_e32 v20, v27, v23
	v_fma_f32 v45, v26, v22, -v20
	v_mul_f32_e32 v46, v26, v23
	s_waitcnt lgkmcnt(0)
	v_mul_f32_e32 v20, v29, v33
	v_fmac_f32_e32 v46, v27, v22
	v_fma_f32 v47, v28, v32, -v20
	ds_read2_b64 v[20:23], v14 offset0:128 offset1:144
	ds_read_b128 v[24:27], v16 offset:64
	v_mul_f32_e32 v48, v28, v33
	v_fmac_f32_e32 v48, v29, v32
	v_mul_f32_e32 v28, v31, v35
	v_mul_f32_e32 v50, v30, v35
	s_waitcnt lgkmcnt(0)
	v_mul_f32_e32 v32, v25, v21
	v_fma_f32 v49, v30, v34, -v28
	v_fmac_f32_e32 v50, v31, v34
	ds_read_b128 v[28:31], v16 offset:80
	v_fma_f32 v51, v24, v20, -v32
	ds_read2_b64 v[32:35], v14 offset0:160 offset1:176
	v_mul_f32_e32 v52, v24, v21
	v_add_f32_e32 v18, v18, v36
	v_fmac_f32_e32 v52, v25, v20
	v_mul_f32_e32 v20, v27, v23
	v_add_f32_e32 v18, v18, v38
	v_fma_f32 v53, v26, v22, -v20
	v_mul_f32_e32 v54, v26, v23
	s_waitcnt lgkmcnt(0)
	v_mul_f32_e32 v20, v29, v33
	v_add_f32_e32 v18, v18, v40
	v_fmac_f32_e32 v54, v27, v22
	v_fma_f32 v55, v28, v32, -v20
	ds_read2_b64 v[20:23], v14 offset0:192 offset1:208
	ds_read_b128 v[24:27], v16 offset:96
	v_add_f32_e32 v18, v18, v42
	v_add_f32_e32 v18, v18, v44
	;; [unrolled: 1-line block ×6, first 2 shown]
	v_mul_f32_e32 v33, v28, v33
	v_mul_f32_e32 v28, v31, v35
	;; [unrolled: 1-line block ×3, first 2 shown]
	v_add_f32_e32 v5, v5, v39
	v_add_f32_e32 v18, v18, v50
	v_fmac_f32_e32 v33, v29, v32
	v_fma_f32 v32, v30, v34, -v28
	v_fmac_f32_e32 v35, v31, v34
	s_waitcnt lgkmcnt(0)
	v_mul_f32_e32 v34, v25, v21
	v_add_f32_e32 v5, v5, v41
	v_add_f32_e32 v18, v18, v52
	v_fma_f32 v34, v24, v20, -v34
	v_mul_f32_e32 v24, v24, v21
	v_add_f32_e32 v5, v5, v43
	v_add_f32_e32 v18, v18, v54
	v_fmac_f32_e32 v24, v25, v20
	v_mul_f32_e32 v20, v27, v23
	v_mul_f32_e32 v23, v26, v23
	v_add_f32_e32 v5, v5, v45
	v_add_f32_e32 v18, v18, v33
	ds_read_b128 v[28:31], v16 offset:112
	v_fma_f32 v25, v26, v22, -v20
	v_fmac_f32_e32 v23, v27, v22
	v_add_f32_e32 v5, v5, v47
	v_add_f32_e32 v22, v18, v35
	ds_read2_b64 v[18:21], v14 offset0:224 offset1:240
	v_add_f32_e32 v5, v5, v49
	v_add_f32_e32 v5, v5, v51
	;; [unrolled: 1-line block ×7, first 2 shown]
	s_waitcnt lgkmcnt(0)
	v_mul_f32_e32 v23, v29, v19
	v_mul_f32_e32 v19, v28, v19
	v_add_f32_e32 v5, v5, v34
	v_fmac_f32_e32 v19, v29, v18
	s_addc_u32 s3, s3, 0
	v_addc_co_u32_e32 v7, vcc, 0, v7, vcc
	v_add_f32_e32 v5, v5, v25
	v_fma_f32 v23, v28, v18, -v23
	v_add_f32_e32 v18, v22, v19
	v_mul_f32_e32 v19, v31, v21
	v_mul_f32_e32 v21, v30, v21
	v_add_co_u32_e32 v8, vcc, 0x80, v8
	v_cmp_ge_i64_e64 s[0:1], s[2:3], v[10:11]
	v_add_f32_e32 v5, v5, v23
	v_fma_f32 v19, v30, v20, -v19
	v_fmac_f32_e32 v21, v31, v20
	v_addc_co_u32_e32 v9, vcc, 0, v9, vcc
	v_add_f32_e32 v19, v5, v19
	v_add_f32_e32 v18, v18, v21
	s_and_b64 vcc, exec, s[0:1]
	s_barrier
	s_cbranch_vccnz .LBB1289_12
.LBB1289_3:                             ; =>This Inner Loop Header: Depth=1
	v_mov_b32_e32 v5, s3
	v_add_co_u32_e32 v20, vcc, s2, v1
	v_addc_co_u32_e32 v21, vcc, 0, v5, vcc
	v_cmp_le_i64_e32 vcc, s[12:13], v[20:21]
	s_or_b64 s[0:1], s[6:7], vcc
	s_and_saveexec_b64 s[16:17], s[0:1]
	s_xor_b64 s[0:1], exec, s[16:17]
; %bb.4:                                ;   in Loop: Header=BB1289_3 Depth=1
	ds_write_b32 v15, v4
; %bb.5:                                ;   in Loop: Header=BB1289_3 Depth=1
	s_or_saveexec_b64 s[0:1], s[0:1]
	v_mov_b32_e32 v5, 0
	s_xor_b64 exec, exec, s[0:1]
	s_cbranch_execz .LBB1289_7
; %bb.6:                                ;   in Loop: Header=BB1289_3 Depth=1
	global_load_dwordx2 v[20:21], v[8:9], off offset:-4
	s_waitcnt vmcnt(0)
	v_xor_b32_e32 v5, 0x80000000, v21
	ds_write_b32 v15, v20
.LBB1289_7:                             ;   in Loop: Header=BB1289_3 Depth=1
	s_or_b64 exec, exec, s[0:1]
	v_mov_b32_e32 v21, s3
	v_add_co_u32_e32 v20, vcc, s2, v0
	v_addc_co_u32_e32 v21, vcc, 0, v21, vcc
	v_cmp_le_i64_e32 vcc, s[12:13], v[20:21]
	ds_write_b32 v15, v5 offset:4
	s_or_b64 s[0:1], s[10:11], vcc
	s_and_saveexec_b64 s[16:17], s[0:1]
	s_xor_b64 s[0:1], exec, s[16:17]
; %bb.8:                                ;   in Loop: Header=BB1289_3 Depth=1
	v_mov_b32_e32 v5, v4
	ds_write_b64 v17, v[4:5]
; %bb.9:                                ;   in Loop: Header=BB1289_3 Depth=1
	s_andn2_saveexec_b64 s[0:1], s[0:1]
	s_cbranch_execz .LBB1289_2
; %bb.10:                               ;   in Loop: Header=BB1289_3 Depth=1
	global_load_dwordx2 v[20:21], v[6:7], off
	s_waitcnt vmcnt(0)
	ds_write_b64 v17, v[20:21]
	s_branch .LBB1289_2
.LBB1289_11:
	v_mov_b32_e32 v18, 0
	v_mov_b32_e32 v19, 0
.LBB1289_12:
	s_load_dwordx8 s[16:23], s[4:5], 0x48
	v_cmp_le_i32_e32 vcc, v12, v2
	v_cmp_gt_i32_e64 s[0:1], s9, v2
	s_and_b64 s[0:1], vcc, s[0:1]
	s_and_saveexec_b64 s[2:3], s[0:1]
	s_cbranch_execz .LBB1289_15
; %bb.13:
	s_waitcnt lgkmcnt(0)
	v_mul_lo_u32 v4, s21, v12
	v_mul_lo_u32 v5, s20, v13
	v_mad_u64_u32 v[0:1], s[2:3], s20, v12, 0
	s_mul_i32 s0, s23, s8
	s_mul_hi_u32 s1, s22, s8
	s_add_i32 s1, s1, s0
	s_mul_i32 s0, s22, s8
	s_lshl_b64 s[0:1], s[0:1], 3
	v_add3_u32 v1, v1, v5, v4
	s_add_u32 s0, s18, s0
	v_lshlrev_b64 v[0:1], 3, v[0:1]
	s_addc_u32 s1, s19, s1
	v_mov_b32_e32 v4, s1
	v_add_co_u32_e32 v5, vcc, s0, v0
	v_addc_co_u32_e32 v4, vcc, v4, v1, vcc
	v_lshlrev_b64 v[0:1], 3, v[2:3]
	v_mul_f32_e32 v6, s14, v18
	v_add_co_u32_e32 v0, vcc, v5, v0
	v_addc_co_u32_e32 v1, vcc, v4, v1, vcc
	global_load_dwordx2 v[3:4], v[0:1], off
	v_mul_f32_e32 v5, s15, v18
	v_fma_f32 v5, v19, s14, -v5
	v_fmac_f32_e32 v6, s15, v19
	v_cmp_eq_u32_e32 vcc, v2, v12
	s_waitcnt vmcnt(0)
	v_mul_f32_e32 v7, s17, v4
	v_mul_f32_e32 v4, s16, v4
	v_fma_f32 v7, v3, s16, -v7
	v_fmac_f32_e32 v4, s17, v3
	v_add_f32_e32 v3, v5, v7
	v_add_f32_e32 v4, v6, v4
	global_store_dwordx2 v[0:1], v[3:4], off
	s_and_b64 exec, exec, vcc
	s_cbranch_execz .LBB1289_15
; %bb.14:
	v_mov_b32_e32 v2, 0
	global_store_dword v[0:1], v2, off offset:4
.LBB1289_15:
	s_endpgm
	.section	.rodata,"a",@progbits
	.p2align	6, 0x0
	.amdhsa_kernel _ZL32rocblas_syrkx_herkx_small_kernelIl19rocblas_complex_numIfELi16ELb0ELb1ELc67ELc76EKS1_S1_EviT_T0_PT6_S3_lS6_S3_lS4_PT7_S3_li
		.amdhsa_group_segment_fixed_size 4096
		.amdhsa_private_segment_fixed_size 0
		.amdhsa_kernarg_size 108
		.amdhsa_user_sgpr_count 6
		.amdhsa_user_sgpr_private_segment_buffer 1
		.amdhsa_user_sgpr_dispatch_ptr 0
		.amdhsa_user_sgpr_queue_ptr 0
		.amdhsa_user_sgpr_kernarg_segment_ptr 1
		.amdhsa_user_sgpr_dispatch_id 0
		.amdhsa_user_sgpr_flat_scratch_init 0
		.amdhsa_user_sgpr_private_segment_size 0
		.amdhsa_uses_dynamic_stack 0
		.amdhsa_system_sgpr_private_segment_wavefront_offset 0
		.amdhsa_system_sgpr_workgroup_id_x 1
		.amdhsa_system_sgpr_workgroup_id_y 1
		.amdhsa_system_sgpr_workgroup_id_z 1
		.amdhsa_system_sgpr_workgroup_info 0
		.amdhsa_system_vgpr_workitem_id 1
		.amdhsa_next_free_vgpr 56
		.amdhsa_next_free_sgpr 28
		.amdhsa_reserve_vcc 1
		.amdhsa_reserve_flat_scratch 0
		.amdhsa_float_round_mode_32 0
		.amdhsa_float_round_mode_16_64 0
		.amdhsa_float_denorm_mode_32 3
		.amdhsa_float_denorm_mode_16_64 3
		.amdhsa_dx10_clamp 1
		.amdhsa_ieee_mode 1
		.amdhsa_fp16_overflow 0
		.amdhsa_exception_fp_ieee_invalid_op 0
		.amdhsa_exception_fp_denorm_src 0
		.amdhsa_exception_fp_ieee_div_zero 0
		.amdhsa_exception_fp_ieee_overflow 0
		.amdhsa_exception_fp_ieee_underflow 0
		.amdhsa_exception_fp_ieee_inexact 0
		.amdhsa_exception_int_div_zero 0
	.end_amdhsa_kernel
	.section	.text._ZL32rocblas_syrkx_herkx_small_kernelIl19rocblas_complex_numIfELi16ELb0ELb1ELc67ELc76EKS1_S1_EviT_T0_PT6_S3_lS6_S3_lS4_PT7_S3_li,"axG",@progbits,_ZL32rocblas_syrkx_herkx_small_kernelIl19rocblas_complex_numIfELi16ELb0ELb1ELc67ELc76EKS1_S1_EviT_T0_PT6_S3_lS6_S3_lS4_PT7_S3_li,comdat
.Lfunc_end1289:
	.size	_ZL32rocblas_syrkx_herkx_small_kernelIl19rocblas_complex_numIfELi16ELb0ELb1ELc67ELc76EKS1_S1_EviT_T0_PT6_S3_lS6_S3_lS4_PT7_S3_li, .Lfunc_end1289-_ZL32rocblas_syrkx_herkx_small_kernelIl19rocblas_complex_numIfELi16ELb0ELb1ELc67ELc76EKS1_S1_EviT_T0_PT6_S3_lS6_S3_lS4_PT7_S3_li
                                        ; -- End function
	.set _ZL32rocblas_syrkx_herkx_small_kernelIl19rocblas_complex_numIfELi16ELb0ELb1ELc67ELc76EKS1_S1_EviT_T0_PT6_S3_lS6_S3_lS4_PT7_S3_li.num_vgpr, 56
	.set _ZL32rocblas_syrkx_herkx_small_kernelIl19rocblas_complex_numIfELi16ELb0ELb1ELc67ELc76EKS1_S1_EviT_T0_PT6_S3_lS6_S3_lS4_PT7_S3_li.num_agpr, 0
	.set _ZL32rocblas_syrkx_herkx_small_kernelIl19rocblas_complex_numIfELi16ELb0ELb1ELc67ELc76EKS1_S1_EviT_T0_PT6_S3_lS6_S3_lS4_PT7_S3_li.numbered_sgpr, 28
	.set _ZL32rocblas_syrkx_herkx_small_kernelIl19rocblas_complex_numIfELi16ELb0ELb1ELc67ELc76EKS1_S1_EviT_T0_PT6_S3_lS6_S3_lS4_PT7_S3_li.num_named_barrier, 0
	.set _ZL32rocblas_syrkx_herkx_small_kernelIl19rocblas_complex_numIfELi16ELb0ELb1ELc67ELc76EKS1_S1_EviT_T0_PT6_S3_lS6_S3_lS4_PT7_S3_li.private_seg_size, 0
	.set _ZL32rocblas_syrkx_herkx_small_kernelIl19rocblas_complex_numIfELi16ELb0ELb1ELc67ELc76EKS1_S1_EviT_T0_PT6_S3_lS6_S3_lS4_PT7_S3_li.uses_vcc, 1
	.set _ZL32rocblas_syrkx_herkx_small_kernelIl19rocblas_complex_numIfELi16ELb0ELb1ELc67ELc76EKS1_S1_EviT_T0_PT6_S3_lS6_S3_lS4_PT7_S3_li.uses_flat_scratch, 0
	.set _ZL32rocblas_syrkx_herkx_small_kernelIl19rocblas_complex_numIfELi16ELb0ELb1ELc67ELc76EKS1_S1_EviT_T0_PT6_S3_lS6_S3_lS4_PT7_S3_li.has_dyn_sized_stack, 0
	.set _ZL32rocblas_syrkx_herkx_small_kernelIl19rocblas_complex_numIfELi16ELb0ELb1ELc67ELc76EKS1_S1_EviT_T0_PT6_S3_lS6_S3_lS4_PT7_S3_li.has_recursion, 0
	.set _ZL32rocblas_syrkx_herkx_small_kernelIl19rocblas_complex_numIfELi16ELb0ELb1ELc67ELc76EKS1_S1_EviT_T0_PT6_S3_lS6_S3_lS4_PT7_S3_li.has_indirect_call, 0
	.section	.AMDGPU.csdata,"",@progbits
; Kernel info:
; codeLenInByte = 1456
; TotalNumSgprs: 32
; NumVgprs: 56
; ScratchSize: 0
; MemoryBound: 1
; FloatMode: 240
; IeeeMode: 1
; LDSByteSize: 4096 bytes/workgroup (compile time only)
; SGPRBlocks: 3
; VGPRBlocks: 13
; NumSGPRsForWavesPerEU: 32
; NumVGPRsForWavesPerEU: 56
; Occupancy: 4
; WaveLimiterHint : 0
; COMPUTE_PGM_RSRC2:SCRATCH_EN: 0
; COMPUTE_PGM_RSRC2:USER_SGPR: 6
; COMPUTE_PGM_RSRC2:TRAP_HANDLER: 0
; COMPUTE_PGM_RSRC2:TGID_X_EN: 1
; COMPUTE_PGM_RSRC2:TGID_Y_EN: 1
; COMPUTE_PGM_RSRC2:TGID_Z_EN: 1
; COMPUTE_PGM_RSRC2:TIDIG_COMP_CNT: 1
	.section	.text._ZL32rocblas_syrkx_herkx_small_kernelIl19rocblas_complex_numIfELi16ELb0ELb1ELc78ELc76EKS1_S1_EviT_T0_PT6_S3_lS6_S3_lS4_PT7_S3_li,"axG",@progbits,_ZL32rocblas_syrkx_herkx_small_kernelIl19rocblas_complex_numIfELi16ELb0ELb1ELc78ELc76EKS1_S1_EviT_T0_PT6_S3_lS6_S3_lS4_PT7_S3_li,comdat
	.globl	_ZL32rocblas_syrkx_herkx_small_kernelIl19rocblas_complex_numIfELi16ELb0ELb1ELc78ELc76EKS1_S1_EviT_T0_PT6_S3_lS6_S3_lS4_PT7_S3_li ; -- Begin function _ZL32rocblas_syrkx_herkx_small_kernelIl19rocblas_complex_numIfELi16ELb0ELb1ELc78ELc76EKS1_S1_EviT_T0_PT6_S3_lS6_S3_lS4_PT7_S3_li
	.p2align	8
	.type	_ZL32rocblas_syrkx_herkx_small_kernelIl19rocblas_complex_numIfELi16ELb0ELb1ELc78ELc76EKS1_S1_EviT_T0_PT6_S3_lS6_S3_lS4_PT7_S3_li,@function
_ZL32rocblas_syrkx_herkx_small_kernelIl19rocblas_complex_numIfELi16ELb0ELb1ELc78ELc76EKS1_S1_EviT_T0_PT6_S3_lS6_S3_lS4_PT7_S3_li: ; @_ZL32rocblas_syrkx_herkx_small_kernelIl19rocblas_complex_numIfELi16ELb0ELb1ELc78ELc76EKS1_S1_EviT_T0_PT6_S3_lS6_S3_lS4_PT7_S3_li
; %bb.0:
	s_load_dwordx16 s[12:27], s[4:5], 0x8
	s_load_dword s9, s[4:5], 0x0
	v_lshl_add_u32 v2, s6, 4, v0
	v_lshl_add_u32 v4, s7, 4, v1
	v_ashrrev_i32_e32 v3, 31, v2
	s_waitcnt lgkmcnt(0)
	v_cmp_lt_i64_e64 s[0:1], s[12:13], 1
	v_ashrrev_i32_e32 v5, 31, v4
	s_and_b64 vcc, exec, s[0:1]
	v_cmp_gt_i32_e64 s[0:1], s9, v2
	s_cbranch_vccnz .LBB1290_11
; %bb.1:
	v_lshlrev_b32_e32 v7, 7, v1
	v_lshlrev_b32_e32 v14, 3, v0
	v_add_u32_e32 v15, v14, v7
	v_add_u32_e32 v16, 0x800, v7
	v_mad_u64_u32 v[7:8], s[2:3], s24, v0, 0
	s_mul_i32 s6, s27, s8
	s_mul_hi_u32 s7, s26, s8
	v_mad_u64_u32 v[8:9], s[2:3], s25, v0, v[8:9]
	s_add_i32 s3, s7, s6
	s_mul_i32 s2, s26, s8
	v_lshlrev_b64 v[7:8], 3, v[7:8]
	s_lshl_b64 s[2:3], s[2:3], 3
	v_mov_b32_e32 v9, s3
	v_add_co_u32_e64 v10, s[2:3], s2, v7
	v_addc_co_u32_e64 v9, s[2:3], v9, v8, s[2:3]
	v_lshlrev_b64 v[7:8], 3, v[4:5]
	s_mul_i32 s10, s21, s8
	v_add_co_u32_e64 v7, s[2:3], v10, v7
	v_addc_co_u32_e64 v8, s[2:3], v9, v8, s[2:3]
	v_mov_b32_e32 v9, s23
	v_add_co_u32_e64 v7, s[2:3], s22, v7
	v_addc_co_u32_e64 v9, s[2:3], v9, v8, s[2:3]
	v_add_co_u32_e64 v8, s[2:3], 4, v7
	v_addc_co_u32_e64 v9, s[2:3], 0, v9, s[2:3]
	v_mad_u64_u32 v[10:11], s[2:3], s18, v1, 0
	s_mul_hi_u32 s11, s20, s8
	v_cmp_gt_i32_e32 vcc, s9, v4
	v_mov_b32_e32 v7, v11
	v_mad_u64_u32 v[11:12], s[2:3], s19, v1, v[7:8]
	s_add_i32 s3, s11, s10
	s_mul_i32 s2, s20, s8
	v_lshlrev_b64 v[10:11], 3, v[10:11]
	s_lshl_b64 s[2:3], s[2:3], 3
	v_mov_b32_e32 v7, s3
	v_add_co_u32_e64 v12, s[2:3], s2, v10
	v_addc_co_u32_e64 v7, s[2:3], v7, v11, s[2:3]
	v_lshlrev_b64 v[10:11], 3, v[2:3]
	s_lshl_b64 s[6:7], s[24:25], 7
	v_add_co_u32_e64 v10, s[2:3], v12, v10
	v_addc_co_u32_e64 v7, s[2:3], v7, v11, s[2:3]
	v_mov_b32_e32 v11, s17
	v_add_co_u32_e64 v10, s[2:3], s16, v10
	v_addc_co_u32_e64 v11, s[2:3], v11, v7, s[2:3]
	s_lshl_b64 s[2:3], s[18:19], 7
	v_mov_b32_e32 v12, s12
	v_mov_b32_e32 v6, 0
	v_add_u32_e32 v17, v16, v14
	s_mov_b64 s[10:11], 0
	s_xor_b64 s[16:17], s[0:1], -1
	s_xor_b64 s[18:19], vcc, -1
	v_mov_b32_e32 v20, s7
	v_mov_b32_e32 v21, s3
	;; [unrolled: 1-line block ×5, first 2 shown]
	s_branch .LBB1290_3
.LBB1290_2:                             ;   in Loop: Header=BB1290_3 Depth=1
	s_or_b64 exec, exec, s[0:1]
	ds_write_b32 v17, v7 offset:4
	s_waitcnt lgkmcnt(0)
	s_barrier
	ds_read2_b64 v[22:25], v14 offset1:16
	ds_read_b128 v[26:29], v16
	ds_read_b128 v[30:33], v16 offset:16
	ds_read2_b64 v[34:37], v14 offset0:32 offset1:48
	s_add_u32 s10, s10, 16
	v_add_co_u32_e32 v8, vcc, s6, v8
	s_waitcnt lgkmcnt(2)
	v_mul_f32_e32 v7, v27, v23
	v_mul_f32_e32 v38, v26, v23
	v_fma_f32 v7, v26, v22, -v7
	v_fmac_f32_e32 v38, v27, v22
	v_mul_f32_e32 v22, v29, v25
	v_fma_f32 v39, v28, v24, -v22
	v_mul_f32_e32 v40, v28, v25
	s_waitcnt lgkmcnt(0)
	v_mul_f32_e32 v22, v31, v35
	v_fmac_f32_e32 v40, v29, v24
	v_fma_f32 v41, v30, v34, -v22
	ds_read2_b64 v[22:25], v14 offset0:64 offset1:80
	ds_read_b128 v[26:29], v16 offset:32
	v_mul_f32_e32 v42, v30, v35
	v_fmac_f32_e32 v42, v31, v34
	v_mul_f32_e32 v30, v33, v37
	v_mul_f32_e32 v44, v32, v37
	s_waitcnt lgkmcnt(0)
	v_mul_f32_e32 v34, v27, v23
	v_fma_f32 v43, v32, v36, -v30
	v_fmac_f32_e32 v44, v33, v36
	ds_read_b128 v[30:33], v16 offset:48
	v_fma_f32 v45, v26, v22, -v34
	ds_read2_b64 v[34:37], v14 offset0:96 offset1:112
	v_mul_f32_e32 v46, v26, v23
	v_fmac_f32_e32 v46, v27, v22
	v_mul_f32_e32 v22, v29, v25
	v_fma_f32 v47, v28, v24, -v22
	v_mul_f32_e32 v48, v28, v25
	s_waitcnt lgkmcnt(0)
	v_mul_f32_e32 v22, v31, v35
	v_fmac_f32_e32 v48, v29, v24
	v_fma_f32 v49, v30, v34, -v22
	ds_read2_b64 v[22:25], v14 offset0:128 offset1:144
	ds_read_b128 v[26:29], v16 offset:64
	v_mul_f32_e32 v50, v30, v35
	v_fmac_f32_e32 v50, v31, v34
	v_mul_f32_e32 v30, v33, v37
	v_mul_f32_e32 v52, v32, v37
	s_waitcnt lgkmcnt(0)
	v_mul_f32_e32 v34, v27, v23
	v_fma_f32 v51, v32, v36, -v30
	v_fmac_f32_e32 v52, v33, v36
	ds_read_b128 v[30:33], v16 offset:80
	v_fma_f32 v53, v26, v22, -v34
	ds_read2_b64 v[34:37], v14 offset0:160 offset1:176
	v_mul_f32_e32 v54, v26, v23
	v_fmac_f32_e32 v54, v27, v22
	v_mul_f32_e32 v22, v29, v25
	v_fma_f32 v55, v28, v24, -v22
	v_mul_f32_e32 v56, v28, v25
	s_waitcnt lgkmcnt(0)
	v_mul_f32_e32 v22, v31, v35
	v_add_f32_e32 v7, v19, v7
	v_add_f32_e32 v18, v18, v38
	v_fmac_f32_e32 v56, v29, v24
	v_fma_f32 v57, v30, v34, -v22
	ds_read2_b64 v[22:25], v14 offset0:192 offset1:208
	ds_read_b128 v[26:29], v16 offset:96
	v_add_f32_e32 v7, v7, v39
	v_add_f32_e32 v18, v18, v40
	;; [unrolled: 1-line block ×8, first 2 shown]
	v_mul_f32_e32 v58, v30, v35
	v_add_f32_e32 v7, v7, v47
	v_add_f32_e32 v18, v18, v48
	v_fmac_f32_e32 v58, v31, v34
	v_mul_f32_e32 v30, v33, v37
	v_mul_f32_e32 v60, v32, v37
	s_waitcnt lgkmcnt(0)
	v_mul_f32_e32 v34, v27, v23
	v_add_f32_e32 v7, v7, v49
	v_add_f32_e32 v18, v18, v50
	v_fma_f32 v59, v32, v36, -v30
	v_fmac_f32_e32 v60, v33, v36
	ds_read_b128 v[30:33], v16 offset:112
	v_fma_f32 v61, v26, v22, -v34
	ds_read2_b64 v[34:37], v14 offset0:224 offset1:240
	v_add_f32_e32 v7, v7, v51
	v_add_f32_e32 v18, v18, v52
	;; [unrolled: 1-line block ×6, first 2 shown]
	v_mul_f32_e32 v23, v26, v23
	v_add_f32_e32 v7, v7, v57
	v_add_f32_e32 v18, v18, v58
	v_fmac_f32_e32 v23, v27, v22
	v_mul_f32_e32 v22, v29, v25
	v_mul_f32_e32 v25, v28, v25
	v_add_f32_e32 v7, v7, v59
	v_add_f32_e32 v18, v18, v60
	v_fma_f32 v22, v28, v24, -v22
	v_fmac_f32_e32 v25, v29, v24
	s_waitcnt lgkmcnt(0)
	v_mul_f32_e32 v24, v31, v35
	v_mul_f32_e32 v26, v30, v35
	v_add_f32_e32 v7, v7, v61
	v_add_f32_e32 v18, v18, v23
	s_addc_u32 s11, s11, 0
	v_addc_co_u32_e32 v9, vcc, v9, v20, vcc
	v_fma_f32 v24, v30, v34, -v24
	v_fmac_f32_e32 v26, v31, v34
	v_mul_f32_e32 v27, v33, v37
	v_mul_f32_e32 v28, v32, v37
	v_add_f32_e32 v7, v7, v22
	v_add_f32_e32 v18, v18, v25
	v_cmp_ge_i64_e32 vcc, s[10:11], v[12:13]
	v_fma_f32 v27, v32, v36, -v27
	v_fmac_f32_e32 v28, v33, v36
	v_add_f32_e32 v7, v7, v24
	v_add_f32_e32 v18, v18, v26
	v_add_co_u32_e64 v10, s[0:1], s2, v10
	v_add_f32_e32 v19, v7, v27
	v_add_f32_e32 v18, v18, v28
	v_addc_co_u32_e64 v11, s[0:1], v11, v21, s[0:1]
	s_barrier
	s_cbranch_vccnz .LBB1290_12
.LBB1290_3:                             ; =>This Inner Loop Header: Depth=1
	v_mov_b32_e32 v7, s11
	v_add_co_u32_e32 v22, vcc, s10, v1
	v_addc_co_u32_e32 v23, vcc, 0, v7, vcc
	v_cmp_le_i64_e32 vcc, s[12:13], v[22:23]
	s_or_b64 s[0:1], s[16:17], vcc
	s_and_saveexec_b64 s[20:21], s[0:1]
	s_xor_b64 s[0:1], exec, s[20:21]
; %bb.4:                                ;   in Loop: Header=BB1290_3 Depth=1
	v_mov_b32_e32 v7, v6
	ds_write_b64 v15, v[6:7]
; %bb.5:                                ;   in Loop: Header=BB1290_3 Depth=1
	s_andn2_saveexec_b64 s[0:1], s[0:1]
	s_cbranch_execz .LBB1290_7
; %bb.6:                                ;   in Loop: Header=BB1290_3 Depth=1
	global_load_dwordx2 v[22:23], v[10:11], off
	s_waitcnt vmcnt(0)
	ds_write_b64 v15, v[22:23]
.LBB1290_7:                             ;   in Loop: Header=BB1290_3 Depth=1
	s_or_b64 exec, exec, s[0:1]
	v_mov_b32_e32 v7, s11
	v_add_co_u32_e32 v22, vcc, s10, v0
	v_addc_co_u32_e32 v23, vcc, 0, v7, vcc
	v_cmp_le_i64_e32 vcc, s[12:13], v[22:23]
	s_or_b64 s[0:1], s[18:19], vcc
	s_and_saveexec_b64 s[20:21], s[0:1]
	s_xor_b64 s[0:1], exec, s[20:21]
; %bb.8:                                ;   in Loop: Header=BB1290_3 Depth=1
	ds_write_b32 v17, v6
; %bb.9:                                ;   in Loop: Header=BB1290_3 Depth=1
	s_or_saveexec_b64 s[0:1], s[0:1]
	v_mov_b32_e32 v7, 0
	s_xor_b64 exec, exec, s[0:1]
	s_cbranch_execz .LBB1290_2
; %bb.10:                               ;   in Loop: Header=BB1290_3 Depth=1
	global_load_dwordx2 v[22:23], v[8:9], off offset:-4
	s_waitcnt vmcnt(0)
	v_xor_b32_e32 v7, 0x80000000, v23
	ds_write_b32 v17, v22
	s_branch .LBB1290_2
.LBB1290_11:
	v_mov_b32_e32 v18, 0
	v_mov_b32_e32 v19, 0
.LBB1290_12:
	s_load_dwordx8 s[16:23], s[4:5], 0x48
	v_cmp_le_i32_e32 vcc, v4, v2
	v_cmp_gt_i32_e64 s[0:1], s9, v2
	s_and_b64 s[0:1], vcc, s[0:1]
	s_and_saveexec_b64 s[2:3], s[0:1]
	s_cbranch_execz .LBB1290_15
; %bb.13:
	s_waitcnt lgkmcnt(0)
	v_mul_lo_u32 v6, s21, v4
	v_mul_lo_u32 v5, s20, v5
	v_mad_u64_u32 v[0:1], s[2:3], s20, v4, 0
	s_mul_i32 s0, s23, s8
	s_mul_hi_u32 s1, s22, s8
	s_add_i32 s1, s1, s0
	s_mul_i32 s0, s22, s8
	s_lshl_b64 s[0:1], s[0:1], 3
	v_add3_u32 v1, v1, v5, v6
	s_add_u32 s0, s18, s0
	v_lshlrev_b64 v[0:1], 3, v[0:1]
	s_addc_u32 s1, s19, s1
	v_mov_b32_e32 v5, s1
	v_add_co_u32_e32 v6, vcc, s0, v0
	v_addc_co_u32_e32 v5, vcc, v5, v1, vcc
	v_lshlrev_b64 v[0:1], 3, v[2:3]
	v_mul_f32_e32 v3, s15, v18
	v_add_co_u32_e32 v0, vcc, v6, v0
	v_addc_co_u32_e32 v1, vcc, v5, v1, vcc
	global_load_dwordx2 v[5:6], v[0:1], off
	v_mul_f32_e32 v7, s14, v18
	v_fma_f32 v3, v19, s14, -v3
	v_fmac_f32_e32 v7, s15, v19
	v_cmp_eq_u32_e32 vcc, v2, v4
	s_waitcnt vmcnt(0)
	v_mul_f32_e32 v8, s17, v6
	v_mul_f32_e32 v6, s16, v6
	v_fma_f32 v8, v5, s16, -v8
	v_fmac_f32_e32 v6, s17, v5
	v_add_f32_e32 v5, v3, v8
	v_add_f32_e32 v6, v7, v6
	global_store_dwordx2 v[0:1], v[5:6], off
	s_and_b64 exec, exec, vcc
	s_cbranch_execz .LBB1290_15
; %bb.14:
	v_mov_b32_e32 v2, 0
	global_store_dword v[0:1], v2, off offset:4
.LBB1290_15:
	s_endpgm
	.section	.rodata,"a",@progbits
	.p2align	6, 0x0
	.amdhsa_kernel _ZL32rocblas_syrkx_herkx_small_kernelIl19rocblas_complex_numIfELi16ELb0ELb1ELc78ELc76EKS1_S1_EviT_T0_PT6_S3_lS6_S3_lS4_PT7_S3_li
		.amdhsa_group_segment_fixed_size 4096
		.amdhsa_private_segment_fixed_size 0
		.amdhsa_kernarg_size 108
		.amdhsa_user_sgpr_count 6
		.amdhsa_user_sgpr_private_segment_buffer 1
		.amdhsa_user_sgpr_dispatch_ptr 0
		.amdhsa_user_sgpr_queue_ptr 0
		.amdhsa_user_sgpr_kernarg_segment_ptr 1
		.amdhsa_user_sgpr_dispatch_id 0
		.amdhsa_user_sgpr_flat_scratch_init 0
		.amdhsa_user_sgpr_private_segment_size 0
		.amdhsa_uses_dynamic_stack 0
		.amdhsa_system_sgpr_private_segment_wavefront_offset 0
		.amdhsa_system_sgpr_workgroup_id_x 1
		.amdhsa_system_sgpr_workgroup_id_y 1
		.amdhsa_system_sgpr_workgroup_id_z 1
		.amdhsa_system_sgpr_workgroup_info 0
		.amdhsa_system_vgpr_workitem_id 1
		.amdhsa_next_free_vgpr 62
		.amdhsa_next_free_sgpr 28
		.amdhsa_reserve_vcc 1
		.amdhsa_reserve_flat_scratch 0
		.amdhsa_float_round_mode_32 0
		.amdhsa_float_round_mode_16_64 0
		.amdhsa_float_denorm_mode_32 3
		.amdhsa_float_denorm_mode_16_64 3
		.amdhsa_dx10_clamp 1
		.amdhsa_ieee_mode 1
		.amdhsa_fp16_overflow 0
		.amdhsa_exception_fp_ieee_invalid_op 0
		.amdhsa_exception_fp_denorm_src 0
		.amdhsa_exception_fp_ieee_div_zero 0
		.amdhsa_exception_fp_ieee_overflow 0
		.amdhsa_exception_fp_ieee_underflow 0
		.amdhsa_exception_fp_ieee_inexact 0
		.amdhsa_exception_int_div_zero 0
	.end_amdhsa_kernel
	.section	.text._ZL32rocblas_syrkx_herkx_small_kernelIl19rocblas_complex_numIfELi16ELb0ELb1ELc78ELc76EKS1_S1_EviT_T0_PT6_S3_lS6_S3_lS4_PT7_S3_li,"axG",@progbits,_ZL32rocblas_syrkx_herkx_small_kernelIl19rocblas_complex_numIfELi16ELb0ELb1ELc78ELc76EKS1_S1_EviT_T0_PT6_S3_lS6_S3_lS4_PT7_S3_li,comdat
.Lfunc_end1290:
	.size	_ZL32rocblas_syrkx_herkx_small_kernelIl19rocblas_complex_numIfELi16ELb0ELb1ELc78ELc76EKS1_S1_EviT_T0_PT6_S3_lS6_S3_lS4_PT7_S3_li, .Lfunc_end1290-_ZL32rocblas_syrkx_herkx_small_kernelIl19rocblas_complex_numIfELi16ELb0ELb1ELc78ELc76EKS1_S1_EviT_T0_PT6_S3_lS6_S3_lS4_PT7_S3_li
                                        ; -- End function
	.set _ZL32rocblas_syrkx_herkx_small_kernelIl19rocblas_complex_numIfELi16ELb0ELb1ELc78ELc76EKS1_S1_EviT_T0_PT6_S3_lS6_S3_lS4_PT7_S3_li.num_vgpr, 62
	.set _ZL32rocblas_syrkx_herkx_small_kernelIl19rocblas_complex_numIfELi16ELb0ELb1ELc78ELc76EKS1_S1_EviT_T0_PT6_S3_lS6_S3_lS4_PT7_S3_li.num_agpr, 0
	.set _ZL32rocblas_syrkx_herkx_small_kernelIl19rocblas_complex_numIfELi16ELb0ELb1ELc78ELc76EKS1_S1_EviT_T0_PT6_S3_lS6_S3_lS4_PT7_S3_li.numbered_sgpr, 28
	.set _ZL32rocblas_syrkx_herkx_small_kernelIl19rocblas_complex_numIfELi16ELb0ELb1ELc78ELc76EKS1_S1_EviT_T0_PT6_S3_lS6_S3_lS4_PT7_S3_li.num_named_barrier, 0
	.set _ZL32rocblas_syrkx_herkx_small_kernelIl19rocblas_complex_numIfELi16ELb0ELb1ELc78ELc76EKS1_S1_EviT_T0_PT6_S3_lS6_S3_lS4_PT7_S3_li.private_seg_size, 0
	.set _ZL32rocblas_syrkx_herkx_small_kernelIl19rocblas_complex_numIfELi16ELb0ELb1ELc78ELc76EKS1_S1_EviT_T0_PT6_S3_lS6_S3_lS4_PT7_S3_li.uses_vcc, 1
	.set _ZL32rocblas_syrkx_herkx_small_kernelIl19rocblas_complex_numIfELi16ELb0ELb1ELc78ELc76EKS1_S1_EviT_T0_PT6_S3_lS6_S3_lS4_PT7_S3_li.uses_flat_scratch, 0
	.set _ZL32rocblas_syrkx_herkx_small_kernelIl19rocblas_complex_numIfELi16ELb0ELb1ELc78ELc76EKS1_S1_EviT_T0_PT6_S3_lS6_S3_lS4_PT7_S3_li.has_dyn_sized_stack, 0
	.set _ZL32rocblas_syrkx_herkx_small_kernelIl19rocblas_complex_numIfELi16ELb0ELb1ELc78ELc76EKS1_S1_EviT_T0_PT6_S3_lS6_S3_lS4_PT7_S3_li.has_recursion, 0
	.set _ZL32rocblas_syrkx_herkx_small_kernelIl19rocblas_complex_numIfELi16ELb0ELb1ELc78ELc76EKS1_S1_EviT_T0_PT6_S3_lS6_S3_lS4_PT7_S3_li.has_indirect_call, 0
	.section	.AMDGPU.csdata,"",@progbits
; Kernel info:
; codeLenInByte = 1448
; TotalNumSgprs: 32
; NumVgprs: 62
; ScratchSize: 0
; MemoryBound: 1
; FloatMode: 240
; IeeeMode: 1
; LDSByteSize: 4096 bytes/workgroup (compile time only)
; SGPRBlocks: 3
; VGPRBlocks: 15
; NumSGPRsForWavesPerEU: 32
; NumVGPRsForWavesPerEU: 62
; Occupancy: 4
; WaveLimiterHint : 0
; COMPUTE_PGM_RSRC2:SCRATCH_EN: 0
; COMPUTE_PGM_RSRC2:USER_SGPR: 6
; COMPUTE_PGM_RSRC2:TRAP_HANDLER: 0
; COMPUTE_PGM_RSRC2:TGID_X_EN: 1
; COMPUTE_PGM_RSRC2:TGID_Y_EN: 1
; COMPUTE_PGM_RSRC2:TGID_Z_EN: 1
; COMPUTE_PGM_RSRC2:TIDIG_COMP_CNT: 1
	.section	.text._ZL32rocblas_syrkx_herkx_small_kernelIl19rocblas_complex_numIfELi16ELb0ELb1ELc84ELc85EKS1_S1_EviT_T0_PT6_S3_lS6_S3_lS4_PT7_S3_li,"axG",@progbits,_ZL32rocblas_syrkx_herkx_small_kernelIl19rocblas_complex_numIfELi16ELb0ELb1ELc84ELc85EKS1_S1_EviT_T0_PT6_S3_lS6_S3_lS4_PT7_S3_li,comdat
	.globl	_ZL32rocblas_syrkx_herkx_small_kernelIl19rocblas_complex_numIfELi16ELb0ELb1ELc84ELc85EKS1_S1_EviT_T0_PT6_S3_lS6_S3_lS4_PT7_S3_li ; -- Begin function _ZL32rocblas_syrkx_herkx_small_kernelIl19rocblas_complex_numIfELi16ELb0ELb1ELc84ELc85EKS1_S1_EviT_T0_PT6_S3_lS6_S3_lS4_PT7_S3_li
	.p2align	8
	.type	_ZL32rocblas_syrkx_herkx_small_kernelIl19rocblas_complex_numIfELi16ELb0ELb1ELc84ELc85EKS1_S1_EviT_T0_PT6_S3_lS6_S3_lS4_PT7_S3_li,@function
_ZL32rocblas_syrkx_herkx_small_kernelIl19rocblas_complex_numIfELi16ELb0ELb1ELc84ELc85EKS1_S1_EviT_T0_PT6_S3_lS6_S3_lS4_PT7_S3_li: ; @_ZL32rocblas_syrkx_herkx_small_kernelIl19rocblas_complex_numIfELi16ELb0ELb1ELc84ELc85EKS1_S1_EviT_T0_PT6_S3_lS6_S3_lS4_PT7_S3_li
; %bb.0:
	s_load_dwordx16 s[12:27], s[4:5], 0x8
	s_load_dword s9, s[4:5], 0x0
	v_lshl_add_u32 v2, s6, 4, v0
	v_lshl_add_u32 v12, s7, 4, v1
	v_ashrrev_i32_e32 v3, 31, v2
	s_waitcnt lgkmcnt(0)
	v_cmp_lt_i64_e64 s[0:1], s[12:13], 1
	v_ashrrev_i32_e32 v13, 31, v12
	s_and_b64 vcc, exec, s[0:1]
	v_cmp_gt_i32_e64 s[0:1], s9, v12
	s_cbranch_vccnz .LBB1291_11
; %bb.1:
	v_mul_lo_u32 v8, s25, v12
	v_mul_lo_u32 v9, s24, v13
	v_mad_u64_u32 v[5:6], s[2:3], s24, v12, 0
	s_mul_i32 s2, s27, s8
	s_mul_hi_u32 s3, s26, s8
	v_add3_u32 v6, v6, v9, v8
	v_lshlrev_b64 v[5:6], 3, v[5:6]
	s_add_i32 s3, s3, s2
	s_mul_i32 s2, s26, s8
	v_lshlrev_b32_e32 v7, 7, v1
	v_lshlrev_b32_e32 v14, 3, v0
	s_lshl_b64 s[2:3], s[2:3], 3
	v_add_u32_e32 v15, v14, v7
	v_add_u32_e32 v16, 0x800, v7
	v_mov_b32_e32 v7, s3
	v_add_co_u32_e64 v5, s[2:3], s2, v5
	v_addc_co_u32_e64 v6, s[2:3], v6, v7, s[2:3]
	v_add_co_u32_e64 v5, s[2:3], v5, v14
	v_addc_co_u32_e64 v7, s[2:3], 0, v6, s[2:3]
	v_mul_lo_u32 v11, s19, v2
	v_mul_lo_u32 v18, s18, v3
	v_mad_u64_u32 v[8:9], s[2:3], s18, v2, 0
	v_mov_b32_e32 v10, s23
	v_add_co_u32_e64 v6, s[2:3], s22, v5
	v_addc_co_u32_e64 v7, s[2:3], v10, v7, s[2:3]
	v_add3_u32 v9, v9, v18, v11
	s_mul_i32 s2, s21, s8
	s_mul_hi_u32 s3, s20, s8
	v_lshlrev_b64 v[8:9], 3, v[8:9]
	s_add_i32 s3, s3, s2
	s_mul_i32 s2, s20, s8
	s_lshl_b64 s[2:3], s[2:3], 3
	v_mov_b32_e32 v5, s3
	v_add_co_u32_e64 v8, s[2:3], s2, v8
	v_addc_co_u32_e64 v5, s[2:3], v9, v5, s[2:3]
	v_lshlrev_b32_e32 v9, 3, v1
	v_add_co_u32_e64 v8, s[2:3], v8, v9
	v_addc_co_u32_e64 v5, s[2:3], 0, v5, s[2:3]
	v_mov_b32_e32 v9, s17
	v_add_co_u32_e64 v8, s[2:3], s16, v8
	v_cmp_gt_i32_e32 vcc, s9, v2
	v_addc_co_u32_e64 v9, s[2:3], v9, v5, s[2:3]
	v_mov_b32_e32 v10, s12
	v_mov_b32_e32 v4, 0
	v_add_u32_e32 v17, v16, v14
	s_mov_b64 s[2:3], 0
	s_xor_b64 s[6:7], vcc, -1
	s_xor_b64 s[10:11], s[0:1], -1
	v_mov_b32_e32 v11, s13
	v_mov_b32_e32 v18, 0
	;; [unrolled: 1-line block ×3, first 2 shown]
	s_branch .LBB1291_3
.LBB1291_2:                             ;   in Loop: Header=BB1291_3 Depth=1
	s_or_b64 exec, exec, s[0:1]
	s_waitcnt lgkmcnt(0)
	s_barrier
	ds_read2_b64 v[20:23], v14 offset1:16
	ds_read_b128 v[24:27], v16
	ds_read_b128 v[28:31], v16 offset:16
	ds_read2_b64 v[32:35], v14 offset0:32 offset1:48
	s_add_u32 s2, s2, 16
	v_add_co_u32_e32 v6, vcc, 0x80, v6
	s_waitcnt lgkmcnt(2)
	v_mul_f32_e32 v5, v25, v21
	v_mul_f32_e32 v36, v24, v21
	v_fma_f32 v5, v24, v20, -v5
	v_fmac_f32_e32 v36, v25, v20
	v_mul_f32_e32 v20, v27, v23
	v_fma_f32 v37, v26, v22, -v20
	v_mul_f32_e32 v38, v26, v23
	s_waitcnt lgkmcnt(0)
	v_mul_f32_e32 v20, v29, v33
	v_fmac_f32_e32 v38, v27, v22
	v_fma_f32 v39, v28, v32, -v20
	ds_read2_b64 v[20:23], v14 offset0:64 offset1:80
	ds_read_b128 v[24:27], v16 offset:32
	v_mul_f32_e32 v40, v28, v33
	v_fmac_f32_e32 v40, v29, v32
	v_mul_f32_e32 v28, v31, v35
	v_mul_f32_e32 v42, v30, v35
	s_waitcnt lgkmcnt(0)
	v_mul_f32_e32 v32, v25, v21
	v_fma_f32 v41, v30, v34, -v28
	v_fmac_f32_e32 v42, v31, v34
	ds_read_b128 v[28:31], v16 offset:48
	v_fma_f32 v43, v24, v20, -v32
	ds_read2_b64 v[32:35], v14 offset0:96 offset1:112
	v_mul_f32_e32 v44, v24, v21
	v_fmac_f32_e32 v44, v25, v20
	v_mul_f32_e32 v20, v27, v23
	v_fma_f32 v45, v26, v22, -v20
	v_mul_f32_e32 v46, v26, v23
	s_waitcnt lgkmcnt(0)
	v_mul_f32_e32 v20, v29, v33
	v_fmac_f32_e32 v46, v27, v22
	v_fma_f32 v47, v28, v32, -v20
	ds_read2_b64 v[20:23], v14 offset0:128 offset1:144
	ds_read_b128 v[24:27], v16 offset:64
	v_mul_f32_e32 v48, v28, v33
	v_fmac_f32_e32 v48, v29, v32
	v_mul_f32_e32 v28, v31, v35
	v_mul_f32_e32 v50, v30, v35
	s_waitcnt lgkmcnt(0)
	v_mul_f32_e32 v32, v25, v21
	v_fma_f32 v49, v30, v34, -v28
	v_fmac_f32_e32 v50, v31, v34
	ds_read_b128 v[28:31], v16 offset:80
	v_fma_f32 v51, v24, v20, -v32
	ds_read2_b64 v[32:35], v14 offset0:160 offset1:176
	v_mul_f32_e32 v52, v24, v21
	v_add_f32_e32 v18, v18, v36
	v_fmac_f32_e32 v52, v25, v20
	v_mul_f32_e32 v20, v27, v23
	v_add_f32_e32 v18, v18, v38
	v_fma_f32 v53, v26, v22, -v20
	v_mul_f32_e32 v54, v26, v23
	s_waitcnt lgkmcnt(0)
	v_mul_f32_e32 v20, v29, v33
	v_add_f32_e32 v18, v18, v40
	v_fmac_f32_e32 v54, v27, v22
	v_fma_f32 v55, v28, v32, -v20
	ds_read2_b64 v[20:23], v14 offset0:192 offset1:208
	ds_read_b128 v[24:27], v16 offset:96
	v_add_f32_e32 v18, v18, v42
	v_add_f32_e32 v18, v18, v44
	;; [unrolled: 1-line block ×6, first 2 shown]
	v_mul_f32_e32 v33, v28, v33
	v_mul_f32_e32 v28, v31, v35
	;; [unrolled: 1-line block ×3, first 2 shown]
	v_add_f32_e32 v5, v5, v39
	v_add_f32_e32 v18, v18, v50
	v_fmac_f32_e32 v33, v29, v32
	v_fma_f32 v32, v30, v34, -v28
	v_fmac_f32_e32 v35, v31, v34
	s_waitcnt lgkmcnt(0)
	v_mul_f32_e32 v34, v25, v21
	v_add_f32_e32 v5, v5, v41
	v_add_f32_e32 v18, v18, v52
	v_fma_f32 v34, v24, v20, -v34
	v_mul_f32_e32 v24, v24, v21
	v_add_f32_e32 v5, v5, v43
	v_add_f32_e32 v18, v18, v54
	v_fmac_f32_e32 v24, v25, v20
	v_mul_f32_e32 v20, v27, v23
	v_mul_f32_e32 v23, v26, v23
	v_add_f32_e32 v5, v5, v45
	v_add_f32_e32 v18, v18, v33
	ds_read_b128 v[28:31], v16 offset:112
	v_fma_f32 v25, v26, v22, -v20
	v_fmac_f32_e32 v23, v27, v22
	v_add_f32_e32 v5, v5, v47
	v_add_f32_e32 v22, v18, v35
	ds_read2_b64 v[18:21], v14 offset0:224 offset1:240
	v_add_f32_e32 v5, v5, v49
	v_add_f32_e32 v5, v5, v51
	;; [unrolled: 1-line block ×7, first 2 shown]
	s_waitcnt lgkmcnt(0)
	v_mul_f32_e32 v23, v29, v19
	v_mul_f32_e32 v19, v28, v19
	v_add_f32_e32 v5, v5, v34
	v_fmac_f32_e32 v19, v29, v18
	s_addc_u32 s3, s3, 0
	v_addc_co_u32_e32 v7, vcc, 0, v7, vcc
	v_add_f32_e32 v5, v5, v25
	v_fma_f32 v23, v28, v18, -v23
	v_add_f32_e32 v18, v22, v19
	v_mul_f32_e32 v19, v31, v21
	v_mul_f32_e32 v21, v30, v21
	v_add_co_u32_e32 v8, vcc, 0x80, v8
	v_cmp_ge_i64_e64 s[0:1], s[2:3], v[10:11]
	v_add_f32_e32 v5, v5, v23
	v_fma_f32 v19, v30, v20, -v19
	v_fmac_f32_e32 v21, v31, v20
	v_addc_co_u32_e32 v9, vcc, 0, v9, vcc
	v_add_f32_e32 v19, v5, v19
	v_add_f32_e32 v18, v18, v21
	s_and_b64 vcc, exec, s[0:1]
	s_barrier
	s_cbranch_vccnz .LBB1291_12
.LBB1291_3:                             ; =>This Inner Loop Header: Depth=1
	v_mov_b32_e32 v5, s3
	v_add_co_u32_e32 v20, vcc, s2, v1
	v_addc_co_u32_e32 v21, vcc, 0, v5, vcc
	v_cmp_le_i64_e32 vcc, s[12:13], v[20:21]
	s_or_b64 s[0:1], s[6:7], vcc
	s_and_saveexec_b64 s[16:17], s[0:1]
	s_xor_b64 s[0:1], exec, s[16:17]
; %bb.4:                                ;   in Loop: Header=BB1291_3 Depth=1
	v_mov_b32_e32 v5, v4
	ds_write_b64 v15, v[4:5]
; %bb.5:                                ;   in Loop: Header=BB1291_3 Depth=1
	s_andn2_saveexec_b64 s[0:1], s[0:1]
	s_cbranch_execz .LBB1291_7
; %bb.6:                                ;   in Loop: Header=BB1291_3 Depth=1
	global_load_dwordx2 v[20:21], v[8:9], off
	s_waitcnt vmcnt(0)
	ds_write_b64 v15, v[20:21]
.LBB1291_7:                             ;   in Loop: Header=BB1291_3 Depth=1
	s_or_b64 exec, exec, s[0:1]
	v_mov_b32_e32 v5, s3
	v_add_co_u32_e32 v20, vcc, s2, v0
	v_addc_co_u32_e32 v21, vcc, 0, v5, vcc
	v_cmp_le_i64_e32 vcc, s[12:13], v[20:21]
	s_or_b64 s[0:1], s[10:11], vcc
	s_and_saveexec_b64 s[16:17], s[0:1]
	s_xor_b64 s[0:1], exec, s[16:17]
; %bb.8:                                ;   in Loop: Header=BB1291_3 Depth=1
	v_mov_b32_e32 v5, v4
	ds_write_b64 v17, v[4:5]
; %bb.9:                                ;   in Loop: Header=BB1291_3 Depth=1
	s_andn2_saveexec_b64 s[0:1], s[0:1]
	s_cbranch_execz .LBB1291_2
; %bb.10:                               ;   in Loop: Header=BB1291_3 Depth=1
	global_load_dwordx2 v[20:21], v[6:7], off
	s_waitcnt vmcnt(0)
	ds_write_b64 v17, v[20:21]
	s_branch .LBB1291_2
.LBB1291_11:
	v_mov_b32_e32 v18, 0
	v_mov_b32_e32 v19, 0
.LBB1291_12:
	s_load_dwordx8 s[16:23], s[4:5], 0x48
	v_cmp_le_i32_e32 vcc, v2, v12
	v_cmp_gt_i32_e64 s[0:1], s9, v12
	s_and_b64 s[0:1], vcc, s[0:1]
	s_and_saveexec_b64 s[2:3], s[0:1]
	s_cbranch_execz .LBB1291_15
; %bb.13:
	s_waitcnt lgkmcnt(0)
	v_mul_lo_u32 v4, s21, v12
	v_mul_lo_u32 v5, s20, v13
	v_mad_u64_u32 v[0:1], s[2:3], s20, v12, 0
	s_mul_i32 s0, s23, s8
	s_mul_hi_u32 s1, s22, s8
	s_add_i32 s1, s1, s0
	s_mul_i32 s0, s22, s8
	s_lshl_b64 s[0:1], s[0:1], 3
	v_add3_u32 v1, v1, v5, v4
	s_add_u32 s0, s18, s0
	v_lshlrev_b64 v[0:1], 3, v[0:1]
	s_addc_u32 s1, s19, s1
	v_mov_b32_e32 v4, s1
	v_add_co_u32_e32 v5, vcc, s0, v0
	v_addc_co_u32_e32 v4, vcc, v4, v1, vcc
	v_lshlrev_b64 v[0:1], 3, v[2:3]
	v_mul_f32_e32 v6, s14, v18
	v_add_co_u32_e32 v0, vcc, v5, v0
	v_addc_co_u32_e32 v1, vcc, v4, v1, vcc
	global_load_dwordx2 v[3:4], v[0:1], off
	v_mul_f32_e32 v5, s15, v18
	v_fma_f32 v5, v19, s14, -v5
	v_fmac_f32_e32 v6, s15, v19
	v_cmp_eq_u32_e32 vcc, v2, v12
	s_waitcnt vmcnt(0)
	v_mul_f32_e32 v7, s17, v4
	v_mul_f32_e32 v4, s16, v4
	v_fma_f32 v7, v3, s16, -v7
	v_fmac_f32_e32 v4, s17, v3
	v_add_f32_e32 v3, v5, v7
	v_add_f32_e32 v4, v6, v4
	global_store_dwordx2 v[0:1], v[3:4], off
	s_and_b64 exec, exec, vcc
	s_cbranch_execz .LBB1291_15
; %bb.14:
	v_mov_b32_e32 v2, 0
	global_store_dword v[0:1], v2, off offset:4
.LBB1291_15:
	s_endpgm
	.section	.rodata,"a",@progbits
	.p2align	6, 0x0
	.amdhsa_kernel _ZL32rocblas_syrkx_herkx_small_kernelIl19rocblas_complex_numIfELi16ELb0ELb1ELc84ELc85EKS1_S1_EviT_T0_PT6_S3_lS6_S3_lS4_PT7_S3_li
		.amdhsa_group_segment_fixed_size 4096
		.amdhsa_private_segment_fixed_size 0
		.amdhsa_kernarg_size 108
		.amdhsa_user_sgpr_count 6
		.amdhsa_user_sgpr_private_segment_buffer 1
		.amdhsa_user_sgpr_dispatch_ptr 0
		.amdhsa_user_sgpr_queue_ptr 0
		.amdhsa_user_sgpr_kernarg_segment_ptr 1
		.amdhsa_user_sgpr_dispatch_id 0
		.amdhsa_user_sgpr_flat_scratch_init 0
		.amdhsa_user_sgpr_private_segment_size 0
		.amdhsa_uses_dynamic_stack 0
		.amdhsa_system_sgpr_private_segment_wavefront_offset 0
		.amdhsa_system_sgpr_workgroup_id_x 1
		.amdhsa_system_sgpr_workgroup_id_y 1
		.amdhsa_system_sgpr_workgroup_id_z 1
		.amdhsa_system_sgpr_workgroup_info 0
		.amdhsa_system_vgpr_workitem_id 1
		.amdhsa_next_free_vgpr 56
		.amdhsa_next_free_sgpr 28
		.amdhsa_reserve_vcc 1
		.amdhsa_reserve_flat_scratch 0
		.amdhsa_float_round_mode_32 0
		.amdhsa_float_round_mode_16_64 0
		.amdhsa_float_denorm_mode_32 3
		.amdhsa_float_denorm_mode_16_64 3
		.amdhsa_dx10_clamp 1
		.amdhsa_ieee_mode 1
		.amdhsa_fp16_overflow 0
		.amdhsa_exception_fp_ieee_invalid_op 0
		.amdhsa_exception_fp_denorm_src 0
		.amdhsa_exception_fp_ieee_div_zero 0
		.amdhsa_exception_fp_ieee_overflow 0
		.amdhsa_exception_fp_ieee_underflow 0
		.amdhsa_exception_fp_ieee_inexact 0
		.amdhsa_exception_int_div_zero 0
	.end_amdhsa_kernel
	.section	.text._ZL32rocblas_syrkx_herkx_small_kernelIl19rocblas_complex_numIfELi16ELb0ELb1ELc84ELc85EKS1_S1_EviT_T0_PT6_S3_lS6_S3_lS4_PT7_S3_li,"axG",@progbits,_ZL32rocblas_syrkx_herkx_small_kernelIl19rocblas_complex_numIfELi16ELb0ELb1ELc84ELc85EKS1_S1_EviT_T0_PT6_S3_lS6_S3_lS4_PT7_S3_li,comdat
.Lfunc_end1291:
	.size	_ZL32rocblas_syrkx_herkx_small_kernelIl19rocblas_complex_numIfELi16ELb0ELb1ELc84ELc85EKS1_S1_EviT_T0_PT6_S3_lS6_S3_lS4_PT7_S3_li, .Lfunc_end1291-_ZL32rocblas_syrkx_herkx_small_kernelIl19rocblas_complex_numIfELi16ELb0ELb1ELc84ELc85EKS1_S1_EviT_T0_PT6_S3_lS6_S3_lS4_PT7_S3_li
                                        ; -- End function
	.set _ZL32rocblas_syrkx_herkx_small_kernelIl19rocblas_complex_numIfELi16ELb0ELb1ELc84ELc85EKS1_S1_EviT_T0_PT6_S3_lS6_S3_lS4_PT7_S3_li.num_vgpr, 56
	.set _ZL32rocblas_syrkx_herkx_small_kernelIl19rocblas_complex_numIfELi16ELb0ELb1ELc84ELc85EKS1_S1_EviT_T0_PT6_S3_lS6_S3_lS4_PT7_S3_li.num_agpr, 0
	.set _ZL32rocblas_syrkx_herkx_small_kernelIl19rocblas_complex_numIfELi16ELb0ELb1ELc84ELc85EKS1_S1_EviT_T0_PT6_S3_lS6_S3_lS4_PT7_S3_li.numbered_sgpr, 28
	.set _ZL32rocblas_syrkx_herkx_small_kernelIl19rocblas_complex_numIfELi16ELb0ELb1ELc84ELc85EKS1_S1_EviT_T0_PT6_S3_lS6_S3_lS4_PT7_S3_li.num_named_barrier, 0
	.set _ZL32rocblas_syrkx_herkx_small_kernelIl19rocblas_complex_numIfELi16ELb0ELb1ELc84ELc85EKS1_S1_EviT_T0_PT6_S3_lS6_S3_lS4_PT7_S3_li.private_seg_size, 0
	.set _ZL32rocblas_syrkx_herkx_small_kernelIl19rocblas_complex_numIfELi16ELb0ELb1ELc84ELc85EKS1_S1_EviT_T0_PT6_S3_lS6_S3_lS4_PT7_S3_li.uses_vcc, 1
	.set _ZL32rocblas_syrkx_herkx_small_kernelIl19rocblas_complex_numIfELi16ELb0ELb1ELc84ELc85EKS1_S1_EviT_T0_PT6_S3_lS6_S3_lS4_PT7_S3_li.uses_flat_scratch, 0
	.set _ZL32rocblas_syrkx_herkx_small_kernelIl19rocblas_complex_numIfELi16ELb0ELb1ELc84ELc85EKS1_S1_EviT_T0_PT6_S3_lS6_S3_lS4_PT7_S3_li.has_dyn_sized_stack, 0
	.set _ZL32rocblas_syrkx_herkx_small_kernelIl19rocblas_complex_numIfELi16ELb0ELb1ELc84ELc85EKS1_S1_EviT_T0_PT6_S3_lS6_S3_lS4_PT7_S3_li.has_recursion, 0
	.set _ZL32rocblas_syrkx_herkx_small_kernelIl19rocblas_complex_numIfELi16ELb0ELb1ELc84ELc85EKS1_S1_EviT_T0_PT6_S3_lS6_S3_lS4_PT7_S3_li.has_indirect_call, 0
	.section	.AMDGPU.csdata,"",@progbits
; Kernel info:
; codeLenInByte = 1420
; TotalNumSgprs: 32
; NumVgprs: 56
; ScratchSize: 0
; MemoryBound: 1
; FloatMode: 240
; IeeeMode: 1
; LDSByteSize: 4096 bytes/workgroup (compile time only)
; SGPRBlocks: 3
; VGPRBlocks: 13
; NumSGPRsForWavesPerEU: 32
; NumVGPRsForWavesPerEU: 56
; Occupancy: 4
; WaveLimiterHint : 0
; COMPUTE_PGM_RSRC2:SCRATCH_EN: 0
; COMPUTE_PGM_RSRC2:USER_SGPR: 6
; COMPUTE_PGM_RSRC2:TRAP_HANDLER: 0
; COMPUTE_PGM_RSRC2:TGID_X_EN: 1
; COMPUTE_PGM_RSRC2:TGID_Y_EN: 1
; COMPUTE_PGM_RSRC2:TGID_Z_EN: 1
; COMPUTE_PGM_RSRC2:TIDIG_COMP_CNT: 1
	.section	.text._ZL32rocblas_syrkx_herkx_small_kernelIl19rocblas_complex_numIfELi16ELb0ELb1ELc67ELc85EKS1_S1_EviT_T0_PT6_S3_lS6_S3_lS4_PT7_S3_li,"axG",@progbits,_ZL32rocblas_syrkx_herkx_small_kernelIl19rocblas_complex_numIfELi16ELb0ELb1ELc67ELc85EKS1_S1_EviT_T0_PT6_S3_lS6_S3_lS4_PT7_S3_li,comdat
	.globl	_ZL32rocblas_syrkx_herkx_small_kernelIl19rocblas_complex_numIfELi16ELb0ELb1ELc67ELc85EKS1_S1_EviT_T0_PT6_S3_lS6_S3_lS4_PT7_S3_li ; -- Begin function _ZL32rocblas_syrkx_herkx_small_kernelIl19rocblas_complex_numIfELi16ELb0ELb1ELc67ELc85EKS1_S1_EviT_T0_PT6_S3_lS6_S3_lS4_PT7_S3_li
	.p2align	8
	.type	_ZL32rocblas_syrkx_herkx_small_kernelIl19rocblas_complex_numIfELi16ELb0ELb1ELc67ELc85EKS1_S1_EviT_T0_PT6_S3_lS6_S3_lS4_PT7_S3_li,@function
_ZL32rocblas_syrkx_herkx_small_kernelIl19rocblas_complex_numIfELi16ELb0ELb1ELc67ELc85EKS1_S1_EviT_T0_PT6_S3_lS6_S3_lS4_PT7_S3_li: ; @_ZL32rocblas_syrkx_herkx_small_kernelIl19rocblas_complex_numIfELi16ELb0ELb1ELc67ELc85EKS1_S1_EviT_T0_PT6_S3_lS6_S3_lS4_PT7_S3_li
; %bb.0:
	s_load_dwordx16 s[12:27], s[4:5], 0x8
	s_load_dword s9, s[4:5], 0x0
	v_lshl_add_u32 v2, s6, 4, v0
	v_lshl_add_u32 v12, s7, 4, v1
	v_ashrrev_i32_e32 v3, 31, v2
	s_waitcnt lgkmcnt(0)
	v_cmp_lt_i64_e64 s[0:1], s[12:13], 1
	v_ashrrev_i32_e32 v13, 31, v12
	s_and_b64 vcc, exec, s[0:1]
	v_cmp_gt_i32_e64 s[0:1], s9, v12
	s_cbranch_vccnz .LBB1292_11
; %bb.1:
	v_mul_lo_u32 v8, s25, v12
	v_mul_lo_u32 v9, s24, v13
	v_mad_u64_u32 v[5:6], s[2:3], s24, v12, 0
	s_mul_i32 s2, s27, s8
	s_mul_hi_u32 s3, s26, s8
	v_add3_u32 v6, v6, v9, v8
	v_lshlrev_b64 v[5:6], 3, v[5:6]
	s_add_i32 s3, s3, s2
	s_mul_i32 s2, s26, s8
	v_lshlrev_b32_e32 v7, 7, v1
	v_lshlrev_b32_e32 v14, 3, v0
	s_lshl_b64 s[2:3], s[2:3], 3
	v_add_u32_e32 v15, v14, v7
	v_add_u32_e32 v16, 0x800, v7
	v_mov_b32_e32 v7, s3
	v_add_co_u32_e64 v5, s[2:3], s2, v5
	v_addc_co_u32_e64 v6, s[2:3], v6, v7, s[2:3]
	v_add_co_u32_e64 v5, s[2:3], v5, v14
	v_addc_co_u32_e64 v7, s[2:3], 0, v6, s[2:3]
	v_mul_lo_u32 v11, s19, v2
	v_mul_lo_u32 v18, s18, v3
	v_mad_u64_u32 v[8:9], s[2:3], s18, v2, 0
	v_mov_b32_e32 v10, s23
	v_add_co_u32_e64 v6, s[2:3], s22, v5
	v_addc_co_u32_e64 v7, s[2:3], v10, v7, s[2:3]
	v_add3_u32 v9, v9, v18, v11
	s_mul_i32 s2, s21, s8
	s_mul_hi_u32 s3, s20, s8
	v_lshlrev_b64 v[8:9], 3, v[8:9]
	s_add_i32 s3, s3, s2
	s_mul_i32 s2, s20, s8
	s_lshl_b64 s[2:3], s[2:3], 3
	v_mov_b32_e32 v5, s3
	v_add_co_u32_e64 v8, s[2:3], s2, v8
	v_addc_co_u32_e64 v5, s[2:3], v9, v5, s[2:3]
	v_lshlrev_b32_e32 v9, 3, v1
	v_add_co_u32_e64 v8, s[2:3], v8, v9
	v_addc_co_u32_e64 v5, s[2:3], 0, v5, s[2:3]
	v_mov_b32_e32 v9, s17
	v_add_co_u32_e64 v8, s[2:3], s16, v8
	v_addc_co_u32_e64 v5, s[2:3], v9, v5, s[2:3]
	v_add_co_u32_e64 v8, s[2:3], 4, v8
	v_cmp_gt_i32_e32 vcc, s9, v2
	v_addc_co_u32_e64 v9, s[2:3], 0, v5, s[2:3]
	v_mov_b32_e32 v10, s12
	v_mov_b32_e32 v4, 0
	v_add_u32_e32 v17, v16, v14
	s_mov_b64 s[2:3], 0
	s_xor_b64 s[6:7], vcc, -1
	s_xor_b64 s[10:11], s[0:1], -1
	v_mov_b32_e32 v11, s13
	v_mov_b32_e32 v18, 0
	;; [unrolled: 1-line block ×3, first 2 shown]
	s_branch .LBB1292_3
.LBB1292_2:                             ;   in Loop: Header=BB1292_3 Depth=1
	s_or_b64 exec, exec, s[0:1]
	s_waitcnt lgkmcnt(0)
	s_barrier
	ds_read2_b64 v[20:23], v14 offset1:16
	ds_read_b128 v[24:27], v16
	ds_read_b128 v[28:31], v16 offset:16
	ds_read2_b64 v[32:35], v14 offset0:32 offset1:48
	s_add_u32 s2, s2, 16
	v_add_co_u32_e32 v6, vcc, 0x80, v6
	s_waitcnt lgkmcnt(2)
	v_mul_f32_e32 v5, v25, v21
	v_mul_f32_e32 v36, v24, v21
	v_fma_f32 v5, v24, v20, -v5
	v_fmac_f32_e32 v36, v25, v20
	v_mul_f32_e32 v20, v27, v23
	v_fma_f32 v37, v26, v22, -v20
	v_mul_f32_e32 v38, v26, v23
	s_waitcnt lgkmcnt(0)
	v_mul_f32_e32 v20, v29, v33
	v_fmac_f32_e32 v38, v27, v22
	v_fma_f32 v39, v28, v32, -v20
	ds_read2_b64 v[20:23], v14 offset0:64 offset1:80
	ds_read_b128 v[24:27], v16 offset:32
	v_mul_f32_e32 v40, v28, v33
	v_fmac_f32_e32 v40, v29, v32
	v_mul_f32_e32 v28, v31, v35
	v_mul_f32_e32 v42, v30, v35
	s_waitcnt lgkmcnt(0)
	v_mul_f32_e32 v32, v25, v21
	v_fma_f32 v41, v30, v34, -v28
	v_fmac_f32_e32 v42, v31, v34
	ds_read_b128 v[28:31], v16 offset:48
	v_fma_f32 v43, v24, v20, -v32
	ds_read2_b64 v[32:35], v14 offset0:96 offset1:112
	v_mul_f32_e32 v44, v24, v21
	v_fmac_f32_e32 v44, v25, v20
	v_mul_f32_e32 v20, v27, v23
	v_fma_f32 v45, v26, v22, -v20
	v_mul_f32_e32 v46, v26, v23
	s_waitcnt lgkmcnt(0)
	v_mul_f32_e32 v20, v29, v33
	v_fmac_f32_e32 v46, v27, v22
	v_fma_f32 v47, v28, v32, -v20
	ds_read2_b64 v[20:23], v14 offset0:128 offset1:144
	ds_read_b128 v[24:27], v16 offset:64
	v_mul_f32_e32 v48, v28, v33
	v_fmac_f32_e32 v48, v29, v32
	v_mul_f32_e32 v28, v31, v35
	v_mul_f32_e32 v50, v30, v35
	s_waitcnt lgkmcnt(0)
	v_mul_f32_e32 v32, v25, v21
	v_fma_f32 v49, v30, v34, -v28
	v_fmac_f32_e32 v50, v31, v34
	ds_read_b128 v[28:31], v16 offset:80
	v_fma_f32 v51, v24, v20, -v32
	ds_read2_b64 v[32:35], v14 offset0:160 offset1:176
	v_mul_f32_e32 v52, v24, v21
	v_add_f32_e32 v18, v18, v36
	v_fmac_f32_e32 v52, v25, v20
	v_mul_f32_e32 v20, v27, v23
	v_add_f32_e32 v18, v18, v38
	v_fma_f32 v53, v26, v22, -v20
	v_mul_f32_e32 v54, v26, v23
	s_waitcnt lgkmcnt(0)
	v_mul_f32_e32 v20, v29, v33
	v_add_f32_e32 v18, v18, v40
	v_fmac_f32_e32 v54, v27, v22
	v_fma_f32 v55, v28, v32, -v20
	ds_read2_b64 v[20:23], v14 offset0:192 offset1:208
	ds_read_b128 v[24:27], v16 offset:96
	v_add_f32_e32 v18, v18, v42
	v_add_f32_e32 v18, v18, v44
	;; [unrolled: 1-line block ×6, first 2 shown]
	v_mul_f32_e32 v33, v28, v33
	v_mul_f32_e32 v28, v31, v35
	;; [unrolled: 1-line block ×3, first 2 shown]
	v_add_f32_e32 v5, v5, v39
	v_add_f32_e32 v18, v18, v50
	v_fmac_f32_e32 v33, v29, v32
	v_fma_f32 v32, v30, v34, -v28
	v_fmac_f32_e32 v35, v31, v34
	s_waitcnt lgkmcnt(0)
	v_mul_f32_e32 v34, v25, v21
	v_add_f32_e32 v5, v5, v41
	v_add_f32_e32 v18, v18, v52
	v_fma_f32 v34, v24, v20, -v34
	v_mul_f32_e32 v24, v24, v21
	v_add_f32_e32 v5, v5, v43
	v_add_f32_e32 v18, v18, v54
	v_fmac_f32_e32 v24, v25, v20
	v_mul_f32_e32 v20, v27, v23
	v_mul_f32_e32 v23, v26, v23
	v_add_f32_e32 v5, v5, v45
	v_add_f32_e32 v18, v18, v33
	ds_read_b128 v[28:31], v16 offset:112
	v_fma_f32 v25, v26, v22, -v20
	v_fmac_f32_e32 v23, v27, v22
	v_add_f32_e32 v5, v5, v47
	v_add_f32_e32 v22, v18, v35
	ds_read2_b64 v[18:21], v14 offset0:224 offset1:240
	v_add_f32_e32 v5, v5, v49
	v_add_f32_e32 v5, v5, v51
	;; [unrolled: 1-line block ×7, first 2 shown]
	s_waitcnt lgkmcnt(0)
	v_mul_f32_e32 v23, v29, v19
	v_mul_f32_e32 v19, v28, v19
	v_add_f32_e32 v5, v5, v34
	v_fmac_f32_e32 v19, v29, v18
	s_addc_u32 s3, s3, 0
	v_addc_co_u32_e32 v7, vcc, 0, v7, vcc
	v_add_f32_e32 v5, v5, v25
	v_fma_f32 v23, v28, v18, -v23
	v_add_f32_e32 v18, v22, v19
	v_mul_f32_e32 v19, v31, v21
	v_mul_f32_e32 v21, v30, v21
	v_add_co_u32_e32 v8, vcc, 0x80, v8
	v_cmp_ge_i64_e64 s[0:1], s[2:3], v[10:11]
	v_add_f32_e32 v5, v5, v23
	v_fma_f32 v19, v30, v20, -v19
	v_fmac_f32_e32 v21, v31, v20
	v_addc_co_u32_e32 v9, vcc, 0, v9, vcc
	v_add_f32_e32 v19, v5, v19
	v_add_f32_e32 v18, v18, v21
	s_and_b64 vcc, exec, s[0:1]
	s_barrier
	s_cbranch_vccnz .LBB1292_12
.LBB1292_3:                             ; =>This Inner Loop Header: Depth=1
	v_mov_b32_e32 v5, s3
	v_add_co_u32_e32 v20, vcc, s2, v1
	v_addc_co_u32_e32 v21, vcc, 0, v5, vcc
	v_cmp_le_i64_e32 vcc, s[12:13], v[20:21]
	s_or_b64 s[0:1], s[6:7], vcc
	s_and_saveexec_b64 s[16:17], s[0:1]
	s_xor_b64 s[0:1], exec, s[16:17]
; %bb.4:                                ;   in Loop: Header=BB1292_3 Depth=1
	ds_write_b32 v15, v4
; %bb.5:                                ;   in Loop: Header=BB1292_3 Depth=1
	s_or_saveexec_b64 s[0:1], s[0:1]
	v_mov_b32_e32 v5, 0
	s_xor_b64 exec, exec, s[0:1]
	s_cbranch_execz .LBB1292_7
; %bb.6:                                ;   in Loop: Header=BB1292_3 Depth=1
	global_load_dwordx2 v[20:21], v[8:9], off offset:-4
	s_waitcnt vmcnt(0)
	v_xor_b32_e32 v5, 0x80000000, v21
	ds_write_b32 v15, v20
.LBB1292_7:                             ;   in Loop: Header=BB1292_3 Depth=1
	s_or_b64 exec, exec, s[0:1]
	v_mov_b32_e32 v21, s3
	v_add_co_u32_e32 v20, vcc, s2, v0
	v_addc_co_u32_e32 v21, vcc, 0, v21, vcc
	v_cmp_le_i64_e32 vcc, s[12:13], v[20:21]
	ds_write_b32 v15, v5 offset:4
	s_or_b64 s[0:1], s[10:11], vcc
	s_and_saveexec_b64 s[16:17], s[0:1]
	s_xor_b64 s[0:1], exec, s[16:17]
; %bb.8:                                ;   in Loop: Header=BB1292_3 Depth=1
	v_mov_b32_e32 v5, v4
	ds_write_b64 v17, v[4:5]
; %bb.9:                                ;   in Loop: Header=BB1292_3 Depth=1
	s_andn2_saveexec_b64 s[0:1], s[0:1]
	s_cbranch_execz .LBB1292_2
; %bb.10:                               ;   in Loop: Header=BB1292_3 Depth=1
	global_load_dwordx2 v[20:21], v[6:7], off
	s_waitcnt vmcnt(0)
	ds_write_b64 v17, v[20:21]
	s_branch .LBB1292_2
.LBB1292_11:
	v_mov_b32_e32 v18, 0
	v_mov_b32_e32 v19, 0
.LBB1292_12:
	s_load_dwordx8 s[16:23], s[4:5], 0x48
	v_cmp_le_i32_e32 vcc, v2, v12
	v_cmp_gt_i32_e64 s[0:1], s9, v12
	s_and_b64 s[0:1], vcc, s[0:1]
	s_and_saveexec_b64 s[2:3], s[0:1]
	s_cbranch_execz .LBB1292_15
; %bb.13:
	s_waitcnt lgkmcnt(0)
	v_mul_lo_u32 v4, s21, v12
	v_mul_lo_u32 v5, s20, v13
	v_mad_u64_u32 v[0:1], s[2:3], s20, v12, 0
	s_mul_i32 s0, s23, s8
	s_mul_hi_u32 s1, s22, s8
	s_add_i32 s1, s1, s0
	s_mul_i32 s0, s22, s8
	s_lshl_b64 s[0:1], s[0:1], 3
	v_add3_u32 v1, v1, v5, v4
	s_add_u32 s0, s18, s0
	v_lshlrev_b64 v[0:1], 3, v[0:1]
	s_addc_u32 s1, s19, s1
	v_mov_b32_e32 v4, s1
	v_add_co_u32_e32 v5, vcc, s0, v0
	v_addc_co_u32_e32 v4, vcc, v4, v1, vcc
	v_lshlrev_b64 v[0:1], 3, v[2:3]
	v_mul_f32_e32 v6, s14, v18
	v_add_co_u32_e32 v0, vcc, v5, v0
	v_addc_co_u32_e32 v1, vcc, v4, v1, vcc
	global_load_dwordx2 v[3:4], v[0:1], off
	v_mul_f32_e32 v5, s15, v18
	v_fma_f32 v5, v19, s14, -v5
	v_fmac_f32_e32 v6, s15, v19
	v_cmp_eq_u32_e32 vcc, v2, v12
	s_waitcnt vmcnt(0)
	v_mul_f32_e32 v7, s17, v4
	v_mul_f32_e32 v4, s16, v4
	v_fma_f32 v7, v3, s16, -v7
	v_fmac_f32_e32 v4, s17, v3
	v_add_f32_e32 v3, v5, v7
	v_add_f32_e32 v4, v6, v4
	global_store_dwordx2 v[0:1], v[3:4], off
	s_and_b64 exec, exec, vcc
	s_cbranch_execz .LBB1292_15
; %bb.14:
	v_mov_b32_e32 v2, 0
	global_store_dword v[0:1], v2, off offset:4
.LBB1292_15:
	s_endpgm
	.section	.rodata,"a",@progbits
	.p2align	6, 0x0
	.amdhsa_kernel _ZL32rocblas_syrkx_herkx_small_kernelIl19rocblas_complex_numIfELi16ELb0ELb1ELc67ELc85EKS1_S1_EviT_T0_PT6_S3_lS6_S3_lS4_PT7_S3_li
		.amdhsa_group_segment_fixed_size 4096
		.amdhsa_private_segment_fixed_size 0
		.amdhsa_kernarg_size 108
		.amdhsa_user_sgpr_count 6
		.amdhsa_user_sgpr_private_segment_buffer 1
		.amdhsa_user_sgpr_dispatch_ptr 0
		.amdhsa_user_sgpr_queue_ptr 0
		.amdhsa_user_sgpr_kernarg_segment_ptr 1
		.amdhsa_user_sgpr_dispatch_id 0
		.amdhsa_user_sgpr_flat_scratch_init 0
		.amdhsa_user_sgpr_private_segment_size 0
		.amdhsa_uses_dynamic_stack 0
		.amdhsa_system_sgpr_private_segment_wavefront_offset 0
		.amdhsa_system_sgpr_workgroup_id_x 1
		.amdhsa_system_sgpr_workgroup_id_y 1
		.amdhsa_system_sgpr_workgroup_id_z 1
		.amdhsa_system_sgpr_workgroup_info 0
		.amdhsa_system_vgpr_workitem_id 1
		.amdhsa_next_free_vgpr 56
		.amdhsa_next_free_sgpr 28
		.amdhsa_reserve_vcc 1
		.amdhsa_reserve_flat_scratch 0
		.amdhsa_float_round_mode_32 0
		.amdhsa_float_round_mode_16_64 0
		.amdhsa_float_denorm_mode_32 3
		.amdhsa_float_denorm_mode_16_64 3
		.amdhsa_dx10_clamp 1
		.amdhsa_ieee_mode 1
		.amdhsa_fp16_overflow 0
		.amdhsa_exception_fp_ieee_invalid_op 0
		.amdhsa_exception_fp_denorm_src 0
		.amdhsa_exception_fp_ieee_div_zero 0
		.amdhsa_exception_fp_ieee_overflow 0
		.amdhsa_exception_fp_ieee_underflow 0
		.amdhsa_exception_fp_ieee_inexact 0
		.amdhsa_exception_int_div_zero 0
	.end_amdhsa_kernel
	.section	.text._ZL32rocblas_syrkx_herkx_small_kernelIl19rocblas_complex_numIfELi16ELb0ELb1ELc67ELc85EKS1_S1_EviT_T0_PT6_S3_lS6_S3_lS4_PT7_S3_li,"axG",@progbits,_ZL32rocblas_syrkx_herkx_small_kernelIl19rocblas_complex_numIfELi16ELb0ELb1ELc67ELc85EKS1_S1_EviT_T0_PT6_S3_lS6_S3_lS4_PT7_S3_li,comdat
.Lfunc_end1292:
	.size	_ZL32rocblas_syrkx_herkx_small_kernelIl19rocblas_complex_numIfELi16ELb0ELb1ELc67ELc85EKS1_S1_EviT_T0_PT6_S3_lS6_S3_lS4_PT7_S3_li, .Lfunc_end1292-_ZL32rocblas_syrkx_herkx_small_kernelIl19rocblas_complex_numIfELi16ELb0ELb1ELc67ELc85EKS1_S1_EviT_T0_PT6_S3_lS6_S3_lS4_PT7_S3_li
                                        ; -- End function
	.set _ZL32rocblas_syrkx_herkx_small_kernelIl19rocblas_complex_numIfELi16ELb0ELb1ELc67ELc85EKS1_S1_EviT_T0_PT6_S3_lS6_S3_lS4_PT7_S3_li.num_vgpr, 56
	.set _ZL32rocblas_syrkx_herkx_small_kernelIl19rocblas_complex_numIfELi16ELb0ELb1ELc67ELc85EKS1_S1_EviT_T0_PT6_S3_lS6_S3_lS4_PT7_S3_li.num_agpr, 0
	.set _ZL32rocblas_syrkx_herkx_small_kernelIl19rocblas_complex_numIfELi16ELb0ELb1ELc67ELc85EKS1_S1_EviT_T0_PT6_S3_lS6_S3_lS4_PT7_S3_li.numbered_sgpr, 28
	.set _ZL32rocblas_syrkx_herkx_small_kernelIl19rocblas_complex_numIfELi16ELb0ELb1ELc67ELc85EKS1_S1_EviT_T0_PT6_S3_lS6_S3_lS4_PT7_S3_li.num_named_barrier, 0
	.set _ZL32rocblas_syrkx_herkx_small_kernelIl19rocblas_complex_numIfELi16ELb0ELb1ELc67ELc85EKS1_S1_EviT_T0_PT6_S3_lS6_S3_lS4_PT7_S3_li.private_seg_size, 0
	.set _ZL32rocblas_syrkx_herkx_small_kernelIl19rocblas_complex_numIfELi16ELb0ELb1ELc67ELc85EKS1_S1_EviT_T0_PT6_S3_lS6_S3_lS4_PT7_S3_li.uses_vcc, 1
	.set _ZL32rocblas_syrkx_herkx_small_kernelIl19rocblas_complex_numIfELi16ELb0ELb1ELc67ELc85EKS1_S1_EviT_T0_PT6_S3_lS6_S3_lS4_PT7_S3_li.uses_flat_scratch, 0
	.set _ZL32rocblas_syrkx_herkx_small_kernelIl19rocblas_complex_numIfELi16ELb0ELb1ELc67ELc85EKS1_S1_EviT_T0_PT6_S3_lS6_S3_lS4_PT7_S3_li.has_dyn_sized_stack, 0
	.set _ZL32rocblas_syrkx_herkx_small_kernelIl19rocblas_complex_numIfELi16ELb0ELb1ELc67ELc85EKS1_S1_EviT_T0_PT6_S3_lS6_S3_lS4_PT7_S3_li.has_recursion, 0
	.set _ZL32rocblas_syrkx_herkx_small_kernelIl19rocblas_complex_numIfELi16ELb0ELb1ELc67ELc85EKS1_S1_EviT_T0_PT6_S3_lS6_S3_lS4_PT7_S3_li.has_indirect_call, 0
	.section	.AMDGPU.csdata,"",@progbits
; Kernel info:
; codeLenInByte = 1456
; TotalNumSgprs: 32
; NumVgprs: 56
; ScratchSize: 0
; MemoryBound: 1
; FloatMode: 240
; IeeeMode: 1
; LDSByteSize: 4096 bytes/workgroup (compile time only)
; SGPRBlocks: 3
; VGPRBlocks: 13
; NumSGPRsForWavesPerEU: 32
; NumVGPRsForWavesPerEU: 56
; Occupancy: 4
; WaveLimiterHint : 0
; COMPUTE_PGM_RSRC2:SCRATCH_EN: 0
; COMPUTE_PGM_RSRC2:USER_SGPR: 6
; COMPUTE_PGM_RSRC2:TRAP_HANDLER: 0
; COMPUTE_PGM_RSRC2:TGID_X_EN: 1
; COMPUTE_PGM_RSRC2:TGID_Y_EN: 1
; COMPUTE_PGM_RSRC2:TGID_Z_EN: 1
; COMPUTE_PGM_RSRC2:TIDIG_COMP_CNT: 1
	.section	.text._ZL32rocblas_syrkx_herkx_small_kernelIl19rocblas_complex_numIfELi16ELb0ELb1ELc78ELc85EKS1_S1_EviT_T0_PT6_S3_lS6_S3_lS4_PT7_S3_li,"axG",@progbits,_ZL32rocblas_syrkx_herkx_small_kernelIl19rocblas_complex_numIfELi16ELb0ELb1ELc78ELc85EKS1_S1_EviT_T0_PT6_S3_lS6_S3_lS4_PT7_S3_li,comdat
	.globl	_ZL32rocblas_syrkx_herkx_small_kernelIl19rocblas_complex_numIfELi16ELb0ELb1ELc78ELc85EKS1_S1_EviT_T0_PT6_S3_lS6_S3_lS4_PT7_S3_li ; -- Begin function _ZL32rocblas_syrkx_herkx_small_kernelIl19rocblas_complex_numIfELi16ELb0ELb1ELc78ELc85EKS1_S1_EviT_T0_PT6_S3_lS6_S3_lS4_PT7_S3_li
	.p2align	8
	.type	_ZL32rocblas_syrkx_herkx_small_kernelIl19rocblas_complex_numIfELi16ELb0ELb1ELc78ELc85EKS1_S1_EviT_T0_PT6_S3_lS6_S3_lS4_PT7_S3_li,@function
_ZL32rocblas_syrkx_herkx_small_kernelIl19rocblas_complex_numIfELi16ELb0ELb1ELc78ELc85EKS1_S1_EviT_T0_PT6_S3_lS6_S3_lS4_PT7_S3_li: ; @_ZL32rocblas_syrkx_herkx_small_kernelIl19rocblas_complex_numIfELi16ELb0ELb1ELc78ELc85EKS1_S1_EviT_T0_PT6_S3_lS6_S3_lS4_PT7_S3_li
; %bb.0:
	s_load_dwordx16 s[12:27], s[4:5], 0x8
	s_load_dword s9, s[4:5], 0x0
	v_lshl_add_u32 v2, s6, 4, v0
	v_lshl_add_u32 v4, s7, 4, v1
	v_ashrrev_i32_e32 v3, 31, v2
	s_waitcnt lgkmcnt(0)
	v_cmp_lt_i64_e64 s[0:1], s[12:13], 1
	v_ashrrev_i32_e32 v5, 31, v4
	s_and_b64 vcc, exec, s[0:1]
	v_cmp_gt_i32_e64 s[0:1], s9, v4
	s_cbranch_vccnz .LBB1293_11
; %bb.1:
	v_lshlrev_b32_e32 v7, 7, v1
	v_lshlrev_b32_e32 v14, 3, v0
	v_add_u32_e32 v15, v14, v7
	v_add_u32_e32 v16, 0x800, v7
	v_mad_u64_u32 v[7:8], s[2:3], s24, v0, 0
	s_mul_i32 s6, s27, s8
	s_mul_hi_u32 s7, s26, s8
	v_mad_u64_u32 v[8:9], s[2:3], s25, v0, v[8:9]
	s_add_i32 s3, s7, s6
	s_mul_i32 s2, s26, s8
	v_lshlrev_b64 v[7:8], 3, v[7:8]
	s_lshl_b64 s[2:3], s[2:3], 3
	v_mov_b32_e32 v9, s3
	v_add_co_u32_e64 v10, s[2:3], s2, v7
	v_addc_co_u32_e64 v9, s[2:3], v9, v8, s[2:3]
	v_lshlrev_b64 v[7:8], 3, v[4:5]
	s_mul_i32 s10, s21, s8
	v_add_co_u32_e64 v7, s[2:3], v10, v7
	v_addc_co_u32_e64 v8, s[2:3], v9, v8, s[2:3]
	v_mov_b32_e32 v9, s23
	v_add_co_u32_e64 v7, s[2:3], s22, v7
	v_addc_co_u32_e64 v9, s[2:3], v9, v8, s[2:3]
	v_add_co_u32_e64 v8, s[2:3], 4, v7
	v_addc_co_u32_e64 v9, s[2:3], 0, v9, s[2:3]
	v_mad_u64_u32 v[10:11], s[2:3], s18, v1, 0
	s_mul_hi_u32 s11, s20, s8
	v_cmp_gt_i32_e32 vcc, s9, v2
	v_mov_b32_e32 v7, v11
	v_mad_u64_u32 v[11:12], s[2:3], s19, v1, v[7:8]
	s_add_i32 s3, s11, s10
	s_mul_i32 s2, s20, s8
	v_lshlrev_b64 v[10:11], 3, v[10:11]
	s_lshl_b64 s[2:3], s[2:3], 3
	v_mov_b32_e32 v7, s3
	v_add_co_u32_e64 v12, s[2:3], s2, v10
	v_addc_co_u32_e64 v7, s[2:3], v7, v11, s[2:3]
	v_lshlrev_b64 v[10:11], 3, v[2:3]
	s_lshl_b64 s[6:7], s[24:25], 7
	v_add_co_u32_e64 v10, s[2:3], v12, v10
	v_addc_co_u32_e64 v7, s[2:3], v7, v11, s[2:3]
	v_mov_b32_e32 v11, s17
	v_add_co_u32_e64 v10, s[2:3], s16, v10
	v_addc_co_u32_e64 v11, s[2:3], v11, v7, s[2:3]
	s_lshl_b64 s[2:3], s[18:19], 7
	v_mov_b32_e32 v12, s12
	v_mov_b32_e32 v6, 0
	v_add_u32_e32 v17, v16, v14
	s_mov_b64 s[10:11], 0
	s_xor_b64 s[16:17], vcc, -1
	s_xor_b64 s[18:19], s[0:1], -1
	v_mov_b32_e32 v20, s7
	v_mov_b32_e32 v21, s3
	;; [unrolled: 1-line block ×5, first 2 shown]
	s_branch .LBB1293_3
.LBB1293_2:                             ;   in Loop: Header=BB1293_3 Depth=1
	s_or_b64 exec, exec, s[0:1]
	ds_write_b32 v17, v7 offset:4
	s_waitcnt lgkmcnt(0)
	s_barrier
	ds_read2_b64 v[22:25], v14 offset1:16
	ds_read_b128 v[26:29], v16
	ds_read_b128 v[30:33], v16 offset:16
	ds_read2_b64 v[34:37], v14 offset0:32 offset1:48
	s_add_u32 s10, s10, 16
	v_add_co_u32_e32 v8, vcc, s6, v8
	s_waitcnt lgkmcnt(2)
	v_mul_f32_e32 v7, v27, v23
	v_mul_f32_e32 v38, v26, v23
	v_fma_f32 v7, v26, v22, -v7
	v_fmac_f32_e32 v38, v27, v22
	v_mul_f32_e32 v22, v29, v25
	v_fma_f32 v39, v28, v24, -v22
	v_mul_f32_e32 v40, v28, v25
	s_waitcnt lgkmcnt(0)
	v_mul_f32_e32 v22, v31, v35
	v_fmac_f32_e32 v40, v29, v24
	v_fma_f32 v41, v30, v34, -v22
	ds_read2_b64 v[22:25], v14 offset0:64 offset1:80
	ds_read_b128 v[26:29], v16 offset:32
	v_mul_f32_e32 v42, v30, v35
	v_fmac_f32_e32 v42, v31, v34
	v_mul_f32_e32 v30, v33, v37
	v_mul_f32_e32 v44, v32, v37
	s_waitcnt lgkmcnt(0)
	v_mul_f32_e32 v34, v27, v23
	v_fma_f32 v43, v32, v36, -v30
	v_fmac_f32_e32 v44, v33, v36
	ds_read_b128 v[30:33], v16 offset:48
	v_fma_f32 v45, v26, v22, -v34
	ds_read2_b64 v[34:37], v14 offset0:96 offset1:112
	v_mul_f32_e32 v46, v26, v23
	v_fmac_f32_e32 v46, v27, v22
	v_mul_f32_e32 v22, v29, v25
	v_fma_f32 v47, v28, v24, -v22
	v_mul_f32_e32 v48, v28, v25
	s_waitcnt lgkmcnt(0)
	v_mul_f32_e32 v22, v31, v35
	v_fmac_f32_e32 v48, v29, v24
	v_fma_f32 v49, v30, v34, -v22
	ds_read2_b64 v[22:25], v14 offset0:128 offset1:144
	ds_read_b128 v[26:29], v16 offset:64
	v_mul_f32_e32 v50, v30, v35
	v_fmac_f32_e32 v50, v31, v34
	v_mul_f32_e32 v30, v33, v37
	v_mul_f32_e32 v52, v32, v37
	s_waitcnt lgkmcnt(0)
	v_mul_f32_e32 v34, v27, v23
	v_fma_f32 v51, v32, v36, -v30
	v_fmac_f32_e32 v52, v33, v36
	ds_read_b128 v[30:33], v16 offset:80
	v_fma_f32 v53, v26, v22, -v34
	ds_read2_b64 v[34:37], v14 offset0:160 offset1:176
	v_mul_f32_e32 v54, v26, v23
	v_fmac_f32_e32 v54, v27, v22
	v_mul_f32_e32 v22, v29, v25
	v_fma_f32 v55, v28, v24, -v22
	v_mul_f32_e32 v56, v28, v25
	s_waitcnt lgkmcnt(0)
	v_mul_f32_e32 v22, v31, v35
	v_add_f32_e32 v7, v19, v7
	v_add_f32_e32 v18, v18, v38
	v_fmac_f32_e32 v56, v29, v24
	v_fma_f32 v57, v30, v34, -v22
	ds_read2_b64 v[22:25], v14 offset0:192 offset1:208
	ds_read_b128 v[26:29], v16 offset:96
	v_add_f32_e32 v7, v7, v39
	v_add_f32_e32 v18, v18, v40
	;; [unrolled: 1-line block ×8, first 2 shown]
	v_mul_f32_e32 v58, v30, v35
	v_add_f32_e32 v7, v7, v47
	v_add_f32_e32 v18, v18, v48
	v_fmac_f32_e32 v58, v31, v34
	v_mul_f32_e32 v30, v33, v37
	v_mul_f32_e32 v60, v32, v37
	s_waitcnt lgkmcnt(0)
	v_mul_f32_e32 v34, v27, v23
	v_add_f32_e32 v7, v7, v49
	v_add_f32_e32 v18, v18, v50
	v_fma_f32 v59, v32, v36, -v30
	v_fmac_f32_e32 v60, v33, v36
	ds_read_b128 v[30:33], v16 offset:112
	v_fma_f32 v61, v26, v22, -v34
	ds_read2_b64 v[34:37], v14 offset0:224 offset1:240
	v_add_f32_e32 v7, v7, v51
	v_add_f32_e32 v18, v18, v52
	;; [unrolled: 1-line block ×6, first 2 shown]
	v_mul_f32_e32 v23, v26, v23
	v_add_f32_e32 v7, v7, v57
	v_add_f32_e32 v18, v18, v58
	v_fmac_f32_e32 v23, v27, v22
	v_mul_f32_e32 v22, v29, v25
	v_mul_f32_e32 v25, v28, v25
	v_add_f32_e32 v7, v7, v59
	v_add_f32_e32 v18, v18, v60
	v_fma_f32 v22, v28, v24, -v22
	v_fmac_f32_e32 v25, v29, v24
	s_waitcnt lgkmcnt(0)
	v_mul_f32_e32 v24, v31, v35
	v_mul_f32_e32 v26, v30, v35
	v_add_f32_e32 v7, v7, v61
	v_add_f32_e32 v18, v18, v23
	s_addc_u32 s11, s11, 0
	v_addc_co_u32_e32 v9, vcc, v9, v20, vcc
	v_fma_f32 v24, v30, v34, -v24
	v_fmac_f32_e32 v26, v31, v34
	v_mul_f32_e32 v27, v33, v37
	v_mul_f32_e32 v28, v32, v37
	v_add_f32_e32 v7, v7, v22
	v_add_f32_e32 v18, v18, v25
	v_cmp_ge_i64_e32 vcc, s[10:11], v[12:13]
	v_fma_f32 v27, v32, v36, -v27
	v_fmac_f32_e32 v28, v33, v36
	v_add_f32_e32 v7, v7, v24
	v_add_f32_e32 v18, v18, v26
	v_add_co_u32_e64 v10, s[0:1], s2, v10
	v_add_f32_e32 v19, v7, v27
	v_add_f32_e32 v18, v18, v28
	v_addc_co_u32_e64 v11, s[0:1], v11, v21, s[0:1]
	s_barrier
	s_cbranch_vccnz .LBB1293_12
.LBB1293_3:                             ; =>This Inner Loop Header: Depth=1
	v_mov_b32_e32 v7, s11
	v_add_co_u32_e32 v22, vcc, s10, v1
	v_addc_co_u32_e32 v23, vcc, 0, v7, vcc
	v_cmp_le_i64_e32 vcc, s[12:13], v[22:23]
	s_or_b64 s[0:1], s[16:17], vcc
	s_and_saveexec_b64 s[20:21], s[0:1]
	s_xor_b64 s[0:1], exec, s[20:21]
; %bb.4:                                ;   in Loop: Header=BB1293_3 Depth=1
	v_mov_b32_e32 v7, v6
	ds_write_b64 v15, v[6:7]
; %bb.5:                                ;   in Loop: Header=BB1293_3 Depth=1
	s_andn2_saveexec_b64 s[0:1], s[0:1]
	s_cbranch_execz .LBB1293_7
; %bb.6:                                ;   in Loop: Header=BB1293_3 Depth=1
	global_load_dwordx2 v[22:23], v[10:11], off
	s_waitcnt vmcnt(0)
	ds_write_b64 v15, v[22:23]
.LBB1293_7:                             ;   in Loop: Header=BB1293_3 Depth=1
	s_or_b64 exec, exec, s[0:1]
	v_mov_b32_e32 v7, s11
	v_add_co_u32_e32 v22, vcc, s10, v0
	v_addc_co_u32_e32 v23, vcc, 0, v7, vcc
	v_cmp_le_i64_e32 vcc, s[12:13], v[22:23]
	s_or_b64 s[0:1], s[18:19], vcc
	s_and_saveexec_b64 s[20:21], s[0:1]
	s_xor_b64 s[0:1], exec, s[20:21]
; %bb.8:                                ;   in Loop: Header=BB1293_3 Depth=1
	ds_write_b32 v17, v6
; %bb.9:                                ;   in Loop: Header=BB1293_3 Depth=1
	s_or_saveexec_b64 s[0:1], s[0:1]
	v_mov_b32_e32 v7, 0
	s_xor_b64 exec, exec, s[0:1]
	s_cbranch_execz .LBB1293_2
; %bb.10:                               ;   in Loop: Header=BB1293_3 Depth=1
	global_load_dwordx2 v[22:23], v[8:9], off offset:-4
	s_waitcnt vmcnt(0)
	v_xor_b32_e32 v7, 0x80000000, v23
	ds_write_b32 v17, v22
	s_branch .LBB1293_2
.LBB1293_11:
	v_mov_b32_e32 v18, 0
	v_mov_b32_e32 v19, 0
.LBB1293_12:
	s_load_dwordx8 s[16:23], s[4:5], 0x48
	v_cmp_le_i32_e32 vcc, v2, v4
	v_cmp_gt_i32_e64 s[0:1], s9, v4
	s_and_b64 s[0:1], vcc, s[0:1]
	s_and_saveexec_b64 s[2:3], s[0:1]
	s_cbranch_execz .LBB1293_15
; %bb.13:
	s_waitcnt lgkmcnt(0)
	v_mul_lo_u32 v6, s21, v4
	v_mul_lo_u32 v5, s20, v5
	v_mad_u64_u32 v[0:1], s[2:3], s20, v4, 0
	s_mul_i32 s0, s23, s8
	s_mul_hi_u32 s1, s22, s8
	s_add_i32 s1, s1, s0
	s_mul_i32 s0, s22, s8
	s_lshl_b64 s[0:1], s[0:1], 3
	v_add3_u32 v1, v1, v5, v6
	s_add_u32 s0, s18, s0
	v_lshlrev_b64 v[0:1], 3, v[0:1]
	s_addc_u32 s1, s19, s1
	v_mov_b32_e32 v5, s1
	v_add_co_u32_e32 v6, vcc, s0, v0
	v_addc_co_u32_e32 v5, vcc, v5, v1, vcc
	v_lshlrev_b64 v[0:1], 3, v[2:3]
	v_mul_f32_e32 v3, s15, v18
	v_add_co_u32_e32 v0, vcc, v6, v0
	v_addc_co_u32_e32 v1, vcc, v5, v1, vcc
	global_load_dwordx2 v[5:6], v[0:1], off
	v_mul_f32_e32 v7, s14, v18
	v_fma_f32 v3, v19, s14, -v3
	v_fmac_f32_e32 v7, s15, v19
	v_cmp_eq_u32_e32 vcc, v2, v4
	s_waitcnt vmcnt(0)
	v_mul_f32_e32 v8, s17, v6
	v_mul_f32_e32 v6, s16, v6
	v_fma_f32 v8, v5, s16, -v8
	v_fmac_f32_e32 v6, s17, v5
	v_add_f32_e32 v5, v3, v8
	v_add_f32_e32 v6, v7, v6
	global_store_dwordx2 v[0:1], v[5:6], off
	s_and_b64 exec, exec, vcc
	s_cbranch_execz .LBB1293_15
; %bb.14:
	v_mov_b32_e32 v2, 0
	global_store_dword v[0:1], v2, off offset:4
.LBB1293_15:
	s_endpgm
	.section	.rodata,"a",@progbits
	.p2align	6, 0x0
	.amdhsa_kernel _ZL32rocblas_syrkx_herkx_small_kernelIl19rocblas_complex_numIfELi16ELb0ELb1ELc78ELc85EKS1_S1_EviT_T0_PT6_S3_lS6_S3_lS4_PT7_S3_li
		.amdhsa_group_segment_fixed_size 4096
		.amdhsa_private_segment_fixed_size 0
		.amdhsa_kernarg_size 108
		.amdhsa_user_sgpr_count 6
		.amdhsa_user_sgpr_private_segment_buffer 1
		.amdhsa_user_sgpr_dispatch_ptr 0
		.amdhsa_user_sgpr_queue_ptr 0
		.amdhsa_user_sgpr_kernarg_segment_ptr 1
		.amdhsa_user_sgpr_dispatch_id 0
		.amdhsa_user_sgpr_flat_scratch_init 0
		.amdhsa_user_sgpr_private_segment_size 0
		.amdhsa_uses_dynamic_stack 0
		.amdhsa_system_sgpr_private_segment_wavefront_offset 0
		.amdhsa_system_sgpr_workgroup_id_x 1
		.amdhsa_system_sgpr_workgroup_id_y 1
		.amdhsa_system_sgpr_workgroup_id_z 1
		.amdhsa_system_sgpr_workgroup_info 0
		.amdhsa_system_vgpr_workitem_id 1
		.amdhsa_next_free_vgpr 62
		.amdhsa_next_free_sgpr 28
		.amdhsa_reserve_vcc 1
		.amdhsa_reserve_flat_scratch 0
		.amdhsa_float_round_mode_32 0
		.amdhsa_float_round_mode_16_64 0
		.amdhsa_float_denorm_mode_32 3
		.amdhsa_float_denorm_mode_16_64 3
		.amdhsa_dx10_clamp 1
		.amdhsa_ieee_mode 1
		.amdhsa_fp16_overflow 0
		.amdhsa_exception_fp_ieee_invalid_op 0
		.amdhsa_exception_fp_denorm_src 0
		.amdhsa_exception_fp_ieee_div_zero 0
		.amdhsa_exception_fp_ieee_overflow 0
		.amdhsa_exception_fp_ieee_underflow 0
		.amdhsa_exception_fp_ieee_inexact 0
		.amdhsa_exception_int_div_zero 0
	.end_amdhsa_kernel
	.section	.text._ZL32rocblas_syrkx_herkx_small_kernelIl19rocblas_complex_numIfELi16ELb0ELb1ELc78ELc85EKS1_S1_EviT_T0_PT6_S3_lS6_S3_lS4_PT7_S3_li,"axG",@progbits,_ZL32rocblas_syrkx_herkx_small_kernelIl19rocblas_complex_numIfELi16ELb0ELb1ELc78ELc85EKS1_S1_EviT_T0_PT6_S3_lS6_S3_lS4_PT7_S3_li,comdat
.Lfunc_end1293:
	.size	_ZL32rocblas_syrkx_herkx_small_kernelIl19rocblas_complex_numIfELi16ELb0ELb1ELc78ELc85EKS1_S1_EviT_T0_PT6_S3_lS6_S3_lS4_PT7_S3_li, .Lfunc_end1293-_ZL32rocblas_syrkx_herkx_small_kernelIl19rocblas_complex_numIfELi16ELb0ELb1ELc78ELc85EKS1_S1_EviT_T0_PT6_S3_lS6_S3_lS4_PT7_S3_li
                                        ; -- End function
	.set _ZL32rocblas_syrkx_herkx_small_kernelIl19rocblas_complex_numIfELi16ELb0ELb1ELc78ELc85EKS1_S1_EviT_T0_PT6_S3_lS6_S3_lS4_PT7_S3_li.num_vgpr, 62
	.set _ZL32rocblas_syrkx_herkx_small_kernelIl19rocblas_complex_numIfELi16ELb0ELb1ELc78ELc85EKS1_S1_EviT_T0_PT6_S3_lS6_S3_lS4_PT7_S3_li.num_agpr, 0
	.set _ZL32rocblas_syrkx_herkx_small_kernelIl19rocblas_complex_numIfELi16ELb0ELb1ELc78ELc85EKS1_S1_EviT_T0_PT6_S3_lS6_S3_lS4_PT7_S3_li.numbered_sgpr, 28
	.set _ZL32rocblas_syrkx_herkx_small_kernelIl19rocblas_complex_numIfELi16ELb0ELb1ELc78ELc85EKS1_S1_EviT_T0_PT6_S3_lS6_S3_lS4_PT7_S3_li.num_named_barrier, 0
	.set _ZL32rocblas_syrkx_herkx_small_kernelIl19rocblas_complex_numIfELi16ELb0ELb1ELc78ELc85EKS1_S1_EviT_T0_PT6_S3_lS6_S3_lS4_PT7_S3_li.private_seg_size, 0
	.set _ZL32rocblas_syrkx_herkx_small_kernelIl19rocblas_complex_numIfELi16ELb0ELb1ELc78ELc85EKS1_S1_EviT_T0_PT6_S3_lS6_S3_lS4_PT7_S3_li.uses_vcc, 1
	.set _ZL32rocblas_syrkx_herkx_small_kernelIl19rocblas_complex_numIfELi16ELb0ELb1ELc78ELc85EKS1_S1_EviT_T0_PT6_S3_lS6_S3_lS4_PT7_S3_li.uses_flat_scratch, 0
	.set _ZL32rocblas_syrkx_herkx_small_kernelIl19rocblas_complex_numIfELi16ELb0ELb1ELc78ELc85EKS1_S1_EviT_T0_PT6_S3_lS6_S3_lS4_PT7_S3_li.has_dyn_sized_stack, 0
	.set _ZL32rocblas_syrkx_herkx_small_kernelIl19rocblas_complex_numIfELi16ELb0ELb1ELc78ELc85EKS1_S1_EviT_T0_PT6_S3_lS6_S3_lS4_PT7_S3_li.has_recursion, 0
	.set _ZL32rocblas_syrkx_herkx_small_kernelIl19rocblas_complex_numIfELi16ELb0ELb1ELc78ELc85EKS1_S1_EviT_T0_PT6_S3_lS6_S3_lS4_PT7_S3_li.has_indirect_call, 0
	.section	.AMDGPU.csdata,"",@progbits
; Kernel info:
; codeLenInByte = 1448
; TotalNumSgprs: 32
; NumVgprs: 62
; ScratchSize: 0
; MemoryBound: 1
; FloatMode: 240
; IeeeMode: 1
; LDSByteSize: 4096 bytes/workgroup (compile time only)
; SGPRBlocks: 3
; VGPRBlocks: 15
; NumSGPRsForWavesPerEU: 32
; NumVGPRsForWavesPerEU: 62
; Occupancy: 4
; WaveLimiterHint : 0
; COMPUTE_PGM_RSRC2:SCRATCH_EN: 0
; COMPUTE_PGM_RSRC2:USER_SGPR: 6
; COMPUTE_PGM_RSRC2:TRAP_HANDLER: 0
; COMPUTE_PGM_RSRC2:TGID_X_EN: 1
; COMPUTE_PGM_RSRC2:TGID_Y_EN: 1
; COMPUTE_PGM_RSRC2:TGID_Z_EN: 1
; COMPUTE_PGM_RSRC2:TIDIG_COMP_CNT: 1
	.section	.text._ZL34rocblas_syrkx_herkx_general_kernelIl19rocblas_complex_numIfELi16ELi32ELi8ELb1ELb1ELc84ELc76EKS1_S1_EviT_T0_PT8_S3_lS6_S3_lS4_PT9_S3_li,"axG",@progbits,_ZL34rocblas_syrkx_herkx_general_kernelIl19rocblas_complex_numIfELi16ELi32ELi8ELb1ELb1ELc84ELc76EKS1_S1_EviT_T0_PT8_S3_lS6_S3_lS4_PT9_S3_li,comdat
	.globl	_ZL34rocblas_syrkx_herkx_general_kernelIl19rocblas_complex_numIfELi16ELi32ELi8ELb1ELb1ELc84ELc76EKS1_S1_EviT_T0_PT8_S3_lS6_S3_lS4_PT9_S3_li ; -- Begin function _ZL34rocblas_syrkx_herkx_general_kernelIl19rocblas_complex_numIfELi16ELi32ELi8ELb1ELb1ELc84ELc76EKS1_S1_EviT_T0_PT8_S3_lS6_S3_lS4_PT9_S3_li
	.p2align	8
	.type	_ZL34rocblas_syrkx_herkx_general_kernelIl19rocblas_complex_numIfELi16ELi32ELi8ELb1ELb1ELc84ELc76EKS1_S1_EviT_T0_PT8_S3_lS6_S3_lS4_PT9_S3_li,@function
_ZL34rocblas_syrkx_herkx_general_kernelIl19rocblas_complex_numIfELi16ELi32ELi8ELb1ELb1ELc84ELc76EKS1_S1_EviT_T0_PT8_S3_lS6_S3_lS4_PT9_S3_li: ; @_ZL34rocblas_syrkx_herkx_general_kernelIl19rocblas_complex_numIfELi16ELi32ELi8ELb1ELb1ELc84ELc76EKS1_S1_EviT_T0_PT8_S3_lS6_S3_lS4_PT9_S3_li
; %bb.0:
	s_load_dwordx16 s[12:27], s[4:5], 0x8
	s_load_dword s9, s[4:5], 0x0
	s_lshl_b32 s28, s6, 5
	s_lshl_b32 s29, s7, 5
	s_waitcnt lgkmcnt(0)
	v_cmp_lt_i64_e64 s[0:1], s[12:13], 1
	s_and_b64 vcc, exec, s[0:1]
	s_cbranch_vccnz .LBB1294_11
; %bb.1:
	v_lshl_add_u32 v2, v1, 4, v0
	v_and_b32_e32 v5, 31, v2
	v_or_b32_e32 v6, s28, v5
	v_and_b32_e32 v11, 7, v0
	v_lshrrev_b32_e32 v3, 3, v2
	v_lshrrev_b32_e32 v10, 5, v2
	v_cmp_gt_i32_e32 vcc, s9, v6
	v_lshlrev_b32_e32 v2, 3, v5
	v_lshlrev_b32_e32 v6, 3, v11
	v_lshl_or_b32 v12, v10, 8, v2
	v_lshl_or_b32 v2, v3, 6, v6
	v_add_u32_e32 v13, 0x800, v2
	v_add_u32_e32 v2, s28, v5
	;; [unrolled: 1-line block ×3, first 2 shown]
	v_ashrrev_i32_e32 v3, 31, v2
	v_mul_lo_u32 v5, s18, v3
	v_mul_lo_u32 v8, s19, v2
	v_mad_u64_u32 v[2:3], s[2:3], s18, v2, 0
	s_mul_i32 s2, s21, s8
	s_mul_hi_u32 s3, s20, s8
	v_add3_u32 v3, v3, v5, v8
	v_lshlrev_b64 v[2:3], 3, v[2:3]
	s_add_i32 s3, s3, s2
	s_mul_i32 s2, s20, s8
	s_lshl_b64 s[2:3], s[2:3], 3
	v_mov_b32_e32 v5, s3
	v_add_co_u32_e64 v2, s[2:3], s2, v2
	v_addc_co_u32_e64 v3, s[2:3], v3, v5, s[2:3]
	v_lshlrev_b32_e32 v5, 3, v10
	v_ashrrev_i32_e32 v7, 31, v4
	v_mov_b32_e32 v9, 0x800
	v_add_co_u32_e64 v2, s[2:3], v2, v5
	v_cmp_gt_i32_e64 s[0:1], s9, v4
	v_lshl_add_u32 v15, v1, 6, v9
	v_addc_co_u32_e64 v3, s[2:3], 0, v3, s[2:3]
	v_mul_lo_u32 v7, s24, v7
	v_mul_lo_u32 v9, s25, v4
	v_mad_u64_u32 v[4:5], s[2:3], s24, v4, 0
	v_mov_b32_e32 v8, s17
	v_add_co_u32_e64 v2, s[2:3], s16, v2
	v_addc_co_u32_e64 v3, s[2:3], v8, v3, s[2:3]
	v_add3_u32 v5, v5, v7, v9
	s_mul_i32 s2, s27, s8
	s_mul_hi_u32 s3, s26, s8
	v_lshlrev_b64 v[4:5], 3, v[4:5]
	s_add_i32 s3, s3, s2
	s_mul_i32 s2, s26, s8
	s_lshl_b64 s[2:3], s[2:3], 3
	v_mov_b32_e32 v7, s3
	v_add_co_u32_e64 v4, s[2:3], s2, v4
	v_addc_co_u32_e64 v5, s[2:3], v5, v7, s[2:3]
	v_add_co_u32_e64 v4, s[2:3], v4, v6
	v_addc_co_u32_e64 v5, s[2:3], 0, v5, s[2:3]
	v_mov_b32_e32 v6, s23
	v_add_co_u32_e64 v4, s[2:3], s22, v4
	v_addc_co_u32_e64 v5, s[2:3], v6, v5, s[2:3]
	v_mov_b32_e32 v8, s12
	v_lshlrev_b32_e32 v14, 3, v0
	s_mov_b64 s[2:3], 0
	s_xor_b64 s[6:7], vcc, -1
	s_xor_b64 s[10:11], s[0:1], -1
	v_mov_b32_e32 v19, 0
	v_mov_b32_e32 v18, 0
	;; [unrolled: 1-line block ×10, first 2 shown]
	s_branch .LBB1294_3
.LBB1294_2:                             ;   in Loop: Header=BB1294_3 Depth=1
	s_or_b64 exec, exec, s[0:1]
	s_waitcnt lgkmcnt(0)
	s_barrier
	ds_read2_b64 v[24:27], v14 offset1:16
	ds_read_b128 v[28:31], v15
	ds_read_b128 v[32:35], v15 offset:16
	s_add_u32 s2, s2, 8
	v_add_co_u32_e32 v2, vcc, 64, v2
	s_waitcnt lgkmcnt(1)
	v_mul_f32_e32 v36, v28, v25
	v_fmac_f32_e32 v36, v29, v24
	v_add_f32_e32 v44, v21, v36
	ds_read_b128 v[36:39], v15 offset:1024
	v_mul_f32_e32 v7, v29, v25
	v_fma_f32 v7, v28, v24, -v7
	v_add_f32_e32 v7, v20, v7
	v_mul_f32_e32 v20, v29, v27
	v_mul_f32_e32 v21, v28, v27
	v_fma_f32 v20, v28, v26, -v20
	v_fmac_f32_e32 v21, v29, v26
	v_add_f32_e32 v28, v22, v20
	v_add_f32_e32 v29, v23, v21
	ds_read_b128 v[20:23], v15 offset:1040
	s_waitcnt lgkmcnt(1)
	v_mul_f32_e32 v40, v37, v25
	v_fma_f32 v40, v36, v24, -v40
	v_add_f32_e32 v45, v16, v40
	ds_read2_b64 v[40:43], v14 offset0:32 offset1:48
	v_mul_f32_e32 v25, v36, v25
	v_mul_f32_e32 v16, v37, v27
	v_fmac_f32_e32 v25, v37, v24
	v_fma_f32 v16, v36, v26, -v16
	v_add_f32_e32 v46, v17, v25
	v_mul_f32_e32 v17, v36, v27
	v_add_f32_e32 v36, v18, v16
	s_waitcnt lgkmcnt(0)
	v_mul_f32_e32 v16, v31, v41
	v_fma_f32 v47, v30, v40, -v16
	v_mul_f32_e32 v16, v31, v43
	v_fma_f32 v49, v30, v42, -v16
	v_mul_f32_e32 v48, v30, v41
	v_mul_f32_e32 v30, v30, v43
	v_add_f32_e32 v7, v7, v47
	v_add_f32_e32 v47, v28, v49
	v_mul_f32_e32 v28, v39, v41
	v_fmac_f32_e32 v17, v37, v26
	v_fmac_f32_e32 v48, v31, v40
	;; [unrolled: 1-line block ×3, first 2 shown]
	v_fma_f32 v49, v38, v40, -v28
	v_mul_f32_e32 v41, v38, v41
	v_mul_f32_e32 v28, v39, v43
	v_add_f32_e32 v37, v19, v17
	ds_read_b128 v[16:19], v15 offset:32
	ds_read_b128 v[24:27], v15 offset:48
	v_add_f32_e32 v44, v44, v48
	v_add_f32_e32 v48, v29, v30
	v_fmac_f32_e32 v41, v39, v40
	v_fma_f32 v40, v38, v42, -v28
	ds_read2_b64 v[28:31], v14 offset0:64 offset1:80
	v_add_f32_e32 v40, v36, v40
	v_mul_f32_e32 v38, v38, v43
	v_fmac_f32_e32 v38, v39, v42
	v_add_f32_e32 v42, v37, v38
	s_waitcnt lgkmcnt(0)
	v_mul_f32_e32 v36, v33, v29
	v_fma_f32 v36, v32, v28, -v36
	v_add_f32_e32 v7, v7, v36
	v_mul_f32_e32 v36, v33, v31
	v_mul_f32_e32 v37, v32, v29
	v_fma_f32 v36, v32, v30, -v36
	v_mul_f32_e32 v32, v32, v31
	v_fmac_f32_e32 v37, v33, v28
	v_fmac_f32_e32 v32, v33, v30
	v_add_f32_e32 v33, v47, v36
	v_mul_f32_e32 v36, v21, v29
	v_add_f32_e32 v39, v45, v49
	v_fma_f32 v36, v20, v28, -v36
	v_mul_f32_e32 v29, v20, v29
	v_add_f32_e32 v41, v46, v41
	v_fmac_f32_e32 v29, v21, v28
	v_add_f32_e32 v28, v39, v36
	v_mul_f32_e32 v36, v21, v31
	v_add_f32_e32 v43, v44, v37
	v_add_f32_e32 v29, v41, v29
	v_fma_f32 v41, v20, v30, -v36
	ds_read2_b64 v[36:39], v14 offset0:96 offset1:112
	v_mul_f32_e32 v20, v20, v31
	v_fmac_f32_e32 v20, v21, v30
	v_add_f32_e32 v21, v40, v41
	v_add_f32_e32 v32, v48, v32
	s_waitcnt lgkmcnt(0)
	v_mul_f32_e32 v30, v35, v37
	v_fma_f32 v30, v34, v36, -v30
	v_mul_f32_e32 v31, v34, v37
	v_fmac_f32_e32 v31, v35, v36
	v_add_f32_e32 v7, v7, v30
	v_mul_f32_e32 v30, v35, v39
	v_add_f32_e32 v40, v43, v31
	v_fma_f32 v30, v34, v38, -v30
	v_mul_f32_e32 v31, v34, v39
	v_fmac_f32_e32 v31, v35, v38
	v_add_f32_e32 v33, v33, v30
	v_mul_f32_e32 v30, v23, v37
	v_add_f32_e32 v32, v32, v31
	;; [unrolled: 6-line block ×3, first 2 shown]
	v_fma_f32 v34, v22, v38, -v28
	ds_read2_b64 v[28:31], v14 offset0:128 offset1:144
	v_mul_f32_e32 v22, v22, v39
	v_add_f32_e32 v20, v42, v20
	v_fmac_f32_e32 v22, v23, v38
	v_add_f32_e32 v42, v20, v22
	s_waitcnt lgkmcnt(0)
	v_mul_f32_e32 v20, v17, v29
	v_add_f32_e32 v41, v21, v34
	v_fma_f32 v20, v16, v28, -v20
	v_mul_f32_e32 v21, v16, v29
	v_fmac_f32_e32 v21, v17, v28
	v_add_f32_e32 v7, v7, v20
	v_mul_f32_e32 v20, v17, v31
	v_add_f32_e32 v40, v40, v21
	v_fma_f32 v34, v16, v30, -v20
	ds_read_b128 v[20:23], v15 offset:1056
	v_mul_f32_e32 v16, v16, v31
	v_fmac_f32_e32 v16, v17, v30
	v_add_f32_e32 v17, v33, v34
	v_add_f32_e32 v16, v32, v16
	ds_read_b128 v[32:35], v15 offset:1072
	s_waitcnt lgkmcnt(1)
	v_mul_f32_e32 v38, v21, v29
	v_fma_f32 v38, v20, v28, -v38
	v_mul_f32_e32 v29, v20, v29
	v_fmac_f32_e32 v29, v21, v28
	v_add_f32_e32 v28, v36, v38
	v_mul_f32_e32 v36, v21, v31
	v_add_f32_e32 v29, v37, v29
	v_fma_f32 v43, v20, v30, -v36
	ds_read2_b64 v[36:39], v14 offset0:160 offset1:176
	v_mul_f32_e32 v20, v20, v31
	v_fmac_f32_e32 v20, v21, v30
	v_add_f32_e32 v20, v42, v20
	v_add_f32_e32 v21, v41, v43
	s_waitcnt lgkmcnt(0)
	v_mul_f32_e32 v30, v19, v37
	v_mul_f32_e32 v31, v18, v37
	v_fma_f32 v30, v18, v36, -v30
	v_fmac_f32_e32 v31, v19, v36
	v_add_f32_e32 v7, v7, v30
	v_add_f32_e32 v30, v40, v31
	v_mul_f32_e32 v31, v19, v39
	v_fma_f32 v31, v18, v38, -v31
	v_mul_f32_e32 v18, v18, v39
	v_fmac_f32_e32 v18, v19, v38
	v_add_f32_e32 v40, v16, v18
	v_mul_f32_e32 v16, v23, v37
	v_add_f32_e32 v31, v17, v31
	v_fma_f32 v16, v22, v36, -v16
	v_mul_f32_e32 v17, v22, v37
	v_fmac_f32_e32 v17, v23, v36
	v_add_f32_e32 v28, v28, v16
	v_mul_f32_e32 v16, v23, v39
	v_add_f32_e32 v29, v29, v17
	v_fma_f32 v36, v22, v38, -v16
	ds_read2_b64 v[16:19], v14 offset0:192 offset1:208
	v_mul_f32_e32 v22, v22, v39
	v_fmac_f32_e32 v22, v23, v38
	v_add_f32_e32 v20, v20, v22
	v_add_f32_e32 v21, v21, v36
	s_waitcnt lgkmcnt(0)
	v_mul_f32_e32 v22, v25, v17
	v_mul_f32_e32 v23, v24, v17
	v_fma_f32 v22, v24, v16, -v22
	v_fmac_f32_e32 v23, v25, v16
	v_add_f32_e32 v7, v7, v22
	v_add_f32_e32 v22, v30, v23
	v_mul_f32_e32 v23, v25, v19
	v_fma_f32 v23, v24, v18, -v23
	v_mul_f32_e32 v24, v24, v19
	v_fmac_f32_e32 v24, v25, v18
	v_mul_f32_e32 v25, v33, v17
	v_mul_f32_e32 v17, v32, v17
	v_fma_f32 v25, v32, v16, -v25
	v_fmac_f32_e32 v17, v33, v16
	v_add_f32_e32 v23, v31, v23
	v_add_f32_e32 v16, v28, v25
	;; [unrolled: 1-line block ×3, first 2 shown]
	ds_read2_b64 v[28:31], v14 offset0:224 offset1:240
	v_mul_f32_e32 v25, v33, v19
	v_mul_f32_e32 v19, v32, v19
	v_fmac_f32_e32 v19, v33, v18
	v_add_f32_e32 v19, v20, v19
	s_waitcnt lgkmcnt(0)
	v_mul_f32_e32 v20, v27, v29
	v_fma_f32 v25, v32, v18, -v25
	v_fma_f32 v20, v26, v28, -v20
	v_add_f32_e32 v18, v21, v25
	v_mul_f32_e32 v21, v26, v29
	v_add_f32_e32 v20, v7, v20
	v_mul_f32_e32 v7, v27, v31
	v_mul_f32_e32 v25, v26, v31
	v_add_f32_e32 v24, v40, v24
	v_fmac_f32_e32 v21, v27, v28
	v_fma_f32 v7, v26, v30, -v7
	v_fmac_f32_e32 v25, v27, v30
	v_add_f32_e32 v21, v22, v21
	v_add_f32_e32 v22, v23, v7
	;; [unrolled: 1-line block ×3, first 2 shown]
	v_mul_f32_e32 v7, v35, v29
	v_mul_f32_e32 v24, v34, v29
	v_fma_f32 v7, v34, v28, -v7
	v_fmac_f32_e32 v24, v35, v28
	s_addc_u32 s3, s3, 0
	v_addc_co_u32_e32 v3, vcc, 0, v3, vcc
	v_add_f32_e32 v16, v16, v7
	v_add_f32_e32 v17, v17, v24
	v_mul_f32_e32 v7, v35, v31
	v_mul_f32_e32 v24, v34, v31
	v_cmp_ge_i64_e32 vcc, s[2:3], v[8:9]
	v_fma_f32 v7, v34, v30, -v7
	v_fmac_f32_e32 v24, v35, v30
	v_add_co_u32_e64 v4, s[0:1], 64, v4
	v_add_f32_e32 v18, v18, v7
	v_add_f32_e32 v19, v19, v24
	v_addc_co_u32_e64 v5, s[0:1], 0, v5, s[0:1]
	s_barrier
	s_cbranch_vccnz .LBB1294_12
.LBB1294_3:                             ; =>This Inner Loop Header: Depth=1
	v_mov_b32_e32 v7, s3
	v_add_co_u32_e32 v24, vcc, s2, v10
	v_addc_co_u32_e32 v25, vcc, 0, v7, vcc
	v_cmp_le_i64_e32 vcc, s[12:13], v[24:25]
	s_or_b64 s[0:1], s[6:7], vcc
	s_and_saveexec_b64 s[16:17], s[0:1]
	s_xor_b64 s[0:1], exec, s[16:17]
; %bb.4:                                ;   in Loop: Header=BB1294_3 Depth=1
	v_mov_b32_e32 v7, v6
	ds_write_b64 v12, v[6:7]
; %bb.5:                                ;   in Loop: Header=BB1294_3 Depth=1
	s_andn2_saveexec_b64 s[0:1], s[0:1]
	s_cbranch_execz .LBB1294_7
; %bb.6:                                ;   in Loop: Header=BB1294_3 Depth=1
	global_load_dwordx2 v[24:25], v[2:3], off
	s_waitcnt vmcnt(0)
	ds_write_b64 v12, v[24:25]
.LBB1294_7:                             ;   in Loop: Header=BB1294_3 Depth=1
	s_or_b64 exec, exec, s[0:1]
	v_mov_b32_e32 v7, s3
	v_add_co_u32_e32 v24, vcc, s2, v11
	v_addc_co_u32_e32 v25, vcc, 0, v7, vcc
	v_cmp_le_i64_e32 vcc, s[12:13], v[24:25]
	s_or_b64 s[0:1], vcc, s[10:11]
	s_and_saveexec_b64 s[16:17], s[0:1]
	s_xor_b64 s[0:1], exec, s[16:17]
; %bb.8:                                ;   in Loop: Header=BB1294_3 Depth=1
	v_mov_b32_e32 v7, v6
	ds_write_b64 v13, v[6:7]
; %bb.9:                                ;   in Loop: Header=BB1294_3 Depth=1
	s_andn2_saveexec_b64 s[0:1], s[0:1]
	s_cbranch_execz .LBB1294_2
; %bb.10:                               ;   in Loop: Header=BB1294_3 Depth=1
	global_load_dwordx2 v[24:25], v[4:5], off
	s_waitcnt vmcnt(0)
	ds_write_b64 v13, v[24:25]
	s_branch .LBB1294_2
.LBB1294_11:
	v_mov_b32_e32 v20, 0
	v_mov_b32_e32 v21, 0
	;; [unrolled: 1-line block ×8, first 2 shown]
.LBB1294_12:
	s_load_dwordx2 s[0:1], s[4:5], 0x60
	s_load_dwordx4 s[16:19], s[4:5], 0x50
	v_add_u32_e32 v5, s29, v1
	v_ashrrev_i32_e32 v1, 31, v5
	v_add_u32_e32 v0, s28, v0
	s_waitcnt lgkmcnt(0)
	s_mul_i32 s1, s1, s8
	s_mul_hi_u32 s2, s0, s8
	s_add_i32 s1, s2, s1
	v_mul_lo_u32 v3, s18, v1
	v_mul_lo_u32 v4, s19, v5
	v_mad_u64_u32 v[1:2], s[2:3], s18, v5, 0
	s_mul_i32 s0, s0, s8
	s_lshl_b64 s[0:1], s[0:1], 3
	v_add3_u32 v2, v2, v3, v4
	s_add_u32 s6, s16, s0
	v_lshlrev_b64 v[1:2], 3, v[1:2]
	s_addc_u32 s7, s17, s1
	v_mov_b32_e32 v3, s7
	v_add_co_u32_e32 v4, vcc, s6, v1
	v_addc_co_u32_e32 v6, vcc, v3, v2, vcc
	v_cmp_le_i32_e64 s[0:1], v5, v0
	v_cmp_gt_i32_e32 vcc, s9, v0
	s_and_b64 s[0:1], s[0:1], vcc
	s_and_saveexec_b64 s[2:3], s[0:1]
	s_cbranch_execz .LBB1294_15
; %bb.13:
	v_mul_f32_e32 v1, s15, v21
	v_fma_f32 v7, v20, s14, -v1
	v_ashrrev_i32_e32 v1, 31, v0
	v_lshlrev_b64 v[1:2], 3, v[0:1]
	v_mul_f32_e32 v8, s14, v21
	v_add_co_u32_e64 v1, s[0:1], v4, v1
	v_addc_co_u32_e64 v2, s[0:1], v6, v2, s[0:1]
	v_fmac_f32_e32 v8, s15, v20
	v_cmp_eq_u32_e64 s[0:1], v5, v0
	global_store_dwordx2 v[1:2], v[7:8], off
	s_and_b64 exec, exec, s[0:1]
	s_cbranch_execz .LBB1294_15
; %bb.14:
	v_mov_b32_e32 v3, 0
	global_store_dword v[1:2], v3, off offset:4
.LBB1294_15:
	s_or_b64 exec, exec, s[2:3]
	v_add_u32_e32 v2, 16, v0
	v_cmp_le_i32_e64 s[2:3], v5, v2
	v_cmp_gt_i32_e64 s[0:1], s9, v2
	s_and_b64 s[2:3], s[2:3], s[0:1]
	s_and_saveexec_b64 s[4:5], s[2:3]
	s_cbranch_execz .LBB1294_18
; %bb.16:
	v_ashrrev_i32_e32 v3, 31, v2
	v_lshlrev_b64 v[9:10], 3, v[2:3]
	v_mul_f32_e32 v1, s15, v23
	v_add_co_u32_e64 v3, s[2:3], v4, v9
	v_mul_f32_e32 v8, s14, v23
	v_addc_co_u32_e64 v4, s[2:3], v6, v10, s[2:3]
	v_fma_f32 v7, v22, s14, -v1
	v_fmac_f32_e32 v8, s15, v22
	v_cmp_eq_u32_e64 s[2:3], v5, v2
	global_store_dwordx2 v[3:4], v[7:8], off
	s_and_b64 exec, exec, s[2:3]
	s_cbranch_execz .LBB1294_18
; %bb.17:
	v_mov_b32_e32 v1, 0
	global_store_dword v[3:4], v1, off offset:4
.LBB1294_18:
	s_or_b64 exec, exec, s[4:5]
	v_add_u32_e32 v8, 16, v5
	v_ashrrev_i32_e32 v1, 31, v8
	v_mul_lo_u32 v6, s19, v8
	v_mad_u64_u32 v[3:4], s[2:3], s18, v8, 0
	v_mul_lo_u32 v1, s18, v1
	v_add3_u32 v4, v4, v1, v6
	v_lshlrev_b64 v[3:4], 3, v[3:4]
	v_mov_b32_e32 v1, s7
	v_add_co_u32_e64 v6, s[2:3], s6, v3
	v_addc_co_u32_e64 v7, s[2:3], v1, v4, s[2:3]
	v_cmp_le_i32_e64 s[2:3], v8, v0
	s_and_b64 s[4:5], s[2:3], vcc
	s_and_saveexec_b64 s[2:3], s[4:5]
	s_cbranch_execz .LBB1294_21
; %bb.19:
	v_mul_f32_e32 v1, s15, v17
	v_fma_f32 v9, v16, s14, -v1
	v_ashrrev_i32_e32 v1, 31, v0
	v_lshlrev_b64 v[3:4], 3, v[0:1]
	v_mul_f32_e32 v10, s14, v17
	v_add_co_u32_e32 v3, vcc, v6, v3
	v_addc_co_u32_e32 v4, vcc, v7, v4, vcc
	v_fmac_f32_e32 v10, s15, v16
	v_cmp_eq_u32_e32 vcc, v8, v0
	global_store_dwordx2 v[3:4], v[9:10], off
	s_and_b64 exec, exec, vcc
	s_cbranch_execz .LBB1294_21
; %bb.20:
	v_mov_b32_e32 v1, 0
	global_store_dword v[3:4], v1, off offset:4
.LBB1294_21:
	s_or_b64 exec, exec, s[2:3]
	v_cmp_le_i32_e32 vcc, v8, v2
	s_and_b64 s[0:1], vcc, s[0:1]
	s_and_saveexec_b64 s[2:3], s[0:1]
	s_cbranch_execz .LBB1294_24
; %bb.22:
	v_mul_f32_e32 v1, s15, v19
	v_ashrrev_i32_e32 v3, 31, v2
	v_fma_f32 v8, v18, s14, -v1
	v_lshlrev_b64 v[1:2], 3, v[2:3]
	v_mul_f32_e32 v9, s14, v19
	v_add_co_u32_e32 v1, vcc, v6, v1
	v_addc_co_u32_e32 v2, vcc, v7, v2, vcc
	v_fmac_f32_e32 v9, s15, v18
	v_cmp_eq_u32_e32 vcc, v5, v0
	global_store_dwordx2 v[1:2], v[8:9], off
	s_and_b64 exec, exec, vcc
	s_cbranch_execz .LBB1294_24
; %bb.23:
	v_mov_b32_e32 v0, 0
	global_store_dword v[1:2], v0, off offset:4
.LBB1294_24:
	s_endpgm
	.section	.rodata,"a",@progbits
	.p2align	6, 0x0
	.amdhsa_kernel _ZL34rocblas_syrkx_herkx_general_kernelIl19rocblas_complex_numIfELi16ELi32ELi8ELb1ELb1ELc84ELc76EKS1_S1_EviT_T0_PT8_S3_lS6_S3_lS4_PT9_S3_li
		.amdhsa_group_segment_fixed_size 4096
		.amdhsa_private_segment_fixed_size 0
		.amdhsa_kernarg_size 108
		.amdhsa_user_sgpr_count 6
		.amdhsa_user_sgpr_private_segment_buffer 1
		.amdhsa_user_sgpr_dispatch_ptr 0
		.amdhsa_user_sgpr_queue_ptr 0
		.amdhsa_user_sgpr_kernarg_segment_ptr 1
		.amdhsa_user_sgpr_dispatch_id 0
		.amdhsa_user_sgpr_flat_scratch_init 0
		.amdhsa_user_sgpr_private_segment_size 0
		.amdhsa_uses_dynamic_stack 0
		.amdhsa_system_sgpr_private_segment_wavefront_offset 0
		.amdhsa_system_sgpr_workgroup_id_x 1
		.amdhsa_system_sgpr_workgroup_id_y 1
		.amdhsa_system_sgpr_workgroup_id_z 1
		.amdhsa_system_sgpr_workgroup_info 0
		.amdhsa_system_vgpr_workitem_id 1
		.amdhsa_next_free_vgpr 50
		.amdhsa_next_free_sgpr 30
		.amdhsa_reserve_vcc 1
		.amdhsa_reserve_flat_scratch 0
		.amdhsa_float_round_mode_32 0
		.amdhsa_float_round_mode_16_64 0
		.amdhsa_float_denorm_mode_32 3
		.amdhsa_float_denorm_mode_16_64 3
		.amdhsa_dx10_clamp 1
		.amdhsa_ieee_mode 1
		.amdhsa_fp16_overflow 0
		.amdhsa_exception_fp_ieee_invalid_op 0
		.amdhsa_exception_fp_denorm_src 0
		.amdhsa_exception_fp_ieee_div_zero 0
		.amdhsa_exception_fp_ieee_overflow 0
		.amdhsa_exception_fp_ieee_underflow 0
		.amdhsa_exception_fp_ieee_inexact 0
		.amdhsa_exception_int_div_zero 0
	.end_amdhsa_kernel
	.section	.text._ZL34rocblas_syrkx_herkx_general_kernelIl19rocblas_complex_numIfELi16ELi32ELi8ELb1ELb1ELc84ELc76EKS1_S1_EviT_T0_PT8_S3_lS6_S3_lS4_PT9_S3_li,"axG",@progbits,_ZL34rocblas_syrkx_herkx_general_kernelIl19rocblas_complex_numIfELi16ELi32ELi8ELb1ELb1ELc84ELc76EKS1_S1_EviT_T0_PT8_S3_lS6_S3_lS4_PT9_S3_li,comdat
.Lfunc_end1294:
	.size	_ZL34rocblas_syrkx_herkx_general_kernelIl19rocblas_complex_numIfELi16ELi32ELi8ELb1ELb1ELc84ELc76EKS1_S1_EviT_T0_PT8_S3_lS6_S3_lS4_PT9_S3_li, .Lfunc_end1294-_ZL34rocblas_syrkx_herkx_general_kernelIl19rocblas_complex_numIfELi16ELi32ELi8ELb1ELb1ELc84ELc76EKS1_S1_EviT_T0_PT8_S3_lS6_S3_lS4_PT9_S3_li
                                        ; -- End function
	.set _ZL34rocblas_syrkx_herkx_general_kernelIl19rocblas_complex_numIfELi16ELi32ELi8ELb1ELb1ELc84ELc76EKS1_S1_EviT_T0_PT8_S3_lS6_S3_lS4_PT9_S3_li.num_vgpr, 50
	.set _ZL34rocblas_syrkx_herkx_general_kernelIl19rocblas_complex_numIfELi16ELi32ELi8ELb1ELb1ELc84ELc76EKS1_S1_EviT_T0_PT8_S3_lS6_S3_lS4_PT9_S3_li.num_agpr, 0
	.set _ZL34rocblas_syrkx_herkx_general_kernelIl19rocblas_complex_numIfELi16ELi32ELi8ELb1ELb1ELc84ELc76EKS1_S1_EviT_T0_PT8_S3_lS6_S3_lS4_PT9_S3_li.numbered_sgpr, 30
	.set _ZL34rocblas_syrkx_herkx_general_kernelIl19rocblas_complex_numIfELi16ELi32ELi8ELb1ELb1ELc84ELc76EKS1_S1_EviT_T0_PT8_S3_lS6_S3_lS4_PT9_S3_li.num_named_barrier, 0
	.set _ZL34rocblas_syrkx_herkx_general_kernelIl19rocblas_complex_numIfELi16ELi32ELi8ELb1ELb1ELc84ELc76EKS1_S1_EviT_T0_PT8_S3_lS6_S3_lS4_PT9_S3_li.private_seg_size, 0
	.set _ZL34rocblas_syrkx_herkx_general_kernelIl19rocblas_complex_numIfELi16ELi32ELi8ELb1ELb1ELc84ELc76EKS1_S1_EviT_T0_PT8_S3_lS6_S3_lS4_PT9_S3_li.uses_vcc, 1
	.set _ZL34rocblas_syrkx_herkx_general_kernelIl19rocblas_complex_numIfELi16ELi32ELi8ELb1ELb1ELc84ELc76EKS1_S1_EviT_T0_PT8_S3_lS6_S3_lS4_PT9_S3_li.uses_flat_scratch, 0
	.set _ZL34rocblas_syrkx_herkx_general_kernelIl19rocblas_complex_numIfELi16ELi32ELi8ELb1ELb1ELc84ELc76EKS1_S1_EviT_T0_PT8_S3_lS6_S3_lS4_PT9_S3_li.has_dyn_sized_stack, 0
	.set _ZL34rocblas_syrkx_herkx_general_kernelIl19rocblas_complex_numIfELi16ELi32ELi8ELb1ELb1ELc84ELc76EKS1_S1_EviT_T0_PT8_S3_lS6_S3_lS4_PT9_S3_li.has_recursion, 0
	.set _ZL34rocblas_syrkx_herkx_general_kernelIl19rocblas_complex_numIfELi16ELi32ELi8ELb1ELb1ELc84ELc76EKS1_S1_EviT_T0_PT8_S3_lS6_S3_lS4_PT9_S3_li.has_indirect_call, 0
	.section	.AMDGPU.csdata,"",@progbits
; Kernel info:
; codeLenInByte = 2344
; TotalNumSgprs: 34
; NumVgprs: 50
; ScratchSize: 0
; MemoryBound: 1
; FloatMode: 240
; IeeeMode: 1
; LDSByteSize: 4096 bytes/workgroup (compile time only)
; SGPRBlocks: 4
; VGPRBlocks: 12
; NumSGPRsForWavesPerEU: 34
; NumVGPRsForWavesPerEU: 50
; Occupancy: 4
; WaveLimiterHint : 0
; COMPUTE_PGM_RSRC2:SCRATCH_EN: 0
; COMPUTE_PGM_RSRC2:USER_SGPR: 6
; COMPUTE_PGM_RSRC2:TRAP_HANDLER: 0
; COMPUTE_PGM_RSRC2:TGID_X_EN: 1
; COMPUTE_PGM_RSRC2:TGID_Y_EN: 1
; COMPUTE_PGM_RSRC2:TGID_Z_EN: 1
; COMPUTE_PGM_RSRC2:TIDIG_COMP_CNT: 1
	.section	.text._ZL34rocblas_syrkx_herkx_general_kernelIl19rocblas_complex_numIfELi16ELi32ELi8ELb1ELb1ELc67ELc76EKS1_S1_EviT_T0_PT8_S3_lS6_S3_lS4_PT9_S3_li,"axG",@progbits,_ZL34rocblas_syrkx_herkx_general_kernelIl19rocblas_complex_numIfELi16ELi32ELi8ELb1ELb1ELc67ELc76EKS1_S1_EviT_T0_PT8_S3_lS6_S3_lS4_PT9_S3_li,comdat
	.globl	_ZL34rocblas_syrkx_herkx_general_kernelIl19rocblas_complex_numIfELi16ELi32ELi8ELb1ELb1ELc67ELc76EKS1_S1_EviT_T0_PT8_S3_lS6_S3_lS4_PT9_S3_li ; -- Begin function _ZL34rocblas_syrkx_herkx_general_kernelIl19rocblas_complex_numIfELi16ELi32ELi8ELb1ELb1ELc67ELc76EKS1_S1_EviT_T0_PT8_S3_lS6_S3_lS4_PT9_S3_li
	.p2align	8
	.type	_ZL34rocblas_syrkx_herkx_general_kernelIl19rocblas_complex_numIfELi16ELi32ELi8ELb1ELb1ELc67ELc76EKS1_S1_EviT_T0_PT8_S3_lS6_S3_lS4_PT9_S3_li,@function
_ZL34rocblas_syrkx_herkx_general_kernelIl19rocblas_complex_numIfELi16ELi32ELi8ELb1ELb1ELc67ELc76EKS1_S1_EviT_T0_PT8_S3_lS6_S3_lS4_PT9_S3_li: ; @_ZL34rocblas_syrkx_herkx_general_kernelIl19rocblas_complex_numIfELi16ELi32ELi8ELb1ELb1ELc67ELc76EKS1_S1_EviT_T0_PT8_S3_lS6_S3_lS4_PT9_S3_li
; %bb.0:
	s_load_dwordx16 s[12:27], s[4:5], 0x8
	s_load_dword s9, s[4:5], 0x0
	s_lshl_b32 s28, s6, 5
	s_lshl_b32 s29, s7, 5
	s_waitcnt lgkmcnt(0)
	v_cmp_lt_i64_e64 s[0:1], s[12:13], 1
	s_and_b64 vcc, exec, s[0:1]
	s_cbranch_vccnz .LBB1295_11
; %bb.1:
	v_lshl_add_u32 v2, v1, 4, v0
	v_and_b32_e32 v5, 31, v2
	v_or_b32_e32 v6, s28, v5
	v_and_b32_e32 v11, 7, v0
	v_lshrrev_b32_e32 v3, 3, v2
	v_lshrrev_b32_e32 v10, 5, v2
	v_cmp_gt_i32_e32 vcc, s9, v6
	v_lshlrev_b32_e32 v2, 3, v5
	v_lshlrev_b32_e32 v6, 3, v11
	v_lshl_or_b32 v12, v10, 8, v2
	v_lshl_or_b32 v2, v3, 6, v6
	v_add_u32_e32 v13, 0x800, v2
	v_add_u32_e32 v2, s28, v5
	;; [unrolled: 1-line block ×3, first 2 shown]
	v_ashrrev_i32_e32 v3, 31, v2
	v_mul_lo_u32 v5, s18, v3
	v_mul_lo_u32 v8, s19, v2
	v_mad_u64_u32 v[2:3], s[2:3], s18, v2, 0
	s_mul_i32 s2, s21, s8
	s_mul_hi_u32 s3, s20, s8
	v_add3_u32 v3, v3, v5, v8
	v_lshlrev_b64 v[2:3], 3, v[2:3]
	s_add_i32 s3, s3, s2
	s_mul_i32 s2, s20, s8
	s_lshl_b64 s[2:3], s[2:3], 3
	v_mov_b32_e32 v5, s3
	v_add_co_u32_e64 v2, s[2:3], s2, v2
	v_addc_co_u32_e64 v3, s[2:3], v3, v5, s[2:3]
	v_lshlrev_b32_e32 v5, 3, v10
	v_add_co_u32_e64 v2, s[2:3], v2, v5
	v_addc_co_u32_e64 v3, s[2:3], 0, v3, s[2:3]
	v_ashrrev_i32_e32 v7, 31, v4
	v_mov_b32_e32 v5, s17
	v_add_co_u32_e64 v2, s[2:3], s16, v2
	v_cmp_gt_i32_e64 s[0:1], s9, v4
	v_addc_co_u32_e64 v3, s[2:3], v5, v3, s[2:3]
	v_mul_lo_u32 v7, s24, v7
	v_mul_lo_u32 v8, s25, v4
	v_mad_u64_u32 v[4:5], s[2:3], s24, v4, 0
	v_add_co_u32_e64 v2, s[2:3], 4, v2
	v_addc_co_u32_e64 v3, s[2:3], 0, v3, s[2:3]
	v_add3_u32 v5, v5, v7, v8
	s_mul_i32 s2, s27, s8
	s_mul_hi_u32 s3, s26, s8
	v_lshlrev_b64 v[4:5], 3, v[4:5]
	s_add_i32 s3, s3, s2
	s_mul_i32 s2, s26, s8
	s_lshl_b64 s[2:3], s[2:3], 3
	v_mov_b32_e32 v7, s3
	v_add_co_u32_e64 v4, s[2:3], s2, v4
	v_addc_co_u32_e64 v5, s[2:3], v5, v7, s[2:3]
	v_add_co_u32_e64 v4, s[2:3], v4, v6
	v_addc_co_u32_e64 v5, s[2:3], 0, v5, s[2:3]
	v_mov_b32_e32 v9, 0x800
	v_mov_b32_e32 v6, s23
	v_add_co_u32_e64 v4, s[2:3], s22, v4
	v_lshl_add_u32 v15, v1, 6, v9
	v_addc_co_u32_e64 v5, s[2:3], v6, v5, s[2:3]
	v_mov_b32_e32 v8, s12
	v_lshlrev_b32_e32 v14, 3, v0
	s_mov_b64 s[2:3], 0
	s_xor_b64 s[6:7], vcc, -1
	s_xor_b64 s[10:11], s[0:1], -1
	v_mov_b32_e32 v19, 0
	v_mov_b32_e32 v18, 0
	;; [unrolled: 1-line block ×10, first 2 shown]
	s_branch .LBB1295_3
.LBB1295_2:                             ;   in Loop: Header=BB1295_3 Depth=1
	s_or_b64 exec, exec, s[0:1]
	s_waitcnt lgkmcnt(0)
	s_barrier
	ds_read2_b64 v[24:27], v14 offset1:16
	ds_read_b128 v[28:31], v15
	ds_read_b128 v[32:35], v15 offset:16
	s_add_u32 s2, s2, 8
	v_add_co_u32_e32 v2, vcc, 64, v2
	s_waitcnt lgkmcnt(1)
	v_mul_f32_e32 v36, v28, v25
	v_fmac_f32_e32 v36, v29, v24
	v_add_f32_e32 v44, v21, v36
	ds_read_b128 v[36:39], v15 offset:1024
	v_mul_f32_e32 v7, v29, v25
	v_fma_f32 v7, v28, v24, -v7
	v_add_f32_e32 v7, v20, v7
	v_mul_f32_e32 v20, v29, v27
	v_mul_f32_e32 v21, v28, v27
	v_fma_f32 v20, v28, v26, -v20
	v_fmac_f32_e32 v21, v29, v26
	v_add_f32_e32 v28, v22, v20
	v_add_f32_e32 v29, v23, v21
	ds_read_b128 v[20:23], v15 offset:1040
	s_waitcnt lgkmcnt(1)
	v_mul_f32_e32 v40, v37, v25
	v_fma_f32 v40, v36, v24, -v40
	v_add_f32_e32 v45, v16, v40
	ds_read2_b64 v[40:43], v14 offset0:32 offset1:48
	v_mul_f32_e32 v25, v36, v25
	v_mul_f32_e32 v16, v37, v27
	v_fmac_f32_e32 v25, v37, v24
	v_fma_f32 v16, v36, v26, -v16
	v_add_f32_e32 v46, v17, v25
	v_mul_f32_e32 v17, v36, v27
	v_add_f32_e32 v36, v18, v16
	s_waitcnt lgkmcnt(0)
	v_mul_f32_e32 v16, v31, v41
	v_fma_f32 v47, v30, v40, -v16
	v_mul_f32_e32 v16, v31, v43
	v_fma_f32 v49, v30, v42, -v16
	v_mul_f32_e32 v48, v30, v41
	v_mul_f32_e32 v30, v30, v43
	v_add_f32_e32 v7, v7, v47
	v_add_f32_e32 v47, v28, v49
	v_mul_f32_e32 v28, v39, v41
	v_fmac_f32_e32 v17, v37, v26
	v_fmac_f32_e32 v48, v31, v40
	;; [unrolled: 1-line block ×3, first 2 shown]
	v_fma_f32 v49, v38, v40, -v28
	v_mul_f32_e32 v41, v38, v41
	v_mul_f32_e32 v28, v39, v43
	v_add_f32_e32 v37, v19, v17
	ds_read_b128 v[16:19], v15 offset:32
	ds_read_b128 v[24:27], v15 offset:48
	v_add_f32_e32 v44, v44, v48
	v_add_f32_e32 v48, v29, v30
	v_fmac_f32_e32 v41, v39, v40
	v_fma_f32 v40, v38, v42, -v28
	ds_read2_b64 v[28:31], v14 offset0:64 offset1:80
	v_add_f32_e32 v40, v36, v40
	v_mul_f32_e32 v38, v38, v43
	v_fmac_f32_e32 v38, v39, v42
	v_add_f32_e32 v42, v37, v38
	s_waitcnt lgkmcnt(0)
	v_mul_f32_e32 v36, v33, v29
	v_fma_f32 v36, v32, v28, -v36
	v_add_f32_e32 v7, v7, v36
	v_mul_f32_e32 v36, v33, v31
	v_mul_f32_e32 v37, v32, v29
	v_fma_f32 v36, v32, v30, -v36
	v_mul_f32_e32 v32, v32, v31
	v_fmac_f32_e32 v37, v33, v28
	v_fmac_f32_e32 v32, v33, v30
	v_add_f32_e32 v33, v47, v36
	v_mul_f32_e32 v36, v21, v29
	v_add_f32_e32 v39, v45, v49
	v_fma_f32 v36, v20, v28, -v36
	v_mul_f32_e32 v29, v20, v29
	v_add_f32_e32 v41, v46, v41
	v_fmac_f32_e32 v29, v21, v28
	v_add_f32_e32 v28, v39, v36
	v_mul_f32_e32 v36, v21, v31
	v_add_f32_e32 v43, v44, v37
	v_add_f32_e32 v29, v41, v29
	v_fma_f32 v41, v20, v30, -v36
	ds_read2_b64 v[36:39], v14 offset0:96 offset1:112
	v_mul_f32_e32 v20, v20, v31
	v_fmac_f32_e32 v20, v21, v30
	v_add_f32_e32 v21, v40, v41
	v_add_f32_e32 v32, v48, v32
	s_waitcnt lgkmcnt(0)
	v_mul_f32_e32 v30, v35, v37
	v_fma_f32 v30, v34, v36, -v30
	v_mul_f32_e32 v31, v34, v37
	v_fmac_f32_e32 v31, v35, v36
	v_add_f32_e32 v7, v7, v30
	v_mul_f32_e32 v30, v35, v39
	v_add_f32_e32 v40, v43, v31
	v_fma_f32 v30, v34, v38, -v30
	v_mul_f32_e32 v31, v34, v39
	v_fmac_f32_e32 v31, v35, v38
	v_add_f32_e32 v33, v33, v30
	v_mul_f32_e32 v30, v23, v37
	v_add_f32_e32 v32, v32, v31
	;; [unrolled: 6-line block ×3, first 2 shown]
	v_fma_f32 v34, v22, v38, -v28
	ds_read2_b64 v[28:31], v14 offset0:128 offset1:144
	v_mul_f32_e32 v22, v22, v39
	v_add_f32_e32 v20, v42, v20
	v_fmac_f32_e32 v22, v23, v38
	v_add_f32_e32 v42, v20, v22
	s_waitcnt lgkmcnt(0)
	v_mul_f32_e32 v20, v17, v29
	v_add_f32_e32 v41, v21, v34
	v_fma_f32 v20, v16, v28, -v20
	v_mul_f32_e32 v21, v16, v29
	v_fmac_f32_e32 v21, v17, v28
	v_add_f32_e32 v7, v7, v20
	v_mul_f32_e32 v20, v17, v31
	v_add_f32_e32 v40, v40, v21
	v_fma_f32 v34, v16, v30, -v20
	ds_read_b128 v[20:23], v15 offset:1056
	v_mul_f32_e32 v16, v16, v31
	v_fmac_f32_e32 v16, v17, v30
	v_add_f32_e32 v17, v33, v34
	v_add_f32_e32 v16, v32, v16
	ds_read_b128 v[32:35], v15 offset:1072
	s_waitcnt lgkmcnt(1)
	v_mul_f32_e32 v38, v21, v29
	v_fma_f32 v38, v20, v28, -v38
	v_mul_f32_e32 v29, v20, v29
	v_fmac_f32_e32 v29, v21, v28
	v_add_f32_e32 v28, v36, v38
	v_mul_f32_e32 v36, v21, v31
	v_add_f32_e32 v29, v37, v29
	v_fma_f32 v43, v20, v30, -v36
	ds_read2_b64 v[36:39], v14 offset0:160 offset1:176
	v_mul_f32_e32 v20, v20, v31
	v_fmac_f32_e32 v20, v21, v30
	v_add_f32_e32 v20, v42, v20
	v_add_f32_e32 v21, v41, v43
	s_waitcnt lgkmcnt(0)
	v_mul_f32_e32 v30, v19, v37
	v_mul_f32_e32 v31, v18, v37
	v_fma_f32 v30, v18, v36, -v30
	v_fmac_f32_e32 v31, v19, v36
	v_add_f32_e32 v7, v7, v30
	v_add_f32_e32 v30, v40, v31
	v_mul_f32_e32 v31, v19, v39
	v_fma_f32 v31, v18, v38, -v31
	v_mul_f32_e32 v18, v18, v39
	v_fmac_f32_e32 v18, v19, v38
	v_add_f32_e32 v40, v16, v18
	v_mul_f32_e32 v16, v23, v37
	v_add_f32_e32 v31, v17, v31
	v_fma_f32 v16, v22, v36, -v16
	v_mul_f32_e32 v17, v22, v37
	v_fmac_f32_e32 v17, v23, v36
	v_add_f32_e32 v28, v28, v16
	v_mul_f32_e32 v16, v23, v39
	v_add_f32_e32 v29, v29, v17
	v_fma_f32 v36, v22, v38, -v16
	ds_read2_b64 v[16:19], v14 offset0:192 offset1:208
	v_mul_f32_e32 v22, v22, v39
	v_fmac_f32_e32 v22, v23, v38
	v_add_f32_e32 v20, v20, v22
	v_add_f32_e32 v21, v21, v36
	s_waitcnt lgkmcnt(0)
	v_mul_f32_e32 v22, v25, v17
	v_mul_f32_e32 v23, v24, v17
	v_fma_f32 v22, v24, v16, -v22
	v_fmac_f32_e32 v23, v25, v16
	v_add_f32_e32 v7, v7, v22
	v_add_f32_e32 v22, v30, v23
	v_mul_f32_e32 v23, v25, v19
	v_fma_f32 v23, v24, v18, -v23
	v_mul_f32_e32 v24, v24, v19
	v_fmac_f32_e32 v24, v25, v18
	v_mul_f32_e32 v25, v33, v17
	v_mul_f32_e32 v17, v32, v17
	v_fma_f32 v25, v32, v16, -v25
	v_fmac_f32_e32 v17, v33, v16
	v_add_f32_e32 v23, v31, v23
	v_add_f32_e32 v16, v28, v25
	;; [unrolled: 1-line block ×3, first 2 shown]
	ds_read2_b64 v[28:31], v14 offset0:224 offset1:240
	v_mul_f32_e32 v25, v33, v19
	v_mul_f32_e32 v19, v32, v19
	v_fmac_f32_e32 v19, v33, v18
	v_add_f32_e32 v19, v20, v19
	s_waitcnt lgkmcnt(0)
	v_mul_f32_e32 v20, v27, v29
	v_fma_f32 v25, v32, v18, -v25
	v_fma_f32 v20, v26, v28, -v20
	v_add_f32_e32 v18, v21, v25
	v_mul_f32_e32 v21, v26, v29
	v_add_f32_e32 v20, v7, v20
	v_mul_f32_e32 v7, v27, v31
	v_mul_f32_e32 v25, v26, v31
	v_add_f32_e32 v24, v40, v24
	v_fmac_f32_e32 v21, v27, v28
	v_fma_f32 v7, v26, v30, -v7
	v_fmac_f32_e32 v25, v27, v30
	v_add_f32_e32 v21, v22, v21
	v_add_f32_e32 v22, v23, v7
	;; [unrolled: 1-line block ×3, first 2 shown]
	v_mul_f32_e32 v7, v35, v29
	v_mul_f32_e32 v24, v34, v29
	v_fma_f32 v7, v34, v28, -v7
	v_fmac_f32_e32 v24, v35, v28
	s_addc_u32 s3, s3, 0
	v_addc_co_u32_e32 v3, vcc, 0, v3, vcc
	v_add_f32_e32 v16, v16, v7
	v_add_f32_e32 v17, v17, v24
	v_mul_f32_e32 v7, v35, v31
	v_mul_f32_e32 v24, v34, v31
	v_cmp_ge_i64_e32 vcc, s[2:3], v[8:9]
	v_fma_f32 v7, v34, v30, -v7
	v_fmac_f32_e32 v24, v35, v30
	v_add_co_u32_e64 v4, s[0:1], 64, v4
	v_add_f32_e32 v18, v18, v7
	v_add_f32_e32 v19, v19, v24
	v_addc_co_u32_e64 v5, s[0:1], 0, v5, s[0:1]
	s_barrier
	s_cbranch_vccnz .LBB1295_12
.LBB1295_3:                             ; =>This Inner Loop Header: Depth=1
	v_mov_b32_e32 v7, s3
	v_add_co_u32_e32 v24, vcc, s2, v10
	v_addc_co_u32_e32 v25, vcc, 0, v7, vcc
	v_cmp_le_i64_e32 vcc, s[12:13], v[24:25]
	s_or_b64 s[0:1], s[6:7], vcc
	s_and_saveexec_b64 s[16:17], s[0:1]
	s_xor_b64 s[0:1], exec, s[16:17]
; %bb.4:                                ;   in Loop: Header=BB1295_3 Depth=1
	ds_write_b32 v12, v6
; %bb.5:                                ;   in Loop: Header=BB1295_3 Depth=1
	s_or_saveexec_b64 s[0:1], s[0:1]
	v_mov_b32_e32 v7, 0
	s_xor_b64 exec, exec, s[0:1]
	s_cbranch_execz .LBB1295_7
; %bb.6:                                ;   in Loop: Header=BB1295_3 Depth=1
	global_load_dwordx2 v[24:25], v[2:3], off offset:-4
	s_waitcnt vmcnt(0)
	v_xor_b32_e32 v7, 0x80000000, v25
	ds_write_b32 v12, v24
.LBB1295_7:                             ;   in Loop: Header=BB1295_3 Depth=1
	s_or_b64 exec, exec, s[0:1]
	v_mov_b32_e32 v25, s3
	v_add_co_u32_e32 v24, vcc, s2, v11
	v_addc_co_u32_e32 v25, vcc, 0, v25, vcc
	v_cmp_le_i64_e32 vcc, s[12:13], v[24:25]
	ds_write_b32 v12, v7 offset:4
	s_or_b64 s[0:1], vcc, s[10:11]
	s_and_saveexec_b64 s[16:17], s[0:1]
	s_xor_b64 s[0:1], exec, s[16:17]
; %bb.8:                                ;   in Loop: Header=BB1295_3 Depth=1
	v_mov_b32_e32 v7, v6
	ds_write_b64 v13, v[6:7]
; %bb.9:                                ;   in Loop: Header=BB1295_3 Depth=1
	s_andn2_saveexec_b64 s[0:1], s[0:1]
	s_cbranch_execz .LBB1295_2
; %bb.10:                               ;   in Loop: Header=BB1295_3 Depth=1
	global_load_dwordx2 v[24:25], v[4:5], off
	s_waitcnt vmcnt(0)
	ds_write_b64 v13, v[24:25]
	s_branch .LBB1295_2
.LBB1295_11:
	v_mov_b32_e32 v20, 0
	v_mov_b32_e32 v21, 0
	;; [unrolled: 1-line block ×8, first 2 shown]
.LBB1295_12:
	s_load_dwordx2 s[0:1], s[4:5], 0x60
	s_load_dwordx4 s[16:19], s[4:5], 0x50
	v_add_u32_e32 v5, s29, v1
	v_ashrrev_i32_e32 v1, 31, v5
	v_add_u32_e32 v0, s28, v0
	s_waitcnt lgkmcnt(0)
	s_mul_i32 s1, s1, s8
	s_mul_hi_u32 s2, s0, s8
	s_add_i32 s1, s2, s1
	v_mul_lo_u32 v3, s18, v1
	v_mul_lo_u32 v4, s19, v5
	v_mad_u64_u32 v[1:2], s[2:3], s18, v5, 0
	s_mul_i32 s0, s0, s8
	s_lshl_b64 s[0:1], s[0:1], 3
	v_add3_u32 v2, v2, v3, v4
	s_add_u32 s6, s16, s0
	v_lshlrev_b64 v[1:2], 3, v[1:2]
	s_addc_u32 s7, s17, s1
	v_mov_b32_e32 v3, s7
	v_add_co_u32_e32 v4, vcc, s6, v1
	v_addc_co_u32_e32 v6, vcc, v3, v2, vcc
	v_cmp_le_i32_e64 s[0:1], v5, v0
	v_cmp_gt_i32_e32 vcc, s9, v0
	s_and_b64 s[0:1], s[0:1], vcc
	s_and_saveexec_b64 s[2:3], s[0:1]
	s_cbranch_execz .LBB1295_15
; %bb.13:
	v_mul_f32_e32 v1, s15, v21
	v_fma_f32 v7, v20, s14, -v1
	v_ashrrev_i32_e32 v1, 31, v0
	v_lshlrev_b64 v[1:2], 3, v[0:1]
	v_mul_f32_e32 v8, s14, v21
	v_add_co_u32_e64 v1, s[0:1], v4, v1
	v_addc_co_u32_e64 v2, s[0:1], v6, v2, s[0:1]
	v_fmac_f32_e32 v8, s15, v20
	v_cmp_eq_u32_e64 s[0:1], v5, v0
	global_store_dwordx2 v[1:2], v[7:8], off
	s_and_b64 exec, exec, s[0:1]
	s_cbranch_execz .LBB1295_15
; %bb.14:
	v_mov_b32_e32 v3, 0
	global_store_dword v[1:2], v3, off offset:4
.LBB1295_15:
	s_or_b64 exec, exec, s[2:3]
	v_add_u32_e32 v2, 16, v0
	v_cmp_le_i32_e64 s[2:3], v5, v2
	v_cmp_gt_i32_e64 s[0:1], s9, v2
	s_and_b64 s[2:3], s[2:3], s[0:1]
	s_and_saveexec_b64 s[4:5], s[2:3]
	s_cbranch_execz .LBB1295_18
; %bb.16:
	v_ashrrev_i32_e32 v3, 31, v2
	v_lshlrev_b64 v[9:10], 3, v[2:3]
	v_mul_f32_e32 v1, s15, v23
	v_add_co_u32_e64 v3, s[2:3], v4, v9
	v_mul_f32_e32 v8, s14, v23
	v_addc_co_u32_e64 v4, s[2:3], v6, v10, s[2:3]
	v_fma_f32 v7, v22, s14, -v1
	v_fmac_f32_e32 v8, s15, v22
	v_cmp_eq_u32_e64 s[2:3], v5, v2
	global_store_dwordx2 v[3:4], v[7:8], off
	s_and_b64 exec, exec, s[2:3]
	s_cbranch_execz .LBB1295_18
; %bb.17:
	v_mov_b32_e32 v1, 0
	global_store_dword v[3:4], v1, off offset:4
.LBB1295_18:
	s_or_b64 exec, exec, s[4:5]
	v_add_u32_e32 v8, 16, v5
	v_ashrrev_i32_e32 v1, 31, v8
	v_mul_lo_u32 v6, s19, v8
	v_mad_u64_u32 v[3:4], s[2:3], s18, v8, 0
	v_mul_lo_u32 v1, s18, v1
	v_add3_u32 v4, v4, v1, v6
	v_lshlrev_b64 v[3:4], 3, v[3:4]
	v_mov_b32_e32 v1, s7
	v_add_co_u32_e64 v6, s[2:3], s6, v3
	v_addc_co_u32_e64 v7, s[2:3], v1, v4, s[2:3]
	v_cmp_le_i32_e64 s[2:3], v8, v0
	s_and_b64 s[4:5], s[2:3], vcc
	s_and_saveexec_b64 s[2:3], s[4:5]
	s_cbranch_execz .LBB1295_21
; %bb.19:
	v_mul_f32_e32 v1, s15, v17
	v_fma_f32 v9, v16, s14, -v1
	v_ashrrev_i32_e32 v1, 31, v0
	v_lshlrev_b64 v[3:4], 3, v[0:1]
	v_mul_f32_e32 v10, s14, v17
	v_add_co_u32_e32 v3, vcc, v6, v3
	v_addc_co_u32_e32 v4, vcc, v7, v4, vcc
	v_fmac_f32_e32 v10, s15, v16
	v_cmp_eq_u32_e32 vcc, v8, v0
	global_store_dwordx2 v[3:4], v[9:10], off
	s_and_b64 exec, exec, vcc
	s_cbranch_execz .LBB1295_21
; %bb.20:
	v_mov_b32_e32 v1, 0
	global_store_dword v[3:4], v1, off offset:4
.LBB1295_21:
	s_or_b64 exec, exec, s[2:3]
	v_cmp_le_i32_e32 vcc, v8, v2
	s_and_b64 s[0:1], vcc, s[0:1]
	s_and_saveexec_b64 s[2:3], s[0:1]
	s_cbranch_execz .LBB1295_24
; %bb.22:
	v_mul_f32_e32 v1, s15, v19
	v_ashrrev_i32_e32 v3, 31, v2
	v_fma_f32 v8, v18, s14, -v1
	v_lshlrev_b64 v[1:2], 3, v[2:3]
	v_mul_f32_e32 v9, s14, v19
	v_add_co_u32_e32 v1, vcc, v6, v1
	v_addc_co_u32_e32 v2, vcc, v7, v2, vcc
	v_fmac_f32_e32 v9, s15, v18
	v_cmp_eq_u32_e32 vcc, v5, v0
	global_store_dwordx2 v[1:2], v[8:9], off
	s_and_b64 exec, exec, vcc
	s_cbranch_execz .LBB1295_24
; %bb.23:
	v_mov_b32_e32 v0, 0
	global_store_dword v[1:2], v0, off offset:4
.LBB1295_24:
	s_endpgm
	.section	.rodata,"a",@progbits
	.p2align	6, 0x0
	.amdhsa_kernel _ZL34rocblas_syrkx_herkx_general_kernelIl19rocblas_complex_numIfELi16ELi32ELi8ELb1ELb1ELc67ELc76EKS1_S1_EviT_T0_PT8_S3_lS6_S3_lS4_PT9_S3_li
		.amdhsa_group_segment_fixed_size 4096
		.amdhsa_private_segment_fixed_size 0
		.amdhsa_kernarg_size 108
		.amdhsa_user_sgpr_count 6
		.amdhsa_user_sgpr_private_segment_buffer 1
		.amdhsa_user_sgpr_dispatch_ptr 0
		.amdhsa_user_sgpr_queue_ptr 0
		.amdhsa_user_sgpr_kernarg_segment_ptr 1
		.amdhsa_user_sgpr_dispatch_id 0
		.amdhsa_user_sgpr_flat_scratch_init 0
		.amdhsa_user_sgpr_private_segment_size 0
		.amdhsa_uses_dynamic_stack 0
		.amdhsa_system_sgpr_private_segment_wavefront_offset 0
		.amdhsa_system_sgpr_workgroup_id_x 1
		.amdhsa_system_sgpr_workgroup_id_y 1
		.amdhsa_system_sgpr_workgroup_id_z 1
		.amdhsa_system_sgpr_workgroup_info 0
		.amdhsa_system_vgpr_workitem_id 1
		.amdhsa_next_free_vgpr 50
		.amdhsa_next_free_sgpr 30
		.amdhsa_reserve_vcc 1
		.amdhsa_reserve_flat_scratch 0
		.amdhsa_float_round_mode_32 0
		.amdhsa_float_round_mode_16_64 0
		.amdhsa_float_denorm_mode_32 3
		.amdhsa_float_denorm_mode_16_64 3
		.amdhsa_dx10_clamp 1
		.amdhsa_ieee_mode 1
		.amdhsa_fp16_overflow 0
		.amdhsa_exception_fp_ieee_invalid_op 0
		.amdhsa_exception_fp_denorm_src 0
		.amdhsa_exception_fp_ieee_div_zero 0
		.amdhsa_exception_fp_ieee_overflow 0
		.amdhsa_exception_fp_ieee_underflow 0
		.amdhsa_exception_fp_ieee_inexact 0
		.amdhsa_exception_int_div_zero 0
	.end_amdhsa_kernel
	.section	.text._ZL34rocblas_syrkx_herkx_general_kernelIl19rocblas_complex_numIfELi16ELi32ELi8ELb1ELb1ELc67ELc76EKS1_S1_EviT_T0_PT8_S3_lS6_S3_lS4_PT9_S3_li,"axG",@progbits,_ZL34rocblas_syrkx_herkx_general_kernelIl19rocblas_complex_numIfELi16ELi32ELi8ELb1ELb1ELc67ELc76EKS1_S1_EviT_T0_PT8_S3_lS6_S3_lS4_PT9_S3_li,comdat
.Lfunc_end1295:
	.size	_ZL34rocblas_syrkx_herkx_general_kernelIl19rocblas_complex_numIfELi16ELi32ELi8ELb1ELb1ELc67ELc76EKS1_S1_EviT_T0_PT8_S3_lS6_S3_lS4_PT9_S3_li, .Lfunc_end1295-_ZL34rocblas_syrkx_herkx_general_kernelIl19rocblas_complex_numIfELi16ELi32ELi8ELb1ELb1ELc67ELc76EKS1_S1_EviT_T0_PT8_S3_lS6_S3_lS4_PT9_S3_li
                                        ; -- End function
	.set _ZL34rocblas_syrkx_herkx_general_kernelIl19rocblas_complex_numIfELi16ELi32ELi8ELb1ELb1ELc67ELc76EKS1_S1_EviT_T0_PT8_S3_lS6_S3_lS4_PT9_S3_li.num_vgpr, 50
	.set _ZL34rocblas_syrkx_herkx_general_kernelIl19rocblas_complex_numIfELi16ELi32ELi8ELb1ELb1ELc67ELc76EKS1_S1_EviT_T0_PT8_S3_lS6_S3_lS4_PT9_S3_li.num_agpr, 0
	.set _ZL34rocblas_syrkx_herkx_general_kernelIl19rocblas_complex_numIfELi16ELi32ELi8ELb1ELb1ELc67ELc76EKS1_S1_EviT_T0_PT8_S3_lS6_S3_lS4_PT9_S3_li.numbered_sgpr, 30
	.set _ZL34rocblas_syrkx_herkx_general_kernelIl19rocblas_complex_numIfELi16ELi32ELi8ELb1ELb1ELc67ELc76EKS1_S1_EviT_T0_PT8_S3_lS6_S3_lS4_PT9_S3_li.num_named_barrier, 0
	.set _ZL34rocblas_syrkx_herkx_general_kernelIl19rocblas_complex_numIfELi16ELi32ELi8ELb1ELb1ELc67ELc76EKS1_S1_EviT_T0_PT8_S3_lS6_S3_lS4_PT9_S3_li.private_seg_size, 0
	.set _ZL34rocblas_syrkx_herkx_general_kernelIl19rocblas_complex_numIfELi16ELi32ELi8ELb1ELb1ELc67ELc76EKS1_S1_EviT_T0_PT8_S3_lS6_S3_lS4_PT9_S3_li.uses_vcc, 1
	.set _ZL34rocblas_syrkx_herkx_general_kernelIl19rocblas_complex_numIfELi16ELi32ELi8ELb1ELb1ELc67ELc76EKS1_S1_EviT_T0_PT8_S3_lS6_S3_lS4_PT9_S3_li.uses_flat_scratch, 0
	.set _ZL34rocblas_syrkx_herkx_general_kernelIl19rocblas_complex_numIfELi16ELi32ELi8ELb1ELb1ELc67ELc76EKS1_S1_EviT_T0_PT8_S3_lS6_S3_lS4_PT9_S3_li.has_dyn_sized_stack, 0
	.set _ZL34rocblas_syrkx_herkx_general_kernelIl19rocblas_complex_numIfELi16ELi32ELi8ELb1ELb1ELc67ELc76EKS1_S1_EviT_T0_PT8_S3_lS6_S3_lS4_PT9_S3_li.has_recursion, 0
	.set _ZL34rocblas_syrkx_herkx_general_kernelIl19rocblas_complex_numIfELi16ELi32ELi8ELb1ELb1ELc67ELc76EKS1_S1_EviT_T0_PT8_S3_lS6_S3_lS4_PT9_S3_li.has_indirect_call, 0
	.section	.AMDGPU.csdata,"",@progbits
; Kernel info:
; codeLenInByte = 2380
; TotalNumSgprs: 34
; NumVgprs: 50
; ScratchSize: 0
; MemoryBound: 1
; FloatMode: 240
; IeeeMode: 1
; LDSByteSize: 4096 bytes/workgroup (compile time only)
; SGPRBlocks: 4
; VGPRBlocks: 12
; NumSGPRsForWavesPerEU: 34
; NumVGPRsForWavesPerEU: 50
; Occupancy: 4
; WaveLimiterHint : 0
; COMPUTE_PGM_RSRC2:SCRATCH_EN: 0
; COMPUTE_PGM_RSRC2:USER_SGPR: 6
; COMPUTE_PGM_RSRC2:TRAP_HANDLER: 0
; COMPUTE_PGM_RSRC2:TGID_X_EN: 1
; COMPUTE_PGM_RSRC2:TGID_Y_EN: 1
; COMPUTE_PGM_RSRC2:TGID_Z_EN: 1
; COMPUTE_PGM_RSRC2:TIDIG_COMP_CNT: 1
	.section	.text._ZL34rocblas_syrkx_herkx_general_kernelIl19rocblas_complex_numIfELi16ELi32ELi8ELb1ELb1ELc78ELc76EKS1_S1_EviT_T0_PT8_S3_lS6_S3_lS4_PT9_S3_li,"axG",@progbits,_ZL34rocblas_syrkx_herkx_general_kernelIl19rocblas_complex_numIfELi16ELi32ELi8ELb1ELb1ELc78ELc76EKS1_S1_EviT_T0_PT8_S3_lS6_S3_lS4_PT9_S3_li,comdat
	.globl	_ZL34rocblas_syrkx_herkx_general_kernelIl19rocblas_complex_numIfELi16ELi32ELi8ELb1ELb1ELc78ELc76EKS1_S1_EviT_T0_PT8_S3_lS6_S3_lS4_PT9_S3_li ; -- Begin function _ZL34rocblas_syrkx_herkx_general_kernelIl19rocblas_complex_numIfELi16ELi32ELi8ELb1ELb1ELc78ELc76EKS1_S1_EviT_T0_PT8_S3_lS6_S3_lS4_PT9_S3_li
	.p2align	8
	.type	_ZL34rocblas_syrkx_herkx_general_kernelIl19rocblas_complex_numIfELi16ELi32ELi8ELb1ELb1ELc78ELc76EKS1_S1_EviT_T0_PT8_S3_lS6_S3_lS4_PT9_S3_li,@function
_ZL34rocblas_syrkx_herkx_general_kernelIl19rocblas_complex_numIfELi16ELi32ELi8ELb1ELb1ELc78ELc76EKS1_S1_EviT_T0_PT8_S3_lS6_S3_lS4_PT9_S3_li: ; @_ZL34rocblas_syrkx_herkx_general_kernelIl19rocblas_complex_numIfELi16ELi32ELi8ELb1ELb1ELc78ELc76EKS1_S1_EviT_T0_PT8_S3_lS6_S3_lS4_PT9_S3_li
; %bb.0:
	s_load_dwordx16 s[12:27], s[4:5], 0x8
	s_load_dword s9, s[4:5], 0x0
	s_lshl_b32 s28, s6, 5
	s_lshl_b32 s29, s7, 5
	s_waitcnt lgkmcnt(0)
	v_cmp_lt_i64_e64 s[0:1], s[12:13], 1
	s_and_b64 vcc, exec, s[0:1]
	s_cbranch_vccnz .LBB1296_11
; %bb.1:
	v_lshl_add_u32 v2, v1, 4, v0
	v_and_b32_e32 v8, 31, v2
	v_lshrrev_b32_e32 v5, 3, v2
	v_or_b32_e32 v3, s28, v8
	v_lshrrev_b32_e32 v10, 5, v2
	v_lshlrev_b32_e32 v2, 3, v8
	v_cmp_gt_i32_e32 vcc, s9, v3
	v_lshl_or_b32 v12, v10, 8, v2
	v_mad_u64_u32 v[2:3], s[2:3], s18, v10, 0
	v_and_b32_e32 v11, 7, v0
	v_add_u32_e32 v4, s29, v5
	v_lshlrev_b32_e32 v6, 3, v11
	v_lshl_or_b32 v5, v5, 6, v6
	v_mad_u64_u32 v[6:7], s[2:3], s19, v10, v[3:4]
	v_mov_b32_e32 v3, 0x800
	v_lshl_add_u32 v15, v1, 6, v3
	v_mov_b32_e32 v3, v6
	s_mul_i32 s2, s21, s8
	s_mul_hi_u32 s3, s20, s8
	v_lshlrev_b64 v[2:3], 3, v[2:3]
	s_add_i32 s3, s3, s2
	s_mul_i32 s2, s20, s8
	s_lshl_b64 s[2:3], s[2:3], 3
	v_mov_b32_e32 v6, s3
	v_add_co_u32_e64 v7, s[2:3], s2, v2
	v_add_u32_e32 v2, s28, v8
	v_addc_co_u32_e64 v6, s[2:3], v3, v6, s[2:3]
	v_ashrrev_i32_e32 v3, 31, v2
	v_lshlrev_b64 v[2:3], 3, v[2:3]
	s_mul_i32 s10, s27, s8
	v_add_co_u32_e64 v2, s[2:3], v7, v2
	v_addc_co_u32_e64 v3, s[2:3], v6, v3, s[2:3]
	v_mov_b32_e32 v6, s17
	v_add_co_u32_e64 v2, s[2:3], s16, v2
	v_addc_co_u32_e64 v3, s[2:3], v6, v3, s[2:3]
	v_mad_u64_u32 v[6:7], s[2:3], s24, v11, 0
	s_mul_hi_u32 s11, s26, s8
	v_add_u32_e32 v13, 0x800, v5
	v_mad_u64_u32 v[7:8], s[2:3], s25, v11, v[7:8]
	s_add_i32 s3, s11, s10
	s_mul_i32 s2, s26, s8
	v_lshlrev_b64 v[6:7], 3, v[6:7]
	v_ashrrev_i32_e32 v5, 31, v4
	s_lshl_b64 s[2:3], s[2:3], 3
	v_cmp_gt_i32_e64 s[0:1], s9, v4
	v_mov_b32_e32 v8, s3
	v_add_co_u32_e64 v6, s[2:3], s2, v6
	v_lshlrev_b64 v[4:5], 3, v[4:5]
	v_addc_co_u32_e64 v7, s[2:3], v8, v7, s[2:3]
	v_add_co_u32_e64 v4, s[2:3], v6, v4
	v_addc_co_u32_e64 v5, s[2:3], v7, v5, s[2:3]
	v_mov_b32_e32 v6, s23
	v_add_co_u32_e64 v4, s[2:3], s22, v4
	v_addc_co_u32_e64 v5, s[2:3], v6, v5, s[2:3]
	v_add_co_u32_e64 v4, s[2:3], 4, v4
	v_addc_co_u32_e64 v5, s[2:3], 0, v5, s[2:3]
	s_lshl_b64 s[6:7], s[18:19], 6
	s_lshl_b64 s[2:3], s[24:25], 6
	v_mov_b32_e32 v8, s12
	v_lshlrev_b32_e32 v14, 3, v0
	s_mov_b64 s[10:11], 0
	s_xor_b64 s[16:17], vcc, -1
	s_xor_b64 s[18:19], s[0:1], -1
	v_mov_b32_e32 v16, s7
	v_mov_b32_e32 v17, s3
	;; [unrolled: 1-line block ×12, first 2 shown]
	s_branch .LBB1296_3
.LBB1296_2:                             ;   in Loop: Header=BB1296_3 Depth=1
	s_or_b64 exec, exec, s[0:1]
	ds_write_b32 v13, v7 offset:4
	s_waitcnt lgkmcnt(0)
	s_barrier
	ds_read2_b64 v[26:29], v14 offset1:16
	ds_read_b128 v[30:33], v15
	ds_read_b128 v[34:37], v15 offset:16
	s_add_u32 s10, s10, 8
	v_add_co_u32_e32 v2, vcc, s6, v2
	s_waitcnt lgkmcnt(1)
	v_mul_f32_e32 v38, v30, v27
	v_fmac_f32_e32 v38, v31, v26
	v_add_f32_e32 v42, v25, v38
	ds_read_b128 v[38:41], v15 offset:1024
	v_mul_f32_e32 v7, v31, v27
	v_fma_f32 v7, v30, v26, -v7
	v_add_f32_e32 v7, v24, v7
	v_mul_f32_e32 v24, v31, v29
	v_mul_f32_e32 v25, v30, v29
	v_fma_f32 v24, v30, v28, -v24
	v_fmac_f32_e32 v25, v31, v28
	v_add_f32_e32 v30, v22, v24
	v_add_f32_e32 v31, v23, v25
	ds_read_b128 v[22:25], v15 offset:1040
	s_waitcnt lgkmcnt(1)
	v_mul_f32_e32 v43, v39, v27
	v_mul_f32_e32 v44, v38, v27
	v_fma_f32 v43, v38, v26, -v43
	v_fmac_f32_e32 v44, v39, v26
	v_mul_f32_e32 v26, v39, v29
	v_fma_f32 v45, v38, v28, -v26
	v_mul_f32_e32 v38, v38, v29
	v_fmac_f32_e32 v38, v39, v28
	ds_read2_b64 v[26:29], v14 offset0:32 offset1:48
	v_add_f32_e32 v39, v20, v45
	v_add_f32_e32 v38, v21, v38
	v_add_f32_e32 v18, v18, v43
	v_add_f32_e32 v19, v19, v44
	s_waitcnt lgkmcnt(0)
	v_mul_f32_e32 v20, v33, v27
	v_fma_f32 v20, v32, v26, -v20
	v_mul_f32_e32 v21, v32, v27
	v_fmac_f32_e32 v21, v33, v26
	v_add_f32_e32 v7, v7, v20
	v_mul_f32_e32 v20, v33, v29
	v_add_f32_e32 v42, v42, v21
	v_fma_f32 v20, v32, v28, -v20
	v_mul_f32_e32 v21, v32, v29
	v_fmac_f32_e32 v21, v33, v28
	v_add_f32_e32 v30, v30, v20
	v_mul_f32_e32 v20, v41, v27
	v_add_f32_e32 v31, v31, v21
	;; [unrolled: 6-line block ×3, first 2 shown]
	v_fma_f32 v32, v40, v28, -v18
	ds_read2_b64 v[18:21], v14 offset0:64 offset1:80
	v_mul_f32_e32 v29, v40, v29
	v_fmac_f32_e32 v29, v41, v28
	v_add_f32_e32 v33, v38, v29
	v_add_f32_e32 v32, v39, v32
	s_waitcnt lgkmcnt(0)
	v_mul_f32_e32 v28, v35, v19
	v_fma_f32 v28, v34, v18, -v28
	v_mul_f32_e32 v29, v34, v19
	v_add_f32_e32 v7, v7, v28
	v_mul_f32_e32 v28, v35, v21
	v_fmac_f32_e32 v29, v35, v18
	v_fma_f32 v28, v34, v20, -v28
	v_add_f32_e32 v38, v42, v29
	v_mul_f32_e32 v29, v34, v21
	v_add_f32_e32 v30, v30, v28
	v_mul_f32_e32 v28, v23, v19
	v_mul_f32_e32 v19, v22, v19
	v_fmac_f32_e32 v29, v35, v20
	v_fma_f32 v28, v22, v18, -v28
	v_fmac_f32_e32 v19, v23, v18
	v_add_f32_e32 v31, v31, v29
	v_add_f32_e32 v34, v26, v28
	;; [unrolled: 1-line block ×3, first 2 shown]
	ds_read2_b64 v[26:29], v14 offset0:96 offset1:112
	v_mul_f32_e32 v18, v23, v21
	v_fma_f32 v39, v22, v20, -v18
	v_mul_f32_e32 v22, v22, v21
	v_fmac_f32_e32 v22, v23, v20
	v_add_f32_e32 v23, v32, v39
	s_waitcnt lgkmcnt(0)
	v_mul_f32_e32 v32, v37, v27
	v_fma_f32 v32, v36, v26, -v32
	v_add_f32_e32 v22, v33, v22
	v_mul_f32_e32 v33, v36, v27
	v_add_f32_e32 v7, v7, v32
	v_mul_f32_e32 v32, v37, v29
	v_fmac_f32_e32 v33, v37, v26
	v_fma_f32 v32, v36, v28, -v32
	v_add_f32_e32 v38, v38, v33
	v_mul_f32_e32 v33, v36, v29
	v_add_f32_e32 v39, v30, v32
	v_mul_f32_e32 v30, v25, v27
	v_fmac_f32_e32 v33, v37, v28
	v_fma_f32 v30, v24, v26, -v30
	ds_read_b128 v[18:21], v15 offset:32
	v_add_f32_e32 v40, v31, v33
	v_add_f32_e32 v42, v34, v30
	ds_read2_b64 v[30:33], v14 offset0:128 offset1:144
	v_mul_f32_e32 v27, v24, v27
	v_fmac_f32_e32 v27, v25, v26
	v_mul_f32_e32 v26, v25, v29
	v_fma_f32 v26, v24, v28, -v26
	v_mul_f32_e32 v24, v24, v29
	v_fmac_f32_e32 v24, v25, v28
	v_add_f32_e32 v43, v35, v27
	v_add_f32_e32 v23, v23, v26
	;; [unrolled: 1-line block ×3, first 2 shown]
	ds_read_b128 v[24:27], v15 offset:48
	s_waitcnt lgkmcnt(1)
	v_mul_f32_e32 v28, v19, v31
	ds_read_b128 v[34:37], v15 offset:1056
	v_fma_f32 v28, v18, v30, -v28
	v_add_f32_e32 v7, v7, v28
	v_mul_f32_e32 v28, v19, v33
	v_mul_f32_e32 v29, v18, v31
	v_fma_f32 v28, v18, v32, -v28
	v_mul_f32_e32 v18, v18, v33
	v_fmac_f32_e32 v29, v19, v30
	v_fmac_f32_e32 v18, v19, v32
	v_add_f32_e32 v44, v38, v29
	v_add_f32_e32 v19, v39, v28
	;; [unrolled: 1-line block ×3, first 2 shown]
	ds_read_b128 v[38:41], v15 offset:1072
	s_waitcnt lgkmcnt(1)
	v_mul_f32_e32 v28, v35, v31
	v_fma_f32 v45, v34, v30, -v28
	v_mul_f32_e32 v46, v34, v31
	v_mul_f32_e32 v28, v35, v33
	v_fmac_f32_e32 v46, v35, v30
	v_fma_f32 v47, v34, v32, -v28
	ds_read2_b64 v[28:31], v14 offset0:160 offset1:176
	v_mul_f32_e32 v33, v34, v33
	v_fmac_f32_e32 v33, v35, v32
	v_add_f32_e32 v22, v22, v33
	v_add_f32_e32 v32, v42, v45
	s_waitcnt lgkmcnt(0)
	v_mul_f32_e32 v33, v21, v29
	v_mul_f32_e32 v35, v20, v29
	v_fma_f32 v33, v20, v28, -v33
	v_fmac_f32_e32 v35, v21, v28
	v_add_f32_e32 v7, v7, v33
	v_add_f32_e32 v33, v44, v35
	v_mul_f32_e32 v35, v21, v31
	v_fma_f32 v35, v20, v30, -v35
	v_mul_f32_e32 v20, v20, v31
	v_fmac_f32_e32 v20, v21, v30
	v_add_f32_e32 v42, v18, v20
	v_mul_f32_e32 v18, v37, v29
	v_add_f32_e32 v35, v19, v35
	v_fma_f32 v18, v36, v28, -v18
	v_mul_f32_e32 v19, v36, v29
	v_add_f32_e32 v34, v43, v46
	v_fmac_f32_e32 v19, v37, v28
	v_add_f32_e32 v28, v32, v18
	v_mul_f32_e32 v18, v37, v31
	v_add_f32_e32 v29, v34, v19
	v_fma_f32 v32, v36, v30, -v18
	ds_read2_b64 v[18:21], v14 offset0:192 offset1:208
	v_mul_f32_e32 v31, v36, v31
	v_fmac_f32_e32 v31, v37, v30
	v_add_f32_e32 v22, v22, v31
	v_add_f32_e32 v23, v23, v47
	s_waitcnt lgkmcnt(0)
	v_mul_f32_e32 v30, v25, v19
	v_fma_f32 v30, v24, v18, -v30
	v_add_f32_e32 v7, v7, v30
	v_mul_f32_e32 v30, v25, v21
	v_mul_f32_e32 v31, v24, v19
	v_fma_f32 v30, v24, v20, -v30
	v_mul_f32_e32 v24, v24, v21
	v_fmac_f32_e32 v24, v25, v20
	v_add_f32_e32 v34, v42, v24
	v_mul_f32_e32 v24, v39, v19
	v_mul_f32_e32 v19, v38, v19
	v_fmac_f32_e32 v31, v25, v18
	v_fma_f32 v24, v38, v18, -v24
	v_fmac_f32_e32 v19, v39, v18
	v_add_f32_e32 v23, v23, v32
	v_add_f32_e32 v32, v33, v31
	;; [unrolled: 1-line block ×5, first 2 shown]
	ds_read2_b64 v[28:31], v14 offset0:224 offset1:240
	v_mul_f32_e32 v24, v39, v21
	v_mul_f32_e32 v21, v38, v21
	v_fmac_f32_e32 v21, v39, v20
	v_add_f32_e32 v21, v22, v21
	s_waitcnt lgkmcnt(0)
	v_mul_f32_e32 v22, v27, v29
	v_fma_f32 v24, v38, v20, -v24
	v_fma_f32 v22, v26, v28, -v22
	v_add_f32_e32 v20, v23, v24
	v_mul_f32_e32 v23, v26, v29
	v_add_f32_e32 v24, v7, v22
	v_mul_f32_e32 v7, v27, v31
	v_fmac_f32_e32 v23, v27, v28
	v_fma_f32 v7, v26, v30, -v7
	v_add_f32_e32 v25, v32, v23
	v_mul_f32_e32 v23, v26, v31
	v_add_f32_e32 v22, v33, v7
	v_mul_f32_e32 v7, v41, v29
	v_mul_f32_e32 v26, v40, v29
	v_fma_f32 v7, v40, v28, -v7
	v_fmac_f32_e32 v26, v41, v28
	s_addc_u32 s11, s11, 0
	v_addc_co_u32_e32 v3, vcc, v3, v16, vcc
	v_add_f32_e32 v18, v18, v7
	v_add_f32_e32 v19, v19, v26
	v_mul_f32_e32 v7, v41, v31
	v_mul_f32_e32 v26, v40, v31
	v_cmp_ge_i64_e32 vcc, s[10:11], v[8:9]
	v_fmac_f32_e32 v23, v27, v30
	v_fma_f32 v7, v40, v30, -v7
	v_fmac_f32_e32 v26, v41, v30
	v_add_co_u32_e64 v4, s[0:1], s2, v4
	v_add_f32_e32 v23, v34, v23
	v_add_f32_e32 v20, v20, v7
	;; [unrolled: 1-line block ×3, first 2 shown]
	v_addc_co_u32_e64 v5, s[0:1], v5, v17, s[0:1]
	s_barrier
	s_cbranch_vccnz .LBB1296_12
.LBB1296_3:                             ; =>This Inner Loop Header: Depth=1
	v_mov_b32_e32 v7, s11
	v_add_co_u32_e32 v26, vcc, s10, v10
	v_addc_co_u32_e32 v27, vcc, 0, v7, vcc
	v_cmp_le_i64_e32 vcc, s[12:13], v[26:27]
	s_or_b64 s[0:1], s[16:17], vcc
	s_and_saveexec_b64 s[20:21], s[0:1]
	s_xor_b64 s[0:1], exec, s[20:21]
; %bb.4:                                ;   in Loop: Header=BB1296_3 Depth=1
	v_mov_b32_e32 v7, v6
	ds_write_b64 v12, v[6:7]
; %bb.5:                                ;   in Loop: Header=BB1296_3 Depth=1
	s_andn2_saveexec_b64 s[0:1], s[0:1]
	s_cbranch_execz .LBB1296_7
; %bb.6:                                ;   in Loop: Header=BB1296_3 Depth=1
	global_load_dwordx2 v[26:27], v[2:3], off
	s_waitcnt vmcnt(0)
	ds_write_b64 v12, v[26:27]
.LBB1296_7:                             ;   in Loop: Header=BB1296_3 Depth=1
	s_or_b64 exec, exec, s[0:1]
	v_mov_b32_e32 v7, s11
	v_add_co_u32_e32 v26, vcc, s10, v11
	v_addc_co_u32_e32 v27, vcc, 0, v7, vcc
	v_cmp_le_i64_e32 vcc, s[12:13], v[26:27]
	s_or_b64 s[0:1], vcc, s[18:19]
	s_and_saveexec_b64 s[20:21], s[0:1]
	s_xor_b64 s[0:1], exec, s[20:21]
; %bb.8:                                ;   in Loop: Header=BB1296_3 Depth=1
	ds_write_b32 v13, v6
; %bb.9:                                ;   in Loop: Header=BB1296_3 Depth=1
	s_or_saveexec_b64 s[0:1], s[0:1]
	v_mov_b32_e32 v7, 0
	s_xor_b64 exec, exec, s[0:1]
	s_cbranch_execz .LBB1296_2
; %bb.10:                               ;   in Loop: Header=BB1296_3 Depth=1
	global_load_dwordx2 v[26:27], v[4:5], off offset:-4
	s_waitcnt vmcnt(0)
	v_xor_b32_e32 v7, 0x80000000, v27
	ds_write_b32 v13, v26
	s_branch .LBB1296_2
.LBB1296_11:
	v_mov_b32_e32 v24, 0
	v_mov_b32_e32 v25, 0
	;; [unrolled: 1-line block ×8, first 2 shown]
.LBB1296_12:
	s_load_dwordx2 s[0:1], s[4:5], 0x60
	s_load_dwordx4 s[16:19], s[4:5], 0x50
	v_add_u32_e32 v5, s29, v1
	v_ashrrev_i32_e32 v1, 31, v5
	v_add_u32_e32 v0, s28, v0
	s_waitcnt lgkmcnt(0)
	s_mul_i32 s1, s1, s8
	s_mul_hi_u32 s2, s0, s8
	s_add_i32 s1, s2, s1
	v_mul_lo_u32 v3, s18, v1
	v_mul_lo_u32 v4, s19, v5
	v_mad_u64_u32 v[1:2], s[2:3], s18, v5, 0
	s_mul_i32 s0, s0, s8
	s_lshl_b64 s[0:1], s[0:1], 3
	v_add3_u32 v2, v2, v3, v4
	s_add_u32 s6, s16, s0
	v_lshlrev_b64 v[1:2], 3, v[1:2]
	s_addc_u32 s7, s17, s1
	v_mov_b32_e32 v3, s7
	v_add_co_u32_e32 v4, vcc, s6, v1
	v_addc_co_u32_e32 v6, vcc, v3, v2, vcc
	v_cmp_le_i32_e64 s[0:1], v5, v0
	v_cmp_gt_i32_e32 vcc, s9, v0
	s_and_b64 s[0:1], s[0:1], vcc
	s_and_saveexec_b64 s[2:3], s[0:1]
	s_cbranch_execz .LBB1296_15
; %bb.13:
	v_mul_f32_e32 v1, s15, v25
	v_fma_f32 v7, v24, s14, -v1
	v_ashrrev_i32_e32 v1, 31, v0
	v_lshlrev_b64 v[1:2], 3, v[0:1]
	v_mul_f32_e32 v8, s14, v25
	v_add_co_u32_e64 v1, s[0:1], v4, v1
	v_addc_co_u32_e64 v2, s[0:1], v6, v2, s[0:1]
	v_fmac_f32_e32 v8, s15, v24
	v_cmp_eq_u32_e64 s[0:1], v5, v0
	global_store_dwordx2 v[1:2], v[7:8], off
	s_and_b64 exec, exec, s[0:1]
	s_cbranch_execz .LBB1296_15
; %bb.14:
	v_mov_b32_e32 v3, 0
	global_store_dword v[1:2], v3, off offset:4
.LBB1296_15:
	s_or_b64 exec, exec, s[2:3]
	v_add_u32_e32 v2, 16, v0
	v_cmp_le_i32_e64 s[2:3], v5, v2
	v_cmp_gt_i32_e64 s[0:1], s9, v2
	s_and_b64 s[2:3], s[2:3], s[0:1]
	s_and_saveexec_b64 s[4:5], s[2:3]
	s_cbranch_execz .LBB1296_18
; %bb.16:
	v_ashrrev_i32_e32 v3, 31, v2
	v_lshlrev_b64 v[9:10], 3, v[2:3]
	v_mul_f32_e32 v1, s15, v23
	v_add_co_u32_e64 v3, s[2:3], v4, v9
	v_mul_f32_e32 v8, s14, v23
	v_addc_co_u32_e64 v4, s[2:3], v6, v10, s[2:3]
	v_fma_f32 v7, v22, s14, -v1
	v_fmac_f32_e32 v8, s15, v22
	v_cmp_eq_u32_e64 s[2:3], v5, v2
	global_store_dwordx2 v[3:4], v[7:8], off
	s_and_b64 exec, exec, s[2:3]
	s_cbranch_execz .LBB1296_18
; %bb.17:
	v_mov_b32_e32 v1, 0
	global_store_dword v[3:4], v1, off offset:4
.LBB1296_18:
	s_or_b64 exec, exec, s[4:5]
	v_add_u32_e32 v8, 16, v5
	v_ashrrev_i32_e32 v1, 31, v8
	v_mul_lo_u32 v6, s19, v8
	v_mad_u64_u32 v[3:4], s[2:3], s18, v8, 0
	v_mul_lo_u32 v1, s18, v1
	v_add3_u32 v4, v4, v1, v6
	v_lshlrev_b64 v[3:4], 3, v[3:4]
	v_mov_b32_e32 v1, s7
	v_add_co_u32_e64 v6, s[2:3], s6, v3
	v_addc_co_u32_e64 v7, s[2:3], v1, v4, s[2:3]
	v_cmp_le_i32_e64 s[2:3], v8, v0
	s_and_b64 s[4:5], s[2:3], vcc
	s_and_saveexec_b64 s[2:3], s[4:5]
	s_cbranch_execz .LBB1296_21
; %bb.19:
	v_mul_f32_e32 v1, s15, v19
	v_fma_f32 v9, v18, s14, -v1
	v_ashrrev_i32_e32 v1, 31, v0
	v_lshlrev_b64 v[3:4], 3, v[0:1]
	v_mul_f32_e32 v10, s14, v19
	v_add_co_u32_e32 v3, vcc, v6, v3
	v_addc_co_u32_e32 v4, vcc, v7, v4, vcc
	v_fmac_f32_e32 v10, s15, v18
	v_cmp_eq_u32_e32 vcc, v8, v0
	global_store_dwordx2 v[3:4], v[9:10], off
	s_and_b64 exec, exec, vcc
	s_cbranch_execz .LBB1296_21
; %bb.20:
	v_mov_b32_e32 v1, 0
	global_store_dword v[3:4], v1, off offset:4
.LBB1296_21:
	s_or_b64 exec, exec, s[2:3]
	v_cmp_le_i32_e32 vcc, v8, v2
	s_and_b64 s[0:1], vcc, s[0:1]
	s_and_saveexec_b64 s[2:3], s[0:1]
	s_cbranch_execz .LBB1296_24
; %bb.22:
	v_mul_f32_e32 v1, s15, v21
	v_ashrrev_i32_e32 v3, 31, v2
	v_fma_f32 v8, v20, s14, -v1
	v_lshlrev_b64 v[1:2], 3, v[2:3]
	v_mul_f32_e32 v9, s14, v21
	v_add_co_u32_e32 v1, vcc, v6, v1
	v_addc_co_u32_e32 v2, vcc, v7, v2, vcc
	v_fmac_f32_e32 v9, s15, v20
	v_cmp_eq_u32_e32 vcc, v5, v0
	global_store_dwordx2 v[1:2], v[8:9], off
	s_and_b64 exec, exec, vcc
	s_cbranch_execz .LBB1296_24
; %bb.23:
	v_mov_b32_e32 v0, 0
	global_store_dword v[1:2], v0, off offset:4
.LBB1296_24:
	s_endpgm
	.section	.rodata,"a",@progbits
	.p2align	6, 0x0
	.amdhsa_kernel _ZL34rocblas_syrkx_herkx_general_kernelIl19rocblas_complex_numIfELi16ELi32ELi8ELb1ELb1ELc78ELc76EKS1_S1_EviT_T0_PT8_S3_lS6_S3_lS4_PT9_S3_li
		.amdhsa_group_segment_fixed_size 4096
		.amdhsa_private_segment_fixed_size 0
		.amdhsa_kernarg_size 108
		.amdhsa_user_sgpr_count 6
		.amdhsa_user_sgpr_private_segment_buffer 1
		.amdhsa_user_sgpr_dispatch_ptr 0
		.amdhsa_user_sgpr_queue_ptr 0
		.amdhsa_user_sgpr_kernarg_segment_ptr 1
		.amdhsa_user_sgpr_dispatch_id 0
		.amdhsa_user_sgpr_flat_scratch_init 0
		.amdhsa_user_sgpr_private_segment_size 0
		.amdhsa_uses_dynamic_stack 0
		.amdhsa_system_sgpr_private_segment_wavefront_offset 0
		.amdhsa_system_sgpr_workgroup_id_x 1
		.amdhsa_system_sgpr_workgroup_id_y 1
		.amdhsa_system_sgpr_workgroup_id_z 1
		.amdhsa_system_sgpr_workgroup_info 0
		.amdhsa_system_vgpr_workitem_id 1
		.amdhsa_next_free_vgpr 48
		.amdhsa_next_free_sgpr 30
		.amdhsa_reserve_vcc 1
		.amdhsa_reserve_flat_scratch 0
		.amdhsa_float_round_mode_32 0
		.amdhsa_float_round_mode_16_64 0
		.amdhsa_float_denorm_mode_32 3
		.amdhsa_float_denorm_mode_16_64 3
		.amdhsa_dx10_clamp 1
		.amdhsa_ieee_mode 1
		.amdhsa_fp16_overflow 0
		.amdhsa_exception_fp_ieee_invalid_op 0
		.amdhsa_exception_fp_denorm_src 0
		.amdhsa_exception_fp_ieee_div_zero 0
		.amdhsa_exception_fp_ieee_overflow 0
		.amdhsa_exception_fp_ieee_underflow 0
		.amdhsa_exception_fp_ieee_inexact 0
		.amdhsa_exception_int_div_zero 0
	.end_amdhsa_kernel
	.section	.text._ZL34rocblas_syrkx_herkx_general_kernelIl19rocblas_complex_numIfELi16ELi32ELi8ELb1ELb1ELc78ELc76EKS1_S1_EviT_T0_PT8_S3_lS6_S3_lS4_PT9_S3_li,"axG",@progbits,_ZL34rocblas_syrkx_herkx_general_kernelIl19rocblas_complex_numIfELi16ELi32ELi8ELb1ELb1ELc78ELc76EKS1_S1_EviT_T0_PT8_S3_lS6_S3_lS4_PT9_S3_li,comdat
.Lfunc_end1296:
	.size	_ZL34rocblas_syrkx_herkx_general_kernelIl19rocblas_complex_numIfELi16ELi32ELi8ELb1ELb1ELc78ELc76EKS1_S1_EviT_T0_PT8_S3_lS6_S3_lS4_PT9_S3_li, .Lfunc_end1296-_ZL34rocblas_syrkx_herkx_general_kernelIl19rocblas_complex_numIfELi16ELi32ELi8ELb1ELb1ELc78ELc76EKS1_S1_EviT_T0_PT8_S3_lS6_S3_lS4_PT9_S3_li
                                        ; -- End function
	.set _ZL34rocblas_syrkx_herkx_general_kernelIl19rocblas_complex_numIfELi16ELi32ELi8ELb1ELb1ELc78ELc76EKS1_S1_EviT_T0_PT8_S3_lS6_S3_lS4_PT9_S3_li.num_vgpr, 48
	.set _ZL34rocblas_syrkx_herkx_general_kernelIl19rocblas_complex_numIfELi16ELi32ELi8ELb1ELb1ELc78ELc76EKS1_S1_EviT_T0_PT8_S3_lS6_S3_lS4_PT9_S3_li.num_agpr, 0
	.set _ZL34rocblas_syrkx_herkx_general_kernelIl19rocblas_complex_numIfELi16ELi32ELi8ELb1ELb1ELc78ELc76EKS1_S1_EviT_T0_PT8_S3_lS6_S3_lS4_PT9_S3_li.numbered_sgpr, 30
	.set _ZL34rocblas_syrkx_herkx_general_kernelIl19rocblas_complex_numIfELi16ELi32ELi8ELb1ELb1ELc78ELc76EKS1_S1_EviT_T0_PT8_S3_lS6_S3_lS4_PT9_S3_li.num_named_barrier, 0
	.set _ZL34rocblas_syrkx_herkx_general_kernelIl19rocblas_complex_numIfELi16ELi32ELi8ELb1ELb1ELc78ELc76EKS1_S1_EviT_T0_PT8_S3_lS6_S3_lS4_PT9_S3_li.private_seg_size, 0
	.set _ZL34rocblas_syrkx_herkx_general_kernelIl19rocblas_complex_numIfELi16ELi32ELi8ELb1ELb1ELc78ELc76EKS1_S1_EviT_T0_PT8_S3_lS6_S3_lS4_PT9_S3_li.uses_vcc, 1
	.set _ZL34rocblas_syrkx_herkx_general_kernelIl19rocblas_complex_numIfELi16ELi32ELi8ELb1ELb1ELc78ELc76EKS1_S1_EviT_T0_PT8_S3_lS6_S3_lS4_PT9_S3_li.uses_flat_scratch, 0
	.set _ZL34rocblas_syrkx_herkx_general_kernelIl19rocblas_complex_numIfELi16ELi32ELi8ELb1ELb1ELc78ELc76EKS1_S1_EviT_T0_PT8_S3_lS6_S3_lS4_PT9_S3_li.has_dyn_sized_stack, 0
	.set _ZL34rocblas_syrkx_herkx_general_kernelIl19rocblas_complex_numIfELi16ELi32ELi8ELb1ELb1ELc78ELc76EKS1_S1_EviT_T0_PT8_S3_lS6_S3_lS4_PT9_S3_li.has_recursion, 0
	.set _ZL34rocblas_syrkx_herkx_general_kernelIl19rocblas_complex_numIfELi16ELi32ELi8ELb1ELb1ELc78ELc76EKS1_S1_EviT_T0_PT8_S3_lS6_S3_lS4_PT9_S3_li.has_indirect_call, 0
	.section	.AMDGPU.csdata,"",@progbits
; Kernel info:
; codeLenInByte = 2380
; TotalNumSgprs: 34
; NumVgprs: 48
; ScratchSize: 0
; MemoryBound: 1
; FloatMode: 240
; IeeeMode: 1
; LDSByteSize: 4096 bytes/workgroup (compile time only)
; SGPRBlocks: 4
; VGPRBlocks: 11
; NumSGPRsForWavesPerEU: 34
; NumVGPRsForWavesPerEU: 48
; Occupancy: 5
; WaveLimiterHint : 0
; COMPUTE_PGM_RSRC2:SCRATCH_EN: 0
; COMPUTE_PGM_RSRC2:USER_SGPR: 6
; COMPUTE_PGM_RSRC2:TRAP_HANDLER: 0
; COMPUTE_PGM_RSRC2:TGID_X_EN: 1
; COMPUTE_PGM_RSRC2:TGID_Y_EN: 1
; COMPUTE_PGM_RSRC2:TGID_Z_EN: 1
; COMPUTE_PGM_RSRC2:TIDIG_COMP_CNT: 1
	.section	.text._ZL34rocblas_syrkx_herkx_general_kernelIl19rocblas_complex_numIfELi16ELi32ELi8ELb1ELb1ELc84ELc85EKS1_S1_EviT_T0_PT8_S3_lS6_S3_lS4_PT9_S3_li,"axG",@progbits,_ZL34rocblas_syrkx_herkx_general_kernelIl19rocblas_complex_numIfELi16ELi32ELi8ELb1ELb1ELc84ELc85EKS1_S1_EviT_T0_PT8_S3_lS6_S3_lS4_PT9_S3_li,comdat
	.globl	_ZL34rocblas_syrkx_herkx_general_kernelIl19rocblas_complex_numIfELi16ELi32ELi8ELb1ELb1ELc84ELc85EKS1_S1_EviT_T0_PT8_S3_lS6_S3_lS4_PT9_S3_li ; -- Begin function _ZL34rocblas_syrkx_herkx_general_kernelIl19rocblas_complex_numIfELi16ELi32ELi8ELb1ELb1ELc84ELc85EKS1_S1_EviT_T0_PT8_S3_lS6_S3_lS4_PT9_S3_li
	.p2align	8
	.type	_ZL34rocblas_syrkx_herkx_general_kernelIl19rocblas_complex_numIfELi16ELi32ELi8ELb1ELb1ELc84ELc85EKS1_S1_EviT_T0_PT8_S3_lS6_S3_lS4_PT9_S3_li,@function
_ZL34rocblas_syrkx_herkx_general_kernelIl19rocblas_complex_numIfELi16ELi32ELi8ELb1ELb1ELc84ELc85EKS1_S1_EviT_T0_PT8_S3_lS6_S3_lS4_PT9_S3_li: ; @_ZL34rocblas_syrkx_herkx_general_kernelIl19rocblas_complex_numIfELi16ELi32ELi8ELb1ELb1ELc84ELc85EKS1_S1_EviT_T0_PT8_S3_lS6_S3_lS4_PT9_S3_li
; %bb.0:
	s_load_dwordx16 s[12:27], s[4:5], 0x8
	s_load_dword s9, s[4:5], 0x0
	s_lshl_b32 s28, s6, 5
	s_lshl_b32 s29, s7, 5
	s_waitcnt lgkmcnt(0)
	v_cmp_lt_i64_e64 s[0:1], s[12:13], 1
	s_and_b64 vcc, exec, s[0:1]
	s_cbranch_vccnz .LBB1297_11
; %bb.1:
	v_lshl_add_u32 v2, v1, 4, v0
	v_and_b32_e32 v5, 31, v2
	v_or_b32_e32 v6, s28, v5
	v_and_b32_e32 v11, 7, v0
	v_lshrrev_b32_e32 v3, 3, v2
	v_lshrrev_b32_e32 v10, 5, v2
	v_cmp_gt_i32_e32 vcc, s9, v6
	v_lshlrev_b32_e32 v2, 3, v5
	v_lshlrev_b32_e32 v6, 3, v11
	v_lshl_or_b32 v12, v10, 8, v2
	v_lshl_or_b32 v2, v3, 6, v6
	v_add_u32_e32 v13, 0x800, v2
	v_add_u32_e32 v2, s28, v5
	;; [unrolled: 1-line block ×3, first 2 shown]
	v_ashrrev_i32_e32 v3, 31, v2
	v_mul_lo_u32 v5, s18, v3
	v_mul_lo_u32 v8, s19, v2
	v_mad_u64_u32 v[2:3], s[2:3], s18, v2, 0
	s_mul_i32 s2, s21, s8
	s_mul_hi_u32 s3, s20, s8
	v_add3_u32 v3, v3, v5, v8
	v_lshlrev_b64 v[2:3], 3, v[2:3]
	s_add_i32 s3, s3, s2
	s_mul_i32 s2, s20, s8
	s_lshl_b64 s[2:3], s[2:3], 3
	v_mov_b32_e32 v5, s3
	v_add_co_u32_e64 v2, s[2:3], s2, v2
	v_addc_co_u32_e64 v3, s[2:3], v3, v5, s[2:3]
	v_lshlrev_b32_e32 v5, 3, v10
	v_ashrrev_i32_e32 v7, 31, v4
	v_mov_b32_e32 v9, 0x800
	v_add_co_u32_e64 v2, s[2:3], v2, v5
	v_cmp_gt_i32_e64 s[0:1], s9, v4
	v_lshl_add_u32 v15, v1, 6, v9
	v_addc_co_u32_e64 v3, s[2:3], 0, v3, s[2:3]
	v_mul_lo_u32 v7, s24, v7
	v_mul_lo_u32 v9, s25, v4
	v_mad_u64_u32 v[4:5], s[2:3], s24, v4, 0
	v_mov_b32_e32 v8, s17
	v_add_co_u32_e64 v2, s[2:3], s16, v2
	v_addc_co_u32_e64 v3, s[2:3], v8, v3, s[2:3]
	v_add3_u32 v5, v5, v7, v9
	s_mul_i32 s2, s27, s8
	s_mul_hi_u32 s3, s26, s8
	v_lshlrev_b64 v[4:5], 3, v[4:5]
	s_add_i32 s3, s3, s2
	s_mul_i32 s2, s26, s8
	s_lshl_b64 s[2:3], s[2:3], 3
	v_mov_b32_e32 v7, s3
	v_add_co_u32_e64 v4, s[2:3], s2, v4
	v_addc_co_u32_e64 v5, s[2:3], v5, v7, s[2:3]
	v_add_co_u32_e64 v4, s[2:3], v4, v6
	v_addc_co_u32_e64 v5, s[2:3], 0, v5, s[2:3]
	v_mov_b32_e32 v6, s23
	v_add_co_u32_e64 v4, s[2:3], s22, v4
	v_addc_co_u32_e64 v5, s[2:3], v6, v5, s[2:3]
	v_mov_b32_e32 v8, s12
	v_lshlrev_b32_e32 v14, 3, v0
	s_mov_b64 s[2:3], 0
	s_xor_b64 s[6:7], vcc, -1
	s_xor_b64 s[10:11], s[0:1], -1
	v_mov_b32_e32 v19, 0
	v_mov_b32_e32 v18, 0
	;; [unrolled: 1-line block ×10, first 2 shown]
	s_branch .LBB1297_3
.LBB1297_2:                             ;   in Loop: Header=BB1297_3 Depth=1
	s_or_b64 exec, exec, s[0:1]
	s_waitcnt lgkmcnt(0)
	s_barrier
	ds_read2_b64 v[24:27], v14 offset1:16
	ds_read_b128 v[28:31], v15
	ds_read_b128 v[32:35], v15 offset:16
	s_add_u32 s2, s2, 8
	v_add_co_u32_e32 v2, vcc, 64, v2
	s_waitcnt lgkmcnt(1)
	v_mul_f32_e32 v36, v28, v25
	v_fmac_f32_e32 v36, v29, v24
	v_add_f32_e32 v44, v21, v36
	ds_read_b128 v[36:39], v15 offset:1024
	v_mul_f32_e32 v7, v29, v25
	v_fma_f32 v7, v28, v24, -v7
	v_add_f32_e32 v7, v20, v7
	v_mul_f32_e32 v20, v29, v27
	v_mul_f32_e32 v21, v28, v27
	v_fma_f32 v20, v28, v26, -v20
	v_fmac_f32_e32 v21, v29, v26
	v_add_f32_e32 v28, v22, v20
	v_add_f32_e32 v29, v23, v21
	ds_read_b128 v[20:23], v15 offset:1040
	s_waitcnt lgkmcnt(1)
	v_mul_f32_e32 v40, v37, v25
	v_fma_f32 v40, v36, v24, -v40
	v_add_f32_e32 v45, v16, v40
	ds_read2_b64 v[40:43], v14 offset0:32 offset1:48
	v_mul_f32_e32 v25, v36, v25
	v_mul_f32_e32 v16, v37, v27
	v_fmac_f32_e32 v25, v37, v24
	v_fma_f32 v16, v36, v26, -v16
	v_add_f32_e32 v46, v17, v25
	v_mul_f32_e32 v17, v36, v27
	v_add_f32_e32 v36, v18, v16
	s_waitcnt lgkmcnt(0)
	v_mul_f32_e32 v16, v31, v41
	v_fma_f32 v47, v30, v40, -v16
	v_mul_f32_e32 v16, v31, v43
	v_fma_f32 v49, v30, v42, -v16
	v_mul_f32_e32 v48, v30, v41
	v_mul_f32_e32 v30, v30, v43
	v_add_f32_e32 v7, v7, v47
	v_add_f32_e32 v47, v28, v49
	v_mul_f32_e32 v28, v39, v41
	v_fmac_f32_e32 v17, v37, v26
	v_fmac_f32_e32 v48, v31, v40
	;; [unrolled: 1-line block ×3, first 2 shown]
	v_fma_f32 v49, v38, v40, -v28
	v_mul_f32_e32 v41, v38, v41
	v_mul_f32_e32 v28, v39, v43
	v_add_f32_e32 v37, v19, v17
	ds_read_b128 v[16:19], v15 offset:32
	ds_read_b128 v[24:27], v15 offset:48
	v_add_f32_e32 v44, v44, v48
	v_add_f32_e32 v48, v29, v30
	v_fmac_f32_e32 v41, v39, v40
	v_fma_f32 v40, v38, v42, -v28
	ds_read2_b64 v[28:31], v14 offset0:64 offset1:80
	v_add_f32_e32 v40, v36, v40
	v_mul_f32_e32 v38, v38, v43
	v_fmac_f32_e32 v38, v39, v42
	v_add_f32_e32 v42, v37, v38
	s_waitcnt lgkmcnt(0)
	v_mul_f32_e32 v36, v33, v29
	v_fma_f32 v36, v32, v28, -v36
	v_add_f32_e32 v7, v7, v36
	v_mul_f32_e32 v36, v33, v31
	v_mul_f32_e32 v37, v32, v29
	v_fma_f32 v36, v32, v30, -v36
	v_mul_f32_e32 v32, v32, v31
	v_fmac_f32_e32 v37, v33, v28
	v_fmac_f32_e32 v32, v33, v30
	v_add_f32_e32 v33, v47, v36
	v_mul_f32_e32 v36, v21, v29
	v_add_f32_e32 v39, v45, v49
	v_fma_f32 v36, v20, v28, -v36
	v_mul_f32_e32 v29, v20, v29
	v_add_f32_e32 v41, v46, v41
	v_fmac_f32_e32 v29, v21, v28
	v_add_f32_e32 v28, v39, v36
	v_mul_f32_e32 v36, v21, v31
	v_add_f32_e32 v43, v44, v37
	v_add_f32_e32 v29, v41, v29
	v_fma_f32 v41, v20, v30, -v36
	ds_read2_b64 v[36:39], v14 offset0:96 offset1:112
	v_mul_f32_e32 v20, v20, v31
	v_fmac_f32_e32 v20, v21, v30
	v_add_f32_e32 v21, v40, v41
	v_add_f32_e32 v32, v48, v32
	s_waitcnt lgkmcnt(0)
	v_mul_f32_e32 v30, v35, v37
	v_fma_f32 v30, v34, v36, -v30
	v_mul_f32_e32 v31, v34, v37
	v_fmac_f32_e32 v31, v35, v36
	v_add_f32_e32 v7, v7, v30
	v_mul_f32_e32 v30, v35, v39
	v_add_f32_e32 v40, v43, v31
	v_fma_f32 v30, v34, v38, -v30
	v_mul_f32_e32 v31, v34, v39
	v_fmac_f32_e32 v31, v35, v38
	v_add_f32_e32 v33, v33, v30
	v_mul_f32_e32 v30, v23, v37
	v_add_f32_e32 v32, v32, v31
	v_fma_f32 v30, v22, v36, -v30
	v_mul_f32_e32 v31, v22, v37
	v_fmac_f32_e32 v31, v23, v36
	v_add_f32_e32 v36, v28, v30
	v_mul_f32_e32 v28, v23, v39
	v_add_f32_e32 v37, v29, v31
	v_fma_f32 v34, v22, v38, -v28
	ds_read2_b64 v[28:31], v14 offset0:128 offset1:144
	v_mul_f32_e32 v22, v22, v39
	v_add_f32_e32 v20, v42, v20
	v_fmac_f32_e32 v22, v23, v38
	v_add_f32_e32 v42, v20, v22
	s_waitcnt lgkmcnt(0)
	v_mul_f32_e32 v20, v17, v29
	v_add_f32_e32 v41, v21, v34
	v_fma_f32 v20, v16, v28, -v20
	v_mul_f32_e32 v21, v16, v29
	v_fmac_f32_e32 v21, v17, v28
	v_add_f32_e32 v7, v7, v20
	v_mul_f32_e32 v20, v17, v31
	v_add_f32_e32 v40, v40, v21
	v_fma_f32 v34, v16, v30, -v20
	ds_read_b128 v[20:23], v15 offset:1056
	v_mul_f32_e32 v16, v16, v31
	v_fmac_f32_e32 v16, v17, v30
	v_add_f32_e32 v17, v33, v34
	v_add_f32_e32 v16, v32, v16
	ds_read_b128 v[32:35], v15 offset:1072
	s_waitcnt lgkmcnt(1)
	v_mul_f32_e32 v38, v21, v29
	v_fma_f32 v38, v20, v28, -v38
	v_mul_f32_e32 v29, v20, v29
	v_fmac_f32_e32 v29, v21, v28
	v_add_f32_e32 v28, v36, v38
	v_mul_f32_e32 v36, v21, v31
	v_add_f32_e32 v29, v37, v29
	v_fma_f32 v43, v20, v30, -v36
	ds_read2_b64 v[36:39], v14 offset0:160 offset1:176
	v_mul_f32_e32 v20, v20, v31
	v_fmac_f32_e32 v20, v21, v30
	v_add_f32_e32 v20, v42, v20
	v_add_f32_e32 v21, v41, v43
	s_waitcnt lgkmcnt(0)
	v_mul_f32_e32 v30, v19, v37
	v_mul_f32_e32 v31, v18, v37
	v_fma_f32 v30, v18, v36, -v30
	v_fmac_f32_e32 v31, v19, v36
	v_add_f32_e32 v7, v7, v30
	v_add_f32_e32 v30, v40, v31
	v_mul_f32_e32 v31, v19, v39
	v_fma_f32 v31, v18, v38, -v31
	v_mul_f32_e32 v18, v18, v39
	v_fmac_f32_e32 v18, v19, v38
	v_add_f32_e32 v40, v16, v18
	v_mul_f32_e32 v16, v23, v37
	v_add_f32_e32 v31, v17, v31
	v_fma_f32 v16, v22, v36, -v16
	v_mul_f32_e32 v17, v22, v37
	v_fmac_f32_e32 v17, v23, v36
	v_add_f32_e32 v28, v28, v16
	v_mul_f32_e32 v16, v23, v39
	v_add_f32_e32 v29, v29, v17
	v_fma_f32 v36, v22, v38, -v16
	ds_read2_b64 v[16:19], v14 offset0:192 offset1:208
	v_mul_f32_e32 v22, v22, v39
	v_fmac_f32_e32 v22, v23, v38
	v_add_f32_e32 v20, v20, v22
	v_add_f32_e32 v21, v21, v36
	s_waitcnt lgkmcnt(0)
	v_mul_f32_e32 v22, v25, v17
	v_mul_f32_e32 v23, v24, v17
	v_fma_f32 v22, v24, v16, -v22
	v_fmac_f32_e32 v23, v25, v16
	v_add_f32_e32 v7, v7, v22
	v_add_f32_e32 v22, v30, v23
	v_mul_f32_e32 v23, v25, v19
	v_fma_f32 v23, v24, v18, -v23
	v_mul_f32_e32 v24, v24, v19
	v_fmac_f32_e32 v24, v25, v18
	v_mul_f32_e32 v25, v33, v17
	v_mul_f32_e32 v17, v32, v17
	v_fma_f32 v25, v32, v16, -v25
	v_fmac_f32_e32 v17, v33, v16
	v_add_f32_e32 v23, v31, v23
	v_add_f32_e32 v16, v28, v25
	;; [unrolled: 1-line block ×3, first 2 shown]
	ds_read2_b64 v[28:31], v14 offset0:224 offset1:240
	v_mul_f32_e32 v25, v33, v19
	v_mul_f32_e32 v19, v32, v19
	v_fmac_f32_e32 v19, v33, v18
	v_add_f32_e32 v19, v20, v19
	s_waitcnt lgkmcnt(0)
	v_mul_f32_e32 v20, v27, v29
	v_fma_f32 v25, v32, v18, -v25
	v_fma_f32 v20, v26, v28, -v20
	v_add_f32_e32 v18, v21, v25
	v_mul_f32_e32 v21, v26, v29
	v_add_f32_e32 v20, v7, v20
	v_mul_f32_e32 v7, v27, v31
	v_mul_f32_e32 v25, v26, v31
	v_add_f32_e32 v24, v40, v24
	v_fmac_f32_e32 v21, v27, v28
	v_fma_f32 v7, v26, v30, -v7
	v_fmac_f32_e32 v25, v27, v30
	v_add_f32_e32 v21, v22, v21
	v_add_f32_e32 v22, v23, v7
	;; [unrolled: 1-line block ×3, first 2 shown]
	v_mul_f32_e32 v7, v35, v29
	v_mul_f32_e32 v24, v34, v29
	v_fma_f32 v7, v34, v28, -v7
	v_fmac_f32_e32 v24, v35, v28
	s_addc_u32 s3, s3, 0
	v_addc_co_u32_e32 v3, vcc, 0, v3, vcc
	v_add_f32_e32 v16, v16, v7
	v_add_f32_e32 v17, v17, v24
	v_mul_f32_e32 v7, v35, v31
	v_mul_f32_e32 v24, v34, v31
	v_cmp_ge_i64_e32 vcc, s[2:3], v[8:9]
	v_fma_f32 v7, v34, v30, -v7
	v_fmac_f32_e32 v24, v35, v30
	v_add_co_u32_e64 v4, s[0:1], 64, v4
	v_add_f32_e32 v18, v18, v7
	v_add_f32_e32 v19, v19, v24
	v_addc_co_u32_e64 v5, s[0:1], 0, v5, s[0:1]
	s_barrier
	s_cbranch_vccnz .LBB1297_12
.LBB1297_3:                             ; =>This Inner Loop Header: Depth=1
	v_mov_b32_e32 v7, s3
	v_add_co_u32_e32 v24, vcc, s2, v10
	v_addc_co_u32_e32 v25, vcc, 0, v7, vcc
	v_cmp_le_i64_e32 vcc, s[12:13], v[24:25]
	s_or_b64 s[0:1], s[6:7], vcc
	s_and_saveexec_b64 s[16:17], s[0:1]
	s_xor_b64 s[0:1], exec, s[16:17]
; %bb.4:                                ;   in Loop: Header=BB1297_3 Depth=1
	v_mov_b32_e32 v7, v6
	ds_write_b64 v12, v[6:7]
; %bb.5:                                ;   in Loop: Header=BB1297_3 Depth=1
	s_andn2_saveexec_b64 s[0:1], s[0:1]
	s_cbranch_execz .LBB1297_7
; %bb.6:                                ;   in Loop: Header=BB1297_3 Depth=1
	global_load_dwordx2 v[24:25], v[2:3], off
	s_waitcnt vmcnt(0)
	ds_write_b64 v12, v[24:25]
.LBB1297_7:                             ;   in Loop: Header=BB1297_3 Depth=1
	s_or_b64 exec, exec, s[0:1]
	v_mov_b32_e32 v7, s3
	v_add_co_u32_e32 v24, vcc, s2, v11
	v_addc_co_u32_e32 v25, vcc, 0, v7, vcc
	v_cmp_le_i64_e32 vcc, s[12:13], v[24:25]
	s_or_b64 s[0:1], vcc, s[10:11]
	s_and_saveexec_b64 s[16:17], s[0:1]
	s_xor_b64 s[0:1], exec, s[16:17]
; %bb.8:                                ;   in Loop: Header=BB1297_3 Depth=1
	v_mov_b32_e32 v7, v6
	ds_write_b64 v13, v[6:7]
; %bb.9:                                ;   in Loop: Header=BB1297_3 Depth=1
	s_andn2_saveexec_b64 s[0:1], s[0:1]
	s_cbranch_execz .LBB1297_2
; %bb.10:                               ;   in Loop: Header=BB1297_3 Depth=1
	global_load_dwordx2 v[24:25], v[4:5], off
	s_waitcnt vmcnt(0)
	ds_write_b64 v13, v[24:25]
	s_branch .LBB1297_2
.LBB1297_11:
	v_mov_b32_e32 v20, 0
	v_mov_b32_e32 v21, 0
	;; [unrolled: 1-line block ×8, first 2 shown]
.LBB1297_12:
	s_load_dwordx2 s[6:7], s[4:5], 0x60
	s_load_dwordx4 s[0:3], s[4:5], 0x50
	v_add_u32_e32 v5, s29, v1
	v_ashrrev_i32_e32 v1, 31, v5
	v_add_u32_e32 v0, s28, v0
	s_waitcnt lgkmcnt(0)
	s_mul_i32 s5, s7, s8
	v_mul_lo_u32 v3, s2, v1
	v_mul_lo_u32 v4, s3, v5
	v_mad_u64_u32 v[1:2], s[10:11], s2, v5, 0
	s_mul_hi_u32 s7, s6, s8
	s_mul_i32 s4, s6, s8
	s_add_i32 s5, s7, s5
	s_lshl_b64 s[4:5], s[4:5], 3
	v_add3_u32 v2, v2, v3, v4
	s_add_u32 s6, s0, s4
	v_lshlrev_b64 v[1:2], 3, v[1:2]
	s_addc_u32 s7, s1, s5
	v_mov_b32_e32 v3, s7
	v_add_co_u32_e64 v4, s[0:1], s6, v1
	v_addc_co_u32_e64 v6, s[0:1], v3, v2, s[0:1]
	v_cmp_gt_i32_e32 vcc, s9, v5
	v_cmp_le_i32_e64 s[0:1], v0, v5
	s_and_b64 s[0:1], vcc, s[0:1]
	s_and_saveexec_b64 s[4:5], s[0:1]
	s_cbranch_execz .LBB1297_15
; %bb.13:
	v_mul_f32_e32 v1, s15, v21
	v_fma_f32 v7, v20, s14, -v1
	v_ashrrev_i32_e32 v1, 31, v0
	v_lshlrev_b64 v[1:2], 3, v[0:1]
	v_mul_f32_e32 v8, s14, v21
	v_add_co_u32_e64 v1, s[0:1], v4, v1
	v_addc_co_u32_e64 v2, s[0:1], v6, v2, s[0:1]
	v_fmac_f32_e32 v8, s15, v20
	v_cmp_eq_u32_e64 s[0:1], v5, v0
	global_store_dwordx2 v[1:2], v[7:8], off
	s_and_b64 exec, exec, s[0:1]
	s_cbranch_execz .LBB1297_15
; %bb.14:
	v_mov_b32_e32 v3, 0
	global_store_dword v[1:2], v3, off offset:4
.LBB1297_15:
	s_or_b64 exec, exec, s[4:5]
	v_add_u32_e32 v2, 16, v0
	v_cmp_le_i32_e64 s[0:1], v2, v5
	s_and_b64 s[4:5], vcc, s[0:1]
	s_and_saveexec_b64 s[0:1], s[4:5]
	s_cbranch_execz .LBB1297_18
; %bb.16:
	v_ashrrev_i32_e32 v3, 31, v2
	v_lshlrev_b64 v[9:10], 3, v[2:3]
	v_mul_f32_e32 v1, s15, v23
	v_add_co_u32_e32 v3, vcc, v4, v9
	v_mul_f32_e32 v8, s14, v23
	v_addc_co_u32_e32 v4, vcc, v6, v10, vcc
	v_fma_f32 v7, v22, s14, -v1
	v_fmac_f32_e32 v8, s15, v22
	v_cmp_eq_u32_e32 vcc, v5, v2
	global_store_dwordx2 v[3:4], v[7:8], off
	s_and_b64 exec, exec, vcc
	s_cbranch_execz .LBB1297_18
; %bb.17:
	v_mov_b32_e32 v1, 0
	global_store_dword v[3:4], v1, off offset:4
.LBB1297_18:
	s_or_b64 exec, exec, s[0:1]
	v_add_u32_e32 v8, 16, v5
	v_ashrrev_i32_e32 v1, 31, v8
	v_mul_lo_u32 v1, s2, v1
	v_mul_lo_u32 v6, s3, v8
	v_mad_u64_u32 v[3:4], s[0:1], s2, v8, 0
	v_cmp_gt_i32_e32 vcc, s9, v8
	v_add3_u32 v4, v4, v1, v6
	v_lshlrev_b64 v[3:4], 3, v[3:4]
	v_mov_b32_e32 v1, s7
	v_add_co_u32_e64 v6, s[0:1], s6, v3
	v_addc_co_u32_e64 v7, s[0:1], v1, v4, s[0:1]
	v_cmp_le_i32_e64 s[0:1], v0, v8
	s_and_b64 s[0:1], vcc, s[0:1]
	s_and_saveexec_b64 s[2:3], s[0:1]
	s_cbranch_execz .LBB1297_21
; %bb.19:
	v_mul_f32_e32 v1, s15, v17
	v_fma_f32 v9, v16, s14, -v1
	v_ashrrev_i32_e32 v1, 31, v0
	v_lshlrev_b64 v[3:4], 3, v[0:1]
	v_mul_f32_e32 v10, s14, v17
	v_add_co_u32_e64 v3, s[0:1], v6, v3
	v_addc_co_u32_e64 v4, s[0:1], v7, v4, s[0:1]
	v_fmac_f32_e32 v10, s15, v16
	v_cmp_eq_u32_e64 s[0:1], v8, v0
	global_store_dwordx2 v[3:4], v[9:10], off
	s_and_b64 exec, exec, s[0:1]
	s_cbranch_execz .LBB1297_21
; %bb.20:
	v_mov_b32_e32 v1, 0
	global_store_dword v[3:4], v1, off offset:4
.LBB1297_21:
	s_or_b64 exec, exec, s[2:3]
	v_cmp_le_i32_e64 s[0:1], v2, v8
	s_and_b64 s[0:1], vcc, s[0:1]
	s_and_saveexec_b64 s[2:3], s[0:1]
	s_cbranch_execz .LBB1297_24
; %bb.22:
	v_mul_f32_e32 v1, s15, v19
	v_ashrrev_i32_e32 v3, 31, v2
	v_fma_f32 v8, v18, s14, -v1
	v_lshlrev_b64 v[1:2], 3, v[2:3]
	v_mul_f32_e32 v9, s14, v19
	v_add_co_u32_e32 v1, vcc, v6, v1
	v_addc_co_u32_e32 v2, vcc, v7, v2, vcc
	v_fmac_f32_e32 v9, s15, v18
	v_cmp_eq_u32_e32 vcc, v5, v0
	global_store_dwordx2 v[1:2], v[8:9], off
	s_and_b64 exec, exec, vcc
	s_cbranch_execz .LBB1297_24
; %bb.23:
	v_mov_b32_e32 v0, 0
	global_store_dword v[1:2], v0, off offset:4
.LBB1297_24:
	s_endpgm
	.section	.rodata,"a",@progbits
	.p2align	6, 0x0
	.amdhsa_kernel _ZL34rocblas_syrkx_herkx_general_kernelIl19rocblas_complex_numIfELi16ELi32ELi8ELb1ELb1ELc84ELc85EKS1_S1_EviT_T0_PT8_S3_lS6_S3_lS4_PT9_S3_li
		.amdhsa_group_segment_fixed_size 4096
		.amdhsa_private_segment_fixed_size 0
		.amdhsa_kernarg_size 108
		.amdhsa_user_sgpr_count 6
		.amdhsa_user_sgpr_private_segment_buffer 1
		.amdhsa_user_sgpr_dispatch_ptr 0
		.amdhsa_user_sgpr_queue_ptr 0
		.amdhsa_user_sgpr_kernarg_segment_ptr 1
		.amdhsa_user_sgpr_dispatch_id 0
		.amdhsa_user_sgpr_flat_scratch_init 0
		.amdhsa_user_sgpr_private_segment_size 0
		.amdhsa_uses_dynamic_stack 0
		.amdhsa_system_sgpr_private_segment_wavefront_offset 0
		.amdhsa_system_sgpr_workgroup_id_x 1
		.amdhsa_system_sgpr_workgroup_id_y 1
		.amdhsa_system_sgpr_workgroup_id_z 1
		.amdhsa_system_sgpr_workgroup_info 0
		.amdhsa_system_vgpr_workitem_id 1
		.amdhsa_next_free_vgpr 50
		.amdhsa_next_free_sgpr 30
		.amdhsa_reserve_vcc 1
		.amdhsa_reserve_flat_scratch 0
		.amdhsa_float_round_mode_32 0
		.amdhsa_float_round_mode_16_64 0
		.amdhsa_float_denorm_mode_32 3
		.amdhsa_float_denorm_mode_16_64 3
		.amdhsa_dx10_clamp 1
		.amdhsa_ieee_mode 1
		.amdhsa_fp16_overflow 0
		.amdhsa_exception_fp_ieee_invalid_op 0
		.amdhsa_exception_fp_denorm_src 0
		.amdhsa_exception_fp_ieee_div_zero 0
		.amdhsa_exception_fp_ieee_overflow 0
		.amdhsa_exception_fp_ieee_underflow 0
		.amdhsa_exception_fp_ieee_inexact 0
		.amdhsa_exception_int_div_zero 0
	.end_amdhsa_kernel
	.section	.text._ZL34rocblas_syrkx_herkx_general_kernelIl19rocblas_complex_numIfELi16ELi32ELi8ELb1ELb1ELc84ELc85EKS1_S1_EviT_T0_PT8_S3_lS6_S3_lS4_PT9_S3_li,"axG",@progbits,_ZL34rocblas_syrkx_herkx_general_kernelIl19rocblas_complex_numIfELi16ELi32ELi8ELb1ELb1ELc84ELc85EKS1_S1_EviT_T0_PT8_S3_lS6_S3_lS4_PT9_S3_li,comdat
.Lfunc_end1297:
	.size	_ZL34rocblas_syrkx_herkx_general_kernelIl19rocblas_complex_numIfELi16ELi32ELi8ELb1ELb1ELc84ELc85EKS1_S1_EviT_T0_PT8_S3_lS6_S3_lS4_PT9_S3_li, .Lfunc_end1297-_ZL34rocblas_syrkx_herkx_general_kernelIl19rocblas_complex_numIfELi16ELi32ELi8ELb1ELb1ELc84ELc85EKS1_S1_EviT_T0_PT8_S3_lS6_S3_lS4_PT9_S3_li
                                        ; -- End function
	.set _ZL34rocblas_syrkx_herkx_general_kernelIl19rocblas_complex_numIfELi16ELi32ELi8ELb1ELb1ELc84ELc85EKS1_S1_EviT_T0_PT8_S3_lS6_S3_lS4_PT9_S3_li.num_vgpr, 50
	.set _ZL34rocblas_syrkx_herkx_general_kernelIl19rocblas_complex_numIfELi16ELi32ELi8ELb1ELb1ELc84ELc85EKS1_S1_EviT_T0_PT8_S3_lS6_S3_lS4_PT9_S3_li.num_agpr, 0
	.set _ZL34rocblas_syrkx_herkx_general_kernelIl19rocblas_complex_numIfELi16ELi32ELi8ELb1ELb1ELc84ELc85EKS1_S1_EviT_T0_PT8_S3_lS6_S3_lS4_PT9_S3_li.numbered_sgpr, 30
	.set _ZL34rocblas_syrkx_herkx_general_kernelIl19rocblas_complex_numIfELi16ELi32ELi8ELb1ELb1ELc84ELc85EKS1_S1_EviT_T0_PT8_S3_lS6_S3_lS4_PT9_S3_li.num_named_barrier, 0
	.set _ZL34rocblas_syrkx_herkx_general_kernelIl19rocblas_complex_numIfELi16ELi32ELi8ELb1ELb1ELc84ELc85EKS1_S1_EviT_T0_PT8_S3_lS6_S3_lS4_PT9_S3_li.private_seg_size, 0
	.set _ZL34rocblas_syrkx_herkx_general_kernelIl19rocblas_complex_numIfELi16ELi32ELi8ELb1ELb1ELc84ELc85EKS1_S1_EviT_T0_PT8_S3_lS6_S3_lS4_PT9_S3_li.uses_vcc, 1
	.set _ZL34rocblas_syrkx_herkx_general_kernelIl19rocblas_complex_numIfELi16ELi32ELi8ELb1ELb1ELc84ELc85EKS1_S1_EviT_T0_PT8_S3_lS6_S3_lS4_PT9_S3_li.uses_flat_scratch, 0
	.set _ZL34rocblas_syrkx_herkx_general_kernelIl19rocblas_complex_numIfELi16ELi32ELi8ELb1ELb1ELc84ELc85EKS1_S1_EviT_T0_PT8_S3_lS6_S3_lS4_PT9_S3_li.has_dyn_sized_stack, 0
	.set _ZL34rocblas_syrkx_herkx_general_kernelIl19rocblas_complex_numIfELi16ELi32ELi8ELb1ELb1ELc84ELc85EKS1_S1_EviT_T0_PT8_S3_lS6_S3_lS4_PT9_S3_li.has_recursion, 0
	.set _ZL34rocblas_syrkx_herkx_general_kernelIl19rocblas_complex_numIfELi16ELi32ELi8ELb1ELb1ELc84ELc85EKS1_S1_EviT_T0_PT8_S3_lS6_S3_lS4_PT9_S3_li.has_indirect_call, 0
	.section	.AMDGPU.csdata,"",@progbits
; Kernel info:
; codeLenInByte = 2352
; TotalNumSgprs: 34
; NumVgprs: 50
; ScratchSize: 0
; MemoryBound: 1
; FloatMode: 240
; IeeeMode: 1
; LDSByteSize: 4096 bytes/workgroup (compile time only)
; SGPRBlocks: 4
; VGPRBlocks: 12
; NumSGPRsForWavesPerEU: 34
; NumVGPRsForWavesPerEU: 50
; Occupancy: 4
; WaveLimiterHint : 0
; COMPUTE_PGM_RSRC2:SCRATCH_EN: 0
; COMPUTE_PGM_RSRC2:USER_SGPR: 6
; COMPUTE_PGM_RSRC2:TRAP_HANDLER: 0
; COMPUTE_PGM_RSRC2:TGID_X_EN: 1
; COMPUTE_PGM_RSRC2:TGID_Y_EN: 1
; COMPUTE_PGM_RSRC2:TGID_Z_EN: 1
; COMPUTE_PGM_RSRC2:TIDIG_COMP_CNT: 1
	.section	.text._ZL34rocblas_syrkx_herkx_general_kernelIl19rocblas_complex_numIfELi16ELi32ELi8ELb1ELb1ELc67ELc85EKS1_S1_EviT_T0_PT8_S3_lS6_S3_lS4_PT9_S3_li,"axG",@progbits,_ZL34rocblas_syrkx_herkx_general_kernelIl19rocblas_complex_numIfELi16ELi32ELi8ELb1ELb1ELc67ELc85EKS1_S1_EviT_T0_PT8_S3_lS6_S3_lS4_PT9_S3_li,comdat
	.globl	_ZL34rocblas_syrkx_herkx_general_kernelIl19rocblas_complex_numIfELi16ELi32ELi8ELb1ELb1ELc67ELc85EKS1_S1_EviT_T0_PT8_S3_lS6_S3_lS4_PT9_S3_li ; -- Begin function _ZL34rocblas_syrkx_herkx_general_kernelIl19rocblas_complex_numIfELi16ELi32ELi8ELb1ELb1ELc67ELc85EKS1_S1_EviT_T0_PT8_S3_lS6_S3_lS4_PT9_S3_li
	.p2align	8
	.type	_ZL34rocblas_syrkx_herkx_general_kernelIl19rocblas_complex_numIfELi16ELi32ELi8ELb1ELb1ELc67ELc85EKS1_S1_EviT_T0_PT8_S3_lS6_S3_lS4_PT9_S3_li,@function
_ZL34rocblas_syrkx_herkx_general_kernelIl19rocblas_complex_numIfELi16ELi32ELi8ELb1ELb1ELc67ELc85EKS1_S1_EviT_T0_PT8_S3_lS6_S3_lS4_PT9_S3_li: ; @_ZL34rocblas_syrkx_herkx_general_kernelIl19rocblas_complex_numIfELi16ELi32ELi8ELb1ELb1ELc67ELc85EKS1_S1_EviT_T0_PT8_S3_lS6_S3_lS4_PT9_S3_li
; %bb.0:
	s_load_dwordx16 s[12:27], s[4:5], 0x8
	s_load_dword s9, s[4:5], 0x0
	s_lshl_b32 s28, s6, 5
	s_lshl_b32 s29, s7, 5
	s_waitcnt lgkmcnt(0)
	v_cmp_lt_i64_e64 s[0:1], s[12:13], 1
	s_and_b64 vcc, exec, s[0:1]
	s_cbranch_vccnz .LBB1298_11
; %bb.1:
	v_lshl_add_u32 v2, v1, 4, v0
	v_and_b32_e32 v5, 31, v2
	v_or_b32_e32 v6, s28, v5
	v_and_b32_e32 v11, 7, v0
	v_lshrrev_b32_e32 v3, 3, v2
	v_lshrrev_b32_e32 v10, 5, v2
	v_cmp_gt_i32_e32 vcc, s9, v6
	v_lshlrev_b32_e32 v2, 3, v5
	v_lshlrev_b32_e32 v6, 3, v11
	v_lshl_or_b32 v12, v10, 8, v2
	v_lshl_or_b32 v2, v3, 6, v6
	v_add_u32_e32 v13, 0x800, v2
	v_add_u32_e32 v2, s28, v5
	;; [unrolled: 1-line block ×3, first 2 shown]
	v_ashrrev_i32_e32 v3, 31, v2
	v_mul_lo_u32 v5, s18, v3
	v_mul_lo_u32 v8, s19, v2
	v_mad_u64_u32 v[2:3], s[2:3], s18, v2, 0
	s_mul_i32 s2, s21, s8
	s_mul_hi_u32 s3, s20, s8
	v_add3_u32 v3, v3, v5, v8
	v_lshlrev_b64 v[2:3], 3, v[2:3]
	s_add_i32 s3, s3, s2
	s_mul_i32 s2, s20, s8
	s_lshl_b64 s[2:3], s[2:3], 3
	v_mov_b32_e32 v5, s3
	v_add_co_u32_e64 v2, s[2:3], s2, v2
	v_addc_co_u32_e64 v3, s[2:3], v3, v5, s[2:3]
	v_lshlrev_b32_e32 v5, 3, v10
	v_add_co_u32_e64 v2, s[2:3], v2, v5
	v_addc_co_u32_e64 v3, s[2:3], 0, v3, s[2:3]
	v_ashrrev_i32_e32 v7, 31, v4
	v_mov_b32_e32 v5, s17
	v_add_co_u32_e64 v2, s[2:3], s16, v2
	v_cmp_gt_i32_e64 s[0:1], s9, v4
	v_addc_co_u32_e64 v3, s[2:3], v5, v3, s[2:3]
	v_mul_lo_u32 v7, s24, v7
	v_mul_lo_u32 v8, s25, v4
	v_mad_u64_u32 v[4:5], s[2:3], s24, v4, 0
	v_add_co_u32_e64 v2, s[2:3], 4, v2
	v_addc_co_u32_e64 v3, s[2:3], 0, v3, s[2:3]
	v_add3_u32 v5, v5, v7, v8
	s_mul_i32 s2, s27, s8
	s_mul_hi_u32 s3, s26, s8
	v_lshlrev_b64 v[4:5], 3, v[4:5]
	s_add_i32 s3, s3, s2
	s_mul_i32 s2, s26, s8
	s_lshl_b64 s[2:3], s[2:3], 3
	v_mov_b32_e32 v7, s3
	v_add_co_u32_e64 v4, s[2:3], s2, v4
	v_addc_co_u32_e64 v5, s[2:3], v5, v7, s[2:3]
	v_add_co_u32_e64 v4, s[2:3], v4, v6
	v_addc_co_u32_e64 v5, s[2:3], 0, v5, s[2:3]
	v_mov_b32_e32 v9, 0x800
	v_mov_b32_e32 v6, s23
	v_add_co_u32_e64 v4, s[2:3], s22, v4
	v_lshl_add_u32 v15, v1, 6, v9
	v_addc_co_u32_e64 v5, s[2:3], v6, v5, s[2:3]
	v_mov_b32_e32 v8, s12
	v_lshlrev_b32_e32 v14, 3, v0
	s_mov_b64 s[2:3], 0
	s_xor_b64 s[6:7], vcc, -1
	s_xor_b64 s[10:11], s[0:1], -1
	v_mov_b32_e32 v19, 0
	v_mov_b32_e32 v18, 0
	;; [unrolled: 1-line block ×10, first 2 shown]
	s_branch .LBB1298_3
.LBB1298_2:                             ;   in Loop: Header=BB1298_3 Depth=1
	s_or_b64 exec, exec, s[0:1]
	s_waitcnt lgkmcnt(0)
	s_barrier
	ds_read2_b64 v[24:27], v14 offset1:16
	ds_read_b128 v[28:31], v15
	ds_read_b128 v[32:35], v15 offset:16
	s_add_u32 s2, s2, 8
	v_add_co_u32_e32 v2, vcc, 64, v2
	s_waitcnt lgkmcnt(1)
	v_mul_f32_e32 v36, v28, v25
	v_fmac_f32_e32 v36, v29, v24
	v_add_f32_e32 v44, v21, v36
	ds_read_b128 v[36:39], v15 offset:1024
	v_mul_f32_e32 v7, v29, v25
	v_fma_f32 v7, v28, v24, -v7
	v_add_f32_e32 v7, v20, v7
	v_mul_f32_e32 v20, v29, v27
	v_mul_f32_e32 v21, v28, v27
	v_fma_f32 v20, v28, v26, -v20
	v_fmac_f32_e32 v21, v29, v26
	v_add_f32_e32 v28, v22, v20
	v_add_f32_e32 v29, v23, v21
	ds_read_b128 v[20:23], v15 offset:1040
	s_waitcnt lgkmcnt(1)
	v_mul_f32_e32 v40, v37, v25
	v_fma_f32 v40, v36, v24, -v40
	v_add_f32_e32 v45, v16, v40
	ds_read2_b64 v[40:43], v14 offset0:32 offset1:48
	v_mul_f32_e32 v25, v36, v25
	v_mul_f32_e32 v16, v37, v27
	v_fmac_f32_e32 v25, v37, v24
	v_fma_f32 v16, v36, v26, -v16
	v_add_f32_e32 v46, v17, v25
	v_mul_f32_e32 v17, v36, v27
	v_add_f32_e32 v36, v18, v16
	s_waitcnt lgkmcnt(0)
	v_mul_f32_e32 v16, v31, v41
	v_fma_f32 v47, v30, v40, -v16
	v_mul_f32_e32 v16, v31, v43
	v_fma_f32 v49, v30, v42, -v16
	v_mul_f32_e32 v48, v30, v41
	v_mul_f32_e32 v30, v30, v43
	v_add_f32_e32 v7, v7, v47
	v_add_f32_e32 v47, v28, v49
	v_mul_f32_e32 v28, v39, v41
	v_fmac_f32_e32 v17, v37, v26
	v_fmac_f32_e32 v48, v31, v40
	;; [unrolled: 1-line block ×3, first 2 shown]
	v_fma_f32 v49, v38, v40, -v28
	v_mul_f32_e32 v41, v38, v41
	v_mul_f32_e32 v28, v39, v43
	v_add_f32_e32 v37, v19, v17
	ds_read_b128 v[16:19], v15 offset:32
	ds_read_b128 v[24:27], v15 offset:48
	v_add_f32_e32 v44, v44, v48
	v_add_f32_e32 v48, v29, v30
	v_fmac_f32_e32 v41, v39, v40
	v_fma_f32 v40, v38, v42, -v28
	ds_read2_b64 v[28:31], v14 offset0:64 offset1:80
	v_add_f32_e32 v40, v36, v40
	v_mul_f32_e32 v38, v38, v43
	v_fmac_f32_e32 v38, v39, v42
	v_add_f32_e32 v42, v37, v38
	s_waitcnt lgkmcnt(0)
	v_mul_f32_e32 v36, v33, v29
	v_fma_f32 v36, v32, v28, -v36
	v_add_f32_e32 v7, v7, v36
	v_mul_f32_e32 v36, v33, v31
	v_mul_f32_e32 v37, v32, v29
	v_fma_f32 v36, v32, v30, -v36
	v_mul_f32_e32 v32, v32, v31
	v_fmac_f32_e32 v37, v33, v28
	v_fmac_f32_e32 v32, v33, v30
	v_add_f32_e32 v33, v47, v36
	v_mul_f32_e32 v36, v21, v29
	v_add_f32_e32 v39, v45, v49
	v_fma_f32 v36, v20, v28, -v36
	v_mul_f32_e32 v29, v20, v29
	v_add_f32_e32 v41, v46, v41
	v_fmac_f32_e32 v29, v21, v28
	v_add_f32_e32 v28, v39, v36
	v_mul_f32_e32 v36, v21, v31
	v_add_f32_e32 v43, v44, v37
	v_add_f32_e32 v29, v41, v29
	v_fma_f32 v41, v20, v30, -v36
	ds_read2_b64 v[36:39], v14 offset0:96 offset1:112
	v_mul_f32_e32 v20, v20, v31
	v_fmac_f32_e32 v20, v21, v30
	v_add_f32_e32 v21, v40, v41
	v_add_f32_e32 v32, v48, v32
	s_waitcnt lgkmcnt(0)
	v_mul_f32_e32 v30, v35, v37
	v_fma_f32 v30, v34, v36, -v30
	v_mul_f32_e32 v31, v34, v37
	v_fmac_f32_e32 v31, v35, v36
	v_add_f32_e32 v7, v7, v30
	v_mul_f32_e32 v30, v35, v39
	v_add_f32_e32 v40, v43, v31
	v_fma_f32 v30, v34, v38, -v30
	v_mul_f32_e32 v31, v34, v39
	v_fmac_f32_e32 v31, v35, v38
	v_add_f32_e32 v33, v33, v30
	v_mul_f32_e32 v30, v23, v37
	v_add_f32_e32 v32, v32, v31
	;; [unrolled: 6-line block ×3, first 2 shown]
	v_fma_f32 v34, v22, v38, -v28
	ds_read2_b64 v[28:31], v14 offset0:128 offset1:144
	v_mul_f32_e32 v22, v22, v39
	v_add_f32_e32 v20, v42, v20
	v_fmac_f32_e32 v22, v23, v38
	v_add_f32_e32 v42, v20, v22
	s_waitcnt lgkmcnt(0)
	v_mul_f32_e32 v20, v17, v29
	v_add_f32_e32 v41, v21, v34
	v_fma_f32 v20, v16, v28, -v20
	v_mul_f32_e32 v21, v16, v29
	v_fmac_f32_e32 v21, v17, v28
	v_add_f32_e32 v7, v7, v20
	v_mul_f32_e32 v20, v17, v31
	v_add_f32_e32 v40, v40, v21
	v_fma_f32 v34, v16, v30, -v20
	ds_read_b128 v[20:23], v15 offset:1056
	v_mul_f32_e32 v16, v16, v31
	v_fmac_f32_e32 v16, v17, v30
	v_add_f32_e32 v17, v33, v34
	v_add_f32_e32 v16, v32, v16
	ds_read_b128 v[32:35], v15 offset:1072
	s_waitcnt lgkmcnt(1)
	v_mul_f32_e32 v38, v21, v29
	v_fma_f32 v38, v20, v28, -v38
	v_mul_f32_e32 v29, v20, v29
	v_fmac_f32_e32 v29, v21, v28
	v_add_f32_e32 v28, v36, v38
	v_mul_f32_e32 v36, v21, v31
	v_add_f32_e32 v29, v37, v29
	v_fma_f32 v43, v20, v30, -v36
	ds_read2_b64 v[36:39], v14 offset0:160 offset1:176
	v_mul_f32_e32 v20, v20, v31
	v_fmac_f32_e32 v20, v21, v30
	v_add_f32_e32 v20, v42, v20
	v_add_f32_e32 v21, v41, v43
	s_waitcnt lgkmcnt(0)
	v_mul_f32_e32 v30, v19, v37
	v_mul_f32_e32 v31, v18, v37
	v_fma_f32 v30, v18, v36, -v30
	v_fmac_f32_e32 v31, v19, v36
	v_add_f32_e32 v7, v7, v30
	v_add_f32_e32 v30, v40, v31
	v_mul_f32_e32 v31, v19, v39
	v_fma_f32 v31, v18, v38, -v31
	v_mul_f32_e32 v18, v18, v39
	v_fmac_f32_e32 v18, v19, v38
	v_add_f32_e32 v40, v16, v18
	v_mul_f32_e32 v16, v23, v37
	v_add_f32_e32 v31, v17, v31
	v_fma_f32 v16, v22, v36, -v16
	v_mul_f32_e32 v17, v22, v37
	v_fmac_f32_e32 v17, v23, v36
	v_add_f32_e32 v28, v28, v16
	v_mul_f32_e32 v16, v23, v39
	v_add_f32_e32 v29, v29, v17
	v_fma_f32 v36, v22, v38, -v16
	ds_read2_b64 v[16:19], v14 offset0:192 offset1:208
	v_mul_f32_e32 v22, v22, v39
	v_fmac_f32_e32 v22, v23, v38
	v_add_f32_e32 v20, v20, v22
	v_add_f32_e32 v21, v21, v36
	s_waitcnt lgkmcnt(0)
	v_mul_f32_e32 v22, v25, v17
	v_mul_f32_e32 v23, v24, v17
	v_fma_f32 v22, v24, v16, -v22
	v_fmac_f32_e32 v23, v25, v16
	v_add_f32_e32 v7, v7, v22
	v_add_f32_e32 v22, v30, v23
	v_mul_f32_e32 v23, v25, v19
	v_fma_f32 v23, v24, v18, -v23
	v_mul_f32_e32 v24, v24, v19
	v_fmac_f32_e32 v24, v25, v18
	v_mul_f32_e32 v25, v33, v17
	v_mul_f32_e32 v17, v32, v17
	v_fma_f32 v25, v32, v16, -v25
	v_fmac_f32_e32 v17, v33, v16
	v_add_f32_e32 v23, v31, v23
	v_add_f32_e32 v16, v28, v25
	;; [unrolled: 1-line block ×3, first 2 shown]
	ds_read2_b64 v[28:31], v14 offset0:224 offset1:240
	v_mul_f32_e32 v25, v33, v19
	v_mul_f32_e32 v19, v32, v19
	v_fmac_f32_e32 v19, v33, v18
	v_add_f32_e32 v19, v20, v19
	s_waitcnt lgkmcnt(0)
	v_mul_f32_e32 v20, v27, v29
	v_fma_f32 v25, v32, v18, -v25
	v_fma_f32 v20, v26, v28, -v20
	v_add_f32_e32 v18, v21, v25
	v_mul_f32_e32 v21, v26, v29
	v_add_f32_e32 v20, v7, v20
	v_mul_f32_e32 v7, v27, v31
	v_mul_f32_e32 v25, v26, v31
	v_add_f32_e32 v24, v40, v24
	v_fmac_f32_e32 v21, v27, v28
	v_fma_f32 v7, v26, v30, -v7
	v_fmac_f32_e32 v25, v27, v30
	v_add_f32_e32 v21, v22, v21
	v_add_f32_e32 v22, v23, v7
	v_add_f32_e32 v23, v24, v25
	v_mul_f32_e32 v7, v35, v29
	v_mul_f32_e32 v24, v34, v29
	v_fma_f32 v7, v34, v28, -v7
	v_fmac_f32_e32 v24, v35, v28
	s_addc_u32 s3, s3, 0
	v_addc_co_u32_e32 v3, vcc, 0, v3, vcc
	v_add_f32_e32 v16, v16, v7
	v_add_f32_e32 v17, v17, v24
	v_mul_f32_e32 v7, v35, v31
	v_mul_f32_e32 v24, v34, v31
	v_cmp_ge_i64_e32 vcc, s[2:3], v[8:9]
	v_fma_f32 v7, v34, v30, -v7
	v_fmac_f32_e32 v24, v35, v30
	v_add_co_u32_e64 v4, s[0:1], 64, v4
	v_add_f32_e32 v18, v18, v7
	v_add_f32_e32 v19, v19, v24
	v_addc_co_u32_e64 v5, s[0:1], 0, v5, s[0:1]
	s_barrier
	s_cbranch_vccnz .LBB1298_12
.LBB1298_3:                             ; =>This Inner Loop Header: Depth=1
	v_mov_b32_e32 v7, s3
	v_add_co_u32_e32 v24, vcc, s2, v10
	v_addc_co_u32_e32 v25, vcc, 0, v7, vcc
	v_cmp_le_i64_e32 vcc, s[12:13], v[24:25]
	s_or_b64 s[0:1], s[6:7], vcc
	s_and_saveexec_b64 s[16:17], s[0:1]
	s_xor_b64 s[0:1], exec, s[16:17]
; %bb.4:                                ;   in Loop: Header=BB1298_3 Depth=1
	ds_write_b32 v12, v6
; %bb.5:                                ;   in Loop: Header=BB1298_3 Depth=1
	s_or_saveexec_b64 s[0:1], s[0:1]
	v_mov_b32_e32 v7, 0
	s_xor_b64 exec, exec, s[0:1]
	s_cbranch_execz .LBB1298_7
; %bb.6:                                ;   in Loop: Header=BB1298_3 Depth=1
	global_load_dwordx2 v[24:25], v[2:3], off offset:-4
	s_waitcnt vmcnt(0)
	v_xor_b32_e32 v7, 0x80000000, v25
	ds_write_b32 v12, v24
.LBB1298_7:                             ;   in Loop: Header=BB1298_3 Depth=1
	s_or_b64 exec, exec, s[0:1]
	v_mov_b32_e32 v25, s3
	v_add_co_u32_e32 v24, vcc, s2, v11
	v_addc_co_u32_e32 v25, vcc, 0, v25, vcc
	v_cmp_le_i64_e32 vcc, s[12:13], v[24:25]
	ds_write_b32 v12, v7 offset:4
	s_or_b64 s[0:1], vcc, s[10:11]
	s_and_saveexec_b64 s[16:17], s[0:1]
	s_xor_b64 s[0:1], exec, s[16:17]
; %bb.8:                                ;   in Loop: Header=BB1298_3 Depth=1
	v_mov_b32_e32 v7, v6
	ds_write_b64 v13, v[6:7]
; %bb.9:                                ;   in Loop: Header=BB1298_3 Depth=1
	s_andn2_saveexec_b64 s[0:1], s[0:1]
	s_cbranch_execz .LBB1298_2
; %bb.10:                               ;   in Loop: Header=BB1298_3 Depth=1
	global_load_dwordx2 v[24:25], v[4:5], off
	s_waitcnt vmcnt(0)
	ds_write_b64 v13, v[24:25]
	s_branch .LBB1298_2
.LBB1298_11:
	v_mov_b32_e32 v20, 0
	v_mov_b32_e32 v21, 0
	;; [unrolled: 1-line block ×8, first 2 shown]
.LBB1298_12:
	s_load_dwordx2 s[6:7], s[4:5], 0x60
	s_load_dwordx4 s[0:3], s[4:5], 0x50
	v_add_u32_e32 v5, s29, v1
	v_ashrrev_i32_e32 v1, 31, v5
	v_add_u32_e32 v0, s28, v0
	s_waitcnt lgkmcnt(0)
	s_mul_i32 s5, s7, s8
	v_mul_lo_u32 v3, s2, v1
	v_mul_lo_u32 v4, s3, v5
	v_mad_u64_u32 v[1:2], s[10:11], s2, v5, 0
	s_mul_hi_u32 s7, s6, s8
	s_mul_i32 s4, s6, s8
	s_add_i32 s5, s7, s5
	s_lshl_b64 s[4:5], s[4:5], 3
	v_add3_u32 v2, v2, v3, v4
	s_add_u32 s6, s0, s4
	v_lshlrev_b64 v[1:2], 3, v[1:2]
	s_addc_u32 s7, s1, s5
	v_mov_b32_e32 v3, s7
	v_add_co_u32_e64 v4, s[0:1], s6, v1
	v_addc_co_u32_e64 v6, s[0:1], v3, v2, s[0:1]
	v_cmp_gt_i32_e32 vcc, s9, v5
	v_cmp_le_i32_e64 s[0:1], v0, v5
	s_and_b64 s[0:1], vcc, s[0:1]
	s_and_saveexec_b64 s[4:5], s[0:1]
	s_cbranch_execz .LBB1298_15
; %bb.13:
	v_mul_f32_e32 v1, s15, v21
	v_fma_f32 v7, v20, s14, -v1
	v_ashrrev_i32_e32 v1, 31, v0
	v_lshlrev_b64 v[1:2], 3, v[0:1]
	v_mul_f32_e32 v8, s14, v21
	v_add_co_u32_e64 v1, s[0:1], v4, v1
	v_addc_co_u32_e64 v2, s[0:1], v6, v2, s[0:1]
	v_fmac_f32_e32 v8, s15, v20
	v_cmp_eq_u32_e64 s[0:1], v5, v0
	global_store_dwordx2 v[1:2], v[7:8], off
	s_and_b64 exec, exec, s[0:1]
	s_cbranch_execz .LBB1298_15
; %bb.14:
	v_mov_b32_e32 v3, 0
	global_store_dword v[1:2], v3, off offset:4
.LBB1298_15:
	s_or_b64 exec, exec, s[4:5]
	v_add_u32_e32 v2, 16, v0
	v_cmp_le_i32_e64 s[0:1], v2, v5
	s_and_b64 s[4:5], vcc, s[0:1]
	s_and_saveexec_b64 s[0:1], s[4:5]
	s_cbranch_execz .LBB1298_18
; %bb.16:
	v_ashrrev_i32_e32 v3, 31, v2
	v_lshlrev_b64 v[9:10], 3, v[2:3]
	v_mul_f32_e32 v1, s15, v23
	v_add_co_u32_e32 v3, vcc, v4, v9
	v_mul_f32_e32 v8, s14, v23
	v_addc_co_u32_e32 v4, vcc, v6, v10, vcc
	v_fma_f32 v7, v22, s14, -v1
	v_fmac_f32_e32 v8, s15, v22
	v_cmp_eq_u32_e32 vcc, v5, v2
	global_store_dwordx2 v[3:4], v[7:8], off
	s_and_b64 exec, exec, vcc
	s_cbranch_execz .LBB1298_18
; %bb.17:
	v_mov_b32_e32 v1, 0
	global_store_dword v[3:4], v1, off offset:4
.LBB1298_18:
	s_or_b64 exec, exec, s[0:1]
	v_add_u32_e32 v8, 16, v5
	v_ashrrev_i32_e32 v1, 31, v8
	v_mul_lo_u32 v1, s2, v1
	v_mul_lo_u32 v6, s3, v8
	v_mad_u64_u32 v[3:4], s[0:1], s2, v8, 0
	v_cmp_gt_i32_e32 vcc, s9, v8
	v_add3_u32 v4, v4, v1, v6
	v_lshlrev_b64 v[3:4], 3, v[3:4]
	v_mov_b32_e32 v1, s7
	v_add_co_u32_e64 v6, s[0:1], s6, v3
	v_addc_co_u32_e64 v7, s[0:1], v1, v4, s[0:1]
	v_cmp_le_i32_e64 s[0:1], v0, v8
	s_and_b64 s[0:1], vcc, s[0:1]
	s_and_saveexec_b64 s[2:3], s[0:1]
	s_cbranch_execz .LBB1298_21
; %bb.19:
	v_mul_f32_e32 v1, s15, v17
	v_fma_f32 v9, v16, s14, -v1
	v_ashrrev_i32_e32 v1, 31, v0
	v_lshlrev_b64 v[3:4], 3, v[0:1]
	v_mul_f32_e32 v10, s14, v17
	v_add_co_u32_e64 v3, s[0:1], v6, v3
	v_addc_co_u32_e64 v4, s[0:1], v7, v4, s[0:1]
	v_fmac_f32_e32 v10, s15, v16
	v_cmp_eq_u32_e64 s[0:1], v8, v0
	global_store_dwordx2 v[3:4], v[9:10], off
	s_and_b64 exec, exec, s[0:1]
	s_cbranch_execz .LBB1298_21
; %bb.20:
	v_mov_b32_e32 v1, 0
	global_store_dword v[3:4], v1, off offset:4
.LBB1298_21:
	s_or_b64 exec, exec, s[2:3]
	v_cmp_le_i32_e64 s[0:1], v2, v8
	s_and_b64 s[0:1], vcc, s[0:1]
	s_and_saveexec_b64 s[2:3], s[0:1]
	s_cbranch_execz .LBB1298_24
; %bb.22:
	v_mul_f32_e32 v1, s15, v19
	v_ashrrev_i32_e32 v3, 31, v2
	v_fma_f32 v8, v18, s14, -v1
	v_lshlrev_b64 v[1:2], 3, v[2:3]
	v_mul_f32_e32 v9, s14, v19
	v_add_co_u32_e32 v1, vcc, v6, v1
	v_addc_co_u32_e32 v2, vcc, v7, v2, vcc
	v_fmac_f32_e32 v9, s15, v18
	v_cmp_eq_u32_e32 vcc, v5, v0
	global_store_dwordx2 v[1:2], v[8:9], off
	s_and_b64 exec, exec, vcc
	s_cbranch_execz .LBB1298_24
; %bb.23:
	v_mov_b32_e32 v0, 0
	global_store_dword v[1:2], v0, off offset:4
.LBB1298_24:
	s_endpgm
	.section	.rodata,"a",@progbits
	.p2align	6, 0x0
	.amdhsa_kernel _ZL34rocblas_syrkx_herkx_general_kernelIl19rocblas_complex_numIfELi16ELi32ELi8ELb1ELb1ELc67ELc85EKS1_S1_EviT_T0_PT8_S3_lS6_S3_lS4_PT9_S3_li
		.amdhsa_group_segment_fixed_size 4096
		.amdhsa_private_segment_fixed_size 0
		.amdhsa_kernarg_size 108
		.amdhsa_user_sgpr_count 6
		.amdhsa_user_sgpr_private_segment_buffer 1
		.amdhsa_user_sgpr_dispatch_ptr 0
		.amdhsa_user_sgpr_queue_ptr 0
		.amdhsa_user_sgpr_kernarg_segment_ptr 1
		.amdhsa_user_sgpr_dispatch_id 0
		.amdhsa_user_sgpr_flat_scratch_init 0
		.amdhsa_user_sgpr_private_segment_size 0
		.amdhsa_uses_dynamic_stack 0
		.amdhsa_system_sgpr_private_segment_wavefront_offset 0
		.amdhsa_system_sgpr_workgroup_id_x 1
		.amdhsa_system_sgpr_workgroup_id_y 1
		.amdhsa_system_sgpr_workgroup_id_z 1
		.amdhsa_system_sgpr_workgroup_info 0
		.amdhsa_system_vgpr_workitem_id 1
		.amdhsa_next_free_vgpr 50
		.amdhsa_next_free_sgpr 30
		.amdhsa_reserve_vcc 1
		.amdhsa_reserve_flat_scratch 0
		.amdhsa_float_round_mode_32 0
		.amdhsa_float_round_mode_16_64 0
		.amdhsa_float_denorm_mode_32 3
		.amdhsa_float_denorm_mode_16_64 3
		.amdhsa_dx10_clamp 1
		.amdhsa_ieee_mode 1
		.amdhsa_fp16_overflow 0
		.amdhsa_exception_fp_ieee_invalid_op 0
		.amdhsa_exception_fp_denorm_src 0
		.amdhsa_exception_fp_ieee_div_zero 0
		.amdhsa_exception_fp_ieee_overflow 0
		.amdhsa_exception_fp_ieee_underflow 0
		.amdhsa_exception_fp_ieee_inexact 0
		.amdhsa_exception_int_div_zero 0
	.end_amdhsa_kernel
	.section	.text._ZL34rocblas_syrkx_herkx_general_kernelIl19rocblas_complex_numIfELi16ELi32ELi8ELb1ELb1ELc67ELc85EKS1_S1_EviT_T0_PT8_S3_lS6_S3_lS4_PT9_S3_li,"axG",@progbits,_ZL34rocblas_syrkx_herkx_general_kernelIl19rocblas_complex_numIfELi16ELi32ELi8ELb1ELb1ELc67ELc85EKS1_S1_EviT_T0_PT8_S3_lS6_S3_lS4_PT9_S3_li,comdat
.Lfunc_end1298:
	.size	_ZL34rocblas_syrkx_herkx_general_kernelIl19rocblas_complex_numIfELi16ELi32ELi8ELb1ELb1ELc67ELc85EKS1_S1_EviT_T0_PT8_S3_lS6_S3_lS4_PT9_S3_li, .Lfunc_end1298-_ZL34rocblas_syrkx_herkx_general_kernelIl19rocblas_complex_numIfELi16ELi32ELi8ELb1ELb1ELc67ELc85EKS1_S1_EviT_T0_PT8_S3_lS6_S3_lS4_PT9_S3_li
                                        ; -- End function
	.set _ZL34rocblas_syrkx_herkx_general_kernelIl19rocblas_complex_numIfELi16ELi32ELi8ELb1ELb1ELc67ELc85EKS1_S1_EviT_T0_PT8_S3_lS6_S3_lS4_PT9_S3_li.num_vgpr, 50
	.set _ZL34rocblas_syrkx_herkx_general_kernelIl19rocblas_complex_numIfELi16ELi32ELi8ELb1ELb1ELc67ELc85EKS1_S1_EviT_T0_PT8_S3_lS6_S3_lS4_PT9_S3_li.num_agpr, 0
	.set _ZL34rocblas_syrkx_herkx_general_kernelIl19rocblas_complex_numIfELi16ELi32ELi8ELb1ELb1ELc67ELc85EKS1_S1_EviT_T0_PT8_S3_lS6_S3_lS4_PT9_S3_li.numbered_sgpr, 30
	.set _ZL34rocblas_syrkx_herkx_general_kernelIl19rocblas_complex_numIfELi16ELi32ELi8ELb1ELb1ELc67ELc85EKS1_S1_EviT_T0_PT8_S3_lS6_S3_lS4_PT9_S3_li.num_named_barrier, 0
	.set _ZL34rocblas_syrkx_herkx_general_kernelIl19rocblas_complex_numIfELi16ELi32ELi8ELb1ELb1ELc67ELc85EKS1_S1_EviT_T0_PT8_S3_lS6_S3_lS4_PT9_S3_li.private_seg_size, 0
	.set _ZL34rocblas_syrkx_herkx_general_kernelIl19rocblas_complex_numIfELi16ELi32ELi8ELb1ELb1ELc67ELc85EKS1_S1_EviT_T0_PT8_S3_lS6_S3_lS4_PT9_S3_li.uses_vcc, 1
	.set _ZL34rocblas_syrkx_herkx_general_kernelIl19rocblas_complex_numIfELi16ELi32ELi8ELb1ELb1ELc67ELc85EKS1_S1_EviT_T0_PT8_S3_lS6_S3_lS4_PT9_S3_li.uses_flat_scratch, 0
	.set _ZL34rocblas_syrkx_herkx_general_kernelIl19rocblas_complex_numIfELi16ELi32ELi8ELb1ELb1ELc67ELc85EKS1_S1_EviT_T0_PT8_S3_lS6_S3_lS4_PT9_S3_li.has_dyn_sized_stack, 0
	.set _ZL34rocblas_syrkx_herkx_general_kernelIl19rocblas_complex_numIfELi16ELi32ELi8ELb1ELb1ELc67ELc85EKS1_S1_EviT_T0_PT8_S3_lS6_S3_lS4_PT9_S3_li.has_recursion, 0
	.set _ZL34rocblas_syrkx_herkx_general_kernelIl19rocblas_complex_numIfELi16ELi32ELi8ELb1ELb1ELc67ELc85EKS1_S1_EviT_T0_PT8_S3_lS6_S3_lS4_PT9_S3_li.has_indirect_call, 0
	.section	.AMDGPU.csdata,"",@progbits
; Kernel info:
; codeLenInByte = 2388
; TotalNumSgprs: 34
; NumVgprs: 50
; ScratchSize: 0
; MemoryBound: 1
; FloatMode: 240
; IeeeMode: 1
; LDSByteSize: 4096 bytes/workgroup (compile time only)
; SGPRBlocks: 4
; VGPRBlocks: 12
; NumSGPRsForWavesPerEU: 34
; NumVGPRsForWavesPerEU: 50
; Occupancy: 4
; WaveLimiterHint : 0
; COMPUTE_PGM_RSRC2:SCRATCH_EN: 0
; COMPUTE_PGM_RSRC2:USER_SGPR: 6
; COMPUTE_PGM_RSRC2:TRAP_HANDLER: 0
; COMPUTE_PGM_RSRC2:TGID_X_EN: 1
; COMPUTE_PGM_RSRC2:TGID_Y_EN: 1
; COMPUTE_PGM_RSRC2:TGID_Z_EN: 1
; COMPUTE_PGM_RSRC2:TIDIG_COMP_CNT: 1
	.section	.text._ZL34rocblas_syrkx_herkx_general_kernelIl19rocblas_complex_numIfELi16ELi32ELi8ELb1ELb1ELc78ELc85EKS1_S1_EviT_T0_PT8_S3_lS6_S3_lS4_PT9_S3_li,"axG",@progbits,_ZL34rocblas_syrkx_herkx_general_kernelIl19rocblas_complex_numIfELi16ELi32ELi8ELb1ELb1ELc78ELc85EKS1_S1_EviT_T0_PT8_S3_lS6_S3_lS4_PT9_S3_li,comdat
	.globl	_ZL34rocblas_syrkx_herkx_general_kernelIl19rocblas_complex_numIfELi16ELi32ELi8ELb1ELb1ELc78ELc85EKS1_S1_EviT_T0_PT8_S3_lS6_S3_lS4_PT9_S3_li ; -- Begin function _ZL34rocblas_syrkx_herkx_general_kernelIl19rocblas_complex_numIfELi16ELi32ELi8ELb1ELb1ELc78ELc85EKS1_S1_EviT_T0_PT8_S3_lS6_S3_lS4_PT9_S3_li
	.p2align	8
	.type	_ZL34rocblas_syrkx_herkx_general_kernelIl19rocblas_complex_numIfELi16ELi32ELi8ELb1ELb1ELc78ELc85EKS1_S1_EviT_T0_PT8_S3_lS6_S3_lS4_PT9_S3_li,@function
_ZL34rocblas_syrkx_herkx_general_kernelIl19rocblas_complex_numIfELi16ELi32ELi8ELb1ELb1ELc78ELc85EKS1_S1_EviT_T0_PT8_S3_lS6_S3_lS4_PT9_S3_li: ; @_ZL34rocblas_syrkx_herkx_general_kernelIl19rocblas_complex_numIfELi16ELi32ELi8ELb1ELb1ELc78ELc85EKS1_S1_EviT_T0_PT8_S3_lS6_S3_lS4_PT9_S3_li
; %bb.0:
	s_load_dwordx16 s[12:27], s[4:5], 0x8
	s_load_dword s9, s[4:5], 0x0
	s_lshl_b32 s28, s6, 5
	s_lshl_b32 s29, s7, 5
	s_waitcnt lgkmcnt(0)
	v_cmp_lt_i64_e64 s[0:1], s[12:13], 1
	s_and_b64 vcc, exec, s[0:1]
	s_cbranch_vccnz .LBB1299_11
; %bb.1:
	v_lshl_add_u32 v2, v1, 4, v0
	v_and_b32_e32 v8, 31, v2
	v_lshrrev_b32_e32 v5, 3, v2
	v_or_b32_e32 v3, s28, v8
	v_lshrrev_b32_e32 v10, 5, v2
	v_lshlrev_b32_e32 v2, 3, v8
	v_cmp_gt_i32_e32 vcc, s9, v3
	v_lshl_or_b32 v12, v10, 8, v2
	v_mad_u64_u32 v[2:3], s[2:3], s18, v10, 0
	v_and_b32_e32 v11, 7, v0
	v_add_u32_e32 v4, s29, v5
	v_lshlrev_b32_e32 v6, 3, v11
	v_lshl_or_b32 v5, v5, 6, v6
	v_mad_u64_u32 v[6:7], s[2:3], s19, v10, v[3:4]
	v_mov_b32_e32 v3, 0x800
	v_lshl_add_u32 v15, v1, 6, v3
	v_mov_b32_e32 v3, v6
	s_mul_i32 s2, s21, s8
	s_mul_hi_u32 s3, s20, s8
	v_lshlrev_b64 v[2:3], 3, v[2:3]
	s_add_i32 s3, s3, s2
	s_mul_i32 s2, s20, s8
	s_lshl_b64 s[2:3], s[2:3], 3
	v_mov_b32_e32 v6, s3
	v_add_co_u32_e64 v7, s[2:3], s2, v2
	v_add_u32_e32 v2, s28, v8
	v_addc_co_u32_e64 v6, s[2:3], v3, v6, s[2:3]
	v_ashrrev_i32_e32 v3, 31, v2
	v_lshlrev_b64 v[2:3], 3, v[2:3]
	s_mul_i32 s10, s27, s8
	v_add_co_u32_e64 v2, s[2:3], v7, v2
	v_addc_co_u32_e64 v3, s[2:3], v6, v3, s[2:3]
	v_mov_b32_e32 v6, s17
	v_add_co_u32_e64 v2, s[2:3], s16, v2
	v_addc_co_u32_e64 v3, s[2:3], v6, v3, s[2:3]
	v_mad_u64_u32 v[6:7], s[2:3], s24, v11, 0
	s_mul_hi_u32 s11, s26, s8
	v_add_u32_e32 v13, 0x800, v5
	v_mad_u64_u32 v[7:8], s[2:3], s25, v11, v[7:8]
	s_add_i32 s3, s11, s10
	s_mul_i32 s2, s26, s8
	v_lshlrev_b64 v[6:7], 3, v[6:7]
	v_ashrrev_i32_e32 v5, 31, v4
	s_lshl_b64 s[2:3], s[2:3], 3
	v_cmp_gt_i32_e64 s[0:1], s9, v4
	v_mov_b32_e32 v8, s3
	v_add_co_u32_e64 v6, s[2:3], s2, v6
	v_lshlrev_b64 v[4:5], 3, v[4:5]
	v_addc_co_u32_e64 v7, s[2:3], v8, v7, s[2:3]
	v_add_co_u32_e64 v4, s[2:3], v6, v4
	v_addc_co_u32_e64 v5, s[2:3], v7, v5, s[2:3]
	v_mov_b32_e32 v6, s23
	v_add_co_u32_e64 v4, s[2:3], s22, v4
	v_addc_co_u32_e64 v5, s[2:3], v6, v5, s[2:3]
	v_add_co_u32_e64 v4, s[2:3], 4, v4
	v_addc_co_u32_e64 v5, s[2:3], 0, v5, s[2:3]
	s_lshl_b64 s[6:7], s[18:19], 6
	s_lshl_b64 s[2:3], s[24:25], 6
	v_mov_b32_e32 v8, s12
	v_lshlrev_b32_e32 v14, 3, v0
	s_mov_b64 s[10:11], 0
	s_xor_b64 s[16:17], vcc, -1
	s_xor_b64 s[18:19], s[0:1], -1
	v_mov_b32_e32 v16, s7
	v_mov_b32_e32 v17, s3
	;; [unrolled: 1-line block ×12, first 2 shown]
	s_branch .LBB1299_3
.LBB1299_2:                             ;   in Loop: Header=BB1299_3 Depth=1
	s_or_b64 exec, exec, s[0:1]
	ds_write_b32 v13, v7 offset:4
	s_waitcnt lgkmcnt(0)
	s_barrier
	ds_read2_b64 v[26:29], v14 offset1:16
	ds_read_b128 v[30:33], v15
	ds_read_b128 v[34:37], v15 offset:16
	s_add_u32 s10, s10, 8
	v_add_co_u32_e32 v2, vcc, s6, v2
	s_waitcnt lgkmcnt(1)
	v_mul_f32_e32 v38, v30, v27
	v_fmac_f32_e32 v38, v31, v26
	v_add_f32_e32 v42, v25, v38
	ds_read_b128 v[38:41], v15 offset:1024
	v_mul_f32_e32 v7, v31, v27
	v_fma_f32 v7, v30, v26, -v7
	v_add_f32_e32 v7, v24, v7
	v_mul_f32_e32 v24, v31, v29
	v_mul_f32_e32 v25, v30, v29
	v_fma_f32 v24, v30, v28, -v24
	v_fmac_f32_e32 v25, v31, v28
	v_add_f32_e32 v30, v22, v24
	v_add_f32_e32 v31, v23, v25
	ds_read_b128 v[22:25], v15 offset:1040
	s_waitcnt lgkmcnt(1)
	v_mul_f32_e32 v43, v39, v27
	v_mul_f32_e32 v44, v38, v27
	v_fma_f32 v43, v38, v26, -v43
	v_fmac_f32_e32 v44, v39, v26
	v_mul_f32_e32 v26, v39, v29
	v_fma_f32 v45, v38, v28, -v26
	v_mul_f32_e32 v38, v38, v29
	v_fmac_f32_e32 v38, v39, v28
	ds_read2_b64 v[26:29], v14 offset0:32 offset1:48
	v_add_f32_e32 v39, v20, v45
	v_add_f32_e32 v38, v21, v38
	;; [unrolled: 1-line block ×4, first 2 shown]
	s_waitcnt lgkmcnt(0)
	v_mul_f32_e32 v20, v33, v27
	v_fma_f32 v20, v32, v26, -v20
	v_mul_f32_e32 v21, v32, v27
	v_fmac_f32_e32 v21, v33, v26
	v_add_f32_e32 v7, v7, v20
	v_mul_f32_e32 v20, v33, v29
	v_add_f32_e32 v42, v42, v21
	v_fma_f32 v20, v32, v28, -v20
	v_mul_f32_e32 v21, v32, v29
	v_fmac_f32_e32 v21, v33, v28
	v_add_f32_e32 v30, v30, v20
	v_mul_f32_e32 v20, v41, v27
	v_add_f32_e32 v31, v31, v21
	;; [unrolled: 6-line block ×3, first 2 shown]
	v_fma_f32 v32, v40, v28, -v18
	ds_read2_b64 v[18:21], v14 offset0:64 offset1:80
	v_mul_f32_e32 v29, v40, v29
	v_fmac_f32_e32 v29, v41, v28
	v_add_f32_e32 v33, v38, v29
	v_add_f32_e32 v32, v39, v32
	s_waitcnt lgkmcnt(0)
	v_mul_f32_e32 v28, v35, v19
	v_fma_f32 v28, v34, v18, -v28
	v_mul_f32_e32 v29, v34, v19
	v_add_f32_e32 v7, v7, v28
	v_mul_f32_e32 v28, v35, v21
	v_fmac_f32_e32 v29, v35, v18
	v_fma_f32 v28, v34, v20, -v28
	v_add_f32_e32 v38, v42, v29
	v_mul_f32_e32 v29, v34, v21
	v_add_f32_e32 v30, v30, v28
	v_mul_f32_e32 v28, v23, v19
	v_mul_f32_e32 v19, v22, v19
	v_fmac_f32_e32 v29, v35, v20
	v_fma_f32 v28, v22, v18, -v28
	v_fmac_f32_e32 v19, v23, v18
	v_add_f32_e32 v31, v31, v29
	v_add_f32_e32 v34, v26, v28
	;; [unrolled: 1-line block ×3, first 2 shown]
	ds_read2_b64 v[26:29], v14 offset0:96 offset1:112
	v_mul_f32_e32 v18, v23, v21
	v_fma_f32 v39, v22, v20, -v18
	v_mul_f32_e32 v22, v22, v21
	v_fmac_f32_e32 v22, v23, v20
	v_add_f32_e32 v23, v32, v39
	s_waitcnt lgkmcnt(0)
	v_mul_f32_e32 v32, v37, v27
	v_fma_f32 v32, v36, v26, -v32
	v_add_f32_e32 v22, v33, v22
	v_mul_f32_e32 v33, v36, v27
	v_add_f32_e32 v7, v7, v32
	v_mul_f32_e32 v32, v37, v29
	v_fmac_f32_e32 v33, v37, v26
	v_fma_f32 v32, v36, v28, -v32
	v_add_f32_e32 v38, v38, v33
	v_mul_f32_e32 v33, v36, v29
	v_add_f32_e32 v39, v30, v32
	v_mul_f32_e32 v30, v25, v27
	v_fmac_f32_e32 v33, v37, v28
	v_fma_f32 v30, v24, v26, -v30
	ds_read_b128 v[18:21], v15 offset:32
	v_add_f32_e32 v40, v31, v33
	v_add_f32_e32 v42, v34, v30
	ds_read2_b64 v[30:33], v14 offset0:128 offset1:144
	v_mul_f32_e32 v27, v24, v27
	v_fmac_f32_e32 v27, v25, v26
	v_mul_f32_e32 v26, v25, v29
	v_fma_f32 v26, v24, v28, -v26
	v_mul_f32_e32 v24, v24, v29
	v_fmac_f32_e32 v24, v25, v28
	v_add_f32_e32 v43, v35, v27
	v_add_f32_e32 v23, v23, v26
	v_add_f32_e32 v22, v22, v24
	ds_read_b128 v[24:27], v15 offset:48
	s_waitcnt lgkmcnt(1)
	v_mul_f32_e32 v28, v19, v31
	ds_read_b128 v[34:37], v15 offset:1056
	v_fma_f32 v28, v18, v30, -v28
	v_add_f32_e32 v7, v7, v28
	v_mul_f32_e32 v28, v19, v33
	v_mul_f32_e32 v29, v18, v31
	v_fma_f32 v28, v18, v32, -v28
	v_mul_f32_e32 v18, v18, v33
	v_fmac_f32_e32 v29, v19, v30
	v_fmac_f32_e32 v18, v19, v32
	v_add_f32_e32 v44, v38, v29
	v_add_f32_e32 v19, v39, v28
	;; [unrolled: 1-line block ×3, first 2 shown]
	ds_read_b128 v[38:41], v15 offset:1072
	s_waitcnt lgkmcnt(1)
	v_mul_f32_e32 v28, v35, v31
	v_fma_f32 v45, v34, v30, -v28
	v_mul_f32_e32 v46, v34, v31
	v_mul_f32_e32 v28, v35, v33
	v_fmac_f32_e32 v46, v35, v30
	v_fma_f32 v47, v34, v32, -v28
	ds_read2_b64 v[28:31], v14 offset0:160 offset1:176
	v_mul_f32_e32 v33, v34, v33
	v_fmac_f32_e32 v33, v35, v32
	v_add_f32_e32 v22, v22, v33
	v_add_f32_e32 v32, v42, v45
	s_waitcnt lgkmcnt(0)
	v_mul_f32_e32 v33, v21, v29
	v_mul_f32_e32 v35, v20, v29
	v_fma_f32 v33, v20, v28, -v33
	v_fmac_f32_e32 v35, v21, v28
	v_add_f32_e32 v7, v7, v33
	v_add_f32_e32 v33, v44, v35
	v_mul_f32_e32 v35, v21, v31
	v_fma_f32 v35, v20, v30, -v35
	v_mul_f32_e32 v20, v20, v31
	v_fmac_f32_e32 v20, v21, v30
	v_add_f32_e32 v42, v18, v20
	v_mul_f32_e32 v18, v37, v29
	v_add_f32_e32 v35, v19, v35
	v_fma_f32 v18, v36, v28, -v18
	v_mul_f32_e32 v19, v36, v29
	v_add_f32_e32 v34, v43, v46
	v_fmac_f32_e32 v19, v37, v28
	v_add_f32_e32 v28, v32, v18
	v_mul_f32_e32 v18, v37, v31
	v_add_f32_e32 v29, v34, v19
	v_fma_f32 v32, v36, v30, -v18
	ds_read2_b64 v[18:21], v14 offset0:192 offset1:208
	v_mul_f32_e32 v31, v36, v31
	v_fmac_f32_e32 v31, v37, v30
	v_add_f32_e32 v22, v22, v31
	v_add_f32_e32 v23, v23, v47
	s_waitcnt lgkmcnt(0)
	v_mul_f32_e32 v30, v25, v19
	v_fma_f32 v30, v24, v18, -v30
	v_add_f32_e32 v7, v7, v30
	v_mul_f32_e32 v30, v25, v21
	v_mul_f32_e32 v31, v24, v19
	v_fma_f32 v30, v24, v20, -v30
	v_mul_f32_e32 v24, v24, v21
	v_fmac_f32_e32 v24, v25, v20
	v_add_f32_e32 v34, v42, v24
	v_mul_f32_e32 v24, v39, v19
	v_mul_f32_e32 v19, v38, v19
	v_fmac_f32_e32 v31, v25, v18
	v_fma_f32 v24, v38, v18, -v24
	v_fmac_f32_e32 v19, v39, v18
	v_add_f32_e32 v23, v23, v32
	v_add_f32_e32 v32, v33, v31
	;; [unrolled: 1-line block ×5, first 2 shown]
	ds_read2_b64 v[28:31], v14 offset0:224 offset1:240
	v_mul_f32_e32 v24, v39, v21
	v_mul_f32_e32 v21, v38, v21
	v_fmac_f32_e32 v21, v39, v20
	v_add_f32_e32 v21, v22, v21
	s_waitcnt lgkmcnt(0)
	v_mul_f32_e32 v22, v27, v29
	v_fma_f32 v24, v38, v20, -v24
	v_fma_f32 v22, v26, v28, -v22
	v_add_f32_e32 v20, v23, v24
	v_mul_f32_e32 v23, v26, v29
	v_add_f32_e32 v24, v7, v22
	v_mul_f32_e32 v7, v27, v31
	v_fmac_f32_e32 v23, v27, v28
	v_fma_f32 v7, v26, v30, -v7
	v_add_f32_e32 v25, v32, v23
	v_mul_f32_e32 v23, v26, v31
	v_add_f32_e32 v22, v33, v7
	v_mul_f32_e32 v7, v41, v29
	v_mul_f32_e32 v26, v40, v29
	v_fma_f32 v7, v40, v28, -v7
	v_fmac_f32_e32 v26, v41, v28
	s_addc_u32 s11, s11, 0
	v_addc_co_u32_e32 v3, vcc, v3, v16, vcc
	v_add_f32_e32 v18, v18, v7
	v_add_f32_e32 v19, v19, v26
	v_mul_f32_e32 v7, v41, v31
	v_mul_f32_e32 v26, v40, v31
	v_cmp_ge_i64_e32 vcc, s[10:11], v[8:9]
	v_fmac_f32_e32 v23, v27, v30
	v_fma_f32 v7, v40, v30, -v7
	v_fmac_f32_e32 v26, v41, v30
	v_add_co_u32_e64 v4, s[0:1], s2, v4
	v_add_f32_e32 v23, v34, v23
	v_add_f32_e32 v20, v20, v7
	;; [unrolled: 1-line block ×3, first 2 shown]
	v_addc_co_u32_e64 v5, s[0:1], v5, v17, s[0:1]
	s_barrier
	s_cbranch_vccnz .LBB1299_12
.LBB1299_3:                             ; =>This Inner Loop Header: Depth=1
	v_mov_b32_e32 v7, s11
	v_add_co_u32_e32 v26, vcc, s10, v10
	v_addc_co_u32_e32 v27, vcc, 0, v7, vcc
	v_cmp_le_i64_e32 vcc, s[12:13], v[26:27]
	s_or_b64 s[0:1], s[16:17], vcc
	s_and_saveexec_b64 s[20:21], s[0:1]
	s_xor_b64 s[0:1], exec, s[20:21]
; %bb.4:                                ;   in Loop: Header=BB1299_3 Depth=1
	v_mov_b32_e32 v7, v6
	ds_write_b64 v12, v[6:7]
; %bb.5:                                ;   in Loop: Header=BB1299_3 Depth=1
	s_andn2_saveexec_b64 s[0:1], s[0:1]
	s_cbranch_execz .LBB1299_7
; %bb.6:                                ;   in Loop: Header=BB1299_3 Depth=1
	global_load_dwordx2 v[26:27], v[2:3], off
	s_waitcnt vmcnt(0)
	ds_write_b64 v12, v[26:27]
.LBB1299_7:                             ;   in Loop: Header=BB1299_3 Depth=1
	s_or_b64 exec, exec, s[0:1]
	v_mov_b32_e32 v7, s11
	v_add_co_u32_e32 v26, vcc, s10, v11
	v_addc_co_u32_e32 v27, vcc, 0, v7, vcc
	v_cmp_le_i64_e32 vcc, s[12:13], v[26:27]
	s_or_b64 s[0:1], vcc, s[18:19]
	s_and_saveexec_b64 s[20:21], s[0:1]
	s_xor_b64 s[0:1], exec, s[20:21]
; %bb.8:                                ;   in Loop: Header=BB1299_3 Depth=1
	ds_write_b32 v13, v6
; %bb.9:                                ;   in Loop: Header=BB1299_3 Depth=1
	s_or_saveexec_b64 s[0:1], s[0:1]
	v_mov_b32_e32 v7, 0
	s_xor_b64 exec, exec, s[0:1]
	s_cbranch_execz .LBB1299_2
; %bb.10:                               ;   in Loop: Header=BB1299_3 Depth=1
	global_load_dwordx2 v[26:27], v[4:5], off offset:-4
	s_waitcnt vmcnt(0)
	v_xor_b32_e32 v7, 0x80000000, v27
	ds_write_b32 v13, v26
	s_branch .LBB1299_2
.LBB1299_11:
	v_mov_b32_e32 v24, 0
	v_mov_b32_e32 v25, 0
	;; [unrolled: 1-line block ×8, first 2 shown]
.LBB1299_12:
	s_load_dwordx2 s[6:7], s[4:5], 0x60
	s_load_dwordx4 s[0:3], s[4:5], 0x50
	v_add_u32_e32 v5, s29, v1
	v_ashrrev_i32_e32 v1, 31, v5
	v_add_u32_e32 v0, s28, v0
	s_waitcnt lgkmcnt(0)
	s_mul_i32 s5, s7, s8
	v_mul_lo_u32 v3, s2, v1
	v_mul_lo_u32 v4, s3, v5
	v_mad_u64_u32 v[1:2], s[10:11], s2, v5, 0
	s_mul_hi_u32 s7, s6, s8
	s_mul_i32 s4, s6, s8
	s_add_i32 s5, s7, s5
	s_lshl_b64 s[4:5], s[4:5], 3
	v_add3_u32 v2, v2, v3, v4
	s_add_u32 s6, s0, s4
	v_lshlrev_b64 v[1:2], 3, v[1:2]
	s_addc_u32 s7, s1, s5
	v_mov_b32_e32 v3, s7
	v_add_co_u32_e64 v4, s[0:1], s6, v1
	v_addc_co_u32_e64 v6, s[0:1], v3, v2, s[0:1]
	v_cmp_gt_i32_e32 vcc, s9, v5
	v_cmp_le_i32_e64 s[0:1], v0, v5
	s_and_b64 s[0:1], vcc, s[0:1]
	s_and_saveexec_b64 s[4:5], s[0:1]
	s_cbranch_execz .LBB1299_15
; %bb.13:
	v_mul_f32_e32 v1, s15, v25
	v_fma_f32 v7, v24, s14, -v1
	v_ashrrev_i32_e32 v1, 31, v0
	v_lshlrev_b64 v[1:2], 3, v[0:1]
	v_mul_f32_e32 v8, s14, v25
	v_add_co_u32_e64 v1, s[0:1], v4, v1
	v_addc_co_u32_e64 v2, s[0:1], v6, v2, s[0:1]
	v_fmac_f32_e32 v8, s15, v24
	v_cmp_eq_u32_e64 s[0:1], v5, v0
	global_store_dwordx2 v[1:2], v[7:8], off
	s_and_b64 exec, exec, s[0:1]
	s_cbranch_execz .LBB1299_15
; %bb.14:
	v_mov_b32_e32 v3, 0
	global_store_dword v[1:2], v3, off offset:4
.LBB1299_15:
	s_or_b64 exec, exec, s[4:5]
	v_add_u32_e32 v2, 16, v0
	v_cmp_le_i32_e64 s[0:1], v2, v5
	s_and_b64 s[4:5], vcc, s[0:1]
	s_and_saveexec_b64 s[0:1], s[4:5]
	s_cbranch_execz .LBB1299_18
; %bb.16:
	v_ashrrev_i32_e32 v3, 31, v2
	v_lshlrev_b64 v[9:10], 3, v[2:3]
	v_mul_f32_e32 v1, s15, v23
	v_add_co_u32_e32 v3, vcc, v4, v9
	v_mul_f32_e32 v8, s14, v23
	v_addc_co_u32_e32 v4, vcc, v6, v10, vcc
	v_fma_f32 v7, v22, s14, -v1
	v_fmac_f32_e32 v8, s15, v22
	v_cmp_eq_u32_e32 vcc, v5, v2
	global_store_dwordx2 v[3:4], v[7:8], off
	s_and_b64 exec, exec, vcc
	s_cbranch_execz .LBB1299_18
; %bb.17:
	v_mov_b32_e32 v1, 0
	global_store_dword v[3:4], v1, off offset:4
.LBB1299_18:
	s_or_b64 exec, exec, s[0:1]
	v_add_u32_e32 v8, 16, v5
	v_ashrrev_i32_e32 v1, 31, v8
	v_mul_lo_u32 v1, s2, v1
	v_mul_lo_u32 v6, s3, v8
	v_mad_u64_u32 v[3:4], s[0:1], s2, v8, 0
	v_cmp_gt_i32_e32 vcc, s9, v8
	v_add3_u32 v4, v4, v1, v6
	v_lshlrev_b64 v[3:4], 3, v[3:4]
	v_mov_b32_e32 v1, s7
	v_add_co_u32_e64 v6, s[0:1], s6, v3
	v_addc_co_u32_e64 v7, s[0:1], v1, v4, s[0:1]
	v_cmp_le_i32_e64 s[0:1], v0, v8
	s_and_b64 s[0:1], vcc, s[0:1]
	s_and_saveexec_b64 s[2:3], s[0:1]
	s_cbranch_execz .LBB1299_21
; %bb.19:
	v_mul_f32_e32 v1, s15, v19
	v_fma_f32 v9, v18, s14, -v1
	v_ashrrev_i32_e32 v1, 31, v0
	v_lshlrev_b64 v[3:4], 3, v[0:1]
	v_mul_f32_e32 v10, s14, v19
	v_add_co_u32_e64 v3, s[0:1], v6, v3
	v_addc_co_u32_e64 v4, s[0:1], v7, v4, s[0:1]
	v_fmac_f32_e32 v10, s15, v18
	v_cmp_eq_u32_e64 s[0:1], v8, v0
	global_store_dwordx2 v[3:4], v[9:10], off
	s_and_b64 exec, exec, s[0:1]
	s_cbranch_execz .LBB1299_21
; %bb.20:
	v_mov_b32_e32 v1, 0
	global_store_dword v[3:4], v1, off offset:4
.LBB1299_21:
	s_or_b64 exec, exec, s[2:3]
	v_cmp_le_i32_e64 s[0:1], v2, v8
	s_and_b64 s[0:1], vcc, s[0:1]
	s_and_saveexec_b64 s[2:3], s[0:1]
	s_cbranch_execz .LBB1299_24
; %bb.22:
	v_mul_f32_e32 v1, s15, v21
	v_ashrrev_i32_e32 v3, 31, v2
	v_fma_f32 v8, v20, s14, -v1
	v_lshlrev_b64 v[1:2], 3, v[2:3]
	v_mul_f32_e32 v9, s14, v21
	v_add_co_u32_e32 v1, vcc, v6, v1
	v_addc_co_u32_e32 v2, vcc, v7, v2, vcc
	v_fmac_f32_e32 v9, s15, v20
	v_cmp_eq_u32_e32 vcc, v5, v0
	global_store_dwordx2 v[1:2], v[8:9], off
	s_and_b64 exec, exec, vcc
	s_cbranch_execz .LBB1299_24
; %bb.23:
	v_mov_b32_e32 v0, 0
	global_store_dword v[1:2], v0, off offset:4
.LBB1299_24:
	s_endpgm
	.section	.rodata,"a",@progbits
	.p2align	6, 0x0
	.amdhsa_kernel _ZL34rocblas_syrkx_herkx_general_kernelIl19rocblas_complex_numIfELi16ELi32ELi8ELb1ELb1ELc78ELc85EKS1_S1_EviT_T0_PT8_S3_lS6_S3_lS4_PT9_S3_li
		.amdhsa_group_segment_fixed_size 4096
		.amdhsa_private_segment_fixed_size 0
		.amdhsa_kernarg_size 108
		.amdhsa_user_sgpr_count 6
		.amdhsa_user_sgpr_private_segment_buffer 1
		.amdhsa_user_sgpr_dispatch_ptr 0
		.amdhsa_user_sgpr_queue_ptr 0
		.amdhsa_user_sgpr_kernarg_segment_ptr 1
		.amdhsa_user_sgpr_dispatch_id 0
		.amdhsa_user_sgpr_flat_scratch_init 0
		.amdhsa_user_sgpr_private_segment_size 0
		.amdhsa_uses_dynamic_stack 0
		.amdhsa_system_sgpr_private_segment_wavefront_offset 0
		.amdhsa_system_sgpr_workgroup_id_x 1
		.amdhsa_system_sgpr_workgroup_id_y 1
		.amdhsa_system_sgpr_workgroup_id_z 1
		.amdhsa_system_sgpr_workgroup_info 0
		.amdhsa_system_vgpr_workitem_id 1
		.amdhsa_next_free_vgpr 48
		.amdhsa_next_free_sgpr 30
		.amdhsa_reserve_vcc 1
		.amdhsa_reserve_flat_scratch 0
		.amdhsa_float_round_mode_32 0
		.amdhsa_float_round_mode_16_64 0
		.amdhsa_float_denorm_mode_32 3
		.amdhsa_float_denorm_mode_16_64 3
		.amdhsa_dx10_clamp 1
		.amdhsa_ieee_mode 1
		.amdhsa_fp16_overflow 0
		.amdhsa_exception_fp_ieee_invalid_op 0
		.amdhsa_exception_fp_denorm_src 0
		.amdhsa_exception_fp_ieee_div_zero 0
		.amdhsa_exception_fp_ieee_overflow 0
		.amdhsa_exception_fp_ieee_underflow 0
		.amdhsa_exception_fp_ieee_inexact 0
		.amdhsa_exception_int_div_zero 0
	.end_amdhsa_kernel
	.section	.text._ZL34rocblas_syrkx_herkx_general_kernelIl19rocblas_complex_numIfELi16ELi32ELi8ELb1ELb1ELc78ELc85EKS1_S1_EviT_T0_PT8_S3_lS6_S3_lS4_PT9_S3_li,"axG",@progbits,_ZL34rocblas_syrkx_herkx_general_kernelIl19rocblas_complex_numIfELi16ELi32ELi8ELb1ELb1ELc78ELc85EKS1_S1_EviT_T0_PT8_S3_lS6_S3_lS4_PT9_S3_li,comdat
.Lfunc_end1299:
	.size	_ZL34rocblas_syrkx_herkx_general_kernelIl19rocblas_complex_numIfELi16ELi32ELi8ELb1ELb1ELc78ELc85EKS1_S1_EviT_T0_PT8_S3_lS6_S3_lS4_PT9_S3_li, .Lfunc_end1299-_ZL34rocblas_syrkx_herkx_general_kernelIl19rocblas_complex_numIfELi16ELi32ELi8ELb1ELb1ELc78ELc85EKS1_S1_EviT_T0_PT8_S3_lS6_S3_lS4_PT9_S3_li
                                        ; -- End function
	.set _ZL34rocblas_syrkx_herkx_general_kernelIl19rocblas_complex_numIfELi16ELi32ELi8ELb1ELb1ELc78ELc85EKS1_S1_EviT_T0_PT8_S3_lS6_S3_lS4_PT9_S3_li.num_vgpr, 48
	.set _ZL34rocblas_syrkx_herkx_general_kernelIl19rocblas_complex_numIfELi16ELi32ELi8ELb1ELb1ELc78ELc85EKS1_S1_EviT_T0_PT8_S3_lS6_S3_lS4_PT9_S3_li.num_agpr, 0
	.set _ZL34rocblas_syrkx_herkx_general_kernelIl19rocblas_complex_numIfELi16ELi32ELi8ELb1ELb1ELc78ELc85EKS1_S1_EviT_T0_PT8_S3_lS6_S3_lS4_PT9_S3_li.numbered_sgpr, 30
	.set _ZL34rocblas_syrkx_herkx_general_kernelIl19rocblas_complex_numIfELi16ELi32ELi8ELb1ELb1ELc78ELc85EKS1_S1_EviT_T0_PT8_S3_lS6_S3_lS4_PT9_S3_li.num_named_barrier, 0
	.set _ZL34rocblas_syrkx_herkx_general_kernelIl19rocblas_complex_numIfELi16ELi32ELi8ELb1ELb1ELc78ELc85EKS1_S1_EviT_T0_PT8_S3_lS6_S3_lS4_PT9_S3_li.private_seg_size, 0
	.set _ZL34rocblas_syrkx_herkx_general_kernelIl19rocblas_complex_numIfELi16ELi32ELi8ELb1ELb1ELc78ELc85EKS1_S1_EviT_T0_PT8_S3_lS6_S3_lS4_PT9_S3_li.uses_vcc, 1
	.set _ZL34rocblas_syrkx_herkx_general_kernelIl19rocblas_complex_numIfELi16ELi32ELi8ELb1ELb1ELc78ELc85EKS1_S1_EviT_T0_PT8_S3_lS6_S3_lS4_PT9_S3_li.uses_flat_scratch, 0
	.set _ZL34rocblas_syrkx_herkx_general_kernelIl19rocblas_complex_numIfELi16ELi32ELi8ELb1ELb1ELc78ELc85EKS1_S1_EviT_T0_PT8_S3_lS6_S3_lS4_PT9_S3_li.has_dyn_sized_stack, 0
	.set _ZL34rocblas_syrkx_herkx_general_kernelIl19rocblas_complex_numIfELi16ELi32ELi8ELb1ELb1ELc78ELc85EKS1_S1_EviT_T0_PT8_S3_lS6_S3_lS4_PT9_S3_li.has_recursion, 0
	.set _ZL34rocblas_syrkx_herkx_general_kernelIl19rocblas_complex_numIfELi16ELi32ELi8ELb1ELb1ELc78ELc85EKS1_S1_EviT_T0_PT8_S3_lS6_S3_lS4_PT9_S3_li.has_indirect_call, 0
	.section	.AMDGPU.csdata,"",@progbits
; Kernel info:
; codeLenInByte = 2388
; TotalNumSgprs: 34
; NumVgprs: 48
; ScratchSize: 0
; MemoryBound: 1
; FloatMode: 240
; IeeeMode: 1
; LDSByteSize: 4096 bytes/workgroup (compile time only)
; SGPRBlocks: 4
; VGPRBlocks: 11
; NumSGPRsForWavesPerEU: 34
; NumVGPRsForWavesPerEU: 48
; Occupancy: 5
; WaveLimiterHint : 0
; COMPUTE_PGM_RSRC2:SCRATCH_EN: 0
; COMPUTE_PGM_RSRC2:USER_SGPR: 6
; COMPUTE_PGM_RSRC2:TRAP_HANDLER: 0
; COMPUTE_PGM_RSRC2:TGID_X_EN: 1
; COMPUTE_PGM_RSRC2:TGID_Y_EN: 1
; COMPUTE_PGM_RSRC2:TGID_Z_EN: 1
; COMPUTE_PGM_RSRC2:TIDIG_COMP_CNT: 1
	.section	.text._ZL34rocblas_syrkx_herkx_general_kernelIl19rocblas_complex_numIfELi16ELi32ELi8ELb0ELb1ELc84ELc76EKS1_S1_EviT_T0_PT8_S3_lS6_S3_lS4_PT9_S3_li,"axG",@progbits,_ZL34rocblas_syrkx_herkx_general_kernelIl19rocblas_complex_numIfELi16ELi32ELi8ELb0ELb1ELc84ELc76EKS1_S1_EviT_T0_PT8_S3_lS6_S3_lS4_PT9_S3_li,comdat
	.globl	_ZL34rocblas_syrkx_herkx_general_kernelIl19rocblas_complex_numIfELi16ELi32ELi8ELb0ELb1ELc84ELc76EKS1_S1_EviT_T0_PT8_S3_lS6_S3_lS4_PT9_S3_li ; -- Begin function _ZL34rocblas_syrkx_herkx_general_kernelIl19rocblas_complex_numIfELi16ELi32ELi8ELb0ELb1ELc84ELc76EKS1_S1_EviT_T0_PT8_S3_lS6_S3_lS4_PT9_S3_li
	.p2align	8
	.type	_ZL34rocblas_syrkx_herkx_general_kernelIl19rocblas_complex_numIfELi16ELi32ELi8ELb0ELb1ELc84ELc76EKS1_S1_EviT_T0_PT8_S3_lS6_S3_lS4_PT9_S3_li,@function
_ZL34rocblas_syrkx_herkx_general_kernelIl19rocblas_complex_numIfELi16ELi32ELi8ELb0ELb1ELc84ELc76EKS1_S1_EviT_T0_PT8_S3_lS6_S3_lS4_PT9_S3_li: ; @_ZL34rocblas_syrkx_herkx_general_kernelIl19rocblas_complex_numIfELi16ELi32ELi8ELb0ELb1ELc84ELc76EKS1_S1_EviT_T0_PT8_S3_lS6_S3_lS4_PT9_S3_li
; %bb.0:
	s_load_dwordx16 s[12:27], s[4:5], 0x8
	s_load_dword s9, s[4:5], 0x0
	s_lshl_b32 s28, s6, 5
	s_lshl_b32 s29, s7, 5
	s_waitcnt lgkmcnt(0)
	v_cmp_lt_i64_e64 s[0:1], s[12:13], 1
	s_and_b64 vcc, exec, s[0:1]
	s_cbranch_vccnz .LBB1300_11
; %bb.1:
	v_lshl_add_u32 v2, v1, 4, v0
	v_and_b32_e32 v5, 31, v2
	v_or_b32_e32 v6, s28, v5
	v_and_b32_e32 v11, 7, v0
	v_lshrrev_b32_e32 v3, 3, v2
	v_lshrrev_b32_e32 v10, 5, v2
	v_cmp_gt_i32_e32 vcc, s9, v6
	v_lshlrev_b32_e32 v2, 3, v5
	v_lshlrev_b32_e32 v6, 3, v11
	v_lshl_or_b32 v12, v10, 8, v2
	v_lshl_or_b32 v2, v3, 6, v6
	v_add_u32_e32 v13, 0x800, v2
	v_add_u32_e32 v2, s28, v5
	v_add_u32_e32 v4, s29, v3
	v_ashrrev_i32_e32 v3, 31, v2
	v_mul_lo_u32 v5, s18, v3
	v_mul_lo_u32 v8, s19, v2
	v_mad_u64_u32 v[2:3], s[2:3], s18, v2, 0
	s_mul_i32 s2, s21, s8
	s_mul_hi_u32 s3, s20, s8
	v_add3_u32 v3, v3, v5, v8
	v_lshlrev_b64 v[2:3], 3, v[2:3]
	s_add_i32 s3, s3, s2
	s_mul_i32 s2, s20, s8
	s_lshl_b64 s[2:3], s[2:3], 3
	v_mov_b32_e32 v5, s3
	v_add_co_u32_e64 v2, s[2:3], s2, v2
	v_addc_co_u32_e64 v3, s[2:3], v3, v5, s[2:3]
	v_lshlrev_b32_e32 v5, 3, v10
	v_ashrrev_i32_e32 v7, 31, v4
	v_mov_b32_e32 v9, 0x800
	v_add_co_u32_e64 v2, s[2:3], v2, v5
	v_cmp_gt_i32_e64 s[0:1], s9, v4
	v_lshl_add_u32 v15, v1, 6, v9
	v_addc_co_u32_e64 v3, s[2:3], 0, v3, s[2:3]
	v_mul_lo_u32 v7, s24, v7
	v_mul_lo_u32 v9, s25, v4
	v_mad_u64_u32 v[4:5], s[2:3], s24, v4, 0
	v_mov_b32_e32 v8, s17
	v_add_co_u32_e64 v2, s[2:3], s16, v2
	v_addc_co_u32_e64 v3, s[2:3], v8, v3, s[2:3]
	v_add3_u32 v5, v5, v7, v9
	s_mul_i32 s2, s27, s8
	s_mul_hi_u32 s3, s26, s8
	v_lshlrev_b64 v[4:5], 3, v[4:5]
	s_add_i32 s3, s3, s2
	s_mul_i32 s2, s26, s8
	s_lshl_b64 s[2:3], s[2:3], 3
	v_mov_b32_e32 v7, s3
	v_add_co_u32_e64 v4, s[2:3], s2, v4
	v_addc_co_u32_e64 v5, s[2:3], v5, v7, s[2:3]
	v_add_co_u32_e64 v4, s[2:3], v4, v6
	v_addc_co_u32_e64 v5, s[2:3], 0, v5, s[2:3]
	v_mov_b32_e32 v6, s23
	v_add_co_u32_e64 v4, s[2:3], s22, v4
	v_addc_co_u32_e64 v5, s[2:3], v6, v5, s[2:3]
	v_mov_b32_e32 v8, s12
	v_lshlrev_b32_e32 v14, 3, v0
	s_mov_b64 s[2:3], 0
	s_xor_b64 s[6:7], vcc, -1
	s_xor_b64 s[10:11], s[0:1], -1
	v_mov_b32_e32 v19, 0
	v_mov_b32_e32 v18, 0
	;; [unrolled: 1-line block ×10, first 2 shown]
	s_branch .LBB1300_3
.LBB1300_2:                             ;   in Loop: Header=BB1300_3 Depth=1
	s_or_b64 exec, exec, s[0:1]
	s_waitcnt lgkmcnt(0)
	s_barrier
	ds_read2_b64 v[24:27], v14 offset1:16
	ds_read_b128 v[28:31], v15
	ds_read_b128 v[32:35], v15 offset:16
	s_add_u32 s2, s2, 8
	v_add_co_u32_e32 v2, vcc, 64, v2
	s_waitcnt lgkmcnt(1)
	v_mul_f32_e32 v36, v28, v25
	v_fmac_f32_e32 v36, v29, v24
	v_add_f32_e32 v44, v22, v36
	ds_read_b128 v[36:39], v15 offset:1024
	v_mul_f32_e32 v7, v29, v25
	v_fma_f32 v7, v28, v24, -v7
	v_add_f32_e32 v7, v20, v7
	v_mul_f32_e32 v20, v29, v27
	v_mul_f32_e32 v22, v28, v27
	v_fma_f32 v20, v28, v26, -v20
	v_fmac_f32_e32 v22, v29, v26
	v_add_f32_e32 v28, v21, v20
	v_add_f32_e32 v29, v23, v22
	ds_read_b128 v[20:23], v15 offset:1040
	s_waitcnt lgkmcnt(1)
	v_mul_f32_e32 v40, v37, v25
	v_fma_f32 v40, v36, v24, -v40
	v_add_f32_e32 v45, v16, v40
	ds_read2_b64 v[40:43], v14 offset0:32 offset1:48
	v_mul_f32_e32 v25, v36, v25
	v_mul_f32_e32 v16, v37, v27
	v_fmac_f32_e32 v25, v37, v24
	v_fma_f32 v16, v36, v26, -v16
	v_add_f32_e32 v46, v17, v25
	v_mul_f32_e32 v17, v36, v27
	v_add_f32_e32 v36, v18, v16
	s_waitcnt lgkmcnt(0)
	v_mul_f32_e32 v16, v31, v41
	v_fma_f32 v47, v30, v40, -v16
	v_mul_f32_e32 v16, v31, v43
	v_fma_f32 v49, v30, v42, -v16
	v_mul_f32_e32 v48, v30, v41
	v_mul_f32_e32 v30, v30, v43
	v_add_f32_e32 v7, v7, v47
	v_add_f32_e32 v47, v28, v49
	v_mul_f32_e32 v28, v39, v41
	v_fmac_f32_e32 v17, v37, v26
	v_fmac_f32_e32 v48, v31, v40
	v_fmac_f32_e32 v30, v31, v42
	v_fma_f32 v49, v38, v40, -v28
	v_mul_f32_e32 v41, v38, v41
	v_mul_f32_e32 v28, v39, v43
	v_add_f32_e32 v37, v19, v17
	ds_read_b128 v[16:19], v15 offset:32
	ds_read_b128 v[24:27], v15 offset:48
	v_add_f32_e32 v44, v44, v48
	v_add_f32_e32 v48, v29, v30
	v_fmac_f32_e32 v41, v39, v40
	v_fma_f32 v40, v38, v42, -v28
	ds_read2_b64 v[28:31], v14 offset0:64 offset1:80
	v_add_f32_e32 v40, v36, v40
	v_mul_f32_e32 v38, v38, v43
	v_fmac_f32_e32 v38, v39, v42
	v_add_f32_e32 v42, v37, v38
	s_waitcnt lgkmcnt(0)
	v_mul_f32_e32 v36, v33, v29
	v_fma_f32 v36, v32, v28, -v36
	v_add_f32_e32 v7, v7, v36
	v_mul_f32_e32 v36, v33, v31
	v_mul_f32_e32 v37, v32, v29
	v_fma_f32 v36, v32, v30, -v36
	v_mul_f32_e32 v32, v32, v31
	v_fmac_f32_e32 v37, v33, v28
	v_fmac_f32_e32 v32, v33, v30
	v_add_f32_e32 v33, v47, v36
	v_mul_f32_e32 v36, v21, v29
	v_add_f32_e32 v39, v45, v49
	v_fma_f32 v36, v20, v28, -v36
	v_mul_f32_e32 v29, v20, v29
	v_add_f32_e32 v41, v46, v41
	v_fmac_f32_e32 v29, v21, v28
	v_add_f32_e32 v28, v39, v36
	v_mul_f32_e32 v36, v21, v31
	v_add_f32_e32 v43, v44, v37
	v_add_f32_e32 v29, v41, v29
	v_fma_f32 v41, v20, v30, -v36
	ds_read2_b64 v[36:39], v14 offset0:96 offset1:112
	v_mul_f32_e32 v20, v20, v31
	v_fmac_f32_e32 v20, v21, v30
	v_add_f32_e32 v21, v40, v41
	v_add_f32_e32 v32, v48, v32
	s_waitcnt lgkmcnt(0)
	v_mul_f32_e32 v30, v35, v37
	v_fma_f32 v30, v34, v36, -v30
	v_mul_f32_e32 v31, v34, v37
	v_fmac_f32_e32 v31, v35, v36
	v_add_f32_e32 v7, v7, v30
	v_mul_f32_e32 v30, v35, v39
	v_add_f32_e32 v40, v43, v31
	v_fma_f32 v30, v34, v38, -v30
	v_mul_f32_e32 v31, v34, v39
	v_fmac_f32_e32 v31, v35, v38
	v_add_f32_e32 v33, v33, v30
	v_mul_f32_e32 v30, v23, v37
	v_add_f32_e32 v32, v32, v31
	;; [unrolled: 6-line block ×3, first 2 shown]
	v_fma_f32 v34, v22, v38, -v28
	ds_read2_b64 v[28:31], v14 offset0:128 offset1:144
	v_mul_f32_e32 v22, v22, v39
	v_add_f32_e32 v20, v42, v20
	v_fmac_f32_e32 v22, v23, v38
	v_add_f32_e32 v42, v20, v22
	s_waitcnt lgkmcnt(0)
	v_mul_f32_e32 v20, v17, v29
	v_add_f32_e32 v41, v21, v34
	v_fma_f32 v20, v16, v28, -v20
	v_mul_f32_e32 v21, v16, v29
	v_fmac_f32_e32 v21, v17, v28
	v_add_f32_e32 v7, v7, v20
	v_mul_f32_e32 v20, v17, v31
	v_add_f32_e32 v40, v40, v21
	v_fma_f32 v34, v16, v30, -v20
	ds_read_b128 v[20:23], v15 offset:1056
	v_mul_f32_e32 v16, v16, v31
	v_fmac_f32_e32 v16, v17, v30
	v_add_f32_e32 v17, v33, v34
	v_add_f32_e32 v16, v32, v16
	ds_read_b128 v[32:35], v15 offset:1072
	s_waitcnt lgkmcnt(1)
	v_mul_f32_e32 v38, v21, v29
	v_fma_f32 v38, v20, v28, -v38
	v_mul_f32_e32 v29, v20, v29
	v_fmac_f32_e32 v29, v21, v28
	v_add_f32_e32 v28, v36, v38
	v_mul_f32_e32 v36, v21, v31
	v_add_f32_e32 v29, v37, v29
	v_fma_f32 v43, v20, v30, -v36
	ds_read2_b64 v[36:39], v14 offset0:160 offset1:176
	v_mul_f32_e32 v20, v20, v31
	v_fmac_f32_e32 v20, v21, v30
	v_add_f32_e32 v20, v42, v20
	v_add_f32_e32 v21, v41, v43
	s_waitcnt lgkmcnt(0)
	v_mul_f32_e32 v30, v19, v37
	v_mul_f32_e32 v31, v18, v37
	v_fma_f32 v30, v18, v36, -v30
	v_fmac_f32_e32 v31, v19, v36
	v_add_f32_e32 v7, v7, v30
	v_add_f32_e32 v30, v40, v31
	v_mul_f32_e32 v31, v19, v39
	v_fma_f32 v31, v18, v38, -v31
	v_mul_f32_e32 v18, v18, v39
	v_fmac_f32_e32 v18, v19, v38
	v_add_f32_e32 v40, v16, v18
	v_mul_f32_e32 v16, v23, v37
	v_add_f32_e32 v31, v17, v31
	v_fma_f32 v16, v22, v36, -v16
	v_mul_f32_e32 v17, v22, v37
	v_fmac_f32_e32 v17, v23, v36
	v_add_f32_e32 v28, v28, v16
	v_mul_f32_e32 v16, v23, v39
	v_add_f32_e32 v29, v29, v17
	v_fma_f32 v36, v22, v38, -v16
	ds_read2_b64 v[16:19], v14 offset0:192 offset1:208
	v_mul_f32_e32 v22, v22, v39
	v_fmac_f32_e32 v22, v23, v38
	v_add_f32_e32 v20, v20, v22
	v_add_f32_e32 v21, v21, v36
	s_waitcnt lgkmcnt(0)
	v_mul_f32_e32 v22, v25, v17
	v_mul_f32_e32 v23, v24, v17
	v_fma_f32 v22, v24, v16, -v22
	v_fmac_f32_e32 v23, v25, v16
	v_add_f32_e32 v7, v7, v22
	v_add_f32_e32 v22, v30, v23
	v_mul_f32_e32 v23, v25, v19
	v_fma_f32 v23, v24, v18, -v23
	v_mul_f32_e32 v24, v24, v19
	v_fmac_f32_e32 v24, v25, v18
	v_mul_f32_e32 v25, v33, v17
	v_mul_f32_e32 v17, v32, v17
	v_fma_f32 v25, v32, v16, -v25
	v_fmac_f32_e32 v17, v33, v16
	v_add_f32_e32 v23, v31, v23
	v_add_f32_e32 v16, v28, v25
	;; [unrolled: 1-line block ×3, first 2 shown]
	ds_read2_b64 v[28:31], v14 offset0:224 offset1:240
	v_mul_f32_e32 v25, v33, v19
	v_mul_f32_e32 v19, v32, v19
	v_fmac_f32_e32 v19, v33, v18
	v_add_f32_e32 v19, v20, v19
	s_waitcnt lgkmcnt(0)
	v_mul_f32_e32 v20, v27, v29
	v_fma_f32 v25, v32, v18, -v25
	v_fma_f32 v20, v26, v28, -v20
	v_add_f32_e32 v18, v21, v25
	v_mul_f32_e32 v21, v26, v29
	v_add_f32_e32 v20, v7, v20
	v_mul_f32_e32 v7, v27, v31
	v_mul_f32_e32 v25, v26, v31
	v_add_f32_e32 v24, v40, v24
	v_fmac_f32_e32 v21, v27, v28
	v_fma_f32 v7, v26, v30, -v7
	v_fmac_f32_e32 v25, v27, v30
	v_add_f32_e32 v22, v22, v21
	v_add_f32_e32 v21, v23, v7
	;; [unrolled: 1-line block ×3, first 2 shown]
	v_mul_f32_e32 v7, v35, v29
	v_mul_f32_e32 v24, v34, v29
	v_fma_f32 v7, v34, v28, -v7
	v_fmac_f32_e32 v24, v35, v28
	s_addc_u32 s3, s3, 0
	v_addc_co_u32_e32 v3, vcc, 0, v3, vcc
	v_add_f32_e32 v16, v16, v7
	v_add_f32_e32 v17, v17, v24
	v_mul_f32_e32 v7, v35, v31
	v_mul_f32_e32 v24, v34, v31
	v_cmp_ge_i64_e32 vcc, s[2:3], v[8:9]
	v_fma_f32 v7, v34, v30, -v7
	v_fmac_f32_e32 v24, v35, v30
	v_add_co_u32_e64 v4, s[0:1], 64, v4
	v_add_f32_e32 v18, v18, v7
	v_add_f32_e32 v19, v19, v24
	v_addc_co_u32_e64 v5, s[0:1], 0, v5, s[0:1]
	s_barrier
	s_cbranch_vccnz .LBB1300_12
.LBB1300_3:                             ; =>This Inner Loop Header: Depth=1
	v_mov_b32_e32 v7, s3
	v_add_co_u32_e32 v24, vcc, s2, v10
	v_addc_co_u32_e32 v25, vcc, 0, v7, vcc
	v_cmp_le_i64_e32 vcc, s[12:13], v[24:25]
	s_or_b64 s[0:1], s[6:7], vcc
	s_and_saveexec_b64 s[16:17], s[0:1]
	s_xor_b64 s[0:1], exec, s[16:17]
; %bb.4:                                ;   in Loop: Header=BB1300_3 Depth=1
	v_mov_b32_e32 v7, v6
	ds_write_b64 v12, v[6:7]
; %bb.5:                                ;   in Loop: Header=BB1300_3 Depth=1
	s_andn2_saveexec_b64 s[0:1], s[0:1]
	s_cbranch_execz .LBB1300_7
; %bb.6:                                ;   in Loop: Header=BB1300_3 Depth=1
	global_load_dwordx2 v[24:25], v[2:3], off
	s_waitcnt vmcnt(0)
	ds_write_b64 v12, v[24:25]
.LBB1300_7:                             ;   in Loop: Header=BB1300_3 Depth=1
	s_or_b64 exec, exec, s[0:1]
	v_mov_b32_e32 v7, s3
	v_add_co_u32_e32 v24, vcc, s2, v11
	v_addc_co_u32_e32 v25, vcc, 0, v7, vcc
	v_cmp_le_i64_e32 vcc, s[12:13], v[24:25]
	s_or_b64 s[0:1], vcc, s[10:11]
	s_and_saveexec_b64 s[16:17], s[0:1]
	s_xor_b64 s[0:1], exec, s[16:17]
; %bb.8:                                ;   in Loop: Header=BB1300_3 Depth=1
	v_mov_b32_e32 v7, v6
	ds_write_b64 v13, v[6:7]
; %bb.9:                                ;   in Loop: Header=BB1300_3 Depth=1
	s_andn2_saveexec_b64 s[0:1], s[0:1]
	s_cbranch_execz .LBB1300_2
; %bb.10:                               ;   in Loop: Header=BB1300_3 Depth=1
	global_load_dwordx2 v[24:25], v[4:5], off
	s_waitcnt vmcnt(0)
	ds_write_b64 v13, v[24:25]
	s_branch .LBB1300_2
.LBB1300_11:
	v_mov_b32_e32 v20, 0
	v_mov_b32_e32 v22, 0
	;; [unrolled: 1-line block ×8, first 2 shown]
.LBB1300_12:
	s_load_dwordx8 s[16:23], s[4:5], 0x48
	v_add_u32_e32 v5, s29, v1
	v_ashrrev_i32_e32 v1, 31, v5
	v_add_u32_e32 v0, s28, v0
	s_waitcnt lgkmcnt(0)
	v_mul_lo_u32 v3, s20, v1
	v_mul_lo_u32 v4, s21, v5
	v_mad_u64_u32 v[1:2], s[2:3], s20, v5, 0
	s_mul_i32 s0, s23, s8
	s_mul_hi_u32 s1, s22, s8
	s_add_i32 s1, s1, s0
	s_mul_i32 s0, s22, s8
	s_lshl_b64 s[0:1], s[0:1], 3
	v_add3_u32 v2, v2, v3, v4
	s_add_u32 s6, s18, s0
	v_lshlrev_b64 v[1:2], 3, v[1:2]
	s_addc_u32 s7, s19, s1
	v_mov_b32_e32 v3, s7
	v_add_co_u32_e32 v4, vcc, s6, v1
	v_addc_co_u32_e32 v6, vcc, v3, v2, vcc
	v_cmp_le_i32_e64 s[0:1], v5, v0
	v_cmp_gt_i32_e32 vcc, s9, v0
	s_and_b64 s[0:1], s[0:1], vcc
	s_and_saveexec_b64 s[2:3], s[0:1]
	s_cbranch_execz .LBB1300_15
; %bb.13:
	v_ashrrev_i32_e32 v1, 31, v0
	v_lshlrev_b64 v[1:2], 3, v[0:1]
	v_mul_f32_e32 v3, s15, v22
	v_add_co_u32_e64 v1, s[0:1], v4, v1
	v_addc_co_u32_e64 v2, s[0:1], v6, v2, s[0:1]
	global_load_dwordx2 v[7:8], v[1:2], off
	v_mul_f32_e32 v9, s14, v22
	v_fma_f32 v3, v20, s14, -v3
	v_fmac_f32_e32 v9, s15, v20
	v_cmp_eq_u32_e64 s[0:1], v5, v0
	s_waitcnt vmcnt(0)
	v_mul_f32_e32 v10, s17, v8
	v_mul_f32_e32 v8, s16, v8
	v_fma_f32 v10, v7, s16, -v10
	v_fmac_f32_e32 v8, s17, v7
	v_add_f32_e32 v7, v3, v10
	v_add_f32_e32 v8, v9, v8
	global_store_dwordx2 v[1:2], v[7:8], off
	s_and_b64 exec, exec, s[0:1]
	s_cbranch_execz .LBB1300_15
; %bb.14:
	v_mov_b32_e32 v3, 0
	global_store_dword v[1:2], v3, off offset:4
.LBB1300_15:
	s_or_b64 exec, exec, s[2:3]
	v_add_u32_e32 v2, 16, v0
	v_cmp_le_i32_e64 s[2:3], v5, v2
	v_cmp_gt_i32_e64 s[0:1], s9, v2
	s_and_b64 s[2:3], s[2:3], s[0:1]
	s_and_saveexec_b64 s[4:5], s[2:3]
	s_cbranch_execz .LBB1300_18
; %bb.16:
	v_ashrrev_i32_e32 v3, 31, v2
	v_lshlrev_b64 v[7:8], 3, v[2:3]
	v_mul_f32_e32 v1, s15, v23
	v_add_co_u32_e64 v3, s[2:3], v4, v7
	v_addc_co_u32_e64 v4, s[2:3], v6, v8, s[2:3]
	global_load_dwordx2 v[6:7], v[3:4], off
	v_mul_f32_e32 v8, s14, v23
	v_fma_f32 v1, v21, s14, -v1
	v_fmac_f32_e32 v8, s15, v21
	v_cmp_eq_u32_e64 s[2:3], v5, v2
	s_waitcnt vmcnt(0)
	v_mul_f32_e32 v9, s17, v7
	v_mul_f32_e32 v7, s16, v7
	v_fma_f32 v9, v6, s16, -v9
	v_fmac_f32_e32 v7, s17, v6
	v_add_f32_e32 v6, v1, v9
	v_add_f32_e32 v7, v8, v7
	global_store_dwordx2 v[3:4], v[6:7], off
	s_and_b64 exec, exec, s[2:3]
	s_cbranch_execz .LBB1300_18
; %bb.17:
	v_mov_b32_e32 v1, 0
	global_store_dword v[3:4], v1, off offset:4
.LBB1300_18:
	s_or_b64 exec, exec, s[4:5]
	v_add_u32_e32 v8, 16, v5
	v_ashrrev_i32_e32 v1, 31, v8
	v_mul_lo_u32 v6, s21, v8
	v_mad_u64_u32 v[3:4], s[2:3], s20, v8, 0
	v_mul_lo_u32 v1, s20, v1
	v_add3_u32 v4, v4, v1, v6
	v_lshlrev_b64 v[3:4], 3, v[3:4]
	v_mov_b32_e32 v1, s7
	v_add_co_u32_e64 v6, s[2:3], s6, v3
	v_addc_co_u32_e64 v7, s[2:3], v1, v4, s[2:3]
	v_cmp_le_i32_e64 s[2:3], v8, v0
	s_and_b64 s[4:5], s[2:3], vcc
	s_and_saveexec_b64 s[2:3], s[4:5]
	s_cbranch_execz .LBB1300_21
; %bb.19:
	v_ashrrev_i32_e32 v1, 31, v0
	v_lshlrev_b64 v[3:4], 3, v[0:1]
	v_mul_f32_e32 v1, s15, v17
	v_add_co_u32_e32 v3, vcc, v6, v3
	v_addc_co_u32_e32 v4, vcc, v7, v4, vcc
	global_load_dwordx2 v[9:10], v[3:4], off
	v_mul_f32_e32 v11, s14, v17
	v_fma_f32 v1, v16, s14, -v1
	v_fmac_f32_e32 v11, s15, v16
	v_cmp_eq_u32_e32 vcc, v8, v0
	s_waitcnt vmcnt(0)
	v_mul_f32_e32 v12, s17, v10
	v_mul_f32_e32 v10, s16, v10
	v_fma_f32 v12, v9, s16, -v12
	v_fmac_f32_e32 v10, s17, v9
	v_add_f32_e32 v9, v1, v12
	v_add_f32_e32 v10, v11, v10
	global_store_dwordx2 v[3:4], v[9:10], off
	s_and_b64 exec, exec, vcc
	s_cbranch_execz .LBB1300_21
; %bb.20:
	v_mov_b32_e32 v1, 0
	global_store_dword v[3:4], v1, off offset:4
.LBB1300_21:
	s_or_b64 exec, exec, s[2:3]
	v_cmp_le_i32_e32 vcc, v8, v2
	s_and_b64 s[0:1], vcc, s[0:1]
	s_and_saveexec_b64 s[2:3], s[0:1]
	s_cbranch_execz .LBB1300_24
; %bb.22:
	v_ashrrev_i32_e32 v3, 31, v2
	v_lshlrev_b64 v[1:2], 3, v[2:3]
	v_add_co_u32_e32 v1, vcc, v6, v1
	v_addc_co_u32_e32 v2, vcc, v7, v2, vcc
	global_load_dwordx2 v[3:4], v[1:2], off
	v_mul_f32_e32 v6, s15, v19
	v_mul_f32_e32 v7, s14, v19
	v_fma_f32 v6, v18, s14, -v6
	v_fmac_f32_e32 v7, s15, v18
	v_cmp_eq_u32_e32 vcc, v5, v0
	s_waitcnt vmcnt(0)
	v_mul_f32_e32 v8, s17, v4
	v_mul_f32_e32 v4, s16, v4
	v_fma_f32 v8, v3, s16, -v8
	v_fmac_f32_e32 v4, s17, v3
	v_add_f32_e32 v3, v6, v8
	v_add_f32_e32 v4, v7, v4
	global_store_dwordx2 v[1:2], v[3:4], off
	s_and_b64 exec, exec, vcc
	s_cbranch_execz .LBB1300_24
; %bb.23:
	v_mov_b32_e32 v0, 0
	global_store_dword v[1:2], v0, off offset:4
.LBB1300_24:
	s_endpgm
	.section	.rodata,"a",@progbits
	.p2align	6, 0x0
	.amdhsa_kernel _ZL34rocblas_syrkx_herkx_general_kernelIl19rocblas_complex_numIfELi16ELi32ELi8ELb0ELb1ELc84ELc76EKS1_S1_EviT_T0_PT8_S3_lS6_S3_lS4_PT9_S3_li
		.amdhsa_group_segment_fixed_size 4096
		.amdhsa_private_segment_fixed_size 0
		.amdhsa_kernarg_size 108
		.amdhsa_user_sgpr_count 6
		.amdhsa_user_sgpr_private_segment_buffer 1
		.amdhsa_user_sgpr_dispatch_ptr 0
		.amdhsa_user_sgpr_queue_ptr 0
		.amdhsa_user_sgpr_kernarg_segment_ptr 1
		.amdhsa_user_sgpr_dispatch_id 0
		.amdhsa_user_sgpr_flat_scratch_init 0
		.amdhsa_user_sgpr_private_segment_size 0
		.amdhsa_uses_dynamic_stack 0
		.amdhsa_system_sgpr_private_segment_wavefront_offset 0
		.amdhsa_system_sgpr_workgroup_id_x 1
		.amdhsa_system_sgpr_workgroup_id_y 1
		.amdhsa_system_sgpr_workgroup_id_z 1
		.amdhsa_system_sgpr_workgroup_info 0
		.amdhsa_system_vgpr_workitem_id 1
		.amdhsa_next_free_vgpr 50
		.amdhsa_next_free_sgpr 30
		.amdhsa_reserve_vcc 1
		.amdhsa_reserve_flat_scratch 0
		.amdhsa_float_round_mode_32 0
		.amdhsa_float_round_mode_16_64 0
		.amdhsa_float_denorm_mode_32 3
		.amdhsa_float_denorm_mode_16_64 3
		.amdhsa_dx10_clamp 1
		.amdhsa_ieee_mode 1
		.amdhsa_fp16_overflow 0
		.amdhsa_exception_fp_ieee_invalid_op 0
		.amdhsa_exception_fp_denorm_src 0
		.amdhsa_exception_fp_ieee_div_zero 0
		.amdhsa_exception_fp_ieee_overflow 0
		.amdhsa_exception_fp_ieee_underflow 0
		.amdhsa_exception_fp_ieee_inexact 0
		.amdhsa_exception_int_div_zero 0
	.end_amdhsa_kernel
	.section	.text._ZL34rocblas_syrkx_herkx_general_kernelIl19rocblas_complex_numIfELi16ELi32ELi8ELb0ELb1ELc84ELc76EKS1_S1_EviT_T0_PT8_S3_lS6_S3_lS4_PT9_S3_li,"axG",@progbits,_ZL34rocblas_syrkx_herkx_general_kernelIl19rocblas_complex_numIfELi16ELi32ELi8ELb0ELb1ELc84ELc76EKS1_S1_EviT_T0_PT8_S3_lS6_S3_lS4_PT9_S3_li,comdat
.Lfunc_end1300:
	.size	_ZL34rocblas_syrkx_herkx_general_kernelIl19rocblas_complex_numIfELi16ELi32ELi8ELb0ELb1ELc84ELc76EKS1_S1_EviT_T0_PT8_S3_lS6_S3_lS4_PT9_S3_li, .Lfunc_end1300-_ZL34rocblas_syrkx_herkx_general_kernelIl19rocblas_complex_numIfELi16ELi32ELi8ELb0ELb1ELc84ELc76EKS1_S1_EviT_T0_PT8_S3_lS6_S3_lS4_PT9_S3_li
                                        ; -- End function
	.set _ZL34rocblas_syrkx_herkx_general_kernelIl19rocblas_complex_numIfELi16ELi32ELi8ELb0ELb1ELc84ELc76EKS1_S1_EviT_T0_PT8_S3_lS6_S3_lS4_PT9_S3_li.num_vgpr, 50
	.set _ZL34rocblas_syrkx_herkx_general_kernelIl19rocblas_complex_numIfELi16ELi32ELi8ELb0ELb1ELc84ELc76EKS1_S1_EviT_T0_PT8_S3_lS6_S3_lS4_PT9_S3_li.num_agpr, 0
	.set _ZL34rocblas_syrkx_herkx_general_kernelIl19rocblas_complex_numIfELi16ELi32ELi8ELb0ELb1ELc84ELc76EKS1_S1_EviT_T0_PT8_S3_lS6_S3_lS4_PT9_S3_li.numbered_sgpr, 30
	.set _ZL34rocblas_syrkx_herkx_general_kernelIl19rocblas_complex_numIfELi16ELi32ELi8ELb0ELb1ELc84ELc76EKS1_S1_EviT_T0_PT8_S3_lS6_S3_lS4_PT9_S3_li.num_named_barrier, 0
	.set _ZL34rocblas_syrkx_herkx_general_kernelIl19rocblas_complex_numIfELi16ELi32ELi8ELb0ELb1ELc84ELc76EKS1_S1_EviT_T0_PT8_S3_lS6_S3_lS4_PT9_S3_li.private_seg_size, 0
	.set _ZL34rocblas_syrkx_herkx_general_kernelIl19rocblas_complex_numIfELi16ELi32ELi8ELb0ELb1ELc84ELc76EKS1_S1_EviT_T0_PT8_S3_lS6_S3_lS4_PT9_S3_li.uses_vcc, 1
	.set _ZL34rocblas_syrkx_herkx_general_kernelIl19rocblas_complex_numIfELi16ELi32ELi8ELb0ELb1ELc84ELc76EKS1_S1_EviT_T0_PT8_S3_lS6_S3_lS4_PT9_S3_li.uses_flat_scratch, 0
	.set _ZL34rocblas_syrkx_herkx_general_kernelIl19rocblas_complex_numIfELi16ELi32ELi8ELb0ELb1ELc84ELc76EKS1_S1_EviT_T0_PT8_S3_lS6_S3_lS4_PT9_S3_li.has_dyn_sized_stack, 0
	.set _ZL34rocblas_syrkx_herkx_general_kernelIl19rocblas_complex_numIfELi16ELi32ELi8ELb0ELb1ELc84ELc76EKS1_S1_EviT_T0_PT8_S3_lS6_S3_lS4_PT9_S3_li.has_recursion, 0
	.set _ZL34rocblas_syrkx_herkx_general_kernelIl19rocblas_complex_numIfELi16ELi32ELi8ELb0ELb1ELc84ELc76EKS1_S1_EviT_T0_PT8_S3_lS6_S3_lS4_PT9_S3_li.has_indirect_call, 0
	.section	.AMDGPU.csdata,"",@progbits
; Kernel info:
; codeLenInByte = 2496
; TotalNumSgprs: 34
; NumVgprs: 50
; ScratchSize: 0
; MemoryBound: 1
; FloatMode: 240
; IeeeMode: 1
; LDSByteSize: 4096 bytes/workgroup (compile time only)
; SGPRBlocks: 4
; VGPRBlocks: 12
; NumSGPRsForWavesPerEU: 34
; NumVGPRsForWavesPerEU: 50
; Occupancy: 4
; WaveLimiterHint : 0
; COMPUTE_PGM_RSRC2:SCRATCH_EN: 0
; COMPUTE_PGM_RSRC2:USER_SGPR: 6
; COMPUTE_PGM_RSRC2:TRAP_HANDLER: 0
; COMPUTE_PGM_RSRC2:TGID_X_EN: 1
; COMPUTE_PGM_RSRC2:TGID_Y_EN: 1
; COMPUTE_PGM_RSRC2:TGID_Z_EN: 1
; COMPUTE_PGM_RSRC2:TIDIG_COMP_CNT: 1
	.section	.text._ZL34rocblas_syrkx_herkx_general_kernelIl19rocblas_complex_numIfELi16ELi32ELi8ELb0ELb1ELc67ELc76EKS1_S1_EviT_T0_PT8_S3_lS6_S3_lS4_PT9_S3_li,"axG",@progbits,_ZL34rocblas_syrkx_herkx_general_kernelIl19rocblas_complex_numIfELi16ELi32ELi8ELb0ELb1ELc67ELc76EKS1_S1_EviT_T0_PT8_S3_lS6_S3_lS4_PT9_S3_li,comdat
	.globl	_ZL34rocblas_syrkx_herkx_general_kernelIl19rocblas_complex_numIfELi16ELi32ELi8ELb0ELb1ELc67ELc76EKS1_S1_EviT_T0_PT8_S3_lS6_S3_lS4_PT9_S3_li ; -- Begin function _ZL34rocblas_syrkx_herkx_general_kernelIl19rocblas_complex_numIfELi16ELi32ELi8ELb0ELb1ELc67ELc76EKS1_S1_EviT_T0_PT8_S3_lS6_S3_lS4_PT9_S3_li
	.p2align	8
	.type	_ZL34rocblas_syrkx_herkx_general_kernelIl19rocblas_complex_numIfELi16ELi32ELi8ELb0ELb1ELc67ELc76EKS1_S1_EviT_T0_PT8_S3_lS6_S3_lS4_PT9_S3_li,@function
_ZL34rocblas_syrkx_herkx_general_kernelIl19rocblas_complex_numIfELi16ELi32ELi8ELb0ELb1ELc67ELc76EKS1_S1_EviT_T0_PT8_S3_lS6_S3_lS4_PT9_S3_li: ; @_ZL34rocblas_syrkx_herkx_general_kernelIl19rocblas_complex_numIfELi16ELi32ELi8ELb0ELb1ELc67ELc76EKS1_S1_EviT_T0_PT8_S3_lS6_S3_lS4_PT9_S3_li
; %bb.0:
	s_load_dwordx16 s[12:27], s[4:5], 0x8
	s_load_dword s9, s[4:5], 0x0
	s_lshl_b32 s28, s6, 5
	s_lshl_b32 s29, s7, 5
	s_waitcnt lgkmcnt(0)
	v_cmp_lt_i64_e64 s[0:1], s[12:13], 1
	s_and_b64 vcc, exec, s[0:1]
	s_cbranch_vccnz .LBB1301_11
; %bb.1:
	v_lshl_add_u32 v2, v1, 4, v0
	v_and_b32_e32 v5, 31, v2
	v_or_b32_e32 v6, s28, v5
	v_and_b32_e32 v11, 7, v0
	v_lshrrev_b32_e32 v3, 3, v2
	v_lshrrev_b32_e32 v10, 5, v2
	v_cmp_gt_i32_e32 vcc, s9, v6
	v_lshlrev_b32_e32 v2, 3, v5
	v_lshlrev_b32_e32 v6, 3, v11
	v_lshl_or_b32 v12, v10, 8, v2
	v_lshl_or_b32 v2, v3, 6, v6
	v_add_u32_e32 v13, 0x800, v2
	v_add_u32_e32 v2, s28, v5
	;; [unrolled: 1-line block ×3, first 2 shown]
	v_ashrrev_i32_e32 v3, 31, v2
	v_mul_lo_u32 v5, s18, v3
	v_mul_lo_u32 v8, s19, v2
	v_mad_u64_u32 v[2:3], s[2:3], s18, v2, 0
	s_mul_i32 s2, s21, s8
	s_mul_hi_u32 s3, s20, s8
	v_add3_u32 v3, v3, v5, v8
	v_lshlrev_b64 v[2:3], 3, v[2:3]
	s_add_i32 s3, s3, s2
	s_mul_i32 s2, s20, s8
	s_lshl_b64 s[2:3], s[2:3], 3
	v_mov_b32_e32 v5, s3
	v_add_co_u32_e64 v2, s[2:3], s2, v2
	v_addc_co_u32_e64 v3, s[2:3], v3, v5, s[2:3]
	v_lshlrev_b32_e32 v5, 3, v10
	v_add_co_u32_e64 v2, s[2:3], v2, v5
	v_addc_co_u32_e64 v3, s[2:3], 0, v3, s[2:3]
	v_ashrrev_i32_e32 v7, 31, v4
	v_mov_b32_e32 v5, s17
	v_add_co_u32_e64 v2, s[2:3], s16, v2
	v_cmp_gt_i32_e64 s[0:1], s9, v4
	v_addc_co_u32_e64 v3, s[2:3], v5, v3, s[2:3]
	v_mul_lo_u32 v7, s24, v7
	v_mul_lo_u32 v8, s25, v4
	v_mad_u64_u32 v[4:5], s[2:3], s24, v4, 0
	v_add_co_u32_e64 v2, s[2:3], 4, v2
	v_addc_co_u32_e64 v3, s[2:3], 0, v3, s[2:3]
	v_add3_u32 v5, v5, v7, v8
	s_mul_i32 s2, s27, s8
	s_mul_hi_u32 s3, s26, s8
	v_lshlrev_b64 v[4:5], 3, v[4:5]
	s_add_i32 s3, s3, s2
	s_mul_i32 s2, s26, s8
	s_lshl_b64 s[2:3], s[2:3], 3
	v_mov_b32_e32 v7, s3
	v_add_co_u32_e64 v4, s[2:3], s2, v4
	v_addc_co_u32_e64 v5, s[2:3], v5, v7, s[2:3]
	v_add_co_u32_e64 v4, s[2:3], v4, v6
	v_addc_co_u32_e64 v5, s[2:3], 0, v5, s[2:3]
	v_mov_b32_e32 v9, 0x800
	v_mov_b32_e32 v6, s23
	v_add_co_u32_e64 v4, s[2:3], s22, v4
	v_lshl_add_u32 v15, v1, 6, v9
	v_addc_co_u32_e64 v5, s[2:3], v6, v5, s[2:3]
	v_mov_b32_e32 v8, s12
	v_lshlrev_b32_e32 v14, 3, v0
	s_mov_b64 s[2:3], 0
	s_xor_b64 s[6:7], vcc, -1
	s_xor_b64 s[10:11], s[0:1], -1
	v_mov_b32_e32 v19, 0
	v_mov_b32_e32 v18, 0
	;; [unrolled: 1-line block ×10, first 2 shown]
	s_branch .LBB1301_3
.LBB1301_2:                             ;   in Loop: Header=BB1301_3 Depth=1
	s_or_b64 exec, exec, s[0:1]
	s_waitcnt lgkmcnt(0)
	s_barrier
	ds_read2_b64 v[24:27], v14 offset1:16
	ds_read_b128 v[28:31], v15
	ds_read_b128 v[32:35], v15 offset:16
	s_add_u32 s2, s2, 8
	v_add_co_u32_e32 v2, vcc, 64, v2
	s_waitcnt lgkmcnt(1)
	v_mul_f32_e32 v36, v28, v25
	v_fmac_f32_e32 v36, v29, v24
	v_add_f32_e32 v44, v22, v36
	ds_read_b128 v[36:39], v15 offset:1024
	v_mul_f32_e32 v7, v29, v25
	v_fma_f32 v7, v28, v24, -v7
	v_add_f32_e32 v7, v20, v7
	v_mul_f32_e32 v20, v29, v27
	v_mul_f32_e32 v22, v28, v27
	v_fma_f32 v20, v28, v26, -v20
	v_fmac_f32_e32 v22, v29, v26
	v_add_f32_e32 v28, v21, v20
	v_add_f32_e32 v29, v23, v22
	ds_read_b128 v[20:23], v15 offset:1040
	s_waitcnt lgkmcnt(1)
	v_mul_f32_e32 v40, v37, v25
	v_fma_f32 v40, v36, v24, -v40
	v_add_f32_e32 v45, v16, v40
	ds_read2_b64 v[40:43], v14 offset0:32 offset1:48
	v_mul_f32_e32 v25, v36, v25
	v_mul_f32_e32 v16, v37, v27
	v_fmac_f32_e32 v25, v37, v24
	v_fma_f32 v16, v36, v26, -v16
	v_add_f32_e32 v46, v17, v25
	v_mul_f32_e32 v17, v36, v27
	v_add_f32_e32 v36, v18, v16
	s_waitcnt lgkmcnt(0)
	v_mul_f32_e32 v16, v31, v41
	v_fma_f32 v47, v30, v40, -v16
	v_mul_f32_e32 v16, v31, v43
	v_fma_f32 v49, v30, v42, -v16
	v_mul_f32_e32 v48, v30, v41
	v_mul_f32_e32 v30, v30, v43
	v_add_f32_e32 v7, v7, v47
	v_add_f32_e32 v47, v28, v49
	v_mul_f32_e32 v28, v39, v41
	v_fmac_f32_e32 v17, v37, v26
	v_fmac_f32_e32 v48, v31, v40
	v_fmac_f32_e32 v30, v31, v42
	v_fma_f32 v49, v38, v40, -v28
	v_mul_f32_e32 v41, v38, v41
	v_mul_f32_e32 v28, v39, v43
	v_add_f32_e32 v37, v19, v17
	ds_read_b128 v[16:19], v15 offset:32
	ds_read_b128 v[24:27], v15 offset:48
	v_add_f32_e32 v44, v44, v48
	v_add_f32_e32 v48, v29, v30
	v_fmac_f32_e32 v41, v39, v40
	v_fma_f32 v40, v38, v42, -v28
	ds_read2_b64 v[28:31], v14 offset0:64 offset1:80
	v_add_f32_e32 v40, v36, v40
	v_mul_f32_e32 v38, v38, v43
	v_fmac_f32_e32 v38, v39, v42
	v_add_f32_e32 v42, v37, v38
	s_waitcnt lgkmcnt(0)
	v_mul_f32_e32 v36, v33, v29
	v_fma_f32 v36, v32, v28, -v36
	v_add_f32_e32 v7, v7, v36
	v_mul_f32_e32 v36, v33, v31
	v_mul_f32_e32 v37, v32, v29
	v_fma_f32 v36, v32, v30, -v36
	v_mul_f32_e32 v32, v32, v31
	v_fmac_f32_e32 v37, v33, v28
	v_fmac_f32_e32 v32, v33, v30
	v_add_f32_e32 v33, v47, v36
	v_mul_f32_e32 v36, v21, v29
	v_add_f32_e32 v39, v45, v49
	v_fma_f32 v36, v20, v28, -v36
	v_mul_f32_e32 v29, v20, v29
	v_add_f32_e32 v41, v46, v41
	v_fmac_f32_e32 v29, v21, v28
	v_add_f32_e32 v28, v39, v36
	v_mul_f32_e32 v36, v21, v31
	v_add_f32_e32 v43, v44, v37
	v_add_f32_e32 v29, v41, v29
	v_fma_f32 v41, v20, v30, -v36
	ds_read2_b64 v[36:39], v14 offset0:96 offset1:112
	v_mul_f32_e32 v20, v20, v31
	v_fmac_f32_e32 v20, v21, v30
	v_add_f32_e32 v21, v40, v41
	v_add_f32_e32 v32, v48, v32
	s_waitcnt lgkmcnt(0)
	v_mul_f32_e32 v30, v35, v37
	v_fma_f32 v30, v34, v36, -v30
	v_mul_f32_e32 v31, v34, v37
	v_fmac_f32_e32 v31, v35, v36
	v_add_f32_e32 v7, v7, v30
	v_mul_f32_e32 v30, v35, v39
	v_add_f32_e32 v40, v43, v31
	v_fma_f32 v30, v34, v38, -v30
	v_mul_f32_e32 v31, v34, v39
	v_fmac_f32_e32 v31, v35, v38
	v_add_f32_e32 v33, v33, v30
	v_mul_f32_e32 v30, v23, v37
	v_add_f32_e32 v32, v32, v31
	;; [unrolled: 6-line block ×3, first 2 shown]
	v_fma_f32 v34, v22, v38, -v28
	ds_read2_b64 v[28:31], v14 offset0:128 offset1:144
	v_mul_f32_e32 v22, v22, v39
	v_add_f32_e32 v20, v42, v20
	v_fmac_f32_e32 v22, v23, v38
	v_add_f32_e32 v42, v20, v22
	s_waitcnt lgkmcnt(0)
	v_mul_f32_e32 v20, v17, v29
	v_add_f32_e32 v41, v21, v34
	v_fma_f32 v20, v16, v28, -v20
	v_mul_f32_e32 v21, v16, v29
	v_fmac_f32_e32 v21, v17, v28
	v_add_f32_e32 v7, v7, v20
	v_mul_f32_e32 v20, v17, v31
	v_add_f32_e32 v40, v40, v21
	v_fma_f32 v34, v16, v30, -v20
	ds_read_b128 v[20:23], v15 offset:1056
	v_mul_f32_e32 v16, v16, v31
	v_fmac_f32_e32 v16, v17, v30
	v_add_f32_e32 v17, v33, v34
	v_add_f32_e32 v16, v32, v16
	ds_read_b128 v[32:35], v15 offset:1072
	s_waitcnt lgkmcnt(1)
	v_mul_f32_e32 v38, v21, v29
	v_fma_f32 v38, v20, v28, -v38
	v_mul_f32_e32 v29, v20, v29
	v_fmac_f32_e32 v29, v21, v28
	v_add_f32_e32 v28, v36, v38
	v_mul_f32_e32 v36, v21, v31
	v_add_f32_e32 v29, v37, v29
	v_fma_f32 v43, v20, v30, -v36
	ds_read2_b64 v[36:39], v14 offset0:160 offset1:176
	v_mul_f32_e32 v20, v20, v31
	v_fmac_f32_e32 v20, v21, v30
	v_add_f32_e32 v20, v42, v20
	v_add_f32_e32 v21, v41, v43
	s_waitcnt lgkmcnt(0)
	v_mul_f32_e32 v30, v19, v37
	v_mul_f32_e32 v31, v18, v37
	v_fma_f32 v30, v18, v36, -v30
	v_fmac_f32_e32 v31, v19, v36
	v_add_f32_e32 v7, v7, v30
	v_add_f32_e32 v30, v40, v31
	v_mul_f32_e32 v31, v19, v39
	v_fma_f32 v31, v18, v38, -v31
	v_mul_f32_e32 v18, v18, v39
	v_fmac_f32_e32 v18, v19, v38
	v_add_f32_e32 v40, v16, v18
	v_mul_f32_e32 v16, v23, v37
	v_add_f32_e32 v31, v17, v31
	v_fma_f32 v16, v22, v36, -v16
	v_mul_f32_e32 v17, v22, v37
	v_fmac_f32_e32 v17, v23, v36
	v_add_f32_e32 v28, v28, v16
	v_mul_f32_e32 v16, v23, v39
	v_add_f32_e32 v29, v29, v17
	v_fma_f32 v36, v22, v38, -v16
	ds_read2_b64 v[16:19], v14 offset0:192 offset1:208
	v_mul_f32_e32 v22, v22, v39
	v_fmac_f32_e32 v22, v23, v38
	v_add_f32_e32 v20, v20, v22
	v_add_f32_e32 v21, v21, v36
	s_waitcnt lgkmcnt(0)
	v_mul_f32_e32 v22, v25, v17
	v_mul_f32_e32 v23, v24, v17
	v_fma_f32 v22, v24, v16, -v22
	v_fmac_f32_e32 v23, v25, v16
	v_add_f32_e32 v7, v7, v22
	v_add_f32_e32 v22, v30, v23
	v_mul_f32_e32 v23, v25, v19
	v_fma_f32 v23, v24, v18, -v23
	v_mul_f32_e32 v24, v24, v19
	v_fmac_f32_e32 v24, v25, v18
	v_mul_f32_e32 v25, v33, v17
	v_mul_f32_e32 v17, v32, v17
	v_fma_f32 v25, v32, v16, -v25
	v_fmac_f32_e32 v17, v33, v16
	v_add_f32_e32 v23, v31, v23
	v_add_f32_e32 v16, v28, v25
	;; [unrolled: 1-line block ×3, first 2 shown]
	ds_read2_b64 v[28:31], v14 offset0:224 offset1:240
	v_mul_f32_e32 v25, v33, v19
	v_mul_f32_e32 v19, v32, v19
	v_fmac_f32_e32 v19, v33, v18
	v_add_f32_e32 v19, v20, v19
	s_waitcnt lgkmcnt(0)
	v_mul_f32_e32 v20, v27, v29
	v_fma_f32 v25, v32, v18, -v25
	v_fma_f32 v20, v26, v28, -v20
	v_add_f32_e32 v18, v21, v25
	v_mul_f32_e32 v21, v26, v29
	v_add_f32_e32 v20, v7, v20
	v_mul_f32_e32 v7, v27, v31
	v_mul_f32_e32 v25, v26, v31
	v_add_f32_e32 v24, v40, v24
	v_fmac_f32_e32 v21, v27, v28
	v_fma_f32 v7, v26, v30, -v7
	v_fmac_f32_e32 v25, v27, v30
	v_add_f32_e32 v22, v22, v21
	v_add_f32_e32 v21, v23, v7
	;; [unrolled: 1-line block ×3, first 2 shown]
	v_mul_f32_e32 v7, v35, v29
	v_mul_f32_e32 v24, v34, v29
	v_fma_f32 v7, v34, v28, -v7
	v_fmac_f32_e32 v24, v35, v28
	s_addc_u32 s3, s3, 0
	v_addc_co_u32_e32 v3, vcc, 0, v3, vcc
	v_add_f32_e32 v16, v16, v7
	v_add_f32_e32 v17, v17, v24
	v_mul_f32_e32 v7, v35, v31
	v_mul_f32_e32 v24, v34, v31
	v_cmp_ge_i64_e32 vcc, s[2:3], v[8:9]
	v_fma_f32 v7, v34, v30, -v7
	v_fmac_f32_e32 v24, v35, v30
	v_add_co_u32_e64 v4, s[0:1], 64, v4
	v_add_f32_e32 v18, v18, v7
	v_add_f32_e32 v19, v19, v24
	v_addc_co_u32_e64 v5, s[0:1], 0, v5, s[0:1]
	s_barrier
	s_cbranch_vccnz .LBB1301_12
.LBB1301_3:                             ; =>This Inner Loop Header: Depth=1
	v_mov_b32_e32 v7, s3
	v_add_co_u32_e32 v24, vcc, s2, v10
	v_addc_co_u32_e32 v25, vcc, 0, v7, vcc
	v_cmp_le_i64_e32 vcc, s[12:13], v[24:25]
	s_or_b64 s[0:1], s[6:7], vcc
	s_and_saveexec_b64 s[16:17], s[0:1]
	s_xor_b64 s[0:1], exec, s[16:17]
; %bb.4:                                ;   in Loop: Header=BB1301_3 Depth=1
	ds_write_b32 v12, v6
; %bb.5:                                ;   in Loop: Header=BB1301_3 Depth=1
	s_or_saveexec_b64 s[0:1], s[0:1]
	v_mov_b32_e32 v7, 0
	s_xor_b64 exec, exec, s[0:1]
	s_cbranch_execz .LBB1301_7
; %bb.6:                                ;   in Loop: Header=BB1301_3 Depth=1
	global_load_dwordx2 v[24:25], v[2:3], off offset:-4
	s_waitcnt vmcnt(0)
	v_xor_b32_e32 v7, 0x80000000, v25
	ds_write_b32 v12, v24
.LBB1301_7:                             ;   in Loop: Header=BB1301_3 Depth=1
	s_or_b64 exec, exec, s[0:1]
	v_mov_b32_e32 v25, s3
	v_add_co_u32_e32 v24, vcc, s2, v11
	v_addc_co_u32_e32 v25, vcc, 0, v25, vcc
	v_cmp_le_i64_e32 vcc, s[12:13], v[24:25]
	ds_write_b32 v12, v7 offset:4
	s_or_b64 s[0:1], vcc, s[10:11]
	s_and_saveexec_b64 s[16:17], s[0:1]
	s_xor_b64 s[0:1], exec, s[16:17]
; %bb.8:                                ;   in Loop: Header=BB1301_3 Depth=1
	v_mov_b32_e32 v7, v6
	ds_write_b64 v13, v[6:7]
; %bb.9:                                ;   in Loop: Header=BB1301_3 Depth=1
	s_andn2_saveexec_b64 s[0:1], s[0:1]
	s_cbranch_execz .LBB1301_2
; %bb.10:                               ;   in Loop: Header=BB1301_3 Depth=1
	global_load_dwordx2 v[24:25], v[4:5], off
	s_waitcnt vmcnt(0)
	ds_write_b64 v13, v[24:25]
	s_branch .LBB1301_2
.LBB1301_11:
	v_mov_b32_e32 v20, 0
	v_mov_b32_e32 v22, 0
	;; [unrolled: 1-line block ×8, first 2 shown]
.LBB1301_12:
	s_load_dwordx8 s[16:23], s[4:5], 0x48
	v_add_u32_e32 v5, s29, v1
	v_ashrrev_i32_e32 v1, 31, v5
	v_add_u32_e32 v0, s28, v0
	s_waitcnt lgkmcnt(0)
	v_mul_lo_u32 v3, s20, v1
	v_mul_lo_u32 v4, s21, v5
	v_mad_u64_u32 v[1:2], s[2:3], s20, v5, 0
	s_mul_i32 s0, s23, s8
	s_mul_hi_u32 s1, s22, s8
	s_add_i32 s1, s1, s0
	s_mul_i32 s0, s22, s8
	s_lshl_b64 s[0:1], s[0:1], 3
	v_add3_u32 v2, v2, v3, v4
	s_add_u32 s6, s18, s0
	v_lshlrev_b64 v[1:2], 3, v[1:2]
	s_addc_u32 s7, s19, s1
	v_mov_b32_e32 v3, s7
	v_add_co_u32_e32 v4, vcc, s6, v1
	v_addc_co_u32_e32 v6, vcc, v3, v2, vcc
	v_cmp_le_i32_e64 s[0:1], v5, v0
	v_cmp_gt_i32_e32 vcc, s9, v0
	s_and_b64 s[0:1], s[0:1], vcc
	s_and_saveexec_b64 s[2:3], s[0:1]
	s_cbranch_execz .LBB1301_15
; %bb.13:
	v_ashrrev_i32_e32 v1, 31, v0
	v_lshlrev_b64 v[1:2], 3, v[0:1]
	v_mul_f32_e32 v3, s15, v22
	v_add_co_u32_e64 v1, s[0:1], v4, v1
	v_addc_co_u32_e64 v2, s[0:1], v6, v2, s[0:1]
	global_load_dwordx2 v[7:8], v[1:2], off
	v_mul_f32_e32 v9, s14, v22
	v_fma_f32 v3, v20, s14, -v3
	v_fmac_f32_e32 v9, s15, v20
	v_cmp_eq_u32_e64 s[0:1], v5, v0
	s_waitcnt vmcnt(0)
	v_mul_f32_e32 v10, s17, v8
	v_mul_f32_e32 v8, s16, v8
	v_fma_f32 v10, v7, s16, -v10
	v_fmac_f32_e32 v8, s17, v7
	v_add_f32_e32 v7, v3, v10
	v_add_f32_e32 v8, v9, v8
	global_store_dwordx2 v[1:2], v[7:8], off
	s_and_b64 exec, exec, s[0:1]
	s_cbranch_execz .LBB1301_15
; %bb.14:
	v_mov_b32_e32 v3, 0
	global_store_dword v[1:2], v3, off offset:4
.LBB1301_15:
	s_or_b64 exec, exec, s[2:3]
	v_add_u32_e32 v2, 16, v0
	v_cmp_le_i32_e64 s[2:3], v5, v2
	v_cmp_gt_i32_e64 s[0:1], s9, v2
	s_and_b64 s[2:3], s[2:3], s[0:1]
	s_and_saveexec_b64 s[4:5], s[2:3]
	s_cbranch_execz .LBB1301_18
; %bb.16:
	v_ashrrev_i32_e32 v3, 31, v2
	v_lshlrev_b64 v[7:8], 3, v[2:3]
	v_mul_f32_e32 v1, s15, v23
	v_add_co_u32_e64 v3, s[2:3], v4, v7
	v_addc_co_u32_e64 v4, s[2:3], v6, v8, s[2:3]
	global_load_dwordx2 v[6:7], v[3:4], off
	v_mul_f32_e32 v8, s14, v23
	v_fma_f32 v1, v21, s14, -v1
	v_fmac_f32_e32 v8, s15, v21
	v_cmp_eq_u32_e64 s[2:3], v5, v2
	s_waitcnt vmcnt(0)
	v_mul_f32_e32 v9, s17, v7
	v_mul_f32_e32 v7, s16, v7
	v_fma_f32 v9, v6, s16, -v9
	v_fmac_f32_e32 v7, s17, v6
	v_add_f32_e32 v6, v1, v9
	v_add_f32_e32 v7, v8, v7
	global_store_dwordx2 v[3:4], v[6:7], off
	s_and_b64 exec, exec, s[2:3]
	s_cbranch_execz .LBB1301_18
; %bb.17:
	v_mov_b32_e32 v1, 0
	global_store_dword v[3:4], v1, off offset:4
.LBB1301_18:
	s_or_b64 exec, exec, s[4:5]
	v_add_u32_e32 v8, 16, v5
	v_ashrrev_i32_e32 v1, 31, v8
	v_mul_lo_u32 v6, s21, v8
	v_mad_u64_u32 v[3:4], s[2:3], s20, v8, 0
	v_mul_lo_u32 v1, s20, v1
	v_add3_u32 v4, v4, v1, v6
	v_lshlrev_b64 v[3:4], 3, v[3:4]
	v_mov_b32_e32 v1, s7
	v_add_co_u32_e64 v6, s[2:3], s6, v3
	v_addc_co_u32_e64 v7, s[2:3], v1, v4, s[2:3]
	v_cmp_le_i32_e64 s[2:3], v8, v0
	s_and_b64 s[4:5], s[2:3], vcc
	s_and_saveexec_b64 s[2:3], s[4:5]
	s_cbranch_execz .LBB1301_21
; %bb.19:
	v_ashrrev_i32_e32 v1, 31, v0
	v_lshlrev_b64 v[3:4], 3, v[0:1]
	v_mul_f32_e32 v1, s15, v17
	v_add_co_u32_e32 v3, vcc, v6, v3
	v_addc_co_u32_e32 v4, vcc, v7, v4, vcc
	global_load_dwordx2 v[9:10], v[3:4], off
	v_mul_f32_e32 v11, s14, v17
	v_fma_f32 v1, v16, s14, -v1
	v_fmac_f32_e32 v11, s15, v16
	v_cmp_eq_u32_e32 vcc, v8, v0
	s_waitcnt vmcnt(0)
	v_mul_f32_e32 v12, s17, v10
	v_mul_f32_e32 v10, s16, v10
	v_fma_f32 v12, v9, s16, -v12
	v_fmac_f32_e32 v10, s17, v9
	v_add_f32_e32 v9, v1, v12
	v_add_f32_e32 v10, v11, v10
	global_store_dwordx2 v[3:4], v[9:10], off
	s_and_b64 exec, exec, vcc
	s_cbranch_execz .LBB1301_21
; %bb.20:
	v_mov_b32_e32 v1, 0
	global_store_dword v[3:4], v1, off offset:4
.LBB1301_21:
	s_or_b64 exec, exec, s[2:3]
	v_cmp_le_i32_e32 vcc, v8, v2
	s_and_b64 s[0:1], vcc, s[0:1]
	s_and_saveexec_b64 s[2:3], s[0:1]
	s_cbranch_execz .LBB1301_24
; %bb.22:
	v_ashrrev_i32_e32 v3, 31, v2
	v_lshlrev_b64 v[1:2], 3, v[2:3]
	v_add_co_u32_e32 v1, vcc, v6, v1
	v_addc_co_u32_e32 v2, vcc, v7, v2, vcc
	global_load_dwordx2 v[3:4], v[1:2], off
	v_mul_f32_e32 v6, s15, v19
	v_mul_f32_e32 v7, s14, v19
	v_fma_f32 v6, v18, s14, -v6
	v_fmac_f32_e32 v7, s15, v18
	v_cmp_eq_u32_e32 vcc, v5, v0
	s_waitcnt vmcnt(0)
	v_mul_f32_e32 v8, s17, v4
	v_mul_f32_e32 v4, s16, v4
	v_fma_f32 v8, v3, s16, -v8
	v_fmac_f32_e32 v4, s17, v3
	v_add_f32_e32 v3, v6, v8
	v_add_f32_e32 v4, v7, v4
	global_store_dwordx2 v[1:2], v[3:4], off
	s_and_b64 exec, exec, vcc
	s_cbranch_execz .LBB1301_24
; %bb.23:
	v_mov_b32_e32 v0, 0
	global_store_dword v[1:2], v0, off offset:4
.LBB1301_24:
	s_endpgm
	.section	.rodata,"a",@progbits
	.p2align	6, 0x0
	.amdhsa_kernel _ZL34rocblas_syrkx_herkx_general_kernelIl19rocblas_complex_numIfELi16ELi32ELi8ELb0ELb1ELc67ELc76EKS1_S1_EviT_T0_PT8_S3_lS6_S3_lS4_PT9_S3_li
		.amdhsa_group_segment_fixed_size 4096
		.amdhsa_private_segment_fixed_size 0
		.amdhsa_kernarg_size 108
		.amdhsa_user_sgpr_count 6
		.amdhsa_user_sgpr_private_segment_buffer 1
		.amdhsa_user_sgpr_dispatch_ptr 0
		.amdhsa_user_sgpr_queue_ptr 0
		.amdhsa_user_sgpr_kernarg_segment_ptr 1
		.amdhsa_user_sgpr_dispatch_id 0
		.amdhsa_user_sgpr_flat_scratch_init 0
		.amdhsa_user_sgpr_private_segment_size 0
		.amdhsa_uses_dynamic_stack 0
		.amdhsa_system_sgpr_private_segment_wavefront_offset 0
		.amdhsa_system_sgpr_workgroup_id_x 1
		.amdhsa_system_sgpr_workgroup_id_y 1
		.amdhsa_system_sgpr_workgroup_id_z 1
		.amdhsa_system_sgpr_workgroup_info 0
		.amdhsa_system_vgpr_workitem_id 1
		.amdhsa_next_free_vgpr 50
		.amdhsa_next_free_sgpr 30
		.amdhsa_reserve_vcc 1
		.amdhsa_reserve_flat_scratch 0
		.amdhsa_float_round_mode_32 0
		.amdhsa_float_round_mode_16_64 0
		.amdhsa_float_denorm_mode_32 3
		.amdhsa_float_denorm_mode_16_64 3
		.amdhsa_dx10_clamp 1
		.amdhsa_ieee_mode 1
		.amdhsa_fp16_overflow 0
		.amdhsa_exception_fp_ieee_invalid_op 0
		.amdhsa_exception_fp_denorm_src 0
		.amdhsa_exception_fp_ieee_div_zero 0
		.amdhsa_exception_fp_ieee_overflow 0
		.amdhsa_exception_fp_ieee_underflow 0
		.amdhsa_exception_fp_ieee_inexact 0
		.amdhsa_exception_int_div_zero 0
	.end_amdhsa_kernel
	.section	.text._ZL34rocblas_syrkx_herkx_general_kernelIl19rocblas_complex_numIfELi16ELi32ELi8ELb0ELb1ELc67ELc76EKS1_S1_EviT_T0_PT8_S3_lS6_S3_lS4_PT9_S3_li,"axG",@progbits,_ZL34rocblas_syrkx_herkx_general_kernelIl19rocblas_complex_numIfELi16ELi32ELi8ELb0ELb1ELc67ELc76EKS1_S1_EviT_T0_PT8_S3_lS6_S3_lS4_PT9_S3_li,comdat
.Lfunc_end1301:
	.size	_ZL34rocblas_syrkx_herkx_general_kernelIl19rocblas_complex_numIfELi16ELi32ELi8ELb0ELb1ELc67ELc76EKS1_S1_EviT_T0_PT8_S3_lS6_S3_lS4_PT9_S3_li, .Lfunc_end1301-_ZL34rocblas_syrkx_herkx_general_kernelIl19rocblas_complex_numIfELi16ELi32ELi8ELb0ELb1ELc67ELc76EKS1_S1_EviT_T0_PT8_S3_lS6_S3_lS4_PT9_S3_li
                                        ; -- End function
	.set _ZL34rocblas_syrkx_herkx_general_kernelIl19rocblas_complex_numIfELi16ELi32ELi8ELb0ELb1ELc67ELc76EKS1_S1_EviT_T0_PT8_S3_lS6_S3_lS4_PT9_S3_li.num_vgpr, 50
	.set _ZL34rocblas_syrkx_herkx_general_kernelIl19rocblas_complex_numIfELi16ELi32ELi8ELb0ELb1ELc67ELc76EKS1_S1_EviT_T0_PT8_S3_lS6_S3_lS4_PT9_S3_li.num_agpr, 0
	.set _ZL34rocblas_syrkx_herkx_general_kernelIl19rocblas_complex_numIfELi16ELi32ELi8ELb0ELb1ELc67ELc76EKS1_S1_EviT_T0_PT8_S3_lS6_S3_lS4_PT9_S3_li.numbered_sgpr, 30
	.set _ZL34rocblas_syrkx_herkx_general_kernelIl19rocblas_complex_numIfELi16ELi32ELi8ELb0ELb1ELc67ELc76EKS1_S1_EviT_T0_PT8_S3_lS6_S3_lS4_PT9_S3_li.num_named_barrier, 0
	.set _ZL34rocblas_syrkx_herkx_general_kernelIl19rocblas_complex_numIfELi16ELi32ELi8ELb0ELb1ELc67ELc76EKS1_S1_EviT_T0_PT8_S3_lS6_S3_lS4_PT9_S3_li.private_seg_size, 0
	.set _ZL34rocblas_syrkx_herkx_general_kernelIl19rocblas_complex_numIfELi16ELi32ELi8ELb0ELb1ELc67ELc76EKS1_S1_EviT_T0_PT8_S3_lS6_S3_lS4_PT9_S3_li.uses_vcc, 1
	.set _ZL34rocblas_syrkx_herkx_general_kernelIl19rocblas_complex_numIfELi16ELi32ELi8ELb0ELb1ELc67ELc76EKS1_S1_EviT_T0_PT8_S3_lS6_S3_lS4_PT9_S3_li.uses_flat_scratch, 0
	.set _ZL34rocblas_syrkx_herkx_general_kernelIl19rocblas_complex_numIfELi16ELi32ELi8ELb0ELb1ELc67ELc76EKS1_S1_EviT_T0_PT8_S3_lS6_S3_lS4_PT9_S3_li.has_dyn_sized_stack, 0
	.set _ZL34rocblas_syrkx_herkx_general_kernelIl19rocblas_complex_numIfELi16ELi32ELi8ELb0ELb1ELc67ELc76EKS1_S1_EviT_T0_PT8_S3_lS6_S3_lS4_PT9_S3_li.has_recursion, 0
	.set _ZL34rocblas_syrkx_herkx_general_kernelIl19rocblas_complex_numIfELi16ELi32ELi8ELb0ELb1ELc67ELc76EKS1_S1_EviT_T0_PT8_S3_lS6_S3_lS4_PT9_S3_li.has_indirect_call, 0
	.section	.AMDGPU.csdata,"",@progbits
; Kernel info:
; codeLenInByte = 2532
; TotalNumSgprs: 34
; NumVgprs: 50
; ScratchSize: 0
; MemoryBound: 1
; FloatMode: 240
; IeeeMode: 1
; LDSByteSize: 4096 bytes/workgroup (compile time only)
; SGPRBlocks: 4
; VGPRBlocks: 12
; NumSGPRsForWavesPerEU: 34
; NumVGPRsForWavesPerEU: 50
; Occupancy: 4
; WaveLimiterHint : 0
; COMPUTE_PGM_RSRC2:SCRATCH_EN: 0
; COMPUTE_PGM_RSRC2:USER_SGPR: 6
; COMPUTE_PGM_RSRC2:TRAP_HANDLER: 0
; COMPUTE_PGM_RSRC2:TGID_X_EN: 1
; COMPUTE_PGM_RSRC2:TGID_Y_EN: 1
; COMPUTE_PGM_RSRC2:TGID_Z_EN: 1
; COMPUTE_PGM_RSRC2:TIDIG_COMP_CNT: 1
	.section	.text._ZL34rocblas_syrkx_herkx_general_kernelIl19rocblas_complex_numIfELi16ELi32ELi8ELb0ELb1ELc78ELc76EKS1_S1_EviT_T0_PT8_S3_lS6_S3_lS4_PT9_S3_li,"axG",@progbits,_ZL34rocblas_syrkx_herkx_general_kernelIl19rocblas_complex_numIfELi16ELi32ELi8ELb0ELb1ELc78ELc76EKS1_S1_EviT_T0_PT8_S3_lS6_S3_lS4_PT9_S3_li,comdat
	.globl	_ZL34rocblas_syrkx_herkx_general_kernelIl19rocblas_complex_numIfELi16ELi32ELi8ELb0ELb1ELc78ELc76EKS1_S1_EviT_T0_PT8_S3_lS6_S3_lS4_PT9_S3_li ; -- Begin function _ZL34rocblas_syrkx_herkx_general_kernelIl19rocblas_complex_numIfELi16ELi32ELi8ELb0ELb1ELc78ELc76EKS1_S1_EviT_T0_PT8_S3_lS6_S3_lS4_PT9_S3_li
	.p2align	8
	.type	_ZL34rocblas_syrkx_herkx_general_kernelIl19rocblas_complex_numIfELi16ELi32ELi8ELb0ELb1ELc78ELc76EKS1_S1_EviT_T0_PT8_S3_lS6_S3_lS4_PT9_S3_li,@function
_ZL34rocblas_syrkx_herkx_general_kernelIl19rocblas_complex_numIfELi16ELi32ELi8ELb0ELb1ELc78ELc76EKS1_S1_EviT_T0_PT8_S3_lS6_S3_lS4_PT9_S3_li: ; @_ZL34rocblas_syrkx_herkx_general_kernelIl19rocblas_complex_numIfELi16ELi32ELi8ELb0ELb1ELc78ELc76EKS1_S1_EviT_T0_PT8_S3_lS6_S3_lS4_PT9_S3_li
; %bb.0:
	s_load_dwordx16 s[12:27], s[4:5], 0x8
	s_load_dword s9, s[4:5], 0x0
	s_lshl_b32 s28, s6, 5
	s_lshl_b32 s29, s7, 5
	s_waitcnt lgkmcnt(0)
	v_cmp_lt_i64_e64 s[0:1], s[12:13], 1
	s_and_b64 vcc, exec, s[0:1]
	s_cbranch_vccnz .LBB1302_11
; %bb.1:
	v_lshl_add_u32 v2, v1, 4, v0
	v_and_b32_e32 v8, 31, v2
	v_lshrrev_b32_e32 v5, 3, v2
	v_or_b32_e32 v3, s28, v8
	v_lshrrev_b32_e32 v10, 5, v2
	v_lshlrev_b32_e32 v2, 3, v8
	v_cmp_gt_i32_e32 vcc, s9, v3
	v_lshl_or_b32 v12, v10, 8, v2
	v_mad_u64_u32 v[2:3], s[2:3], s18, v10, 0
	v_and_b32_e32 v11, 7, v0
	v_add_u32_e32 v4, s29, v5
	v_lshlrev_b32_e32 v6, 3, v11
	v_lshl_or_b32 v5, v5, 6, v6
	v_mad_u64_u32 v[6:7], s[2:3], s19, v10, v[3:4]
	v_mov_b32_e32 v3, 0x800
	v_lshl_add_u32 v15, v1, 6, v3
	v_mov_b32_e32 v3, v6
	s_mul_i32 s2, s21, s8
	s_mul_hi_u32 s3, s20, s8
	v_lshlrev_b64 v[2:3], 3, v[2:3]
	s_add_i32 s3, s3, s2
	s_mul_i32 s2, s20, s8
	s_lshl_b64 s[2:3], s[2:3], 3
	v_mov_b32_e32 v6, s3
	v_add_co_u32_e64 v7, s[2:3], s2, v2
	v_add_u32_e32 v2, s28, v8
	v_addc_co_u32_e64 v6, s[2:3], v3, v6, s[2:3]
	v_ashrrev_i32_e32 v3, 31, v2
	v_lshlrev_b64 v[2:3], 3, v[2:3]
	s_mul_i32 s10, s27, s8
	v_add_co_u32_e64 v2, s[2:3], v7, v2
	v_addc_co_u32_e64 v3, s[2:3], v6, v3, s[2:3]
	v_mov_b32_e32 v6, s17
	v_add_co_u32_e64 v2, s[2:3], s16, v2
	v_addc_co_u32_e64 v3, s[2:3], v6, v3, s[2:3]
	v_mad_u64_u32 v[6:7], s[2:3], s24, v11, 0
	s_mul_hi_u32 s11, s26, s8
	v_add_u32_e32 v13, 0x800, v5
	v_mad_u64_u32 v[7:8], s[2:3], s25, v11, v[7:8]
	s_add_i32 s3, s11, s10
	s_mul_i32 s2, s26, s8
	v_lshlrev_b64 v[6:7], 3, v[6:7]
	v_ashrrev_i32_e32 v5, 31, v4
	s_lshl_b64 s[2:3], s[2:3], 3
	v_cmp_gt_i32_e64 s[0:1], s9, v4
	v_mov_b32_e32 v8, s3
	v_add_co_u32_e64 v6, s[2:3], s2, v6
	v_lshlrev_b64 v[4:5], 3, v[4:5]
	v_addc_co_u32_e64 v7, s[2:3], v8, v7, s[2:3]
	v_add_co_u32_e64 v4, s[2:3], v6, v4
	v_addc_co_u32_e64 v5, s[2:3], v7, v5, s[2:3]
	v_mov_b32_e32 v6, s23
	v_add_co_u32_e64 v4, s[2:3], s22, v4
	v_addc_co_u32_e64 v5, s[2:3], v6, v5, s[2:3]
	v_add_co_u32_e64 v4, s[2:3], 4, v4
	v_addc_co_u32_e64 v5, s[2:3], 0, v5, s[2:3]
	s_lshl_b64 s[6:7], s[18:19], 6
	s_lshl_b64 s[2:3], s[24:25], 6
	v_mov_b32_e32 v8, s12
	v_lshlrev_b32_e32 v14, 3, v0
	s_mov_b64 s[10:11], 0
	s_xor_b64 s[16:17], vcc, -1
	s_xor_b64 s[18:19], s[0:1], -1
	v_mov_b32_e32 v16, s7
	v_mov_b32_e32 v17, s3
	;; [unrolled: 1-line block ×12, first 2 shown]
	s_branch .LBB1302_3
.LBB1302_2:                             ;   in Loop: Header=BB1302_3 Depth=1
	s_or_b64 exec, exec, s[0:1]
	ds_write_b32 v13, v7 offset:4
	s_waitcnt lgkmcnt(0)
	s_barrier
	ds_read2_b64 v[26:29], v14 offset1:16
	ds_read_b128 v[30:33], v15
	ds_read_b128 v[34:37], v15 offset:16
	s_add_u32 s10, s10, 8
	v_add_co_u32_e32 v2, vcc, s6, v2
	s_waitcnt lgkmcnt(1)
	v_mul_f32_e32 v38, v30, v27
	v_fmac_f32_e32 v38, v31, v26
	v_add_f32_e32 v42, v25, v38
	ds_read_b128 v[38:41], v15 offset:1024
	v_mul_f32_e32 v7, v31, v27
	v_fma_f32 v7, v30, v26, -v7
	v_add_f32_e32 v7, v24, v7
	v_mul_f32_e32 v24, v31, v29
	v_mul_f32_e32 v25, v30, v29
	v_fma_f32 v24, v30, v28, -v24
	v_fmac_f32_e32 v25, v31, v28
	v_add_f32_e32 v30, v22, v24
	v_add_f32_e32 v31, v23, v25
	ds_read_b128 v[22:25], v15 offset:1040
	s_waitcnt lgkmcnt(1)
	v_mul_f32_e32 v43, v39, v27
	v_mul_f32_e32 v44, v38, v27
	v_fma_f32 v43, v38, v26, -v43
	v_fmac_f32_e32 v44, v39, v26
	v_mul_f32_e32 v26, v39, v29
	v_fma_f32 v45, v38, v28, -v26
	v_mul_f32_e32 v38, v38, v29
	v_fmac_f32_e32 v38, v39, v28
	ds_read2_b64 v[26:29], v14 offset0:32 offset1:48
	v_add_f32_e32 v39, v20, v45
	v_add_f32_e32 v38, v21, v38
	;; [unrolled: 1-line block ×4, first 2 shown]
	s_waitcnt lgkmcnt(0)
	v_mul_f32_e32 v20, v33, v27
	v_fma_f32 v20, v32, v26, -v20
	v_mul_f32_e32 v21, v32, v27
	v_fmac_f32_e32 v21, v33, v26
	v_add_f32_e32 v7, v7, v20
	v_mul_f32_e32 v20, v33, v29
	v_add_f32_e32 v42, v42, v21
	v_fma_f32 v20, v32, v28, -v20
	v_mul_f32_e32 v21, v32, v29
	v_fmac_f32_e32 v21, v33, v28
	v_add_f32_e32 v30, v30, v20
	v_mul_f32_e32 v20, v41, v27
	v_add_f32_e32 v31, v31, v21
	;; [unrolled: 6-line block ×3, first 2 shown]
	v_fma_f32 v32, v40, v28, -v18
	ds_read2_b64 v[18:21], v14 offset0:64 offset1:80
	v_mul_f32_e32 v29, v40, v29
	v_fmac_f32_e32 v29, v41, v28
	v_add_f32_e32 v33, v38, v29
	v_add_f32_e32 v32, v39, v32
	s_waitcnt lgkmcnt(0)
	v_mul_f32_e32 v28, v35, v19
	v_fma_f32 v28, v34, v18, -v28
	v_mul_f32_e32 v29, v34, v19
	v_add_f32_e32 v7, v7, v28
	v_mul_f32_e32 v28, v35, v21
	v_fmac_f32_e32 v29, v35, v18
	v_fma_f32 v28, v34, v20, -v28
	v_add_f32_e32 v38, v42, v29
	v_mul_f32_e32 v29, v34, v21
	v_add_f32_e32 v30, v30, v28
	v_mul_f32_e32 v28, v23, v19
	v_mul_f32_e32 v19, v22, v19
	v_fmac_f32_e32 v29, v35, v20
	v_fma_f32 v28, v22, v18, -v28
	v_fmac_f32_e32 v19, v23, v18
	v_add_f32_e32 v31, v31, v29
	v_add_f32_e32 v34, v26, v28
	;; [unrolled: 1-line block ×3, first 2 shown]
	ds_read2_b64 v[26:29], v14 offset0:96 offset1:112
	v_mul_f32_e32 v18, v23, v21
	v_fma_f32 v39, v22, v20, -v18
	v_mul_f32_e32 v22, v22, v21
	v_fmac_f32_e32 v22, v23, v20
	v_add_f32_e32 v23, v32, v39
	s_waitcnt lgkmcnt(0)
	v_mul_f32_e32 v32, v37, v27
	v_fma_f32 v32, v36, v26, -v32
	v_add_f32_e32 v22, v33, v22
	v_mul_f32_e32 v33, v36, v27
	v_add_f32_e32 v7, v7, v32
	v_mul_f32_e32 v32, v37, v29
	v_fmac_f32_e32 v33, v37, v26
	v_fma_f32 v32, v36, v28, -v32
	v_add_f32_e32 v38, v38, v33
	v_mul_f32_e32 v33, v36, v29
	v_add_f32_e32 v39, v30, v32
	v_mul_f32_e32 v30, v25, v27
	v_fmac_f32_e32 v33, v37, v28
	v_fma_f32 v30, v24, v26, -v30
	ds_read_b128 v[18:21], v15 offset:32
	v_add_f32_e32 v40, v31, v33
	v_add_f32_e32 v42, v34, v30
	ds_read2_b64 v[30:33], v14 offset0:128 offset1:144
	v_mul_f32_e32 v27, v24, v27
	v_fmac_f32_e32 v27, v25, v26
	v_mul_f32_e32 v26, v25, v29
	v_fma_f32 v26, v24, v28, -v26
	v_mul_f32_e32 v24, v24, v29
	v_fmac_f32_e32 v24, v25, v28
	v_add_f32_e32 v43, v35, v27
	v_add_f32_e32 v23, v23, v26
	;; [unrolled: 1-line block ×3, first 2 shown]
	ds_read_b128 v[24:27], v15 offset:48
	s_waitcnt lgkmcnt(1)
	v_mul_f32_e32 v28, v19, v31
	ds_read_b128 v[34:37], v15 offset:1056
	v_fma_f32 v28, v18, v30, -v28
	v_add_f32_e32 v7, v7, v28
	v_mul_f32_e32 v28, v19, v33
	v_mul_f32_e32 v29, v18, v31
	v_fma_f32 v28, v18, v32, -v28
	v_mul_f32_e32 v18, v18, v33
	v_fmac_f32_e32 v29, v19, v30
	v_fmac_f32_e32 v18, v19, v32
	v_add_f32_e32 v44, v38, v29
	v_add_f32_e32 v19, v39, v28
	v_add_f32_e32 v18, v40, v18
	ds_read_b128 v[38:41], v15 offset:1072
	s_waitcnt lgkmcnt(1)
	v_mul_f32_e32 v28, v35, v31
	v_fma_f32 v45, v34, v30, -v28
	v_mul_f32_e32 v46, v34, v31
	v_mul_f32_e32 v28, v35, v33
	v_fmac_f32_e32 v46, v35, v30
	v_fma_f32 v47, v34, v32, -v28
	ds_read2_b64 v[28:31], v14 offset0:160 offset1:176
	v_mul_f32_e32 v33, v34, v33
	v_fmac_f32_e32 v33, v35, v32
	v_add_f32_e32 v22, v22, v33
	v_add_f32_e32 v32, v42, v45
	s_waitcnt lgkmcnt(0)
	v_mul_f32_e32 v33, v21, v29
	v_mul_f32_e32 v35, v20, v29
	v_fma_f32 v33, v20, v28, -v33
	v_fmac_f32_e32 v35, v21, v28
	v_add_f32_e32 v7, v7, v33
	v_add_f32_e32 v33, v44, v35
	v_mul_f32_e32 v35, v21, v31
	v_fma_f32 v35, v20, v30, -v35
	v_mul_f32_e32 v20, v20, v31
	v_fmac_f32_e32 v20, v21, v30
	v_add_f32_e32 v42, v18, v20
	v_mul_f32_e32 v18, v37, v29
	v_add_f32_e32 v35, v19, v35
	v_fma_f32 v18, v36, v28, -v18
	v_mul_f32_e32 v19, v36, v29
	v_add_f32_e32 v34, v43, v46
	v_fmac_f32_e32 v19, v37, v28
	v_add_f32_e32 v28, v32, v18
	v_mul_f32_e32 v18, v37, v31
	v_add_f32_e32 v29, v34, v19
	v_fma_f32 v32, v36, v30, -v18
	ds_read2_b64 v[18:21], v14 offset0:192 offset1:208
	v_mul_f32_e32 v31, v36, v31
	v_fmac_f32_e32 v31, v37, v30
	v_add_f32_e32 v22, v22, v31
	v_add_f32_e32 v23, v23, v47
	s_waitcnt lgkmcnt(0)
	v_mul_f32_e32 v30, v25, v19
	v_fma_f32 v30, v24, v18, -v30
	v_add_f32_e32 v7, v7, v30
	v_mul_f32_e32 v30, v25, v21
	v_mul_f32_e32 v31, v24, v19
	v_fma_f32 v30, v24, v20, -v30
	v_mul_f32_e32 v24, v24, v21
	v_fmac_f32_e32 v24, v25, v20
	v_add_f32_e32 v34, v42, v24
	v_mul_f32_e32 v24, v39, v19
	v_mul_f32_e32 v19, v38, v19
	v_fmac_f32_e32 v31, v25, v18
	v_fma_f32 v24, v38, v18, -v24
	v_fmac_f32_e32 v19, v39, v18
	v_add_f32_e32 v23, v23, v32
	v_add_f32_e32 v32, v33, v31
	;; [unrolled: 1-line block ×5, first 2 shown]
	ds_read2_b64 v[28:31], v14 offset0:224 offset1:240
	v_mul_f32_e32 v24, v39, v21
	v_mul_f32_e32 v21, v38, v21
	v_fmac_f32_e32 v21, v39, v20
	v_add_f32_e32 v21, v22, v21
	s_waitcnt lgkmcnt(0)
	v_mul_f32_e32 v22, v27, v29
	v_fma_f32 v24, v38, v20, -v24
	v_fma_f32 v22, v26, v28, -v22
	v_add_f32_e32 v20, v23, v24
	v_mul_f32_e32 v23, v26, v29
	v_add_f32_e32 v24, v7, v22
	v_mul_f32_e32 v7, v27, v31
	v_fmac_f32_e32 v23, v27, v28
	v_fma_f32 v7, v26, v30, -v7
	v_add_f32_e32 v25, v32, v23
	v_mul_f32_e32 v23, v26, v31
	v_add_f32_e32 v22, v33, v7
	v_mul_f32_e32 v7, v41, v29
	v_mul_f32_e32 v26, v40, v29
	v_fma_f32 v7, v40, v28, -v7
	v_fmac_f32_e32 v26, v41, v28
	s_addc_u32 s11, s11, 0
	v_addc_co_u32_e32 v3, vcc, v3, v16, vcc
	v_add_f32_e32 v18, v18, v7
	v_add_f32_e32 v19, v19, v26
	v_mul_f32_e32 v7, v41, v31
	v_mul_f32_e32 v26, v40, v31
	v_cmp_ge_i64_e32 vcc, s[10:11], v[8:9]
	v_fmac_f32_e32 v23, v27, v30
	v_fma_f32 v7, v40, v30, -v7
	v_fmac_f32_e32 v26, v41, v30
	v_add_co_u32_e64 v4, s[0:1], s2, v4
	v_add_f32_e32 v23, v34, v23
	v_add_f32_e32 v20, v20, v7
	;; [unrolled: 1-line block ×3, first 2 shown]
	v_addc_co_u32_e64 v5, s[0:1], v5, v17, s[0:1]
	s_barrier
	s_cbranch_vccnz .LBB1302_12
.LBB1302_3:                             ; =>This Inner Loop Header: Depth=1
	v_mov_b32_e32 v7, s11
	v_add_co_u32_e32 v26, vcc, s10, v10
	v_addc_co_u32_e32 v27, vcc, 0, v7, vcc
	v_cmp_le_i64_e32 vcc, s[12:13], v[26:27]
	s_or_b64 s[0:1], s[16:17], vcc
	s_and_saveexec_b64 s[20:21], s[0:1]
	s_xor_b64 s[0:1], exec, s[20:21]
; %bb.4:                                ;   in Loop: Header=BB1302_3 Depth=1
	v_mov_b32_e32 v7, v6
	ds_write_b64 v12, v[6:7]
; %bb.5:                                ;   in Loop: Header=BB1302_3 Depth=1
	s_andn2_saveexec_b64 s[0:1], s[0:1]
	s_cbranch_execz .LBB1302_7
; %bb.6:                                ;   in Loop: Header=BB1302_3 Depth=1
	global_load_dwordx2 v[26:27], v[2:3], off
	s_waitcnt vmcnt(0)
	ds_write_b64 v12, v[26:27]
.LBB1302_7:                             ;   in Loop: Header=BB1302_3 Depth=1
	s_or_b64 exec, exec, s[0:1]
	v_mov_b32_e32 v7, s11
	v_add_co_u32_e32 v26, vcc, s10, v11
	v_addc_co_u32_e32 v27, vcc, 0, v7, vcc
	v_cmp_le_i64_e32 vcc, s[12:13], v[26:27]
	s_or_b64 s[0:1], vcc, s[18:19]
	s_and_saveexec_b64 s[20:21], s[0:1]
	s_xor_b64 s[0:1], exec, s[20:21]
; %bb.8:                                ;   in Loop: Header=BB1302_3 Depth=1
	ds_write_b32 v13, v6
; %bb.9:                                ;   in Loop: Header=BB1302_3 Depth=1
	s_or_saveexec_b64 s[0:1], s[0:1]
	v_mov_b32_e32 v7, 0
	s_xor_b64 exec, exec, s[0:1]
	s_cbranch_execz .LBB1302_2
; %bb.10:                               ;   in Loop: Header=BB1302_3 Depth=1
	global_load_dwordx2 v[26:27], v[4:5], off offset:-4
	s_waitcnt vmcnt(0)
	v_xor_b32_e32 v7, 0x80000000, v27
	ds_write_b32 v13, v26
	s_branch .LBB1302_2
.LBB1302_11:
	v_mov_b32_e32 v24, 0
	v_mov_b32_e32 v25, 0
	;; [unrolled: 1-line block ×8, first 2 shown]
.LBB1302_12:
	s_load_dwordx8 s[16:23], s[4:5], 0x48
	v_add_u32_e32 v5, s29, v1
	v_ashrrev_i32_e32 v1, 31, v5
	v_add_u32_e32 v0, s28, v0
	s_waitcnt lgkmcnt(0)
	v_mul_lo_u32 v3, s20, v1
	v_mul_lo_u32 v4, s21, v5
	v_mad_u64_u32 v[1:2], s[2:3], s20, v5, 0
	s_mul_i32 s0, s23, s8
	s_mul_hi_u32 s1, s22, s8
	s_add_i32 s1, s1, s0
	s_mul_i32 s0, s22, s8
	s_lshl_b64 s[0:1], s[0:1], 3
	v_add3_u32 v2, v2, v3, v4
	s_add_u32 s6, s18, s0
	v_lshlrev_b64 v[1:2], 3, v[1:2]
	s_addc_u32 s7, s19, s1
	v_mov_b32_e32 v3, s7
	v_add_co_u32_e32 v4, vcc, s6, v1
	v_addc_co_u32_e32 v6, vcc, v3, v2, vcc
	v_cmp_le_i32_e64 s[0:1], v5, v0
	v_cmp_gt_i32_e32 vcc, s9, v0
	s_and_b64 s[0:1], s[0:1], vcc
	s_and_saveexec_b64 s[2:3], s[0:1]
	s_cbranch_execz .LBB1302_15
; %bb.13:
	v_ashrrev_i32_e32 v1, 31, v0
	v_lshlrev_b64 v[1:2], 3, v[0:1]
	v_mul_f32_e32 v3, s15, v25
	v_add_co_u32_e64 v1, s[0:1], v4, v1
	v_addc_co_u32_e64 v2, s[0:1], v6, v2, s[0:1]
	global_load_dwordx2 v[7:8], v[1:2], off
	v_mul_f32_e32 v9, s14, v25
	v_fma_f32 v3, v24, s14, -v3
	v_fmac_f32_e32 v9, s15, v24
	v_cmp_eq_u32_e64 s[0:1], v5, v0
	s_waitcnt vmcnt(0)
	v_mul_f32_e32 v10, s17, v8
	v_mul_f32_e32 v8, s16, v8
	v_fma_f32 v10, v7, s16, -v10
	v_fmac_f32_e32 v8, s17, v7
	v_add_f32_e32 v7, v3, v10
	v_add_f32_e32 v8, v9, v8
	global_store_dwordx2 v[1:2], v[7:8], off
	s_and_b64 exec, exec, s[0:1]
	s_cbranch_execz .LBB1302_15
; %bb.14:
	v_mov_b32_e32 v3, 0
	global_store_dword v[1:2], v3, off offset:4
.LBB1302_15:
	s_or_b64 exec, exec, s[2:3]
	v_add_u32_e32 v2, 16, v0
	v_cmp_le_i32_e64 s[2:3], v5, v2
	v_cmp_gt_i32_e64 s[0:1], s9, v2
	s_and_b64 s[2:3], s[2:3], s[0:1]
	s_and_saveexec_b64 s[4:5], s[2:3]
	s_cbranch_execz .LBB1302_18
; %bb.16:
	v_ashrrev_i32_e32 v3, 31, v2
	v_lshlrev_b64 v[7:8], 3, v[2:3]
	v_mul_f32_e32 v1, s15, v23
	v_add_co_u32_e64 v3, s[2:3], v4, v7
	v_addc_co_u32_e64 v4, s[2:3], v6, v8, s[2:3]
	global_load_dwordx2 v[6:7], v[3:4], off
	v_mul_f32_e32 v8, s14, v23
	v_fma_f32 v1, v22, s14, -v1
	v_fmac_f32_e32 v8, s15, v22
	v_cmp_eq_u32_e64 s[2:3], v5, v2
	s_waitcnt vmcnt(0)
	v_mul_f32_e32 v9, s17, v7
	v_mul_f32_e32 v7, s16, v7
	v_fma_f32 v9, v6, s16, -v9
	v_fmac_f32_e32 v7, s17, v6
	v_add_f32_e32 v6, v1, v9
	v_add_f32_e32 v7, v8, v7
	global_store_dwordx2 v[3:4], v[6:7], off
	s_and_b64 exec, exec, s[2:3]
	s_cbranch_execz .LBB1302_18
; %bb.17:
	v_mov_b32_e32 v1, 0
	global_store_dword v[3:4], v1, off offset:4
.LBB1302_18:
	s_or_b64 exec, exec, s[4:5]
	v_add_u32_e32 v8, 16, v5
	v_ashrrev_i32_e32 v1, 31, v8
	v_mul_lo_u32 v6, s21, v8
	v_mad_u64_u32 v[3:4], s[2:3], s20, v8, 0
	v_mul_lo_u32 v1, s20, v1
	v_add3_u32 v4, v4, v1, v6
	v_lshlrev_b64 v[3:4], 3, v[3:4]
	v_mov_b32_e32 v1, s7
	v_add_co_u32_e64 v6, s[2:3], s6, v3
	v_addc_co_u32_e64 v7, s[2:3], v1, v4, s[2:3]
	v_cmp_le_i32_e64 s[2:3], v8, v0
	s_and_b64 s[4:5], s[2:3], vcc
	s_and_saveexec_b64 s[2:3], s[4:5]
	s_cbranch_execz .LBB1302_21
; %bb.19:
	v_ashrrev_i32_e32 v1, 31, v0
	v_lshlrev_b64 v[3:4], 3, v[0:1]
	v_mul_f32_e32 v1, s15, v19
	v_add_co_u32_e32 v3, vcc, v6, v3
	v_addc_co_u32_e32 v4, vcc, v7, v4, vcc
	global_load_dwordx2 v[9:10], v[3:4], off
	v_mul_f32_e32 v11, s14, v19
	v_fma_f32 v1, v18, s14, -v1
	v_fmac_f32_e32 v11, s15, v18
	v_cmp_eq_u32_e32 vcc, v8, v0
	s_waitcnt vmcnt(0)
	v_mul_f32_e32 v12, s17, v10
	v_mul_f32_e32 v10, s16, v10
	v_fma_f32 v12, v9, s16, -v12
	v_fmac_f32_e32 v10, s17, v9
	v_add_f32_e32 v9, v1, v12
	v_add_f32_e32 v10, v11, v10
	global_store_dwordx2 v[3:4], v[9:10], off
	s_and_b64 exec, exec, vcc
	s_cbranch_execz .LBB1302_21
; %bb.20:
	v_mov_b32_e32 v1, 0
	global_store_dword v[3:4], v1, off offset:4
.LBB1302_21:
	s_or_b64 exec, exec, s[2:3]
	v_cmp_le_i32_e32 vcc, v8, v2
	s_and_b64 s[0:1], vcc, s[0:1]
	s_and_saveexec_b64 s[2:3], s[0:1]
	s_cbranch_execz .LBB1302_24
; %bb.22:
	v_ashrrev_i32_e32 v3, 31, v2
	v_lshlrev_b64 v[1:2], 3, v[2:3]
	v_add_co_u32_e32 v1, vcc, v6, v1
	v_addc_co_u32_e32 v2, vcc, v7, v2, vcc
	global_load_dwordx2 v[3:4], v[1:2], off
	v_mul_f32_e32 v6, s15, v21
	v_mul_f32_e32 v7, s14, v21
	v_fma_f32 v6, v20, s14, -v6
	v_fmac_f32_e32 v7, s15, v20
	v_cmp_eq_u32_e32 vcc, v5, v0
	s_waitcnt vmcnt(0)
	v_mul_f32_e32 v8, s17, v4
	v_mul_f32_e32 v4, s16, v4
	v_fma_f32 v8, v3, s16, -v8
	v_fmac_f32_e32 v4, s17, v3
	v_add_f32_e32 v3, v6, v8
	v_add_f32_e32 v4, v7, v4
	global_store_dwordx2 v[1:2], v[3:4], off
	s_and_b64 exec, exec, vcc
	s_cbranch_execz .LBB1302_24
; %bb.23:
	v_mov_b32_e32 v0, 0
	global_store_dword v[1:2], v0, off offset:4
.LBB1302_24:
	s_endpgm
	.section	.rodata,"a",@progbits
	.p2align	6, 0x0
	.amdhsa_kernel _ZL34rocblas_syrkx_herkx_general_kernelIl19rocblas_complex_numIfELi16ELi32ELi8ELb0ELb1ELc78ELc76EKS1_S1_EviT_T0_PT8_S3_lS6_S3_lS4_PT9_S3_li
		.amdhsa_group_segment_fixed_size 4096
		.amdhsa_private_segment_fixed_size 0
		.amdhsa_kernarg_size 108
		.amdhsa_user_sgpr_count 6
		.amdhsa_user_sgpr_private_segment_buffer 1
		.amdhsa_user_sgpr_dispatch_ptr 0
		.amdhsa_user_sgpr_queue_ptr 0
		.amdhsa_user_sgpr_kernarg_segment_ptr 1
		.amdhsa_user_sgpr_dispatch_id 0
		.amdhsa_user_sgpr_flat_scratch_init 0
		.amdhsa_user_sgpr_private_segment_size 0
		.amdhsa_uses_dynamic_stack 0
		.amdhsa_system_sgpr_private_segment_wavefront_offset 0
		.amdhsa_system_sgpr_workgroup_id_x 1
		.amdhsa_system_sgpr_workgroup_id_y 1
		.amdhsa_system_sgpr_workgroup_id_z 1
		.amdhsa_system_sgpr_workgroup_info 0
		.amdhsa_system_vgpr_workitem_id 1
		.amdhsa_next_free_vgpr 48
		.amdhsa_next_free_sgpr 30
		.amdhsa_reserve_vcc 1
		.amdhsa_reserve_flat_scratch 0
		.amdhsa_float_round_mode_32 0
		.amdhsa_float_round_mode_16_64 0
		.amdhsa_float_denorm_mode_32 3
		.amdhsa_float_denorm_mode_16_64 3
		.amdhsa_dx10_clamp 1
		.amdhsa_ieee_mode 1
		.amdhsa_fp16_overflow 0
		.amdhsa_exception_fp_ieee_invalid_op 0
		.amdhsa_exception_fp_denorm_src 0
		.amdhsa_exception_fp_ieee_div_zero 0
		.amdhsa_exception_fp_ieee_overflow 0
		.amdhsa_exception_fp_ieee_underflow 0
		.amdhsa_exception_fp_ieee_inexact 0
		.amdhsa_exception_int_div_zero 0
	.end_amdhsa_kernel
	.section	.text._ZL34rocblas_syrkx_herkx_general_kernelIl19rocblas_complex_numIfELi16ELi32ELi8ELb0ELb1ELc78ELc76EKS1_S1_EviT_T0_PT8_S3_lS6_S3_lS4_PT9_S3_li,"axG",@progbits,_ZL34rocblas_syrkx_herkx_general_kernelIl19rocblas_complex_numIfELi16ELi32ELi8ELb0ELb1ELc78ELc76EKS1_S1_EviT_T0_PT8_S3_lS6_S3_lS4_PT9_S3_li,comdat
.Lfunc_end1302:
	.size	_ZL34rocblas_syrkx_herkx_general_kernelIl19rocblas_complex_numIfELi16ELi32ELi8ELb0ELb1ELc78ELc76EKS1_S1_EviT_T0_PT8_S3_lS6_S3_lS4_PT9_S3_li, .Lfunc_end1302-_ZL34rocblas_syrkx_herkx_general_kernelIl19rocblas_complex_numIfELi16ELi32ELi8ELb0ELb1ELc78ELc76EKS1_S1_EviT_T0_PT8_S3_lS6_S3_lS4_PT9_S3_li
                                        ; -- End function
	.set _ZL34rocblas_syrkx_herkx_general_kernelIl19rocblas_complex_numIfELi16ELi32ELi8ELb0ELb1ELc78ELc76EKS1_S1_EviT_T0_PT8_S3_lS6_S3_lS4_PT9_S3_li.num_vgpr, 48
	.set _ZL34rocblas_syrkx_herkx_general_kernelIl19rocblas_complex_numIfELi16ELi32ELi8ELb0ELb1ELc78ELc76EKS1_S1_EviT_T0_PT8_S3_lS6_S3_lS4_PT9_S3_li.num_agpr, 0
	.set _ZL34rocblas_syrkx_herkx_general_kernelIl19rocblas_complex_numIfELi16ELi32ELi8ELb0ELb1ELc78ELc76EKS1_S1_EviT_T0_PT8_S3_lS6_S3_lS4_PT9_S3_li.numbered_sgpr, 30
	.set _ZL34rocblas_syrkx_herkx_general_kernelIl19rocblas_complex_numIfELi16ELi32ELi8ELb0ELb1ELc78ELc76EKS1_S1_EviT_T0_PT8_S3_lS6_S3_lS4_PT9_S3_li.num_named_barrier, 0
	.set _ZL34rocblas_syrkx_herkx_general_kernelIl19rocblas_complex_numIfELi16ELi32ELi8ELb0ELb1ELc78ELc76EKS1_S1_EviT_T0_PT8_S3_lS6_S3_lS4_PT9_S3_li.private_seg_size, 0
	.set _ZL34rocblas_syrkx_herkx_general_kernelIl19rocblas_complex_numIfELi16ELi32ELi8ELb0ELb1ELc78ELc76EKS1_S1_EviT_T0_PT8_S3_lS6_S3_lS4_PT9_S3_li.uses_vcc, 1
	.set _ZL34rocblas_syrkx_herkx_general_kernelIl19rocblas_complex_numIfELi16ELi32ELi8ELb0ELb1ELc78ELc76EKS1_S1_EviT_T0_PT8_S3_lS6_S3_lS4_PT9_S3_li.uses_flat_scratch, 0
	.set _ZL34rocblas_syrkx_herkx_general_kernelIl19rocblas_complex_numIfELi16ELi32ELi8ELb0ELb1ELc78ELc76EKS1_S1_EviT_T0_PT8_S3_lS6_S3_lS4_PT9_S3_li.has_dyn_sized_stack, 0
	.set _ZL34rocblas_syrkx_herkx_general_kernelIl19rocblas_complex_numIfELi16ELi32ELi8ELb0ELb1ELc78ELc76EKS1_S1_EviT_T0_PT8_S3_lS6_S3_lS4_PT9_S3_li.has_recursion, 0
	.set _ZL34rocblas_syrkx_herkx_general_kernelIl19rocblas_complex_numIfELi16ELi32ELi8ELb0ELb1ELc78ELc76EKS1_S1_EviT_T0_PT8_S3_lS6_S3_lS4_PT9_S3_li.has_indirect_call, 0
	.section	.AMDGPU.csdata,"",@progbits
; Kernel info:
; codeLenInByte = 2532
; TotalNumSgprs: 34
; NumVgprs: 48
; ScratchSize: 0
; MemoryBound: 1
; FloatMode: 240
; IeeeMode: 1
; LDSByteSize: 4096 bytes/workgroup (compile time only)
; SGPRBlocks: 4
; VGPRBlocks: 11
; NumSGPRsForWavesPerEU: 34
; NumVGPRsForWavesPerEU: 48
; Occupancy: 5
; WaveLimiterHint : 0
; COMPUTE_PGM_RSRC2:SCRATCH_EN: 0
; COMPUTE_PGM_RSRC2:USER_SGPR: 6
; COMPUTE_PGM_RSRC2:TRAP_HANDLER: 0
; COMPUTE_PGM_RSRC2:TGID_X_EN: 1
; COMPUTE_PGM_RSRC2:TGID_Y_EN: 1
; COMPUTE_PGM_RSRC2:TGID_Z_EN: 1
; COMPUTE_PGM_RSRC2:TIDIG_COMP_CNT: 1
	.section	.text._ZL34rocblas_syrkx_herkx_general_kernelIl19rocblas_complex_numIfELi16ELi32ELi8ELb0ELb1ELc84ELc85EKS1_S1_EviT_T0_PT8_S3_lS6_S3_lS4_PT9_S3_li,"axG",@progbits,_ZL34rocblas_syrkx_herkx_general_kernelIl19rocblas_complex_numIfELi16ELi32ELi8ELb0ELb1ELc84ELc85EKS1_S1_EviT_T0_PT8_S3_lS6_S3_lS4_PT9_S3_li,comdat
	.globl	_ZL34rocblas_syrkx_herkx_general_kernelIl19rocblas_complex_numIfELi16ELi32ELi8ELb0ELb1ELc84ELc85EKS1_S1_EviT_T0_PT8_S3_lS6_S3_lS4_PT9_S3_li ; -- Begin function _ZL34rocblas_syrkx_herkx_general_kernelIl19rocblas_complex_numIfELi16ELi32ELi8ELb0ELb1ELc84ELc85EKS1_S1_EviT_T0_PT8_S3_lS6_S3_lS4_PT9_S3_li
	.p2align	8
	.type	_ZL34rocblas_syrkx_herkx_general_kernelIl19rocblas_complex_numIfELi16ELi32ELi8ELb0ELb1ELc84ELc85EKS1_S1_EviT_T0_PT8_S3_lS6_S3_lS4_PT9_S3_li,@function
_ZL34rocblas_syrkx_herkx_general_kernelIl19rocblas_complex_numIfELi16ELi32ELi8ELb0ELb1ELc84ELc85EKS1_S1_EviT_T0_PT8_S3_lS6_S3_lS4_PT9_S3_li: ; @_ZL34rocblas_syrkx_herkx_general_kernelIl19rocblas_complex_numIfELi16ELi32ELi8ELb0ELb1ELc84ELc85EKS1_S1_EviT_T0_PT8_S3_lS6_S3_lS4_PT9_S3_li
; %bb.0:
	s_load_dwordx16 s[12:27], s[4:5], 0x8
	s_load_dword s9, s[4:5], 0x0
	s_lshl_b32 s28, s6, 5
	s_lshl_b32 s29, s7, 5
	s_waitcnt lgkmcnt(0)
	v_cmp_lt_i64_e64 s[0:1], s[12:13], 1
	s_and_b64 vcc, exec, s[0:1]
	s_cbranch_vccnz .LBB1303_11
; %bb.1:
	v_lshl_add_u32 v2, v1, 4, v0
	v_and_b32_e32 v5, 31, v2
	v_or_b32_e32 v6, s28, v5
	v_and_b32_e32 v11, 7, v0
	v_lshrrev_b32_e32 v3, 3, v2
	v_lshrrev_b32_e32 v10, 5, v2
	v_cmp_gt_i32_e32 vcc, s9, v6
	v_lshlrev_b32_e32 v2, 3, v5
	v_lshlrev_b32_e32 v6, 3, v11
	v_lshl_or_b32 v12, v10, 8, v2
	v_lshl_or_b32 v2, v3, 6, v6
	v_add_u32_e32 v13, 0x800, v2
	v_add_u32_e32 v2, s28, v5
	;; [unrolled: 1-line block ×3, first 2 shown]
	v_ashrrev_i32_e32 v3, 31, v2
	v_mul_lo_u32 v5, s18, v3
	v_mul_lo_u32 v8, s19, v2
	v_mad_u64_u32 v[2:3], s[2:3], s18, v2, 0
	s_mul_i32 s2, s21, s8
	s_mul_hi_u32 s3, s20, s8
	v_add3_u32 v3, v3, v5, v8
	v_lshlrev_b64 v[2:3], 3, v[2:3]
	s_add_i32 s3, s3, s2
	s_mul_i32 s2, s20, s8
	s_lshl_b64 s[2:3], s[2:3], 3
	v_mov_b32_e32 v5, s3
	v_add_co_u32_e64 v2, s[2:3], s2, v2
	v_addc_co_u32_e64 v3, s[2:3], v3, v5, s[2:3]
	v_lshlrev_b32_e32 v5, 3, v10
	v_ashrrev_i32_e32 v7, 31, v4
	v_mov_b32_e32 v9, 0x800
	v_add_co_u32_e64 v2, s[2:3], v2, v5
	v_cmp_gt_i32_e64 s[0:1], s9, v4
	v_lshl_add_u32 v15, v1, 6, v9
	v_addc_co_u32_e64 v3, s[2:3], 0, v3, s[2:3]
	v_mul_lo_u32 v7, s24, v7
	v_mul_lo_u32 v9, s25, v4
	v_mad_u64_u32 v[4:5], s[2:3], s24, v4, 0
	v_mov_b32_e32 v8, s17
	v_add_co_u32_e64 v2, s[2:3], s16, v2
	v_addc_co_u32_e64 v3, s[2:3], v8, v3, s[2:3]
	v_add3_u32 v5, v5, v7, v9
	s_mul_i32 s2, s27, s8
	s_mul_hi_u32 s3, s26, s8
	v_lshlrev_b64 v[4:5], 3, v[4:5]
	s_add_i32 s3, s3, s2
	s_mul_i32 s2, s26, s8
	s_lshl_b64 s[2:3], s[2:3], 3
	v_mov_b32_e32 v7, s3
	v_add_co_u32_e64 v4, s[2:3], s2, v4
	v_addc_co_u32_e64 v5, s[2:3], v5, v7, s[2:3]
	v_add_co_u32_e64 v4, s[2:3], v4, v6
	v_addc_co_u32_e64 v5, s[2:3], 0, v5, s[2:3]
	v_mov_b32_e32 v6, s23
	v_add_co_u32_e64 v4, s[2:3], s22, v4
	v_addc_co_u32_e64 v5, s[2:3], v6, v5, s[2:3]
	v_mov_b32_e32 v8, s12
	v_lshlrev_b32_e32 v14, 3, v0
	s_mov_b64 s[2:3], 0
	s_xor_b64 s[6:7], vcc, -1
	s_xor_b64 s[10:11], s[0:1], -1
	v_mov_b32_e32 v19, 0
	v_mov_b32_e32 v18, 0
	;; [unrolled: 1-line block ×10, first 2 shown]
	s_branch .LBB1303_3
.LBB1303_2:                             ;   in Loop: Header=BB1303_3 Depth=1
	s_or_b64 exec, exec, s[0:1]
	s_waitcnt lgkmcnt(0)
	s_barrier
	ds_read2_b64 v[24:27], v14 offset1:16
	ds_read_b128 v[28:31], v15
	ds_read_b128 v[32:35], v15 offset:16
	s_add_u32 s2, s2, 8
	v_add_co_u32_e32 v2, vcc, 64, v2
	s_waitcnt lgkmcnt(1)
	v_mul_f32_e32 v36, v28, v25
	v_fmac_f32_e32 v36, v29, v24
	v_add_f32_e32 v44, v22, v36
	ds_read_b128 v[36:39], v15 offset:1024
	v_mul_f32_e32 v7, v29, v25
	v_fma_f32 v7, v28, v24, -v7
	v_add_f32_e32 v7, v20, v7
	v_mul_f32_e32 v20, v29, v27
	v_mul_f32_e32 v22, v28, v27
	v_fma_f32 v20, v28, v26, -v20
	v_fmac_f32_e32 v22, v29, v26
	v_add_f32_e32 v28, v21, v20
	v_add_f32_e32 v29, v23, v22
	ds_read_b128 v[20:23], v15 offset:1040
	s_waitcnt lgkmcnt(1)
	v_mul_f32_e32 v40, v37, v25
	v_fma_f32 v40, v36, v24, -v40
	v_add_f32_e32 v45, v16, v40
	ds_read2_b64 v[40:43], v14 offset0:32 offset1:48
	v_mul_f32_e32 v25, v36, v25
	v_mul_f32_e32 v16, v37, v27
	v_fmac_f32_e32 v25, v37, v24
	v_fma_f32 v16, v36, v26, -v16
	v_add_f32_e32 v46, v17, v25
	v_mul_f32_e32 v17, v36, v27
	v_add_f32_e32 v36, v18, v16
	s_waitcnt lgkmcnt(0)
	v_mul_f32_e32 v16, v31, v41
	v_fma_f32 v47, v30, v40, -v16
	v_mul_f32_e32 v16, v31, v43
	v_fma_f32 v49, v30, v42, -v16
	v_mul_f32_e32 v48, v30, v41
	v_mul_f32_e32 v30, v30, v43
	v_add_f32_e32 v7, v7, v47
	v_add_f32_e32 v47, v28, v49
	v_mul_f32_e32 v28, v39, v41
	v_fmac_f32_e32 v17, v37, v26
	v_fmac_f32_e32 v48, v31, v40
	;; [unrolled: 1-line block ×3, first 2 shown]
	v_fma_f32 v49, v38, v40, -v28
	v_mul_f32_e32 v41, v38, v41
	v_mul_f32_e32 v28, v39, v43
	v_add_f32_e32 v37, v19, v17
	ds_read_b128 v[16:19], v15 offset:32
	ds_read_b128 v[24:27], v15 offset:48
	v_add_f32_e32 v44, v44, v48
	v_add_f32_e32 v48, v29, v30
	v_fmac_f32_e32 v41, v39, v40
	v_fma_f32 v40, v38, v42, -v28
	ds_read2_b64 v[28:31], v14 offset0:64 offset1:80
	v_add_f32_e32 v40, v36, v40
	v_mul_f32_e32 v38, v38, v43
	v_fmac_f32_e32 v38, v39, v42
	v_add_f32_e32 v42, v37, v38
	s_waitcnt lgkmcnt(0)
	v_mul_f32_e32 v36, v33, v29
	v_fma_f32 v36, v32, v28, -v36
	v_add_f32_e32 v7, v7, v36
	v_mul_f32_e32 v36, v33, v31
	v_mul_f32_e32 v37, v32, v29
	v_fma_f32 v36, v32, v30, -v36
	v_mul_f32_e32 v32, v32, v31
	v_fmac_f32_e32 v37, v33, v28
	v_fmac_f32_e32 v32, v33, v30
	v_add_f32_e32 v33, v47, v36
	v_mul_f32_e32 v36, v21, v29
	v_add_f32_e32 v39, v45, v49
	v_fma_f32 v36, v20, v28, -v36
	v_mul_f32_e32 v29, v20, v29
	v_add_f32_e32 v41, v46, v41
	v_fmac_f32_e32 v29, v21, v28
	v_add_f32_e32 v28, v39, v36
	v_mul_f32_e32 v36, v21, v31
	v_add_f32_e32 v43, v44, v37
	v_add_f32_e32 v29, v41, v29
	v_fma_f32 v41, v20, v30, -v36
	ds_read2_b64 v[36:39], v14 offset0:96 offset1:112
	v_mul_f32_e32 v20, v20, v31
	v_fmac_f32_e32 v20, v21, v30
	v_add_f32_e32 v21, v40, v41
	v_add_f32_e32 v32, v48, v32
	s_waitcnt lgkmcnt(0)
	v_mul_f32_e32 v30, v35, v37
	v_fma_f32 v30, v34, v36, -v30
	v_mul_f32_e32 v31, v34, v37
	v_fmac_f32_e32 v31, v35, v36
	v_add_f32_e32 v7, v7, v30
	v_mul_f32_e32 v30, v35, v39
	v_add_f32_e32 v40, v43, v31
	v_fma_f32 v30, v34, v38, -v30
	v_mul_f32_e32 v31, v34, v39
	v_fmac_f32_e32 v31, v35, v38
	v_add_f32_e32 v33, v33, v30
	v_mul_f32_e32 v30, v23, v37
	v_add_f32_e32 v32, v32, v31
	;; [unrolled: 6-line block ×3, first 2 shown]
	v_fma_f32 v34, v22, v38, -v28
	ds_read2_b64 v[28:31], v14 offset0:128 offset1:144
	v_mul_f32_e32 v22, v22, v39
	v_add_f32_e32 v20, v42, v20
	v_fmac_f32_e32 v22, v23, v38
	v_add_f32_e32 v42, v20, v22
	s_waitcnt lgkmcnt(0)
	v_mul_f32_e32 v20, v17, v29
	v_add_f32_e32 v41, v21, v34
	v_fma_f32 v20, v16, v28, -v20
	v_mul_f32_e32 v21, v16, v29
	v_fmac_f32_e32 v21, v17, v28
	v_add_f32_e32 v7, v7, v20
	v_mul_f32_e32 v20, v17, v31
	v_add_f32_e32 v40, v40, v21
	v_fma_f32 v34, v16, v30, -v20
	ds_read_b128 v[20:23], v15 offset:1056
	v_mul_f32_e32 v16, v16, v31
	v_fmac_f32_e32 v16, v17, v30
	v_add_f32_e32 v17, v33, v34
	v_add_f32_e32 v16, v32, v16
	ds_read_b128 v[32:35], v15 offset:1072
	s_waitcnt lgkmcnt(1)
	v_mul_f32_e32 v38, v21, v29
	v_fma_f32 v38, v20, v28, -v38
	v_mul_f32_e32 v29, v20, v29
	v_fmac_f32_e32 v29, v21, v28
	v_add_f32_e32 v28, v36, v38
	v_mul_f32_e32 v36, v21, v31
	v_add_f32_e32 v29, v37, v29
	v_fma_f32 v43, v20, v30, -v36
	ds_read2_b64 v[36:39], v14 offset0:160 offset1:176
	v_mul_f32_e32 v20, v20, v31
	v_fmac_f32_e32 v20, v21, v30
	v_add_f32_e32 v20, v42, v20
	v_add_f32_e32 v21, v41, v43
	s_waitcnt lgkmcnt(0)
	v_mul_f32_e32 v30, v19, v37
	v_mul_f32_e32 v31, v18, v37
	v_fma_f32 v30, v18, v36, -v30
	v_fmac_f32_e32 v31, v19, v36
	v_add_f32_e32 v7, v7, v30
	v_add_f32_e32 v30, v40, v31
	v_mul_f32_e32 v31, v19, v39
	v_fma_f32 v31, v18, v38, -v31
	v_mul_f32_e32 v18, v18, v39
	v_fmac_f32_e32 v18, v19, v38
	v_add_f32_e32 v40, v16, v18
	v_mul_f32_e32 v16, v23, v37
	v_add_f32_e32 v31, v17, v31
	v_fma_f32 v16, v22, v36, -v16
	v_mul_f32_e32 v17, v22, v37
	v_fmac_f32_e32 v17, v23, v36
	v_add_f32_e32 v28, v28, v16
	v_mul_f32_e32 v16, v23, v39
	v_add_f32_e32 v29, v29, v17
	v_fma_f32 v36, v22, v38, -v16
	ds_read2_b64 v[16:19], v14 offset0:192 offset1:208
	v_mul_f32_e32 v22, v22, v39
	v_fmac_f32_e32 v22, v23, v38
	v_add_f32_e32 v20, v20, v22
	v_add_f32_e32 v21, v21, v36
	s_waitcnt lgkmcnt(0)
	v_mul_f32_e32 v22, v25, v17
	v_mul_f32_e32 v23, v24, v17
	v_fma_f32 v22, v24, v16, -v22
	v_fmac_f32_e32 v23, v25, v16
	v_add_f32_e32 v7, v7, v22
	v_add_f32_e32 v22, v30, v23
	v_mul_f32_e32 v23, v25, v19
	v_fma_f32 v23, v24, v18, -v23
	v_mul_f32_e32 v24, v24, v19
	v_fmac_f32_e32 v24, v25, v18
	v_mul_f32_e32 v25, v33, v17
	v_mul_f32_e32 v17, v32, v17
	v_fma_f32 v25, v32, v16, -v25
	v_fmac_f32_e32 v17, v33, v16
	v_add_f32_e32 v23, v31, v23
	v_add_f32_e32 v16, v28, v25
	;; [unrolled: 1-line block ×3, first 2 shown]
	ds_read2_b64 v[28:31], v14 offset0:224 offset1:240
	v_mul_f32_e32 v25, v33, v19
	v_mul_f32_e32 v19, v32, v19
	v_fmac_f32_e32 v19, v33, v18
	v_add_f32_e32 v19, v20, v19
	s_waitcnt lgkmcnt(0)
	v_mul_f32_e32 v20, v27, v29
	v_fma_f32 v25, v32, v18, -v25
	v_fma_f32 v20, v26, v28, -v20
	v_add_f32_e32 v18, v21, v25
	v_mul_f32_e32 v21, v26, v29
	v_add_f32_e32 v20, v7, v20
	v_mul_f32_e32 v7, v27, v31
	v_mul_f32_e32 v25, v26, v31
	v_add_f32_e32 v24, v40, v24
	v_fmac_f32_e32 v21, v27, v28
	v_fma_f32 v7, v26, v30, -v7
	v_fmac_f32_e32 v25, v27, v30
	v_add_f32_e32 v22, v22, v21
	v_add_f32_e32 v21, v23, v7
	;; [unrolled: 1-line block ×3, first 2 shown]
	v_mul_f32_e32 v7, v35, v29
	v_mul_f32_e32 v24, v34, v29
	v_fma_f32 v7, v34, v28, -v7
	v_fmac_f32_e32 v24, v35, v28
	s_addc_u32 s3, s3, 0
	v_addc_co_u32_e32 v3, vcc, 0, v3, vcc
	v_add_f32_e32 v16, v16, v7
	v_add_f32_e32 v17, v17, v24
	v_mul_f32_e32 v7, v35, v31
	v_mul_f32_e32 v24, v34, v31
	v_cmp_ge_i64_e32 vcc, s[2:3], v[8:9]
	v_fma_f32 v7, v34, v30, -v7
	v_fmac_f32_e32 v24, v35, v30
	v_add_co_u32_e64 v4, s[0:1], 64, v4
	v_add_f32_e32 v18, v18, v7
	v_add_f32_e32 v19, v19, v24
	v_addc_co_u32_e64 v5, s[0:1], 0, v5, s[0:1]
	s_barrier
	s_cbranch_vccnz .LBB1303_12
.LBB1303_3:                             ; =>This Inner Loop Header: Depth=1
	v_mov_b32_e32 v7, s3
	v_add_co_u32_e32 v24, vcc, s2, v10
	v_addc_co_u32_e32 v25, vcc, 0, v7, vcc
	v_cmp_le_i64_e32 vcc, s[12:13], v[24:25]
	s_or_b64 s[0:1], s[6:7], vcc
	s_and_saveexec_b64 s[16:17], s[0:1]
	s_xor_b64 s[0:1], exec, s[16:17]
; %bb.4:                                ;   in Loop: Header=BB1303_3 Depth=1
	v_mov_b32_e32 v7, v6
	ds_write_b64 v12, v[6:7]
; %bb.5:                                ;   in Loop: Header=BB1303_3 Depth=1
	s_andn2_saveexec_b64 s[0:1], s[0:1]
	s_cbranch_execz .LBB1303_7
; %bb.6:                                ;   in Loop: Header=BB1303_3 Depth=1
	global_load_dwordx2 v[24:25], v[2:3], off
	s_waitcnt vmcnt(0)
	ds_write_b64 v12, v[24:25]
.LBB1303_7:                             ;   in Loop: Header=BB1303_3 Depth=1
	s_or_b64 exec, exec, s[0:1]
	v_mov_b32_e32 v7, s3
	v_add_co_u32_e32 v24, vcc, s2, v11
	v_addc_co_u32_e32 v25, vcc, 0, v7, vcc
	v_cmp_le_i64_e32 vcc, s[12:13], v[24:25]
	s_or_b64 s[0:1], vcc, s[10:11]
	s_and_saveexec_b64 s[16:17], s[0:1]
	s_xor_b64 s[0:1], exec, s[16:17]
; %bb.8:                                ;   in Loop: Header=BB1303_3 Depth=1
	v_mov_b32_e32 v7, v6
	ds_write_b64 v13, v[6:7]
; %bb.9:                                ;   in Loop: Header=BB1303_3 Depth=1
	s_andn2_saveexec_b64 s[0:1], s[0:1]
	s_cbranch_execz .LBB1303_2
; %bb.10:                               ;   in Loop: Header=BB1303_3 Depth=1
	global_load_dwordx2 v[24:25], v[4:5], off
	s_waitcnt vmcnt(0)
	ds_write_b64 v13, v[24:25]
	s_branch .LBB1303_2
.LBB1303_11:
	v_mov_b32_e32 v20, 0
	v_mov_b32_e32 v22, 0
	;; [unrolled: 1-line block ×8, first 2 shown]
.LBB1303_12:
	s_load_dwordx8 s[16:23], s[4:5], 0x48
	v_add_u32_e32 v5, s29, v1
	v_ashrrev_i32_e32 v1, 31, v5
	v_add_u32_e32 v0, s28, v0
	v_cmp_gt_i32_e32 vcc, s9, v5
	s_waitcnt lgkmcnt(0)
	v_mul_lo_u32 v3, s20, v1
	v_mul_lo_u32 v4, s21, v5
	v_mad_u64_u32 v[1:2], s[2:3], s20, v5, 0
	s_mul_i32 s0, s23, s8
	s_mul_hi_u32 s1, s22, s8
	s_add_i32 s1, s1, s0
	s_mul_i32 s0, s22, s8
	s_lshl_b64 s[0:1], s[0:1], 3
	v_add3_u32 v2, v2, v3, v4
	s_add_u32 s4, s18, s0
	v_lshlrev_b64 v[1:2], 3, v[1:2]
	s_addc_u32 s5, s19, s1
	v_mov_b32_e32 v3, s5
	v_add_co_u32_e64 v4, s[0:1], s4, v1
	v_addc_co_u32_e64 v6, s[0:1], v3, v2, s[0:1]
	v_cmp_le_i32_e64 s[0:1], v0, v5
	s_and_b64 s[0:1], vcc, s[0:1]
	s_and_saveexec_b64 s[2:3], s[0:1]
	s_cbranch_execz .LBB1303_15
; %bb.13:
	v_ashrrev_i32_e32 v1, 31, v0
	v_lshlrev_b64 v[1:2], 3, v[0:1]
	v_mul_f32_e32 v3, s15, v22
	v_add_co_u32_e64 v1, s[0:1], v4, v1
	v_addc_co_u32_e64 v2, s[0:1], v6, v2, s[0:1]
	global_load_dwordx2 v[7:8], v[1:2], off
	v_mul_f32_e32 v9, s14, v22
	v_fma_f32 v3, v20, s14, -v3
	v_fmac_f32_e32 v9, s15, v20
	v_cmp_eq_u32_e64 s[0:1], v5, v0
	s_waitcnt vmcnt(0)
	v_mul_f32_e32 v10, s17, v8
	v_mul_f32_e32 v8, s16, v8
	v_fma_f32 v10, v7, s16, -v10
	v_fmac_f32_e32 v8, s17, v7
	v_add_f32_e32 v7, v3, v10
	v_add_f32_e32 v8, v9, v8
	global_store_dwordx2 v[1:2], v[7:8], off
	s_and_b64 exec, exec, s[0:1]
	s_cbranch_execz .LBB1303_15
; %bb.14:
	v_mov_b32_e32 v3, 0
	global_store_dword v[1:2], v3, off offset:4
.LBB1303_15:
	s_or_b64 exec, exec, s[2:3]
	v_add_u32_e32 v2, 16, v0
	v_cmp_le_i32_e64 s[0:1], v2, v5
	s_and_b64 s[2:3], vcc, s[0:1]
	s_and_saveexec_b64 s[0:1], s[2:3]
	s_cbranch_execz .LBB1303_18
; %bb.16:
	v_ashrrev_i32_e32 v3, 31, v2
	v_lshlrev_b64 v[7:8], 3, v[2:3]
	v_mul_f32_e32 v1, s15, v23
	v_add_co_u32_e32 v3, vcc, v4, v7
	v_addc_co_u32_e32 v4, vcc, v6, v8, vcc
	global_load_dwordx2 v[6:7], v[3:4], off
	v_mul_f32_e32 v8, s14, v23
	v_fma_f32 v1, v21, s14, -v1
	v_fmac_f32_e32 v8, s15, v21
	v_cmp_eq_u32_e32 vcc, v5, v2
	s_waitcnt vmcnt(0)
	v_mul_f32_e32 v9, s17, v7
	v_mul_f32_e32 v7, s16, v7
	v_fma_f32 v9, v6, s16, -v9
	v_fmac_f32_e32 v7, s17, v6
	v_add_f32_e32 v6, v1, v9
	v_add_f32_e32 v7, v8, v7
	global_store_dwordx2 v[3:4], v[6:7], off
	s_and_b64 exec, exec, vcc
	s_cbranch_execz .LBB1303_18
; %bb.17:
	v_mov_b32_e32 v1, 0
	global_store_dword v[3:4], v1, off offset:4
.LBB1303_18:
	s_or_b64 exec, exec, s[0:1]
	v_add_u32_e32 v8, 16, v5
	v_ashrrev_i32_e32 v1, 31, v8
	v_mul_lo_u32 v1, s20, v1
	v_mul_lo_u32 v6, s21, v8
	v_mad_u64_u32 v[3:4], s[0:1], s20, v8, 0
	v_cmp_gt_i32_e32 vcc, s9, v8
	v_add3_u32 v4, v4, v1, v6
	v_lshlrev_b64 v[3:4], 3, v[3:4]
	v_mov_b32_e32 v1, s5
	v_add_co_u32_e64 v6, s[0:1], s4, v3
	v_addc_co_u32_e64 v7, s[0:1], v1, v4, s[0:1]
	v_cmp_le_i32_e64 s[0:1], v0, v8
	s_and_b64 s[0:1], vcc, s[0:1]
	s_and_saveexec_b64 s[2:3], s[0:1]
	s_cbranch_execz .LBB1303_21
; %bb.19:
	v_ashrrev_i32_e32 v1, 31, v0
	v_lshlrev_b64 v[3:4], 3, v[0:1]
	v_mul_f32_e32 v1, s15, v17
	v_add_co_u32_e64 v3, s[0:1], v6, v3
	v_addc_co_u32_e64 v4, s[0:1], v7, v4, s[0:1]
	global_load_dwordx2 v[9:10], v[3:4], off
	v_mul_f32_e32 v11, s14, v17
	v_fma_f32 v1, v16, s14, -v1
	v_fmac_f32_e32 v11, s15, v16
	v_cmp_eq_u32_e64 s[0:1], v8, v0
	s_waitcnt vmcnt(0)
	v_mul_f32_e32 v12, s17, v10
	v_mul_f32_e32 v10, s16, v10
	v_fma_f32 v12, v9, s16, -v12
	v_fmac_f32_e32 v10, s17, v9
	v_add_f32_e32 v9, v1, v12
	v_add_f32_e32 v10, v11, v10
	global_store_dwordx2 v[3:4], v[9:10], off
	s_and_b64 exec, exec, s[0:1]
	s_cbranch_execz .LBB1303_21
; %bb.20:
	v_mov_b32_e32 v1, 0
	global_store_dword v[3:4], v1, off offset:4
.LBB1303_21:
	s_or_b64 exec, exec, s[2:3]
	v_cmp_le_i32_e64 s[0:1], v2, v8
	s_and_b64 s[0:1], vcc, s[0:1]
	s_and_saveexec_b64 s[2:3], s[0:1]
	s_cbranch_execz .LBB1303_24
; %bb.22:
	v_ashrrev_i32_e32 v3, 31, v2
	v_lshlrev_b64 v[1:2], 3, v[2:3]
	v_add_co_u32_e32 v1, vcc, v6, v1
	v_addc_co_u32_e32 v2, vcc, v7, v2, vcc
	global_load_dwordx2 v[3:4], v[1:2], off
	v_mul_f32_e32 v6, s15, v19
	v_mul_f32_e32 v7, s14, v19
	v_fma_f32 v6, v18, s14, -v6
	v_fmac_f32_e32 v7, s15, v18
	v_cmp_eq_u32_e32 vcc, v5, v0
	s_waitcnt vmcnt(0)
	v_mul_f32_e32 v8, s17, v4
	v_mul_f32_e32 v4, s16, v4
	v_fma_f32 v8, v3, s16, -v8
	v_fmac_f32_e32 v4, s17, v3
	v_add_f32_e32 v3, v6, v8
	v_add_f32_e32 v4, v7, v4
	global_store_dwordx2 v[1:2], v[3:4], off
	s_and_b64 exec, exec, vcc
	s_cbranch_execz .LBB1303_24
; %bb.23:
	v_mov_b32_e32 v0, 0
	global_store_dword v[1:2], v0, off offset:4
.LBB1303_24:
	s_endpgm
	.section	.rodata,"a",@progbits
	.p2align	6, 0x0
	.amdhsa_kernel _ZL34rocblas_syrkx_herkx_general_kernelIl19rocblas_complex_numIfELi16ELi32ELi8ELb0ELb1ELc84ELc85EKS1_S1_EviT_T0_PT8_S3_lS6_S3_lS4_PT9_S3_li
		.amdhsa_group_segment_fixed_size 4096
		.amdhsa_private_segment_fixed_size 0
		.amdhsa_kernarg_size 108
		.amdhsa_user_sgpr_count 6
		.amdhsa_user_sgpr_private_segment_buffer 1
		.amdhsa_user_sgpr_dispatch_ptr 0
		.amdhsa_user_sgpr_queue_ptr 0
		.amdhsa_user_sgpr_kernarg_segment_ptr 1
		.amdhsa_user_sgpr_dispatch_id 0
		.amdhsa_user_sgpr_flat_scratch_init 0
		.amdhsa_user_sgpr_private_segment_size 0
		.amdhsa_uses_dynamic_stack 0
		.amdhsa_system_sgpr_private_segment_wavefront_offset 0
		.amdhsa_system_sgpr_workgroup_id_x 1
		.amdhsa_system_sgpr_workgroup_id_y 1
		.amdhsa_system_sgpr_workgroup_id_z 1
		.amdhsa_system_sgpr_workgroup_info 0
		.amdhsa_system_vgpr_workitem_id 1
		.amdhsa_next_free_vgpr 50
		.amdhsa_next_free_sgpr 30
		.amdhsa_reserve_vcc 1
		.amdhsa_reserve_flat_scratch 0
		.amdhsa_float_round_mode_32 0
		.amdhsa_float_round_mode_16_64 0
		.amdhsa_float_denorm_mode_32 3
		.amdhsa_float_denorm_mode_16_64 3
		.amdhsa_dx10_clamp 1
		.amdhsa_ieee_mode 1
		.amdhsa_fp16_overflow 0
		.amdhsa_exception_fp_ieee_invalid_op 0
		.amdhsa_exception_fp_denorm_src 0
		.amdhsa_exception_fp_ieee_div_zero 0
		.amdhsa_exception_fp_ieee_overflow 0
		.amdhsa_exception_fp_ieee_underflow 0
		.amdhsa_exception_fp_ieee_inexact 0
		.amdhsa_exception_int_div_zero 0
	.end_amdhsa_kernel
	.section	.text._ZL34rocblas_syrkx_herkx_general_kernelIl19rocblas_complex_numIfELi16ELi32ELi8ELb0ELb1ELc84ELc85EKS1_S1_EviT_T0_PT8_S3_lS6_S3_lS4_PT9_S3_li,"axG",@progbits,_ZL34rocblas_syrkx_herkx_general_kernelIl19rocblas_complex_numIfELi16ELi32ELi8ELb0ELb1ELc84ELc85EKS1_S1_EviT_T0_PT8_S3_lS6_S3_lS4_PT9_S3_li,comdat
.Lfunc_end1303:
	.size	_ZL34rocblas_syrkx_herkx_general_kernelIl19rocblas_complex_numIfELi16ELi32ELi8ELb0ELb1ELc84ELc85EKS1_S1_EviT_T0_PT8_S3_lS6_S3_lS4_PT9_S3_li, .Lfunc_end1303-_ZL34rocblas_syrkx_herkx_general_kernelIl19rocblas_complex_numIfELi16ELi32ELi8ELb0ELb1ELc84ELc85EKS1_S1_EviT_T0_PT8_S3_lS6_S3_lS4_PT9_S3_li
                                        ; -- End function
	.set _ZL34rocblas_syrkx_herkx_general_kernelIl19rocblas_complex_numIfELi16ELi32ELi8ELb0ELb1ELc84ELc85EKS1_S1_EviT_T0_PT8_S3_lS6_S3_lS4_PT9_S3_li.num_vgpr, 50
	.set _ZL34rocblas_syrkx_herkx_general_kernelIl19rocblas_complex_numIfELi16ELi32ELi8ELb0ELb1ELc84ELc85EKS1_S1_EviT_T0_PT8_S3_lS6_S3_lS4_PT9_S3_li.num_agpr, 0
	.set _ZL34rocblas_syrkx_herkx_general_kernelIl19rocblas_complex_numIfELi16ELi32ELi8ELb0ELb1ELc84ELc85EKS1_S1_EviT_T0_PT8_S3_lS6_S3_lS4_PT9_S3_li.numbered_sgpr, 30
	.set _ZL34rocblas_syrkx_herkx_general_kernelIl19rocblas_complex_numIfELi16ELi32ELi8ELb0ELb1ELc84ELc85EKS1_S1_EviT_T0_PT8_S3_lS6_S3_lS4_PT9_S3_li.num_named_barrier, 0
	.set _ZL34rocblas_syrkx_herkx_general_kernelIl19rocblas_complex_numIfELi16ELi32ELi8ELb0ELb1ELc84ELc85EKS1_S1_EviT_T0_PT8_S3_lS6_S3_lS4_PT9_S3_li.private_seg_size, 0
	.set _ZL34rocblas_syrkx_herkx_general_kernelIl19rocblas_complex_numIfELi16ELi32ELi8ELb0ELb1ELc84ELc85EKS1_S1_EviT_T0_PT8_S3_lS6_S3_lS4_PT9_S3_li.uses_vcc, 1
	.set _ZL34rocblas_syrkx_herkx_general_kernelIl19rocblas_complex_numIfELi16ELi32ELi8ELb0ELb1ELc84ELc85EKS1_S1_EviT_T0_PT8_S3_lS6_S3_lS4_PT9_S3_li.uses_flat_scratch, 0
	.set _ZL34rocblas_syrkx_herkx_general_kernelIl19rocblas_complex_numIfELi16ELi32ELi8ELb0ELb1ELc84ELc85EKS1_S1_EviT_T0_PT8_S3_lS6_S3_lS4_PT9_S3_li.has_dyn_sized_stack, 0
	.set _ZL34rocblas_syrkx_herkx_general_kernelIl19rocblas_complex_numIfELi16ELi32ELi8ELb0ELb1ELc84ELc85EKS1_S1_EviT_T0_PT8_S3_lS6_S3_lS4_PT9_S3_li.has_recursion, 0
	.set _ZL34rocblas_syrkx_herkx_general_kernelIl19rocblas_complex_numIfELi16ELi32ELi8ELb0ELb1ELc84ELc85EKS1_S1_EviT_T0_PT8_S3_lS6_S3_lS4_PT9_S3_li.has_indirect_call, 0
	.section	.AMDGPU.csdata,"",@progbits
; Kernel info:
; codeLenInByte = 2504
; TotalNumSgprs: 34
; NumVgprs: 50
; ScratchSize: 0
; MemoryBound: 1
; FloatMode: 240
; IeeeMode: 1
; LDSByteSize: 4096 bytes/workgroup (compile time only)
; SGPRBlocks: 4
; VGPRBlocks: 12
; NumSGPRsForWavesPerEU: 34
; NumVGPRsForWavesPerEU: 50
; Occupancy: 4
; WaveLimiterHint : 0
; COMPUTE_PGM_RSRC2:SCRATCH_EN: 0
; COMPUTE_PGM_RSRC2:USER_SGPR: 6
; COMPUTE_PGM_RSRC2:TRAP_HANDLER: 0
; COMPUTE_PGM_RSRC2:TGID_X_EN: 1
; COMPUTE_PGM_RSRC2:TGID_Y_EN: 1
; COMPUTE_PGM_RSRC2:TGID_Z_EN: 1
; COMPUTE_PGM_RSRC2:TIDIG_COMP_CNT: 1
	.section	.text._ZL34rocblas_syrkx_herkx_general_kernelIl19rocblas_complex_numIfELi16ELi32ELi8ELb0ELb1ELc67ELc85EKS1_S1_EviT_T0_PT8_S3_lS6_S3_lS4_PT9_S3_li,"axG",@progbits,_ZL34rocblas_syrkx_herkx_general_kernelIl19rocblas_complex_numIfELi16ELi32ELi8ELb0ELb1ELc67ELc85EKS1_S1_EviT_T0_PT8_S3_lS6_S3_lS4_PT9_S3_li,comdat
	.globl	_ZL34rocblas_syrkx_herkx_general_kernelIl19rocblas_complex_numIfELi16ELi32ELi8ELb0ELb1ELc67ELc85EKS1_S1_EviT_T0_PT8_S3_lS6_S3_lS4_PT9_S3_li ; -- Begin function _ZL34rocblas_syrkx_herkx_general_kernelIl19rocblas_complex_numIfELi16ELi32ELi8ELb0ELb1ELc67ELc85EKS1_S1_EviT_T0_PT8_S3_lS6_S3_lS4_PT9_S3_li
	.p2align	8
	.type	_ZL34rocblas_syrkx_herkx_general_kernelIl19rocblas_complex_numIfELi16ELi32ELi8ELb0ELb1ELc67ELc85EKS1_S1_EviT_T0_PT8_S3_lS6_S3_lS4_PT9_S3_li,@function
_ZL34rocblas_syrkx_herkx_general_kernelIl19rocblas_complex_numIfELi16ELi32ELi8ELb0ELb1ELc67ELc85EKS1_S1_EviT_T0_PT8_S3_lS6_S3_lS4_PT9_S3_li: ; @_ZL34rocblas_syrkx_herkx_general_kernelIl19rocblas_complex_numIfELi16ELi32ELi8ELb0ELb1ELc67ELc85EKS1_S1_EviT_T0_PT8_S3_lS6_S3_lS4_PT9_S3_li
; %bb.0:
	s_load_dwordx16 s[12:27], s[4:5], 0x8
	s_load_dword s9, s[4:5], 0x0
	s_lshl_b32 s28, s6, 5
	s_lshl_b32 s29, s7, 5
	s_waitcnt lgkmcnt(0)
	v_cmp_lt_i64_e64 s[0:1], s[12:13], 1
	s_and_b64 vcc, exec, s[0:1]
	s_cbranch_vccnz .LBB1304_11
; %bb.1:
	v_lshl_add_u32 v2, v1, 4, v0
	v_and_b32_e32 v5, 31, v2
	v_or_b32_e32 v6, s28, v5
	v_and_b32_e32 v11, 7, v0
	v_lshrrev_b32_e32 v3, 3, v2
	v_lshrrev_b32_e32 v10, 5, v2
	v_cmp_gt_i32_e32 vcc, s9, v6
	v_lshlrev_b32_e32 v2, 3, v5
	v_lshlrev_b32_e32 v6, 3, v11
	v_lshl_or_b32 v12, v10, 8, v2
	v_lshl_or_b32 v2, v3, 6, v6
	v_add_u32_e32 v13, 0x800, v2
	v_add_u32_e32 v2, s28, v5
	v_add_u32_e32 v4, s29, v3
	v_ashrrev_i32_e32 v3, 31, v2
	v_mul_lo_u32 v5, s18, v3
	v_mul_lo_u32 v8, s19, v2
	v_mad_u64_u32 v[2:3], s[2:3], s18, v2, 0
	s_mul_i32 s2, s21, s8
	s_mul_hi_u32 s3, s20, s8
	v_add3_u32 v3, v3, v5, v8
	v_lshlrev_b64 v[2:3], 3, v[2:3]
	s_add_i32 s3, s3, s2
	s_mul_i32 s2, s20, s8
	s_lshl_b64 s[2:3], s[2:3], 3
	v_mov_b32_e32 v5, s3
	v_add_co_u32_e64 v2, s[2:3], s2, v2
	v_addc_co_u32_e64 v3, s[2:3], v3, v5, s[2:3]
	v_lshlrev_b32_e32 v5, 3, v10
	v_add_co_u32_e64 v2, s[2:3], v2, v5
	v_addc_co_u32_e64 v3, s[2:3], 0, v3, s[2:3]
	v_ashrrev_i32_e32 v7, 31, v4
	v_mov_b32_e32 v5, s17
	v_add_co_u32_e64 v2, s[2:3], s16, v2
	v_cmp_gt_i32_e64 s[0:1], s9, v4
	v_addc_co_u32_e64 v3, s[2:3], v5, v3, s[2:3]
	v_mul_lo_u32 v7, s24, v7
	v_mul_lo_u32 v8, s25, v4
	v_mad_u64_u32 v[4:5], s[2:3], s24, v4, 0
	v_add_co_u32_e64 v2, s[2:3], 4, v2
	v_addc_co_u32_e64 v3, s[2:3], 0, v3, s[2:3]
	v_add3_u32 v5, v5, v7, v8
	s_mul_i32 s2, s27, s8
	s_mul_hi_u32 s3, s26, s8
	v_lshlrev_b64 v[4:5], 3, v[4:5]
	s_add_i32 s3, s3, s2
	s_mul_i32 s2, s26, s8
	s_lshl_b64 s[2:3], s[2:3], 3
	v_mov_b32_e32 v7, s3
	v_add_co_u32_e64 v4, s[2:3], s2, v4
	v_addc_co_u32_e64 v5, s[2:3], v5, v7, s[2:3]
	v_add_co_u32_e64 v4, s[2:3], v4, v6
	v_addc_co_u32_e64 v5, s[2:3], 0, v5, s[2:3]
	v_mov_b32_e32 v9, 0x800
	v_mov_b32_e32 v6, s23
	v_add_co_u32_e64 v4, s[2:3], s22, v4
	v_lshl_add_u32 v15, v1, 6, v9
	v_addc_co_u32_e64 v5, s[2:3], v6, v5, s[2:3]
	v_mov_b32_e32 v8, s12
	v_lshlrev_b32_e32 v14, 3, v0
	s_mov_b64 s[2:3], 0
	s_xor_b64 s[6:7], vcc, -1
	s_xor_b64 s[10:11], s[0:1], -1
	v_mov_b32_e32 v19, 0
	v_mov_b32_e32 v18, 0
	;; [unrolled: 1-line block ×10, first 2 shown]
	s_branch .LBB1304_3
.LBB1304_2:                             ;   in Loop: Header=BB1304_3 Depth=1
	s_or_b64 exec, exec, s[0:1]
	s_waitcnt lgkmcnt(0)
	s_barrier
	ds_read2_b64 v[24:27], v14 offset1:16
	ds_read_b128 v[28:31], v15
	ds_read_b128 v[32:35], v15 offset:16
	s_add_u32 s2, s2, 8
	v_add_co_u32_e32 v2, vcc, 64, v2
	s_waitcnt lgkmcnt(1)
	v_mul_f32_e32 v36, v28, v25
	v_fmac_f32_e32 v36, v29, v24
	v_add_f32_e32 v44, v22, v36
	ds_read_b128 v[36:39], v15 offset:1024
	v_mul_f32_e32 v7, v29, v25
	v_fma_f32 v7, v28, v24, -v7
	v_add_f32_e32 v7, v20, v7
	v_mul_f32_e32 v20, v29, v27
	v_mul_f32_e32 v22, v28, v27
	v_fma_f32 v20, v28, v26, -v20
	v_fmac_f32_e32 v22, v29, v26
	v_add_f32_e32 v28, v21, v20
	v_add_f32_e32 v29, v23, v22
	ds_read_b128 v[20:23], v15 offset:1040
	s_waitcnt lgkmcnt(1)
	v_mul_f32_e32 v40, v37, v25
	v_fma_f32 v40, v36, v24, -v40
	v_add_f32_e32 v45, v16, v40
	ds_read2_b64 v[40:43], v14 offset0:32 offset1:48
	v_mul_f32_e32 v25, v36, v25
	v_mul_f32_e32 v16, v37, v27
	v_fmac_f32_e32 v25, v37, v24
	v_fma_f32 v16, v36, v26, -v16
	v_add_f32_e32 v46, v17, v25
	v_mul_f32_e32 v17, v36, v27
	v_add_f32_e32 v36, v18, v16
	s_waitcnt lgkmcnt(0)
	v_mul_f32_e32 v16, v31, v41
	v_fma_f32 v47, v30, v40, -v16
	v_mul_f32_e32 v16, v31, v43
	v_fma_f32 v49, v30, v42, -v16
	v_mul_f32_e32 v48, v30, v41
	v_mul_f32_e32 v30, v30, v43
	v_add_f32_e32 v7, v7, v47
	v_add_f32_e32 v47, v28, v49
	v_mul_f32_e32 v28, v39, v41
	v_fmac_f32_e32 v17, v37, v26
	v_fmac_f32_e32 v48, v31, v40
	;; [unrolled: 1-line block ×3, first 2 shown]
	v_fma_f32 v49, v38, v40, -v28
	v_mul_f32_e32 v41, v38, v41
	v_mul_f32_e32 v28, v39, v43
	v_add_f32_e32 v37, v19, v17
	ds_read_b128 v[16:19], v15 offset:32
	ds_read_b128 v[24:27], v15 offset:48
	v_add_f32_e32 v44, v44, v48
	v_add_f32_e32 v48, v29, v30
	v_fmac_f32_e32 v41, v39, v40
	v_fma_f32 v40, v38, v42, -v28
	ds_read2_b64 v[28:31], v14 offset0:64 offset1:80
	v_add_f32_e32 v40, v36, v40
	v_mul_f32_e32 v38, v38, v43
	v_fmac_f32_e32 v38, v39, v42
	v_add_f32_e32 v42, v37, v38
	s_waitcnt lgkmcnt(0)
	v_mul_f32_e32 v36, v33, v29
	v_fma_f32 v36, v32, v28, -v36
	v_add_f32_e32 v7, v7, v36
	v_mul_f32_e32 v36, v33, v31
	v_mul_f32_e32 v37, v32, v29
	v_fma_f32 v36, v32, v30, -v36
	v_mul_f32_e32 v32, v32, v31
	v_fmac_f32_e32 v37, v33, v28
	v_fmac_f32_e32 v32, v33, v30
	v_add_f32_e32 v33, v47, v36
	v_mul_f32_e32 v36, v21, v29
	v_add_f32_e32 v39, v45, v49
	v_fma_f32 v36, v20, v28, -v36
	v_mul_f32_e32 v29, v20, v29
	v_add_f32_e32 v41, v46, v41
	v_fmac_f32_e32 v29, v21, v28
	v_add_f32_e32 v28, v39, v36
	v_mul_f32_e32 v36, v21, v31
	v_add_f32_e32 v43, v44, v37
	v_add_f32_e32 v29, v41, v29
	v_fma_f32 v41, v20, v30, -v36
	ds_read2_b64 v[36:39], v14 offset0:96 offset1:112
	v_mul_f32_e32 v20, v20, v31
	v_fmac_f32_e32 v20, v21, v30
	v_add_f32_e32 v21, v40, v41
	v_add_f32_e32 v32, v48, v32
	s_waitcnt lgkmcnt(0)
	v_mul_f32_e32 v30, v35, v37
	v_fma_f32 v30, v34, v36, -v30
	v_mul_f32_e32 v31, v34, v37
	v_fmac_f32_e32 v31, v35, v36
	v_add_f32_e32 v7, v7, v30
	v_mul_f32_e32 v30, v35, v39
	v_add_f32_e32 v40, v43, v31
	v_fma_f32 v30, v34, v38, -v30
	v_mul_f32_e32 v31, v34, v39
	v_fmac_f32_e32 v31, v35, v38
	v_add_f32_e32 v33, v33, v30
	v_mul_f32_e32 v30, v23, v37
	v_add_f32_e32 v32, v32, v31
	;; [unrolled: 6-line block ×3, first 2 shown]
	v_fma_f32 v34, v22, v38, -v28
	ds_read2_b64 v[28:31], v14 offset0:128 offset1:144
	v_mul_f32_e32 v22, v22, v39
	v_add_f32_e32 v20, v42, v20
	v_fmac_f32_e32 v22, v23, v38
	v_add_f32_e32 v42, v20, v22
	s_waitcnt lgkmcnt(0)
	v_mul_f32_e32 v20, v17, v29
	v_add_f32_e32 v41, v21, v34
	v_fma_f32 v20, v16, v28, -v20
	v_mul_f32_e32 v21, v16, v29
	v_fmac_f32_e32 v21, v17, v28
	v_add_f32_e32 v7, v7, v20
	v_mul_f32_e32 v20, v17, v31
	v_add_f32_e32 v40, v40, v21
	v_fma_f32 v34, v16, v30, -v20
	ds_read_b128 v[20:23], v15 offset:1056
	v_mul_f32_e32 v16, v16, v31
	v_fmac_f32_e32 v16, v17, v30
	v_add_f32_e32 v17, v33, v34
	v_add_f32_e32 v16, v32, v16
	ds_read_b128 v[32:35], v15 offset:1072
	s_waitcnt lgkmcnt(1)
	v_mul_f32_e32 v38, v21, v29
	v_fma_f32 v38, v20, v28, -v38
	v_mul_f32_e32 v29, v20, v29
	v_fmac_f32_e32 v29, v21, v28
	v_add_f32_e32 v28, v36, v38
	v_mul_f32_e32 v36, v21, v31
	v_add_f32_e32 v29, v37, v29
	v_fma_f32 v43, v20, v30, -v36
	ds_read2_b64 v[36:39], v14 offset0:160 offset1:176
	v_mul_f32_e32 v20, v20, v31
	v_fmac_f32_e32 v20, v21, v30
	v_add_f32_e32 v20, v42, v20
	v_add_f32_e32 v21, v41, v43
	s_waitcnt lgkmcnt(0)
	v_mul_f32_e32 v30, v19, v37
	v_mul_f32_e32 v31, v18, v37
	v_fma_f32 v30, v18, v36, -v30
	v_fmac_f32_e32 v31, v19, v36
	v_add_f32_e32 v7, v7, v30
	v_add_f32_e32 v30, v40, v31
	v_mul_f32_e32 v31, v19, v39
	v_fma_f32 v31, v18, v38, -v31
	v_mul_f32_e32 v18, v18, v39
	v_fmac_f32_e32 v18, v19, v38
	v_add_f32_e32 v40, v16, v18
	v_mul_f32_e32 v16, v23, v37
	v_add_f32_e32 v31, v17, v31
	v_fma_f32 v16, v22, v36, -v16
	v_mul_f32_e32 v17, v22, v37
	v_fmac_f32_e32 v17, v23, v36
	v_add_f32_e32 v28, v28, v16
	v_mul_f32_e32 v16, v23, v39
	v_add_f32_e32 v29, v29, v17
	v_fma_f32 v36, v22, v38, -v16
	ds_read2_b64 v[16:19], v14 offset0:192 offset1:208
	v_mul_f32_e32 v22, v22, v39
	v_fmac_f32_e32 v22, v23, v38
	v_add_f32_e32 v20, v20, v22
	v_add_f32_e32 v21, v21, v36
	s_waitcnt lgkmcnt(0)
	v_mul_f32_e32 v22, v25, v17
	v_mul_f32_e32 v23, v24, v17
	v_fma_f32 v22, v24, v16, -v22
	v_fmac_f32_e32 v23, v25, v16
	v_add_f32_e32 v7, v7, v22
	v_add_f32_e32 v22, v30, v23
	v_mul_f32_e32 v23, v25, v19
	v_fma_f32 v23, v24, v18, -v23
	v_mul_f32_e32 v24, v24, v19
	v_fmac_f32_e32 v24, v25, v18
	v_mul_f32_e32 v25, v33, v17
	v_mul_f32_e32 v17, v32, v17
	v_fma_f32 v25, v32, v16, -v25
	v_fmac_f32_e32 v17, v33, v16
	v_add_f32_e32 v23, v31, v23
	v_add_f32_e32 v16, v28, v25
	;; [unrolled: 1-line block ×3, first 2 shown]
	ds_read2_b64 v[28:31], v14 offset0:224 offset1:240
	v_mul_f32_e32 v25, v33, v19
	v_mul_f32_e32 v19, v32, v19
	v_fmac_f32_e32 v19, v33, v18
	v_add_f32_e32 v19, v20, v19
	s_waitcnt lgkmcnt(0)
	v_mul_f32_e32 v20, v27, v29
	v_fma_f32 v25, v32, v18, -v25
	v_fma_f32 v20, v26, v28, -v20
	v_add_f32_e32 v18, v21, v25
	v_mul_f32_e32 v21, v26, v29
	v_add_f32_e32 v20, v7, v20
	v_mul_f32_e32 v7, v27, v31
	v_mul_f32_e32 v25, v26, v31
	v_add_f32_e32 v24, v40, v24
	v_fmac_f32_e32 v21, v27, v28
	v_fma_f32 v7, v26, v30, -v7
	v_fmac_f32_e32 v25, v27, v30
	v_add_f32_e32 v22, v22, v21
	v_add_f32_e32 v21, v23, v7
	;; [unrolled: 1-line block ×3, first 2 shown]
	v_mul_f32_e32 v7, v35, v29
	v_mul_f32_e32 v24, v34, v29
	v_fma_f32 v7, v34, v28, -v7
	v_fmac_f32_e32 v24, v35, v28
	s_addc_u32 s3, s3, 0
	v_addc_co_u32_e32 v3, vcc, 0, v3, vcc
	v_add_f32_e32 v16, v16, v7
	v_add_f32_e32 v17, v17, v24
	v_mul_f32_e32 v7, v35, v31
	v_mul_f32_e32 v24, v34, v31
	v_cmp_ge_i64_e32 vcc, s[2:3], v[8:9]
	v_fma_f32 v7, v34, v30, -v7
	v_fmac_f32_e32 v24, v35, v30
	v_add_co_u32_e64 v4, s[0:1], 64, v4
	v_add_f32_e32 v18, v18, v7
	v_add_f32_e32 v19, v19, v24
	v_addc_co_u32_e64 v5, s[0:1], 0, v5, s[0:1]
	s_barrier
	s_cbranch_vccnz .LBB1304_12
.LBB1304_3:                             ; =>This Inner Loop Header: Depth=1
	v_mov_b32_e32 v7, s3
	v_add_co_u32_e32 v24, vcc, s2, v10
	v_addc_co_u32_e32 v25, vcc, 0, v7, vcc
	v_cmp_le_i64_e32 vcc, s[12:13], v[24:25]
	s_or_b64 s[0:1], s[6:7], vcc
	s_and_saveexec_b64 s[16:17], s[0:1]
	s_xor_b64 s[0:1], exec, s[16:17]
; %bb.4:                                ;   in Loop: Header=BB1304_3 Depth=1
	ds_write_b32 v12, v6
; %bb.5:                                ;   in Loop: Header=BB1304_3 Depth=1
	s_or_saveexec_b64 s[0:1], s[0:1]
	v_mov_b32_e32 v7, 0
	s_xor_b64 exec, exec, s[0:1]
	s_cbranch_execz .LBB1304_7
; %bb.6:                                ;   in Loop: Header=BB1304_3 Depth=1
	global_load_dwordx2 v[24:25], v[2:3], off offset:-4
	s_waitcnt vmcnt(0)
	v_xor_b32_e32 v7, 0x80000000, v25
	ds_write_b32 v12, v24
.LBB1304_7:                             ;   in Loop: Header=BB1304_3 Depth=1
	s_or_b64 exec, exec, s[0:1]
	v_mov_b32_e32 v25, s3
	v_add_co_u32_e32 v24, vcc, s2, v11
	v_addc_co_u32_e32 v25, vcc, 0, v25, vcc
	v_cmp_le_i64_e32 vcc, s[12:13], v[24:25]
	ds_write_b32 v12, v7 offset:4
	s_or_b64 s[0:1], vcc, s[10:11]
	s_and_saveexec_b64 s[16:17], s[0:1]
	s_xor_b64 s[0:1], exec, s[16:17]
; %bb.8:                                ;   in Loop: Header=BB1304_3 Depth=1
	v_mov_b32_e32 v7, v6
	ds_write_b64 v13, v[6:7]
; %bb.9:                                ;   in Loop: Header=BB1304_3 Depth=1
	s_andn2_saveexec_b64 s[0:1], s[0:1]
	s_cbranch_execz .LBB1304_2
; %bb.10:                               ;   in Loop: Header=BB1304_3 Depth=1
	global_load_dwordx2 v[24:25], v[4:5], off
	s_waitcnt vmcnt(0)
	ds_write_b64 v13, v[24:25]
	s_branch .LBB1304_2
.LBB1304_11:
	v_mov_b32_e32 v20, 0
	v_mov_b32_e32 v22, 0
	;; [unrolled: 1-line block ×8, first 2 shown]
.LBB1304_12:
	s_load_dwordx8 s[16:23], s[4:5], 0x48
	v_add_u32_e32 v5, s29, v1
	v_ashrrev_i32_e32 v1, 31, v5
	v_add_u32_e32 v0, s28, v0
	v_cmp_gt_i32_e32 vcc, s9, v5
	s_waitcnt lgkmcnt(0)
	v_mul_lo_u32 v3, s20, v1
	v_mul_lo_u32 v4, s21, v5
	v_mad_u64_u32 v[1:2], s[2:3], s20, v5, 0
	s_mul_i32 s0, s23, s8
	s_mul_hi_u32 s1, s22, s8
	s_add_i32 s1, s1, s0
	s_mul_i32 s0, s22, s8
	s_lshl_b64 s[0:1], s[0:1], 3
	v_add3_u32 v2, v2, v3, v4
	s_add_u32 s4, s18, s0
	v_lshlrev_b64 v[1:2], 3, v[1:2]
	s_addc_u32 s5, s19, s1
	v_mov_b32_e32 v3, s5
	v_add_co_u32_e64 v4, s[0:1], s4, v1
	v_addc_co_u32_e64 v6, s[0:1], v3, v2, s[0:1]
	v_cmp_le_i32_e64 s[0:1], v0, v5
	s_and_b64 s[0:1], vcc, s[0:1]
	s_and_saveexec_b64 s[2:3], s[0:1]
	s_cbranch_execz .LBB1304_15
; %bb.13:
	v_ashrrev_i32_e32 v1, 31, v0
	v_lshlrev_b64 v[1:2], 3, v[0:1]
	v_mul_f32_e32 v3, s15, v22
	v_add_co_u32_e64 v1, s[0:1], v4, v1
	v_addc_co_u32_e64 v2, s[0:1], v6, v2, s[0:1]
	global_load_dwordx2 v[7:8], v[1:2], off
	v_mul_f32_e32 v9, s14, v22
	v_fma_f32 v3, v20, s14, -v3
	v_fmac_f32_e32 v9, s15, v20
	v_cmp_eq_u32_e64 s[0:1], v5, v0
	s_waitcnt vmcnt(0)
	v_mul_f32_e32 v10, s17, v8
	v_mul_f32_e32 v8, s16, v8
	v_fma_f32 v10, v7, s16, -v10
	v_fmac_f32_e32 v8, s17, v7
	v_add_f32_e32 v7, v3, v10
	v_add_f32_e32 v8, v9, v8
	global_store_dwordx2 v[1:2], v[7:8], off
	s_and_b64 exec, exec, s[0:1]
	s_cbranch_execz .LBB1304_15
; %bb.14:
	v_mov_b32_e32 v3, 0
	global_store_dword v[1:2], v3, off offset:4
.LBB1304_15:
	s_or_b64 exec, exec, s[2:3]
	v_add_u32_e32 v2, 16, v0
	v_cmp_le_i32_e64 s[0:1], v2, v5
	s_and_b64 s[2:3], vcc, s[0:1]
	s_and_saveexec_b64 s[0:1], s[2:3]
	s_cbranch_execz .LBB1304_18
; %bb.16:
	v_ashrrev_i32_e32 v3, 31, v2
	v_lshlrev_b64 v[7:8], 3, v[2:3]
	v_mul_f32_e32 v1, s15, v23
	v_add_co_u32_e32 v3, vcc, v4, v7
	v_addc_co_u32_e32 v4, vcc, v6, v8, vcc
	global_load_dwordx2 v[6:7], v[3:4], off
	v_mul_f32_e32 v8, s14, v23
	v_fma_f32 v1, v21, s14, -v1
	v_fmac_f32_e32 v8, s15, v21
	v_cmp_eq_u32_e32 vcc, v5, v2
	s_waitcnt vmcnt(0)
	v_mul_f32_e32 v9, s17, v7
	v_mul_f32_e32 v7, s16, v7
	v_fma_f32 v9, v6, s16, -v9
	v_fmac_f32_e32 v7, s17, v6
	v_add_f32_e32 v6, v1, v9
	v_add_f32_e32 v7, v8, v7
	global_store_dwordx2 v[3:4], v[6:7], off
	s_and_b64 exec, exec, vcc
	s_cbranch_execz .LBB1304_18
; %bb.17:
	v_mov_b32_e32 v1, 0
	global_store_dword v[3:4], v1, off offset:4
.LBB1304_18:
	s_or_b64 exec, exec, s[0:1]
	v_add_u32_e32 v8, 16, v5
	v_ashrrev_i32_e32 v1, 31, v8
	v_mul_lo_u32 v1, s20, v1
	v_mul_lo_u32 v6, s21, v8
	v_mad_u64_u32 v[3:4], s[0:1], s20, v8, 0
	v_cmp_gt_i32_e32 vcc, s9, v8
	v_add3_u32 v4, v4, v1, v6
	v_lshlrev_b64 v[3:4], 3, v[3:4]
	v_mov_b32_e32 v1, s5
	v_add_co_u32_e64 v6, s[0:1], s4, v3
	v_addc_co_u32_e64 v7, s[0:1], v1, v4, s[0:1]
	v_cmp_le_i32_e64 s[0:1], v0, v8
	s_and_b64 s[0:1], vcc, s[0:1]
	s_and_saveexec_b64 s[2:3], s[0:1]
	s_cbranch_execz .LBB1304_21
; %bb.19:
	v_ashrrev_i32_e32 v1, 31, v0
	v_lshlrev_b64 v[3:4], 3, v[0:1]
	v_mul_f32_e32 v1, s15, v17
	v_add_co_u32_e64 v3, s[0:1], v6, v3
	v_addc_co_u32_e64 v4, s[0:1], v7, v4, s[0:1]
	global_load_dwordx2 v[9:10], v[3:4], off
	v_mul_f32_e32 v11, s14, v17
	v_fma_f32 v1, v16, s14, -v1
	v_fmac_f32_e32 v11, s15, v16
	v_cmp_eq_u32_e64 s[0:1], v8, v0
	s_waitcnt vmcnt(0)
	v_mul_f32_e32 v12, s17, v10
	v_mul_f32_e32 v10, s16, v10
	v_fma_f32 v12, v9, s16, -v12
	v_fmac_f32_e32 v10, s17, v9
	v_add_f32_e32 v9, v1, v12
	v_add_f32_e32 v10, v11, v10
	global_store_dwordx2 v[3:4], v[9:10], off
	s_and_b64 exec, exec, s[0:1]
	s_cbranch_execz .LBB1304_21
; %bb.20:
	v_mov_b32_e32 v1, 0
	global_store_dword v[3:4], v1, off offset:4
.LBB1304_21:
	s_or_b64 exec, exec, s[2:3]
	v_cmp_le_i32_e64 s[0:1], v2, v8
	s_and_b64 s[0:1], vcc, s[0:1]
	s_and_saveexec_b64 s[2:3], s[0:1]
	s_cbranch_execz .LBB1304_24
; %bb.22:
	v_ashrrev_i32_e32 v3, 31, v2
	v_lshlrev_b64 v[1:2], 3, v[2:3]
	v_add_co_u32_e32 v1, vcc, v6, v1
	v_addc_co_u32_e32 v2, vcc, v7, v2, vcc
	global_load_dwordx2 v[3:4], v[1:2], off
	v_mul_f32_e32 v6, s15, v19
	v_mul_f32_e32 v7, s14, v19
	v_fma_f32 v6, v18, s14, -v6
	v_fmac_f32_e32 v7, s15, v18
	v_cmp_eq_u32_e32 vcc, v5, v0
	s_waitcnt vmcnt(0)
	v_mul_f32_e32 v8, s17, v4
	v_mul_f32_e32 v4, s16, v4
	v_fma_f32 v8, v3, s16, -v8
	v_fmac_f32_e32 v4, s17, v3
	v_add_f32_e32 v3, v6, v8
	v_add_f32_e32 v4, v7, v4
	global_store_dwordx2 v[1:2], v[3:4], off
	s_and_b64 exec, exec, vcc
	s_cbranch_execz .LBB1304_24
; %bb.23:
	v_mov_b32_e32 v0, 0
	global_store_dword v[1:2], v0, off offset:4
.LBB1304_24:
	s_endpgm
	.section	.rodata,"a",@progbits
	.p2align	6, 0x0
	.amdhsa_kernel _ZL34rocblas_syrkx_herkx_general_kernelIl19rocblas_complex_numIfELi16ELi32ELi8ELb0ELb1ELc67ELc85EKS1_S1_EviT_T0_PT8_S3_lS6_S3_lS4_PT9_S3_li
		.amdhsa_group_segment_fixed_size 4096
		.amdhsa_private_segment_fixed_size 0
		.amdhsa_kernarg_size 108
		.amdhsa_user_sgpr_count 6
		.amdhsa_user_sgpr_private_segment_buffer 1
		.amdhsa_user_sgpr_dispatch_ptr 0
		.amdhsa_user_sgpr_queue_ptr 0
		.amdhsa_user_sgpr_kernarg_segment_ptr 1
		.amdhsa_user_sgpr_dispatch_id 0
		.amdhsa_user_sgpr_flat_scratch_init 0
		.amdhsa_user_sgpr_private_segment_size 0
		.amdhsa_uses_dynamic_stack 0
		.amdhsa_system_sgpr_private_segment_wavefront_offset 0
		.amdhsa_system_sgpr_workgroup_id_x 1
		.amdhsa_system_sgpr_workgroup_id_y 1
		.amdhsa_system_sgpr_workgroup_id_z 1
		.amdhsa_system_sgpr_workgroup_info 0
		.amdhsa_system_vgpr_workitem_id 1
		.amdhsa_next_free_vgpr 50
		.amdhsa_next_free_sgpr 30
		.amdhsa_reserve_vcc 1
		.amdhsa_reserve_flat_scratch 0
		.amdhsa_float_round_mode_32 0
		.amdhsa_float_round_mode_16_64 0
		.amdhsa_float_denorm_mode_32 3
		.amdhsa_float_denorm_mode_16_64 3
		.amdhsa_dx10_clamp 1
		.amdhsa_ieee_mode 1
		.amdhsa_fp16_overflow 0
		.amdhsa_exception_fp_ieee_invalid_op 0
		.amdhsa_exception_fp_denorm_src 0
		.amdhsa_exception_fp_ieee_div_zero 0
		.amdhsa_exception_fp_ieee_overflow 0
		.amdhsa_exception_fp_ieee_underflow 0
		.amdhsa_exception_fp_ieee_inexact 0
		.amdhsa_exception_int_div_zero 0
	.end_amdhsa_kernel
	.section	.text._ZL34rocblas_syrkx_herkx_general_kernelIl19rocblas_complex_numIfELi16ELi32ELi8ELb0ELb1ELc67ELc85EKS1_S1_EviT_T0_PT8_S3_lS6_S3_lS4_PT9_S3_li,"axG",@progbits,_ZL34rocblas_syrkx_herkx_general_kernelIl19rocblas_complex_numIfELi16ELi32ELi8ELb0ELb1ELc67ELc85EKS1_S1_EviT_T0_PT8_S3_lS6_S3_lS4_PT9_S3_li,comdat
.Lfunc_end1304:
	.size	_ZL34rocblas_syrkx_herkx_general_kernelIl19rocblas_complex_numIfELi16ELi32ELi8ELb0ELb1ELc67ELc85EKS1_S1_EviT_T0_PT8_S3_lS6_S3_lS4_PT9_S3_li, .Lfunc_end1304-_ZL34rocblas_syrkx_herkx_general_kernelIl19rocblas_complex_numIfELi16ELi32ELi8ELb0ELb1ELc67ELc85EKS1_S1_EviT_T0_PT8_S3_lS6_S3_lS4_PT9_S3_li
                                        ; -- End function
	.set _ZL34rocblas_syrkx_herkx_general_kernelIl19rocblas_complex_numIfELi16ELi32ELi8ELb0ELb1ELc67ELc85EKS1_S1_EviT_T0_PT8_S3_lS6_S3_lS4_PT9_S3_li.num_vgpr, 50
	.set _ZL34rocblas_syrkx_herkx_general_kernelIl19rocblas_complex_numIfELi16ELi32ELi8ELb0ELb1ELc67ELc85EKS1_S1_EviT_T0_PT8_S3_lS6_S3_lS4_PT9_S3_li.num_agpr, 0
	.set _ZL34rocblas_syrkx_herkx_general_kernelIl19rocblas_complex_numIfELi16ELi32ELi8ELb0ELb1ELc67ELc85EKS1_S1_EviT_T0_PT8_S3_lS6_S3_lS4_PT9_S3_li.numbered_sgpr, 30
	.set _ZL34rocblas_syrkx_herkx_general_kernelIl19rocblas_complex_numIfELi16ELi32ELi8ELb0ELb1ELc67ELc85EKS1_S1_EviT_T0_PT8_S3_lS6_S3_lS4_PT9_S3_li.num_named_barrier, 0
	.set _ZL34rocblas_syrkx_herkx_general_kernelIl19rocblas_complex_numIfELi16ELi32ELi8ELb0ELb1ELc67ELc85EKS1_S1_EviT_T0_PT8_S3_lS6_S3_lS4_PT9_S3_li.private_seg_size, 0
	.set _ZL34rocblas_syrkx_herkx_general_kernelIl19rocblas_complex_numIfELi16ELi32ELi8ELb0ELb1ELc67ELc85EKS1_S1_EviT_T0_PT8_S3_lS6_S3_lS4_PT9_S3_li.uses_vcc, 1
	.set _ZL34rocblas_syrkx_herkx_general_kernelIl19rocblas_complex_numIfELi16ELi32ELi8ELb0ELb1ELc67ELc85EKS1_S1_EviT_T0_PT8_S3_lS6_S3_lS4_PT9_S3_li.uses_flat_scratch, 0
	.set _ZL34rocblas_syrkx_herkx_general_kernelIl19rocblas_complex_numIfELi16ELi32ELi8ELb0ELb1ELc67ELc85EKS1_S1_EviT_T0_PT8_S3_lS6_S3_lS4_PT9_S3_li.has_dyn_sized_stack, 0
	.set _ZL34rocblas_syrkx_herkx_general_kernelIl19rocblas_complex_numIfELi16ELi32ELi8ELb0ELb1ELc67ELc85EKS1_S1_EviT_T0_PT8_S3_lS6_S3_lS4_PT9_S3_li.has_recursion, 0
	.set _ZL34rocblas_syrkx_herkx_general_kernelIl19rocblas_complex_numIfELi16ELi32ELi8ELb0ELb1ELc67ELc85EKS1_S1_EviT_T0_PT8_S3_lS6_S3_lS4_PT9_S3_li.has_indirect_call, 0
	.section	.AMDGPU.csdata,"",@progbits
; Kernel info:
; codeLenInByte = 2540
; TotalNumSgprs: 34
; NumVgprs: 50
; ScratchSize: 0
; MemoryBound: 1
; FloatMode: 240
; IeeeMode: 1
; LDSByteSize: 4096 bytes/workgroup (compile time only)
; SGPRBlocks: 4
; VGPRBlocks: 12
; NumSGPRsForWavesPerEU: 34
; NumVGPRsForWavesPerEU: 50
; Occupancy: 4
; WaveLimiterHint : 0
; COMPUTE_PGM_RSRC2:SCRATCH_EN: 0
; COMPUTE_PGM_RSRC2:USER_SGPR: 6
; COMPUTE_PGM_RSRC2:TRAP_HANDLER: 0
; COMPUTE_PGM_RSRC2:TGID_X_EN: 1
; COMPUTE_PGM_RSRC2:TGID_Y_EN: 1
; COMPUTE_PGM_RSRC2:TGID_Z_EN: 1
; COMPUTE_PGM_RSRC2:TIDIG_COMP_CNT: 1
	.section	.text._ZL34rocblas_syrkx_herkx_general_kernelIl19rocblas_complex_numIfELi16ELi32ELi8ELb0ELb1ELc78ELc85EKS1_S1_EviT_T0_PT8_S3_lS6_S3_lS4_PT9_S3_li,"axG",@progbits,_ZL34rocblas_syrkx_herkx_general_kernelIl19rocblas_complex_numIfELi16ELi32ELi8ELb0ELb1ELc78ELc85EKS1_S1_EviT_T0_PT8_S3_lS6_S3_lS4_PT9_S3_li,comdat
	.globl	_ZL34rocblas_syrkx_herkx_general_kernelIl19rocblas_complex_numIfELi16ELi32ELi8ELb0ELb1ELc78ELc85EKS1_S1_EviT_T0_PT8_S3_lS6_S3_lS4_PT9_S3_li ; -- Begin function _ZL34rocblas_syrkx_herkx_general_kernelIl19rocblas_complex_numIfELi16ELi32ELi8ELb0ELb1ELc78ELc85EKS1_S1_EviT_T0_PT8_S3_lS6_S3_lS4_PT9_S3_li
	.p2align	8
	.type	_ZL34rocblas_syrkx_herkx_general_kernelIl19rocblas_complex_numIfELi16ELi32ELi8ELb0ELb1ELc78ELc85EKS1_S1_EviT_T0_PT8_S3_lS6_S3_lS4_PT9_S3_li,@function
_ZL34rocblas_syrkx_herkx_general_kernelIl19rocblas_complex_numIfELi16ELi32ELi8ELb0ELb1ELc78ELc85EKS1_S1_EviT_T0_PT8_S3_lS6_S3_lS4_PT9_S3_li: ; @_ZL34rocblas_syrkx_herkx_general_kernelIl19rocblas_complex_numIfELi16ELi32ELi8ELb0ELb1ELc78ELc85EKS1_S1_EviT_T0_PT8_S3_lS6_S3_lS4_PT9_S3_li
; %bb.0:
	s_load_dwordx16 s[12:27], s[4:5], 0x8
	s_load_dword s9, s[4:5], 0x0
	s_lshl_b32 s28, s6, 5
	s_lshl_b32 s29, s7, 5
	s_waitcnt lgkmcnt(0)
	v_cmp_lt_i64_e64 s[0:1], s[12:13], 1
	s_and_b64 vcc, exec, s[0:1]
	s_cbranch_vccnz .LBB1305_11
; %bb.1:
	v_lshl_add_u32 v2, v1, 4, v0
	v_and_b32_e32 v8, 31, v2
	v_lshrrev_b32_e32 v5, 3, v2
	v_or_b32_e32 v3, s28, v8
	v_lshrrev_b32_e32 v10, 5, v2
	v_lshlrev_b32_e32 v2, 3, v8
	v_cmp_gt_i32_e32 vcc, s9, v3
	v_lshl_or_b32 v12, v10, 8, v2
	v_mad_u64_u32 v[2:3], s[2:3], s18, v10, 0
	v_and_b32_e32 v11, 7, v0
	v_add_u32_e32 v4, s29, v5
	v_lshlrev_b32_e32 v6, 3, v11
	v_lshl_or_b32 v5, v5, 6, v6
	v_mad_u64_u32 v[6:7], s[2:3], s19, v10, v[3:4]
	v_mov_b32_e32 v3, 0x800
	v_lshl_add_u32 v15, v1, 6, v3
	v_mov_b32_e32 v3, v6
	s_mul_i32 s2, s21, s8
	s_mul_hi_u32 s3, s20, s8
	v_lshlrev_b64 v[2:3], 3, v[2:3]
	s_add_i32 s3, s3, s2
	s_mul_i32 s2, s20, s8
	s_lshl_b64 s[2:3], s[2:3], 3
	v_mov_b32_e32 v6, s3
	v_add_co_u32_e64 v7, s[2:3], s2, v2
	v_add_u32_e32 v2, s28, v8
	v_addc_co_u32_e64 v6, s[2:3], v3, v6, s[2:3]
	v_ashrrev_i32_e32 v3, 31, v2
	v_lshlrev_b64 v[2:3], 3, v[2:3]
	s_mul_i32 s10, s27, s8
	v_add_co_u32_e64 v2, s[2:3], v7, v2
	v_addc_co_u32_e64 v3, s[2:3], v6, v3, s[2:3]
	v_mov_b32_e32 v6, s17
	v_add_co_u32_e64 v2, s[2:3], s16, v2
	v_addc_co_u32_e64 v3, s[2:3], v6, v3, s[2:3]
	v_mad_u64_u32 v[6:7], s[2:3], s24, v11, 0
	s_mul_hi_u32 s11, s26, s8
	v_add_u32_e32 v13, 0x800, v5
	v_mad_u64_u32 v[7:8], s[2:3], s25, v11, v[7:8]
	s_add_i32 s3, s11, s10
	s_mul_i32 s2, s26, s8
	v_lshlrev_b64 v[6:7], 3, v[6:7]
	v_ashrrev_i32_e32 v5, 31, v4
	s_lshl_b64 s[2:3], s[2:3], 3
	v_cmp_gt_i32_e64 s[0:1], s9, v4
	v_mov_b32_e32 v8, s3
	v_add_co_u32_e64 v6, s[2:3], s2, v6
	v_lshlrev_b64 v[4:5], 3, v[4:5]
	v_addc_co_u32_e64 v7, s[2:3], v8, v7, s[2:3]
	v_add_co_u32_e64 v4, s[2:3], v6, v4
	v_addc_co_u32_e64 v5, s[2:3], v7, v5, s[2:3]
	v_mov_b32_e32 v6, s23
	v_add_co_u32_e64 v4, s[2:3], s22, v4
	v_addc_co_u32_e64 v5, s[2:3], v6, v5, s[2:3]
	v_add_co_u32_e64 v4, s[2:3], 4, v4
	v_addc_co_u32_e64 v5, s[2:3], 0, v5, s[2:3]
	s_lshl_b64 s[6:7], s[18:19], 6
	s_lshl_b64 s[2:3], s[24:25], 6
	v_mov_b32_e32 v8, s12
	v_lshlrev_b32_e32 v14, 3, v0
	s_mov_b64 s[10:11], 0
	s_xor_b64 s[16:17], vcc, -1
	s_xor_b64 s[18:19], s[0:1], -1
	v_mov_b32_e32 v16, s7
	v_mov_b32_e32 v17, s3
	;; [unrolled: 1-line block ×12, first 2 shown]
	s_branch .LBB1305_3
.LBB1305_2:                             ;   in Loop: Header=BB1305_3 Depth=1
	s_or_b64 exec, exec, s[0:1]
	ds_write_b32 v13, v7 offset:4
	s_waitcnt lgkmcnt(0)
	s_barrier
	ds_read2_b64 v[26:29], v14 offset1:16
	ds_read_b128 v[30:33], v15
	ds_read_b128 v[34:37], v15 offset:16
	s_add_u32 s10, s10, 8
	v_add_co_u32_e32 v2, vcc, s6, v2
	s_waitcnt lgkmcnt(1)
	v_mul_f32_e32 v38, v30, v27
	v_fmac_f32_e32 v38, v31, v26
	v_add_f32_e32 v42, v25, v38
	ds_read_b128 v[38:41], v15 offset:1024
	v_mul_f32_e32 v7, v31, v27
	v_fma_f32 v7, v30, v26, -v7
	v_add_f32_e32 v7, v24, v7
	v_mul_f32_e32 v24, v31, v29
	v_mul_f32_e32 v25, v30, v29
	v_fma_f32 v24, v30, v28, -v24
	v_fmac_f32_e32 v25, v31, v28
	v_add_f32_e32 v30, v22, v24
	v_add_f32_e32 v31, v23, v25
	ds_read_b128 v[22:25], v15 offset:1040
	s_waitcnt lgkmcnt(1)
	v_mul_f32_e32 v43, v39, v27
	v_mul_f32_e32 v44, v38, v27
	v_fma_f32 v43, v38, v26, -v43
	v_fmac_f32_e32 v44, v39, v26
	v_mul_f32_e32 v26, v39, v29
	v_fma_f32 v45, v38, v28, -v26
	v_mul_f32_e32 v38, v38, v29
	v_fmac_f32_e32 v38, v39, v28
	ds_read2_b64 v[26:29], v14 offset0:32 offset1:48
	v_add_f32_e32 v39, v20, v45
	v_add_f32_e32 v38, v21, v38
	;; [unrolled: 1-line block ×4, first 2 shown]
	s_waitcnt lgkmcnt(0)
	v_mul_f32_e32 v20, v33, v27
	v_fma_f32 v20, v32, v26, -v20
	v_mul_f32_e32 v21, v32, v27
	v_fmac_f32_e32 v21, v33, v26
	v_add_f32_e32 v7, v7, v20
	v_mul_f32_e32 v20, v33, v29
	v_add_f32_e32 v42, v42, v21
	v_fma_f32 v20, v32, v28, -v20
	v_mul_f32_e32 v21, v32, v29
	v_fmac_f32_e32 v21, v33, v28
	v_add_f32_e32 v30, v30, v20
	v_mul_f32_e32 v20, v41, v27
	v_add_f32_e32 v31, v31, v21
	;; [unrolled: 6-line block ×3, first 2 shown]
	v_fma_f32 v32, v40, v28, -v18
	ds_read2_b64 v[18:21], v14 offset0:64 offset1:80
	v_mul_f32_e32 v29, v40, v29
	v_fmac_f32_e32 v29, v41, v28
	v_add_f32_e32 v33, v38, v29
	v_add_f32_e32 v32, v39, v32
	s_waitcnt lgkmcnt(0)
	v_mul_f32_e32 v28, v35, v19
	v_fma_f32 v28, v34, v18, -v28
	v_mul_f32_e32 v29, v34, v19
	v_add_f32_e32 v7, v7, v28
	v_mul_f32_e32 v28, v35, v21
	v_fmac_f32_e32 v29, v35, v18
	v_fma_f32 v28, v34, v20, -v28
	v_add_f32_e32 v38, v42, v29
	v_mul_f32_e32 v29, v34, v21
	v_add_f32_e32 v30, v30, v28
	v_mul_f32_e32 v28, v23, v19
	v_mul_f32_e32 v19, v22, v19
	v_fmac_f32_e32 v29, v35, v20
	v_fma_f32 v28, v22, v18, -v28
	v_fmac_f32_e32 v19, v23, v18
	v_add_f32_e32 v31, v31, v29
	v_add_f32_e32 v34, v26, v28
	;; [unrolled: 1-line block ×3, first 2 shown]
	ds_read2_b64 v[26:29], v14 offset0:96 offset1:112
	v_mul_f32_e32 v18, v23, v21
	v_fma_f32 v39, v22, v20, -v18
	v_mul_f32_e32 v22, v22, v21
	v_fmac_f32_e32 v22, v23, v20
	v_add_f32_e32 v23, v32, v39
	s_waitcnt lgkmcnt(0)
	v_mul_f32_e32 v32, v37, v27
	v_fma_f32 v32, v36, v26, -v32
	v_add_f32_e32 v22, v33, v22
	v_mul_f32_e32 v33, v36, v27
	v_add_f32_e32 v7, v7, v32
	v_mul_f32_e32 v32, v37, v29
	v_fmac_f32_e32 v33, v37, v26
	v_fma_f32 v32, v36, v28, -v32
	v_add_f32_e32 v38, v38, v33
	v_mul_f32_e32 v33, v36, v29
	v_add_f32_e32 v39, v30, v32
	v_mul_f32_e32 v30, v25, v27
	v_fmac_f32_e32 v33, v37, v28
	v_fma_f32 v30, v24, v26, -v30
	ds_read_b128 v[18:21], v15 offset:32
	v_add_f32_e32 v40, v31, v33
	v_add_f32_e32 v42, v34, v30
	ds_read2_b64 v[30:33], v14 offset0:128 offset1:144
	v_mul_f32_e32 v27, v24, v27
	v_fmac_f32_e32 v27, v25, v26
	v_mul_f32_e32 v26, v25, v29
	v_fma_f32 v26, v24, v28, -v26
	v_mul_f32_e32 v24, v24, v29
	v_fmac_f32_e32 v24, v25, v28
	v_add_f32_e32 v43, v35, v27
	v_add_f32_e32 v23, v23, v26
	;; [unrolled: 1-line block ×3, first 2 shown]
	ds_read_b128 v[24:27], v15 offset:48
	s_waitcnt lgkmcnt(1)
	v_mul_f32_e32 v28, v19, v31
	ds_read_b128 v[34:37], v15 offset:1056
	v_fma_f32 v28, v18, v30, -v28
	v_add_f32_e32 v7, v7, v28
	v_mul_f32_e32 v28, v19, v33
	v_mul_f32_e32 v29, v18, v31
	v_fma_f32 v28, v18, v32, -v28
	v_mul_f32_e32 v18, v18, v33
	v_fmac_f32_e32 v29, v19, v30
	v_fmac_f32_e32 v18, v19, v32
	v_add_f32_e32 v44, v38, v29
	v_add_f32_e32 v19, v39, v28
	;; [unrolled: 1-line block ×3, first 2 shown]
	ds_read_b128 v[38:41], v15 offset:1072
	s_waitcnt lgkmcnt(1)
	v_mul_f32_e32 v28, v35, v31
	v_fma_f32 v45, v34, v30, -v28
	v_mul_f32_e32 v46, v34, v31
	v_mul_f32_e32 v28, v35, v33
	v_fmac_f32_e32 v46, v35, v30
	v_fma_f32 v47, v34, v32, -v28
	ds_read2_b64 v[28:31], v14 offset0:160 offset1:176
	v_mul_f32_e32 v33, v34, v33
	v_fmac_f32_e32 v33, v35, v32
	v_add_f32_e32 v22, v22, v33
	v_add_f32_e32 v32, v42, v45
	s_waitcnt lgkmcnt(0)
	v_mul_f32_e32 v33, v21, v29
	v_mul_f32_e32 v35, v20, v29
	v_fma_f32 v33, v20, v28, -v33
	v_fmac_f32_e32 v35, v21, v28
	v_add_f32_e32 v7, v7, v33
	v_add_f32_e32 v33, v44, v35
	v_mul_f32_e32 v35, v21, v31
	v_fma_f32 v35, v20, v30, -v35
	v_mul_f32_e32 v20, v20, v31
	v_fmac_f32_e32 v20, v21, v30
	v_add_f32_e32 v42, v18, v20
	v_mul_f32_e32 v18, v37, v29
	v_add_f32_e32 v35, v19, v35
	v_fma_f32 v18, v36, v28, -v18
	v_mul_f32_e32 v19, v36, v29
	v_add_f32_e32 v34, v43, v46
	v_fmac_f32_e32 v19, v37, v28
	v_add_f32_e32 v28, v32, v18
	v_mul_f32_e32 v18, v37, v31
	v_add_f32_e32 v29, v34, v19
	v_fma_f32 v32, v36, v30, -v18
	ds_read2_b64 v[18:21], v14 offset0:192 offset1:208
	v_mul_f32_e32 v31, v36, v31
	v_fmac_f32_e32 v31, v37, v30
	v_add_f32_e32 v22, v22, v31
	v_add_f32_e32 v23, v23, v47
	s_waitcnt lgkmcnt(0)
	v_mul_f32_e32 v30, v25, v19
	v_fma_f32 v30, v24, v18, -v30
	v_add_f32_e32 v7, v7, v30
	v_mul_f32_e32 v30, v25, v21
	v_mul_f32_e32 v31, v24, v19
	v_fma_f32 v30, v24, v20, -v30
	v_mul_f32_e32 v24, v24, v21
	v_fmac_f32_e32 v24, v25, v20
	v_add_f32_e32 v34, v42, v24
	v_mul_f32_e32 v24, v39, v19
	v_mul_f32_e32 v19, v38, v19
	v_fmac_f32_e32 v31, v25, v18
	v_fma_f32 v24, v38, v18, -v24
	v_fmac_f32_e32 v19, v39, v18
	v_add_f32_e32 v23, v23, v32
	v_add_f32_e32 v32, v33, v31
	;; [unrolled: 1-line block ×5, first 2 shown]
	ds_read2_b64 v[28:31], v14 offset0:224 offset1:240
	v_mul_f32_e32 v24, v39, v21
	v_mul_f32_e32 v21, v38, v21
	v_fmac_f32_e32 v21, v39, v20
	v_add_f32_e32 v21, v22, v21
	s_waitcnt lgkmcnt(0)
	v_mul_f32_e32 v22, v27, v29
	v_fma_f32 v24, v38, v20, -v24
	v_fma_f32 v22, v26, v28, -v22
	v_add_f32_e32 v20, v23, v24
	v_mul_f32_e32 v23, v26, v29
	v_add_f32_e32 v24, v7, v22
	v_mul_f32_e32 v7, v27, v31
	v_fmac_f32_e32 v23, v27, v28
	v_fma_f32 v7, v26, v30, -v7
	v_add_f32_e32 v25, v32, v23
	v_mul_f32_e32 v23, v26, v31
	v_add_f32_e32 v22, v33, v7
	v_mul_f32_e32 v7, v41, v29
	v_mul_f32_e32 v26, v40, v29
	v_fma_f32 v7, v40, v28, -v7
	v_fmac_f32_e32 v26, v41, v28
	s_addc_u32 s11, s11, 0
	v_addc_co_u32_e32 v3, vcc, v3, v16, vcc
	v_add_f32_e32 v18, v18, v7
	v_add_f32_e32 v19, v19, v26
	v_mul_f32_e32 v7, v41, v31
	v_mul_f32_e32 v26, v40, v31
	v_cmp_ge_i64_e32 vcc, s[10:11], v[8:9]
	v_fmac_f32_e32 v23, v27, v30
	v_fma_f32 v7, v40, v30, -v7
	v_fmac_f32_e32 v26, v41, v30
	v_add_co_u32_e64 v4, s[0:1], s2, v4
	v_add_f32_e32 v23, v34, v23
	v_add_f32_e32 v20, v20, v7
	;; [unrolled: 1-line block ×3, first 2 shown]
	v_addc_co_u32_e64 v5, s[0:1], v5, v17, s[0:1]
	s_barrier
	s_cbranch_vccnz .LBB1305_12
.LBB1305_3:                             ; =>This Inner Loop Header: Depth=1
	v_mov_b32_e32 v7, s11
	v_add_co_u32_e32 v26, vcc, s10, v10
	v_addc_co_u32_e32 v27, vcc, 0, v7, vcc
	v_cmp_le_i64_e32 vcc, s[12:13], v[26:27]
	s_or_b64 s[0:1], s[16:17], vcc
	s_and_saveexec_b64 s[20:21], s[0:1]
	s_xor_b64 s[0:1], exec, s[20:21]
; %bb.4:                                ;   in Loop: Header=BB1305_3 Depth=1
	v_mov_b32_e32 v7, v6
	ds_write_b64 v12, v[6:7]
; %bb.5:                                ;   in Loop: Header=BB1305_3 Depth=1
	s_andn2_saveexec_b64 s[0:1], s[0:1]
	s_cbranch_execz .LBB1305_7
; %bb.6:                                ;   in Loop: Header=BB1305_3 Depth=1
	global_load_dwordx2 v[26:27], v[2:3], off
	s_waitcnt vmcnt(0)
	ds_write_b64 v12, v[26:27]
.LBB1305_7:                             ;   in Loop: Header=BB1305_3 Depth=1
	s_or_b64 exec, exec, s[0:1]
	v_mov_b32_e32 v7, s11
	v_add_co_u32_e32 v26, vcc, s10, v11
	v_addc_co_u32_e32 v27, vcc, 0, v7, vcc
	v_cmp_le_i64_e32 vcc, s[12:13], v[26:27]
	s_or_b64 s[0:1], vcc, s[18:19]
	s_and_saveexec_b64 s[20:21], s[0:1]
	s_xor_b64 s[0:1], exec, s[20:21]
; %bb.8:                                ;   in Loop: Header=BB1305_3 Depth=1
	ds_write_b32 v13, v6
; %bb.9:                                ;   in Loop: Header=BB1305_3 Depth=1
	s_or_saveexec_b64 s[0:1], s[0:1]
	v_mov_b32_e32 v7, 0
	s_xor_b64 exec, exec, s[0:1]
	s_cbranch_execz .LBB1305_2
; %bb.10:                               ;   in Loop: Header=BB1305_3 Depth=1
	global_load_dwordx2 v[26:27], v[4:5], off offset:-4
	s_waitcnt vmcnt(0)
	v_xor_b32_e32 v7, 0x80000000, v27
	ds_write_b32 v13, v26
	s_branch .LBB1305_2
.LBB1305_11:
	v_mov_b32_e32 v24, 0
	v_mov_b32_e32 v25, 0
	;; [unrolled: 1-line block ×8, first 2 shown]
.LBB1305_12:
	s_load_dwordx8 s[16:23], s[4:5], 0x48
	v_add_u32_e32 v5, s29, v1
	v_ashrrev_i32_e32 v1, 31, v5
	v_add_u32_e32 v0, s28, v0
	v_cmp_gt_i32_e32 vcc, s9, v5
	s_waitcnt lgkmcnt(0)
	v_mul_lo_u32 v3, s20, v1
	v_mul_lo_u32 v4, s21, v5
	v_mad_u64_u32 v[1:2], s[2:3], s20, v5, 0
	s_mul_i32 s0, s23, s8
	s_mul_hi_u32 s1, s22, s8
	s_add_i32 s1, s1, s0
	s_mul_i32 s0, s22, s8
	s_lshl_b64 s[0:1], s[0:1], 3
	v_add3_u32 v2, v2, v3, v4
	s_add_u32 s4, s18, s0
	v_lshlrev_b64 v[1:2], 3, v[1:2]
	s_addc_u32 s5, s19, s1
	v_mov_b32_e32 v3, s5
	v_add_co_u32_e64 v4, s[0:1], s4, v1
	v_addc_co_u32_e64 v6, s[0:1], v3, v2, s[0:1]
	v_cmp_le_i32_e64 s[0:1], v0, v5
	s_and_b64 s[0:1], vcc, s[0:1]
	s_and_saveexec_b64 s[2:3], s[0:1]
	s_cbranch_execz .LBB1305_15
; %bb.13:
	v_ashrrev_i32_e32 v1, 31, v0
	v_lshlrev_b64 v[1:2], 3, v[0:1]
	v_mul_f32_e32 v3, s15, v25
	v_add_co_u32_e64 v1, s[0:1], v4, v1
	v_addc_co_u32_e64 v2, s[0:1], v6, v2, s[0:1]
	global_load_dwordx2 v[7:8], v[1:2], off
	v_mul_f32_e32 v9, s14, v25
	v_fma_f32 v3, v24, s14, -v3
	v_fmac_f32_e32 v9, s15, v24
	v_cmp_eq_u32_e64 s[0:1], v5, v0
	s_waitcnt vmcnt(0)
	v_mul_f32_e32 v10, s17, v8
	v_mul_f32_e32 v8, s16, v8
	v_fma_f32 v10, v7, s16, -v10
	v_fmac_f32_e32 v8, s17, v7
	v_add_f32_e32 v7, v3, v10
	v_add_f32_e32 v8, v9, v8
	global_store_dwordx2 v[1:2], v[7:8], off
	s_and_b64 exec, exec, s[0:1]
	s_cbranch_execz .LBB1305_15
; %bb.14:
	v_mov_b32_e32 v3, 0
	global_store_dword v[1:2], v3, off offset:4
.LBB1305_15:
	s_or_b64 exec, exec, s[2:3]
	v_add_u32_e32 v2, 16, v0
	v_cmp_le_i32_e64 s[0:1], v2, v5
	s_and_b64 s[2:3], vcc, s[0:1]
	s_and_saveexec_b64 s[0:1], s[2:3]
	s_cbranch_execz .LBB1305_18
; %bb.16:
	v_ashrrev_i32_e32 v3, 31, v2
	v_lshlrev_b64 v[7:8], 3, v[2:3]
	v_mul_f32_e32 v1, s15, v23
	v_add_co_u32_e32 v3, vcc, v4, v7
	v_addc_co_u32_e32 v4, vcc, v6, v8, vcc
	global_load_dwordx2 v[6:7], v[3:4], off
	v_mul_f32_e32 v8, s14, v23
	v_fma_f32 v1, v22, s14, -v1
	v_fmac_f32_e32 v8, s15, v22
	v_cmp_eq_u32_e32 vcc, v5, v2
	s_waitcnt vmcnt(0)
	v_mul_f32_e32 v9, s17, v7
	v_mul_f32_e32 v7, s16, v7
	v_fma_f32 v9, v6, s16, -v9
	v_fmac_f32_e32 v7, s17, v6
	v_add_f32_e32 v6, v1, v9
	v_add_f32_e32 v7, v8, v7
	global_store_dwordx2 v[3:4], v[6:7], off
	s_and_b64 exec, exec, vcc
	s_cbranch_execz .LBB1305_18
; %bb.17:
	v_mov_b32_e32 v1, 0
	global_store_dword v[3:4], v1, off offset:4
.LBB1305_18:
	s_or_b64 exec, exec, s[0:1]
	v_add_u32_e32 v8, 16, v5
	v_ashrrev_i32_e32 v1, 31, v8
	v_mul_lo_u32 v1, s20, v1
	v_mul_lo_u32 v6, s21, v8
	v_mad_u64_u32 v[3:4], s[0:1], s20, v8, 0
	v_cmp_gt_i32_e32 vcc, s9, v8
	v_add3_u32 v4, v4, v1, v6
	v_lshlrev_b64 v[3:4], 3, v[3:4]
	v_mov_b32_e32 v1, s5
	v_add_co_u32_e64 v6, s[0:1], s4, v3
	v_addc_co_u32_e64 v7, s[0:1], v1, v4, s[0:1]
	v_cmp_le_i32_e64 s[0:1], v0, v8
	s_and_b64 s[0:1], vcc, s[0:1]
	s_and_saveexec_b64 s[2:3], s[0:1]
	s_cbranch_execz .LBB1305_21
; %bb.19:
	v_ashrrev_i32_e32 v1, 31, v0
	v_lshlrev_b64 v[3:4], 3, v[0:1]
	v_mul_f32_e32 v1, s15, v19
	v_add_co_u32_e64 v3, s[0:1], v6, v3
	v_addc_co_u32_e64 v4, s[0:1], v7, v4, s[0:1]
	global_load_dwordx2 v[9:10], v[3:4], off
	v_mul_f32_e32 v11, s14, v19
	v_fma_f32 v1, v18, s14, -v1
	v_fmac_f32_e32 v11, s15, v18
	v_cmp_eq_u32_e64 s[0:1], v8, v0
	s_waitcnt vmcnt(0)
	v_mul_f32_e32 v12, s17, v10
	v_mul_f32_e32 v10, s16, v10
	v_fma_f32 v12, v9, s16, -v12
	v_fmac_f32_e32 v10, s17, v9
	v_add_f32_e32 v9, v1, v12
	v_add_f32_e32 v10, v11, v10
	global_store_dwordx2 v[3:4], v[9:10], off
	s_and_b64 exec, exec, s[0:1]
	s_cbranch_execz .LBB1305_21
; %bb.20:
	v_mov_b32_e32 v1, 0
	global_store_dword v[3:4], v1, off offset:4
.LBB1305_21:
	s_or_b64 exec, exec, s[2:3]
	v_cmp_le_i32_e64 s[0:1], v2, v8
	s_and_b64 s[0:1], vcc, s[0:1]
	s_and_saveexec_b64 s[2:3], s[0:1]
	s_cbranch_execz .LBB1305_24
; %bb.22:
	v_ashrrev_i32_e32 v3, 31, v2
	v_lshlrev_b64 v[1:2], 3, v[2:3]
	v_add_co_u32_e32 v1, vcc, v6, v1
	v_addc_co_u32_e32 v2, vcc, v7, v2, vcc
	global_load_dwordx2 v[3:4], v[1:2], off
	v_mul_f32_e32 v6, s15, v21
	v_mul_f32_e32 v7, s14, v21
	v_fma_f32 v6, v20, s14, -v6
	v_fmac_f32_e32 v7, s15, v20
	v_cmp_eq_u32_e32 vcc, v5, v0
	s_waitcnt vmcnt(0)
	v_mul_f32_e32 v8, s17, v4
	v_mul_f32_e32 v4, s16, v4
	v_fma_f32 v8, v3, s16, -v8
	v_fmac_f32_e32 v4, s17, v3
	v_add_f32_e32 v3, v6, v8
	v_add_f32_e32 v4, v7, v4
	global_store_dwordx2 v[1:2], v[3:4], off
	s_and_b64 exec, exec, vcc
	s_cbranch_execz .LBB1305_24
; %bb.23:
	v_mov_b32_e32 v0, 0
	global_store_dword v[1:2], v0, off offset:4
.LBB1305_24:
	s_endpgm
	.section	.rodata,"a",@progbits
	.p2align	6, 0x0
	.amdhsa_kernel _ZL34rocblas_syrkx_herkx_general_kernelIl19rocblas_complex_numIfELi16ELi32ELi8ELb0ELb1ELc78ELc85EKS1_S1_EviT_T0_PT8_S3_lS6_S3_lS4_PT9_S3_li
		.amdhsa_group_segment_fixed_size 4096
		.amdhsa_private_segment_fixed_size 0
		.amdhsa_kernarg_size 108
		.amdhsa_user_sgpr_count 6
		.amdhsa_user_sgpr_private_segment_buffer 1
		.amdhsa_user_sgpr_dispatch_ptr 0
		.amdhsa_user_sgpr_queue_ptr 0
		.amdhsa_user_sgpr_kernarg_segment_ptr 1
		.amdhsa_user_sgpr_dispatch_id 0
		.amdhsa_user_sgpr_flat_scratch_init 0
		.amdhsa_user_sgpr_private_segment_size 0
		.amdhsa_uses_dynamic_stack 0
		.amdhsa_system_sgpr_private_segment_wavefront_offset 0
		.amdhsa_system_sgpr_workgroup_id_x 1
		.amdhsa_system_sgpr_workgroup_id_y 1
		.amdhsa_system_sgpr_workgroup_id_z 1
		.amdhsa_system_sgpr_workgroup_info 0
		.amdhsa_system_vgpr_workitem_id 1
		.amdhsa_next_free_vgpr 48
		.amdhsa_next_free_sgpr 30
		.amdhsa_reserve_vcc 1
		.amdhsa_reserve_flat_scratch 0
		.amdhsa_float_round_mode_32 0
		.amdhsa_float_round_mode_16_64 0
		.amdhsa_float_denorm_mode_32 3
		.amdhsa_float_denorm_mode_16_64 3
		.amdhsa_dx10_clamp 1
		.amdhsa_ieee_mode 1
		.amdhsa_fp16_overflow 0
		.amdhsa_exception_fp_ieee_invalid_op 0
		.amdhsa_exception_fp_denorm_src 0
		.amdhsa_exception_fp_ieee_div_zero 0
		.amdhsa_exception_fp_ieee_overflow 0
		.amdhsa_exception_fp_ieee_underflow 0
		.amdhsa_exception_fp_ieee_inexact 0
		.amdhsa_exception_int_div_zero 0
	.end_amdhsa_kernel
	.section	.text._ZL34rocblas_syrkx_herkx_general_kernelIl19rocblas_complex_numIfELi16ELi32ELi8ELb0ELb1ELc78ELc85EKS1_S1_EviT_T0_PT8_S3_lS6_S3_lS4_PT9_S3_li,"axG",@progbits,_ZL34rocblas_syrkx_herkx_general_kernelIl19rocblas_complex_numIfELi16ELi32ELi8ELb0ELb1ELc78ELc85EKS1_S1_EviT_T0_PT8_S3_lS6_S3_lS4_PT9_S3_li,comdat
.Lfunc_end1305:
	.size	_ZL34rocblas_syrkx_herkx_general_kernelIl19rocblas_complex_numIfELi16ELi32ELi8ELb0ELb1ELc78ELc85EKS1_S1_EviT_T0_PT8_S3_lS6_S3_lS4_PT9_S3_li, .Lfunc_end1305-_ZL34rocblas_syrkx_herkx_general_kernelIl19rocblas_complex_numIfELi16ELi32ELi8ELb0ELb1ELc78ELc85EKS1_S1_EviT_T0_PT8_S3_lS6_S3_lS4_PT9_S3_li
                                        ; -- End function
	.set _ZL34rocblas_syrkx_herkx_general_kernelIl19rocblas_complex_numIfELi16ELi32ELi8ELb0ELb1ELc78ELc85EKS1_S1_EviT_T0_PT8_S3_lS6_S3_lS4_PT9_S3_li.num_vgpr, 48
	.set _ZL34rocblas_syrkx_herkx_general_kernelIl19rocblas_complex_numIfELi16ELi32ELi8ELb0ELb1ELc78ELc85EKS1_S1_EviT_T0_PT8_S3_lS6_S3_lS4_PT9_S3_li.num_agpr, 0
	.set _ZL34rocblas_syrkx_herkx_general_kernelIl19rocblas_complex_numIfELi16ELi32ELi8ELb0ELb1ELc78ELc85EKS1_S1_EviT_T0_PT8_S3_lS6_S3_lS4_PT9_S3_li.numbered_sgpr, 30
	.set _ZL34rocblas_syrkx_herkx_general_kernelIl19rocblas_complex_numIfELi16ELi32ELi8ELb0ELb1ELc78ELc85EKS1_S1_EviT_T0_PT8_S3_lS6_S3_lS4_PT9_S3_li.num_named_barrier, 0
	.set _ZL34rocblas_syrkx_herkx_general_kernelIl19rocblas_complex_numIfELi16ELi32ELi8ELb0ELb1ELc78ELc85EKS1_S1_EviT_T0_PT8_S3_lS6_S3_lS4_PT9_S3_li.private_seg_size, 0
	.set _ZL34rocblas_syrkx_herkx_general_kernelIl19rocblas_complex_numIfELi16ELi32ELi8ELb0ELb1ELc78ELc85EKS1_S1_EviT_T0_PT8_S3_lS6_S3_lS4_PT9_S3_li.uses_vcc, 1
	.set _ZL34rocblas_syrkx_herkx_general_kernelIl19rocblas_complex_numIfELi16ELi32ELi8ELb0ELb1ELc78ELc85EKS1_S1_EviT_T0_PT8_S3_lS6_S3_lS4_PT9_S3_li.uses_flat_scratch, 0
	.set _ZL34rocblas_syrkx_herkx_general_kernelIl19rocblas_complex_numIfELi16ELi32ELi8ELb0ELb1ELc78ELc85EKS1_S1_EviT_T0_PT8_S3_lS6_S3_lS4_PT9_S3_li.has_dyn_sized_stack, 0
	.set _ZL34rocblas_syrkx_herkx_general_kernelIl19rocblas_complex_numIfELi16ELi32ELi8ELb0ELb1ELc78ELc85EKS1_S1_EviT_T0_PT8_S3_lS6_S3_lS4_PT9_S3_li.has_recursion, 0
	.set _ZL34rocblas_syrkx_herkx_general_kernelIl19rocblas_complex_numIfELi16ELi32ELi8ELb0ELb1ELc78ELc85EKS1_S1_EviT_T0_PT8_S3_lS6_S3_lS4_PT9_S3_li.has_indirect_call, 0
	.section	.AMDGPU.csdata,"",@progbits
; Kernel info:
; codeLenInByte = 2540
; TotalNumSgprs: 34
; NumVgprs: 48
; ScratchSize: 0
; MemoryBound: 1
; FloatMode: 240
; IeeeMode: 1
; LDSByteSize: 4096 bytes/workgroup (compile time only)
; SGPRBlocks: 4
; VGPRBlocks: 11
; NumSGPRsForWavesPerEU: 34
; NumVGPRsForWavesPerEU: 48
; Occupancy: 5
; WaveLimiterHint : 0
; COMPUTE_PGM_RSRC2:SCRATCH_EN: 0
; COMPUTE_PGM_RSRC2:USER_SGPR: 6
; COMPUTE_PGM_RSRC2:TRAP_HANDLER: 0
; COMPUTE_PGM_RSRC2:TGID_X_EN: 1
; COMPUTE_PGM_RSRC2:TGID_Y_EN: 1
; COMPUTE_PGM_RSRC2:TGID_Z_EN: 1
; COMPUTE_PGM_RSRC2:TIDIG_COMP_CNT: 1
	.section	.text._ZL26rocblas_syr2k_scale_kernelIlLi128ELi8ELb1E19rocblas_complex_numIfES1_PS1_EvbiT_T3_T4_T5_S3_li,"axG",@progbits,_ZL26rocblas_syr2k_scale_kernelIlLi128ELi8ELb1E19rocblas_complex_numIfES1_PS1_EvbiT_T3_T4_T5_S3_li,comdat
	.globl	_ZL26rocblas_syr2k_scale_kernelIlLi128ELi8ELb1E19rocblas_complex_numIfES1_PS1_EvbiT_T3_T4_T5_S3_li ; -- Begin function _ZL26rocblas_syr2k_scale_kernelIlLi128ELi8ELb1E19rocblas_complex_numIfES1_PS1_EvbiT_T3_T4_T5_S3_li
	.p2align	8
	.type	_ZL26rocblas_syr2k_scale_kernelIlLi128ELi8ELb1E19rocblas_complex_numIfES1_PS1_EvbiT_T3_T4_T5_S3_li,@function
_ZL26rocblas_syr2k_scale_kernelIlLi128ELi8ELb1E19rocblas_complex_numIfES1_PS1_EvbiT_T3_T4_T5_S3_li: ; @_ZL26rocblas_syr2k_scale_kernelIlLi128ELi8ELb1E19rocblas_complex_numIfES1_PS1_EvbiT_T3_T4_T5_S3_li
; %bb.0:
	s_load_dwordx4 s[0:3], s[4:5], 0x10
	s_waitcnt lgkmcnt(0)
	v_cmp_eq_f32_e64 s[10:11], s2, 1.0
	v_cmp_eq_f32_e64 s[12:13], s3, 0
	s_and_b64 s[10:11], s[10:11], s[12:13]
	s_andn2_b64 vcc, exec, s[10:11]
	s_mov_b64 s[10:11], -1
	s_cbranch_vccnz .LBB1306_3
; %bb.1:
	s_load_dwordx2 s[10:11], s[4:5], 0x8
	s_waitcnt lgkmcnt(0)
	s_cmp_lg_u64 s[10:11], 0
	s_cbranch_scc0 .LBB1306_8
; %bb.2:
	v_cmp_neq_f32_e64 s[10:11], s0, 0
	v_cmp_neq_f32_e64 s[0:1], s1, 0
	s_or_b64 s[10:11], s[10:11], s[0:1]
.LBB1306_3:
	s_and_b64 vcc, exec, s[10:11]
	s_cbranch_vccz .LBB1306_9
; %bb.4:
	s_load_dwordx2 s[0:1], s[4:5], 0x0
	s_load_dword s9, s[4:5], 0x4c
	s_waitcnt lgkmcnt(0)
	s_bitcmp1_b32 s0, 0
	s_cselect_b64 vcc, -1, 0
	s_lshr_b32 s0, s9, 16
	s_and_b32 s9, s9, 0xffff
	s_mul_i32 s6, s6, s9
	s_mul_i32 s7, s7, s0
	v_add_u32_e32 v0, s6, v0
	v_add_u32_e32 v4, s7, v1
	v_cndmask_b32_e32 v1, v4, v0, vcc
	v_cndmask_b32_e32 v2, v0, v4, vcc
	v_max_u32_e32 v3, v0, v4
	v_cmp_gt_u32_e32 vcc, s1, v3
	v_cmp_le_i32_e64 s[0:1], v1, v2
	s_and_b64 s[0:1], vcc, s[0:1]
	s_and_saveexec_b64 s[6:7], s[0:1]
	s_cbranch_execz .LBB1306_9
; %bb.5:
	s_load_dwordx2 s[0:1], s[4:5], 0x30
	s_load_dwordx4 s[12:15], s[4:5], 0x20
	s_waitcnt lgkmcnt(0)
	s_mul_i32 s1, s1, s8
	v_mad_u64_u32 v[2:3], s[4:5], s14, v4, 0
	s_mul_hi_u32 s4, s0, s8
	s_add_i32 s1, s4, s1
	v_mov_b32_e32 v1, v3
	v_mad_u64_u32 v[5:6], s[4:5], s15, v4, v[1:2]
	s_mul_i32 s0, s0, s8
	s_lshl_b64 s[0:1], s[0:1], 3
	v_mov_b32_e32 v3, v5
	s_add_u32 s0, s12, s0
	v_lshlrev_b64 v[2:3], 3, v[2:3]
	s_addc_u32 s1, s13, s1
	v_mov_b32_e32 v1, 0
	v_mov_b32_e32 v5, s1
	v_add_co_u32_e32 v6, vcc, s0, v2
	v_addc_co_u32_e32 v5, vcc, v5, v3, vcc
	v_lshlrev_b64 v[2:3], 3, v[0:1]
	s_or_b32 s0, s2, s3
	v_add_co_u32_e32 v2, vcc, v6, v2
	s_bitset0_b32 s0, 31
	v_addc_co_u32_e32 v3, vcc, v5, v3, vcc
	s_cmp_eq_u32 s0, 0
	v_mov_b32_e32 v5, v1
	s_cbranch_scc1 .LBB1306_7
; %bb.6:
	global_load_dwordx2 v[6:7], v[2:3], off
	s_waitcnt vmcnt(0)
	v_mul_f32_e32 v1, s3, v7
	v_mul_f32_e32 v5, s2, v7
	v_fma_f32 v1, v6, s2, -v1
	v_fmac_f32_e32 v5, s3, v6
.LBB1306_7:
	v_cmp_ne_u32_e32 vcc, v0, v4
	v_cndmask_b32_e32 v5, 0, v5, vcc
	v_mov_b32_e32 v4, v1
	global_store_dwordx2 v[2:3], v[4:5], off
	s_endpgm
.LBB1306_8:
.LBB1306_9:
	s_endpgm
	.section	.rodata,"a",@progbits
	.p2align	6, 0x0
	.amdhsa_kernel _ZL26rocblas_syr2k_scale_kernelIlLi128ELi8ELb1E19rocblas_complex_numIfES1_PS1_EvbiT_T3_T4_T5_S3_li
		.amdhsa_group_segment_fixed_size 0
		.amdhsa_private_segment_fixed_size 0
		.amdhsa_kernarg_size 320
		.amdhsa_user_sgpr_count 6
		.amdhsa_user_sgpr_private_segment_buffer 1
		.amdhsa_user_sgpr_dispatch_ptr 0
		.amdhsa_user_sgpr_queue_ptr 0
		.amdhsa_user_sgpr_kernarg_segment_ptr 1
		.amdhsa_user_sgpr_dispatch_id 0
		.amdhsa_user_sgpr_flat_scratch_init 0
		.amdhsa_user_sgpr_private_segment_size 0
		.amdhsa_uses_dynamic_stack 0
		.amdhsa_system_sgpr_private_segment_wavefront_offset 0
		.amdhsa_system_sgpr_workgroup_id_x 1
		.amdhsa_system_sgpr_workgroup_id_y 1
		.amdhsa_system_sgpr_workgroup_id_z 1
		.amdhsa_system_sgpr_workgroup_info 0
		.amdhsa_system_vgpr_workitem_id 1
		.amdhsa_next_free_vgpr 8
		.amdhsa_next_free_sgpr 16
		.amdhsa_reserve_vcc 1
		.amdhsa_reserve_flat_scratch 0
		.amdhsa_float_round_mode_32 0
		.amdhsa_float_round_mode_16_64 0
		.amdhsa_float_denorm_mode_32 3
		.amdhsa_float_denorm_mode_16_64 3
		.amdhsa_dx10_clamp 1
		.amdhsa_ieee_mode 1
		.amdhsa_fp16_overflow 0
		.amdhsa_exception_fp_ieee_invalid_op 0
		.amdhsa_exception_fp_denorm_src 0
		.amdhsa_exception_fp_ieee_div_zero 0
		.amdhsa_exception_fp_ieee_overflow 0
		.amdhsa_exception_fp_ieee_underflow 0
		.amdhsa_exception_fp_ieee_inexact 0
		.amdhsa_exception_int_div_zero 0
	.end_amdhsa_kernel
	.section	.text._ZL26rocblas_syr2k_scale_kernelIlLi128ELi8ELb1E19rocblas_complex_numIfES1_PS1_EvbiT_T3_T4_T5_S3_li,"axG",@progbits,_ZL26rocblas_syr2k_scale_kernelIlLi128ELi8ELb1E19rocblas_complex_numIfES1_PS1_EvbiT_T3_T4_T5_S3_li,comdat
.Lfunc_end1306:
	.size	_ZL26rocblas_syr2k_scale_kernelIlLi128ELi8ELb1E19rocblas_complex_numIfES1_PS1_EvbiT_T3_T4_T5_S3_li, .Lfunc_end1306-_ZL26rocblas_syr2k_scale_kernelIlLi128ELi8ELb1E19rocblas_complex_numIfES1_PS1_EvbiT_T3_T4_T5_S3_li
                                        ; -- End function
	.set _ZL26rocblas_syr2k_scale_kernelIlLi128ELi8ELb1E19rocblas_complex_numIfES1_PS1_EvbiT_T3_T4_T5_S3_li.num_vgpr, 8
	.set _ZL26rocblas_syr2k_scale_kernelIlLi128ELi8ELb1E19rocblas_complex_numIfES1_PS1_EvbiT_T3_T4_T5_S3_li.num_agpr, 0
	.set _ZL26rocblas_syr2k_scale_kernelIlLi128ELi8ELb1E19rocblas_complex_numIfES1_PS1_EvbiT_T3_T4_T5_S3_li.numbered_sgpr, 16
	.set _ZL26rocblas_syr2k_scale_kernelIlLi128ELi8ELb1E19rocblas_complex_numIfES1_PS1_EvbiT_T3_T4_T5_S3_li.num_named_barrier, 0
	.set _ZL26rocblas_syr2k_scale_kernelIlLi128ELi8ELb1E19rocblas_complex_numIfES1_PS1_EvbiT_T3_T4_T5_S3_li.private_seg_size, 0
	.set _ZL26rocblas_syr2k_scale_kernelIlLi128ELi8ELb1E19rocblas_complex_numIfES1_PS1_EvbiT_T3_T4_T5_S3_li.uses_vcc, 1
	.set _ZL26rocblas_syr2k_scale_kernelIlLi128ELi8ELb1E19rocblas_complex_numIfES1_PS1_EvbiT_T3_T4_T5_S3_li.uses_flat_scratch, 0
	.set _ZL26rocblas_syr2k_scale_kernelIlLi128ELi8ELb1E19rocblas_complex_numIfES1_PS1_EvbiT_T3_T4_T5_S3_li.has_dyn_sized_stack, 0
	.set _ZL26rocblas_syr2k_scale_kernelIlLi128ELi8ELb1E19rocblas_complex_numIfES1_PS1_EvbiT_T3_T4_T5_S3_li.has_recursion, 0
	.set _ZL26rocblas_syr2k_scale_kernelIlLi128ELi8ELb1E19rocblas_complex_numIfES1_PS1_EvbiT_T3_T4_T5_S3_li.has_indirect_call, 0
	.section	.AMDGPU.csdata,"",@progbits
; Kernel info:
; codeLenInByte = 376
; TotalNumSgprs: 20
; NumVgprs: 8
; ScratchSize: 0
; MemoryBound: 0
; FloatMode: 240
; IeeeMode: 1
; LDSByteSize: 0 bytes/workgroup (compile time only)
; SGPRBlocks: 2
; VGPRBlocks: 1
; NumSGPRsForWavesPerEU: 20
; NumVGPRsForWavesPerEU: 8
; Occupancy: 10
; WaveLimiterHint : 0
; COMPUTE_PGM_RSRC2:SCRATCH_EN: 0
; COMPUTE_PGM_RSRC2:USER_SGPR: 6
; COMPUTE_PGM_RSRC2:TRAP_HANDLER: 0
; COMPUTE_PGM_RSRC2:TGID_X_EN: 1
; COMPUTE_PGM_RSRC2:TGID_Y_EN: 1
; COMPUTE_PGM_RSRC2:TGID_Z_EN: 1
; COMPUTE_PGM_RSRC2:TIDIG_COMP_CNT: 1
	.section	.text._ZL26rocblas_syr2k_her2k_kernelIlLb0ELb1ELb0ELi32EPK19rocblas_complex_numIfES3_PS1_EvbiT_T4_T5_S5_lS7_S5_lT6_S5_li,"axG",@progbits,_ZL26rocblas_syr2k_her2k_kernelIlLb0ELb1ELb0ELi32EPK19rocblas_complex_numIfES3_PS1_EvbiT_T4_T5_S5_lS7_S5_lT6_S5_li,comdat
	.globl	_ZL26rocblas_syr2k_her2k_kernelIlLb0ELb1ELb0ELi32EPK19rocblas_complex_numIfES3_PS1_EvbiT_T4_T5_S5_lS7_S5_lT6_S5_li ; -- Begin function _ZL26rocblas_syr2k_her2k_kernelIlLb0ELb1ELb0ELi32EPK19rocblas_complex_numIfES3_PS1_EvbiT_T4_T5_S5_lS7_S5_lT6_S5_li
	.p2align	8
	.type	_ZL26rocblas_syr2k_her2k_kernelIlLb0ELb1ELb0ELi32EPK19rocblas_complex_numIfES3_PS1_EvbiT_T4_T5_S5_lS7_S5_lT6_S5_li,@function
_ZL26rocblas_syr2k_her2k_kernelIlLb0ELb1ELb0ELi32EPK19rocblas_complex_numIfES3_PS1_EvbiT_T4_T5_S5_lS7_S5_lT6_S5_li: ; @_ZL26rocblas_syr2k_her2k_kernelIlLb0ELb1ELb0ELi32EPK19rocblas_complex_numIfES3_PS1_EvbiT_T4_T5_S5_lS7_S5_lT6_S5_li
; %bb.0:
	s_load_dwordx16 s[12:27], s[4:5], 0x8
	s_waitcnt lgkmcnt(0)
	s_load_dwordx2 s[10:11], s[14:15], 0x0
	s_waitcnt lgkmcnt(0)
	v_cmp_eq_f32_e64 s[0:1], s10, 0
	v_cmp_eq_f32_e64 s[2:3], s11, 0
	s_and_b64 s[0:1], s[0:1], s[2:3]
	s_and_b64 vcc, exec, s[0:1]
	s_cbranch_vccnz .LBB1307_13
; %bb.1:
	s_load_dwordx2 s[14:15], s[4:5], 0x0
	s_lshl_b32 s2, s7, 5
	s_lshl_b32 s3, s6, 5
	s_waitcnt lgkmcnt(0)
	s_and_b32 s0, 1, s14
	s_cmp_eq_u32 s0, 1
	s_cselect_b64 s[0:1], -1, 0
	s_and_b64 s[6:7], s[0:1], exec
	s_cselect_b32 s6, s3, s2
	s_cselect_b32 s7, s2, s3
	s_cmp_gt_i32 s6, s7
	s_cbranch_scc1 .LBB1307_13
; %bb.2:
	s_load_dwordx2 s[6:7], s[4:5], 0x58
	s_load_dwordx4 s[28:31], s[4:5], 0x48
	v_add_u32_e32 v14, s3, v0
	v_add_u32_e32 v18, s2, v1
	v_ashrrev_i32_e32 v17, 31, v14
	s_waitcnt lgkmcnt(0)
	s_mul_i32 s3, s7, s8
	s_mul_hi_u32 s5, s6, s8
	s_mul_i32 s4, s6, s8
	s_add_i32 s5, s5, s3
	s_lshl_b64 s[4:5], s[4:5], 3
	s_add_u32 s14, s28, s4
	s_addc_u32 s28, s29, s5
	v_cmp_lt_i64_e64 s[4:5], s[12:13], 1
	s_and_b64 vcc, exec, s[4:5]
	s_cbranch_vccnz .LBB1307_11
; %bb.3:
	v_lshlrev_b32_e32 v24, 8, v0
	v_lshlrev_b32_e32 v2, 3, v1
	v_add_u32_e32 v25, v24, v2
	v_or_b32_e32 v26, 0x2000, v2
	v_ashrrev_i32_e32 v2, 31, v18
	v_mul_lo_u32 v7, s31, v18
	v_mul_lo_u32 v8, s30, v2
	v_mad_u64_u32 v[2:3], s[4:5], s30, v18, 0
	v_cndmask_b32_e64 v4, v14, v18, s[0:1]
	v_cndmask_b32_e64 v5, v18, v14, s[0:1]
	v_add3_u32 v3, v3, v8, v7
	v_max_i32_e32 v6, v14, v18
	v_lshlrev_b64 v[2:3], 3, v[2:3]
	v_cmp_gt_i32_e32 vcc, s15, v6
	v_cmp_le_i32_e64 s[4:5], v5, v4
	s_and_b64 s[6:7], s[4:5], vcc
	v_mov_b32_e32 v4, s28
	v_add_co_u32_e32 v6, vcc, s14, v2
	v_addc_co_u32_e32 v7, vcc, v4, v3, vcc
	v_mad_u64_u32 v[4:5], s[4:5], s24, v0, 0
	v_mov_b32_e32 v16, v14
	v_lshlrev_b64 v[2:3], 3, v[16:17]
	s_mul_i32 s9, s27, s8
	v_add_co_u32_e32 v20, vcc, v6, v2
	v_mov_b32_e32 v2, v5
	v_addc_co_u32_e32 v21, vcc, v7, v3, vcc
	v_mad_u64_u32 v[2:3], s[4:5], s25, v0, v[2:3]
	s_mul_hi_u32 s27, s26, s8
	s_add_i32 s5, s27, s9
	v_mov_b32_e32 v5, v2
	s_mul_i32 s4, s26, s8
	v_lshlrev_b64 v[2:3], 3, v[4:5]
	v_mov_b32_e32 v15, 0
	s_lshl_b64 s[4:5], s[4:5], 3
	v_mov_b32_e32 v19, v15
	v_mov_b32_e32 v4, s5
	v_add_co_u32_e32 v5, vcc, s4, v2
	v_addc_co_u32_e32 v4, vcc, v4, v3, vcc
	v_lshlrev_b64 v[2:3], 3, v[18:19]
	s_mul_i32 s9, s21, s8
	v_add_co_u32_e32 v2, vcc, v5, v2
	v_addc_co_u32_e32 v3, vcc, v4, v3, vcc
	v_mov_b32_e32 v4, s23
	v_add_co_u32_e32 v2, vcc, s22, v2
	v_addc_co_u32_e32 v3, vcc, v4, v3, vcc
	v_add_co_u32_e32 v22, vcc, 4, v2
	v_addc_co_u32_e32 v23, vcc, 0, v3, vcc
	v_mad_u64_u32 v[2:3], s[4:5], s18, v1, 0
	s_mul_hi_u32 s21, s20, s8
	s_ashr_i32 s3, s15, 31
	v_mad_u64_u32 v[3:4], s[4:5], s19, v1, v[3:4]
	s_add_i32 s5, s21, s9
	s_mul_i32 s4, s20, s8
	v_lshlrev_b64 v[2:3], 3, v[2:3]
	s_lshl_b64 s[4:5], s[4:5], 3
	v_mov_b32_e32 v4, s5
	v_add_co_u32_e32 v5, vcc, s4, v2
	v_addc_co_u32_e32 v4, vcc, v4, v3, vcc
	v_lshlrev_b64 v[2:3], 3, v[14:15]
	s_mov_b32 s2, s15
	v_add_co_u32_e32 v2, vcc, v5, v2
	v_addc_co_u32_e32 v3, vcc, v4, v3, vcc
	v_mov_b32_e32 v4, s17
	v_add_co_u32_e32 v2, vcc, s16, v2
	v_addc_co_u32_e32 v3, vcc, v4, v3, vcc
	v_cmp_gt_i64_e64 s[0:1], s[2:3], v[14:15]
	v_cmp_gt_i64_e64 s[2:3], s[2:3], v[18:19]
	v_add_co_u32_e32 v15, vcc, 4, v2
	v_add_u32_e32 v27, v26, v24
	s_lshl_b64 s[22:23], s[24:25], 8
	v_addc_co_u32_e32 v16, vcc, 0, v3, vcc
	s_lshl_b64 s[8:9], s[18:19], 8
	s_mov_b64 s[16:17], 0
	s_branch .LBB1307_5
.LBB1307_4:                             ;   in Loop: Header=BB1307_5 Depth=1
	s_or_b64 exec, exec, s[4:5]
	v_mov_b32_e32 v2, s23
	v_add_co_u32_e32 v22, vcc, s22, v22
	s_add_u32 s16, s16, 32
	v_addc_co_u32_e32 v23, vcc, v23, v2, vcc
	v_mov_b32_e32 v2, s12
	s_addc_u32 s17, s17, 0
	v_mov_b32_e32 v3, s13
	v_cmp_ge_i64_e32 vcc, s[16:17], v[2:3]
	v_mov_b32_e32 v4, s9
	v_add_co_u32_e64 v15, s[4:5], s8, v15
	v_addc_co_u32_e64 v16, s[4:5], v16, v4, s[4:5]
	s_waitcnt vmcnt(0)
	s_barrier
	s_cbranch_vccnz .LBB1307_11
.LBB1307_5:                             ; =>This Inner Loop Header: Depth=1
	v_mov_b32_e32 v3, s17
	v_add_co_u32_e32 v2, vcc, s16, v1
	v_addc_co_u32_e32 v3, vcc, 0, v3, vcc
	v_cmp_gt_i64_e32 vcc, s[12:13], v[2:3]
	v_mov_b32_e32 v2, 0
	s_and_b64 s[18:19], s[0:1], vcc
	v_mov_b32_e32 v3, 0
	s_and_saveexec_b64 s[4:5], s[18:19]
	s_cbranch_execz .LBB1307_7
; %bb.6:                                ;   in Loop: Header=BB1307_5 Depth=1
	global_load_dwordx2 v[2:3], v[15:16], off offset:-4
.LBB1307_7:                             ;   in Loop: Header=BB1307_5 Depth=1
	s_or_b64 exec, exec, s[4:5]
	v_mov_b32_e32 v5, s17
	v_add_co_u32_e32 v4, vcc, s16, v0
	v_addc_co_u32_e32 v5, vcc, 0, v5, vcc
	v_cmp_gt_i64_e32 vcc, s[12:13], v[4:5]
	s_waitcnt vmcnt(0)
	ds_write_b64 v25, v[2:3]
	s_and_b64 s[18:19], s[2:3], vcc
	v_mov_b32_e32 v3, 0
	v_mov_b32_e32 v2, 0
	s_and_saveexec_b64 s[4:5], s[18:19]
	s_cbranch_execz .LBB1307_9
; %bb.8:                                ;   in Loop: Header=BB1307_5 Depth=1
	global_load_dwordx2 v[2:3], v[22:23], off offset:-4
	s_waitcnt vmcnt(0)
	v_xor_b32_e32 v3, 0x80000000, v3
.LBB1307_9:                             ;   in Loop: Header=BB1307_5 Depth=1
	s_or_b64 exec, exec, s[4:5]
	ds_write_b64 v27, v[2:3]
	s_waitcnt lgkmcnt(0)
	s_barrier
	s_and_saveexec_b64 s[4:5], s[6:7]
	s_cbranch_execz .LBB1307_4
; %bb.10:                               ;   in Loop: Header=BB1307_5 Depth=1
	ds_read2_b64 v[2:5], v26 offset1:32
	ds_read_b128 v[6:9], v24
	ds_read_b128 v[10:13], v24 offset:16
	ds_read2_b64 v[28:31], v26 offset0:64 offset1:96
	s_waitcnt lgkmcnt(2)
	v_mul_f32_e32 v19, v3, v7
	v_mul_f32_e32 v32, v2, v7
	v_fma_f32 v19, v2, v6, -v19
	v_mul_f32_e32 v2, v5, v9
	v_fma_f32 v33, v4, v8, -v2
	s_waitcnt lgkmcnt(0)
	v_mul_f32_e32 v2, v29, v11
	v_fmac_f32_e32 v32, v3, v6
	v_mul_f32_e32 v34, v4, v9
	v_fma_f32 v35, v28, v10, -v2
	v_mul_f32_e32 v28, v28, v11
	v_mul_f32_e32 v2, v31, v13
	v_fmac_f32_e32 v34, v5, v8
	v_fmac_f32_e32 v28, v29, v10
	v_fma_f32 v29, v30, v12, -v2
	v_mul_f32_e32 v30, v30, v13
	v_add_f32_e32 v10, 0, v19
	v_add_f32_e32 v11, 0, v32
	v_fmac_f32_e32 v30, v31, v12
	ds_read_b128 v[2:5], v24 offset:32
	ds_read_b128 v[6:9], v24 offset:48
	v_add_f32_e32 v19, v10, v33
	v_add_f32_e32 v31, v11, v34
	ds_read2_b64 v[10:13], v26 offset0:128 offset1:160
	v_add_f32_e32 v19, v19, v35
	v_add_f32_e32 v28, v31, v28
	v_add_f32_e32 v19, v19, v29
	v_add_f32_e32 v28, v28, v30
	s_waitcnt lgkmcnt(0)
	v_mul_f32_e32 v29, v11, v3
	v_mul_f32_e32 v3, v10, v3
	v_fma_f32 v29, v10, v2, -v29
	v_fmac_f32_e32 v3, v11, v2
	v_add_f32_e32 v2, v19, v29
	v_add_f32_e32 v3, v28, v3
	ds_read2_b64 v[28:31], v26 offset0:192 offset1:224
	v_mul_f32_e32 v10, v13, v5
	v_mul_f32_e32 v5, v12, v5
	v_fma_f32 v10, v12, v4, -v10
	v_fmac_f32_e32 v5, v13, v4
	s_waitcnt lgkmcnt(0)
	v_mul_f32_e32 v4, v29, v7
	v_add_f32_e32 v2, v2, v10
	v_add_f32_e32 v3, v3, v5
	v_fma_f32 v4, v28, v6, -v4
	v_mul_f32_e32 v5, v28, v7
	v_fmac_f32_e32 v5, v29, v6
	v_add_f32_e32 v6, v2, v4
	v_mul_f32_e32 v2, v31, v9
	v_add_u32_e32 v32, 0x800, v26
	v_add_f32_e32 v7, v3, v5
	v_fma_f32 v13, v30, v8, -v2
	v_mul_f32_e32 v19, v30, v9
	ds_read_b128 v[2:5], v24 offset:64
	ds_read2_b64 v[9:12], v32 offset1:32
	v_fmac_f32_e32 v19, v31, v8
	ds_read_b128 v[28:31], v24 offset:80
	v_add_f32_e32 v6, v6, v13
	v_add_f32_e32 v7, v7, v19
	s_waitcnt lgkmcnt(1)
	v_mul_f32_e32 v8, v10, v3
	v_fma_f32 v8, v9, v2, -v8
	v_mul_f32_e32 v3, v9, v3
	v_fmac_f32_e32 v3, v10, v2
	v_add_f32_e32 v2, v6, v8
	v_mul_f32_e32 v6, v12, v5
	v_add_f32_e32 v3, v7, v3
	v_fma_f32 v10, v11, v4, -v6
	ds_read2_b64 v[6:9], v32 offset0:64 offset1:96
	v_mul_f32_e32 v5, v11, v5
	v_fmac_f32_e32 v5, v12, v4
	v_add_f32_e32 v2, v2, v10
	v_add_f32_e32 v3, v3, v5
	s_waitcnt lgkmcnt(0)
	v_mul_f32_e32 v4, v7, v29
	v_fma_f32 v4, v6, v28, -v4
	v_mul_f32_e32 v5, v6, v29
	v_fmac_f32_e32 v5, v7, v28
	v_add_f32_e32 v6, v2, v4
	v_mul_f32_e32 v2, v9, v31
	v_add_f32_e32 v7, v3, v5
	v_fma_f32 v19, v8, v30, -v2
	ds_read_b128 v[2:5], v24 offset:96
	ds_read2_b64 v[10:13], v32 offset0:128 offset1:160
	v_mul_f32_e32 v8, v8, v31
	v_fmac_f32_e32 v8, v9, v30
	v_add_f32_e32 v19, v6, v19
	v_add_f32_e32 v28, v7, v8
	s_waitcnt lgkmcnt(0)
	v_mul_f32_e32 v29, v11, v3
	v_mul_f32_e32 v3, v10, v3
	v_fma_f32 v29, v10, v2, -v29
	v_fmac_f32_e32 v3, v11, v2
	ds_read_b128 v[6:9], v24 offset:112
	v_add_f32_e32 v2, v19, v29
	v_add_f32_e32 v3, v28, v3
	ds_read2_b64 v[28:31], v32 offset0:192 offset1:224
	v_mul_f32_e32 v10, v13, v5
	v_mul_f32_e32 v5, v12, v5
	v_fma_f32 v10, v12, v4, -v10
	v_fmac_f32_e32 v5, v13, v4
	s_waitcnt lgkmcnt(0)
	v_mul_f32_e32 v4, v29, v7
	v_add_f32_e32 v2, v2, v10
	v_add_f32_e32 v3, v3, v5
	v_fma_f32 v4, v28, v6, -v4
	v_mul_f32_e32 v5, v28, v7
	v_fmac_f32_e32 v5, v29, v6
	v_add_f32_e32 v6, v2, v4
	v_mul_f32_e32 v2, v31, v9
	v_add_u32_e32 v19, 0x1000, v26
	v_add_f32_e32 v7, v3, v5
	v_fma_f32 v13, v30, v8, -v2
	v_mul_f32_e32 v28, v30, v9
	ds_read_b128 v[2:5], v24 offset:128
	ds_read2_b64 v[9:12], v19 offset1:32
	v_fmac_f32_e32 v28, v31, v8
	v_add_f32_e32 v7, v7, v28
	ds_read_b128 v[28:31], v24 offset:144
	v_add_f32_e32 v6, v6, v13
	s_waitcnt lgkmcnt(1)
	v_mul_f32_e32 v8, v10, v3
	v_mul_f32_e32 v3, v9, v3
	v_fma_f32 v8, v9, v2, -v8
	v_fmac_f32_e32 v3, v10, v2
	v_add_f32_e32 v2, v6, v8
	v_add_f32_e32 v3, v7, v3
	ds_read2_b64 v[7:10], v19 offset0:64 offset1:96
	v_mul_f32_e32 v6, v12, v5
	v_mul_f32_e32 v5, v11, v5
	v_fma_f32 v6, v11, v4, -v6
	v_fmac_f32_e32 v5, v12, v4
	s_waitcnt lgkmcnt(0)
	v_mul_f32_e32 v4, v8, v29
	v_add_f32_e32 v2, v2, v6
	v_add_f32_e32 v3, v3, v5
	v_fma_f32 v4, v7, v28, -v4
	v_mul_f32_e32 v5, v7, v29
	v_fmac_f32_e32 v5, v8, v28
	v_add_f32_e32 v11, v2, v4
	v_mul_f32_e32 v2, v10, v31
	v_add_f32_e32 v12, v3, v5
	v_fma_f32 v13, v9, v30, -v2
	v_mul_f32_e32 v28, v9, v31
	ds_read_b128 v[2:5], v24 offset:160
	ds_read2_b64 v[6:9], v19 offset0:128 offset1:160
	v_fmac_f32_e32 v28, v10, v30
	v_add_f32_e32 v31, v12, v28
	v_add_f32_e32 v30, v11, v13
	ds_read_b128 v[10:13], v24 offset:176
	s_waitcnt lgkmcnt(1)
	v_mul_f32_e32 v28, v7, v3
	v_fma_f32 v32, v6, v2, -v28
	global_load_dwordx2 v[28:29], v[20:21], off
	v_mul_f32_e32 v6, v6, v3
	v_fmac_f32_e32 v6, v7, v2
	v_mul_f32_e32 v2, v9, v5
	v_fma_f32 v7, v8, v4, -v2
	v_mul_f32_e32 v8, v8, v5
	v_fmac_f32_e32 v8, v9, v4
	ds_read2_b64 v[2:5], v19 offset0:192 offset1:224
	v_add_f32_e32 v6, v31, v6
	v_add_f32_e32 v9, v30, v32
	v_add_f32_e32 v19, v6, v8
	v_add_f32_e32 v7, v9, v7
	s_waitcnt lgkmcnt(0)
	v_mul_f32_e32 v6, v3, v11
	v_fma_f32 v6, v2, v10, -v6
	v_mul_f32_e32 v11, v2, v11
	v_mul_f32_e32 v2, v5, v13
	v_mul_f32_e32 v13, v4, v13
	v_add_u32_e32 v31, 0x1800, v26
	v_fmac_f32_e32 v11, v3, v10
	v_add_f32_e32 v10, v7, v6
	v_fma_f32 v30, v4, v12, -v2
	ds_read_b128 v[6:9], v24 offset:192
	v_fmac_f32_e32 v13, v5, v12
	ds_read2_b64 v[2:5], v31 offset1:32
	v_add_f32_e32 v11, v19, v11
	v_add_f32_e32 v19, v10, v30
	;; [unrolled: 1-line block ×3, first 2 shown]
	ds_read_b128 v[10:13], v24 offset:208
	s_waitcnt lgkmcnt(1)
	v_mul_f32_e32 v32, v3, v7
	v_fma_f32 v32, v2, v6, -v32
	v_mul_f32_e32 v7, v2, v7
	v_mul_f32_e32 v2, v5, v9
	;; [unrolled: 1-line block ×3, first 2 shown]
	v_fmac_f32_e32 v7, v3, v6
	v_fma_f32 v6, v4, v8, -v2
	v_fmac_f32_e32 v9, v5, v8
	ds_read2_b64 v[2:5], v31 offset0:64 offset1:96
	v_add_f32_e32 v7, v30, v7
	v_add_f32_e32 v8, v19, v32
	v_add_f32_e32 v19, v7, v9
	v_add_f32_e32 v6, v8, v6
	s_waitcnt lgkmcnt(0)
	v_mul_f32_e32 v7, v3, v11
	v_fma_f32 v7, v2, v10, -v7
	v_mul_f32_e32 v11, v2, v11
	v_mul_f32_e32 v2, v5, v13
	;; [unrolled: 1-line block ×3, first 2 shown]
	v_fmac_f32_e32 v11, v3, v10
	v_add_f32_e32 v10, v6, v7
	v_fma_f32 v30, v4, v12, -v2
	ds_read_b128 v[6:9], v24 offset:224
	v_fmac_f32_e32 v13, v5, v12
	ds_read2_b64 v[2:5], v31 offset0:128 offset1:160
	v_add_f32_e32 v11, v19, v11
	v_add_f32_e32 v19, v10, v30
	;; [unrolled: 1-line block ×3, first 2 shown]
	ds_read_b128 v[10:13], v24 offset:240
	s_waitcnt lgkmcnt(1)
	v_mul_f32_e32 v32, v3, v7
	v_fma_f32 v32, v2, v6, -v32
	v_mul_f32_e32 v7, v2, v7
	v_mul_f32_e32 v2, v5, v9
	;; [unrolled: 1-line block ×3, first 2 shown]
	v_fmac_f32_e32 v7, v3, v6
	v_fma_f32 v6, v4, v8, -v2
	v_fmac_f32_e32 v9, v5, v8
	ds_read2_b64 v[2:5], v31 offset0:192 offset1:224
	v_add_f32_e32 v8, v19, v32
	v_add_f32_e32 v6, v8, v6
	;; [unrolled: 1-line block ×4, first 2 shown]
	s_waitcnt lgkmcnt(0)
	v_mul_f32_e32 v8, v3, v11
	v_fma_f32 v8, v2, v10, -v8
	v_mul_f32_e32 v2, v2, v11
	v_fmac_f32_e32 v2, v3, v10
	v_add_f32_e32 v3, v6, v8
	v_mul_f32_e32 v6, v5, v13
	v_fma_f32 v6, v4, v12, -v6
	v_mul_f32_e32 v4, v4, v13
	v_add_f32_e32 v2, v7, v2
	v_fmac_f32_e32 v4, v5, v12
	v_add_f32_e32 v2, v2, v4
	v_add_f32_e32 v3, v3, v6
	v_mul_f32_e32 v4, s11, v2
	v_mul_f32_e32 v5, s10, v2
	v_fma_f32 v4, s10, v3, -v4
	v_fmac_f32_e32 v5, s11, v3
	s_waitcnt vmcnt(0)
	v_add_f32_e32 v2, v28, v4
	v_add_f32_e32 v3, v29, v5
	global_store_dwordx2 v[20:21], v[2:3], off
	s_branch .LBB1307_4
.LBB1307_11:
	v_cmp_eq_u32_e32 vcc, v14, v18
	v_cmp_gt_i32_e64 s[0:1], s15, v14
	s_and_b64 s[0:1], vcc, s[0:1]
	s_and_saveexec_b64 s[2:3], s[0:1]
	s_cbranch_execz .LBB1307_13
; %bb.12:
	v_mul_lo_u32 v2, s31, v14
	v_mul_lo_u32 v3, s30, v17
	v_mad_u64_u32 v[0:1], s[0:1], s30, v14, 0
	v_mov_b32_e32 v15, v17
	v_add3_u32 v1, v1, v3, v2
	v_lshlrev_b64 v[0:1], 3, v[0:1]
	v_mov_b32_e32 v2, s28
	v_add_co_u32_e32 v3, vcc, s14, v0
	v_addc_co_u32_e32 v2, vcc, v2, v1, vcc
	v_lshlrev_b64 v[0:1], 3, v[14:15]
	v_add_co_u32_e32 v0, vcc, v3, v0
	v_addc_co_u32_e32 v1, vcc, v2, v1, vcc
	v_mov_b32_e32 v2, 0
	global_store_dword v[0:1], v2, off offset:4
.LBB1307_13:
	s_endpgm
	.section	.rodata,"a",@progbits
	.p2align	6, 0x0
	.amdhsa_kernel _ZL26rocblas_syr2k_her2k_kernelIlLb0ELb1ELb0ELi32EPK19rocblas_complex_numIfES3_PS1_EvbiT_T4_T5_S5_lS7_S5_lT6_S5_li
		.amdhsa_group_segment_fixed_size 16384
		.amdhsa_private_segment_fixed_size 0
		.amdhsa_kernarg_size 100
		.amdhsa_user_sgpr_count 6
		.amdhsa_user_sgpr_private_segment_buffer 1
		.amdhsa_user_sgpr_dispatch_ptr 0
		.amdhsa_user_sgpr_queue_ptr 0
		.amdhsa_user_sgpr_kernarg_segment_ptr 1
		.amdhsa_user_sgpr_dispatch_id 0
		.amdhsa_user_sgpr_flat_scratch_init 0
		.amdhsa_user_sgpr_private_segment_size 0
		.amdhsa_uses_dynamic_stack 0
		.amdhsa_system_sgpr_private_segment_wavefront_offset 0
		.amdhsa_system_sgpr_workgroup_id_x 1
		.amdhsa_system_sgpr_workgroup_id_y 1
		.amdhsa_system_sgpr_workgroup_id_z 1
		.amdhsa_system_sgpr_workgroup_info 0
		.amdhsa_system_vgpr_workitem_id 1
		.amdhsa_next_free_vgpr 36
		.amdhsa_next_free_sgpr 61
		.amdhsa_reserve_vcc 1
		.amdhsa_reserve_flat_scratch 0
		.amdhsa_float_round_mode_32 0
		.amdhsa_float_round_mode_16_64 0
		.amdhsa_float_denorm_mode_32 3
		.amdhsa_float_denorm_mode_16_64 3
		.amdhsa_dx10_clamp 1
		.amdhsa_ieee_mode 1
		.amdhsa_fp16_overflow 0
		.amdhsa_exception_fp_ieee_invalid_op 0
		.amdhsa_exception_fp_denorm_src 0
		.amdhsa_exception_fp_ieee_div_zero 0
		.amdhsa_exception_fp_ieee_overflow 0
		.amdhsa_exception_fp_ieee_underflow 0
		.amdhsa_exception_fp_ieee_inexact 0
		.amdhsa_exception_int_div_zero 0
	.end_amdhsa_kernel
	.section	.text._ZL26rocblas_syr2k_her2k_kernelIlLb0ELb1ELb0ELi32EPK19rocblas_complex_numIfES3_PS1_EvbiT_T4_T5_S5_lS7_S5_lT6_S5_li,"axG",@progbits,_ZL26rocblas_syr2k_her2k_kernelIlLb0ELb1ELb0ELi32EPK19rocblas_complex_numIfES3_PS1_EvbiT_T4_T5_S5_lS7_S5_lT6_S5_li,comdat
.Lfunc_end1307:
	.size	_ZL26rocblas_syr2k_her2k_kernelIlLb0ELb1ELb0ELi32EPK19rocblas_complex_numIfES3_PS1_EvbiT_T4_T5_S5_lS7_S5_lT6_S5_li, .Lfunc_end1307-_ZL26rocblas_syr2k_her2k_kernelIlLb0ELb1ELb0ELi32EPK19rocblas_complex_numIfES3_PS1_EvbiT_T4_T5_S5_lS7_S5_lT6_S5_li
                                        ; -- End function
	.set _ZL26rocblas_syr2k_her2k_kernelIlLb0ELb1ELb0ELi32EPK19rocblas_complex_numIfES3_PS1_EvbiT_T4_T5_S5_lS7_S5_lT6_S5_li.num_vgpr, 36
	.set _ZL26rocblas_syr2k_her2k_kernelIlLb0ELb1ELb0ELi32EPK19rocblas_complex_numIfES3_PS1_EvbiT_T4_T5_S5_lS7_S5_lT6_S5_li.num_agpr, 0
	.set _ZL26rocblas_syr2k_her2k_kernelIlLb0ELb1ELb0ELi32EPK19rocblas_complex_numIfES3_PS1_EvbiT_T4_T5_S5_lS7_S5_lT6_S5_li.numbered_sgpr, 32
	.set _ZL26rocblas_syr2k_her2k_kernelIlLb0ELb1ELb0ELi32EPK19rocblas_complex_numIfES3_PS1_EvbiT_T4_T5_S5_lS7_S5_lT6_S5_li.num_named_barrier, 0
	.set _ZL26rocblas_syr2k_her2k_kernelIlLb0ELb1ELb0ELi32EPK19rocblas_complex_numIfES3_PS1_EvbiT_T4_T5_S5_lS7_S5_lT6_S5_li.private_seg_size, 0
	.set _ZL26rocblas_syr2k_her2k_kernelIlLb0ELb1ELb0ELi32EPK19rocblas_complex_numIfES3_PS1_EvbiT_T4_T5_S5_lS7_S5_lT6_S5_li.uses_vcc, 1
	.set _ZL26rocblas_syr2k_her2k_kernelIlLb0ELb1ELb0ELi32EPK19rocblas_complex_numIfES3_PS1_EvbiT_T4_T5_S5_lS7_S5_lT6_S5_li.uses_flat_scratch, 0
	.set _ZL26rocblas_syr2k_her2k_kernelIlLb0ELb1ELb0ELi32EPK19rocblas_complex_numIfES3_PS1_EvbiT_T4_T5_S5_lS7_S5_lT6_S5_li.has_dyn_sized_stack, 0
	.set _ZL26rocblas_syr2k_her2k_kernelIlLb0ELb1ELb0ELi32EPK19rocblas_complex_numIfES3_PS1_EvbiT_T4_T5_S5_lS7_S5_lT6_S5_li.has_recursion, 0
	.set _ZL26rocblas_syr2k_her2k_kernelIlLb0ELb1ELb0ELi32EPK19rocblas_complex_numIfES3_PS1_EvbiT_T4_T5_S5_lS7_S5_lT6_S5_li.has_indirect_call, 0
	.section	.AMDGPU.csdata,"",@progbits
; Kernel info:
; codeLenInByte = 2172
; TotalNumSgprs: 36
; NumVgprs: 36
; ScratchSize: 0
; MemoryBound: 0
; FloatMode: 240
; IeeeMode: 1
; LDSByteSize: 16384 bytes/workgroup (compile time only)
; SGPRBlocks: 8
; VGPRBlocks: 8
; NumSGPRsForWavesPerEU: 65
; NumVGPRsForWavesPerEU: 36
; Occupancy: 7
; WaveLimiterHint : 0
; COMPUTE_PGM_RSRC2:SCRATCH_EN: 0
; COMPUTE_PGM_RSRC2:USER_SGPR: 6
; COMPUTE_PGM_RSRC2:TRAP_HANDLER: 0
; COMPUTE_PGM_RSRC2:TGID_X_EN: 1
; COMPUTE_PGM_RSRC2:TGID_Y_EN: 1
; COMPUTE_PGM_RSRC2:TGID_Z_EN: 1
; COMPUTE_PGM_RSRC2:TIDIG_COMP_CNT: 1
	.section	.text._ZL26rocblas_syr2k_her2k_kernelIlLb0ELb1ELb1ELi32EPK19rocblas_complex_numIfES3_PS1_EvbiT_T4_T5_S5_lS7_S5_lT6_S5_li,"axG",@progbits,_ZL26rocblas_syr2k_her2k_kernelIlLb0ELb1ELb1ELi32EPK19rocblas_complex_numIfES3_PS1_EvbiT_T4_T5_S5_lS7_S5_lT6_S5_li,comdat
	.globl	_ZL26rocblas_syr2k_her2k_kernelIlLb0ELb1ELb1ELi32EPK19rocblas_complex_numIfES3_PS1_EvbiT_T4_T5_S5_lS7_S5_lT6_S5_li ; -- Begin function _ZL26rocblas_syr2k_her2k_kernelIlLb0ELb1ELb1ELi32EPK19rocblas_complex_numIfES3_PS1_EvbiT_T4_T5_S5_lS7_S5_lT6_S5_li
	.p2align	8
	.type	_ZL26rocblas_syr2k_her2k_kernelIlLb0ELb1ELb1ELi32EPK19rocblas_complex_numIfES3_PS1_EvbiT_T4_T5_S5_lS7_S5_lT6_S5_li,@function
_ZL26rocblas_syr2k_her2k_kernelIlLb0ELb1ELb1ELi32EPK19rocblas_complex_numIfES3_PS1_EvbiT_T4_T5_S5_lS7_S5_lT6_S5_li: ; @_ZL26rocblas_syr2k_her2k_kernelIlLb0ELb1ELb1ELi32EPK19rocblas_complex_numIfES3_PS1_EvbiT_T4_T5_S5_lS7_S5_lT6_S5_li
; %bb.0:
	s_load_dwordx16 s[12:27], s[4:5], 0x8
	s_waitcnt lgkmcnt(0)
	s_load_dwordx2 s[10:11], s[14:15], 0x0
	s_waitcnt lgkmcnt(0)
	v_cmp_eq_f32_e64 s[0:1], s10, 0
	v_cmp_eq_f32_e64 s[2:3], s11, 0
	s_and_b64 s[0:1], s[0:1], s[2:3]
	s_and_b64 vcc, exec, s[0:1]
	s_cbranch_vccnz .LBB1308_13
; %bb.1:
	s_load_dwordx2 s[14:15], s[4:5], 0x0
	s_lshl_b32 s2, s7, 5
	s_lshl_b32 s3, s6, 5
	s_waitcnt lgkmcnt(0)
	s_and_b32 s0, 1, s14
	s_cmp_eq_u32 s0, 1
	s_cselect_b64 s[0:1], -1, 0
	s_and_b64 s[6:7], s[0:1], exec
	s_cselect_b32 s6, s3, s2
	s_cselect_b32 s7, s2, s3
	s_cmp_gt_i32 s6, s7
	s_cbranch_scc1 .LBB1308_13
; %bb.2:
	s_load_dwordx2 s[6:7], s[4:5], 0x58
	s_load_dwordx4 s[28:31], s[4:5], 0x48
	v_add_u32_e32 v10, s3, v0
	v_add_u32_e32 v12, s2, v1
	v_ashrrev_i32_e32 v19, 31, v10
	s_waitcnt lgkmcnt(0)
	s_mul_i32 s3, s7, s8
	s_mul_hi_u32 s5, s6, s8
	s_mul_i32 s4, s6, s8
	s_add_i32 s5, s5, s3
	s_lshl_b64 s[4:5], s[4:5], 3
	s_add_u32 s14, s28, s4
	s_addc_u32 s28, s29, s5
	v_cmp_lt_i64_e64 s[4:5], s[12:13], 1
	s_and_b64 vcc, exec, s[4:5]
	s_cbranch_vccnz .LBB1308_11
; %bb.3:
	v_ashrrev_i32_e32 v2, 31, v12
	v_mul_lo_u32 v8, s31, v12
	v_mul_lo_u32 v9, s30, v2
	v_mad_u64_u32 v[2:3], s[4:5], s30, v12, 0
	v_cndmask_b32_e64 v4, v10, v12, s[0:1]
	v_cndmask_b32_e64 v5, v12, v10, s[0:1]
	v_add3_u32 v3, v3, v9, v8
	v_max_i32_e32 v7, v10, v12
	v_lshlrev_b64 v[2:3], 3, v[2:3]
	v_cmp_gt_i32_e32 vcc, s15, v7
	v_cmp_le_i32_e64 s[4:5], v5, v4
	s_and_b64 s[6:7], s[4:5], vcc
	v_mov_b32_e32 v4, s28
	v_add_co_u32_e32 v7, vcc, s14, v2
	s_ashr_i32 s3, s15, 31
	s_mov_b32 s2, s15
	v_mov_b32_e32 v11, 0
	v_addc_co_u32_e32 v8, vcc, v4, v3, vcc
	v_mad_u64_u32 v[4:5], s[4:5], s24, v12, 0
	v_cmp_gt_i64_e64 s[0:1], s[2:3], v[10:11]
	v_mov_b32_e32 v13, v11
	v_mov_b32_e32 v11, v19
	v_lshlrev_b64 v[2:3], 3, v[10:11]
	v_cmp_gt_i64_e64 s[2:3], s[2:3], v[12:13]
	v_add_co_u32_e32 v13, vcc, v7, v2
	v_mov_b32_e32 v2, v5
	v_addc_co_u32_e32 v14, vcc, v8, v3, vcc
	v_mad_u64_u32 v[2:3], s[4:5], s25, v12, v[2:3]
	s_mul_i32 s9, s27, s8
	s_mul_hi_u32 s24, s26, s8
	v_mov_b32_e32 v5, v2
	s_add_i32 s5, s24, s9
	s_mul_i32 s4, s26, s8
	v_lshlrev_b64 v[2:3], 3, v[4:5]
	s_lshl_b64 s[4:5], s[4:5], 3
	v_mov_b32_e32 v4, s5
	v_add_co_u32_e32 v2, vcc, s4, v2
	v_addc_co_u32_e32 v3, vcc, v4, v3, vcc
	v_lshlrev_b32_e32 v4, 3, v0
	v_add_co_u32_e32 v2, vcc, v2, v4
	v_addc_co_u32_e32 v3, vcc, 0, v3, vcc
	v_mov_b32_e32 v4, s23
	v_add_co_u32_e32 v5, vcc, s22, v2
	v_addc_co_u32_e32 v4, vcc, v4, v3, vcc
	v_mad_u64_u32 v[2:3], s[4:5], s18, v10, 0
	v_add_co_u32_e32 v15, vcc, 4, v5
	v_addc_co_u32_e32 v16, vcc, 0, v4, vcc
	v_mad_u64_u32 v[3:4], s[4:5], s19, v10, v[3:4]
	s_mul_i32 s9, s21, s8
	s_mul_hi_u32 s18, s20, s8
	s_add_i32 s5, s18, s9
	s_mul_i32 s4, s20, s8
	v_lshlrev_b64 v[2:3], 3, v[2:3]
	s_lshl_b64 s[4:5], s[4:5], 3
	v_mov_b32_e32 v4, s5
	v_add_co_u32_e32 v2, vcc, s4, v2
	v_lshlrev_b32_e32 v6, 3, v1
	v_addc_co_u32_e32 v3, vcc, v4, v3, vcc
	v_add_co_u32_e32 v2, vcc, v2, v6
	v_addc_co_u32_e32 v3, vcc, 0, v3, vcc
	v_mov_b32_e32 v4, s17
	v_add_co_u32_e32 v2, vcc, s16, v2
	v_addc_co_u32_e32 v3, vcc, v4, v3, vcc
	v_lshlrev_b32_e32 v20, 8, v0
	v_or_b32_e32 v22, 0x2000, v6
	v_add_co_u32_e32 v17, vcc, 4, v2
	v_add_u32_e32 v21, v20, v6
	v_addc_co_u32_e32 v18, vcc, 0, v3, vcc
	s_mov_b64 s[8:9], 0
	v_add_u32_e32 v11, 0x800, v22
	v_add_u32_e32 v23, 0x1000, v22
	;; [unrolled: 1-line block ×3, first 2 shown]
	s_branch .LBB1308_5
.LBB1308_4:                             ;   in Loop: Header=BB1308_5 Depth=1
	s_or_b64 exec, exec, s[4:5]
	s_add_u32 s8, s8, 32
	v_add_co_u32_e32 v15, vcc, 0x100, v15
	v_mov_b32_e32 v2, s12
	s_addc_u32 s9, s9, 0
	v_addc_co_u32_e32 v16, vcc, 0, v16, vcc
	v_mov_b32_e32 v3, s13
	v_add_co_u32_e32 v17, vcc, 0x100, v17
	v_cmp_ge_i64_e64 s[4:5], s[8:9], v[2:3]
	v_addc_co_u32_e32 v18, vcc, 0, v18, vcc
	s_and_b64 vcc, exec, s[4:5]
	s_waitcnt vmcnt(0)
	s_barrier
	s_cbranch_vccnz .LBB1308_11
.LBB1308_5:                             ; =>This Inner Loop Header: Depth=1
	v_mov_b32_e32 v3, s9
	v_add_co_u32_e32 v2, vcc, s8, v1
	v_addc_co_u32_e32 v3, vcc, 0, v3, vcc
	v_cmp_gt_i64_e32 vcc, s[12:13], v[2:3]
	v_mov_b32_e32 v2, 0
	s_and_b64 s[16:17], s[0:1], vcc
	v_mov_b32_e32 v3, 0
	v_mov_b32_e32 v4, 0
	s_and_saveexec_b64 s[4:5], s[16:17]
	s_cbranch_execz .LBB1308_7
; %bb.6:                                ;   in Loop: Header=BB1308_5 Depth=1
	global_load_dwordx2 v[3:4], v[17:18], off offset:-4
	s_waitcnt vmcnt(0)
	v_xor_b32_e32 v4, 0x80000000, v4
.LBB1308_7:                             ;   in Loop: Header=BB1308_5 Depth=1
	s_or_b64 exec, exec, s[4:5]
	v_mov_b32_e32 v6, s9
	v_add_co_u32_e32 v5, vcc, s8, v0
	v_addc_co_u32_e32 v6, vcc, 0, v6, vcc
	v_cmp_gt_i64_e32 vcc, s[12:13], v[5:6]
	ds_write_b64 v21, v[3:4]
	s_and_b64 s[16:17], s[2:3], vcc
	v_mov_b32_e32 v3, 0
	s_and_saveexec_b64 s[4:5], s[16:17]
	s_cbranch_execz .LBB1308_9
; %bb.8:                                ;   in Loop: Header=BB1308_5 Depth=1
	global_load_dwordx2 v[2:3], v[15:16], off offset:-4
.LBB1308_9:                             ;   in Loop: Header=BB1308_5 Depth=1
	s_or_b64 exec, exec, s[4:5]
	v_add_u32_e32 v4, v22, v20
	s_waitcnt vmcnt(0)
	ds_write_b64 v4, v[2:3]
	s_waitcnt lgkmcnt(0)
	s_barrier
	s_and_saveexec_b64 s[4:5], s[6:7]
	s_cbranch_execz .LBB1308_4
; %bb.10:                               ;   in Loop: Header=BB1308_5 Depth=1
	ds_read2_b64 v[2:5], v22 offset1:32
	ds_read_b128 v[6:9], v20
	ds_read_b128 v[25:28], v20 offset:16
	s_waitcnt lgkmcnt(1)
	v_mul_f32_e32 v29, v3, v7
	v_fma_f32 v34, v2, v6, -v29
	ds_read2_b64 v[29:32], v22 offset0:64 offset1:96
	v_mul_f32_e32 v33, v2, v7
	v_mul_f32_e32 v2, v5, v9
	v_fma_f32 v35, v4, v8, -v2
	v_fmac_f32_e32 v33, v3, v6
	s_waitcnt lgkmcnt(0)
	v_mul_f32_e32 v2, v30, v26
	v_mul_f32_e32 v36, v4, v9
	v_fma_f32 v37, v29, v25, -v2
	v_mul_f32_e32 v29, v29, v26
	v_mul_f32_e32 v2, v32, v28
	v_fmac_f32_e32 v36, v5, v8
	v_fmac_f32_e32 v29, v30, v25
	v_fma_f32 v30, v31, v27, -v2
	v_mul_f32_e32 v31, v31, v28
	v_add_f32_e32 v25, 0, v34
	v_add_f32_e32 v26, 0, v33
	v_fmac_f32_e32 v31, v32, v27
	ds_read_b128 v[2:5], v20 offset:32
	ds_read_b128 v[6:9], v20 offset:48
	v_add_f32_e32 v32, v25, v35
	v_add_f32_e32 v33, v26, v36
	ds_read2_b64 v[25:28], v22 offset0:128 offset1:160
	v_add_f32_e32 v29, v33, v29
	v_add_f32_e32 v29, v29, v31
	;; [unrolled: 1-line block ×4, first 2 shown]
	s_waitcnt lgkmcnt(0)
	v_mul_f32_e32 v31, v26, v3
	v_fma_f32 v31, v25, v2, -v31
	v_mul_f32_e32 v25, v25, v3
	v_fmac_f32_e32 v25, v26, v2
	v_mul_f32_e32 v2, v28, v5
	v_fma_f32 v26, v27, v4, -v2
	v_mul_f32_e32 v27, v27, v5
	v_fmac_f32_e32 v27, v28, v4
	ds_read2_b64 v[2:5], v22 offset0:192 offset1:224
	v_add_f32_e32 v25, v29, v25
	v_add_f32_e32 v28, v30, v31
	;; [unrolled: 1-line block ×4, first 2 shown]
	s_waitcnt lgkmcnt(0)
	v_mul_f32_e32 v25, v3, v7
	v_fma_f32 v25, v2, v6, -v25
	v_mul_f32_e32 v7, v2, v7
	v_mul_f32_e32 v2, v5, v9
	v_mul_f32_e32 v9, v4, v9
	v_fmac_f32_e32 v7, v3, v6
	v_add_f32_e32 v6, v26, v25
	v_fma_f32 v30, v4, v8, -v2
	ds_read_b128 v[25:28], v20 offset:64
	v_fmac_f32_e32 v9, v5, v8
	ds_read2_b64 v[2:5], v11 offset1:32
	v_add_f32_e32 v7, v29, v7
	v_add_f32_e32 v29, v6, v30
	;; [unrolled: 1-line block ×3, first 2 shown]
	ds_read_b128 v[6:9], v20 offset:80
	s_waitcnt lgkmcnt(1)
	v_mul_f32_e32 v31, v3, v26
	v_fma_f32 v31, v2, v25, -v31
	v_mul_f32_e32 v26, v2, v26
	v_mul_f32_e32 v2, v5, v28
	;; [unrolled: 1-line block ×3, first 2 shown]
	v_fmac_f32_e32 v26, v3, v25
	v_fma_f32 v25, v4, v27, -v2
	v_fmac_f32_e32 v28, v5, v27
	ds_read2_b64 v[2:5], v11 offset0:64 offset1:96
	v_add_f32_e32 v26, v30, v26
	v_add_f32_e32 v27, v29, v31
	;; [unrolled: 1-line block ×4, first 2 shown]
	s_waitcnt lgkmcnt(0)
	v_mul_f32_e32 v26, v3, v7
	v_fma_f32 v26, v2, v6, -v26
	v_mul_f32_e32 v7, v2, v7
	v_mul_f32_e32 v2, v5, v9
	;; [unrolled: 1-line block ×3, first 2 shown]
	v_fmac_f32_e32 v7, v3, v6
	v_add_f32_e32 v6, v25, v26
	v_fma_f32 v30, v4, v8, -v2
	ds_read_b128 v[25:28], v20 offset:96
	v_fmac_f32_e32 v9, v5, v8
	ds_read2_b64 v[2:5], v11 offset0:128 offset1:160
	v_add_f32_e32 v7, v29, v7
	v_add_f32_e32 v29, v6, v30
	;; [unrolled: 1-line block ×3, first 2 shown]
	ds_read_b128 v[6:9], v20 offset:112
	s_waitcnt lgkmcnt(1)
	v_mul_f32_e32 v31, v3, v26
	v_fma_f32 v31, v2, v25, -v31
	v_mul_f32_e32 v26, v2, v26
	v_mul_f32_e32 v2, v5, v28
	;; [unrolled: 1-line block ×3, first 2 shown]
	v_fmac_f32_e32 v26, v3, v25
	v_fma_f32 v25, v4, v27, -v2
	v_fmac_f32_e32 v28, v5, v27
	ds_read2_b64 v[2:5], v11 offset0:192 offset1:224
	v_add_f32_e32 v26, v30, v26
	v_add_f32_e32 v27, v29, v31
	;; [unrolled: 1-line block ×4, first 2 shown]
	s_waitcnt lgkmcnt(0)
	v_mul_f32_e32 v26, v3, v7
	v_fma_f32 v26, v2, v6, -v26
	v_mul_f32_e32 v7, v2, v7
	v_mul_f32_e32 v2, v5, v9
	;; [unrolled: 1-line block ×3, first 2 shown]
	v_fmac_f32_e32 v7, v3, v6
	v_add_f32_e32 v6, v25, v26
	v_fma_f32 v30, v4, v8, -v2
	ds_read_b128 v[25:28], v20 offset:128
	v_fmac_f32_e32 v9, v5, v8
	ds_read2_b64 v[2:5], v23 offset1:32
	v_add_f32_e32 v7, v29, v7
	v_add_f32_e32 v29, v6, v30
	;; [unrolled: 1-line block ×3, first 2 shown]
	ds_read_b128 v[6:9], v20 offset:144
	s_waitcnt lgkmcnt(1)
	v_mul_f32_e32 v31, v3, v26
	v_fma_f32 v31, v2, v25, -v31
	v_mul_f32_e32 v2, v2, v26
	v_fmac_f32_e32 v2, v3, v25
	v_mul_f32_e32 v3, v5, v28
	v_fma_f32 v3, v4, v27, -v3
	v_mul_f32_e32 v4, v4, v28
	v_fmac_f32_e32 v4, v5, v27
	ds_read2_b64 v[25:28], v23 offset0:64 offset1:96
	v_add_f32_e32 v2, v30, v2
	v_add_f32_e32 v30, v2, v4
	;; [unrolled: 1-line block ×4, first 2 shown]
	s_waitcnt lgkmcnt(0)
	v_mul_f32_e32 v2, v26, v7
	v_fma_f32 v31, v25, v6, -v2
	v_mul_f32_e32 v25, v25, v7
	v_mul_f32_e32 v2, v28, v9
	v_fmac_f32_e32 v25, v26, v6
	v_fma_f32 v26, v27, v8, -v2
	v_mul_f32_e32 v27, v27, v9
	ds_read_b128 v[2:5], v20 offset:160
	v_fmac_f32_e32 v27, v28, v8
	ds_read2_b64 v[6:9], v23 offset0:128 offset1:160
	v_add_f32_e32 v28, v29, v31
	v_add_f32_e32 v29, v30, v25
	v_add_f32_e32 v25, v28, v26
	v_add_f32_e32 v26, v29, v27
	ds_read_b128 v[27:30], v20 offset:176
	s_waitcnt lgkmcnt(1)
	v_mul_f32_e32 v31, v7, v3
	v_fma_f32 v33, v6, v2, -v31
	global_load_dwordx2 v[31:32], v[13:14], off
	v_mul_f32_e32 v6, v6, v3
	v_fmac_f32_e32 v6, v7, v2
	v_mul_f32_e32 v2, v9, v5
	v_fma_f32 v7, v8, v4, -v2
	v_mul_f32_e32 v8, v8, v5
	v_fmac_f32_e32 v8, v9, v4
	ds_read2_b64 v[2:5], v23 offset0:192 offset1:224
	v_add_f32_e32 v6, v26, v6
	v_add_f32_e32 v26, v6, v8
	v_add_f32_e32 v9, v25, v33
	v_add_f32_e32 v25, v9, v7
	s_waitcnt lgkmcnt(0)
	v_mul_f32_e32 v6, v3, v28
	v_fma_f32 v33, v2, v27, -v6
	v_mul_f32_e32 v28, v2, v28
	v_mul_f32_e32 v2, v5, v30
	;; [unrolled: 1-line block ×3, first 2 shown]
	v_fmac_f32_e32 v28, v3, v27
	v_fma_f32 v27, v4, v29, -v2
	v_fmac_f32_e32 v30, v5, v29
	ds_read_b128 v[2:5], v20 offset:192
	ds_read2_b64 v[6:9], v24 offset1:32
	v_add_f32_e32 v25, v25, v33
	v_add_f32_e32 v26, v26, v28
	;; [unrolled: 1-line block ×4, first 2 shown]
	s_waitcnt lgkmcnt(0)
	v_mul_f32_e32 v33, v7, v3
	v_fma_f32 v33, v6, v2, -v33
	v_mul_f32_e32 v6, v6, v3
	v_fmac_f32_e32 v6, v7, v2
	v_mul_f32_e32 v2, v9, v5
	v_fma_f32 v7, v8, v4, -v2
	v_mul_f32_e32 v8, v8, v5
	ds_read_b128 v[25:28], v20 offset:208
	v_fmac_f32_e32 v8, v9, v4
	ds_read2_b64 v[2:5], v24 offset0:64 offset1:96
	v_add_f32_e32 v6, v30, v6
	v_add_f32_e32 v30, v6, v8
	v_add_f32_e32 v9, v29, v33
	v_add_f32_e32 v29, v9, v7
	s_waitcnt lgkmcnt(0)
	v_mul_f32_e32 v6, v3, v26
	v_fma_f32 v33, v2, v25, -v6
	v_mul_f32_e32 v26, v2, v26
	v_mul_f32_e32 v2, v5, v28
	;; [unrolled: 1-line block ×3, first 2 shown]
	v_fmac_f32_e32 v26, v3, v25
	v_fma_f32 v25, v4, v27, -v2
	v_fmac_f32_e32 v28, v5, v27
	ds_read_b128 v[2:5], v20 offset:224
	ds_read2_b64 v[6:9], v24 offset0:128 offset1:160
	v_add_f32_e32 v27, v29, v33
	v_add_f32_e32 v26, v30, v26
	;; [unrolled: 1-line block ×4, first 2 shown]
	s_waitcnt lgkmcnt(0)
	v_mul_f32_e32 v33, v7, v3
	v_fma_f32 v33, v6, v2, -v33
	v_mul_f32_e32 v6, v6, v3
	v_fmac_f32_e32 v6, v7, v2
	v_mul_f32_e32 v2, v9, v5
	v_fma_f32 v7, v8, v4, -v2
	v_mul_f32_e32 v8, v8, v5
	ds_read_b128 v[25:28], v20 offset:240
	v_fmac_f32_e32 v8, v9, v4
	ds_read2_b64 v[2:5], v24 offset0:192 offset1:224
	v_add_f32_e32 v6, v30, v6
	v_add_f32_e32 v6, v6, v8
	;; [unrolled: 1-line block ×4, first 2 shown]
	s_waitcnt lgkmcnt(0)
	v_mul_f32_e32 v8, v3, v26
	v_fma_f32 v8, v2, v25, -v8
	v_mul_f32_e32 v2, v2, v26
	v_fmac_f32_e32 v2, v3, v25
	v_add_f32_e32 v2, v6, v2
	v_mul_f32_e32 v6, v5, v28
	v_fma_f32 v6, v4, v27, -v6
	v_mul_f32_e32 v4, v4, v28
	v_fmac_f32_e32 v4, v5, v27
	v_add_f32_e32 v3, v7, v8
	v_add_f32_e32 v2, v2, v4
	v_add_f32_e32 v3, v3, v6
	v_mul_f32_e32 v4, s11, v2
	v_mul_f32_e32 v5, s10, v2
	v_fma_f32 v4, s10, v3, -v4
	v_fmac_f32_e32 v5, s11, v3
	s_waitcnt vmcnt(0)
	v_add_f32_e32 v2, v31, v4
	v_add_f32_e32 v3, v32, v5
	global_store_dwordx2 v[13:14], v[2:3], off
	s_branch .LBB1308_4
.LBB1308_11:
	v_cmp_eq_u32_e32 vcc, v10, v12
	v_cmp_gt_i32_e64 s[0:1], s15, v10
	s_and_b64 s[0:1], vcc, s[0:1]
	s_and_saveexec_b64 s[2:3], s[0:1]
	s_cbranch_execz .LBB1308_13
; %bb.12:
	v_mul_lo_u32 v2, s31, v10
	v_mul_lo_u32 v3, s30, v19
	v_mad_u64_u32 v[0:1], s[0:1], s30, v10, 0
	v_mov_b32_e32 v11, v19
	v_add3_u32 v1, v1, v3, v2
	v_lshlrev_b64 v[0:1], 3, v[0:1]
	v_mov_b32_e32 v2, s28
	v_add_co_u32_e32 v3, vcc, s14, v0
	v_addc_co_u32_e32 v2, vcc, v2, v1, vcc
	v_lshlrev_b64 v[0:1], 3, v[10:11]
	v_add_co_u32_e32 v0, vcc, v3, v0
	v_addc_co_u32_e32 v1, vcc, v2, v1, vcc
	v_mov_b32_e32 v2, 0
	global_store_dword v[0:1], v2, off offset:4
.LBB1308_13:
	s_endpgm
	.section	.rodata,"a",@progbits
	.p2align	6, 0x0
	.amdhsa_kernel _ZL26rocblas_syr2k_her2k_kernelIlLb0ELb1ELb1ELi32EPK19rocblas_complex_numIfES3_PS1_EvbiT_T4_T5_S5_lS7_S5_lT6_S5_li
		.amdhsa_group_segment_fixed_size 16384
		.amdhsa_private_segment_fixed_size 0
		.amdhsa_kernarg_size 100
		.amdhsa_user_sgpr_count 6
		.amdhsa_user_sgpr_private_segment_buffer 1
		.amdhsa_user_sgpr_dispatch_ptr 0
		.amdhsa_user_sgpr_queue_ptr 0
		.amdhsa_user_sgpr_kernarg_segment_ptr 1
		.amdhsa_user_sgpr_dispatch_id 0
		.amdhsa_user_sgpr_flat_scratch_init 0
		.amdhsa_user_sgpr_private_segment_size 0
		.amdhsa_uses_dynamic_stack 0
		.amdhsa_system_sgpr_private_segment_wavefront_offset 0
		.amdhsa_system_sgpr_workgroup_id_x 1
		.amdhsa_system_sgpr_workgroup_id_y 1
		.amdhsa_system_sgpr_workgroup_id_z 1
		.amdhsa_system_sgpr_workgroup_info 0
		.amdhsa_system_vgpr_workitem_id 1
		.amdhsa_next_free_vgpr 38
		.amdhsa_next_free_sgpr 61
		.amdhsa_reserve_vcc 1
		.amdhsa_reserve_flat_scratch 0
		.amdhsa_float_round_mode_32 0
		.amdhsa_float_round_mode_16_64 0
		.amdhsa_float_denorm_mode_32 3
		.amdhsa_float_denorm_mode_16_64 3
		.amdhsa_dx10_clamp 1
		.amdhsa_ieee_mode 1
		.amdhsa_fp16_overflow 0
		.amdhsa_exception_fp_ieee_invalid_op 0
		.amdhsa_exception_fp_denorm_src 0
		.amdhsa_exception_fp_ieee_div_zero 0
		.amdhsa_exception_fp_ieee_overflow 0
		.amdhsa_exception_fp_ieee_underflow 0
		.amdhsa_exception_fp_ieee_inexact 0
		.amdhsa_exception_int_div_zero 0
	.end_amdhsa_kernel
	.section	.text._ZL26rocblas_syr2k_her2k_kernelIlLb0ELb1ELb1ELi32EPK19rocblas_complex_numIfES3_PS1_EvbiT_T4_T5_S5_lS7_S5_lT6_S5_li,"axG",@progbits,_ZL26rocblas_syr2k_her2k_kernelIlLb0ELb1ELb1ELi32EPK19rocblas_complex_numIfES3_PS1_EvbiT_T4_T5_S5_lS7_S5_lT6_S5_li,comdat
.Lfunc_end1308:
	.size	_ZL26rocblas_syr2k_her2k_kernelIlLb0ELb1ELb1ELi32EPK19rocblas_complex_numIfES3_PS1_EvbiT_T4_T5_S5_lS7_S5_lT6_S5_li, .Lfunc_end1308-_ZL26rocblas_syr2k_her2k_kernelIlLb0ELb1ELb1ELi32EPK19rocblas_complex_numIfES3_PS1_EvbiT_T4_T5_S5_lS7_S5_lT6_S5_li
                                        ; -- End function
	.set _ZL26rocblas_syr2k_her2k_kernelIlLb0ELb1ELb1ELi32EPK19rocblas_complex_numIfES3_PS1_EvbiT_T4_T5_S5_lS7_S5_lT6_S5_li.num_vgpr, 38
	.set _ZL26rocblas_syr2k_her2k_kernelIlLb0ELb1ELb1ELi32EPK19rocblas_complex_numIfES3_PS1_EvbiT_T4_T5_S5_lS7_S5_lT6_S5_li.num_agpr, 0
	.set _ZL26rocblas_syr2k_her2k_kernelIlLb0ELb1ELb1ELi32EPK19rocblas_complex_numIfES3_PS1_EvbiT_T4_T5_S5_lS7_S5_lT6_S5_li.numbered_sgpr, 32
	.set _ZL26rocblas_syr2k_her2k_kernelIlLb0ELb1ELb1ELi32EPK19rocblas_complex_numIfES3_PS1_EvbiT_T4_T5_S5_lS7_S5_lT6_S5_li.num_named_barrier, 0
	.set _ZL26rocblas_syr2k_her2k_kernelIlLb0ELb1ELb1ELi32EPK19rocblas_complex_numIfES3_PS1_EvbiT_T4_T5_S5_lS7_S5_lT6_S5_li.private_seg_size, 0
	.set _ZL26rocblas_syr2k_her2k_kernelIlLb0ELb1ELb1ELi32EPK19rocblas_complex_numIfES3_PS1_EvbiT_T4_T5_S5_lS7_S5_lT6_S5_li.uses_vcc, 1
	.set _ZL26rocblas_syr2k_her2k_kernelIlLb0ELb1ELb1ELi32EPK19rocblas_complex_numIfES3_PS1_EvbiT_T4_T5_S5_lS7_S5_lT6_S5_li.uses_flat_scratch, 0
	.set _ZL26rocblas_syr2k_her2k_kernelIlLb0ELb1ELb1ELi32EPK19rocblas_complex_numIfES3_PS1_EvbiT_T4_T5_S5_lS7_S5_lT6_S5_li.has_dyn_sized_stack, 0
	.set _ZL26rocblas_syr2k_her2k_kernelIlLb0ELb1ELb1ELi32EPK19rocblas_complex_numIfES3_PS1_EvbiT_T4_T5_S5_lS7_S5_lT6_S5_li.has_recursion, 0
	.set _ZL26rocblas_syr2k_her2k_kernelIlLb0ELb1ELb1ELi32EPK19rocblas_complex_numIfES3_PS1_EvbiT_T4_T5_S5_lS7_S5_lT6_S5_li.has_indirect_call, 0
	.section	.AMDGPU.csdata,"",@progbits
; Kernel info:
; codeLenInByte = 2152
; TotalNumSgprs: 36
; NumVgprs: 38
; ScratchSize: 0
; MemoryBound: 0
; FloatMode: 240
; IeeeMode: 1
; LDSByteSize: 16384 bytes/workgroup (compile time only)
; SGPRBlocks: 8
; VGPRBlocks: 9
; NumSGPRsForWavesPerEU: 65
; NumVGPRsForWavesPerEU: 38
; Occupancy: 6
; WaveLimiterHint : 0
; COMPUTE_PGM_RSRC2:SCRATCH_EN: 0
; COMPUTE_PGM_RSRC2:USER_SGPR: 6
; COMPUTE_PGM_RSRC2:TRAP_HANDLER: 0
; COMPUTE_PGM_RSRC2:TGID_X_EN: 1
; COMPUTE_PGM_RSRC2:TGID_Y_EN: 1
; COMPUTE_PGM_RSRC2:TGID_Z_EN: 1
; COMPUTE_PGM_RSRC2:TIDIG_COMP_CNT: 1
	.section	.text._ZL26rocblas_syr2k_her2k_kernelIlLb0ELb1ELb0ELi32E19rocblas_complex_numIdEPKS1_PS1_EvbiT_T4_T5_S5_lS7_S5_lT6_S5_li,"axG",@progbits,_ZL26rocblas_syr2k_her2k_kernelIlLb0ELb1ELb0ELi32E19rocblas_complex_numIdEPKS1_PS1_EvbiT_T4_T5_S5_lS7_S5_lT6_S5_li,comdat
	.globl	_ZL26rocblas_syr2k_her2k_kernelIlLb0ELb1ELb0ELi32E19rocblas_complex_numIdEPKS1_PS1_EvbiT_T4_T5_S5_lS7_S5_lT6_S5_li ; -- Begin function _ZL26rocblas_syr2k_her2k_kernelIlLb0ELb1ELb0ELi32E19rocblas_complex_numIdEPKS1_PS1_EvbiT_T4_T5_S5_lS7_S5_lT6_S5_li
	.p2align	8
	.type	_ZL26rocblas_syr2k_her2k_kernelIlLb0ELb1ELb0ELi32E19rocblas_complex_numIdEPKS1_PS1_EvbiT_T4_T5_S5_lS7_S5_lT6_S5_li,@function
_ZL26rocblas_syr2k_her2k_kernelIlLb0ELb1ELb0ELi32E19rocblas_complex_numIdEPKS1_PS1_EvbiT_T4_T5_S5_lS7_S5_lT6_S5_li: ; @_ZL26rocblas_syr2k_her2k_kernelIlLb0ELb1ELb0ELi32E19rocblas_complex_numIdEPKS1_PS1_EvbiT_T4_T5_S5_lS7_S5_lT6_S5_li
; %bb.0:
	s_load_dwordx16 s[12:27], s[4:5], 0x8
	s_waitcnt lgkmcnt(0)
	v_cmp_eq_f64_e64 s[0:1], s[14:15], 0
	v_cmp_eq_f64_e64 s[2:3], s[16:17], 0
	s_and_b64 s[0:1], s[0:1], s[2:3]
	s_and_b64 vcc, exec, s[0:1]
	s_cbranch_vccnz .LBB1309_13
; %bb.1:
	s_load_dwordx2 s[10:11], s[4:5], 0x0
	s_lshl_b32 s2, s7, 5
	s_lshl_b32 s3, s6, 5
	s_waitcnt lgkmcnt(0)
	s_and_b32 s0, 1, s10
	s_cmp_eq_u32 s0, 1
	s_cselect_b64 s[0:1], -1, 0
	s_and_b64 s[6:7], s[0:1], exec
	s_cselect_b32 s6, s3, s2
	s_cselect_b32 s7, s2, s3
	s_cmp_gt_i32 s6, s7
	s_cbranch_scc1 .LBB1309_13
; %bb.2:
	s_load_dwordx8 s[36:43], s[4:5], 0x48
	v_add_u32_e32 v8, s3, v0
	v_cmp_lt_i64_e64 s[4:5], s[12:13], 1
	v_add_u32_e32 v12, s2, v1
	v_ashrrev_i32_e32 v11, 31, v8
	s_waitcnt lgkmcnt(0)
	s_mul_i32 s3, s43, s8
	s_mul_hi_u32 s7, s42, s8
	s_mul_i32 s6, s42, s8
	s_add_i32 s7, s7, s3
	s_lshl_b64 s[6:7], s[6:7], 4
	s_add_u32 s10, s38, s6
	s_addc_u32 s28, s39, s7
	s_and_b64 vcc, exec, s[4:5]
	s_cbranch_vccnz .LBB1309_11
; %bb.3:
	v_lshlrev_b32_e32 v18, 9, v0
	v_lshlrev_b32_e32 v2, 4, v1
	v_add_u32_e32 v19, v18, v2
	v_or_b32_e32 v20, 0x4000, v2
	v_ashrrev_i32_e32 v2, 31, v12
	v_mul_lo_u32 v7, s41, v12
	v_mul_lo_u32 v10, s40, v2
	v_mad_u64_u32 v[2:3], s[4:5], s40, v12, 0
	v_cndmask_b32_e64 v4, v8, v12, s[0:1]
	v_cndmask_b32_e64 v5, v12, v8, s[0:1]
	v_add3_u32 v3, v3, v10, v7
	v_max_i32_e32 v6, v8, v12
	v_lshlrev_b64 v[2:3], 4, v[2:3]
	v_cmp_gt_i32_e32 vcc, s11, v6
	v_cmp_le_i32_e64 s[4:5], v5, v4
	s_and_b64 s[6:7], s[4:5], vcc
	v_mov_b32_e32 v4, s28
	v_add_co_u32_e32 v6, vcc, s10, v2
	v_addc_co_u32_e32 v7, vcc, v4, v3, vcc
	v_mad_u64_u32 v[4:5], s[4:5], s26, v0, 0
	v_mov_b32_e32 v10, v8
	v_lshlrev_b64 v[2:3], 4, v[10:11]
	s_mul_i32 s9, s37, s8
	v_add_co_u32_e32 v14, vcc, v6, v2
	v_mov_b32_e32 v2, v5
	v_addc_co_u32_e32 v15, vcc, v7, v3, vcc
	v_mad_u64_u32 v[2:3], s[4:5], s27, v0, v[2:3]
	s_mul_hi_u32 s29, s36, s8
	s_add_i32 s5, s29, s9
	v_mov_b32_e32 v5, v2
	s_mul_i32 s4, s36, s8
	v_lshlrev_b64 v[2:3], 4, v[4:5]
	v_mov_b32_e32 v9, 0
	s_lshl_b64 s[4:5], s[4:5], 4
	v_mov_b32_e32 v13, v9
	v_mov_b32_e32 v4, s5
	v_add_co_u32_e32 v5, vcc, s4, v2
	v_addc_co_u32_e32 v4, vcc, v4, v3, vcc
	v_lshlrev_b64 v[2:3], 4, v[12:13]
	s_mul_i32 s9, s23, s8
	v_add_co_u32_e32 v2, vcc, v5, v2
	v_addc_co_u32_e32 v3, vcc, v4, v3, vcc
	v_mov_b32_e32 v4, s25
	v_add_co_u32_e32 v2, vcc, s24, v2
	v_addc_co_u32_e32 v3, vcc, v4, v3, vcc
	v_add_co_u32_e32 v16, vcc, 8, v2
	v_addc_co_u32_e32 v17, vcc, 0, v3, vcc
	v_mad_u64_u32 v[2:3], s[4:5], s20, v1, 0
	s_mul_hi_u32 s23, s22, s8
	s_ashr_i32 s3, s11, 31
	v_mad_u64_u32 v[3:4], s[4:5], s21, v1, v[3:4]
	s_add_i32 s5, s23, s9
	s_mul_i32 s4, s22, s8
	v_lshlrev_b64 v[2:3], 4, v[2:3]
	s_lshl_b64 s[4:5], s[4:5], 4
	v_mov_b32_e32 v4, s5
	v_add_co_u32_e32 v5, vcc, s4, v2
	v_addc_co_u32_e32 v4, vcc, v4, v3, vcc
	v_lshlrev_b64 v[2:3], 4, v[8:9]
	s_mov_b32 s2, s11
	v_add_co_u32_e32 v2, vcc, v5, v2
	v_addc_co_u32_e32 v3, vcc, v4, v3, vcc
	v_mov_b32_e32 v4, s19
	v_add_co_u32_e32 v2, vcc, s18, v2
	v_addc_co_u32_e32 v3, vcc, v4, v3, vcc
	v_cmp_gt_i64_e64 s[0:1], s[2:3], v[8:9]
	v_cmp_gt_i64_e64 s[2:3], s[2:3], v[12:13]
	v_add_co_u32_e32 v9, vcc, 8, v2
	v_add_u32_e32 v21, v20, v18
	s_lshl_b64 s[24:25], s[26:27], 9
	v_addc_co_u32_e32 v10, vcc, 0, v3, vcc
	s_lshl_b64 s[8:9], s[20:21], 9
	s_mov_b64 s[18:19], 0
	s_branch .LBB1309_5
.LBB1309_4:                             ;   in Loop: Header=BB1309_5 Depth=1
	s_or_b64 exec, exec, s[4:5]
	v_mov_b32_e32 v2, s25
	v_add_co_u32_e32 v16, vcc, s24, v16
	s_add_u32 s18, s18, 32
	v_addc_co_u32_e32 v17, vcc, v17, v2, vcc
	v_mov_b32_e32 v2, s12
	s_addc_u32 s19, s19, 0
	v_mov_b32_e32 v3, s13
	v_cmp_ge_i64_e32 vcc, s[18:19], v[2:3]
	v_mov_b32_e32 v4, s9
	v_add_co_u32_e64 v9, s[4:5], s8, v9
	v_addc_co_u32_e64 v10, s[4:5], v10, v4, s[4:5]
	s_waitcnt vmcnt(0)
	s_barrier
	s_cbranch_vccnz .LBB1309_11
.LBB1309_5:                             ; =>This Inner Loop Header: Depth=1
	v_mov_b32_e32 v3, s19
	v_add_co_u32_e32 v2, vcc, s18, v1
	v_addc_co_u32_e32 v3, vcc, 0, v3, vcc
	v_cmp_gt_i64_e32 vcc, s[12:13], v[2:3]
	v_mov_b32_e32 v2, 0
	v_mov_b32_e32 v4, 0
	;; [unrolled: 1-line block ×6, first 2 shown]
	s_and_b64 s[20:21], s[0:1], vcc
	s_and_saveexec_b64 s[4:5], s[20:21]
	s_cbranch_execz .LBB1309_7
; %bb.6:                                ;   in Loop: Header=BB1309_5 Depth=1
	global_load_dwordx4 v[4:7], v[9:10], off offset:-8
.LBB1309_7:                             ;   in Loop: Header=BB1309_5 Depth=1
	s_or_b64 exec, exec, s[4:5]
	s_waitcnt vmcnt(0)
	ds_write_b128 v19, v[4:7]
	v_mov_b32_e32 v5, s19
	v_add_co_u32_e32 v4, vcc, s18, v0
	v_addc_co_u32_e32 v5, vcc, 0, v5, vcc
	v_cmp_gt_i64_e32 vcc, s[12:13], v[4:5]
	v_mov_b32_e32 v4, 0
	v_mov_b32_e32 v5, 0
	s_and_b64 s[20:21], s[2:3], vcc
	s_and_saveexec_b64 s[4:5], s[20:21]
	s_cbranch_execz .LBB1309_9
; %bb.8:                                ;   in Loop: Header=BB1309_5 Depth=1
	global_load_dwordx4 v[2:5], v[16:17], off offset:-8
	s_waitcnt vmcnt(0)
	v_xor_b32_e32 v5, 0x80000000, v5
.LBB1309_9:                             ;   in Loop: Header=BB1309_5 Depth=1
	s_or_b64 exec, exec, s[4:5]
	ds_write_b128 v21, v[2:5]
	s_waitcnt lgkmcnt(0)
	s_barrier
	s_and_saveexec_b64 s[4:5], s[6:7]
	s_cbranch_execz .LBB1309_4
; %bb.10:                               ;   in Loop: Header=BB1309_5 Depth=1
	ds_read_b128 v[22:25], v20
	ds_read_b128 v[26:29], v18
	ds_read_b128 v[30:33], v18 offset:16
	ds_read_b128 v[34:37], v18 offset:32
	;; [unrolled: 1-line block ×3, first 2 shown]
	s_waitcnt lgkmcnt(3)
	v_mul_f64 v[6:7], v[24:25], v[28:29]
	v_fma_f64 v[6:7], v[22:23], v[26:27], -v[6:7]
	v_mul_f64 v[22:23], v[22:23], v[28:29]
	v_add_f64 v[6:7], v[6:7], 0
	v_fma_f64 v[22:23], v[24:25], v[26:27], v[22:23]
	v_add_f64 v[26:27], v[22:23], 0
	ds_read_b128 v[22:25], v20 offset:512
	s_waitcnt lgkmcnt(0)
	v_mul_f64 v[28:29], v[24:25], v[32:33]
	v_fma_f64 v[28:29], v[22:23], v[30:31], -v[28:29]
	v_mul_f64 v[22:23], v[22:23], v[32:33]
	v_add_f64 v[6:7], v[6:7], v[28:29]
	v_fma_f64 v[22:23], v[24:25], v[30:31], v[22:23]
	v_add_f64 v[26:27], v[26:27], v[22:23]
	ds_read_b128 v[22:25], v20 offset:1024
	;; [unrolled: 8-line block ×3, first 2 shown]
	s_waitcnt lgkmcnt(0)
	v_mul_f64 v[28:29], v[24:25], v[4:5]
	v_mul_f64 v[4:5], v[22:23], v[4:5]
	v_fma_f64 v[28:29], v[22:23], v[2:3], -v[28:29]
	v_fma_f64 v[2:3], v[24:25], v[2:3], v[4:5]
	v_add_f64 v[6:7], v[6:7], v[28:29]
	v_add_f64 v[26:27], v[26:27], v[2:3]
	ds_read_b128 v[2:5], v20 offset:2048
	ds_read_b128 v[22:25], v18 offset:64
	s_waitcnt lgkmcnt(0)
	v_mul_f64 v[28:29], v[4:5], v[24:25]
	v_fma_f64 v[28:29], v[2:3], v[22:23], -v[28:29]
	v_mul_f64 v[2:3], v[2:3], v[24:25]
	v_add_f64 v[6:7], v[6:7], v[28:29]
	v_fma_f64 v[2:3], v[4:5], v[22:23], v[2:3]
	v_add_f64 v[26:27], v[26:27], v[2:3]
	ds_read_b128 v[2:5], v20 offset:2560
	ds_read_b128 v[22:25], v18 offset:80
	s_waitcnt lgkmcnt(0)
	v_mul_f64 v[28:29], v[4:5], v[24:25]
	v_fma_f64 v[28:29], v[2:3], v[22:23], -v[28:29]
	v_mul_f64 v[2:3], v[2:3], v[24:25]
	v_add_f64 v[6:7], v[6:7], v[28:29]
	v_fma_f64 v[2:3], v[4:5], v[22:23], v[2:3]
	;; [unrolled: 9-line block ×27, first 2 shown]
	v_add_f64 v[26:27], v[26:27], v[2:3]
	ds_read_b128 v[2:5], v20 offset:15872
	ds_read_b128 v[22:25], v18 offset:496
	s_waitcnt lgkmcnt(0)
	v_mul_f64 v[28:29], v[4:5], v[24:25]
	v_fma_f64 v[28:29], v[2:3], v[22:23], -v[28:29]
	v_mul_f64 v[2:3], v[2:3], v[24:25]
	v_fma_f64 v[2:3], v[4:5], v[22:23], v[2:3]
	global_load_dwordx4 v[22:25], v[14:15], off
	v_add_f64 v[4:5], v[6:7], v[28:29]
	v_add_f64 v[6:7], v[26:27], v[2:3]
	v_mul_f64 v[2:3], s[16:17], v[6:7]
	v_mul_f64 v[6:7], s[14:15], v[6:7]
	v_fma_f64 v[2:3], s[14:15], v[4:5], -v[2:3]
	v_fma_f64 v[4:5], s[16:17], v[4:5], v[6:7]
	s_waitcnt vmcnt(0)
	v_add_f64 v[2:3], v[22:23], v[2:3]
	v_add_f64 v[4:5], v[24:25], v[4:5]
	global_store_dwordx4 v[14:15], v[2:5], off
	s_branch .LBB1309_4
.LBB1309_11:
	v_cmp_eq_u32_e32 vcc, v8, v12
	v_cmp_gt_i32_e64 s[0:1], s11, v8
	s_and_b64 s[0:1], vcc, s[0:1]
	s_and_saveexec_b64 s[2:3], s[0:1]
	s_cbranch_execz .LBB1309_13
; %bb.12:
	v_mul_lo_u32 v2, s41, v8
	v_mul_lo_u32 v3, s40, v11
	v_mad_u64_u32 v[0:1], s[0:1], s40, v8, 0
	v_mov_b32_e32 v9, v11
	v_add3_u32 v1, v1, v3, v2
	v_lshlrev_b64 v[0:1], 4, v[0:1]
	v_mov_b32_e32 v2, s28
	v_add_co_u32_e32 v3, vcc, s10, v0
	v_addc_co_u32_e32 v2, vcc, v2, v1, vcc
	v_lshlrev_b64 v[0:1], 4, v[8:9]
	v_add_co_u32_e32 v0, vcc, v3, v0
	v_addc_co_u32_e32 v1, vcc, v2, v1, vcc
	v_mov_b32_e32 v2, 0
	v_mov_b32_e32 v3, v2
	global_store_dwordx2 v[0:1], v[2:3], off offset:8
.LBB1309_13:
	s_endpgm
	.section	.rodata,"a",@progbits
	.p2align	6, 0x0
	.amdhsa_kernel _ZL26rocblas_syr2k_her2k_kernelIlLb0ELb1ELb0ELi32E19rocblas_complex_numIdEPKS1_PS1_EvbiT_T4_T5_S5_lS7_S5_lT6_S5_li
		.amdhsa_group_segment_fixed_size 32768
		.amdhsa_private_segment_fixed_size 0
		.amdhsa_kernarg_size 108
		.amdhsa_user_sgpr_count 6
		.amdhsa_user_sgpr_private_segment_buffer 1
		.amdhsa_user_sgpr_dispatch_ptr 0
		.amdhsa_user_sgpr_queue_ptr 0
		.amdhsa_user_sgpr_kernarg_segment_ptr 1
		.amdhsa_user_sgpr_dispatch_id 0
		.amdhsa_user_sgpr_flat_scratch_init 0
		.amdhsa_user_sgpr_private_segment_size 0
		.amdhsa_uses_dynamic_stack 0
		.amdhsa_system_sgpr_private_segment_wavefront_offset 0
		.amdhsa_system_sgpr_workgroup_id_x 1
		.amdhsa_system_sgpr_workgroup_id_y 1
		.amdhsa_system_sgpr_workgroup_id_z 1
		.amdhsa_system_sgpr_workgroup_info 0
		.amdhsa_system_vgpr_workitem_id 1
		.amdhsa_next_free_vgpr 38
		.amdhsa_next_free_sgpr 61
		.amdhsa_reserve_vcc 1
		.amdhsa_reserve_flat_scratch 0
		.amdhsa_float_round_mode_32 0
		.amdhsa_float_round_mode_16_64 0
		.amdhsa_float_denorm_mode_32 3
		.amdhsa_float_denorm_mode_16_64 3
		.amdhsa_dx10_clamp 1
		.amdhsa_ieee_mode 1
		.amdhsa_fp16_overflow 0
		.amdhsa_exception_fp_ieee_invalid_op 0
		.amdhsa_exception_fp_denorm_src 0
		.amdhsa_exception_fp_ieee_div_zero 0
		.amdhsa_exception_fp_ieee_overflow 0
		.amdhsa_exception_fp_ieee_underflow 0
		.amdhsa_exception_fp_ieee_inexact 0
		.amdhsa_exception_int_div_zero 0
	.end_amdhsa_kernel
	.section	.text._ZL26rocblas_syr2k_her2k_kernelIlLb0ELb1ELb0ELi32E19rocblas_complex_numIdEPKS1_PS1_EvbiT_T4_T5_S5_lS7_S5_lT6_S5_li,"axG",@progbits,_ZL26rocblas_syr2k_her2k_kernelIlLb0ELb1ELb0ELi32E19rocblas_complex_numIdEPKS1_PS1_EvbiT_T4_T5_S5_lS7_S5_lT6_S5_li,comdat
.Lfunc_end1309:
	.size	_ZL26rocblas_syr2k_her2k_kernelIlLb0ELb1ELb0ELi32E19rocblas_complex_numIdEPKS1_PS1_EvbiT_T4_T5_S5_lS7_S5_lT6_S5_li, .Lfunc_end1309-_ZL26rocblas_syr2k_her2k_kernelIlLb0ELb1ELb0ELi32E19rocblas_complex_numIdEPKS1_PS1_EvbiT_T4_T5_S5_lS7_S5_lT6_S5_li
                                        ; -- End function
	.set _ZL26rocblas_syr2k_her2k_kernelIlLb0ELb1ELb0ELi32E19rocblas_complex_numIdEPKS1_PS1_EvbiT_T4_T5_S5_lS7_S5_lT6_S5_li.num_vgpr, 38
	.set _ZL26rocblas_syr2k_her2k_kernelIlLb0ELb1ELb0ELi32E19rocblas_complex_numIdEPKS1_PS1_EvbiT_T4_T5_S5_lS7_S5_lT6_S5_li.num_agpr, 0
	.set _ZL26rocblas_syr2k_her2k_kernelIlLb0ELb1ELb0ELi32E19rocblas_complex_numIdEPKS1_PS1_EvbiT_T4_T5_S5_lS7_S5_lT6_S5_li.numbered_sgpr, 44
	.set _ZL26rocblas_syr2k_her2k_kernelIlLb0ELb1ELb0ELi32E19rocblas_complex_numIdEPKS1_PS1_EvbiT_T4_T5_S5_lS7_S5_lT6_S5_li.num_named_barrier, 0
	.set _ZL26rocblas_syr2k_her2k_kernelIlLb0ELb1ELb0ELi32E19rocblas_complex_numIdEPKS1_PS1_EvbiT_T4_T5_S5_lS7_S5_lT6_S5_li.private_seg_size, 0
	.set _ZL26rocblas_syr2k_her2k_kernelIlLb0ELb1ELb0ELi32E19rocblas_complex_numIdEPKS1_PS1_EvbiT_T4_T5_S5_lS7_S5_lT6_S5_li.uses_vcc, 1
	.set _ZL26rocblas_syr2k_her2k_kernelIlLb0ELb1ELb0ELi32E19rocblas_complex_numIdEPKS1_PS1_EvbiT_T4_T5_S5_lS7_S5_lT6_S5_li.uses_flat_scratch, 0
	.set _ZL26rocblas_syr2k_her2k_kernelIlLb0ELb1ELb0ELi32E19rocblas_complex_numIdEPKS1_PS1_EvbiT_T4_T5_S5_lS7_S5_lT6_S5_li.has_dyn_sized_stack, 0
	.set _ZL26rocblas_syr2k_her2k_kernelIlLb0ELb1ELb0ELi32E19rocblas_complex_numIdEPKS1_PS1_EvbiT_T4_T5_S5_lS7_S5_lT6_S5_li.has_recursion, 0
	.set _ZL26rocblas_syr2k_her2k_kernelIlLb0ELb1ELb0ELi32E19rocblas_complex_numIdEPKS1_PS1_EvbiT_T4_T5_S5_lS7_S5_lT6_S5_li.has_indirect_call, 0
	.section	.AMDGPU.csdata,"",@progbits
; Kernel info:
; codeLenInByte = 3128
; TotalNumSgprs: 48
; NumVgprs: 38
; ScratchSize: 0
; MemoryBound: 1
; FloatMode: 240
; IeeeMode: 1
; LDSByteSize: 32768 bytes/workgroup (compile time only)
; SGPRBlocks: 8
; VGPRBlocks: 9
; NumSGPRsForWavesPerEU: 65
; NumVGPRsForWavesPerEU: 38
; Occupancy: 6
; WaveLimiterHint : 0
; COMPUTE_PGM_RSRC2:SCRATCH_EN: 0
; COMPUTE_PGM_RSRC2:USER_SGPR: 6
; COMPUTE_PGM_RSRC2:TRAP_HANDLER: 0
; COMPUTE_PGM_RSRC2:TGID_X_EN: 1
; COMPUTE_PGM_RSRC2:TGID_Y_EN: 1
; COMPUTE_PGM_RSRC2:TGID_Z_EN: 1
; COMPUTE_PGM_RSRC2:TIDIG_COMP_CNT: 1
	.section	.text._ZL26rocblas_syr2k_her2k_kernelIlLb0ELb1ELb1ELi32E19rocblas_complex_numIdEPKS1_PS1_EvbiT_T4_T5_S5_lS7_S5_lT6_S5_li,"axG",@progbits,_ZL26rocblas_syr2k_her2k_kernelIlLb0ELb1ELb1ELi32E19rocblas_complex_numIdEPKS1_PS1_EvbiT_T4_T5_S5_lS7_S5_lT6_S5_li,comdat
	.globl	_ZL26rocblas_syr2k_her2k_kernelIlLb0ELb1ELb1ELi32E19rocblas_complex_numIdEPKS1_PS1_EvbiT_T4_T5_S5_lS7_S5_lT6_S5_li ; -- Begin function _ZL26rocblas_syr2k_her2k_kernelIlLb0ELb1ELb1ELi32E19rocblas_complex_numIdEPKS1_PS1_EvbiT_T4_T5_S5_lS7_S5_lT6_S5_li
	.p2align	8
	.type	_ZL26rocblas_syr2k_her2k_kernelIlLb0ELb1ELb1ELi32E19rocblas_complex_numIdEPKS1_PS1_EvbiT_T4_T5_S5_lS7_S5_lT6_S5_li,@function
_ZL26rocblas_syr2k_her2k_kernelIlLb0ELb1ELb1ELi32E19rocblas_complex_numIdEPKS1_PS1_EvbiT_T4_T5_S5_lS7_S5_lT6_S5_li: ; @_ZL26rocblas_syr2k_her2k_kernelIlLb0ELb1ELb1ELi32E19rocblas_complex_numIdEPKS1_PS1_EvbiT_T4_T5_S5_lS7_S5_lT6_S5_li
; %bb.0:
	s_load_dwordx16 s[12:27], s[4:5], 0x8
	s_waitcnt lgkmcnt(0)
	v_cmp_eq_f64_e64 s[0:1], s[14:15], 0
	v_cmp_eq_f64_e64 s[2:3], s[16:17], 0
	s_and_b64 s[0:1], s[0:1], s[2:3]
	s_and_b64 vcc, exec, s[0:1]
	s_cbranch_vccnz .LBB1310_13
; %bb.1:
	s_load_dwordx2 s[10:11], s[4:5], 0x0
	s_lshl_b32 s2, s7, 5
	s_lshl_b32 s3, s6, 5
	s_waitcnt lgkmcnt(0)
	s_and_b32 s0, 1, s10
	s_cmp_eq_u32 s0, 1
	s_cselect_b64 s[0:1], -1, 0
	s_and_b64 s[6:7], s[0:1], exec
	s_cselect_b32 s6, s3, s2
	s_cselect_b32 s7, s2, s3
	s_cmp_gt_i32 s6, s7
	s_cbranch_scc1 .LBB1310_13
; %bb.2:
	s_load_dwordx8 s[36:43], s[4:5], 0x48
	v_add_u32_e32 v8, s3, v0
	v_cmp_lt_i64_e64 s[4:5], s[12:13], 1
	v_add_u32_e32 v10, s2, v1
	v_ashrrev_i32_e32 v17, 31, v8
	s_waitcnt lgkmcnt(0)
	s_mul_i32 s3, s43, s8
	s_mul_hi_u32 s7, s42, s8
	s_mul_i32 s6, s42, s8
	s_add_i32 s7, s7, s3
	s_lshl_b64 s[6:7], s[6:7], 4
	s_add_u32 s10, s38, s6
	s_addc_u32 s28, s39, s7
	s_and_b64 vcc, exec, s[4:5]
	s_cbranch_vccnz .LBB1310_11
; %bb.3:
	v_mov_b32_e32 v9, 0
	s_ashr_i32 s3, s11, 31
	s_mov_b32 s2, s11
	v_mov_b32_e32 v11, v9
	v_ashrrev_i32_e32 v2, 31, v10
	v_cndmask_b32_e64 v4, v8, v10, s[0:1]
	v_cndmask_b32_e64 v5, v10, v8, s[0:1]
	v_cmp_gt_i64_e64 s[0:1], s[2:3], v[8:9]
	v_cmp_gt_i64_e64 s[2:3], s[2:3], v[10:11]
	v_mul_lo_u32 v9, s41, v10
	v_mul_lo_u32 v11, s40, v2
	v_mad_u64_u32 v[2:3], s[4:5], s40, v10, 0
	v_max_i32_e32 v7, v8, v10
	v_cmp_gt_i32_e32 vcc, s11, v7
	v_add3_u32 v3, v3, v11, v9
	v_lshlrev_b64 v[2:3], 4, v[2:3]
	v_cmp_le_i32_e64 s[4:5], v5, v4
	s_and_b64 s[6:7], s[4:5], vcc
	v_mov_b32_e32 v4, s28
	v_add_co_u32_e32 v7, vcc, s10, v2
	v_addc_co_u32_e32 v12, vcc, v4, v3, vcc
	v_mad_u64_u32 v[4:5], s[4:5], s26, v10, 0
	v_mov_b32_e32 v9, v17
	v_lshlrev_b64 v[2:3], 4, v[8:9]
	s_mul_i32 s9, s37, s8
	v_add_co_u32_e32 v11, vcc, v7, v2
	v_mov_b32_e32 v2, v5
	v_addc_co_u32_e32 v12, vcc, v12, v3, vcc
	v_mad_u64_u32 v[2:3], s[4:5], s27, v10, v[2:3]
	s_mul_hi_u32 s26, s36, s8
	s_add_i32 s5, s26, s9
	v_mov_b32_e32 v5, v2
	s_mul_i32 s4, s36, s8
	v_lshlrev_b64 v[2:3], 4, v[4:5]
	s_lshl_b64 s[4:5], s[4:5], 4
	v_mov_b32_e32 v4, s5
	v_add_co_u32_e32 v2, vcc, s4, v2
	v_addc_co_u32_e32 v3, vcc, v4, v3, vcc
	v_lshlrev_b32_e32 v4, 4, v0
	v_add_co_u32_e32 v2, vcc, v2, v4
	v_addc_co_u32_e32 v3, vcc, 0, v3, vcc
	v_mov_b32_e32 v4, s25
	v_add_co_u32_e32 v5, vcc, s24, v2
	v_addc_co_u32_e32 v4, vcc, v4, v3, vcc
	v_mad_u64_u32 v[2:3], s[4:5], s20, v8, 0
	v_add_co_u32_e32 v13, vcc, 8, v5
	v_addc_co_u32_e32 v14, vcc, 0, v4, vcc
	v_mad_u64_u32 v[3:4], s[4:5], s21, v8, v[3:4]
	s_mul_i32 s9, s23, s8
	s_mul_hi_u32 s20, s22, s8
	s_add_i32 s5, s20, s9
	s_mul_i32 s4, s22, s8
	v_lshlrev_b64 v[2:3], 4, v[2:3]
	s_lshl_b64 s[4:5], s[4:5], 4
	v_mov_b32_e32 v4, s5
	v_add_co_u32_e32 v2, vcc, s4, v2
	v_lshlrev_b32_e32 v6, 4, v1
	v_addc_co_u32_e32 v3, vcc, v4, v3, vcc
	v_add_co_u32_e32 v2, vcc, v2, v6
	v_addc_co_u32_e32 v3, vcc, 0, v3, vcc
	v_mov_b32_e32 v4, s19
	v_add_co_u32_e32 v2, vcc, s18, v2
	v_addc_co_u32_e32 v3, vcc, v4, v3, vcc
	v_lshlrev_b32_e32 v18, 9, v0
	v_or_b32_e32 v20, 0x4000, v6
	v_add_co_u32_e32 v15, vcc, 8, v2
	v_add_u32_e32 v19, v18, v6
	v_add_u32_e32 v21, v20, v18
	v_addc_co_u32_e32 v16, vcc, 0, v3, vcc
	s_mov_b64 s[8:9], 0
	s_branch .LBB1310_5
.LBB1310_4:                             ;   in Loop: Header=BB1310_5 Depth=1
	s_or_b64 exec, exec, s[4:5]
	s_add_u32 s8, s8, 32
	v_add_co_u32_e32 v13, vcc, 0x200, v13
	v_mov_b32_e32 v2, s12
	s_addc_u32 s9, s9, 0
	v_addc_co_u32_e32 v14, vcc, 0, v14, vcc
	v_mov_b32_e32 v3, s13
	v_add_co_u32_e32 v15, vcc, 0x200, v15
	v_cmp_ge_i64_e64 s[4:5], s[8:9], v[2:3]
	v_addc_co_u32_e32 v16, vcc, 0, v16, vcc
	s_and_b64 vcc, exec, s[4:5]
	s_waitcnt vmcnt(0)
	s_barrier
	s_cbranch_vccnz .LBB1310_11
.LBB1310_5:                             ; =>This Inner Loop Header: Depth=1
	v_mov_b32_e32 v3, s9
	v_add_co_u32_e32 v2, vcc, s8, v1
	v_addc_co_u32_e32 v3, vcc, 0, v3, vcc
	v_cmp_gt_i64_e32 vcc, s[12:13], v[2:3]
	v_mov_b32_e32 v2, 0
	v_mov_b32_e32 v4, 0
	;; [unrolled: 1-line block ×6, first 2 shown]
	s_and_b64 s[18:19], s[0:1], vcc
	s_and_saveexec_b64 s[4:5], s[18:19]
	s_cbranch_execz .LBB1310_7
; %bb.6:                                ;   in Loop: Header=BB1310_5 Depth=1
	global_load_dwordx4 v[4:7], v[15:16], off offset:-8
	s_waitcnt vmcnt(0)
	v_xor_b32_e32 v7, 0x80000000, v7
.LBB1310_7:                             ;   in Loop: Header=BB1310_5 Depth=1
	s_or_b64 exec, exec, s[4:5]
	ds_write_b128 v19, v[4:7]
	v_mov_b32_e32 v5, s9
	v_add_co_u32_e32 v4, vcc, s8, v0
	v_addc_co_u32_e32 v5, vcc, 0, v5, vcc
	v_cmp_gt_i64_e32 vcc, s[12:13], v[4:5]
	v_mov_b32_e32 v4, 0
	v_mov_b32_e32 v5, 0
	s_and_b64 s[18:19], s[2:3], vcc
	s_and_saveexec_b64 s[4:5], s[18:19]
	s_cbranch_execz .LBB1310_9
; %bb.8:                                ;   in Loop: Header=BB1310_5 Depth=1
	global_load_dwordx4 v[2:5], v[13:14], off offset:-8
.LBB1310_9:                             ;   in Loop: Header=BB1310_5 Depth=1
	s_or_b64 exec, exec, s[4:5]
	s_waitcnt vmcnt(0)
	ds_write_b128 v21, v[2:5]
	s_waitcnt lgkmcnt(0)
	s_barrier
	s_and_saveexec_b64 s[4:5], s[6:7]
	s_cbranch_execz .LBB1310_4
; %bb.10:                               ;   in Loop: Header=BB1310_5 Depth=1
	ds_read_b128 v[22:25], v20
	ds_read_b128 v[26:29], v18
	ds_read_b128 v[30:33], v18 offset:16
	ds_read_b128 v[34:37], v18 offset:32
	;; [unrolled: 1-line block ×3, first 2 shown]
	s_waitcnt lgkmcnt(3)
	v_mul_f64 v[6:7], v[24:25], v[28:29]
	v_fma_f64 v[6:7], v[22:23], v[26:27], -v[6:7]
	v_mul_f64 v[22:23], v[22:23], v[28:29]
	v_add_f64 v[6:7], v[6:7], 0
	v_fma_f64 v[22:23], v[24:25], v[26:27], v[22:23]
	v_add_f64 v[26:27], v[22:23], 0
	ds_read_b128 v[22:25], v20 offset:512
	s_waitcnt lgkmcnt(0)
	v_mul_f64 v[28:29], v[24:25], v[32:33]
	v_fma_f64 v[28:29], v[22:23], v[30:31], -v[28:29]
	v_mul_f64 v[22:23], v[22:23], v[32:33]
	v_add_f64 v[6:7], v[6:7], v[28:29]
	v_fma_f64 v[22:23], v[24:25], v[30:31], v[22:23]
	v_add_f64 v[26:27], v[26:27], v[22:23]
	ds_read_b128 v[22:25], v20 offset:1024
	;; [unrolled: 8-line block ×3, first 2 shown]
	s_waitcnt lgkmcnt(0)
	v_mul_f64 v[28:29], v[24:25], v[4:5]
	v_mul_f64 v[4:5], v[22:23], v[4:5]
	v_fma_f64 v[28:29], v[22:23], v[2:3], -v[28:29]
	v_fma_f64 v[2:3], v[24:25], v[2:3], v[4:5]
	v_add_f64 v[6:7], v[6:7], v[28:29]
	v_add_f64 v[26:27], v[26:27], v[2:3]
	ds_read_b128 v[2:5], v20 offset:2048
	ds_read_b128 v[22:25], v18 offset:64
	s_waitcnt lgkmcnt(0)
	v_mul_f64 v[28:29], v[4:5], v[24:25]
	v_fma_f64 v[28:29], v[2:3], v[22:23], -v[28:29]
	v_mul_f64 v[2:3], v[2:3], v[24:25]
	v_add_f64 v[6:7], v[6:7], v[28:29]
	v_fma_f64 v[2:3], v[4:5], v[22:23], v[2:3]
	v_add_f64 v[26:27], v[26:27], v[2:3]
	ds_read_b128 v[2:5], v20 offset:2560
	ds_read_b128 v[22:25], v18 offset:80
	s_waitcnt lgkmcnt(0)
	v_mul_f64 v[28:29], v[4:5], v[24:25]
	v_fma_f64 v[28:29], v[2:3], v[22:23], -v[28:29]
	v_mul_f64 v[2:3], v[2:3], v[24:25]
	v_add_f64 v[6:7], v[6:7], v[28:29]
	v_fma_f64 v[2:3], v[4:5], v[22:23], v[2:3]
	v_add_f64 v[26:27], v[26:27], v[2:3]
	ds_read_b128 v[2:5], v20 offset:3072
	ds_read_b128 v[22:25], v18 offset:96
	s_waitcnt lgkmcnt(0)
	v_mul_f64 v[28:29], v[4:5], v[24:25]
	v_fma_f64 v[28:29], v[2:3], v[22:23], -v[28:29]
	v_mul_f64 v[2:3], v[2:3], v[24:25]
	v_add_f64 v[6:7], v[6:7], v[28:29]
	v_fma_f64 v[2:3], v[4:5], v[22:23], v[2:3]
	v_add_f64 v[26:27], v[26:27], v[2:3]
	ds_read_b128 v[2:5], v20 offset:3584
	ds_read_b128 v[22:25], v18 offset:112
	s_waitcnt lgkmcnt(0)
	v_mul_f64 v[28:29], v[4:5], v[24:25]
	v_fma_f64 v[28:29], v[2:3], v[22:23], -v[28:29]
	v_mul_f64 v[2:3], v[2:3], v[24:25]
	v_add_f64 v[6:7], v[6:7], v[28:29]
	v_fma_f64 v[2:3], v[4:5], v[22:23], v[2:3]
	v_add_f64 v[26:27], v[26:27], v[2:3]
	ds_read_b128 v[2:5], v20 offset:4096
	ds_read_b128 v[22:25], v18 offset:128
	s_waitcnt lgkmcnt(0)
	v_mul_f64 v[28:29], v[4:5], v[24:25]
	v_fma_f64 v[28:29], v[2:3], v[22:23], -v[28:29]
	v_mul_f64 v[2:3], v[2:3], v[24:25]
	v_add_f64 v[6:7], v[6:7], v[28:29]
	v_fma_f64 v[2:3], v[4:5], v[22:23], v[2:3]
	v_add_f64 v[26:27], v[26:27], v[2:3]
	ds_read_b128 v[2:5], v20 offset:4608
	ds_read_b128 v[22:25], v18 offset:144
	s_waitcnt lgkmcnt(0)
	v_mul_f64 v[28:29], v[4:5], v[24:25]
	v_fma_f64 v[28:29], v[2:3], v[22:23], -v[28:29]
	v_mul_f64 v[2:3], v[2:3], v[24:25]
	v_add_f64 v[6:7], v[6:7], v[28:29]
	v_fma_f64 v[2:3], v[4:5], v[22:23], v[2:3]
	v_add_f64 v[26:27], v[26:27], v[2:3]
	ds_read_b128 v[2:5], v20 offset:5120
	ds_read_b128 v[22:25], v18 offset:160
	s_waitcnt lgkmcnt(0)
	v_mul_f64 v[28:29], v[4:5], v[24:25]
	v_fma_f64 v[28:29], v[2:3], v[22:23], -v[28:29]
	v_mul_f64 v[2:3], v[2:3], v[24:25]
	v_add_f64 v[6:7], v[6:7], v[28:29]
	v_fma_f64 v[2:3], v[4:5], v[22:23], v[2:3]
	v_add_f64 v[26:27], v[26:27], v[2:3]
	ds_read_b128 v[2:5], v20 offset:5632
	ds_read_b128 v[22:25], v18 offset:176
	s_waitcnt lgkmcnt(0)
	v_mul_f64 v[28:29], v[4:5], v[24:25]
	v_fma_f64 v[28:29], v[2:3], v[22:23], -v[28:29]
	v_mul_f64 v[2:3], v[2:3], v[24:25]
	v_add_f64 v[6:7], v[6:7], v[28:29]
	v_fma_f64 v[2:3], v[4:5], v[22:23], v[2:3]
	v_add_f64 v[26:27], v[26:27], v[2:3]
	ds_read_b128 v[2:5], v20 offset:6144
	ds_read_b128 v[22:25], v18 offset:192
	s_waitcnt lgkmcnt(0)
	v_mul_f64 v[28:29], v[4:5], v[24:25]
	v_fma_f64 v[28:29], v[2:3], v[22:23], -v[28:29]
	v_mul_f64 v[2:3], v[2:3], v[24:25]
	v_add_f64 v[6:7], v[6:7], v[28:29]
	v_fma_f64 v[2:3], v[4:5], v[22:23], v[2:3]
	v_add_f64 v[26:27], v[26:27], v[2:3]
	ds_read_b128 v[2:5], v20 offset:6656
	ds_read_b128 v[22:25], v18 offset:208
	s_waitcnt lgkmcnt(0)
	v_mul_f64 v[28:29], v[4:5], v[24:25]
	v_fma_f64 v[28:29], v[2:3], v[22:23], -v[28:29]
	v_mul_f64 v[2:3], v[2:3], v[24:25]
	v_add_f64 v[6:7], v[6:7], v[28:29]
	v_fma_f64 v[2:3], v[4:5], v[22:23], v[2:3]
	v_add_f64 v[26:27], v[26:27], v[2:3]
	ds_read_b128 v[2:5], v20 offset:7168
	ds_read_b128 v[22:25], v18 offset:224
	s_waitcnt lgkmcnt(0)
	v_mul_f64 v[28:29], v[4:5], v[24:25]
	v_fma_f64 v[28:29], v[2:3], v[22:23], -v[28:29]
	v_mul_f64 v[2:3], v[2:3], v[24:25]
	v_add_f64 v[6:7], v[6:7], v[28:29]
	v_fma_f64 v[2:3], v[4:5], v[22:23], v[2:3]
	v_add_f64 v[26:27], v[26:27], v[2:3]
	ds_read_b128 v[2:5], v20 offset:7680
	ds_read_b128 v[22:25], v18 offset:240
	s_waitcnt lgkmcnt(0)
	v_mul_f64 v[28:29], v[4:5], v[24:25]
	v_fma_f64 v[28:29], v[2:3], v[22:23], -v[28:29]
	v_mul_f64 v[2:3], v[2:3], v[24:25]
	v_add_f64 v[6:7], v[6:7], v[28:29]
	v_fma_f64 v[2:3], v[4:5], v[22:23], v[2:3]
	v_add_f64 v[26:27], v[26:27], v[2:3]
	ds_read_b128 v[2:5], v20 offset:8192
	ds_read_b128 v[22:25], v18 offset:256
	s_waitcnt lgkmcnt(0)
	v_mul_f64 v[28:29], v[4:5], v[24:25]
	v_fma_f64 v[28:29], v[2:3], v[22:23], -v[28:29]
	v_mul_f64 v[2:3], v[2:3], v[24:25]
	v_add_f64 v[6:7], v[6:7], v[28:29]
	v_fma_f64 v[2:3], v[4:5], v[22:23], v[2:3]
	v_add_f64 v[26:27], v[26:27], v[2:3]
	ds_read_b128 v[2:5], v20 offset:8704
	ds_read_b128 v[22:25], v18 offset:272
	s_waitcnt lgkmcnt(0)
	v_mul_f64 v[28:29], v[4:5], v[24:25]
	v_fma_f64 v[28:29], v[2:3], v[22:23], -v[28:29]
	v_mul_f64 v[2:3], v[2:3], v[24:25]
	v_add_f64 v[6:7], v[6:7], v[28:29]
	v_fma_f64 v[2:3], v[4:5], v[22:23], v[2:3]
	v_add_f64 v[26:27], v[26:27], v[2:3]
	ds_read_b128 v[2:5], v20 offset:9216
	ds_read_b128 v[22:25], v18 offset:288
	s_waitcnt lgkmcnt(0)
	v_mul_f64 v[28:29], v[4:5], v[24:25]
	v_fma_f64 v[28:29], v[2:3], v[22:23], -v[28:29]
	v_mul_f64 v[2:3], v[2:3], v[24:25]
	v_add_f64 v[6:7], v[6:7], v[28:29]
	v_fma_f64 v[2:3], v[4:5], v[22:23], v[2:3]
	v_add_f64 v[26:27], v[26:27], v[2:3]
	ds_read_b128 v[2:5], v20 offset:9728
	ds_read_b128 v[22:25], v18 offset:304
	s_waitcnt lgkmcnt(0)
	v_mul_f64 v[28:29], v[4:5], v[24:25]
	v_fma_f64 v[28:29], v[2:3], v[22:23], -v[28:29]
	v_mul_f64 v[2:3], v[2:3], v[24:25]
	v_add_f64 v[6:7], v[6:7], v[28:29]
	v_fma_f64 v[2:3], v[4:5], v[22:23], v[2:3]
	v_add_f64 v[26:27], v[26:27], v[2:3]
	ds_read_b128 v[2:5], v20 offset:10240
	ds_read_b128 v[22:25], v18 offset:320
	s_waitcnt lgkmcnt(0)
	v_mul_f64 v[28:29], v[4:5], v[24:25]
	v_fma_f64 v[28:29], v[2:3], v[22:23], -v[28:29]
	v_mul_f64 v[2:3], v[2:3], v[24:25]
	v_add_f64 v[6:7], v[6:7], v[28:29]
	v_fma_f64 v[2:3], v[4:5], v[22:23], v[2:3]
	v_add_f64 v[26:27], v[26:27], v[2:3]
	ds_read_b128 v[2:5], v20 offset:10752
	ds_read_b128 v[22:25], v18 offset:336
	s_waitcnt lgkmcnt(0)
	v_mul_f64 v[28:29], v[4:5], v[24:25]
	v_fma_f64 v[28:29], v[2:3], v[22:23], -v[28:29]
	v_mul_f64 v[2:3], v[2:3], v[24:25]
	v_add_f64 v[6:7], v[6:7], v[28:29]
	v_fma_f64 v[2:3], v[4:5], v[22:23], v[2:3]
	v_add_f64 v[26:27], v[26:27], v[2:3]
	ds_read_b128 v[2:5], v20 offset:11264
	ds_read_b128 v[22:25], v18 offset:352
	s_waitcnt lgkmcnt(0)
	v_mul_f64 v[28:29], v[4:5], v[24:25]
	v_fma_f64 v[28:29], v[2:3], v[22:23], -v[28:29]
	v_mul_f64 v[2:3], v[2:3], v[24:25]
	v_add_f64 v[6:7], v[6:7], v[28:29]
	v_fma_f64 v[2:3], v[4:5], v[22:23], v[2:3]
	v_add_f64 v[26:27], v[26:27], v[2:3]
	ds_read_b128 v[2:5], v20 offset:11776
	ds_read_b128 v[22:25], v18 offset:368
	s_waitcnt lgkmcnt(0)
	v_mul_f64 v[28:29], v[4:5], v[24:25]
	v_fma_f64 v[28:29], v[2:3], v[22:23], -v[28:29]
	v_mul_f64 v[2:3], v[2:3], v[24:25]
	v_add_f64 v[6:7], v[6:7], v[28:29]
	v_fma_f64 v[2:3], v[4:5], v[22:23], v[2:3]
	v_add_f64 v[26:27], v[26:27], v[2:3]
	ds_read_b128 v[2:5], v20 offset:12288
	ds_read_b128 v[22:25], v18 offset:384
	s_waitcnt lgkmcnt(0)
	v_mul_f64 v[28:29], v[4:5], v[24:25]
	v_fma_f64 v[28:29], v[2:3], v[22:23], -v[28:29]
	v_mul_f64 v[2:3], v[2:3], v[24:25]
	v_add_f64 v[6:7], v[6:7], v[28:29]
	v_fma_f64 v[2:3], v[4:5], v[22:23], v[2:3]
	v_add_f64 v[26:27], v[26:27], v[2:3]
	ds_read_b128 v[2:5], v20 offset:12800
	ds_read_b128 v[22:25], v18 offset:400
	s_waitcnt lgkmcnt(0)
	v_mul_f64 v[28:29], v[4:5], v[24:25]
	v_fma_f64 v[28:29], v[2:3], v[22:23], -v[28:29]
	v_mul_f64 v[2:3], v[2:3], v[24:25]
	v_add_f64 v[6:7], v[6:7], v[28:29]
	v_fma_f64 v[2:3], v[4:5], v[22:23], v[2:3]
	v_add_f64 v[26:27], v[26:27], v[2:3]
	ds_read_b128 v[2:5], v20 offset:13312
	ds_read_b128 v[22:25], v18 offset:416
	s_waitcnt lgkmcnt(0)
	v_mul_f64 v[28:29], v[4:5], v[24:25]
	v_fma_f64 v[28:29], v[2:3], v[22:23], -v[28:29]
	v_mul_f64 v[2:3], v[2:3], v[24:25]
	v_add_f64 v[6:7], v[6:7], v[28:29]
	v_fma_f64 v[2:3], v[4:5], v[22:23], v[2:3]
	v_add_f64 v[26:27], v[26:27], v[2:3]
	ds_read_b128 v[2:5], v20 offset:13824
	ds_read_b128 v[22:25], v18 offset:432
	s_waitcnt lgkmcnt(0)
	v_mul_f64 v[28:29], v[4:5], v[24:25]
	v_fma_f64 v[28:29], v[2:3], v[22:23], -v[28:29]
	v_mul_f64 v[2:3], v[2:3], v[24:25]
	v_add_f64 v[6:7], v[6:7], v[28:29]
	v_fma_f64 v[2:3], v[4:5], v[22:23], v[2:3]
	v_add_f64 v[26:27], v[26:27], v[2:3]
	ds_read_b128 v[2:5], v20 offset:14336
	ds_read_b128 v[22:25], v18 offset:448
	s_waitcnt lgkmcnt(0)
	v_mul_f64 v[28:29], v[4:5], v[24:25]
	v_fma_f64 v[28:29], v[2:3], v[22:23], -v[28:29]
	v_mul_f64 v[2:3], v[2:3], v[24:25]
	v_add_f64 v[6:7], v[6:7], v[28:29]
	v_fma_f64 v[2:3], v[4:5], v[22:23], v[2:3]
	v_add_f64 v[26:27], v[26:27], v[2:3]
	ds_read_b128 v[2:5], v20 offset:14848
	ds_read_b128 v[22:25], v18 offset:464
	s_waitcnt lgkmcnt(0)
	v_mul_f64 v[28:29], v[4:5], v[24:25]
	v_fma_f64 v[28:29], v[2:3], v[22:23], -v[28:29]
	v_mul_f64 v[2:3], v[2:3], v[24:25]
	v_add_f64 v[6:7], v[6:7], v[28:29]
	v_fma_f64 v[2:3], v[4:5], v[22:23], v[2:3]
	v_add_f64 v[26:27], v[26:27], v[2:3]
	ds_read_b128 v[2:5], v20 offset:15360
	ds_read_b128 v[22:25], v18 offset:480
	s_waitcnt lgkmcnt(0)
	v_mul_f64 v[28:29], v[4:5], v[24:25]
	v_fma_f64 v[28:29], v[2:3], v[22:23], -v[28:29]
	v_mul_f64 v[2:3], v[2:3], v[24:25]
	v_add_f64 v[6:7], v[6:7], v[28:29]
	v_fma_f64 v[2:3], v[4:5], v[22:23], v[2:3]
	v_add_f64 v[26:27], v[26:27], v[2:3]
	ds_read_b128 v[2:5], v20 offset:15872
	ds_read_b128 v[22:25], v18 offset:496
	s_waitcnt lgkmcnt(0)
	v_mul_f64 v[28:29], v[4:5], v[24:25]
	v_fma_f64 v[28:29], v[2:3], v[22:23], -v[28:29]
	v_mul_f64 v[2:3], v[2:3], v[24:25]
	v_fma_f64 v[2:3], v[4:5], v[22:23], v[2:3]
	global_load_dwordx4 v[22:25], v[11:12], off
	v_add_f64 v[4:5], v[6:7], v[28:29]
	v_add_f64 v[6:7], v[26:27], v[2:3]
	v_mul_f64 v[2:3], s[16:17], v[6:7]
	v_mul_f64 v[6:7], s[14:15], v[6:7]
	v_fma_f64 v[2:3], s[14:15], v[4:5], -v[2:3]
	v_fma_f64 v[4:5], s[16:17], v[4:5], v[6:7]
	s_waitcnt vmcnt(0)
	v_add_f64 v[2:3], v[22:23], v[2:3]
	v_add_f64 v[4:5], v[24:25], v[4:5]
	global_store_dwordx4 v[11:12], v[2:5], off
	s_branch .LBB1310_4
.LBB1310_11:
	v_cmp_eq_u32_e32 vcc, v8, v10
	v_cmp_gt_i32_e64 s[0:1], s11, v8
	s_and_b64 s[0:1], vcc, s[0:1]
	s_and_saveexec_b64 s[2:3], s[0:1]
	s_cbranch_execz .LBB1310_13
; %bb.12:
	v_mul_lo_u32 v2, s41, v8
	v_mul_lo_u32 v3, s40, v17
	v_mad_u64_u32 v[0:1], s[0:1], s40, v8, 0
	v_mov_b32_e32 v9, v17
	v_add3_u32 v1, v1, v3, v2
	v_lshlrev_b64 v[0:1], 4, v[0:1]
	v_mov_b32_e32 v2, s28
	v_add_co_u32_e32 v3, vcc, s10, v0
	v_addc_co_u32_e32 v2, vcc, v2, v1, vcc
	v_lshlrev_b64 v[0:1], 4, v[8:9]
	v_add_co_u32_e32 v0, vcc, v3, v0
	v_addc_co_u32_e32 v1, vcc, v2, v1, vcc
	v_mov_b32_e32 v2, 0
	v_mov_b32_e32 v3, v2
	global_store_dwordx2 v[0:1], v[2:3], off offset:8
.LBB1310_13:
	s_endpgm
	.section	.rodata,"a",@progbits
	.p2align	6, 0x0
	.amdhsa_kernel _ZL26rocblas_syr2k_her2k_kernelIlLb0ELb1ELb1ELi32E19rocblas_complex_numIdEPKS1_PS1_EvbiT_T4_T5_S5_lS7_S5_lT6_S5_li
		.amdhsa_group_segment_fixed_size 32768
		.amdhsa_private_segment_fixed_size 0
		.amdhsa_kernarg_size 108
		.amdhsa_user_sgpr_count 6
		.amdhsa_user_sgpr_private_segment_buffer 1
		.amdhsa_user_sgpr_dispatch_ptr 0
		.amdhsa_user_sgpr_queue_ptr 0
		.amdhsa_user_sgpr_kernarg_segment_ptr 1
		.amdhsa_user_sgpr_dispatch_id 0
		.amdhsa_user_sgpr_flat_scratch_init 0
		.amdhsa_user_sgpr_private_segment_size 0
		.amdhsa_uses_dynamic_stack 0
		.amdhsa_system_sgpr_private_segment_wavefront_offset 0
		.amdhsa_system_sgpr_workgroup_id_x 1
		.amdhsa_system_sgpr_workgroup_id_y 1
		.amdhsa_system_sgpr_workgroup_id_z 1
		.amdhsa_system_sgpr_workgroup_info 0
		.amdhsa_system_vgpr_workitem_id 1
		.amdhsa_next_free_vgpr 38
		.amdhsa_next_free_sgpr 61
		.amdhsa_reserve_vcc 1
		.amdhsa_reserve_flat_scratch 0
		.amdhsa_float_round_mode_32 0
		.amdhsa_float_round_mode_16_64 0
		.amdhsa_float_denorm_mode_32 3
		.amdhsa_float_denorm_mode_16_64 3
		.amdhsa_dx10_clamp 1
		.amdhsa_ieee_mode 1
		.amdhsa_fp16_overflow 0
		.amdhsa_exception_fp_ieee_invalid_op 0
		.amdhsa_exception_fp_denorm_src 0
		.amdhsa_exception_fp_ieee_div_zero 0
		.amdhsa_exception_fp_ieee_overflow 0
		.amdhsa_exception_fp_ieee_underflow 0
		.amdhsa_exception_fp_ieee_inexact 0
		.amdhsa_exception_int_div_zero 0
	.end_amdhsa_kernel
	.section	.text._ZL26rocblas_syr2k_her2k_kernelIlLb0ELb1ELb1ELi32E19rocblas_complex_numIdEPKS1_PS1_EvbiT_T4_T5_S5_lS7_S5_lT6_S5_li,"axG",@progbits,_ZL26rocblas_syr2k_her2k_kernelIlLb0ELb1ELb1ELi32E19rocblas_complex_numIdEPKS1_PS1_EvbiT_T4_T5_S5_lS7_S5_lT6_S5_li,comdat
.Lfunc_end1310:
	.size	_ZL26rocblas_syr2k_her2k_kernelIlLb0ELb1ELb1ELi32E19rocblas_complex_numIdEPKS1_PS1_EvbiT_T4_T5_S5_lS7_S5_lT6_S5_li, .Lfunc_end1310-_ZL26rocblas_syr2k_her2k_kernelIlLb0ELb1ELb1ELi32E19rocblas_complex_numIdEPKS1_PS1_EvbiT_T4_T5_S5_lS7_S5_lT6_S5_li
                                        ; -- End function
	.set _ZL26rocblas_syr2k_her2k_kernelIlLb0ELb1ELb1ELi32E19rocblas_complex_numIdEPKS1_PS1_EvbiT_T4_T5_S5_lS7_S5_lT6_S5_li.num_vgpr, 38
	.set _ZL26rocblas_syr2k_her2k_kernelIlLb0ELb1ELb1ELi32E19rocblas_complex_numIdEPKS1_PS1_EvbiT_T4_T5_S5_lS7_S5_lT6_S5_li.num_agpr, 0
	.set _ZL26rocblas_syr2k_her2k_kernelIlLb0ELb1ELb1ELi32E19rocblas_complex_numIdEPKS1_PS1_EvbiT_T4_T5_S5_lS7_S5_lT6_S5_li.numbered_sgpr, 44
	.set _ZL26rocblas_syr2k_her2k_kernelIlLb0ELb1ELb1ELi32E19rocblas_complex_numIdEPKS1_PS1_EvbiT_T4_T5_S5_lS7_S5_lT6_S5_li.num_named_barrier, 0
	.set _ZL26rocblas_syr2k_her2k_kernelIlLb0ELb1ELb1ELi32E19rocblas_complex_numIdEPKS1_PS1_EvbiT_T4_T5_S5_lS7_S5_lT6_S5_li.private_seg_size, 0
	.set _ZL26rocblas_syr2k_her2k_kernelIlLb0ELb1ELb1ELi32E19rocblas_complex_numIdEPKS1_PS1_EvbiT_T4_T5_S5_lS7_S5_lT6_S5_li.uses_vcc, 1
	.set _ZL26rocblas_syr2k_her2k_kernelIlLb0ELb1ELb1ELi32E19rocblas_complex_numIdEPKS1_PS1_EvbiT_T4_T5_S5_lS7_S5_lT6_S5_li.uses_flat_scratch, 0
	.set _ZL26rocblas_syr2k_her2k_kernelIlLb0ELb1ELb1ELi32E19rocblas_complex_numIdEPKS1_PS1_EvbiT_T4_T5_S5_lS7_S5_lT6_S5_li.has_dyn_sized_stack, 0
	.set _ZL26rocblas_syr2k_her2k_kernelIlLb0ELb1ELb1ELi32E19rocblas_complex_numIdEPKS1_PS1_EvbiT_T4_T5_S5_lS7_S5_lT6_S5_li.has_recursion, 0
	.set _ZL26rocblas_syr2k_her2k_kernelIlLb0ELb1ELb1ELi32E19rocblas_complex_numIdEPKS1_PS1_EvbiT_T4_T5_S5_lS7_S5_lT6_S5_li.has_indirect_call, 0
	.section	.AMDGPU.csdata,"",@progbits
; Kernel info:
; codeLenInByte = 3108
; TotalNumSgprs: 48
; NumVgprs: 38
; ScratchSize: 0
; MemoryBound: 1
; FloatMode: 240
; IeeeMode: 1
; LDSByteSize: 32768 bytes/workgroup (compile time only)
; SGPRBlocks: 8
; VGPRBlocks: 9
; NumSGPRsForWavesPerEU: 65
; NumVGPRsForWavesPerEU: 38
; Occupancy: 6
; WaveLimiterHint : 0
; COMPUTE_PGM_RSRC2:SCRATCH_EN: 0
; COMPUTE_PGM_RSRC2:USER_SGPR: 6
; COMPUTE_PGM_RSRC2:TRAP_HANDLER: 0
; COMPUTE_PGM_RSRC2:TGID_X_EN: 1
; COMPUTE_PGM_RSRC2:TGID_Y_EN: 1
; COMPUTE_PGM_RSRC2:TGID_Z_EN: 1
; COMPUTE_PGM_RSRC2:TIDIG_COMP_CNT: 1
	.section	.text._ZL37rocblas_syrkx_herkx_restricted_kernelIl19rocblas_complex_numIdELi16ELi32ELi8ELi1ELi1ELb1ELc84ELc76EKS1_S1_EviT_PT9_S3_lS5_S3_lPT10_S3_li,"axG",@progbits,_ZL37rocblas_syrkx_herkx_restricted_kernelIl19rocblas_complex_numIdELi16ELi32ELi8ELi1ELi1ELb1ELc84ELc76EKS1_S1_EviT_PT9_S3_lS5_S3_lPT10_S3_li,comdat
	.globl	_ZL37rocblas_syrkx_herkx_restricted_kernelIl19rocblas_complex_numIdELi16ELi32ELi8ELi1ELi1ELb1ELc84ELc76EKS1_S1_EviT_PT9_S3_lS5_S3_lPT10_S3_li ; -- Begin function _ZL37rocblas_syrkx_herkx_restricted_kernelIl19rocblas_complex_numIdELi16ELi32ELi8ELi1ELi1ELb1ELc84ELc76EKS1_S1_EviT_PT9_S3_lS5_S3_lPT10_S3_li
	.p2align	8
	.type	_ZL37rocblas_syrkx_herkx_restricted_kernelIl19rocblas_complex_numIdELi16ELi32ELi8ELi1ELi1ELb1ELc84ELc76EKS1_S1_EviT_PT9_S3_lS5_S3_lPT10_S3_li,@function
_ZL37rocblas_syrkx_herkx_restricted_kernelIl19rocblas_complex_numIdELi16ELi32ELi8ELi1ELi1ELb1ELc84ELc76EKS1_S1_EviT_PT9_S3_lS5_S3_lPT10_S3_li: ; @_ZL37rocblas_syrkx_herkx_restricted_kernelIl19rocblas_complex_numIdELi16ELi32ELi8ELi1ELi1ELb1ELc84ELc76EKS1_S1_EviT_PT9_S3_lS5_S3_lPT10_S3_li
; %bb.0:
	s_load_dwordx16 s[12:27], s[4:5], 0x8
	s_lshl_b32 s2, s6, 5
	s_lshl_b32 s3, s7, 5
	s_waitcnt lgkmcnt(0)
	v_cmp_lt_i64_e64 s[0:1], s[12:13], 1
	s_and_b64 vcc, exec, s[0:1]
	s_cbranch_vccnz .LBB1311_3
; %bb.1:
	v_lshl_add_u32 v6, v1, 4, v0
	v_lshrrev_b32_e32 v8, 3, v6
	v_add_u32_e32 v4, s3, v8
	v_ashrrev_i32_e32 v5, 31, v4
	v_and_b32_e32 v2, 7, v0
	v_mov_b32_e32 v3, 0
	v_mul_lo_u32 v7, s22, v5
	v_mul_lo_u32 v9, s23, v4
	v_mad_u64_u32 v[4:5], s[0:1], s22, v4, v[2:3]
	v_lshlrev_b32_e32 v2, 4, v2
	v_lshl_or_b32 v2, v8, 7, v2
	v_add3_u32 v5, v9, v5, v7
	v_and_b32_e32 v9, 31, v6
	v_add_u32_e32 v23, 0x1000, v2
	v_mov_b32_e32 v2, 0x1000
	v_add_u32_e32 v8, s2, v9
	v_lshrrev_b32_e32 v6, 5, v6
	v_mov_b32_e32 v7, v3
	v_lshlrev_b32_e32 v3, 4, v9
	v_lshl_add_u32 v25, v1, 7, v2
	v_ashrrev_i32_e32 v2, 31, v8
	v_lshl_or_b32 v22, v6, 9, v3
	v_mul_lo_u32 v9, s16, v2
	v_mad_u64_u32 v[2:3], s[0:1], s16, v8, v[6:7]
	v_mul_lo_u32 v6, s17, v8
	s_mul_i32 s6, s19, s8
	s_mul_hi_u32 s7, s18, s8
	s_add_i32 s1, s7, s6
	s_mul_i32 s0, s18, s8
	s_lshl_b64 s[0:1], s[0:1], 4
	v_add3_u32 v3, v6, v3, v9
	v_lshlrev_b64 v[2:3], 4, v[2:3]
	s_add_u32 s0, s14, s0
	s_addc_u32 s1, s15, s1
	v_mov_b32_e32 v6, s1
	v_add_co_u32_e32 v2, vcc, s0, v2
	s_mul_i32 s0, s25, s8
	s_mul_hi_u32 s1, s24, s8
	s_add_i32 s1, s1, s0
	s_mul_i32 s0, s24, s8
	v_addc_co_u32_e32 v3, vcc, v6, v3, vcc
	s_lshl_b64 s[0:1], s[0:1], 4
	v_add_co_u32_e32 v2, vcc, 8, v2
	v_lshlrev_b64 v[4:5], 4, v[4:5]
	s_add_u32 s0, s20, s0
	v_addc_co_u32_e32 v3, vcc, 0, v3, vcc
	s_addc_u32 s1, s21, s1
	v_mov_b32_e32 v6, s1
	v_add_co_u32_e32 v4, vcc, s0, v4
	v_addc_co_u32_e32 v5, vcc, v6, v5, vcc
	v_add_co_u32_e32 v4, vcc, 8, v4
	v_mov_b32_e32 v10, 0
	v_mov_b32_e32 v12, 0
	;; [unrolled: 1-line block ×8, first 2 shown]
	v_lshlrev_b32_e32 v24, 4, v0
	v_addc_co_u32_e32 v5, vcc, 0, v5, vcc
	v_mov_b32_e32 v11, 0
	v_mov_b32_e32 v13, 0
	;; [unrolled: 1-line block ×8, first 2 shown]
	s_mov_b64 s[0:1], 0
.LBB1311_2:                             ; =>This Inner Loop Header: Depth=1
	global_load_dwordx4 v[26:29], v[2:3], off offset:-8
	s_add_u32 s0, s0, 8
	v_add_co_u32_e32 v2, vcc, 0x80, v2
	s_addc_u32 s1, s1, 0
	v_addc_co_u32_e32 v3, vcc, 0, v3, vcc
	s_waitcnt vmcnt(0)
	ds_write_b128 v22, v[26:29]
	global_load_dwordx4 v[26:29], v[4:5], off offset:-8
	v_add_co_u32_e32 v4, vcc, 0x80, v4
	v_addc_co_u32_e32 v5, vcc, 0, v5, vcc
	s_waitcnt vmcnt(0)
	ds_write_b128 v23, v[26:29]
	s_waitcnt lgkmcnt(0)
	s_barrier
	ds_read_b128 v[26:29], v25
	ds_read_b128 v[30:33], v25 offset:16
	ds_read_b128 v[34:37], v25 offset:32
	;; [unrolled: 1-line block ×3, first 2 shown]
	ds_read_b128 v[42:45], v24
	s_waitcnt lgkmcnt(0)
	v_mul_f64 v[46:47], v[28:29], v[44:45]
	v_mul_f64 v[48:49], v[26:27], v[44:45]
	v_fma_f64 v[46:47], v[26:27], v[42:43], -v[46:47]
	v_fma_f64 v[48:49], v[28:29], v[42:43], v[48:49]
	v_add_f64 v[46:47], v[18:19], v[46:47]
	v_add_f64 v[48:49], v[48:49], v[20:21]
	ds_read_b128 v[18:21], v24 offset:256
	s_waitcnt lgkmcnt(0)
	v_mul_f64 v[50:51], v[28:29], v[20:21]
	v_fma_f64 v[50:51], v[26:27], v[18:19], -v[50:51]
	v_mul_f64 v[26:27], v[26:27], v[20:21]
	v_fma_f64 v[26:27], v[28:29], v[18:19], v[26:27]
	v_add_f64 v[28:29], v[6:7], v[50:51]
	v_add_f64 v[26:27], v[26:27], v[8:9]
	ds_read_b128 v[6:9], v25 offset:2048
	s_waitcnt lgkmcnt(0)
	v_mul_f64 v[50:51], v[8:9], v[44:45]
	v_mul_f64 v[44:45], v[6:7], v[44:45]
	v_fma_f64 v[50:51], v[6:7], v[42:43], -v[50:51]
	v_fma_f64 v[42:43], v[8:9], v[42:43], v[44:45]
	v_add_f64 v[44:45], v[14:15], v[50:51]
	v_mul_f64 v[14:15], v[8:9], v[20:21]
	v_add_f64 v[42:43], v[42:43], v[16:17]
	v_fma_f64 v[14:15], v[6:7], v[18:19], -v[14:15]
	v_mul_f64 v[6:7], v[6:7], v[20:21]
	v_fma_f64 v[6:7], v[8:9], v[18:19], v[6:7]
	v_add_f64 v[18:19], v[12:13], v[14:15]
	v_add_f64 v[20:21], v[6:7], v[10:11]
	ds_read_b128 v[6:9], v24 offset:512
	s_waitcnt lgkmcnt(0)
	v_mul_f64 v[10:11], v[32:33], v[8:9]
	v_mul_f64 v[12:13], v[30:31], v[8:9]
	v_fma_f64 v[10:11], v[30:31], v[6:7], -v[10:11]
	v_fma_f64 v[12:13], v[32:33], v[6:7], v[12:13]
	v_add_f64 v[46:47], v[46:47], v[10:11]
	v_add_f64 v[48:49], v[12:13], v[48:49]
	ds_read_b128 v[10:13], v24 offset:768
	s_waitcnt lgkmcnt(0)
	v_mul_f64 v[14:15], v[32:33], v[12:13]
	v_mul_f64 v[16:17], v[30:31], v[12:13]
	v_fma_f64 v[14:15], v[30:31], v[10:11], -v[14:15]
	;; [unrolled: 8-line block ×3, first 2 shown]
	v_fma_f64 v[6:7], v[16:17], v[6:7], v[8:9]
	v_mul_f64 v[8:9], v[14:15], v[12:13]
	v_add_f64 v[30:31], v[44:45], v[30:31]
	v_add_f64 v[32:33], v[6:7], v[42:43]
	v_mul_f64 v[6:7], v[16:17], v[12:13]
	v_fma_f64 v[8:9], v[16:17], v[10:11], v[8:9]
	v_fma_f64 v[6:7], v[14:15], v[10:11], -v[6:7]
	v_add_f64 v[20:21], v[8:9], v[20:21]
	v_add_f64 v[18:19], v[18:19], v[6:7]
	ds_read_b128 v[6:9], v24 offset:1024
	s_waitcnt lgkmcnt(0)
	v_mul_f64 v[10:11], v[36:37], v[8:9]
	v_mul_f64 v[12:13], v[34:35], v[8:9]
	v_fma_f64 v[10:11], v[34:35], v[6:7], -v[10:11]
	v_fma_f64 v[12:13], v[36:37], v[6:7], v[12:13]
	v_add_f64 v[42:43], v[46:47], v[10:11]
	v_add_f64 v[44:45], v[12:13], v[48:49]
	ds_read_b128 v[10:13], v24 offset:1280
	s_waitcnt lgkmcnt(0)
	v_mul_f64 v[14:15], v[36:37], v[12:13]
	v_mul_f64 v[16:17], v[34:35], v[12:13]
	v_fma_f64 v[14:15], v[34:35], v[10:11], -v[14:15]
	v_fma_f64 v[16:17], v[36:37], v[10:11], v[16:17]
	;; [unrolled: 8-line block ×3, first 2 shown]
	v_mul_f64 v[8:9], v[14:15], v[12:13]
	v_add_f64 v[30:31], v[30:31], v[34:35]
	v_add_f64 v[32:33], v[6:7], v[32:33]
	v_mul_f64 v[6:7], v[16:17], v[12:13]
	v_fma_f64 v[8:9], v[16:17], v[10:11], v[8:9]
	v_fma_f64 v[6:7], v[14:15], v[10:11], -v[6:7]
	v_add_f64 v[20:21], v[8:9], v[20:21]
	v_add_f64 v[18:19], v[18:19], v[6:7]
	ds_read_b128 v[6:9], v24 offset:1536
	s_waitcnt lgkmcnt(0)
	v_mul_f64 v[10:11], v[40:41], v[8:9]
	v_mul_f64 v[12:13], v[38:39], v[8:9]
	v_fma_f64 v[10:11], v[38:39], v[6:7], -v[10:11]
	v_fma_f64 v[12:13], v[40:41], v[6:7], v[12:13]
	v_add_f64 v[34:35], v[42:43], v[10:11]
	v_add_f64 v[36:37], v[12:13], v[44:45]
	ds_read_b128 v[10:13], v24 offset:1792
	s_waitcnt lgkmcnt(0)
	v_mul_f64 v[14:15], v[40:41], v[12:13]
	v_mul_f64 v[16:17], v[38:39], v[12:13]
	v_fma_f64 v[14:15], v[38:39], v[10:11], -v[14:15]
	v_fma_f64 v[16:17], v[40:41], v[10:11], v[16:17]
	;; [unrolled: 8-line block ×3, first 2 shown]
	v_mul_f64 v[8:9], v[14:15], v[12:13]
	v_add_f64 v[30:31], v[30:31], v[38:39]
	v_add_f64 v[32:33], v[6:7], v[32:33]
	v_mul_f64 v[6:7], v[16:17], v[12:13]
	v_fma_f64 v[8:9], v[16:17], v[10:11], v[8:9]
	v_fma_f64 v[6:7], v[14:15], v[10:11], -v[6:7]
	v_add_f64 v[20:21], v[8:9], v[20:21]
	v_add_f64 v[18:19], v[18:19], v[6:7]
	ds_read_b128 v[6:9], v25 offset:64
	ds_read_b128 v[10:13], v24 offset:2048
	s_waitcnt lgkmcnt(0)
	v_mul_f64 v[14:15], v[8:9], v[12:13]
	v_mul_f64 v[16:17], v[6:7], v[12:13]
	v_fma_f64 v[14:15], v[6:7], v[10:11], -v[14:15]
	v_fma_f64 v[16:17], v[8:9], v[10:11], v[16:17]
	v_add_f64 v[34:35], v[34:35], v[14:15]
	v_add_f64 v[36:37], v[16:17], v[36:37]
	ds_read_b128 v[14:17], v24 offset:2304
	s_waitcnt lgkmcnt(0)
	v_mul_f64 v[38:39], v[8:9], v[16:17]
	v_fma_f64 v[38:39], v[6:7], v[14:15], -v[38:39]
	v_mul_f64 v[6:7], v[6:7], v[16:17]
	v_add_f64 v[28:29], v[28:29], v[38:39]
	v_fma_f64 v[6:7], v[8:9], v[14:15], v[6:7]
	v_add_f64 v[26:27], v[6:7], v[26:27]
	ds_read_b128 v[6:9], v25 offset:2112
	s_waitcnt lgkmcnt(0)
	v_mul_f64 v[38:39], v[8:9], v[12:13]
	v_mul_f64 v[12:13], v[6:7], v[12:13]
	v_fma_f64 v[38:39], v[6:7], v[10:11], -v[38:39]
	v_fma_f64 v[10:11], v[8:9], v[10:11], v[12:13]
	v_add_f64 v[30:31], v[30:31], v[38:39]
	v_add_f64 v[32:33], v[10:11], v[32:33]
	v_mul_f64 v[10:11], v[8:9], v[16:17]
	v_fma_f64 v[10:11], v[6:7], v[14:15], -v[10:11]
	v_mul_f64 v[6:7], v[6:7], v[16:17]
	v_add_f64 v[18:19], v[18:19], v[10:11]
	v_fma_f64 v[6:7], v[8:9], v[14:15], v[6:7]
	v_add_f64 v[20:21], v[6:7], v[20:21]
	ds_read_b128 v[6:9], v25 offset:80
	ds_read_b128 v[10:13], v24 offset:2560
	s_waitcnt lgkmcnt(0)
	v_mul_f64 v[14:15], v[8:9], v[12:13]
	v_mul_f64 v[16:17], v[6:7], v[12:13]
	v_fma_f64 v[14:15], v[6:7], v[10:11], -v[14:15]
	v_fma_f64 v[16:17], v[8:9], v[10:11], v[16:17]
	v_add_f64 v[34:35], v[34:35], v[14:15]
	v_add_f64 v[36:37], v[16:17], v[36:37]
	ds_read_b128 v[14:17], v24 offset:2816
	s_waitcnt lgkmcnt(0)
	v_mul_f64 v[38:39], v[8:9], v[16:17]
	v_fma_f64 v[38:39], v[6:7], v[14:15], -v[38:39]
	v_mul_f64 v[6:7], v[6:7], v[16:17]
	v_add_f64 v[28:29], v[28:29], v[38:39]
	v_fma_f64 v[6:7], v[8:9], v[14:15], v[6:7]
	v_add_f64 v[26:27], v[6:7], v[26:27]
	ds_read_b128 v[6:9], v25 offset:2128
	s_waitcnt lgkmcnt(0)
	v_mul_f64 v[38:39], v[8:9], v[12:13]
	v_mul_f64 v[12:13], v[6:7], v[12:13]
	v_fma_f64 v[38:39], v[6:7], v[10:11], -v[38:39]
	v_fma_f64 v[10:11], v[8:9], v[10:11], v[12:13]
	v_add_f64 v[30:31], v[30:31], v[38:39]
	v_add_f64 v[32:33], v[10:11], v[32:33]
	v_mul_f64 v[10:11], v[8:9], v[16:17]
	v_fma_f64 v[10:11], v[6:7], v[14:15], -v[10:11]
	v_mul_f64 v[6:7], v[6:7], v[16:17]
	v_add_f64 v[18:19], v[18:19], v[10:11]
	v_fma_f64 v[6:7], v[8:9], v[14:15], v[6:7]
	;; [unrolled: 31-line block ×3, first 2 shown]
	v_add_f64 v[48:49], v[6:7], v[20:21]
	ds_read_b128 v[6:9], v25 offset:112
	ds_read_b128 v[10:13], v24 offset:3584
	;; [unrolled: 1-line block ×4, first 2 shown]
	s_waitcnt lgkmcnt(0)
	s_barrier
	v_mul_f64 v[14:15], v[8:9], v[12:13]
	v_mul_f64 v[16:17], v[6:7], v[12:13]
	v_fma_f64 v[14:15], v[6:7], v[10:11], -v[14:15]
	v_fma_f64 v[16:17], v[8:9], v[10:11], v[16:17]
	v_add_f64 v[18:19], v[34:35], v[14:15]
	v_mul_f64 v[14:15], v[8:9], v[28:29]
	v_add_f64 v[20:21], v[16:17], v[36:37]
	v_fma_f64 v[14:15], v[6:7], v[26:27], -v[14:15]
	v_mul_f64 v[6:7], v[6:7], v[28:29]
	v_fma_f64 v[8:9], v[8:9], v[26:27], v[6:7]
	v_add_f64 v[6:7], v[38:39], v[14:15]
	v_mul_f64 v[14:15], v[32:33], v[12:13]
	v_mul_f64 v[12:13], v[30:31], v[12:13]
	v_add_f64 v[8:9], v[8:9], v[40:41]
	v_fma_f64 v[14:15], v[30:31], v[10:11], -v[14:15]
	v_fma_f64 v[10:11], v[32:33], v[10:11], v[12:13]
	v_mul_f64 v[12:13], v[30:31], v[28:29]
	v_add_f64 v[14:15], v[42:43], v[14:15]
	v_add_f64 v[16:17], v[10:11], v[44:45]
	v_mul_f64 v[10:11], v[32:33], v[28:29]
	v_fma_f64 v[10:11], v[30:31], v[26:27], -v[10:11]
	v_fma_f64 v[26:27], v[32:33], v[26:27], v[12:13]
	v_add_f64 v[12:13], v[46:47], v[10:11]
	v_add_f64 v[10:11], v[26:27], v[48:49]
	v_mov_b32_e32 v27, s1
	v_mov_b32_e32 v26, s0
	v_cmp_le_u64_e32 vcc, s[12:13], v[26:27]
	s_cbranch_vccz .LBB1311_2
	s_branch .LBB1311_4
.LBB1311_3:
	v_mov_b32_e32 v18, 0
	v_mov_b32_e32 v20, 0
	;; [unrolled: 1-line block ×16, first 2 shown]
.LBB1311_4:
	s_load_dwordx4 s[12:15], s[4:5], 0x48
	s_load_dword s9, s[4:5], 0x0
	v_add_u32_e32 v4, s3, v1
	v_ashrrev_i32_e32 v1, 31, v4
	v_add_u32_e32 v0, s2, v0
	s_waitcnt lgkmcnt(0)
	v_mul_lo_u32 v3, s12, v1
	v_mul_lo_u32 v5, s13, v4
	v_mad_u64_u32 v[1:2], s[4:5], s12, v4, 0
	s_mul_i32 s1, s15, s8
	s_mul_hi_u32 s3, s14, s8
	s_mul_i32 s0, s14, s8
	s_add_i32 s1, s3, s1
	s_lshl_b64 s[0:1], s[0:1], 4
	v_add3_u32 v2, v2, v3, v5
	s_add_u32 s6, s26, s0
	v_lshlrev_b64 v[1:2], 4, v[1:2]
	s_addc_u32 s7, s27, s1
	v_mov_b32_e32 v3, s7
	v_add_co_u32_e32 v5, vcc, s6, v1
	v_addc_co_u32_e32 v22, vcc, v3, v2, vcc
	v_cmp_le_i32_e64 s[0:1], v4, v0
	v_cmp_gt_i32_e32 vcc, s9, v0
	s_and_b64 s[0:1], s[0:1], vcc
	s_and_saveexec_b64 s[2:3], s[0:1]
	s_cbranch_execz .LBB1311_6
; %bb.5:
	v_ashrrev_i32_e32 v1, 31, v0
	v_lshlrev_b64 v[1:2], 4, v[0:1]
	v_add_co_u32_e64 v1, s[0:1], v5, v1
	v_addc_co_u32_e64 v2, s[0:1], v22, v2, s[0:1]
	global_load_dwordx4 v[23:26], v[1:2], off
	v_cmp_ne_u32_e64 s[0:1], v4, v0
	s_waitcnt vmcnt(0)
	v_add_f64 v[20:21], v[20:21], v[25:26]
	v_add_f64 v[18:19], v[18:19], v[23:24]
	v_cndmask_b32_e64 v21, 0, v21, s[0:1]
	v_cndmask_b32_e64 v20, 0, v20, s[0:1]
	global_store_dwordx4 v[1:2], v[18:21], off
.LBB1311_6:
	s_or_b64 exec, exec, s[2:3]
	v_add_u32_e32 v2, 16, v0
	v_cmp_le_i32_e64 s[2:3], v4, v2
	v_cmp_gt_i32_e64 s[0:1], s9, v2
	s_and_b64 s[2:3], s[2:3], s[0:1]
	s_and_saveexec_b64 s[4:5], s[2:3]
	s_cbranch_execz .LBB1311_8
; %bb.7:
	v_ashrrev_i32_e32 v3, 31, v2
	v_lshlrev_b64 v[18:19], 4, v[2:3]
	v_add_co_u32_e64 v23, s[2:3], v5, v18
	v_addc_co_u32_e64 v24, s[2:3], v22, v19, s[2:3]
	global_load_dwordx4 v[18:21], v[23:24], off
	v_cmp_ne_u32_e64 s[2:3], v4, v2
	s_waitcnt vmcnt(0)
	v_add_f64 v[20:21], v[8:9], v[20:21]
	v_add_f64 v[5:6], v[6:7], v[18:19]
	v_cndmask_b32_e64 v8, 0, v21, s[2:3]
	v_cndmask_b32_e64 v7, 0, v20, s[2:3]
	global_store_dwordx4 v[23:24], v[5:8], off
.LBB1311_8:
	s_or_b64 exec, exec, s[4:5]
	v_add_u32_e32 v3, 16, v4
	v_ashrrev_i32_e32 v1, 31, v3
	v_mul_lo_u32 v7, s13, v3
	v_mad_u64_u32 v[5:6], s[2:3], s12, v3, 0
	v_mul_lo_u32 v1, s12, v1
	v_add3_u32 v6, v6, v1, v7
	v_lshlrev_b64 v[5:6], 4, v[5:6]
	v_mov_b32_e32 v1, s7
	v_add_co_u32_e64 v5, s[2:3], s6, v5
	v_addc_co_u32_e64 v6, s[2:3], v1, v6, s[2:3]
	v_cmp_le_i32_e64 s[2:3], v3, v0
	s_and_b64 s[4:5], s[2:3], vcc
	s_and_saveexec_b64 s[2:3], s[4:5]
	s_cbranch_execz .LBB1311_10
; %bb.9:
	v_ashrrev_i32_e32 v1, 31, v0
	v_lshlrev_b64 v[7:8], 4, v[0:1]
	v_add_co_u32_e32 v7, vcc, v5, v7
	v_addc_co_u32_e32 v8, vcc, v6, v8, vcc
	global_load_dwordx4 v[18:21], v[7:8], off
	v_cmp_ne_u32_e32 vcc, v3, v0
	s_waitcnt vmcnt(0)
	v_add_f64 v[16:17], v[16:17], v[20:21]
	v_add_f64 v[14:15], v[14:15], v[18:19]
	v_cndmask_b32_e32 v17, 0, v17, vcc
	v_cndmask_b32_e32 v16, 0, v16, vcc
	global_store_dwordx4 v[7:8], v[14:17], off
.LBB1311_10:
	s_or_b64 exec, exec, s[2:3]
	v_cmp_le_i32_e32 vcc, v3, v2
	s_and_b64 s[0:1], vcc, s[0:1]
	s_and_saveexec_b64 s[2:3], s[0:1]
	s_cbranch_execz .LBB1311_12
; %bb.11:
	v_ashrrev_i32_e32 v3, 31, v2
	v_lshlrev_b64 v[1:2], 4, v[2:3]
	v_add_co_u32_e32 v14, vcc, v5, v1
	v_addc_co_u32_e32 v15, vcc, v6, v2, vcc
	global_load_dwordx4 v[5:8], v[14:15], off
	v_cmp_ne_u32_e32 vcc, v4, v0
	s_waitcnt vmcnt(0)
	v_add_f64 v[7:8], v[10:11], v[7:8]
	v_add_f64 v[1:2], v[12:13], v[5:6]
	v_cndmask_b32_e32 v4, 0, v8, vcc
	v_cndmask_b32_e32 v3, 0, v7, vcc
	global_store_dwordx4 v[14:15], v[1:4], off
.LBB1311_12:
	s_endpgm
	.section	.rodata,"a",@progbits
	.p2align	6, 0x0
	.amdhsa_kernel _ZL37rocblas_syrkx_herkx_restricted_kernelIl19rocblas_complex_numIdELi16ELi32ELi8ELi1ELi1ELb1ELc84ELc76EKS1_S1_EviT_PT9_S3_lS5_S3_lPT10_S3_li
		.amdhsa_group_segment_fixed_size 8192
		.amdhsa_private_segment_fixed_size 0
		.amdhsa_kernarg_size 92
		.amdhsa_user_sgpr_count 6
		.amdhsa_user_sgpr_private_segment_buffer 1
		.amdhsa_user_sgpr_dispatch_ptr 0
		.amdhsa_user_sgpr_queue_ptr 0
		.amdhsa_user_sgpr_kernarg_segment_ptr 1
		.amdhsa_user_sgpr_dispatch_id 0
		.amdhsa_user_sgpr_flat_scratch_init 0
		.amdhsa_user_sgpr_private_segment_size 0
		.amdhsa_uses_dynamic_stack 0
		.amdhsa_system_sgpr_private_segment_wavefront_offset 0
		.amdhsa_system_sgpr_workgroup_id_x 1
		.amdhsa_system_sgpr_workgroup_id_y 1
		.amdhsa_system_sgpr_workgroup_id_z 1
		.amdhsa_system_sgpr_workgroup_info 0
		.amdhsa_system_vgpr_workitem_id 1
		.amdhsa_next_free_vgpr 52
		.amdhsa_next_free_sgpr 61
		.amdhsa_reserve_vcc 1
		.amdhsa_reserve_flat_scratch 0
		.amdhsa_float_round_mode_32 0
		.amdhsa_float_round_mode_16_64 0
		.amdhsa_float_denorm_mode_32 3
		.amdhsa_float_denorm_mode_16_64 3
		.amdhsa_dx10_clamp 1
		.amdhsa_ieee_mode 1
		.amdhsa_fp16_overflow 0
		.amdhsa_exception_fp_ieee_invalid_op 0
		.amdhsa_exception_fp_denorm_src 0
		.amdhsa_exception_fp_ieee_div_zero 0
		.amdhsa_exception_fp_ieee_overflow 0
		.amdhsa_exception_fp_ieee_underflow 0
		.amdhsa_exception_fp_ieee_inexact 0
		.amdhsa_exception_int_div_zero 0
	.end_amdhsa_kernel
	.section	.text._ZL37rocblas_syrkx_herkx_restricted_kernelIl19rocblas_complex_numIdELi16ELi32ELi8ELi1ELi1ELb1ELc84ELc76EKS1_S1_EviT_PT9_S3_lS5_S3_lPT10_S3_li,"axG",@progbits,_ZL37rocblas_syrkx_herkx_restricted_kernelIl19rocblas_complex_numIdELi16ELi32ELi8ELi1ELi1ELb1ELc84ELc76EKS1_S1_EviT_PT9_S3_lS5_S3_lPT10_S3_li,comdat
.Lfunc_end1311:
	.size	_ZL37rocblas_syrkx_herkx_restricted_kernelIl19rocblas_complex_numIdELi16ELi32ELi8ELi1ELi1ELb1ELc84ELc76EKS1_S1_EviT_PT9_S3_lS5_S3_lPT10_S3_li, .Lfunc_end1311-_ZL37rocblas_syrkx_herkx_restricted_kernelIl19rocblas_complex_numIdELi16ELi32ELi8ELi1ELi1ELb1ELc84ELc76EKS1_S1_EviT_PT9_S3_lS5_S3_lPT10_S3_li
                                        ; -- End function
	.set _ZL37rocblas_syrkx_herkx_restricted_kernelIl19rocblas_complex_numIdELi16ELi32ELi8ELi1ELi1ELb1ELc84ELc76EKS1_S1_EviT_PT9_S3_lS5_S3_lPT10_S3_li.num_vgpr, 52
	.set _ZL37rocblas_syrkx_herkx_restricted_kernelIl19rocblas_complex_numIdELi16ELi32ELi8ELi1ELi1ELb1ELc84ELc76EKS1_S1_EviT_PT9_S3_lS5_S3_lPT10_S3_li.num_agpr, 0
	.set _ZL37rocblas_syrkx_herkx_restricted_kernelIl19rocblas_complex_numIdELi16ELi32ELi8ELi1ELi1ELb1ELc84ELc76EKS1_S1_EviT_PT9_S3_lS5_S3_lPT10_S3_li.numbered_sgpr, 28
	.set _ZL37rocblas_syrkx_herkx_restricted_kernelIl19rocblas_complex_numIdELi16ELi32ELi8ELi1ELi1ELb1ELc84ELc76EKS1_S1_EviT_PT9_S3_lS5_S3_lPT10_S3_li.num_named_barrier, 0
	.set _ZL37rocblas_syrkx_herkx_restricted_kernelIl19rocblas_complex_numIdELi16ELi32ELi8ELi1ELi1ELb1ELc84ELc76EKS1_S1_EviT_PT9_S3_lS5_S3_lPT10_S3_li.private_seg_size, 0
	.set _ZL37rocblas_syrkx_herkx_restricted_kernelIl19rocblas_complex_numIdELi16ELi32ELi8ELi1ELi1ELb1ELc84ELc76EKS1_S1_EviT_PT9_S3_lS5_S3_lPT10_S3_li.uses_vcc, 1
	.set _ZL37rocblas_syrkx_herkx_restricted_kernelIl19rocblas_complex_numIdELi16ELi32ELi8ELi1ELi1ELb1ELc84ELc76EKS1_S1_EviT_PT9_S3_lS5_S3_lPT10_S3_li.uses_flat_scratch, 0
	.set _ZL37rocblas_syrkx_herkx_restricted_kernelIl19rocblas_complex_numIdELi16ELi32ELi8ELi1ELi1ELb1ELc84ELc76EKS1_S1_EviT_PT9_S3_lS5_S3_lPT10_S3_li.has_dyn_sized_stack, 0
	.set _ZL37rocblas_syrkx_herkx_restricted_kernelIl19rocblas_complex_numIdELi16ELi32ELi8ELi1ELi1ELb1ELc84ELc76EKS1_S1_EviT_PT9_S3_lS5_S3_lPT10_S3_li.has_recursion, 0
	.set _ZL37rocblas_syrkx_herkx_restricted_kernelIl19rocblas_complex_numIdELi16ELi32ELi8ELi1ELi1ELb1ELc84ELc76EKS1_S1_EviT_PT9_S3_lS5_S3_lPT10_S3_li.has_indirect_call, 0
	.section	.AMDGPU.csdata,"",@progbits
; Kernel info:
; codeLenInByte = 3028
; TotalNumSgprs: 32
; NumVgprs: 52
; ScratchSize: 0
; MemoryBound: 0
; FloatMode: 240
; IeeeMode: 1
; LDSByteSize: 8192 bytes/workgroup (compile time only)
; SGPRBlocks: 8
; VGPRBlocks: 12
; NumSGPRsForWavesPerEU: 65
; NumVGPRsForWavesPerEU: 52
; Occupancy: 4
; WaveLimiterHint : 1
; COMPUTE_PGM_RSRC2:SCRATCH_EN: 0
; COMPUTE_PGM_RSRC2:USER_SGPR: 6
; COMPUTE_PGM_RSRC2:TRAP_HANDLER: 0
; COMPUTE_PGM_RSRC2:TGID_X_EN: 1
; COMPUTE_PGM_RSRC2:TGID_Y_EN: 1
; COMPUTE_PGM_RSRC2:TGID_Z_EN: 1
; COMPUTE_PGM_RSRC2:TIDIG_COMP_CNT: 1
	.section	.text._ZL37rocblas_syrkx_herkx_restricted_kernelIl19rocblas_complex_numIdELi16ELi32ELi8ELi1ELi1ELb1ELc67ELc76EKS1_S1_EviT_PT9_S3_lS5_S3_lPT10_S3_li,"axG",@progbits,_ZL37rocblas_syrkx_herkx_restricted_kernelIl19rocblas_complex_numIdELi16ELi32ELi8ELi1ELi1ELb1ELc67ELc76EKS1_S1_EviT_PT9_S3_lS5_S3_lPT10_S3_li,comdat
	.globl	_ZL37rocblas_syrkx_herkx_restricted_kernelIl19rocblas_complex_numIdELi16ELi32ELi8ELi1ELi1ELb1ELc67ELc76EKS1_S1_EviT_PT9_S3_lS5_S3_lPT10_S3_li ; -- Begin function _ZL37rocblas_syrkx_herkx_restricted_kernelIl19rocblas_complex_numIdELi16ELi32ELi8ELi1ELi1ELb1ELc67ELc76EKS1_S1_EviT_PT9_S3_lS5_S3_lPT10_S3_li
	.p2align	8
	.type	_ZL37rocblas_syrkx_herkx_restricted_kernelIl19rocblas_complex_numIdELi16ELi32ELi8ELi1ELi1ELb1ELc67ELc76EKS1_S1_EviT_PT9_S3_lS5_S3_lPT10_S3_li,@function
_ZL37rocblas_syrkx_herkx_restricted_kernelIl19rocblas_complex_numIdELi16ELi32ELi8ELi1ELi1ELb1ELc67ELc76EKS1_S1_EviT_PT9_S3_lS5_S3_lPT10_S3_li: ; @_ZL37rocblas_syrkx_herkx_restricted_kernelIl19rocblas_complex_numIdELi16ELi32ELi8ELi1ELi1ELb1ELc67ELc76EKS1_S1_EviT_PT9_S3_lS5_S3_lPT10_S3_li
; %bb.0:
	s_load_dwordx16 s[12:27], s[4:5], 0x8
	s_lshl_b32 s2, s6, 5
	s_lshl_b32 s3, s7, 5
	s_waitcnt lgkmcnt(0)
	v_cmp_lt_i64_e64 s[0:1], s[12:13], 1
	s_and_b64 vcc, exec, s[0:1]
	s_cbranch_vccnz .LBB1312_3
; %bb.1:
	v_lshl_add_u32 v6, v1, 4, v0
	v_lshrrev_b32_e32 v8, 3, v6
	v_add_u32_e32 v4, s3, v8
	v_ashrrev_i32_e32 v5, 31, v4
	v_and_b32_e32 v2, 7, v0
	v_mov_b32_e32 v3, 0
	v_mul_lo_u32 v7, s22, v5
	v_mul_lo_u32 v9, s23, v4
	v_mad_u64_u32 v[4:5], s[0:1], s22, v4, v[2:3]
	v_lshlrev_b32_e32 v2, 4, v2
	v_lshl_or_b32 v2, v8, 7, v2
	v_add3_u32 v5, v9, v5, v7
	v_and_b32_e32 v9, 31, v6
	v_add_u32_e32 v23, 0x1000, v2
	v_mov_b32_e32 v2, 0x1000
	v_add_u32_e32 v8, s2, v9
	v_lshrrev_b32_e32 v6, 5, v6
	v_mov_b32_e32 v7, v3
	v_lshlrev_b32_e32 v3, 4, v9
	v_lshl_add_u32 v25, v1, 7, v2
	v_ashrrev_i32_e32 v2, 31, v8
	v_lshl_or_b32 v22, v6, 9, v3
	v_mul_lo_u32 v9, s16, v2
	v_mad_u64_u32 v[2:3], s[0:1], s16, v8, v[6:7]
	v_mul_lo_u32 v6, s17, v8
	s_mul_i32 s6, s19, s8
	s_mul_hi_u32 s7, s18, s8
	s_add_i32 s1, s7, s6
	s_mul_i32 s0, s18, s8
	s_lshl_b64 s[0:1], s[0:1], 4
	v_add3_u32 v3, v6, v3, v9
	v_lshlrev_b64 v[2:3], 4, v[2:3]
	s_add_u32 s0, s14, s0
	s_addc_u32 s1, s15, s1
	v_mov_b32_e32 v6, s1
	v_add_co_u32_e32 v2, vcc, s0, v2
	s_mul_i32 s0, s25, s8
	s_mul_hi_u32 s1, s24, s8
	s_add_i32 s1, s1, s0
	s_mul_i32 s0, s24, s8
	v_addc_co_u32_e32 v3, vcc, v6, v3, vcc
	s_lshl_b64 s[0:1], s[0:1], 4
	v_add_co_u32_e32 v2, vcc, 8, v2
	v_lshlrev_b64 v[4:5], 4, v[4:5]
	s_add_u32 s0, s20, s0
	v_addc_co_u32_e32 v3, vcc, 0, v3, vcc
	s_addc_u32 s1, s21, s1
	v_mov_b32_e32 v6, s1
	v_add_co_u32_e32 v4, vcc, s0, v4
	v_addc_co_u32_e32 v5, vcc, v6, v5, vcc
	v_add_co_u32_e32 v4, vcc, 8, v4
	v_mov_b32_e32 v10, 0
	v_mov_b32_e32 v12, 0
	;; [unrolled: 1-line block ×8, first 2 shown]
	v_lshlrev_b32_e32 v24, 4, v0
	v_addc_co_u32_e32 v5, vcc, 0, v5, vcc
	v_mov_b32_e32 v11, 0
	v_mov_b32_e32 v13, 0
	;; [unrolled: 1-line block ×8, first 2 shown]
	s_mov_b64 s[0:1], 0
.LBB1312_2:                             ; =>This Inner Loop Header: Depth=1
	global_load_dwordx4 v[26:29], v[2:3], off offset:-8
	s_add_u32 s0, s0, 8
	v_add_co_u32_e32 v2, vcc, 0x80, v2
	s_addc_u32 s1, s1, 0
	v_addc_co_u32_e32 v3, vcc, 0, v3, vcc
	s_waitcnt vmcnt(0)
	v_xor_b32_e32 v29, 0x80000000, v29
	ds_write_b128 v22, v[26:29]
	global_load_dwordx4 v[26:29], v[4:5], off offset:-8
	v_add_co_u32_e32 v4, vcc, 0x80, v4
	v_addc_co_u32_e32 v5, vcc, 0, v5, vcc
	s_waitcnt vmcnt(0)
	ds_write_b128 v23, v[26:29]
	s_waitcnt lgkmcnt(0)
	s_barrier
	ds_read_b128 v[26:29], v25
	ds_read_b128 v[30:33], v25 offset:16
	ds_read_b128 v[34:37], v25 offset:32
	;; [unrolled: 1-line block ×3, first 2 shown]
	ds_read_b128 v[42:45], v24
	s_waitcnt lgkmcnt(0)
	v_mul_f64 v[46:47], v[28:29], v[44:45]
	v_mul_f64 v[48:49], v[26:27], v[44:45]
	v_fma_f64 v[46:47], v[26:27], v[42:43], -v[46:47]
	v_fma_f64 v[48:49], v[28:29], v[42:43], v[48:49]
	v_add_f64 v[46:47], v[18:19], v[46:47]
	v_add_f64 v[48:49], v[48:49], v[20:21]
	ds_read_b128 v[18:21], v24 offset:256
	s_waitcnt lgkmcnt(0)
	v_mul_f64 v[50:51], v[28:29], v[20:21]
	v_fma_f64 v[50:51], v[26:27], v[18:19], -v[50:51]
	v_mul_f64 v[26:27], v[26:27], v[20:21]
	v_fma_f64 v[26:27], v[28:29], v[18:19], v[26:27]
	v_add_f64 v[28:29], v[6:7], v[50:51]
	v_add_f64 v[26:27], v[26:27], v[8:9]
	ds_read_b128 v[6:9], v25 offset:2048
	s_waitcnt lgkmcnt(0)
	v_mul_f64 v[50:51], v[8:9], v[44:45]
	v_mul_f64 v[44:45], v[6:7], v[44:45]
	v_fma_f64 v[50:51], v[6:7], v[42:43], -v[50:51]
	v_fma_f64 v[42:43], v[8:9], v[42:43], v[44:45]
	v_add_f64 v[44:45], v[14:15], v[50:51]
	v_mul_f64 v[14:15], v[8:9], v[20:21]
	v_add_f64 v[42:43], v[42:43], v[16:17]
	v_fma_f64 v[14:15], v[6:7], v[18:19], -v[14:15]
	v_mul_f64 v[6:7], v[6:7], v[20:21]
	v_fma_f64 v[6:7], v[8:9], v[18:19], v[6:7]
	v_add_f64 v[18:19], v[12:13], v[14:15]
	v_add_f64 v[20:21], v[6:7], v[10:11]
	ds_read_b128 v[6:9], v24 offset:512
	s_waitcnt lgkmcnt(0)
	v_mul_f64 v[10:11], v[32:33], v[8:9]
	v_mul_f64 v[12:13], v[30:31], v[8:9]
	v_fma_f64 v[10:11], v[30:31], v[6:7], -v[10:11]
	v_fma_f64 v[12:13], v[32:33], v[6:7], v[12:13]
	v_add_f64 v[46:47], v[46:47], v[10:11]
	v_add_f64 v[48:49], v[12:13], v[48:49]
	ds_read_b128 v[10:13], v24 offset:768
	s_waitcnt lgkmcnt(0)
	v_mul_f64 v[14:15], v[32:33], v[12:13]
	v_mul_f64 v[16:17], v[30:31], v[12:13]
	v_fma_f64 v[14:15], v[30:31], v[10:11], -v[14:15]
	;; [unrolled: 8-line block ×3, first 2 shown]
	v_fma_f64 v[6:7], v[16:17], v[6:7], v[8:9]
	v_mul_f64 v[8:9], v[14:15], v[12:13]
	v_add_f64 v[30:31], v[44:45], v[30:31]
	v_add_f64 v[32:33], v[6:7], v[42:43]
	v_mul_f64 v[6:7], v[16:17], v[12:13]
	v_fma_f64 v[8:9], v[16:17], v[10:11], v[8:9]
	v_fma_f64 v[6:7], v[14:15], v[10:11], -v[6:7]
	v_add_f64 v[20:21], v[8:9], v[20:21]
	v_add_f64 v[18:19], v[18:19], v[6:7]
	ds_read_b128 v[6:9], v24 offset:1024
	s_waitcnt lgkmcnt(0)
	v_mul_f64 v[10:11], v[36:37], v[8:9]
	v_mul_f64 v[12:13], v[34:35], v[8:9]
	v_fma_f64 v[10:11], v[34:35], v[6:7], -v[10:11]
	v_fma_f64 v[12:13], v[36:37], v[6:7], v[12:13]
	v_add_f64 v[42:43], v[46:47], v[10:11]
	v_add_f64 v[44:45], v[12:13], v[48:49]
	ds_read_b128 v[10:13], v24 offset:1280
	s_waitcnt lgkmcnt(0)
	v_mul_f64 v[14:15], v[36:37], v[12:13]
	v_mul_f64 v[16:17], v[34:35], v[12:13]
	v_fma_f64 v[14:15], v[34:35], v[10:11], -v[14:15]
	v_fma_f64 v[16:17], v[36:37], v[10:11], v[16:17]
	;; [unrolled: 8-line block ×3, first 2 shown]
	v_mul_f64 v[8:9], v[14:15], v[12:13]
	v_add_f64 v[30:31], v[30:31], v[34:35]
	v_add_f64 v[32:33], v[6:7], v[32:33]
	v_mul_f64 v[6:7], v[16:17], v[12:13]
	v_fma_f64 v[8:9], v[16:17], v[10:11], v[8:9]
	v_fma_f64 v[6:7], v[14:15], v[10:11], -v[6:7]
	v_add_f64 v[20:21], v[8:9], v[20:21]
	v_add_f64 v[18:19], v[18:19], v[6:7]
	ds_read_b128 v[6:9], v24 offset:1536
	s_waitcnt lgkmcnt(0)
	v_mul_f64 v[10:11], v[40:41], v[8:9]
	v_mul_f64 v[12:13], v[38:39], v[8:9]
	v_fma_f64 v[10:11], v[38:39], v[6:7], -v[10:11]
	v_fma_f64 v[12:13], v[40:41], v[6:7], v[12:13]
	v_add_f64 v[34:35], v[42:43], v[10:11]
	v_add_f64 v[36:37], v[12:13], v[44:45]
	ds_read_b128 v[10:13], v24 offset:1792
	s_waitcnt lgkmcnt(0)
	v_mul_f64 v[14:15], v[40:41], v[12:13]
	v_mul_f64 v[16:17], v[38:39], v[12:13]
	v_fma_f64 v[14:15], v[38:39], v[10:11], -v[14:15]
	v_fma_f64 v[16:17], v[40:41], v[10:11], v[16:17]
	;; [unrolled: 8-line block ×3, first 2 shown]
	v_mul_f64 v[8:9], v[14:15], v[12:13]
	v_add_f64 v[30:31], v[30:31], v[38:39]
	v_add_f64 v[32:33], v[6:7], v[32:33]
	v_mul_f64 v[6:7], v[16:17], v[12:13]
	v_fma_f64 v[8:9], v[16:17], v[10:11], v[8:9]
	v_fma_f64 v[6:7], v[14:15], v[10:11], -v[6:7]
	v_add_f64 v[20:21], v[8:9], v[20:21]
	v_add_f64 v[18:19], v[18:19], v[6:7]
	ds_read_b128 v[6:9], v25 offset:64
	ds_read_b128 v[10:13], v24 offset:2048
	s_waitcnt lgkmcnt(0)
	v_mul_f64 v[14:15], v[8:9], v[12:13]
	v_mul_f64 v[16:17], v[6:7], v[12:13]
	v_fma_f64 v[14:15], v[6:7], v[10:11], -v[14:15]
	v_fma_f64 v[16:17], v[8:9], v[10:11], v[16:17]
	v_add_f64 v[34:35], v[34:35], v[14:15]
	v_add_f64 v[36:37], v[16:17], v[36:37]
	ds_read_b128 v[14:17], v24 offset:2304
	s_waitcnt lgkmcnt(0)
	v_mul_f64 v[38:39], v[8:9], v[16:17]
	v_fma_f64 v[38:39], v[6:7], v[14:15], -v[38:39]
	v_mul_f64 v[6:7], v[6:7], v[16:17]
	v_add_f64 v[28:29], v[28:29], v[38:39]
	v_fma_f64 v[6:7], v[8:9], v[14:15], v[6:7]
	v_add_f64 v[26:27], v[6:7], v[26:27]
	ds_read_b128 v[6:9], v25 offset:2112
	s_waitcnt lgkmcnt(0)
	v_mul_f64 v[38:39], v[8:9], v[12:13]
	v_mul_f64 v[12:13], v[6:7], v[12:13]
	v_fma_f64 v[38:39], v[6:7], v[10:11], -v[38:39]
	v_fma_f64 v[10:11], v[8:9], v[10:11], v[12:13]
	v_add_f64 v[30:31], v[30:31], v[38:39]
	v_add_f64 v[32:33], v[10:11], v[32:33]
	v_mul_f64 v[10:11], v[8:9], v[16:17]
	v_fma_f64 v[10:11], v[6:7], v[14:15], -v[10:11]
	v_mul_f64 v[6:7], v[6:7], v[16:17]
	v_add_f64 v[18:19], v[18:19], v[10:11]
	v_fma_f64 v[6:7], v[8:9], v[14:15], v[6:7]
	v_add_f64 v[20:21], v[6:7], v[20:21]
	ds_read_b128 v[6:9], v25 offset:80
	ds_read_b128 v[10:13], v24 offset:2560
	s_waitcnt lgkmcnt(0)
	v_mul_f64 v[14:15], v[8:9], v[12:13]
	v_mul_f64 v[16:17], v[6:7], v[12:13]
	v_fma_f64 v[14:15], v[6:7], v[10:11], -v[14:15]
	v_fma_f64 v[16:17], v[8:9], v[10:11], v[16:17]
	v_add_f64 v[34:35], v[34:35], v[14:15]
	v_add_f64 v[36:37], v[16:17], v[36:37]
	ds_read_b128 v[14:17], v24 offset:2816
	s_waitcnt lgkmcnt(0)
	v_mul_f64 v[38:39], v[8:9], v[16:17]
	v_fma_f64 v[38:39], v[6:7], v[14:15], -v[38:39]
	v_mul_f64 v[6:7], v[6:7], v[16:17]
	v_add_f64 v[28:29], v[28:29], v[38:39]
	v_fma_f64 v[6:7], v[8:9], v[14:15], v[6:7]
	v_add_f64 v[26:27], v[6:7], v[26:27]
	ds_read_b128 v[6:9], v25 offset:2128
	s_waitcnt lgkmcnt(0)
	v_mul_f64 v[38:39], v[8:9], v[12:13]
	v_mul_f64 v[12:13], v[6:7], v[12:13]
	v_fma_f64 v[38:39], v[6:7], v[10:11], -v[38:39]
	v_fma_f64 v[10:11], v[8:9], v[10:11], v[12:13]
	v_add_f64 v[30:31], v[30:31], v[38:39]
	v_add_f64 v[32:33], v[10:11], v[32:33]
	v_mul_f64 v[10:11], v[8:9], v[16:17]
	v_fma_f64 v[10:11], v[6:7], v[14:15], -v[10:11]
	v_mul_f64 v[6:7], v[6:7], v[16:17]
	v_add_f64 v[18:19], v[18:19], v[10:11]
	v_fma_f64 v[6:7], v[8:9], v[14:15], v[6:7]
	;; [unrolled: 31-line block ×3, first 2 shown]
	v_add_f64 v[48:49], v[6:7], v[20:21]
	ds_read_b128 v[6:9], v25 offset:112
	ds_read_b128 v[10:13], v24 offset:3584
	;; [unrolled: 1-line block ×4, first 2 shown]
	s_waitcnt lgkmcnt(0)
	s_barrier
	v_mul_f64 v[14:15], v[8:9], v[12:13]
	v_mul_f64 v[16:17], v[6:7], v[12:13]
	v_fma_f64 v[14:15], v[6:7], v[10:11], -v[14:15]
	v_fma_f64 v[16:17], v[8:9], v[10:11], v[16:17]
	v_add_f64 v[18:19], v[34:35], v[14:15]
	v_mul_f64 v[14:15], v[8:9], v[28:29]
	v_add_f64 v[20:21], v[16:17], v[36:37]
	v_fma_f64 v[14:15], v[6:7], v[26:27], -v[14:15]
	v_mul_f64 v[6:7], v[6:7], v[28:29]
	v_fma_f64 v[8:9], v[8:9], v[26:27], v[6:7]
	v_add_f64 v[6:7], v[38:39], v[14:15]
	v_mul_f64 v[14:15], v[32:33], v[12:13]
	v_mul_f64 v[12:13], v[30:31], v[12:13]
	v_add_f64 v[8:9], v[8:9], v[40:41]
	v_fma_f64 v[14:15], v[30:31], v[10:11], -v[14:15]
	v_fma_f64 v[10:11], v[32:33], v[10:11], v[12:13]
	v_mul_f64 v[12:13], v[30:31], v[28:29]
	v_add_f64 v[14:15], v[42:43], v[14:15]
	v_add_f64 v[16:17], v[10:11], v[44:45]
	v_mul_f64 v[10:11], v[32:33], v[28:29]
	v_fma_f64 v[10:11], v[30:31], v[26:27], -v[10:11]
	v_fma_f64 v[26:27], v[32:33], v[26:27], v[12:13]
	v_add_f64 v[12:13], v[46:47], v[10:11]
	v_add_f64 v[10:11], v[26:27], v[48:49]
	v_mov_b32_e32 v27, s1
	v_mov_b32_e32 v26, s0
	v_cmp_le_u64_e32 vcc, s[12:13], v[26:27]
	s_cbranch_vccz .LBB1312_2
	s_branch .LBB1312_4
.LBB1312_3:
	v_mov_b32_e32 v18, 0
	v_mov_b32_e32 v20, 0
	;; [unrolled: 1-line block ×16, first 2 shown]
.LBB1312_4:
	s_load_dwordx4 s[12:15], s[4:5], 0x48
	s_load_dword s9, s[4:5], 0x0
	v_add_u32_e32 v4, s3, v1
	v_ashrrev_i32_e32 v1, 31, v4
	v_add_u32_e32 v0, s2, v0
	s_waitcnt lgkmcnt(0)
	v_mul_lo_u32 v3, s12, v1
	v_mul_lo_u32 v5, s13, v4
	v_mad_u64_u32 v[1:2], s[4:5], s12, v4, 0
	s_mul_i32 s1, s15, s8
	s_mul_hi_u32 s3, s14, s8
	s_mul_i32 s0, s14, s8
	s_add_i32 s1, s3, s1
	s_lshl_b64 s[0:1], s[0:1], 4
	v_add3_u32 v2, v2, v3, v5
	s_add_u32 s6, s26, s0
	v_lshlrev_b64 v[1:2], 4, v[1:2]
	s_addc_u32 s7, s27, s1
	v_mov_b32_e32 v3, s7
	v_add_co_u32_e32 v5, vcc, s6, v1
	v_addc_co_u32_e32 v22, vcc, v3, v2, vcc
	v_cmp_le_i32_e64 s[0:1], v4, v0
	v_cmp_gt_i32_e32 vcc, s9, v0
	s_and_b64 s[0:1], s[0:1], vcc
	s_and_saveexec_b64 s[2:3], s[0:1]
	s_cbranch_execz .LBB1312_6
; %bb.5:
	v_ashrrev_i32_e32 v1, 31, v0
	v_lshlrev_b64 v[1:2], 4, v[0:1]
	v_add_co_u32_e64 v1, s[0:1], v5, v1
	v_addc_co_u32_e64 v2, s[0:1], v22, v2, s[0:1]
	global_load_dwordx4 v[23:26], v[1:2], off
	v_cmp_ne_u32_e64 s[0:1], v4, v0
	s_waitcnt vmcnt(0)
	v_add_f64 v[20:21], v[20:21], v[25:26]
	v_add_f64 v[18:19], v[18:19], v[23:24]
	v_cndmask_b32_e64 v21, 0, v21, s[0:1]
	v_cndmask_b32_e64 v20, 0, v20, s[0:1]
	global_store_dwordx4 v[1:2], v[18:21], off
.LBB1312_6:
	s_or_b64 exec, exec, s[2:3]
	v_add_u32_e32 v2, 16, v0
	v_cmp_le_i32_e64 s[2:3], v4, v2
	v_cmp_gt_i32_e64 s[0:1], s9, v2
	s_and_b64 s[2:3], s[2:3], s[0:1]
	s_and_saveexec_b64 s[4:5], s[2:3]
	s_cbranch_execz .LBB1312_8
; %bb.7:
	v_ashrrev_i32_e32 v3, 31, v2
	v_lshlrev_b64 v[18:19], 4, v[2:3]
	v_add_co_u32_e64 v23, s[2:3], v5, v18
	v_addc_co_u32_e64 v24, s[2:3], v22, v19, s[2:3]
	global_load_dwordx4 v[18:21], v[23:24], off
	v_cmp_ne_u32_e64 s[2:3], v4, v2
	s_waitcnt vmcnt(0)
	v_add_f64 v[20:21], v[8:9], v[20:21]
	v_add_f64 v[5:6], v[6:7], v[18:19]
	v_cndmask_b32_e64 v8, 0, v21, s[2:3]
	v_cndmask_b32_e64 v7, 0, v20, s[2:3]
	global_store_dwordx4 v[23:24], v[5:8], off
.LBB1312_8:
	s_or_b64 exec, exec, s[4:5]
	v_add_u32_e32 v3, 16, v4
	v_ashrrev_i32_e32 v1, 31, v3
	v_mul_lo_u32 v7, s13, v3
	v_mad_u64_u32 v[5:6], s[2:3], s12, v3, 0
	v_mul_lo_u32 v1, s12, v1
	v_add3_u32 v6, v6, v1, v7
	v_lshlrev_b64 v[5:6], 4, v[5:6]
	v_mov_b32_e32 v1, s7
	v_add_co_u32_e64 v5, s[2:3], s6, v5
	v_addc_co_u32_e64 v6, s[2:3], v1, v6, s[2:3]
	v_cmp_le_i32_e64 s[2:3], v3, v0
	s_and_b64 s[4:5], s[2:3], vcc
	s_and_saveexec_b64 s[2:3], s[4:5]
	s_cbranch_execz .LBB1312_10
; %bb.9:
	v_ashrrev_i32_e32 v1, 31, v0
	v_lshlrev_b64 v[7:8], 4, v[0:1]
	v_add_co_u32_e32 v7, vcc, v5, v7
	v_addc_co_u32_e32 v8, vcc, v6, v8, vcc
	global_load_dwordx4 v[18:21], v[7:8], off
	v_cmp_ne_u32_e32 vcc, v3, v0
	s_waitcnt vmcnt(0)
	v_add_f64 v[16:17], v[16:17], v[20:21]
	v_add_f64 v[14:15], v[14:15], v[18:19]
	v_cndmask_b32_e32 v17, 0, v17, vcc
	v_cndmask_b32_e32 v16, 0, v16, vcc
	global_store_dwordx4 v[7:8], v[14:17], off
.LBB1312_10:
	s_or_b64 exec, exec, s[2:3]
	v_cmp_le_i32_e32 vcc, v3, v2
	s_and_b64 s[0:1], vcc, s[0:1]
	s_and_saveexec_b64 s[2:3], s[0:1]
	s_cbranch_execz .LBB1312_12
; %bb.11:
	v_ashrrev_i32_e32 v3, 31, v2
	v_lshlrev_b64 v[1:2], 4, v[2:3]
	v_add_co_u32_e32 v14, vcc, v5, v1
	v_addc_co_u32_e32 v15, vcc, v6, v2, vcc
	global_load_dwordx4 v[5:8], v[14:15], off
	v_cmp_ne_u32_e32 vcc, v4, v0
	s_waitcnt vmcnt(0)
	v_add_f64 v[7:8], v[10:11], v[7:8]
	v_add_f64 v[1:2], v[12:13], v[5:6]
	v_cndmask_b32_e32 v4, 0, v8, vcc
	v_cndmask_b32_e32 v3, 0, v7, vcc
	global_store_dwordx4 v[14:15], v[1:4], off
.LBB1312_12:
	s_endpgm
	.section	.rodata,"a",@progbits
	.p2align	6, 0x0
	.amdhsa_kernel _ZL37rocblas_syrkx_herkx_restricted_kernelIl19rocblas_complex_numIdELi16ELi32ELi8ELi1ELi1ELb1ELc67ELc76EKS1_S1_EviT_PT9_S3_lS5_S3_lPT10_S3_li
		.amdhsa_group_segment_fixed_size 8192
		.amdhsa_private_segment_fixed_size 0
		.amdhsa_kernarg_size 92
		.amdhsa_user_sgpr_count 6
		.amdhsa_user_sgpr_private_segment_buffer 1
		.amdhsa_user_sgpr_dispatch_ptr 0
		.amdhsa_user_sgpr_queue_ptr 0
		.amdhsa_user_sgpr_kernarg_segment_ptr 1
		.amdhsa_user_sgpr_dispatch_id 0
		.amdhsa_user_sgpr_flat_scratch_init 0
		.amdhsa_user_sgpr_private_segment_size 0
		.amdhsa_uses_dynamic_stack 0
		.amdhsa_system_sgpr_private_segment_wavefront_offset 0
		.amdhsa_system_sgpr_workgroup_id_x 1
		.amdhsa_system_sgpr_workgroup_id_y 1
		.amdhsa_system_sgpr_workgroup_id_z 1
		.amdhsa_system_sgpr_workgroup_info 0
		.amdhsa_system_vgpr_workitem_id 1
		.amdhsa_next_free_vgpr 52
		.amdhsa_next_free_sgpr 61
		.amdhsa_reserve_vcc 1
		.amdhsa_reserve_flat_scratch 0
		.amdhsa_float_round_mode_32 0
		.amdhsa_float_round_mode_16_64 0
		.amdhsa_float_denorm_mode_32 3
		.amdhsa_float_denorm_mode_16_64 3
		.amdhsa_dx10_clamp 1
		.amdhsa_ieee_mode 1
		.amdhsa_fp16_overflow 0
		.amdhsa_exception_fp_ieee_invalid_op 0
		.amdhsa_exception_fp_denorm_src 0
		.amdhsa_exception_fp_ieee_div_zero 0
		.amdhsa_exception_fp_ieee_overflow 0
		.amdhsa_exception_fp_ieee_underflow 0
		.amdhsa_exception_fp_ieee_inexact 0
		.amdhsa_exception_int_div_zero 0
	.end_amdhsa_kernel
	.section	.text._ZL37rocblas_syrkx_herkx_restricted_kernelIl19rocblas_complex_numIdELi16ELi32ELi8ELi1ELi1ELb1ELc67ELc76EKS1_S1_EviT_PT9_S3_lS5_S3_lPT10_S3_li,"axG",@progbits,_ZL37rocblas_syrkx_herkx_restricted_kernelIl19rocblas_complex_numIdELi16ELi32ELi8ELi1ELi1ELb1ELc67ELc76EKS1_S1_EviT_PT9_S3_lS5_S3_lPT10_S3_li,comdat
.Lfunc_end1312:
	.size	_ZL37rocblas_syrkx_herkx_restricted_kernelIl19rocblas_complex_numIdELi16ELi32ELi8ELi1ELi1ELb1ELc67ELc76EKS1_S1_EviT_PT9_S3_lS5_S3_lPT10_S3_li, .Lfunc_end1312-_ZL37rocblas_syrkx_herkx_restricted_kernelIl19rocblas_complex_numIdELi16ELi32ELi8ELi1ELi1ELb1ELc67ELc76EKS1_S1_EviT_PT9_S3_lS5_S3_lPT10_S3_li
                                        ; -- End function
	.set _ZL37rocblas_syrkx_herkx_restricted_kernelIl19rocblas_complex_numIdELi16ELi32ELi8ELi1ELi1ELb1ELc67ELc76EKS1_S1_EviT_PT9_S3_lS5_S3_lPT10_S3_li.num_vgpr, 52
	.set _ZL37rocblas_syrkx_herkx_restricted_kernelIl19rocblas_complex_numIdELi16ELi32ELi8ELi1ELi1ELb1ELc67ELc76EKS1_S1_EviT_PT9_S3_lS5_S3_lPT10_S3_li.num_agpr, 0
	.set _ZL37rocblas_syrkx_herkx_restricted_kernelIl19rocblas_complex_numIdELi16ELi32ELi8ELi1ELi1ELb1ELc67ELc76EKS1_S1_EviT_PT9_S3_lS5_S3_lPT10_S3_li.numbered_sgpr, 28
	.set _ZL37rocblas_syrkx_herkx_restricted_kernelIl19rocblas_complex_numIdELi16ELi32ELi8ELi1ELi1ELb1ELc67ELc76EKS1_S1_EviT_PT9_S3_lS5_S3_lPT10_S3_li.num_named_barrier, 0
	.set _ZL37rocblas_syrkx_herkx_restricted_kernelIl19rocblas_complex_numIdELi16ELi32ELi8ELi1ELi1ELb1ELc67ELc76EKS1_S1_EviT_PT9_S3_lS5_S3_lPT10_S3_li.private_seg_size, 0
	.set _ZL37rocblas_syrkx_herkx_restricted_kernelIl19rocblas_complex_numIdELi16ELi32ELi8ELi1ELi1ELb1ELc67ELc76EKS1_S1_EviT_PT9_S3_lS5_S3_lPT10_S3_li.uses_vcc, 1
	.set _ZL37rocblas_syrkx_herkx_restricted_kernelIl19rocblas_complex_numIdELi16ELi32ELi8ELi1ELi1ELb1ELc67ELc76EKS1_S1_EviT_PT9_S3_lS5_S3_lPT10_S3_li.uses_flat_scratch, 0
	.set _ZL37rocblas_syrkx_herkx_restricted_kernelIl19rocblas_complex_numIdELi16ELi32ELi8ELi1ELi1ELb1ELc67ELc76EKS1_S1_EviT_PT9_S3_lS5_S3_lPT10_S3_li.has_dyn_sized_stack, 0
	.set _ZL37rocblas_syrkx_herkx_restricted_kernelIl19rocblas_complex_numIdELi16ELi32ELi8ELi1ELi1ELb1ELc67ELc76EKS1_S1_EviT_PT9_S3_lS5_S3_lPT10_S3_li.has_recursion, 0
	.set _ZL37rocblas_syrkx_herkx_restricted_kernelIl19rocblas_complex_numIdELi16ELi32ELi8ELi1ELi1ELb1ELc67ELc76EKS1_S1_EviT_PT9_S3_lS5_S3_lPT10_S3_li.has_indirect_call, 0
	.section	.AMDGPU.csdata,"",@progbits
; Kernel info:
; codeLenInByte = 3036
; TotalNumSgprs: 32
; NumVgprs: 52
; ScratchSize: 0
; MemoryBound: 0
; FloatMode: 240
; IeeeMode: 1
; LDSByteSize: 8192 bytes/workgroup (compile time only)
; SGPRBlocks: 8
; VGPRBlocks: 12
; NumSGPRsForWavesPerEU: 65
; NumVGPRsForWavesPerEU: 52
; Occupancy: 4
; WaveLimiterHint : 1
; COMPUTE_PGM_RSRC2:SCRATCH_EN: 0
; COMPUTE_PGM_RSRC2:USER_SGPR: 6
; COMPUTE_PGM_RSRC2:TRAP_HANDLER: 0
; COMPUTE_PGM_RSRC2:TGID_X_EN: 1
; COMPUTE_PGM_RSRC2:TGID_Y_EN: 1
; COMPUTE_PGM_RSRC2:TGID_Z_EN: 1
; COMPUTE_PGM_RSRC2:TIDIG_COMP_CNT: 1
	.section	.text._ZL37rocblas_syrkx_herkx_restricted_kernelIl19rocblas_complex_numIdELi16ELi32ELi8ELi1ELi1ELb1ELc78ELc76EKS1_S1_EviT_PT9_S3_lS5_S3_lPT10_S3_li,"axG",@progbits,_ZL37rocblas_syrkx_herkx_restricted_kernelIl19rocblas_complex_numIdELi16ELi32ELi8ELi1ELi1ELb1ELc78ELc76EKS1_S1_EviT_PT9_S3_lS5_S3_lPT10_S3_li,comdat
	.globl	_ZL37rocblas_syrkx_herkx_restricted_kernelIl19rocblas_complex_numIdELi16ELi32ELi8ELi1ELi1ELb1ELc78ELc76EKS1_S1_EviT_PT9_S3_lS5_S3_lPT10_S3_li ; -- Begin function _ZL37rocblas_syrkx_herkx_restricted_kernelIl19rocblas_complex_numIdELi16ELi32ELi8ELi1ELi1ELb1ELc78ELc76EKS1_S1_EviT_PT9_S3_lS5_S3_lPT10_S3_li
	.p2align	8
	.type	_ZL37rocblas_syrkx_herkx_restricted_kernelIl19rocblas_complex_numIdELi16ELi32ELi8ELi1ELi1ELb1ELc78ELc76EKS1_S1_EviT_PT9_S3_lS5_S3_lPT10_S3_li,@function
_ZL37rocblas_syrkx_herkx_restricted_kernelIl19rocblas_complex_numIdELi16ELi32ELi8ELi1ELi1ELb1ELc78ELc76EKS1_S1_EviT_PT9_S3_lS5_S3_lPT10_S3_li: ; @_ZL37rocblas_syrkx_herkx_restricted_kernelIl19rocblas_complex_numIdELi16ELi32ELi8ELi1ELi1ELb1ELc78ELc76EKS1_S1_EviT_PT9_S3_lS5_S3_lPT10_S3_li
; %bb.0:
	s_load_dwordx16 s[12:27], s[4:5], 0x8
	s_lshl_b32 s9, s6, 5
	s_lshl_b32 s10, s7, 5
	s_waitcnt lgkmcnt(0)
	v_cmp_lt_i64_e64 s[0:1], s[12:13], 1
	s_and_b64 vcc, exec, s[0:1]
	s_cbranch_vccnz .LBB1313_3
; %bb.1:
	v_lshl_add_u32 v7, v1, 4, v0
	v_lshrrev_b32_e32 v8, 3, v7
	v_add_u32_e32 v2, s10, v8
	v_and_b32_e32 v6, 7, v0
	v_ashrrev_i32_e32 v3, 31, v2
	v_mad_u64_u32 v[4:5], s[0:1], s22, v6, v[2:3]
	v_lshrrev_b32_e32 v9, 5, v7
	s_mul_i32 s2, s19, s8
	v_mov_b32_e32 v2, v5
	v_mad_u64_u32 v[2:3], s[0:1], s23, v6, v[2:3]
	v_and_b32_e32 v3, 31, v7
	v_lshlrev_b32_e32 v7, 4, v3
	v_mov_b32_e32 v5, v2
	v_lshlrev_b32_e32 v2, 4, v6
	v_lshl_or_b32 v2, v8, 7, v2
	v_add_u32_e32 v23, 0x1000, v2
	v_add_u32_e32 v2, s9, v3
	v_ashrrev_i32_e32 v3, 31, v2
	v_mad_u64_u32 v[2:3], s[0:1], s16, v9, v[2:3]
	v_mov_b32_e32 v6, 0x1000
	v_lshl_or_b32 v22, v9, 9, v7
	v_lshl_add_u32 v25, v1, 7, v6
	v_mad_u64_u32 v[6:7], s[0:1], s17, v9, v[3:4]
	s_mul_hi_u32 s3, s18, s8
	s_add_i32 s1, s3, s2
	s_mul_i32 s0, s18, s8
	s_lshl_b64 s[0:1], s[0:1], 4
	v_mov_b32_e32 v3, v6
	v_lshlrev_b64 v[2:3], 4, v[2:3]
	s_add_u32 s0, s14, s0
	s_addc_u32 s1, s15, s1
	s_mul_i32 s2, s25, s8
	s_mul_hi_u32 s3, s24, s8
	v_mov_b32_e32 v6, s1
	v_add_co_u32_e32 v2, vcc, s0, v2
	s_add_i32 s3, s3, s2
	s_mul_i32 s2, s24, s8
	v_addc_co_u32_e32 v3, vcc, v6, v3, vcc
	s_lshl_b64 s[0:1], s[16:17], 7
	s_lshl_b64 s[2:3], s[2:3], 4
	v_add_co_u32_e32 v2, vcc, 8, v2
	v_lshlrev_b64 v[4:5], 4, v[4:5]
	s_add_u32 s2, s20, s2
	v_addc_co_u32_e32 v3, vcc, 0, v3, vcc
	s_addc_u32 s3, s21, s3
	v_mov_b32_e32 v6, s3
	v_add_co_u32_e32 v4, vcc, s2, v4
	v_addc_co_u32_e32 v5, vcc, v6, v5, vcc
	v_add_co_u32_e32 v4, vcc, 8, v4
	s_lshl_b64 s[2:3], s[22:23], 7
	v_mov_b32_e32 v10, 0
	v_mov_b32_e32 v12, 0
	;; [unrolled: 1-line block ×8, first 2 shown]
	v_lshlrev_b32_e32 v24, 4, v0
	v_addc_co_u32_e32 v5, vcc, 0, v5, vcc
	v_mov_b32_e32 v11, 0
	s_mov_b64 s[6:7], 0
	v_mov_b32_e32 v26, s1
	v_mov_b32_e32 v13, 0
	;; [unrolled: 1-line block ×9, first 2 shown]
.LBB1313_2:                             ; =>This Inner Loop Header: Depth=1
	global_load_dwordx4 v[28:31], v[2:3], off offset:-8
	s_add_u32 s6, s6, 8
	v_add_co_u32_e32 v2, vcc, s0, v2
	s_addc_u32 s7, s7, 0
	v_addc_co_u32_e32 v3, vcc, v3, v26, vcc
	s_waitcnt vmcnt(0)
	ds_write_b128 v22, v[28:31]
	global_load_dwordx4 v[28:31], v[4:5], off offset:-8
	v_add_co_u32_e32 v4, vcc, s2, v4
	v_addc_co_u32_e32 v5, vcc, v5, v27, vcc
	s_waitcnt vmcnt(0)
	v_xor_b32_e32 v31, 0x80000000, v31
	ds_write_b128 v23, v[28:31]
	s_waitcnt lgkmcnt(0)
	s_barrier
	ds_read_b128 v[28:31], v25
	ds_read_b128 v[32:35], v25 offset:16
	ds_read_b128 v[36:39], v25 offset:32
	;; [unrolled: 1-line block ×3, first 2 shown]
	ds_read_b128 v[44:47], v24
	s_waitcnt lgkmcnt(0)
	v_mul_f64 v[48:49], v[30:31], v[46:47]
	v_mul_f64 v[50:51], v[28:29], v[46:47]
	v_fma_f64 v[48:49], v[28:29], v[44:45], -v[48:49]
	v_fma_f64 v[50:51], v[30:31], v[44:45], v[50:51]
	v_add_f64 v[48:49], v[18:19], v[48:49]
	v_add_f64 v[50:51], v[50:51], v[20:21]
	ds_read_b128 v[18:21], v24 offset:256
	s_waitcnt lgkmcnt(0)
	v_mul_f64 v[52:53], v[30:31], v[20:21]
	v_fma_f64 v[52:53], v[28:29], v[18:19], -v[52:53]
	v_mul_f64 v[28:29], v[28:29], v[20:21]
	v_fma_f64 v[28:29], v[30:31], v[18:19], v[28:29]
	v_add_f64 v[30:31], v[6:7], v[52:53]
	v_add_f64 v[28:29], v[28:29], v[8:9]
	ds_read_b128 v[6:9], v25 offset:2048
	s_waitcnt lgkmcnt(0)
	v_mul_f64 v[52:53], v[8:9], v[46:47]
	v_mul_f64 v[46:47], v[6:7], v[46:47]
	v_fma_f64 v[52:53], v[6:7], v[44:45], -v[52:53]
	v_fma_f64 v[44:45], v[8:9], v[44:45], v[46:47]
	v_add_f64 v[46:47], v[14:15], v[52:53]
	v_mul_f64 v[14:15], v[8:9], v[20:21]
	v_add_f64 v[44:45], v[44:45], v[16:17]
	v_fma_f64 v[14:15], v[6:7], v[18:19], -v[14:15]
	v_mul_f64 v[6:7], v[6:7], v[20:21]
	v_fma_f64 v[6:7], v[8:9], v[18:19], v[6:7]
	v_add_f64 v[18:19], v[12:13], v[14:15]
	v_add_f64 v[20:21], v[6:7], v[10:11]
	ds_read_b128 v[6:9], v24 offset:512
	s_waitcnt lgkmcnt(0)
	v_mul_f64 v[10:11], v[34:35], v[8:9]
	v_mul_f64 v[12:13], v[32:33], v[8:9]
	v_fma_f64 v[10:11], v[32:33], v[6:7], -v[10:11]
	v_fma_f64 v[12:13], v[34:35], v[6:7], v[12:13]
	v_add_f64 v[48:49], v[48:49], v[10:11]
	v_add_f64 v[50:51], v[12:13], v[50:51]
	ds_read_b128 v[10:13], v24 offset:768
	s_waitcnt lgkmcnt(0)
	v_mul_f64 v[14:15], v[34:35], v[12:13]
	v_mul_f64 v[16:17], v[32:33], v[12:13]
	v_fma_f64 v[14:15], v[32:33], v[10:11], -v[14:15]
	;; [unrolled: 8-line block ×3, first 2 shown]
	v_fma_f64 v[6:7], v[16:17], v[6:7], v[8:9]
	v_mul_f64 v[8:9], v[14:15], v[12:13]
	v_add_f64 v[32:33], v[46:47], v[32:33]
	v_add_f64 v[34:35], v[6:7], v[44:45]
	v_mul_f64 v[6:7], v[16:17], v[12:13]
	v_fma_f64 v[8:9], v[16:17], v[10:11], v[8:9]
	v_fma_f64 v[6:7], v[14:15], v[10:11], -v[6:7]
	v_add_f64 v[20:21], v[8:9], v[20:21]
	v_add_f64 v[18:19], v[18:19], v[6:7]
	ds_read_b128 v[6:9], v24 offset:1024
	s_waitcnt lgkmcnt(0)
	v_mul_f64 v[10:11], v[38:39], v[8:9]
	v_mul_f64 v[12:13], v[36:37], v[8:9]
	v_fma_f64 v[10:11], v[36:37], v[6:7], -v[10:11]
	v_fma_f64 v[12:13], v[38:39], v[6:7], v[12:13]
	v_add_f64 v[44:45], v[48:49], v[10:11]
	v_add_f64 v[46:47], v[12:13], v[50:51]
	ds_read_b128 v[10:13], v24 offset:1280
	s_waitcnt lgkmcnt(0)
	v_mul_f64 v[14:15], v[38:39], v[12:13]
	v_mul_f64 v[16:17], v[36:37], v[12:13]
	v_fma_f64 v[14:15], v[36:37], v[10:11], -v[14:15]
	v_fma_f64 v[16:17], v[38:39], v[10:11], v[16:17]
	v_add_f64 v[30:31], v[30:31], v[14:15]
	v_add_f64 v[28:29], v[16:17], v[28:29]
	ds_read_b128 v[14:17], v25 offset:2080
	s_waitcnt lgkmcnt(0)
	v_mul_f64 v[36:37], v[16:17], v[8:9]
	v_mul_f64 v[8:9], v[14:15], v[8:9]
	v_fma_f64 v[36:37], v[14:15], v[6:7], -v[36:37]
	v_fma_f64 v[6:7], v[16:17], v[6:7], v[8:9]
	v_mul_f64 v[8:9], v[14:15], v[12:13]
	v_add_f64 v[32:33], v[32:33], v[36:37]
	v_add_f64 v[34:35], v[6:7], v[34:35]
	v_mul_f64 v[6:7], v[16:17], v[12:13]
	v_fma_f64 v[8:9], v[16:17], v[10:11], v[8:9]
	v_fma_f64 v[6:7], v[14:15], v[10:11], -v[6:7]
	v_add_f64 v[20:21], v[8:9], v[20:21]
	v_add_f64 v[18:19], v[18:19], v[6:7]
	ds_read_b128 v[6:9], v24 offset:1536
	s_waitcnt lgkmcnt(0)
	v_mul_f64 v[10:11], v[42:43], v[8:9]
	v_mul_f64 v[12:13], v[40:41], v[8:9]
	v_fma_f64 v[10:11], v[40:41], v[6:7], -v[10:11]
	v_fma_f64 v[12:13], v[42:43], v[6:7], v[12:13]
	v_add_f64 v[36:37], v[44:45], v[10:11]
	v_add_f64 v[38:39], v[12:13], v[46:47]
	ds_read_b128 v[10:13], v24 offset:1792
	s_waitcnt lgkmcnt(0)
	v_mul_f64 v[14:15], v[42:43], v[12:13]
	v_mul_f64 v[16:17], v[40:41], v[12:13]
	v_fma_f64 v[14:15], v[40:41], v[10:11], -v[14:15]
	v_fma_f64 v[16:17], v[42:43], v[10:11], v[16:17]
	;; [unrolled: 8-line block ×3, first 2 shown]
	v_mul_f64 v[8:9], v[14:15], v[12:13]
	v_add_f64 v[32:33], v[32:33], v[40:41]
	v_add_f64 v[34:35], v[6:7], v[34:35]
	v_mul_f64 v[6:7], v[16:17], v[12:13]
	v_fma_f64 v[8:9], v[16:17], v[10:11], v[8:9]
	v_fma_f64 v[6:7], v[14:15], v[10:11], -v[6:7]
	v_add_f64 v[20:21], v[8:9], v[20:21]
	v_add_f64 v[18:19], v[18:19], v[6:7]
	ds_read_b128 v[6:9], v25 offset:64
	ds_read_b128 v[10:13], v24 offset:2048
	s_waitcnt lgkmcnt(0)
	v_mul_f64 v[14:15], v[8:9], v[12:13]
	v_mul_f64 v[16:17], v[6:7], v[12:13]
	v_fma_f64 v[14:15], v[6:7], v[10:11], -v[14:15]
	v_fma_f64 v[16:17], v[8:9], v[10:11], v[16:17]
	v_add_f64 v[36:37], v[36:37], v[14:15]
	v_add_f64 v[38:39], v[16:17], v[38:39]
	ds_read_b128 v[14:17], v24 offset:2304
	s_waitcnt lgkmcnt(0)
	v_mul_f64 v[40:41], v[8:9], v[16:17]
	v_fma_f64 v[40:41], v[6:7], v[14:15], -v[40:41]
	v_mul_f64 v[6:7], v[6:7], v[16:17]
	v_add_f64 v[30:31], v[30:31], v[40:41]
	v_fma_f64 v[6:7], v[8:9], v[14:15], v[6:7]
	v_add_f64 v[28:29], v[6:7], v[28:29]
	ds_read_b128 v[6:9], v25 offset:2112
	s_waitcnt lgkmcnt(0)
	v_mul_f64 v[40:41], v[8:9], v[12:13]
	v_mul_f64 v[12:13], v[6:7], v[12:13]
	v_fma_f64 v[40:41], v[6:7], v[10:11], -v[40:41]
	v_fma_f64 v[10:11], v[8:9], v[10:11], v[12:13]
	v_add_f64 v[32:33], v[32:33], v[40:41]
	v_add_f64 v[34:35], v[10:11], v[34:35]
	v_mul_f64 v[10:11], v[8:9], v[16:17]
	v_fma_f64 v[10:11], v[6:7], v[14:15], -v[10:11]
	v_mul_f64 v[6:7], v[6:7], v[16:17]
	v_add_f64 v[18:19], v[18:19], v[10:11]
	v_fma_f64 v[6:7], v[8:9], v[14:15], v[6:7]
	v_add_f64 v[20:21], v[6:7], v[20:21]
	ds_read_b128 v[6:9], v25 offset:80
	ds_read_b128 v[10:13], v24 offset:2560
	s_waitcnt lgkmcnt(0)
	v_mul_f64 v[14:15], v[8:9], v[12:13]
	v_mul_f64 v[16:17], v[6:7], v[12:13]
	v_fma_f64 v[14:15], v[6:7], v[10:11], -v[14:15]
	v_fma_f64 v[16:17], v[8:9], v[10:11], v[16:17]
	v_add_f64 v[36:37], v[36:37], v[14:15]
	v_add_f64 v[38:39], v[16:17], v[38:39]
	ds_read_b128 v[14:17], v24 offset:2816
	s_waitcnt lgkmcnt(0)
	v_mul_f64 v[40:41], v[8:9], v[16:17]
	v_fma_f64 v[40:41], v[6:7], v[14:15], -v[40:41]
	v_mul_f64 v[6:7], v[6:7], v[16:17]
	v_add_f64 v[30:31], v[30:31], v[40:41]
	v_fma_f64 v[6:7], v[8:9], v[14:15], v[6:7]
	v_add_f64 v[28:29], v[6:7], v[28:29]
	ds_read_b128 v[6:9], v25 offset:2128
	s_waitcnt lgkmcnt(0)
	v_mul_f64 v[40:41], v[8:9], v[12:13]
	v_mul_f64 v[12:13], v[6:7], v[12:13]
	v_fma_f64 v[40:41], v[6:7], v[10:11], -v[40:41]
	v_fma_f64 v[10:11], v[8:9], v[10:11], v[12:13]
	v_add_f64 v[32:33], v[32:33], v[40:41]
	v_add_f64 v[34:35], v[10:11], v[34:35]
	v_mul_f64 v[10:11], v[8:9], v[16:17]
	v_fma_f64 v[10:11], v[6:7], v[14:15], -v[10:11]
	v_mul_f64 v[6:7], v[6:7], v[16:17]
	v_add_f64 v[18:19], v[18:19], v[10:11]
	v_fma_f64 v[6:7], v[8:9], v[14:15], v[6:7]
	;; [unrolled: 31-line block ×3, first 2 shown]
	v_add_f64 v[50:51], v[6:7], v[20:21]
	ds_read_b128 v[6:9], v25 offset:112
	ds_read_b128 v[10:13], v24 offset:3584
	;; [unrolled: 1-line block ×4, first 2 shown]
	s_waitcnt lgkmcnt(0)
	s_barrier
	v_mul_f64 v[14:15], v[8:9], v[12:13]
	v_mul_f64 v[16:17], v[6:7], v[12:13]
	v_fma_f64 v[14:15], v[6:7], v[10:11], -v[14:15]
	v_fma_f64 v[16:17], v[8:9], v[10:11], v[16:17]
	v_add_f64 v[18:19], v[36:37], v[14:15]
	v_mul_f64 v[14:15], v[8:9], v[30:31]
	v_add_f64 v[20:21], v[16:17], v[38:39]
	v_fma_f64 v[14:15], v[6:7], v[28:29], -v[14:15]
	v_mul_f64 v[6:7], v[6:7], v[30:31]
	v_fma_f64 v[8:9], v[8:9], v[28:29], v[6:7]
	v_add_f64 v[6:7], v[40:41], v[14:15]
	v_mul_f64 v[14:15], v[34:35], v[12:13]
	v_mul_f64 v[12:13], v[32:33], v[12:13]
	v_add_f64 v[8:9], v[8:9], v[42:43]
	v_fma_f64 v[14:15], v[32:33], v[10:11], -v[14:15]
	v_fma_f64 v[10:11], v[34:35], v[10:11], v[12:13]
	v_mul_f64 v[12:13], v[32:33], v[30:31]
	v_add_f64 v[14:15], v[44:45], v[14:15]
	v_add_f64 v[16:17], v[10:11], v[46:47]
	v_mul_f64 v[10:11], v[34:35], v[30:31]
	v_fma_f64 v[10:11], v[32:33], v[28:29], -v[10:11]
	v_fma_f64 v[28:29], v[34:35], v[28:29], v[12:13]
	v_add_f64 v[12:13], v[48:49], v[10:11]
	v_add_f64 v[10:11], v[28:29], v[50:51]
	v_mov_b32_e32 v29, s7
	v_mov_b32_e32 v28, s6
	v_cmp_le_u64_e32 vcc, s[12:13], v[28:29]
	s_cbranch_vccz .LBB1313_2
	s_branch .LBB1313_4
.LBB1313_3:
	v_mov_b32_e32 v18, 0
	v_mov_b32_e32 v20, 0
	;; [unrolled: 1-line block ×16, first 2 shown]
.LBB1313_4:
	s_load_dwordx4 s[12:15], s[4:5], 0x48
	s_load_dword s11, s[4:5], 0x0
	v_add_u32_e32 v4, s10, v1
	v_ashrrev_i32_e32 v1, 31, v4
	v_add_u32_e32 v0, s9, v0
	s_waitcnt lgkmcnt(0)
	s_mul_i32 s1, s15, s8
	s_mul_hi_u32 s2, s14, s8
	s_add_i32 s1, s2, s1
	v_mul_lo_u32 v3, s12, v1
	v_mul_lo_u32 v5, s13, v4
	v_mad_u64_u32 v[1:2], s[2:3], s12, v4, 0
	s_mul_i32 s0, s14, s8
	s_lshl_b64 s[0:1], s[0:1], 4
	v_add3_u32 v2, v2, v3, v5
	s_add_u32 s6, s26, s0
	v_lshlrev_b64 v[1:2], 4, v[1:2]
	s_addc_u32 s7, s27, s1
	v_mov_b32_e32 v3, s7
	v_add_co_u32_e32 v5, vcc, s6, v1
	v_addc_co_u32_e32 v22, vcc, v3, v2, vcc
	v_cmp_le_i32_e64 s[0:1], v4, v0
	v_cmp_gt_i32_e32 vcc, s11, v0
	s_and_b64 s[0:1], s[0:1], vcc
	s_and_saveexec_b64 s[2:3], s[0:1]
	s_cbranch_execz .LBB1313_6
; %bb.5:
	v_ashrrev_i32_e32 v1, 31, v0
	v_lshlrev_b64 v[1:2], 4, v[0:1]
	v_add_co_u32_e64 v1, s[0:1], v5, v1
	v_addc_co_u32_e64 v2, s[0:1], v22, v2, s[0:1]
	global_load_dwordx4 v[23:26], v[1:2], off
	v_cmp_ne_u32_e64 s[0:1], v4, v0
	s_waitcnt vmcnt(0)
	v_add_f64 v[20:21], v[20:21], v[25:26]
	v_add_f64 v[18:19], v[18:19], v[23:24]
	v_cndmask_b32_e64 v21, 0, v21, s[0:1]
	v_cndmask_b32_e64 v20, 0, v20, s[0:1]
	global_store_dwordx4 v[1:2], v[18:21], off
.LBB1313_6:
	s_or_b64 exec, exec, s[2:3]
	v_add_u32_e32 v2, 16, v0
	v_cmp_le_i32_e64 s[2:3], v4, v2
	v_cmp_gt_i32_e64 s[0:1], s11, v2
	s_and_b64 s[2:3], s[2:3], s[0:1]
	s_and_saveexec_b64 s[4:5], s[2:3]
	s_cbranch_execz .LBB1313_8
; %bb.7:
	v_ashrrev_i32_e32 v3, 31, v2
	v_lshlrev_b64 v[18:19], 4, v[2:3]
	v_add_co_u32_e64 v23, s[2:3], v5, v18
	v_addc_co_u32_e64 v24, s[2:3], v22, v19, s[2:3]
	global_load_dwordx4 v[18:21], v[23:24], off
	v_cmp_ne_u32_e64 s[2:3], v4, v2
	s_waitcnt vmcnt(0)
	v_add_f64 v[20:21], v[8:9], v[20:21]
	v_add_f64 v[5:6], v[6:7], v[18:19]
	v_cndmask_b32_e64 v8, 0, v21, s[2:3]
	v_cndmask_b32_e64 v7, 0, v20, s[2:3]
	global_store_dwordx4 v[23:24], v[5:8], off
.LBB1313_8:
	s_or_b64 exec, exec, s[4:5]
	v_add_u32_e32 v3, 16, v4
	v_ashrrev_i32_e32 v1, 31, v3
	v_mul_lo_u32 v7, s13, v3
	v_mad_u64_u32 v[5:6], s[2:3], s12, v3, 0
	v_mul_lo_u32 v1, s12, v1
	v_add3_u32 v6, v6, v1, v7
	v_lshlrev_b64 v[5:6], 4, v[5:6]
	v_mov_b32_e32 v1, s7
	v_add_co_u32_e64 v5, s[2:3], s6, v5
	v_addc_co_u32_e64 v6, s[2:3], v1, v6, s[2:3]
	v_cmp_le_i32_e64 s[2:3], v3, v0
	s_and_b64 s[4:5], s[2:3], vcc
	s_and_saveexec_b64 s[2:3], s[4:5]
	s_cbranch_execz .LBB1313_10
; %bb.9:
	v_ashrrev_i32_e32 v1, 31, v0
	v_lshlrev_b64 v[7:8], 4, v[0:1]
	v_add_co_u32_e32 v7, vcc, v5, v7
	v_addc_co_u32_e32 v8, vcc, v6, v8, vcc
	global_load_dwordx4 v[18:21], v[7:8], off
	v_cmp_ne_u32_e32 vcc, v3, v0
	s_waitcnt vmcnt(0)
	v_add_f64 v[16:17], v[16:17], v[20:21]
	v_add_f64 v[14:15], v[14:15], v[18:19]
	v_cndmask_b32_e32 v17, 0, v17, vcc
	v_cndmask_b32_e32 v16, 0, v16, vcc
	global_store_dwordx4 v[7:8], v[14:17], off
.LBB1313_10:
	s_or_b64 exec, exec, s[2:3]
	v_cmp_le_i32_e32 vcc, v3, v2
	s_and_b64 s[0:1], vcc, s[0:1]
	s_and_saveexec_b64 s[2:3], s[0:1]
	s_cbranch_execz .LBB1313_12
; %bb.11:
	v_ashrrev_i32_e32 v3, 31, v2
	v_lshlrev_b64 v[1:2], 4, v[2:3]
	v_add_co_u32_e32 v14, vcc, v5, v1
	v_addc_co_u32_e32 v15, vcc, v6, v2, vcc
	global_load_dwordx4 v[5:8], v[14:15], off
	v_cmp_ne_u32_e32 vcc, v4, v0
	s_waitcnt vmcnt(0)
	v_add_f64 v[7:8], v[10:11], v[7:8]
	v_add_f64 v[1:2], v[12:13], v[5:6]
	v_cndmask_b32_e32 v4, 0, v8, vcc
	v_cndmask_b32_e32 v3, 0, v7, vcc
	global_store_dwordx4 v[14:15], v[1:4], off
.LBB1313_12:
	s_endpgm
	.section	.rodata,"a",@progbits
	.p2align	6, 0x0
	.amdhsa_kernel _ZL37rocblas_syrkx_herkx_restricted_kernelIl19rocblas_complex_numIdELi16ELi32ELi8ELi1ELi1ELb1ELc78ELc76EKS1_S1_EviT_PT9_S3_lS5_S3_lPT10_S3_li
		.amdhsa_group_segment_fixed_size 8192
		.amdhsa_private_segment_fixed_size 0
		.amdhsa_kernarg_size 92
		.amdhsa_user_sgpr_count 6
		.amdhsa_user_sgpr_private_segment_buffer 1
		.amdhsa_user_sgpr_dispatch_ptr 0
		.amdhsa_user_sgpr_queue_ptr 0
		.amdhsa_user_sgpr_kernarg_segment_ptr 1
		.amdhsa_user_sgpr_dispatch_id 0
		.amdhsa_user_sgpr_flat_scratch_init 0
		.amdhsa_user_sgpr_private_segment_size 0
		.amdhsa_uses_dynamic_stack 0
		.amdhsa_system_sgpr_private_segment_wavefront_offset 0
		.amdhsa_system_sgpr_workgroup_id_x 1
		.amdhsa_system_sgpr_workgroup_id_y 1
		.amdhsa_system_sgpr_workgroup_id_z 1
		.amdhsa_system_sgpr_workgroup_info 0
		.amdhsa_system_vgpr_workitem_id 1
		.amdhsa_next_free_vgpr 54
		.amdhsa_next_free_sgpr 61
		.amdhsa_reserve_vcc 1
		.amdhsa_reserve_flat_scratch 0
		.amdhsa_float_round_mode_32 0
		.amdhsa_float_round_mode_16_64 0
		.amdhsa_float_denorm_mode_32 3
		.amdhsa_float_denorm_mode_16_64 3
		.amdhsa_dx10_clamp 1
		.amdhsa_ieee_mode 1
		.amdhsa_fp16_overflow 0
		.amdhsa_exception_fp_ieee_invalid_op 0
		.amdhsa_exception_fp_denorm_src 0
		.amdhsa_exception_fp_ieee_div_zero 0
		.amdhsa_exception_fp_ieee_overflow 0
		.amdhsa_exception_fp_ieee_underflow 0
		.amdhsa_exception_fp_ieee_inexact 0
		.amdhsa_exception_int_div_zero 0
	.end_amdhsa_kernel
	.section	.text._ZL37rocblas_syrkx_herkx_restricted_kernelIl19rocblas_complex_numIdELi16ELi32ELi8ELi1ELi1ELb1ELc78ELc76EKS1_S1_EviT_PT9_S3_lS5_S3_lPT10_S3_li,"axG",@progbits,_ZL37rocblas_syrkx_herkx_restricted_kernelIl19rocblas_complex_numIdELi16ELi32ELi8ELi1ELi1ELb1ELc78ELc76EKS1_S1_EviT_PT9_S3_lS5_S3_lPT10_S3_li,comdat
.Lfunc_end1313:
	.size	_ZL37rocblas_syrkx_herkx_restricted_kernelIl19rocblas_complex_numIdELi16ELi32ELi8ELi1ELi1ELb1ELc78ELc76EKS1_S1_EviT_PT9_S3_lS5_S3_lPT10_S3_li, .Lfunc_end1313-_ZL37rocblas_syrkx_herkx_restricted_kernelIl19rocblas_complex_numIdELi16ELi32ELi8ELi1ELi1ELb1ELc78ELc76EKS1_S1_EviT_PT9_S3_lS5_S3_lPT10_S3_li
                                        ; -- End function
	.set _ZL37rocblas_syrkx_herkx_restricted_kernelIl19rocblas_complex_numIdELi16ELi32ELi8ELi1ELi1ELb1ELc78ELc76EKS1_S1_EviT_PT9_S3_lS5_S3_lPT10_S3_li.num_vgpr, 54
	.set _ZL37rocblas_syrkx_herkx_restricted_kernelIl19rocblas_complex_numIdELi16ELi32ELi8ELi1ELi1ELb1ELc78ELc76EKS1_S1_EviT_PT9_S3_lS5_S3_lPT10_S3_li.num_agpr, 0
	.set _ZL37rocblas_syrkx_herkx_restricted_kernelIl19rocblas_complex_numIdELi16ELi32ELi8ELi1ELi1ELb1ELc78ELc76EKS1_S1_EviT_PT9_S3_lS5_S3_lPT10_S3_li.numbered_sgpr, 28
	.set _ZL37rocblas_syrkx_herkx_restricted_kernelIl19rocblas_complex_numIdELi16ELi32ELi8ELi1ELi1ELb1ELc78ELc76EKS1_S1_EviT_PT9_S3_lS5_S3_lPT10_S3_li.num_named_barrier, 0
	.set _ZL37rocblas_syrkx_herkx_restricted_kernelIl19rocblas_complex_numIdELi16ELi32ELi8ELi1ELi1ELb1ELc78ELc76EKS1_S1_EviT_PT9_S3_lS5_S3_lPT10_S3_li.private_seg_size, 0
	.set _ZL37rocblas_syrkx_herkx_restricted_kernelIl19rocblas_complex_numIdELi16ELi32ELi8ELi1ELi1ELb1ELc78ELc76EKS1_S1_EviT_PT9_S3_lS5_S3_lPT10_S3_li.uses_vcc, 1
	.set _ZL37rocblas_syrkx_herkx_restricted_kernelIl19rocblas_complex_numIdELi16ELi32ELi8ELi1ELi1ELb1ELc78ELc76EKS1_S1_EviT_PT9_S3_lS5_S3_lPT10_S3_li.uses_flat_scratch, 0
	.set _ZL37rocblas_syrkx_herkx_restricted_kernelIl19rocblas_complex_numIdELi16ELi32ELi8ELi1ELi1ELb1ELc78ELc76EKS1_S1_EviT_PT9_S3_lS5_S3_lPT10_S3_li.has_dyn_sized_stack, 0
	.set _ZL37rocblas_syrkx_herkx_restricted_kernelIl19rocblas_complex_numIdELi16ELi32ELi8ELi1ELi1ELb1ELc78ELc76EKS1_S1_EviT_PT9_S3_lS5_S3_lPT10_S3_li.has_recursion, 0
	.set _ZL37rocblas_syrkx_herkx_restricted_kernelIl19rocblas_complex_numIdELi16ELi32ELi8ELi1ELi1ELb1ELc78ELc76EKS1_S1_EviT_PT9_S3_lS5_S3_lPT10_S3_li.has_indirect_call, 0
	.section	.AMDGPU.csdata,"",@progbits
; Kernel info:
; codeLenInByte = 3016
; TotalNumSgprs: 32
; NumVgprs: 54
; ScratchSize: 0
; MemoryBound: 0
; FloatMode: 240
; IeeeMode: 1
; LDSByteSize: 8192 bytes/workgroup (compile time only)
; SGPRBlocks: 8
; VGPRBlocks: 13
; NumSGPRsForWavesPerEU: 65
; NumVGPRsForWavesPerEU: 54
; Occupancy: 4
; WaveLimiterHint : 1
; COMPUTE_PGM_RSRC2:SCRATCH_EN: 0
; COMPUTE_PGM_RSRC2:USER_SGPR: 6
; COMPUTE_PGM_RSRC2:TRAP_HANDLER: 0
; COMPUTE_PGM_RSRC2:TGID_X_EN: 1
; COMPUTE_PGM_RSRC2:TGID_Y_EN: 1
; COMPUTE_PGM_RSRC2:TGID_Z_EN: 1
; COMPUTE_PGM_RSRC2:TIDIG_COMP_CNT: 1
	.section	.text._ZL37rocblas_syrkx_herkx_restricted_kernelIl19rocblas_complex_numIdELi16ELi32ELi8ELi1ELi1ELb1ELc84ELc85EKS1_S1_EviT_PT9_S3_lS5_S3_lPT10_S3_li,"axG",@progbits,_ZL37rocblas_syrkx_herkx_restricted_kernelIl19rocblas_complex_numIdELi16ELi32ELi8ELi1ELi1ELb1ELc84ELc85EKS1_S1_EviT_PT9_S3_lS5_S3_lPT10_S3_li,comdat
	.globl	_ZL37rocblas_syrkx_herkx_restricted_kernelIl19rocblas_complex_numIdELi16ELi32ELi8ELi1ELi1ELb1ELc84ELc85EKS1_S1_EviT_PT9_S3_lS5_S3_lPT10_S3_li ; -- Begin function _ZL37rocblas_syrkx_herkx_restricted_kernelIl19rocblas_complex_numIdELi16ELi32ELi8ELi1ELi1ELb1ELc84ELc85EKS1_S1_EviT_PT9_S3_lS5_S3_lPT10_S3_li
	.p2align	8
	.type	_ZL37rocblas_syrkx_herkx_restricted_kernelIl19rocblas_complex_numIdELi16ELi32ELi8ELi1ELi1ELb1ELc84ELc85EKS1_S1_EviT_PT9_S3_lS5_S3_lPT10_S3_li,@function
_ZL37rocblas_syrkx_herkx_restricted_kernelIl19rocblas_complex_numIdELi16ELi32ELi8ELi1ELi1ELb1ELc84ELc85EKS1_S1_EviT_PT9_S3_lS5_S3_lPT10_S3_li: ; @_ZL37rocblas_syrkx_herkx_restricted_kernelIl19rocblas_complex_numIdELi16ELi32ELi8ELi1ELi1ELb1ELc84ELc85EKS1_S1_EviT_PT9_S3_lS5_S3_lPT10_S3_li
; %bb.0:
	s_load_dwordx16 s[12:27], s[4:5], 0x8
	s_lshl_b32 s2, s6, 5
	s_lshl_b32 s3, s7, 5
	s_waitcnt lgkmcnt(0)
	v_cmp_lt_i64_e64 s[0:1], s[12:13], 1
	s_and_b64 vcc, exec, s[0:1]
	s_cbranch_vccnz .LBB1314_3
; %bb.1:
	v_lshl_add_u32 v6, v1, 4, v0
	v_lshrrev_b32_e32 v8, 3, v6
	v_add_u32_e32 v4, s3, v8
	v_ashrrev_i32_e32 v5, 31, v4
	v_and_b32_e32 v2, 7, v0
	v_mov_b32_e32 v3, 0
	v_mul_lo_u32 v7, s22, v5
	v_mul_lo_u32 v9, s23, v4
	v_mad_u64_u32 v[4:5], s[0:1], s22, v4, v[2:3]
	v_lshlrev_b32_e32 v2, 4, v2
	v_lshl_or_b32 v2, v8, 7, v2
	v_add3_u32 v5, v9, v5, v7
	v_and_b32_e32 v9, 31, v6
	v_add_u32_e32 v23, 0x1000, v2
	v_mov_b32_e32 v2, 0x1000
	v_add_u32_e32 v8, s2, v9
	v_lshrrev_b32_e32 v6, 5, v6
	v_mov_b32_e32 v7, v3
	v_lshlrev_b32_e32 v3, 4, v9
	v_lshl_add_u32 v25, v1, 7, v2
	v_ashrrev_i32_e32 v2, 31, v8
	v_lshl_or_b32 v22, v6, 9, v3
	v_mul_lo_u32 v9, s16, v2
	v_mad_u64_u32 v[2:3], s[0:1], s16, v8, v[6:7]
	v_mul_lo_u32 v6, s17, v8
	s_mul_i32 s6, s19, s8
	s_mul_hi_u32 s7, s18, s8
	s_add_i32 s1, s7, s6
	s_mul_i32 s0, s18, s8
	s_lshl_b64 s[0:1], s[0:1], 4
	v_add3_u32 v3, v6, v3, v9
	v_lshlrev_b64 v[2:3], 4, v[2:3]
	s_add_u32 s0, s14, s0
	s_addc_u32 s1, s15, s1
	v_mov_b32_e32 v6, s1
	v_add_co_u32_e32 v2, vcc, s0, v2
	s_mul_i32 s0, s25, s8
	s_mul_hi_u32 s1, s24, s8
	s_add_i32 s1, s1, s0
	s_mul_i32 s0, s24, s8
	v_addc_co_u32_e32 v3, vcc, v6, v3, vcc
	s_lshl_b64 s[0:1], s[0:1], 4
	v_add_co_u32_e32 v2, vcc, 8, v2
	v_lshlrev_b64 v[4:5], 4, v[4:5]
	s_add_u32 s0, s20, s0
	v_addc_co_u32_e32 v3, vcc, 0, v3, vcc
	s_addc_u32 s1, s21, s1
	v_mov_b32_e32 v6, s1
	v_add_co_u32_e32 v4, vcc, s0, v4
	v_addc_co_u32_e32 v5, vcc, v6, v5, vcc
	v_add_co_u32_e32 v4, vcc, 8, v4
	v_mov_b32_e32 v10, 0
	v_mov_b32_e32 v12, 0
	;; [unrolled: 1-line block ×8, first 2 shown]
	v_lshlrev_b32_e32 v24, 4, v0
	v_addc_co_u32_e32 v5, vcc, 0, v5, vcc
	v_mov_b32_e32 v11, 0
	v_mov_b32_e32 v13, 0
	;; [unrolled: 1-line block ×8, first 2 shown]
	s_mov_b64 s[0:1], 0
.LBB1314_2:                             ; =>This Inner Loop Header: Depth=1
	global_load_dwordx4 v[26:29], v[2:3], off offset:-8
	s_add_u32 s0, s0, 8
	v_add_co_u32_e32 v2, vcc, 0x80, v2
	s_addc_u32 s1, s1, 0
	v_addc_co_u32_e32 v3, vcc, 0, v3, vcc
	s_waitcnt vmcnt(0)
	ds_write_b128 v22, v[26:29]
	global_load_dwordx4 v[26:29], v[4:5], off offset:-8
	v_add_co_u32_e32 v4, vcc, 0x80, v4
	v_addc_co_u32_e32 v5, vcc, 0, v5, vcc
	s_waitcnt vmcnt(0)
	ds_write_b128 v23, v[26:29]
	s_waitcnt lgkmcnt(0)
	s_barrier
	ds_read_b128 v[26:29], v25
	ds_read_b128 v[30:33], v25 offset:16
	ds_read_b128 v[34:37], v25 offset:32
	;; [unrolled: 1-line block ×3, first 2 shown]
	ds_read_b128 v[42:45], v24
	s_waitcnt lgkmcnt(0)
	v_mul_f64 v[46:47], v[28:29], v[44:45]
	v_mul_f64 v[48:49], v[26:27], v[44:45]
	v_fma_f64 v[46:47], v[26:27], v[42:43], -v[46:47]
	v_fma_f64 v[48:49], v[28:29], v[42:43], v[48:49]
	v_add_f64 v[46:47], v[18:19], v[46:47]
	v_add_f64 v[48:49], v[48:49], v[20:21]
	ds_read_b128 v[18:21], v24 offset:256
	s_waitcnt lgkmcnt(0)
	v_mul_f64 v[50:51], v[28:29], v[20:21]
	v_fma_f64 v[50:51], v[26:27], v[18:19], -v[50:51]
	v_mul_f64 v[26:27], v[26:27], v[20:21]
	v_fma_f64 v[26:27], v[28:29], v[18:19], v[26:27]
	v_add_f64 v[28:29], v[6:7], v[50:51]
	v_add_f64 v[26:27], v[26:27], v[8:9]
	ds_read_b128 v[6:9], v25 offset:2048
	s_waitcnt lgkmcnt(0)
	v_mul_f64 v[50:51], v[8:9], v[44:45]
	v_mul_f64 v[44:45], v[6:7], v[44:45]
	v_fma_f64 v[50:51], v[6:7], v[42:43], -v[50:51]
	v_fma_f64 v[42:43], v[8:9], v[42:43], v[44:45]
	v_add_f64 v[44:45], v[14:15], v[50:51]
	v_mul_f64 v[14:15], v[8:9], v[20:21]
	v_add_f64 v[42:43], v[42:43], v[16:17]
	v_fma_f64 v[14:15], v[6:7], v[18:19], -v[14:15]
	v_mul_f64 v[6:7], v[6:7], v[20:21]
	v_fma_f64 v[6:7], v[8:9], v[18:19], v[6:7]
	v_add_f64 v[18:19], v[12:13], v[14:15]
	v_add_f64 v[20:21], v[6:7], v[10:11]
	ds_read_b128 v[6:9], v24 offset:512
	s_waitcnt lgkmcnt(0)
	v_mul_f64 v[10:11], v[32:33], v[8:9]
	v_mul_f64 v[12:13], v[30:31], v[8:9]
	v_fma_f64 v[10:11], v[30:31], v[6:7], -v[10:11]
	v_fma_f64 v[12:13], v[32:33], v[6:7], v[12:13]
	v_add_f64 v[46:47], v[46:47], v[10:11]
	v_add_f64 v[48:49], v[12:13], v[48:49]
	ds_read_b128 v[10:13], v24 offset:768
	s_waitcnt lgkmcnt(0)
	v_mul_f64 v[14:15], v[32:33], v[12:13]
	v_mul_f64 v[16:17], v[30:31], v[12:13]
	v_fma_f64 v[14:15], v[30:31], v[10:11], -v[14:15]
	v_fma_f64 v[16:17], v[32:33], v[10:11], v[16:17]
	v_add_f64 v[28:29], v[28:29], v[14:15]
	v_add_f64 v[26:27], v[16:17], v[26:27]
	ds_read_b128 v[14:17], v25 offset:2064
	s_waitcnt lgkmcnt(0)
	v_mul_f64 v[30:31], v[16:17], v[8:9]
	v_mul_f64 v[8:9], v[14:15], v[8:9]
	v_fma_f64 v[30:31], v[14:15], v[6:7], -v[30:31]
	v_fma_f64 v[6:7], v[16:17], v[6:7], v[8:9]
	v_mul_f64 v[8:9], v[14:15], v[12:13]
	v_add_f64 v[30:31], v[44:45], v[30:31]
	v_add_f64 v[32:33], v[6:7], v[42:43]
	v_mul_f64 v[6:7], v[16:17], v[12:13]
	v_fma_f64 v[8:9], v[16:17], v[10:11], v[8:9]
	v_fma_f64 v[6:7], v[14:15], v[10:11], -v[6:7]
	v_add_f64 v[20:21], v[8:9], v[20:21]
	v_add_f64 v[18:19], v[18:19], v[6:7]
	ds_read_b128 v[6:9], v24 offset:1024
	s_waitcnt lgkmcnt(0)
	v_mul_f64 v[10:11], v[36:37], v[8:9]
	v_mul_f64 v[12:13], v[34:35], v[8:9]
	v_fma_f64 v[10:11], v[34:35], v[6:7], -v[10:11]
	v_fma_f64 v[12:13], v[36:37], v[6:7], v[12:13]
	v_add_f64 v[42:43], v[46:47], v[10:11]
	v_add_f64 v[44:45], v[12:13], v[48:49]
	ds_read_b128 v[10:13], v24 offset:1280
	s_waitcnt lgkmcnt(0)
	v_mul_f64 v[14:15], v[36:37], v[12:13]
	v_mul_f64 v[16:17], v[34:35], v[12:13]
	v_fma_f64 v[14:15], v[34:35], v[10:11], -v[14:15]
	v_fma_f64 v[16:17], v[36:37], v[10:11], v[16:17]
	;; [unrolled: 8-line block ×3, first 2 shown]
	v_mul_f64 v[8:9], v[14:15], v[12:13]
	v_add_f64 v[30:31], v[30:31], v[34:35]
	v_add_f64 v[32:33], v[6:7], v[32:33]
	v_mul_f64 v[6:7], v[16:17], v[12:13]
	v_fma_f64 v[8:9], v[16:17], v[10:11], v[8:9]
	v_fma_f64 v[6:7], v[14:15], v[10:11], -v[6:7]
	v_add_f64 v[20:21], v[8:9], v[20:21]
	v_add_f64 v[18:19], v[18:19], v[6:7]
	ds_read_b128 v[6:9], v24 offset:1536
	s_waitcnt lgkmcnt(0)
	v_mul_f64 v[10:11], v[40:41], v[8:9]
	v_mul_f64 v[12:13], v[38:39], v[8:9]
	v_fma_f64 v[10:11], v[38:39], v[6:7], -v[10:11]
	v_fma_f64 v[12:13], v[40:41], v[6:7], v[12:13]
	v_add_f64 v[34:35], v[42:43], v[10:11]
	v_add_f64 v[36:37], v[12:13], v[44:45]
	ds_read_b128 v[10:13], v24 offset:1792
	s_waitcnt lgkmcnt(0)
	v_mul_f64 v[14:15], v[40:41], v[12:13]
	v_mul_f64 v[16:17], v[38:39], v[12:13]
	v_fma_f64 v[14:15], v[38:39], v[10:11], -v[14:15]
	v_fma_f64 v[16:17], v[40:41], v[10:11], v[16:17]
	v_add_f64 v[28:29], v[28:29], v[14:15]
	v_add_f64 v[26:27], v[16:17], v[26:27]
	ds_read_b128 v[14:17], v25 offset:2096
	s_waitcnt lgkmcnt(0)
	v_mul_f64 v[38:39], v[16:17], v[8:9]
	v_mul_f64 v[8:9], v[14:15], v[8:9]
	v_fma_f64 v[38:39], v[14:15], v[6:7], -v[38:39]
	v_fma_f64 v[6:7], v[16:17], v[6:7], v[8:9]
	v_mul_f64 v[8:9], v[14:15], v[12:13]
	v_add_f64 v[30:31], v[30:31], v[38:39]
	v_add_f64 v[32:33], v[6:7], v[32:33]
	v_mul_f64 v[6:7], v[16:17], v[12:13]
	v_fma_f64 v[8:9], v[16:17], v[10:11], v[8:9]
	v_fma_f64 v[6:7], v[14:15], v[10:11], -v[6:7]
	v_add_f64 v[20:21], v[8:9], v[20:21]
	v_add_f64 v[18:19], v[18:19], v[6:7]
	ds_read_b128 v[6:9], v25 offset:64
	ds_read_b128 v[10:13], v24 offset:2048
	s_waitcnt lgkmcnt(0)
	v_mul_f64 v[14:15], v[8:9], v[12:13]
	v_mul_f64 v[16:17], v[6:7], v[12:13]
	v_fma_f64 v[14:15], v[6:7], v[10:11], -v[14:15]
	v_fma_f64 v[16:17], v[8:9], v[10:11], v[16:17]
	v_add_f64 v[34:35], v[34:35], v[14:15]
	v_add_f64 v[36:37], v[16:17], v[36:37]
	ds_read_b128 v[14:17], v24 offset:2304
	s_waitcnt lgkmcnt(0)
	v_mul_f64 v[38:39], v[8:9], v[16:17]
	v_fma_f64 v[38:39], v[6:7], v[14:15], -v[38:39]
	v_mul_f64 v[6:7], v[6:7], v[16:17]
	v_add_f64 v[28:29], v[28:29], v[38:39]
	v_fma_f64 v[6:7], v[8:9], v[14:15], v[6:7]
	v_add_f64 v[26:27], v[6:7], v[26:27]
	ds_read_b128 v[6:9], v25 offset:2112
	s_waitcnt lgkmcnt(0)
	v_mul_f64 v[38:39], v[8:9], v[12:13]
	v_mul_f64 v[12:13], v[6:7], v[12:13]
	v_fma_f64 v[38:39], v[6:7], v[10:11], -v[38:39]
	v_fma_f64 v[10:11], v[8:9], v[10:11], v[12:13]
	v_add_f64 v[30:31], v[30:31], v[38:39]
	v_add_f64 v[32:33], v[10:11], v[32:33]
	v_mul_f64 v[10:11], v[8:9], v[16:17]
	v_fma_f64 v[10:11], v[6:7], v[14:15], -v[10:11]
	v_mul_f64 v[6:7], v[6:7], v[16:17]
	v_add_f64 v[18:19], v[18:19], v[10:11]
	v_fma_f64 v[6:7], v[8:9], v[14:15], v[6:7]
	v_add_f64 v[20:21], v[6:7], v[20:21]
	ds_read_b128 v[6:9], v25 offset:80
	ds_read_b128 v[10:13], v24 offset:2560
	s_waitcnt lgkmcnt(0)
	v_mul_f64 v[14:15], v[8:9], v[12:13]
	v_mul_f64 v[16:17], v[6:7], v[12:13]
	v_fma_f64 v[14:15], v[6:7], v[10:11], -v[14:15]
	v_fma_f64 v[16:17], v[8:9], v[10:11], v[16:17]
	v_add_f64 v[34:35], v[34:35], v[14:15]
	v_add_f64 v[36:37], v[16:17], v[36:37]
	ds_read_b128 v[14:17], v24 offset:2816
	s_waitcnt lgkmcnt(0)
	v_mul_f64 v[38:39], v[8:9], v[16:17]
	v_fma_f64 v[38:39], v[6:7], v[14:15], -v[38:39]
	v_mul_f64 v[6:7], v[6:7], v[16:17]
	v_add_f64 v[28:29], v[28:29], v[38:39]
	v_fma_f64 v[6:7], v[8:9], v[14:15], v[6:7]
	v_add_f64 v[26:27], v[6:7], v[26:27]
	ds_read_b128 v[6:9], v25 offset:2128
	s_waitcnt lgkmcnt(0)
	v_mul_f64 v[38:39], v[8:9], v[12:13]
	v_mul_f64 v[12:13], v[6:7], v[12:13]
	v_fma_f64 v[38:39], v[6:7], v[10:11], -v[38:39]
	v_fma_f64 v[10:11], v[8:9], v[10:11], v[12:13]
	v_add_f64 v[30:31], v[30:31], v[38:39]
	v_add_f64 v[32:33], v[10:11], v[32:33]
	v_mul_f64 v[10:11], v[8:9], v[16:17]
	v_fma_f64 v[10:11], v[6:7], v[14:15], -v[10:11]
	v_mul_f64 v[6:7], v[6:7], v[16:17]
	v_add_f64 v[18:19], v[18:19], v[10:11]
	v_fma_f64 v[6:7], v[8:9], v[14:15], v[6:7]
	;; [unrolled: 31-line block ×3, first 2 shown]
	v_add_f64 v[48:49], v[6:7], v[20:21]
	ds_read_b128 v[6:9], v25 offset:112
	ds_read_b128 v[10:13], v24 offset:3584
	;; [unrolled: 1-line block ×4, first 2 shown]
	s_waitcnt lgkmcnt(0)
	s_barrier
	v_mul_f64 v[14:15], v[8:9], v[12:13]
	v_mul_f64 v[16:17], v[6:7], v[12:13]
	v_fma_f64 v[14:15], v[6:7], v[10:11], -v[14:15]
	v_fma_f64 v[16:17], v[8:9], v[10:11], v[16:17]
	v_add_f64 v[18:19], v[34:35], v[14:15]
	v_mul_f64 v[14:15], v[8:9], v[28:29]
	v_add_f64 v[20:21], v[16:17], v[36:37]
	v_fma_f64 v[14:15], v[6:7], v[26:27], -v[14:15]
	v_mul_f64 v[6:7], v[6:7], v[28:29]
	v_fma_f64 v[8:9], v[8:9], v[26:27], v[6:7]
	v_add_f64 v[6:7], v[38:39], v[14:15]
	v_mul_f64 v[14:15], v[32:33], v[12:13]
	v_mul_f64 v[12:13], v[30:31], v[12:13]
	v_add_f64 v[8:9], v[8:9], v[40:41]
	v_fma_f64 v[14:15], v[30:31], v[10:11], -v[14:15]
	v_fma_f64 v[10:11], v[32:33], v[10:11], v[12:13]
	v_mul_f64 v[12:13], v[30:31], v[28:29]
	v_add_f64 v[14:15], v[42:43], v[14:15]
	v_add_f64 v[16:17], v[10:11], v[44:45]
	v_mul_f64 v[10:11], v[32:33], v[28:29]
	v_fma_f64 v[10:11], v[30:31], v[26:27], -v[10:11]
	v_fma_f64 v[26:27], v[32:33], v[26:27], v[12:13]
	v_add_f64 v[12:13], v[46:47], v[10:11]
	v_add_f64 v[10:11], v[26:27], v[48:49]
	v_mov_b32_e32 v27, s1
	v_mov_b32_e32 v26, s0
	v_cmp_le_u64_e32 vcc, s[12:13], v[26:27]
	s_cbranch_vccz .LBB1314_2
	s_branch .LBB1314_4
.LBB1314_3:
	v_mov_b32_e32 v18, 0
	v_mov_b32_e32 v20, 0
	;; [unrolled: 1-line block ×16, first 2 shown]
.LBB1314_4:
	s_load_dwordx4 s[12:15], s[4:5], 0x48
	s_load_dword s6, s[4:5], 0x0
	v_add_u32_e32 v4, s3, v1
	v_ashrrev_i32_e32 v1, 31, v4
	v_add_u32_e32 v0, s2, v0
	s_waitcnt lgkmcnt(0)
	s_mul_i32 s1, s15, s8
	s_mul_hi_u32 s3, s14, s8
	s_mul_i32 s0, s14, s8
	v_mul_lo_u32 v3, s12, v1
	v_mul_lo_u32 v5, s13, v4
	v_mad_u64_u32 v[1:2], s[8:9], s12, v4, 0
	s_add_i32 s1, s3, s1
	s_lshl_b64 s[0:1], s[0:1], 4
	v_add3_u32 v2, v2, v3, v5
	s_add_u32 s4, s26, s0
	v_lshlrev_b64 v[1:2], 4, v[1:2]
	s_addc_u32 s5, s27, s1
	v_mov_b32_e32 v3, s5
	v_add_co_u32_e64 v5, s[0:1], s4, v1
	v_addc_co_u32_e64 v22, s[0:1], v3, v2, s[0:1]
	v_cmp_gt_i32_e32 vcc, s6, v4
	v_cmp_le_i32_e64 s[0:1], v0, v4
	s_and_b64 s[0:1], vcc, s[0:1]
	s_and_saveexec_b64 s[2:3], s[0:1]
	s_cbranch_execz .LBB1314_6
; %bb.5:
	v_ashrrev_i32_e32 v1, 31, v0
	v_lshlrev_b64 v[1:2], 4, v[0:1]
	v_add_co_u32_e64 v1, s[0:1], v5, v1
	v_addc_co_u32_e64 v2, s[0:1], v22, v2, s[0:1]
	global_load_dwordx4 v[23:26], v[1:2], off
	v_cmp_ne_u32_e64 s[0:1], v4, v0
	s_waitcnt vmcnt(0)
	v_add_f64 v[20:21], v[20:21], v[25:26]
	v_add_f64 v[18:19], v[18:19], v[23:24]
	v_cndmask_b32_e64 v21, 0, v21, s[0:1]
	v_cndmask_b32_e64 v20, 0, v20, s[0:1]
	global_store_dwordx4 v[1:2], v[18:21], off
.LBB1314_6:
	s_or_b64 exec, exec, s[2:3]
	v_add_u32_e32 v2, 16, v0
	v_cmp_le_i32_e64 s[0:1], v2, v4
	s_and_b64 s[2:3], vcc, s[0:1]
	s_and_saveexec_b64 s[0:1], s[2:3]
	s_cbranch_execz .LBB1314_8
; %bb.7:
	v_ashrrev_i32_e32 v3, 31, v2
	v_lshlrev_b64 v[18:19], 4, v[2:3]
	v_add_co_u32_e32 v23, vcc, v5, v18
	v_addc_co_u32_e32 v24, vcc, v22, v19, vcc
	global_load_dwordx4 v[18:21], v[23:24], off
	v_cmp_ne_u32_e32 vcc, v4, v2
	s_waitcnt vmcnt(0)
	v_add_f64 v[20:21], v[8:9], v[20:21]
	v_add_f64 v[5:6], v[6:7], v[18:19]
	v_cndmask_b32_e32 v8, 0, v21, vcc
	v_cndmask_b32_e32 v7, 0, v20, vcc
	global_store_dwordx4 v[23:24], v[5:8], off
.LBB1314_8:
	s_or_b64 exec, exec, s[0:1]
	v_add_u32_e32 v3, 16, v4
	v_ashrrev_i32_e32 v1, 31, v3
	v_mul_lo_u32 v1, s12, v1
	v_mul_lo_u32 v7, s13, v3
	v_mad_u64_u32 v[5:6], s[0:1], s12, v3, 0
	v_cmp_gt_i32_e32 vcc, s6, v3
	v_add3_u32 v6, v6, v1, v7
	v_lshlrev_b64 v[5:6], 4, v[5:6]
	v_mov_b32_e32 v1, s5
	v_add_co_u32_e64 v5, s[0:1], s4, v5
	v_addc_co_u32_e64 v6, s[0:1], v1, v6, s[0:1]
	v_cmp_le_i32_e64 s[0:1], v0, v3
	s_and_b64 s[0:1], vcc, s[0:1]
	s_and_saveexec_b64 s[2:3], s[0:1]
	s_cbranch_execz .LBB1314_10
; %bb.9:
	v_ashrrev_i32_e32 v1, 31, v0
	v_lshlrev_b64 v[7:8], 4, v[0:1]
	v_add_co_u32_e64 v7, s[0:1], v5, v7
	v_addc_co_u32_e64 v8, s[0:1], v6, v8, s[0:1]
	global_load_dwordx4 v[18:21], v[7:8], off
	v_cmp_ne_u32_e64 s[0:1], v3, v0
	s_waitcnt vmcnt(0)
	v_add_f64 v[16:17], v[16:17], v[20:21]
	v_add_f64 v[14:15], v[14:15], v[18:19]
	v_cndmask_b32_e64 v17, 0, v17, s[0:1]
	v_cndmask_b32_e64 v16, 0, v16, s[0:1]
	global_store_dwordx4 v[7:8], v[14:17], off
.LBB1314_10:
	s_or_b64 exec, exec, s[2:3]
	v_cmp_le_i32_e64 s[0:1], v2, v3
	s_and_b64 s[0:1], vcc, s[0:1]
	s_and_saveexec_b64 s[2:3], s[0:1]
	s_cbranch_execz .LBB1314_12
; %bb.11:
	v_ashrrev_i32_e32 v3, 31, v2
	v_lshlrev_b64 v[1:2], 4, v[2:3]
	v_add_co_u32_e32 v14, vcc, v5, v1
	v_addc_co_u32_e32 v15, vcc, v6, v2, vcc
	global_load_dwordx4 v[5:8], v[14:15], off
	v_cmp_ne_u32_e32 vcc, v4, v0
	s_waitcnt vmcnt(0)
	v_add_f64 v[7:8], v[10:11], v[7:8]
	v_add_f64 v[1:2], v[12:13], v[5:6]
	v_cndmask_b32_e32 v4, 0, v8, vcc
	v_cndmask_b32_e32 v3, 0, v7, vcc
	global_store_dwordx4 v[14:15], v[1:4], off
.LBB1314_12:
	s_endpgm
	.section	.rodata,"a",@progbits
	.p2align	6, 0x0
	.amdhsa_kernel _ZL37rocblas_syrkx_herkx_restricted_kernelIl19rocblas_complex_numIdELi16ELi32ELi8ELi1ELi1ELb1ELc84ELc85EKS1_S1_EviT_PT9_S3_lS5_S3_lPT10_S3_li
		.amdhsa_group_segment_fixed_size 8192
		.amdhsa_private_segment_fixed_size 0
		.amdhsa_kernarg_size 92
		.amdhsa_user_sgpr_count 6
		.amdhsa_user_sgpr_private_segment_buffer 1
		.amdhsa_user_sgpr_dispatch_ptr 0
		.amdhsa_user_sgpr_queue_ptr 0
		.amdhsa_user_sgpr_kernarg_segment_ptr 1
		.amdhsa_user_sgpr_dispatch_id 0
		.amdhsa_user_sgpr_flat_scratch_init 0
		.amdhsa_user_sgpr_private_segment_size 0
		.amdhsa_uses_dynamic_stack 0
		.amdhsa_system_sgpr_private_segment_wavefront_offset 0
		.amdhsa_system_sgpr_workgroup_id_x 1
		.amdhsa_system_sgpr_workgroup_id_y 1
		.amdhsa_system_sgpr_workgroup_id_z 1
		.amdhsa_system_sgpr_workgroup_info 0
		.amdhsa_system_vgpr_workitem_id 1
		.amdhsa_next_free_vgpr 52
		.amdhsa_next_free_sgpr 61
		.amdhsa_reserve_vcc 1
		.amdhsa_reserve_flat_scratch 0
		.amdhsa_float_round_mode_32 0
		.amdhsa_float_round_mode_16_64 0
		.amdhsa_float_denorm_mode_32 3
		.amdhsa_float_denorm_mode_16_64 3
		.amdhsa_dx10_clamp 1
		.amdhsa_ieee_mode 1
		.amdhsa_fp16_overflow 0
		.amdhsa_exception_fp_ieee_invalid_op 0
		.amdhsa_exception_fp_denorm_src 0
		.amdhsa_exception_fp_ieee_div_zero 0
		.amdhsa_exception_fp_ieee_overflow 0
		.amdhsa_exception_fp_ieee_underflow 0
		.amdhsa_exception_fp_ieee_inexact 0
		.amdhsa_exception_int_div_zero 0
	.end_amdhsa_kernel
	.section	.text._ZL37rocblas_syrkx_herkx_restricted_kernelIl19rocblas_complex_numIdELi16ELi32ELi8ELi1ELi1ELb1ELc84ELc85EKS1_S1_EviT_PT9_S3_lS5_S3_lPT10_S3_li,"axG",@progbits,_ZL37rocblas_syrkx_herkx_restricted_kernelIl19rocblas_complex_numIdELi16ELi32ELi8ELi1ELi1ELb1ELc84ELc85EKS1_S1_EviT_PT9_S3_lS5_S3_lPT10_S3_li,comdat
.Lfunc_end1314:
	.size	_ZL37rocblas_syrkx_herkx_restricted_kernelIl19rocblas_complex_numIdELi16ELi32ELi8ELi1ELi1ELb1ELc84ELc85EKS1_S1_EviT_PT9_S3_lS5_S3_lPT10_S3_li, .Lfunc_end1314-_ZL37rocblas_syrkx_herkx_restricted_kernelIl19rocblas_complex_numIdELi16ELi32ELi8ELi1ELi1ELb1ELc84ELc85EKS1_S1_EviT_PT9_S3_lS5_S3_lPT10_S3_li
                                        ; -- End function
	.set _ZL37rocblas_syrkx_herkx_restricted_kernelIl19rocblas_complex_numIdELi16ELi32ELi8ELi1ELi1ELb1ELc84ELc85EKS1_S1_EviT_PT9_S3_lS5_S3_lPT10_S3_li.num_vgpr, 52
	.set _ZL37rocblas_syrkx_herkx_restricted_kernelIl19rocblas_complex_numIdELi16ELi32ELi8ELi1ELi1ELb1ELc84ELc85EKS1_S1_EviT_PT9_S3_lS5_S3_lPT10_S3_li.num_agpr, 0
	.set _ZL37rocblas_syrkx_herkx_restricted_kernelIl19rocblas_complex_numIdELi16ELi32ELi8ELi1ELi1ELb1ELc84ELc85EKS1_S1_EviT_PT9_S3_lS5_S3_lPT10_S3_li.numbered_sgpr, 28
	.set _ZL37rocblas_syrkx_herkx_restricted_kernelIl19rocblas_complex_numIdELi16ELi32ELi8ELi1ELi1ELb1ELc84ELc85EKS1_S1_EviT_PT9_S3_lS5_S3_lPT10_S3_li.num_named_barrier, 0
	.set _ZL37rocblas_syrkx_herkx_restricted_kernelIl19rocblas_complex_numIdELi16ELi32ELi8ELi1ELi1ELb1ELc84ELc85EKS1_S1_EviT_PT9_S3_lS5_S3_lPT10_S3_li.private_seg_size, 0
	.set _ZL37rocblas_syrkx_herkx_restricted_kernelIl19rocblas_complex_numIdELi16ELi32ELi8ELi1ELi1ELb1ELc84ELc85EKS1_S1_EviT_PT9_S3_lS5_S3_lPT10_S3_li.uses_vcc, 1
	.set _ZL37rocblas_syrkx_herkx_restricted_kernelIl19rocblas_complex_numIdELi16ELi32ELi8ELi1ELi1ELb1ELc84ELc85EKS1_S1_EviT_PT9_S3_lS5_S3_lPT10_S3_li.uses_flat_scratch, 0
	.set _ZL37rocblas_syrkx_herkx_restricted_kernelIl19rocblas_complex_numIdELi16ELi32ELi8ELi1ELi1ELb1ELc84ELc85EKS1_S1_EviT_PT9_S3_lS5_S3_lPT10_S3_li.has_dyn_sized_stack, 0
	.set _ZL37rocblas_syrkx_herkx_restricted_kernelIl19rocblas_complex_numIdELi16ELi32ELi8ELi1ELi1ELb1ELc84ELc85EKS1_S1_EviT_PT9_S3_lS5_S3_lPT10_S3_li.has_recursion, 0
	.set _ZL37rocblas_syrkx_herkx_restricted_kernelIl19rocblas_complex_numIdELi16ELi32ELi8ELi1ELi1ELb1ELc84ELc85EKS1_S1_EviT_PT9_S3_lS5_S3_lPT10_S3_li.has_indirect_call, 0
	.section	.AMDGPU.csdata,"",@progbits
; Kernel info:
; codeLenInByte = 3036
; TotalNumSgprs: 32
; NumVgprs: 52
; ScratchSize: 0
; MemoryBound: 0
; FloatMode: 240
; IeeeMode: 1
; LDSByteSize: 8192 bytes/workgroup (compile time only)
; SGPRBlocks: 8
; VGPRBlocks: 12
; NumSGPRsForWavesPerEU: 65
; NumVGPRsForWavesPerEU: 52
; Occupancy: 4
; WaveLimiterHint : 1
; COMPUTE_PGM_RSRC2:SCRATCH_EN: 0
; COMPUTE_PGM_RSRC2:USER_SGPR: 6
; COMPUTE_PGM_RSRC2:TRAP_HANDLER: 0
; COMPUTE_PGM_RSRC2:TGID_X_EN: 1
; COMPUTE_PGM_RSRC2:TGID_Y_EN: 1
; COMPUTE_PGM_RSRC2:TGID_Z_EN: 1
; COMPUTE_PGM_RSRC2:TIDIG_COMP_CNT: 1
	.section	.text._ZL37rocblas_syrkx_herkx_restricted_kernelIl19rocblas_complex_numIdELi16ELi32ELi8ELi1ELi1ELb1ELc67ELc85EKS1_S1_EviT_PT9_S3_lS5_S3_lPT10_S3_li,"axG",@progbits,_ZL37rocblas_syrkx_herkx_restricted_kernelIl19rocblas_complex_numIdELi16ELi32ELi8ELi1ELi1ELb1ELc67ELc85EKS1_S1_EviT_PT9_S3_lS5_S3_lPT10_S3_li,comdat
	.globl	_ZL37rocblas_syrkx_herkx_restricted_kernelIl19rocblas_complex_numIdELi16ELi32ELi8ELi1ELi1ELb1ELc67ELc85EKS1_S1_EviT_PT9_S3_lS5_S3_lPT10_S3_li ; -- Begin function _ZL37rocblas_syrkx_herkx_restricted_kernelIl19rocblas_complex_numIdELi16ELi32ELi8ELi1ELi1ELb1ELc67ELc85EKS1_S1_EviT_PT9_S3_lS5_S3_lPT10_S3_li
	.p2align	8
	.type	_ZL37rocblas_syrkx_herkx_restricted_kernelIl19rocblas_complex_numIdELi16ELi32ELi8ELi1ELi1ELb1ELc67ELc85EKS1_S1_EviT_PT9_S3_lS5_S3_lPT10_S3_li,@function
_ZL37rocblas_syrkx_herkx_restricted_kernelIl19rocblas_complex_numIdELi16ELi32ELi8ELi1ELi1ELb1ELc67ELc85EKS1_S1_EviT_PT9_S3_lS5_S3_lPT10_S3_li: ; @_ZL37rocblas_syrkx_herkx_restricted_kernelIl19rocblas_complex_numIdELi16ELi32ELi8ELi1ELi1ELb1ELc67ELc85EKS1_S1_EviT_PT9_S3_lS5_S3_lPT10_S3_li
; %bb.0:
	s_load_dwordx16 s[12:27], s[4:5], 0x8
	s_lshl_b32 s2, s6, 5
	s_lshl_b32 s3, s7, 5
	s_waitcnt lgkmcnt(0)
	v_cmp_lt_i64_e64 s[0:1], s[12:13], 1
	s_and_b64 vcc, exec, s[0:1]
	s_cbranch_vccnz .LBB1315_3
; %bb.1:
	v_lshl_add_u32 v6, v1, 4, v0
	v_lshrrev_b32_e32 v8, 3, v6
	v_add_u32_e32 v4, s3, v8
	v_ashrrev_i32_e32 v5, 31, v4
	v_and_b32_e32 v2, 7, v0
	v_mov_b32_e32 v3, 0
	v_mul_lo_u32 v7, s22, v5
	v_mul_lo_u32 v9, s23, v4
	v_mad_u64_u32 v[4:5], s[0:1], s22, v4, v[2:3]
	v_lshlrev_b32_e32 v2, 4, v2
	v_lshl_or_b32 v2, v8, 7, v2
	v_add3_u32 v5, v9, v5, v7
	v_and_b32_e32 v9, 31, v6
	v_add_u32_e32 v23, 0x1000, v2
	v_mov_b32_e32 v2, 0x1000
	v_add_u32_e32 v8, s2, v9
	v_lshrrev_b32_e32 v6, 5, v6
	v_mov_b32_e32 v7, v3
	v_lshlrev_b32_e32 v3, 4, v9
	v_lshl_add_u32 v25, v1, 7, v2
	v_ashrrev_i32_e32 v2, 31, v8
	v_lshl_or_b32 v22, v6, 9, v3
	v_mul_lo_u32 v9, s16, v2
	v_mad_u64_u32 v[2:3], s[0:1], s16, v8, v[6:7]
	v_mul_lo_u32 v6, s17, v8
	s_mul_i32 s6, s19, s8
	s_mul_hi_u32 s7, s18, s8
	s_add_i32 s1, s7, s6
	s_mul_i32 s0, s18, s8
	s_lshl_b64 s[0:1], s[0:1], 4
	v_add3_u32 v3, v6, v3, v9
	v_lshlrev_b64 v[2:3], 4, v[2:3]
	s_add_u32 s0, s14, s0
	s_addc_u32 s1, s15, s1
	v_mov_b32_e32 v6, s1
	v_add_co_u32_e32 v2, vcc, s0, v2
	s_mul_i32 s0, s25, s8
	s_mul_hi_u32 s1, s24, s8
	s_add_i32 s1, s1, s0
	s_mul_i32 s0, s24, s8
	v_addc_co_u32_e32 v3, vcc, v6, v3, vcc
	s_lshl_b64 s[0:1], s[0:1], 4
	v_add_co_u32_e32 v2, vcc, 8, v2
	v_lshlrev_b64 v[4:5], 4, v[4:5]
	s_add_u32 s0, s20, s0
	v_addc_co_u32_e32 v3, vcc, 0, v3, vcc
	s_addc_u32 s1, s21, s1
	v_mov_b32_e32 v6, s1
	v_add_co_u32_e32 v4, vcc, s0, v4
	v_addc_co_u32_e32 v5, vcc, v6, v5, vcc
	v_add_co_u32_e32 v4, vcc, 8, v4
	v_mov_b32_e32 v10, 0
	v_mov_b32_e32 v12, 0
	;; [unrolled: 1-line block ×8, first 2 shown]
	v_lshlrev_b32_e32 v24, 4, v0
	v_addc_co_u32_e32 v5, vcc, 0, v5, vcc
	v_mov_b32_e32 v11, 0
	v_mov_b32_e32 v13, 0
	;; [unrolled: 1-line block ×8, first 2 shown]
	s_mov_b64 s[0:1], 0
.LBB1315_2:                             ; =>This Inner Loop Header: Depth=1
	global_load_dwordx4 v[26:29], v[2:3], off offset:-8
	s_add_u32 s0, s0, 8
	v_add_co_u32_e32 v2, vcc, 0x80, v2
	s_addc_u32 s1, s1, 0
	v_addc_co_u32_e32 v3, vcc, 0, v3, vcc
	s_waitcnt vmcnt(0)
	v_xor_b32_e32 v29, 0x80000000, v29
	ds_write_b128 v22, v[26:29]
	global_load_dwordx4 v[26:29], v[4:5], off offset:-8
	v_add_co_u32_e32 v4, vcc, 0x80, v4
	v_addc_co_u32_e32 v5, vcc, 0, v5, vcc
	s_waitcnt vmcnt(0)
	ds_write_b128 v23, v[26:29]
	s_waitcnt lgkmcnt(0)
	s_barrier
	ds_read_b128 v[26:29], v25
	ds_read_b128 v[30:33], v25 offset:16
	ds_read_b128 v[34:37], v25 offset:32
	;; [unrolled: 1-line block ×3, first 2 shown]
	ds_read_b128 v[42:45], v24
	s_waitcnt lgkmcnt(0)
	v_mul_f64 v[46:47], v[28:29], v[44:45]
	v_mul_f64 v[48:49], v[26:27], v[44:45]
	v_fma_f64 v[46:47], v[26:27], v[42:43], -v[46:47]
	v_fma_f64 v[48:49], v[28:29], v[42:43], v[48:49]
	v_add_f64 v[46:47], v[18:19], v[46:47]
	v_add_f64 v[48:49], v[48:49], v[20:21]
	ds_read_b128 v[18:21], v24 offset:256
	s_waitcnt lgkmcnt(0)
	v_mul_f64 v[50:51], v[28:29], v[20:21]
	v_fma_f64 v[50:51], v[26:27], v[18:19], -v[50:51]
	v_mul_f64 v[26:27], v[26:27], v[20:21]
	v_fma_f64 v[26:27], v[28:29], v[18:19], v[26:27]
	v_add_f64 v[28:29], v[6:7], v[50:51]
	v_add_f64 v[26:27], v[26:27], v[8:9]
	ds_read_b128 v[6:9], v25 offset:2048
	s_waitcnt lgkmcnt(0)
	v_mul_f64 v[50:51], v[8:9], v[44:45]
	v_mul_f64 v[44:45], v[6:7], v[44:45]
	v_fma_f64 v[50:51], v[6:7], v[42:43], -v[50:51]
	v_fma_f64 v[42:43], v[8:9], v[42:43], v[44:45]
	v_add_f64 v[44:45], v[14:15], v[50:51]
	v_mul_f64 v[14:15], v[8:9], v[20:21]
	v_add_f64 v[42:43], v[42:43], v[16:17]
	v_fma_f64 v[14:15], v[6:7], v[18:19], -v[14:15]
	v_mul_f64 v[6:7], v[6:7], v[20:21]
	v_fma_f64 v[6:7], v[8:9], v[18:19], v[6:7]
	v_add_f64 v[18:19], v[12:13], v[14:15]
	v_add_f64 v[20:21], v[6:7], v[10:11]
	ds_read_b128 v[6:9], v24 offset:512
	s_waitcnt lgkmcnt(0)
	v_mul_f64 v[10:11], v[32:33], v[8:9]
	v_mul_f64 v[12:13], v[30:31], v[8:9]
	v_fma_f64 v[10:11], v[30:31], v[6:7], -v[10:11]
	v_fma_f64 v[12:13], v[32:33], v[6:7], v[12:13]
	v_add_f64 v[46:47], v[46:47], v[10:11]
	v_add_f64 v[48:49], v[12:13], v[48:49]
	ds_read_b128 v[10:13], v24 offset:768
	s_waitcnt lgkmcnt(0)
	v_mul_f64 v[14:15], v[32:33], v[12:13]
	v_mul_f64 v[16:17], v[30:31], v[12:13]
	v_fma_f64 v[14:15], v[30:31], v[10:11], -v[14:15]
	;; [unrolled: 8-line block ×3, first 2 shown]
	v_fma_f64 v[6:7], v[16:17], v[6:7], v[8:9]
	v_mul_f64 v[8:9], v[14:15], v[12:13]
	v_add_f64 v[30:31], v[44:45], v[30:31]
	v_add_f64 v[32:33], v[6:7], v[42:43]
	v_mul_f64 v[6:7], v[16:17], v[12:13]
	v_fma_f64 v[8:9], v[16:17], v[10:11], v[8:9]
	v_fma_f64 v[6:7], v[14:15], v[10:11], -v[6:7]
	v_add_f64 v[20:21], v[8:9], v[20:21]
	v_add_f64 v[18:19], v[18:19], v[6:7]
	ds_read_b128 v[6:9], v24 offset:1024
	s_waitcnt lgkmcnt(0)
	v_mul_f64 v[10:11], v[36:37], v[8:9]
	v_mul_f64 v[12:13], v[34:35], v[8:9]
	v_fma_f64 v[10:11], v[34:35], v[6:7], -v[10:11]
	v_fma_f64 v[12:13], v[36:37], v[6:7], v[12:13]
	v_add_f64 v[42:43], v[46:47], v[10:11]
	v_add_f64 v[44:45], v[12:13], v[48:49]
	ds_read_b128 v[10:13], v24 offset:1280
	s_waitcnt lgkmcnt(0)
	v_mul_f64 v[14:15], v[36:37], v[12:13]
	v_mul_f64 v[16:17], v[34:35], v[12:13]
	v_fma_f64 v[14:15], v[34:35], v[10:11], -v[14:15]
	v_fma_f64 v[16:17], v[36:37], v[10:11], v[16:17]
	;; [unrolled: 8-line block ×3, first 2 shown]
	v_mul_f64 v[8:9], v[14:15], v[12:13]
	v_add_f64 v[30:31], v[30:31], v[34:35]
	v_add_f64 v[32:33], v[6:7], v[32:33]
	v_mul_f64 v[6:7], v[16:17], v[12:13]
	v_fma_f64 v[8:9], v[16:17], v[10:11], v[8:9]
	v_fma_f64 v[6:7], v[14:15], v[10:11], -v[6:7]
	v_add_f64 v[20:21], v[8:9], v[20:21]
	v_add_f64 v[18:19], v[18:19], v[6:7]
	ds_read_b128 v[6:9], v24 offset:1536
	s_waitcnt lgkmcnt(0)
	v_mul_f64 v[10:11], v[40:41], v[8:9]
	v_mul_f64 v[12:13], v[38:39], v[8:9]
	v_fma_f64 v[10:11], v[38:39], v[6:7], -v[10:11]
	v_fma_f64 v[12:13], v[40:41], v[6:7], v[12:13]
	v_add_f64 v[34:35], v[42:43], v[10:11]
	v_add_f64 v[36:37], v[12:13], v[44:45]
	ds_read_b128 v[10:13], v24 offset:1792
	s_waitcnt lgkmcnt(0)
	v_mul_f64 v[14:15], v[40:41], v[12:13]
	v_mul_f64 v[16:17], v[38:39], v[12:13]
	v_fma_f64 v[14:15], v[38:39], v[10:11], -v[14:15]
	v_fma_f64 v[16:17], v[40:41], v[10:11], v[16:17]
	v_add_f64 v[28:29], v[28:29], v[14:15]
	v_add_f64 v[26:27], v[16:17], v[26:27]
	ds_read_b128 v[14:17], v25 offset:2096
	s_waitcnt lgkmcnt(0)
	v_mul_f64 v[38:39], v[16:17], v[8:9]
	v_mul_f64 v[8:9], v[14:15], v[8:9]
	v_fma_f64 v[38:39], v[14:15], v[6:7], -v[38:39]
	v_fma_f64 v[6:7], v[16:17], v[6:7], v[8:9]
	v_mul_f64 v[8:9], v[14:15], v[12:13]
	v_add_f64 v[30:31], v[30:31], v[38:39]
	v_add_f64 v[32:33], v[6:7], v[32:33]
	v_mul_f64 v[6:7], v[16:17], v[12:13]
	v_fma_f64 v[8:9], v[16:17], v[10:11], v[8:9]
	v_fma_f64 v[6:7], v[14:15], v[10:11], -v[6:7]
	v_add_f64 v[20:21], v[8:9], v[20:21]
	v_add_f64 v[18:19], v[18:19], v[6:7]
	ds_read_b128 v[6:9], v25 offset:64
	ds_read_b128 v[10:13], v24 offset:2048
	s_waitcnt lgkmcnt(0)
	v_mul_f64 v[14:15], v[8:9], v[12:13]
	v_mul_f64 v[16:17], v[6:7], v[12:13]
	v_fma_f64 v[14:15], v[6:7], v[10:11], -v[14:15]
	v_fma_f64 v[16:17], v[8:9], v[10:11], v[16:17]
	v_add_f64 v[34:35], v[34:35], v[14:15]
	v_add_f64 v[36:37], v[16:17], v[36:37]
	ds_read_b128 v[14:17], v24 offset:2304
	s_waitcnt lgkmcnt(0)
	v_mul_f64 v[38:39], v[8:9], v[16:17]
	v_fma_f64 v[38:39], v[6:7], v[14:15], -v[38:39]
	v_mul_f64 v[6:7], v[6:7], v[16:17]
	v_add_f64 v[28:29], v[28:29], v[38:39]
	v_fma_f64 v[6:7], v[8:9], v[14:15], v[6:7]
	v_add_f64 v[26:27], v[6:7], v[26:27]
	ds_read_b128 v[6:9], v25 offset:2112
	s_waitcnt lgkmcnt(0)
	v_mul_f64 v[38:39], v[8:9], v[12:13]
	v_mul_f64 v[12:13], v[6:7], v[12:13]
	v_fma_f64 v[38:39], v[6:7], v[10:11], -v[38:39]
	v_fma_f64 v[10:11], v[8:9], v[10:11], v[12:13]
	v_add_f64 v[30:31], v[30:31], v[38:39]
	v_add_f64 v[32:33], v[10:11], v[32:33]
	v_mul_f64 v[10:11], v[8:9], v[16:17]
	v_fma_f64 v[10:11], v[6:7], v[14:15], -v[10:11]
	v_mul_f64 v[6:7], v[6:7], v[16:17]
	v_add_f64 v[18:19], v[18:19], v[10:11]
	v_fma_f64 v[6:7], v[8:9], v[14:15], v[6:7]
	v_add_f64 v[20:21], v[6:7], v[20:21]
	ds_read_b128 v[6:9], v25 offset:80
	ds_read_b128 v[10:13], v24 offset:2560
	s_waitcnt lgkmcnt(0)
	v_mul_f64 v[14:15], v[8:9], v[12:13]
	v_mul_f64 v[16:17], v[6:7], v[12:13]
	v_fma_f64 v[14:15], v[6:7], v[10:11], -v[14:15]
	v_fma_f64 v[16:17], v[8:9], v[10:11], v[16:17]
	v_add_f64 v[34:35], v[34:35], v[14:15]
	v_add_f64 v[36:37], v[16:17], v[36:37]
	ds_read_b128 v[14:17], v24 offset:2816
	s_waitcnt lgkmcnt(0)
	v_mul_f64 v[38:39], v[8:9], v[16:17]
	v_fma_f64 v[38:39], v[6:7], v[14:15], -v[38:39]
	v_mul_f64 v[6:7], v[6:7], v[16:17]
	v_add_f64 v[28:29], v[28:29], v[38:39]
	v_fma_f64 v[6:7], v[8:9], v[14:15], v[6:7]
	v_add_f64 v[26:27], v[6:7], v[26:27]
	ds_read_b128 v[6:9], v25 offset:2128
	s_waitcnt lgkmcnt(0)
	v_mul_f64 v[38:39], v[8:9], v[12:13]
	v_mul_f64 v[12:13], v[6:7], v[12:13]
	v_fma_f64 v[38:39], v[6:7], v[10:11], -v[38:39]
	v_fma_f64 v[10:11], v[8:9], v[10:11], v[12:13]
	v_add_f64 v[30:31], v[30:31], v[38:39]
	v_add_f64 v[32:33], v[10:11], v[32:33]
	v_mul_f64 v[10:11], v[8:9], v[16:17]
	v_fma_f64 v[10:11], v[6:7], v[14:15], -v[10:11]
	v_mul_f64 v[6:7], v[6:7], v[16:17]
	v_add_f64 v[18:19], v[18:19], v[10:11]
	v_fma_f64 v[6:7], v[8:9], v[14:15], v[6:7]
	;; [unrolled: 31-line block ×3, first 2 shown]
	v_add_f64 v[48:49], v[6:7], v[20:21]
	ds_read_b128 v[6:9], v25 offset:112
	ds_read_b128 v[10:13], v24 offset:3584
	;; [unrolled: 1-line block ×4, first 2 shown]
	s_waitcnt lgkmcnt(0)
	s_barrier
	v_mul_f64 v[14:15], v[8:9], v[12:13]
	v_mul_f64 v[16:17], v[6:7], v[12:13]
	v_fma_f64 v[14:15], v[6:7], v[10:11], -v[14:15]
	v_fma_f64 v[16:17], v[8:9], v[10:11], v[16:17]
	v_add_f64 v[18:19], v[34:35], v[14:15]
	v_mul_f64 v[14:15], v[8:9], v[28:29]
	v_add_f64 v[20:21], v[16:17], v[36:37]
	v_fma_f64 v[14:15], v[6:7], v[26:27], -v[14:15]
	v_mul_f64 v[6:7], v[6:7], v[28:29]
	v_fma_f64 v[8:9], v[8:9], v[26:27], v[6:7]
	v_add_f64 v[6:7], v[38:39], v[14:15]
	v_mul_f64 v[14:15], v[32:33], v[12:13]
	v_mul_f64 v[12:13], v[30:31], v[12:13]
	v_add_f64 v[8:9], v[8:9], v[40:41]
	v_fma_f64 v[14:15], v[30:31], v[10:11], -v[14:15]
	v_fma_f64 v[10:11], v[32:33], v[10:11], v[12:13]
	v_mul_f64 v[12:13], v[30:31], v[28:29]
	v_add_f64 v[14:15], v[42:43], v[14:15]
	v_add_f64 v[16:17], v[10:11], v[44:45]
	v_mul_f64 v[10:11], v[32:33], v[28:29]
	v_fma_f64 v[10:11], v[30:31], v[26:27], -v[10:11]
	v_fma_f64 v[26:27], v[32:33], v[26:27], v[12:13]
	v_add_f64 v[12:13], v[46:47], v[10:11]
	v_add_f64 v[10:11], v[26:27], v[48:49]
	v_mov_b32_e32 v27, s1
	v_mov_b32_e32 v26, s0
	v_cmp_le_u64_e32 vcc, s[12:13], v[26:27]
	s_cbranch_vccz .LBB1315_2
	s_branch .LBB1315_4
.LBB1315_3:
	v_mov_b32_e32 v18, 0
	v_mov_b32_e32 v20, 0
	;; [unrolled: 1-line block ×16, first 2 shown]
.LBB1315_4:
	s_load_dwordx4 s[12:15], s[4:5], 0x48
	s_load_dword s6, s[4:5], 0x0
	v_add_u32_e32 v4, s3, v1
	v_ashrrev_i32_e32 v1, 31, v4
	v_add_u32_e32 v0, s2, v0
	s_waitcnt lgkmcnt(0)
	s_mul_i32 s1, s15, s8
	s_mul_hi_u32 s3, s14, s8
	s_mul_i32 s0, s14, s8
	v_mul_lo_u32 v3, s12, v1
	v_mul_lo_u32 v5, s13, v4
	v_mad_u64_u32 v[1:2], s[8:9], s12, v4, 0
	s_add_i32 s1, s3, s1
	s_lshl_b64 s[0:1], s[0:1], 4
	v_add3_u32 v2, v2, v3, v5
	s_add_u32 s4, s26, s0
	v_lshlrev_b64 v[1:2], 4, v[1:2]
	s_addc_u32 s5, s27, s1
	v_mov_b32_e32 v3, s5
	v_add_co_u32_e64 v5, s[0:1], s4, v1
	v_addc_co_u32_e64 v22, s[0:1], v3, v2, s[0:1]
	v_cmp_gt_i32_e32 vcc, s6, v4
	v_cmp_le_i32_e64 s[0:1], v0, v4
	s_and_b64 s[0:1], vcc, s[0:1]
	s_and_saveexec_b64 s[2:3], s[0:1]
	s_cbranch_execz .LBB1315_6
; %bb.5:
	v_ashrrev_i32_e32 v1, 31, v0
	v_lshlrev_b64 v[1:2], 4, v[0:1]
	v_add_co_u32_e64 v1, s[0:1], v5, v1
	v_addc_co_u32_e64 v2, s[0:1], v22, v2, s[0:1]
	global_load_dwordx4 v[23:26], v[1:2], off
	v_cmp_ne_u32_e64 s[0:1], v4, v0
	s_waitcnt vmcnt(0)
	v_add_f64 v[20:21], v[20:21], v[25:26]
	v_add_f64 v[18:19], v[18:19], v[23:24]
	v_cndmask_b32_e64 v21, 0, v21, s[0:1]
	v_cndmask_b32_e64 v20, 0, v20, s[0:1]
	global_store_dwordx4 v[1:2], v[18:21], off
.LBB1315_6:
	s_or_b64 exec, exec, s[2:3]
	v_add_u32_e32 v2, 16, v0
	v_cmp_le_i32_e64 s[0:1], v2, v4
	s_and_b64 s[2:3], vcc, s[0:1]
	s_and_saveexec_b64 s[0:1], s[2:3]
	s_cbranch_execz .LBB1315_8
; %bb.7:
	v_ashrrev_i32_e32 v3, 31, v2
	v_lshlrev_b64 v[18:19], 4, v[2:3]
	v_add_co_u32_e32 v23, vcc, v5, v18
	v_addc_co_u32_e32 v24, vcc, v22, v19, vcc
	global_load_dwordx4 v[18:21], v[23:24], off
	v_cmp_ne_u32_e32 vcc, v4, v2
	s_waitcnt vmcnt(0)
	v_add_f64 v[20:21], v[8:9], v[20:21]
	v_add_f64 v[5:6], v[6:7], v[18:19]
	v_cndmask_b32_e32 v8, 0, v21, vcc
	v_cndmask_b32_e32 v7, 0, v20, vcc
	global_store_dwordx4 v[23:24], v[5:8], off
.LBB1315_8:
	s_or_b64 exec, exec, s[0:1]
	v_add_u32_e32 v3, 16, v4
	v_ashrrev_i32_e32 v1, 31, v3
	v_mul_lo_u32 v1, s12, v1
	v_mul_lo_u32 v7, s13, v3
	v_mad_u64_u32 v[5:6], s[0:1], s12, v3, 0
	v_cmp_gt_i32_e32 vcc, s6, v3
	v_add3_u32 v6, v6, v1, v7
	v_lshlrev_b64 v[5:6], 4, v[5:6]
	v_mov_b32_e32 v1, s5
	v_add_co_u32_e64 v5, s[0:1], s4, v5
	v_addc_co_u32_e64 v6, s[0:1], v1, v6, s[0:1]
	v_cmp_le_i32_e64 s[0:1], v0, v3
	s_and_b64 s[0:1], vcc, s[0:1]
	s_and_saveexec_b64 s[2:3], s[0:1]
	s_cbranch_execz .LBB1315_10
; %bb.9:
	v_ashrrev_i32_e32 v1, 31, v0
	v_lshlrev_b64 v[7:8], 4, v[0:1]
	v_add_co_u32_e64 v7, s[0:1], v5, v7
	v_addc_co_u32_e64 v8, s[0:1], v6, v8, s[0:1]
	global_load_dwordx4 v[18:21], v[7:8], off
	v_cmp_ne_u32_e64 s[0:1], v3, v0
	s_waitcnt vmcnt(0)
	v_add_f64 v[16:17], v[16:17], v[20:21]
	v_add_f64 v[14:15], v[14:15], v[18:19]
	v_cndmask_b32_e64 v17, 0, v17, s[0:1]
	v_cndmask_b32_e64 v16, 0, v16, s[0:1]
	global_store_dwordx4 v[7:8], v[14:17], off
.LBB1315_10:
	s_or_b64 exec, exec, s[2:3]
	v_cmp_le_i32_e64 s[0:1], v2, v3
	s_and_b64 s[0:1], vcc, s[0:1]
	s_and_saveexec_b64 s[2:3], s[0:1]
	s_cbranch_execz .LBB1315_12
; %bb.11:
	v_ashrrev_i32_e32 v3, 31, v2
	v_lshlrev_b64 v[1:2], 4, v[2:3]
	v_add_co_u32_e32 v14, vcc, v5, v1
	v_addc_co_u32_e32 v15, vcc, v6, v2, vcc
	global_load_dwordx4 v[5:8], v[14:15], off
	v_cmp_ne_u32_e32 vcc, v4, v0
	s_waitcnt vmcnt(0)
	v_add_f64 v[7:8], v[10:11], v[7:8]
	v_add_f64 v[1:2], v[12:13], v[5:6]
	v_cndmask_b32_e32 v4, 0, v8, vcc
	v_cndmask_b32_e32 v3, 0, v7, vcc
	global_store_dwordx4 v[14:15], v[1:4], off
.LBB1315_12:
	s_endpgm
	.section	.rodata,"a",@progbits
	.p2align	6, 0x0
	.amdhsa_kernel _ZL37rocblas_syrkx_herkx_restricted_kernelIl19rocblas_complex_numIdELi16ELi32ELi8ELi1ELi1ELb1ELc67ELc85EKS1_S1_EviT_PT9_S3_lS5_S3_lPT10_S3_li
		.amdhsa_group_segment_fixed_size 8192
		.amdhsa_private_segment_fixed_size 0
		.amdhsa_kernarg_size 92
		.amdhsa_user_sgpr_count 6
		.amdhsa_user_sgpr_private_segment_buffer 1
		.amdhsa_user_sgpr_dispatch_ptr 0
		.amdhsa_user_sgpr_queue_ptr 0
		.amdhsa_user_sgpr_kernarg_segment_ptr 1
		.amdhsa_user_sgpr_dispatch_id 0
		.amdhsa_user_sgpr_flat_scratch_init 0
		.amdhsa_user_sgpr_private_segment_size 0
		.amdhsa_uses_dynamic_stack 0
		.amdhsa_system_sgpr_private_segment_wavefront_offset 0
		.amdhsa_system_sgpr_workgroup_id_x 1
		.amdhsa_system_sgpr_workgroup_id_y 1
		.amdhsa_system_sgpr_workgroup_id_z 1
		.amdhsa_system_sgpr_workgroup_info 0
		.amdhsa_system_vgpr_workitem_id 1
		.amdhsa_next_free_vgpr 52
		.amdhsa_next_free_sgpr 61
		.amdhsa_reserve_vcc 1
		.amdhsa_reserve_flat_scratch 0
		.amdhsa_float_round_mode_32 0
		.amdhsa_float_round_mode_16_64 0
		.amdhsa_float_denorm_mode_32 3
		.amdhsa_float_denorm_mode_16_64 3
		.amdhsa_dx10_clamp 1
		.amdhsa_ieee_mode 1
		.amdhsa_fp16_overflow 0
		.amdhsa_exception_fp_ieee_invalid_op 0
		.amdhsa_exception_fp_denorm_src 0
		.amdhsa_exception_fp_ieee_div_zero 0
		.amdhsa_exception_fp_ieee_overflow 0
		.amdhsa_exception_fp_ieee_underflow 0
		.amdhsa_exception_fp_ieee_inexact 0
		.amdhsa_exception_int_div_zero 0
	.end_amdhsa_kernel
	.section	.text._ZL37rocblas_syrkx_herkx_restricted_kernelIl19rocblas_complex_numIdELi16ELi32ELi8ELi1ELi1ELb1ELc67ELc85EKS1_S1_EviT_PT9_S3_lS5_S3_lPT10_S3_li,"axG",@progbits,_ZL37rocblas_syrkx_herkx_restricted_kernelIl19rocblas_complex_numIdELi16ELi32ELi8ELi1ELi1ELb1ELc67ELc85EKS1_S1_EviT_PT9_S3_lS5_S3_lPT10_S3_li,comdat
.Lfunc_end1315:
	.size	_ZL37rocblas_syrkx_herkx_restricted_kernelIl19rocblas_complex_numIdELi16ELi32ELi8ELi1ELi1ELb1ELc67ELc85EKS1_S1_EviT_PT9_S3_lS5_S3_lPT10_S3_li, .Lfunc_end1315-_ZL37rocblas_syrkx_herkx_restricted_kernelIl19rocblas_complex_numIdELi16ELi32ELi8ELi1ELi1ELb1ELc67ELc85EKS1_S1_EviT_PT9_S3_lS5_S3_lPT10_S3_li
                                        ; -- End function
	.set _ZL37rocblas_syrkx_herkx_restricted_kernelIl19rocblas_complex_numIdELi16ELi32ELi8ELi1ELi1ELb1ELc67ELc85EKS1_S1_EviT_PT9_S3_lS5_S3_lPT10_S3_li.num_vgpr, 52
	.set _ZL37rocblas_syrkx_herkx_restricted_kernelIl19rocblas_complex_numIdELi16ELi32ELi8ELi1ELi1ELb1ELc67ELc85EKS1_S1_EviT_PT9_S3_lS5_S3_lPT10_S3_li.num_agpr, 0
	.set _ZL37rocblas_syrkx_herkx_restricted_kernelIl19rocblas_complex_numIdELi16ELi32ELi8ELi1ELi1ELb1ELc67ELc85EKS1_S1_EviT_PT9_S3_lS5_S3_lPT10_S3_li.numbered_sgpr, 28
	.set _ZL37rocblas_syrkx_herkx_restricted_kernelIl19rocblas_complex_numIdELi16ELi32ELi8ELi1ELi1ELb1ELc67ELc85EKS1_S1_EviT_PT9_S3_lS5_S3_lPT10_S3_li.num_named_barrier, 0
	.set _ZL37rocblas_syrkx_herkx_restricted_kernelIl19rocblas_complex_numIdELi16ELi32ELi8ELi1ELi1ELb1ELc67ELc85EKS1_S1_EviT_PT9_S3_lS5_S3_lPT10_S3_li.private_seg_size, 0
	.set _ZL37rocblas_syrkx_herkx_restricted_kernelIl19rocblas_complex_numIdELi16ELi32ELi8ELi1ELi1ELb1ELc67ELc85EKS1_S1_EviT_PT9_S3_lS5_S3_lPT10_S3_li.uses_vcc, 1
	.set _ZL37rocblas_syrkx_herkx_restricted_kernelIl19rocblas_complex_numIdELi16ELi32ELi8ELi1ELi1ELb1ELc67ELc85EKS1_S1_EviT_PT9_S3_lS5_S3_lPT10_S3_li.uses_flat_scratch, 0
	.set _ZL37rocblas_syrkx_herkx_restricted_kernelIl19rocblas_complex_numIdELi16ELi32ELi8ELi1ELi1ELb1ELc67ELc85EKS1_S1_EviT_PT9_S3_lS5_S3_lPT10_S3_li.has_dyn_sized_stack, 0
	.set _ZL37rocblas_syrkx_herkx_restricted_kernelIl19rocblas_complex_numIdELi16ELi32ELi8ELi1ELi1ELb1ELc67ELc85EKS1_S1_EviT_PT9_S3_lS5_S3_lPT10_S3_li.has_recursion, 0
	.set _ZL37rocblas_syrkx_herkx_restricted_kernelIl19rocblas_complex_numIdELi16ELi32ELi8ELi1ELi1ELb1ELc67ELc85EKS1_S1_EviT_PT9_S3_lS5_S3_lPT10_S3_li.has_indirect_call, 0
	.section	.AMDGPU.csdata,"",@progbits
; Kernel info:
; codeLenInByte = 3044
; TotalNumSgprs: 32
; NumVgprs: 52
; ScratchSize: 0
; MemoryBound: 0
; FloatMode: 240
; IeeeMode: 1
; LDSByteSize: 8192 bytes/workgroup (compile time only)
; SGPRBlocks: 8
; VGPRBlocks: 12
; NumSGPRsForWavesPerEU: 65
; NumVGPRsForWavesPerEU: 52
; Occupancy: 4
; WaveLimiterHint : 1
; COMPUTE_PGM_RSRC2:SCRATCH_EN: 0
; COMPUTE_PGM_RSRC2:USER_SGPR: 6
; COMPUTE_PGM_RSRC2:TRAP_HANDLER: 0
; COMPUTE_PGM_RSRC2:TGID_X_EN: 1
; COMPUTE_PGM_RSRC2:TGID_Y_EN: 1
; COMPUTE_PGM_RSRC2:TGID_Z_EN: 1
; COMPUTE_PGM_RSRC2:TIDIG_COMP_CNT: 1
	.section	.text._ZL37rocblas_syrkx_herkx_restricted_kernelIl19rocblas_complex_numIdELi16ELi32ELi8ELi1ELi1ELb1ELc78ELc85EKS1_S1_EviT_PT9_S3_lS5_S3_lPT10_S3_li,"axG",@progbits,_ZL37rocblas_syrkx_herkx_restricted_kernelIl19rocblas_complex_numIdELi16ELi32ELi8ELi1ELi1ELb1ELc78ELc85EKS1_S1_EviT_PT9_S3_lS5_S3_lPT10_S3_li,comdat
	.globl	_ZL37rocblas_syrkx_herkx_restricted_kernelIl19rocblas_complex_numIdELi16ELi32ELi8ELi1ELi1ELb1ELc78ELc85EKS1_S1_EviT_PT9_S3_lS5_S3_lPT10_S3_li ; -- Begin function _ZL37rocblas_syrkx_herkx_restricted_kernelIl19rocblas_complex_numIdELi16ELi32ELi8ELi1ELi1ELb1ELc78ELc85EKS1_S1_EviT_PT9_S3_lS5_S3_lPT10_S3_li
	.p2align	8
	.type	_ZL37rocblas_syrkx_herkx_restricted_kernelIl19rocblas_complex_numIdELi16ELi32ELi8ELi1ELi1ELb1ELc78ELc85EKS1_S1_EviT_PT9_S3_lS5_S3_lPT10_S3_li,@function
_ZL37rocblas_syrkx_herkx_restricted_kernelIl19rocblas_complex_numIdELi16ELi32ELi8ELi1ELi1ELb1ELc78ELc85EKS1_S1_EviT_PT9_S3_lS5_S3_lPT10_S3_li: ; @_ZL37rocblas_syrkx_herkx_restricted_kernelIl19rocblas_complex_numIdELi16ELi32ELi8ELi1ELi1ELb1ELc78ELc85EKS1_S1_EviT_PT9_S3_lS5_S3_lPT10_S3_li
; %bb.0:
	s_load_dwordx16 s[12:27], s[4:5], 0x8
	s_lshl_b32 s9, s6, 5
	s_lshl_b32 s10, s7, 5
	s_waitcnt lgkmcnt(0)
	v_cmp_lt_i64_e64 s[0:1], s[12:13], 1
	s_and_b64 vcc, exec, s[0:1]
	s_cbranch_vccnz .LBB1316_3
; %bb.1:
	v_lshl_add_u32 v7, v1, 4, v0
	v_lshrrev_b32_e32 v8, 3, v7
	v_add_u32_e32 v2, s10, v8
	v_and_b32_e32 v6, 7, v0
	v_ashrrev_i32_e32 v3, 31, v2
	v_mad_u64_u32 v[4:5], s[0:1], s22, v6, v[2:3]
	v_lshrrev_b32_e32 v9, 5, v7
	s_mul_i32 s2, s19, s8
	v_mov_b32_e32 v2, v5
	v_mad_u64_u32 v[2:3], s[0:1], s23, v6, v[2:3]
	v_and_b32_e32 v3, 31, v7
	v_lshlrev_b32_e32 v7, 4, v3
	v_mov_b32_e32 v5, v2
	v_lshlrev_b32_e32 v2, 4, v6
	v_lshl_or_b32 v2, v8, 7, v2
	v_add_u32_e32 v23, 0x1000, v2
	v_add_u32_e32 v2, s9, v3
	v_ashrrev_i32_e32 v3, 31, v2
	v_mad_u64_u32 v[2:3], s[0:1], s16, v9, v[2:3]
	v_mov_b32_e32 v6, 0x1000
	v_lshl_or_b32 v22, v9, 9, v7
	v_lshl_add_u32 v25, v1, 7, v6
	v_mad_u64_u32 v[6:7], s[0:1], s17, v9, v[3:4]
	s_mul_hi_u32 s3, s18, s8
	s_add_i32 s1, s3, s2
	s_mul_i32 s0, s18, s8
	s_lshl_b64 s[0:1], s[0:1], 4
	v_mov_b32_e32 v3, v6
	v_lshlrev_b64 v[2:3], 4, v[2:3]
	s_add_u32 s0, s14, s0
	s_addc_u32 s1, s15, s1
	s_mul_i32 s2, s25, s8
	s_mul_hi_u32 s3, s24, s8
	v_mov_b32_e32 v6, s1
	v_add_co_u32_e32 v2, vcc, s0, v2
	s_add_i32 s3, s3, s2
	s_mul_i32 s2, s24, s8
	v_addc_co_u32_e32 v3, vcc, v6, v3, vcc
	s_lshl_b64 s[0:1], s[16:17], 7
	s_lshl_b64 s[2:3], s[2:3], 4
	v_add_co_u32_e32 v2, vcc, 8, v2
	v_lshlrev_b64 v[4:5], 4, v[4:5]
	s_add_u32 s2, s20, s2
	v_addc_co_u32_e32 v3, vcc, 0, v3, vcc
	s_addc_u32 s3, s21, s3
	v_mov_b32_e32 v6, s3
	v_add_co_u32_e32 v4, vcc, s2, v4
	v_addc_co_u32_e32 v5, vcc, v6, v5, vcc
	v_add_co_u32_e32 v4, vcc, 8, v4
	s_lshl_b64 s[2:3], s[22:23], 7
	v_mov_b32_e32 v10, 0
	v_mov_b32_e32 v12, 0
	;; [unrolled: 1-line block ×8, first 2 shown]
	v_lshlrev_b32_e32 v24, 4, v0
	v_addc_co_u32_e32 v5, vcc, 0, v5, vcc
	v_mov_b32_e32 v11, 0
	s_mov_b64 s[6:7], 0
	v_mov_b32_e32 v26, s1
	v_mov_b32_e32 v13, 0
	;; [unrolled: 1-line block ×9, first 2 shown]
.LBB1316_2:                             ; =>This Inner Loop Header: Depth=1
	global_load_dwordx4 v[28:31], v[2:3], off offset:-8
	s_add_u32 s6, s6, 8
	v_add_co_u32_e32 v2, vcc, s0, v2
	s_addc_u32 s7, s7, 0
	v_addc_co_u32_e32 v3, vcc, v3, v26, vcc
	s_waitcnt vmcnt(0)
	ds_write_b128 v22, v[28:31]
	global_load_dwordx4 v[28:31], v[4:5], off offset:-8
	v_add_co_u32_e32 v4, vcc, s2, v4
	v_addc_co_u32_e32 v5, vcc, v5, v27, vcc
	s_waitcnt vmcnt(0)
	v_xor_b32_e32 v31, 0x80000000, v31
	ds_write_b128 v23, v[28:31]
	s_waitcnt lgkmcnt(0)
	s_barrier
	ds_read_b128 v[28:31], v25
	ds_read_b128 v[32:35], v25 offset:16
	ds_read_b128 v[36:39], v25 offset:32
	;; [unrolled: 1-line block ×3, first 2 shown]
	ds_read_b128 v[44:47], v24
	s_waitcnt lgkmcnt(0)
	v_mul_f64 v[48:49], v[30:31], v[46:47]
	v_mul_f64 v[50:51], v[28:29], v[46:47]
	v_fma_f64 v[48:49], v[28:29], v[44:45], -v[48:49]
	v_fma_f64 v[50:51], v[30:31], v[44:45], v[50:51]
	v_add_f64 v[48:49], v[18:19], v[48:49]
	v_add_f64 v[50:51], v[50:51], v[20:21]
	ds_read_b128 v[18:21], v24 offset:256
	s_waitcnt lgkmcnt(0)
	v_mul_f64 v[52:53], v[30:31], v[20:21]
	v_fma_f64 v[52:53], v[28:29], v[18:19], -v[52:53]
	v_mul_f64 v[28:29], v[28:29], v[20:21]
	v_fma_f64 v[28:29], v[30:31], v[18:19], v[28:29]
	v_add_f64 v[30:31], v[6:7], v[52:53]
	v_add_f64 v[28:29], v[28:29], v[8:9]
	ds_read_b128 v[6:9], v25 offset:2048
	s_waitcnt lgkmcnt(0)
	v_mul_f64 v[52:53], v[8:9], v[46:47]
	v_mul_f64 v[46:47], v[6:7], v[46:47]
	v_fma_f64 v[52:53], v[6:7], v[44:45], -v[52:53]
	v_fma_f64 v[44:45], v[8:9], v[44:45], v[46:47]
	v_add_f64 v[46:47], v[14:15], v[52:53]
	v_mul_f64 v[14:15], v[8:9], v[20:21]
	v_add_f64 v[44:45], v[44:45], v[16:17]
	v_fma_f64 v[14:15], v[6:7], v[18:19], -v[14:15]
	v_mul_f64 v[6:7], v[6:7], v[20:21]
	v_fma_f64 v[6:7], v[8:9], v[18:19], v[6:7]
	v_add_f64 v[18:19], v[12:13], v[14:15]
	v_add_f64 v[20:21], v[6:7], v[10:11]
	ds_read_b128 v[6:9], v24 offset:512
	s_waitcnt lgkmcnt(0)
	v_mul_f64 v[10:11], v[34:35], v[8:9]
	v_mul_f64 v[12:13], v[32:33], v[8:9]
	v_fma_f64 v[10:11], v[32:33], v[6:7], -v[10:11]
	v_fma_f64 v[12:13], v[34:35], v[6:7], v[12:13]
	v_add_f64 v[48:49], v[48:49], v[10:11]
	v_add_f64 v[50:51], v[12:13], v[50:51]
	ds_read_b128 v[10:13], v24 offset:768
	s_waitcnt lgkmcnt(0)
	v_mul_f64 v[14:15], v[34:35], v[12:13]
	v_mul_f64 v[16:17], v[32:33], v[12:13]
	v_fma_f64 v[14:15], v[32:33], v[10:11], -v[14:15]
	;; [unrolled: 8-line block ×3, first 2 shown]
	v_fma_f64 v[6:7], v[16:17], v[6:7], v[8:9]
	v_mul_f64 v[8:9], v[14:15], v[12:13]
	v_add_f64 v[32:33], v[46:47], v[32:33]
	v_add_f64 v[34:35], v[6:7], v[44:45]
	v_mul_f64 v[6:7], v[16:17], v[12:13]
	v_fma_f64 v[8:9], v[16:17], v[10:11], v[8:9]
	v_fma_f64 v[6:7], v[14:15], v[10:11], -v[6:7]
	v_add_f64 v[20:21], v[8:9], v[20:21]
	v_add_f64 v[18:19], v[18:19], v[6:7]
	ds_read_b128 v[6:9], v24 offset:1024
	s_waitcnt lgkmcnt(0)
	v_mul_f64 v[10:11], v[38:39], v[8:9]
	v_mul_f64 v[12:13], v[36:37], v[8:9]
	v_fma_f64 v[10:11], v[36:37], v[6:7], -v[10:11]
	v_fma_f64 v[12:13], v[38:39], v[6:7], v[12:13]
	v_add_f64 v[44:45], v[48:49], v[10:11]
	v_add_f64 v[46:47], v[12:13], v[50:51]
	ds_read_b128 v[10:13], v24 offset:1280
	s_waitcnt lgkmcnt(0)
	v_mul_f64 v[14:15], v[38:39], v[12:13]
	v_mul_f64 v[16:17], v[36:37], v[12:13]
	v_fma_f64 v[14:15], v[36:37], v[10:11], -v[14:15]
	v_fma_f64 v[16:17], v[38:39], v[10:11], v[16:17]
	;; [unrolled: 8-line block ×3, first 2 shown]
	v_mul_f64 v[8:9], v[14:15], v[12:13]
	v_add_f64 v[32:33], v[32:33], v[36:37]
	v_add_f64 v[34:35], v[6:7], v[34:35]
	v_mul_f64 v[6:7], v[16:17], v[12:13]
	v_fma_f64 v[8:9], v[16:17], v[10:11], v[8:9]
	v_fma_f64 v[6:7], v[14:15], v[10:11], -v[6:7]
	v_add_f64 v[20:21], v[8:9], v[20:21]
	v_add_f64 v[18:19], v[18:19], v[6:7]
	ds_read_b128 v[6:9], v24 offset:1536
	s_waitcnt lgkmcnt(0)
	v_mul_f64 v[10:11], v[42:43], v[8:9]
	v_mul_f64 v[12:13], v[40:41], v[8:9]
	v_fma_f64 v[10:11], v[40:41], v[6:7], -v[10:11]
	v_fma_f64 v[12:13], v[42:43], v[6:7], v[12:13]
	v_add_f64 v[36:37], v[44:45], v[10:11]
	v_add_f64 v[38:39], v[12:13], v[46:47]
	ds_read_b128 v[10:13], v24 offset:1792
	s_waitcnt lgkmcnt(0)
	v_mul_f64 v[14:15], v[42:43], v[12:13]
	v_mul_f64 v[16:17], v[40:41], v[12:13]
	v_fma_f64 v[14:15], v[40:41], v[10:11], -v[14:15]
	v_fma_f64 v[16:17], v[42:43], v[10:11], v[16:17]
	;; [unrolled: 8-line block ×3, first 2 shown]
	v_mul_f64 v[8:9], v[14:15], v[12:13]
	v_add_f64 v[32:33], v[32:33], v[40:41]
	v_add_f64 v[34:35], v[6:7], v[34:35]
	v_mul_f64 v[6:7], v[16:17], v[12:13]
	v_fma_f64 v[8:9], v[16:17], v[10:11], v[8:9]
	v_fma_f64 v[6:7], v[14:15], v[10:11], -v[6:7]
	v_add_f64 v[20:21], v[8:9], v[20:21]
	v_add_f64 v[18:19], v[18:19], v[6:7]
	ds_read_b128 v[6:9], v25 offset:64
	ds_read_b128 v[10:13], v24 offset:2048
	s_waitcnt lgkmcnt(0)
	v_mul_f64 v[14:15], v[8:9], v[12:13]
	v_mul_f64 v[16:17], v[6:7], v[12:13]
	v_fma_f64 v[14:15], v[6:7], v[10:11], -v[14:15]
	v_fma_f64 v[16:17], v[8:9], v[10:11], v[16:17]
	v_add_f64 v[36:37], v[36:37], v[14:15]
	v_add_f64 v[38:39], v[16:17], v[38:39]
	ds_read_b128 v[14:17], v24 offset:2304
	s_waitcnt lgkmcnt(0)
	v_mul_f64 v[40:41], v[8:9], v[16:17]
	v_fma_f64 v[40:41], v[6:7], v[14:15], -v[40:41]
	v_mul_f64 v[6:7], v[6:7], v[16:17]
	v_add_f64 v[30:31], v[30:31], v[40:41]
	v_fma_f64 v[6:7], v[8:9], v[14:15], v[6:7]
	v_add_f64 v[28:29], v[6:7], v[28:29]
	ds_read_b128 v[6:9], v25 offset:2112
	s_waitcnt lgkmcnt(0)
	v_mul_f64 v[40:41], v[8:9], v[12:13]
	v_mul_f64 v[12:13], v[6:7], v[12:13]
	v_fma_f64 v[40:41], v[6:7], v[10:11], -v[40:41]
	v_fma_f64 v[10:11], v[8:9], v[10:11], v[12:13]
	v_add_f64 v[32:33], v[32:33], v[40:41]
	v_add_f64 v[34:35], v[10:11], v[34:35]
	v_mul_f64 v[10:11], v[8:9], v[16:17]
	v_fma_f64 v[10:11], v[6:7], v[14:15], -v[10:11]
	v_mul_f64 v[6:7], v[6:7], v[16:17]
	v_add_f64 v[18:19], v[18:19], v[10:11]
	v_fma_f64 v[6:7], v[8:9], v[14:15], v[6:7]
	v_add_f64 v[20:21], v[6:7], v[20:21]
	ds_read_b128 v[6:9], v25 offset:80
	ds_read_b128 v[10:13], v24 offset:2560
	s_waitcnt lgkmcnt(0)
	v_mul_f64 v[14:15], v[8:9], v[12:13]
	v_mul_f64 v[16:17], v[6:7], v[12:13]
	v_fma_f64 v[14:15], v[6:7], v[10:11], -v[14:15]
	v_fma_f64 v[16:17], v[8:9], v[10:11], v[16:17]
	v_add_f64 v[36:37], v[36:37], v[14:15]
	v_add_f64 v[38:39], v[16:17], v[38:39]
	ds_read_b128 v[14:17], v24 offset:2816
	s_waitcnt lgkmcnt(0)
	v_mul_f64 v[40:41], v[8:9], v[16:17]
	v_fma_f64 v[40:41], v[6:7], v[14:15], -v[40:41]
	v_mul_f64 v[6:7], v[6:7], v[16:17]
	v_add_f64 v[30:31], v[30:31], v[40:41]
	v_fma_f64 v[6:7], v[8:9], v[14:15], v[6:7]
	v_add_f64 v[28:29], v[6:7], v[28:29]
	ds_read_b128 v[6:9], v25 offset:2128
	s_waitcnt lgkmcnt(0)
	v_mul_f64 v[40:41], v[8:9], v[12:13]
	v_mul_f64 v[12:13], v[6:7], v[12:13]
	v_fma_f64 v[40:41], v[6:7], v[10:11], -v[40:41]
	v_fma_f64 v[10:11], v[8:9], v[10:11], v[12:13]
	v_add_f64 v[32:33], v[32:33], v[40:41]
	v_add_f64 v[34:35], v[10:11], v[34:35]
	v_mul_f64 v[10:11], v[8:9], v[16:17]
	v_fma_f64 v[10:11], v[6:7], v[14:15], -v[10:11]
	v_mul_f64 v[6:7], v[6:7], v[16:17]
	v_add_f64 v[18:19], v[18:19], v[10:11]
	v_fma_f64 v[6:7], v[8:9], v[14:15], v[6:7]
	;; [unrolled: 31-line block ×3, first 2 shown]
	v_add_f64 v[50:51], v[6:7], v[20:21]
	ds_read_b128 v[6:9], v25 offset:112
	ds_read_b128 v[10:13], v24 offset:3584
	;; [unrolled: 1-line block ×4, first 2 shown]
	s_waitcnt lgkmcnt(0)
	s_barrier
	v_mul_f64 v[14:15], v[8:9], v[12:13]
	v_mul_f64 v[16:17], v[6:7], v[12:13]
	v_fma_f64 v[14:15], v[6:7], v[10:11], -v[14:15]
	v_fma_f64 v[16:17], v[8:9], v[10:11], v[16:17]
	v_add_f64 v[18:19], v[36:37], v[14:15]
	v_mul_f64 v[14:15], v[8:9], v[30:31]
	v_add_f64 v[20:21], v[16:17], v[38:39]
	v_fma_f64 v[14:15], v[6:7], v[28:29], -v[14:15]
	v_mul_f64 v[6:7], v[6:7], v[30:31]
	v_fma_f64 v[8:9], v[8:9], v[28:29], v[6:7]
	v_add_f64 v[6:7], v[40:41], v[14:15]
	v_mul_f64 v[14:15], v[34:35], v[12:13]
	v_mul_f64 v[12:13], v[32:33], v[12:13]
	v_add_f64 v[8:9], v[8:9], v[42:43]
	v_fma_f64 v[14:15], v[32:33], v[10:11], -v[14:15]
	v_fma_f64 v[10:11], v[34:35], v[10:11], v[12:13]
	v_mul_f64 v[12:13], v[32:33], v[30:31]
	v_add_f64 v[14:15], v[44:45], v[14:15]
	v_add_f64 v[16:17], v[10:11], v[46:47]
	v_mul_f64 v[10:11], v[34:35], v[30:31]
	v_fma_f64 v[10:11], v[32:33], v[28:29], -v[10:11]
	v_fma_f64 v[28:29], v[34:35], v[28:29], v[12:13]
	v_add_f64 v[12:13], v[48:49], v[10:11]
	v_add_f64 v[10:11], v[28:29], v[50:51]
	v_mov_b32_e32 v29, s7
	v_mov_b32_e32 v28, s6
	v_cmp_le_u64_e32 vcc, s[12:13], v[28:29]
	s_cbranch_vccz .LBB1316_2
	s_branch .LBB1316_4
.LBB1316_3:
	v_mov_b32_e32 v18, 0
	v_mov_b32_e32 v20, 0
	;; [unrolled: 1-line block ×16, first 2 shown]
.LBB1316_4:
	s_load_dwordx4 s[12:15], s[4:5], 0x48
	s_load_dword s6, s[4:5], 0x0
	v_add_u32_e32 v4, s10, v1
	v_ashrrev_i32_e32 v1, 31, v4
	v_add_u32_e32 v0, s9, v0
	s_waitcnt lgkmcnt(0)
	s_mul_i32 s1, s15, s8
	s_mul_hi_u32 s2, s14, s8
	s_add_i32 s1, s2, s1
	v_mul_lo_u32 v3, s12, v1
	v_mul_lo_u32 v5, s13, v4
	v_mad_u64_u32 v[1:2], s[2:3], s12, v4, 0
	s_mul_i32 s0, s14, s8
	s_lshl_b64 s[0:1], s[0:1], 4
	v_add3_u32 v2, v2, v3, v5
	s_add_u32 s4, s26, s0
	v_lshlrev_b64 v[1:2], 4, v[1:2]
	s_addc_u32 s5, s27, s1
	v_mov_b32_e32 v3, s5
	v_add_co_u32_e64 v5, s[0:1], s4, v1
	v_addc_co_u32_e64 v22, s[0:1], v3, v2, s[0:1]
	v_cmp_gt_i32_e32 vcc, s6, v4
	v_cmp_le_i32_e64 s[0:1], v0, v4
	s_and_b64 s[0:1], vcc, s[0:1]
	s_and_saveexec_b64 s[2:3], s[0:1]
	s_cbranch_execz .LBB1316_6
; %bb.5:
	v_ashrrev_i32_e32 v1, 31, v0
	v_lshlrev_b64 v[1:2], 4, v[0:1]
	v_add_co_u32_e64 v1, s[0:1], v5, v1
	v_addc_co_u32_e64 v2, s[0:1], v22, v2, s[0:1]
	global_load_dwordx4 v[23:26], v[1:2], off
	v_cmp_ne_u32_e64 s[0:1], v4, v0
	s_waitcnt vmcnt(0)
	v_add_f64 v[20:21], v[20:21], v[25:26]
	v_add_f64 v[18:19], v[18:19], v[23:24]
	v_cndmask_b32_e64 v21, 0, v21, s[0:1]
	v_cndmask_b32_e64 v20, 0, v20, s[0:1]
	global_store_dwordx4 v[1:2], v[18:21], off
.LBB1316_6:
	s_or_b64 exec, exec, s[2:3]
	v_add_u32_e32 v2, 16, v0
	v_cmp_le_i32_e64 s[0:1], v2, v4
	s_and_b64 s[2:3], vcc, s[0:1]
	s_and_saveexec_b64 s[0:1], s[2:3]
	s_cbranch_execz .LBB1316_8
; %bb.7:
	v_ashrrev_i32_e32 v3, 31, v2
	v_lshlrev_b64 v[18:19], 4, v[2:3]
	v_add_co_u32_e32 v23, vcc, v5, v18
	v_addc_co_u32_e32 v24, vcc, v22, v19, vcc
	global_load_dwordx4 v[18:21], v[23:24], off
	v_cmp_ne_u32_e32 vcc, v4, v2
	s_waitcnt vmcnt(0)
	v_add_f64 v[20:21], v[8:9], v[20:21]
	v_add_f64 v[5:6], v[6:7], v[18:19]
	v_cndmask_b32_e32 v8, 0, v21, vcc
	v_cndmask_b32_e32 v7, 0, v20, vcc
	global_store_dwordx4 v[23:24], v[5:8], off
.LBB1316_8:
	s_or_b64 exec, exec, s[0:1]
	v_add_u32_e32 v3, 16, v4
	v_ashrrev_i32_e32 v1, 31, v3
	v_mul_lo_u32 v1, s12, v1
	v_mul_lo_u32 v7, s13, v3
	v_mad_u64_u32 v[5:6], s[0:1], s12, v3, 0
	v_cmp_gt_i32_e32 vcc, s6, v3
	v_add3_u32 v6, v6, v1, v7
	v_lshlrev_b64 v[5:6], 4, v[5:6]
	v_mov_b32_e32 v1, s5
	v_add_co_u32_e64 v5, s[0:1], s4, v5
	v_addc_co_u32_e64 v6, s[0:1], v1, v6, s[0:1]
	v_cmp_le_i32_e64 s[0:1], v0, v3
	s_and_b64 s[0:1], vcc, s[0:1]
	s_and_saveexec_b64 s[2:3], s[0:1]
	s_cbranch_execz .LBB1316_10
; %bb.9:
	v_ashrrev_i32_e32 v1, 31, v0
	v_lshlrev_b64 v[7:8], 4, v[0:1]
	v_add_co_u32_e64 v7, s[0:1], v5, v7
	v_addc_co_u32_e64 v8, s[0:1], v6, v8, s[0:1]
	global_load_dwordx4 v[18:21], v[7:8], off
	v_cmp_ne_u32_e64 s[0:1], v3, v0
	s_waitcnt vmcnt(0)
	v_add_f64 v[16:17], v[16:17], v[20:21]
	v_add_f64 v[14:15], v[14:15], v[18:19]
	v_cndmask_b32_e64 v17, 0, v17, s[0:1]
	v_cndmask_b32_e64 v16, 0, v16, s[0:1]
	global_store_dwordx4 v[7:8], v[14:17], off
.LBB1316_10:
	s_or_b64 exec, exec, s[2:3]
	v_cmp_le_i32_e64 s[0:1], v2, v3
	s_and_b64 s[0:1], vcc, s[0:1]
	s_and_saveexec_b64 s[2:3], s[0:1]
	s_cbranch_execz .LBB1316_12
; %bb.11:
	v_ashrrev_i32_e32 v3, 31, v2
	v_lshlrev_b64 v[1:2], 4, v[2:3]
	v_add_co_u32_e32 v14, vcc, v5, v1
	v_addc_co_u32_e32 v15, vcc, v6, v2, vcc
	global_load_dwordx4 v[5:8], v[14:15], off
	v_cmp_ne_u32_e32 vcc, v4, v0
	s_waitcnt vmcnt(0)
	v_add_f64 v[7:8], v[10:11], v[7:8]
	v_add_f64 v[1:2], v[12:13], v[5:6]
	v_cndmask_b32_e32 v4, 0, v8, vcc
	v_cndmask_b32_e32 v3, 0, v7, vcc
	global_store_dwordx4 v[14:15], v[1:4], off
.LBB1316_12:
	s_endpgm
	.section	.rodata,"a",@progbits
	.p2align	6, 0x0
	.amdhsa_kernel _ZL37rocblas_syrkx_herkx_restricted_kernelIl19rocblas_complex_numIdELi16ELi32ELi8ELi1ELi1ELb1ELc78ELc85EKS1_S1_EviT_PT9_S3_lS5_S3_lPT10_S3_li
		.amdhsa_group_segment_fixed_size 8192
		.amdhsa_private_segment_fixed_size 0
		.amdhsa_kernarg_size 92
		.amdhsa_user_sgpr_count 6
		.amdhsa_user_sgpr_private_segment_buffer 1
		.amdhsa_user_sgpr_dispatch_ptr 0
		.amdhsa_user_sgpr_queue_ptr 0
		.amdhsa_user_sgpr_kernarg_segment_ptr 1
		.amdhsa_user_sgpr_dispatch_id 0
		.amdhsa_user_sgpr_flat_scratch_init 0
		.amdhsa_user_sgpr_private_segment_size 0
		.amdhsa_uses_dynamic_stack 0
		.amdhsa_system_sgpr_private_segment_wavefront_offset 0
		.amdhsa_system_sgpr_workgroup_id_x 1
		.amdhsa_system_sgpr_workgroup_id_y 1
		.amdhsa_system_sgpr_workgroup_id_z 1
		.amdhsa_system_sgpr_workgroup_info 0
		.amdhsa_system_vgpr_workitem_id 1
		.amdhsa_next_free_vgpr 54
		.amdhsa_next_free_sgpr 61
		.amdhsa_reserve_vcc 1
		.amdhsa_reserve_flat_scratch 0
		.amdhsa_float_round_mode_32 0
		.amdhsa_float_round_mode_16_64 0
		.amdhsa_float_denorm_mode_32 3
		.amdhsa_float_denorm_mode_16_64 3
		.amdhsa_dx10_clamp 1
		.amdhsa_ieee_mode 1
		.amdhsa_fp16_overflow 0
		.amdhsa_exception_fp_ieee_invalid_op 0
		.amdhsa_exception_fp_denorm_src 0
		.amdhsa_exception_fp_ieee_div_zero 0
		.amdhsa_exception_fp_ieee_overflow 0
		.amdhsa_exception_fp_ieee_underflow 0
		.amdhsa_exception_fp_ieee_inexact 0
		.amdhsa_exception_int_div_zero 0
	.end_amdhsa_kernel
	.section	.text._ZL37rocblas_syrkx_herkx_restricted_kernelIl19rocblas_complex_numIdELi16ELi32ELi8ELi1ELi1ELb1ELc78ELc85EKS1_S1_EviT_PT9_S3_lS5_S3_lPT10_S3_li,"axG",@progbits,_ZL37rocblas_syrkx_herkx_restricted_kernelIl19rocblas_complex_numIdELi16ELi32ELi8ELi1ELi1ELb1ELc78ELc85EKS1_S1_EviT_PT9_S3_lS5_S3_lPT10_S3_li,comdat
.Lfunc_end1316:
	.size	_ZL37rocblas_syrkx_herkx_restricted_kernelIl19rocblas_complex_numIdELi16ELi32ELi8ELi1ELi1ELb1ELc78ELc85EKS1_S1_EviT_PT9_S3_lS5_S3_lPT10_S3_li, .Lfunc_end1316-_ZL37rocblas_syrkx_herkx_restricted_kernelIl19rocblas_complex_numIdELi16ELi32ELi8ELi1ELi1ELb1ELc78ELc85EKS1_S1_EviT_PT9_S3_lS5_S3_lPT10_S3_li
                                        ; -- End function
	.set _ZL37rocblas_syrkx_herkx_restricted_kernelIl19rocblas_complex_numIdELi16ELi32ELi8ELi1ELi1ELb1ELc78ELc85EKS1_S1_EviT_PT9_S3_lS5_S3_lPT10_S3_li.num_vgpr, 54
	.set _ZL37rocblas_syrkx_herkx_restricted_kernelIl19rocblas_complex_numIdELi16ELi32ELi8ELi1ELi1ELb1ELc78ELc85EKS1_S1_EviT_PT9_S3_lS5_S3_lPT10_S3_li.num_agpr, 0
	.set _ZL37rocblas_syrkx_herkx_restricted_kernelIl19rocblas_complex_numIdELi16ELi32ELi8ELi1ELi1ELb1ELc78ELc85EKS1_S1_EviT_PT9_S3_lS5_S3_lPT10_S3_li.numbered_sgpr, 28
	.set _ZL37rocblas_syrkx_herkx_restricted_kernelIl19rocblas_complex_numIdELi16ELi32ELi8ELi1ELi1ELb1ELc78ELc85EKS1_S1_EviT_PT9_S3_lS5_S3_lPT10_S3_li.num_named_barrier, 0
	.set _ZL37rocblas_syrkx_herkx_restricted_kernelIl19rocblas_complex_numIdELi16ELi32ELi8ELi1ELi1ELb1ELc78ELc85EKS1_S1_EviT_PT9_S3_lS5_S3_lPT10_S3_li.private_seg_size, 0
	.set _ZL37rocblas_syrkx_herkx_restricted_kernelIl19rocblas_complex_numIdELi16ELi32ELi8ELi1ELi1ELb1ELc78ELc85EKS1_S1_EviT_PT9_S3_lS5_S3_lPT10_S3_li.uses_vcc, 1
	.set _ZL37rocblas_syrkx_herkx_restricted_kernelIl19rocblas_complex_numIdELi16ELi32ELi8ELi1ELi1ELb1ELc78ELc85EKS1_S1_EviT_PT9_S3_lS5_S3_lPT10_S3_li.uses_flat_scratch, 0
	.set _ZL37rocblas_syrkx_herkx_restricted_kernelIl19rocblas_complex_numIdELi16ELi32ELi8ELi1ELi1ELb1ELc78ELc85EKS1_S1_EviT_PT9_S3_lS5_S3_lPT10_S3_li.has_dyn_sized_stack, 0
	.set _ZL37rocblas_syrkx_herkx_restricted_kernelIl19rocblas_complex_numIdELi16ELi32ELi8ELi1ELi1ELb1ELc78ELc85EKS1_S1_EviT_PT9_S3_lS5_S3_lPT10_S3_li.has_recursion, 0
	.set _ZL37rocblas_syrkx_herkx_restricted_kernelIl19rocblas_complex_numIdELi16ELi32ELi8ELi1ELi1ELb1ELc78ELc85EKS1_S1_EviT_PT9_S3_lS5_S3_lPT10_S3_li.has_indirect_call, 0
	.section	.AMDGPU.csdata,"",@progbits
; Kernel info:
; codeLenInByte = 3024
; TotalNumSgprs: 32
; NumVgprs: 54
; ScratchSize: 0
; MemoryBound: 0
; FloatMode: 240
; IeeeMode: 1
; LDSByteSize: 8192 bytes/workgroup (compile time only)
; SGPRBlocks: 8
; VGPRBlocks: 13
; NumSGPRsForWavesPerEU: 65
; NumVGPRsForWavesPerEU: 54
; Occupancy: 4
; WaveLimiterHint : 1
; COMPUTE_PGM_RSRC2:SCRATCH_EN: 0
; COMPUTE_PGM_RSRC2:USER_SGPR: 6
; COMPUTE_PGM_RSRC2:TRAP_HANDLER: 0
; COMPUTE_PGM_RSRC2:TGID_X_EN: 1
; COMPUTE_PGM_RSRC2:TGID_Y_EN: 1
; COMPUTE_PGM_RSRC2:TGID_Z_EN: 1
; COMPUTE_PGM_RSRC2:TIDIG_COMP_CNT: 1
	.section	.text._ZL37rocblas_syrkx_herkx_restricted_kernelIl19rocblas_complex_numIdELi16ELi32ELi8ELi1ELin1ELb1ELc84ELc76EKS1_S1_EviT_PT9_S3_lS5_S3_lPT10_S3_li,"axG",@progbits,_ZL37rocblas_syrkx_herkx_restricted_kernelIl19rocblas_complex_numIdELi16ELi32ELi8ELi1ELin1ELb1ELc84ELc76EKS1_S1_EviT_PT9_S3_lS5_S3_lPT10_S3_li,comdat
	.globl	_ZL37rocblas_syrkx_herkx_restricted_kernelIl19rocblas_complex_numIdELi16ELi32ELi8ELi1ELin1ELb1ELc84ELc76EKS1_S1_EviT_PT9_S3_lS5_S3_lPT10_S3_li ; -- Begin function _ZL37rocblas_syrkx_herkx_restricted_kernelIl19rocblas_complex_numIdELi16ELi32ELi8ELi1ELin1ELb1ELc84ELc76EKS1_S1_EviT_PT9_S3_lS5_S3_lPT10_S3_li
	.p2align	8
	.type	_ZL37rocblas_syrkx_herkx_restricted_kernelIl19rocblas_complex_numIdELi16ELi32ELi8ELi1ELin1ELb1ELc84ELc76EKS1_S1_EviT_PT9_S3_lS5_S3_lPT10_S3_li,@function
_ZL37rocblas_syrkx_herkx_restricted_kernelIl19rocblas_complex_numIdELi16ELi32ELi8ELi1ELin1ELb1ELc84ELc76EKS1_S1_EviT_PT9_S3_lS5_S3_lPT10_S3_li: ; @_ZL37rocblas_syrkx_herkx_restricted_kernelIl19rocblas_complex_numIdELi16ELi32ELi8ELi1ELin1ELb1ELc84ELc76EKS1_S1_EviT_PT9_S3_lS5_S3_lPT10_S3_li
; %bb.0:
	s_load_dwordx16 s[12:27], s[4:5], 0x8
	s_lshl_b32 s2, s6, 5
	s_lshl_b32 s3, s7, 5
	s_waitcnt lgkmcnt(0)
	v_cmp_lt_i64_e64 s[0:1], s[12:13], 1
	s_and_b64 vcc, exec, s[0:1]
	s_cbranch_vccnz .LBB1317_3
; %bb.1:
	v_lshl_add_u32 v6, v1, 4, v0
	v_lshrrev_b32_e32 v8, 3, v6
	v_add_u32_e32 v4, s3, v8
	v_ashrrev_i32_e32 v5, 31, v4
	v_and_b32_e32 v2, 7, v0
	v_mov_b32_e32 v3, 0
	v_mul_lo_u32 v7, s22, v5
	v_mul_lo_u32 v9, s23, v4
	v_mad_u64_u32 v[4:5], s[0:1], s22, v4, v[2:3]
	v_lshlrev_b32_e32 v2, 4, v2
	v_lshl_or_b32 v2, v8, 7, v2
	v_add3_u32 v5, v9, v5, v7
	v_and_b32_e32 v9, 31, v6
	v_add_u32_e32 v23, 0x1000, v2
	v_mov_b32_e32 v2, 0x1000
	v_add_u32_e32 v8, s2, v9
	v_lshrrev_b32_e32 v6, 5, v6
	v_mov_b32_e32 v7, v3
	v_lshlrev_b32_e32 v3, 4, v9
	v_lshl_add_u32 v25, v1, 7, v2
	v_ashrrev_i32_e32 v2, 31, v8
	v_lshl_or_b32 v22, v6, 9, v3
	v_mul_lo_u32 v9, s16, v2
	v_mad_u64_u32 v[2:3], s[0:1], s16, v8, v[6:7]
	v_mul_lo_u32 v6, s17, v8
	s_mul_i32 s6, s19, s8
	s_mul_hi_u32 s7, s18, s8
	s_add_i32 s1, s7, s6
	s_mul_i32 s0, s18, s8
	s_lshl_b64 s[0:1], s[0:1], 4
	v_add3_u32 v3, v6, v3, v9
	v_lshlrev_b64 v[2:3], 4, v[2:3]
	s_add_u32 s0, s14, s0
	s_addc_u32 s1, s15, s1
	v_mov_b32_e32 v6, s1
	v_add_co_u32_e32 v2, vcc, s0, v2
	s_mul_i32 s0, s25, s8
	s_mul_hi_u32 s1, s24, s8
	s_add_i32 s1, s1, s0
	s_mul_i32 s0, s24, s8
	v_addc_co_u32_e32 v3, vcc, v6, v3, vcc
	s_lshl_b64 s[0:1], s[0:1], 4
	v_add_co_u32_e32 v2, vcc, 8, v2
	v_lshlrev_b64 v[4:5], 4, v[4:5]
	s_add_u32 s0, s20, s0
	v_addc_co_u32_e32 v3, vcc, 0, v3, vcc
	s_addc_u32 s1, s21, s1
	v_mov_b32_e32 v6, s1
	v_add_co_u32_e32 v4, vcc, s0, v4
	v_addc_co_u32_e32 v5, vcc, v6, v5, vcc
	v_add_co_u32_e32 v4, vcc, 8, v4
	v_mov_b32_e32 v10, 0
	v_mov_b32_e32 v12, 0
	;; [unrolled: 1-line block ×8, first 2 shown]
	v_lshlrev_b32_e32 v24, 4, v0
	v_addc_co_u32_e32 v5, vcc, 0, v5, vcc
	v_mov_b32_e32 v11, 0
	v_mov_b32_e32 v13, 0
	;; [unrolled: 1-line block ×8, first 2 shown]
	s_mov_b64 s[0:1], 0
.LBB1317_2:                             ; =>This Inner Loop Header: Depth=1
	global_load_dwordx4 v[26:29], v[2:3], off offset:-8
	s_add_u32 s0, s0, 8
	v_add_co_u32_e32 v2, vcc, 0x80, v2
	s_addc_u32 s1, s1, 0
	v_addc_co_u32_e32 v3, vcc, 0, v3, vcc
	s_waitcnt vmcnt(0)
	ds_write_b128 v22, v[26:29]
	global_load_dwordx4 v[26:29], v[4:5], off offset:-8
	v_add_co_u32_e32 v4, vcc, 0x80, v4
	v_addc_co_u32_e32 v5, vcc, 0, v5, vcc
	s_waitcnt vmcnt(0)
	ds_write_b128 v23, v[26:29]
	s_waitcnt lgkmcnt(0)
	s_barrier
	ds_read_b128 v[26:29], v25
	ds_read_b128 v[30:33], v25 offset:16
	ds_read_b128 v[34:37], v25 offset:32
	;; [unrolled: 1-line block ×3, first 2 shown]
	ds_read_b128 v[42:45], v24
	s_waitcnt lgkmcnt(0)
	v_mul_f64 v[46:47], v[28:29], v[44:45]
	v_mul_f64 v[48:49], v[26:27], v[44:45]
	v_fma_f64 v[46:47], v[26:27], v[42:43], -v[46:47]
	v_fma_f64 v[48:49], v[28:29], v[42:43], v[48:49]
	v_add_f64 v[46:47], v[18:19], v[46:47]
	v_add_f64 v[48:49], v[48:49], v[20:21]
	ds_read_b128 v[18:21], v24 offset:256
	s_waitcnt lgkmcnt(0)
	v_mul_f64 v[50:51], v[28:29], v[20:21]
	v_fma_f64 v[50:51], v[26:27], v[18:19], -v[50:51]
	v_mul_f64 v[26:27], v[26:27], v[20:21]
	v_fma_f64 v[26:27], v[28:29], v[18:19], v[26:27]
	v_add_f64 v[28:29], v[6:7], v[50:51]
	v_add_f64 v[26:27], v[26:27], v[8:9]
	ds_read_b128 v[6:9], v25 offset:2048
	s_waitcnt lgkmcnt(0)
	v_mul_f64 v[50:51], v[8:9], v[44:45]
	v_mul_f64 v[44:45], v[6:7], v[44:45]
	v_fma_f64 v[50:51], v[6:7], v[42:43], -v[50:51]
	v_fma_f64 v[42:43], v[8:9], v[42:43], v[44:45]
	v_add_f64 v[44:45], v[14:15], v[50:51]
	v_mul_f64 v[14:15], v[8:9], v[20:21]
	v_add_f64 v[42:43], v[42:43], v[16:17]
	v_fma_f64 v[14:15], v[6:7], v[18:19], -v[14:15]
	v_mul_f64 v[6:7], v[6:7], v[20:21]
	v_fma_f64 v[6:7], v[8:9], v[18:19], v[6:7]
	v_add_f64 v[18:19], v[12:13], v[14:15]
	v_add_f64 v[20:21], v[6:7], v[10:11]
	ds_read_b128 v[6:9], v24 offset:512
	s_waitcnt lgkmcnt(0)
	v_mul_f64 v[10:11], v[32:33], v[8:9]
	v_mul_f64 v[12:13], v[30:31], v[8:9]
	v_fma_f64 v[10:11], v[30:31], v[6:7], -v[10:11]
	v_fma_f64 v[12:13], v[32:33], v[6:7], v[12:13]
	v_add_f64 v[46:47], v[46:47], v[10:11]
	v_add_f64 v[48:49], v[12:13], v[48:49]
	ds_read_b128 v[10:13], v24 offset:768
	s_waitcnt lgkmcnt(0)
	v_mul_f64 v[14:15], v[32:33], v[12:13]
	v_mul_f64 v[16:17], v[30:31], v[12:13]
	v_fma_f64 v[14:15], v[30:31], v[10:11], -v[14:15]
	;; [unrolled: 8-line block ×3, first 2 shown]
	v_fma_f64 v[6:7], v[16:17], v[6:7], v[8:9]
	v_mul_f64 v[8:9], v[14:15], v[12:13]
	v_add_f64 v[30:31], v[44:45], v[30:31]
	v_add_f64 v[32:33], v[6:7], v[42:43]
	v_mul_f64 v[6:7], v[16:17], v[12:13]
	v_fma_f64 v[8:9], v[16:17], v[10:11], v[8:9]
	v_fma_f64 v[6:7], v[14:15], v[10:11], -v[6:7]
	v_add_f64 v[20:21], v[8:9], v[20:21]
	v_add_f64 v[18:19], v[18:19], v[6:7]
	ds_read_b128 v[6:9], v24 offset:1024
	s_waitcnt lgkmcnt(0)
	v_mul_f64 v[10:11], v[36:37], v[8:9]
	v_mul_f64 v[12:13], v[34:35], v[8:9]
	v_fma_f64 v[10:11], v[34:35], v[6:7], -v[10:11]
	v_fma_f64 v[12:13], v[36:37], v[6:7], v[12:13]
	v_add_f64 v[42:43], v[46:47], v[10:11]
	v_add_f64 v[44:45], v[12:13], v[48:49]
	ds_read_b128 v[10:13], v24 offset:1280
	s_waitcnt lgkmcnt(0)
	v_mul_f64 v[14:15], v[36:37], v[12:13]
	v_mul_f64 v[16:17], v[34:35], v[12:13]
	v_fma_f64 v[14:15], v[34:35], v[10:11], -v[14:15]
	v_fma_f64 v[16:17], v[36:37], v[10:11], v[16:17]
	;; [unrolled: 8-line block ×3, first 2 shown]
	v_mul_f64 v[8:9], v[14:15], v[12:13]
	v_add_f64 v[30:31], v[30:31], v[34:35]
	v_add_f64 v[32:33], v[6:7], v[32:33]
	v_mul_f64 v[6:7], v[16:17], v[12:13]
	v_fma_f64 v[8:9], v[16:17], v[10:11], v[8:9]
	v_fma_f64 v[6:7], v[14:15], v[10:11], -v[6:7]
	v_add_f64 v[20:21], v[8:9], v[20:21]
	v_add_f64 v[18:19], v[18:19], v[6:7]
	ds_read_b128 v[6:9], v24 offset:1536
	s_waitcnt lgkmcnt(0)
	v_mul_f64 v[10:11], v[40:41], v[8:9]
	v_mul_f64 v[12:13], v[38:39], v[8:9]
	v_fma_f64 v[10:11], v[38:39], v[6:7], -v[10:11]
	v_fma_f64 v[12:13], v[40:41], v[6:7], v[12:13]
	v_add_f64 v[34:35], v[42:43], v[10:11]
	v_add_f64 v[36:37], v[12:13], v[44:45]
	ds_read_b128 v[10:13], v24 offset:1792
	s_waitcnt lgkmcnt(0)
	v_mul_f64 v[14:15], v[40:41], v[12:13]
	v_mul_f64 v[16:17], v[38:39], v[12:13]
	v_fma_f64 v[14:15], v[38:39], v[10:11], -v[14:15]
	v_fma_f64 v[16:17], v[40:41], v[10:11], v[16:17]
	;; [unrolled: 8-line block ×3, first 2 shown]
	v_mul_f64 v[8:9], v[14:15], v[12:13]
	v_add_f64 v[30:31], v[30:31], v[38:39]
	v_add_f64 v[32:33], v[6:7], v[32:33]
	v_mul_f64 v[6:7], v[16:17], v[12:13]
	v_fma_f64 v[8:9], v[16:17], v[10:11], v[8:9]
	v_fma_f64 v[6:7], v[14:15], v[10:11], -v[6:7]
	v_add_f64 v[20:21], v[8:9], v[20:21]
	v_add_f64 v[18:19], v[18:19], v[6:7]
	ds_read_b128 v[6:9], v25 offset:64
	ds_read_b128 v[10:13], v24 offset:2048
	s_waitcnt lgkmcnt(0)
	v_mul_f64 v[14:15], v[8:9], v[12:13]
	v_mul_f64 v[16:17], v[6:7], v[12:13]
	v_fma_f64 v[14:15], v[6:7], v[10:11], -v[14:15]
	v_fma_f64 v[16:17], v[8:9], v[10:11], v[16:17]
	v_add_f64 v[34:35], v[34:35], v[14:15]
	v_add_f64 v[36:37], v[16:17], v[36:37]
	ds_read_b128 v[14:17], v24 offset:2304
	s_waitcnt lgkmcnt(0)
	v_mul_f64 v[38:39], v[8:9], v[16:17]
	v_fma_f64 v[38:39], v[6:7], v[14:15], -v[38:39]
	v_mul_f64 v[6:7], v[6:7], v[16:17]
	v_add_f64 v[28:29], v[28:29], v[38:39]
	v_fma_f64 v[6:7], v[8:9], v[14:15], v[6:7]
	v_add_f64 v[26:27], v[6:7], v[26:27]
	ds_read_b128 v[6:9], v25 offset:2112
	s_waitcnt lgkmcnt(0)
	v_mul_f64 v[38:39], v[8:9], v[12:13]
	v_mul_f64 v[12:13], v[6:7], v[12:13]
	v_fma_f64 v[38:39], v[6:7], v[10:11], -v[38:39]
	v_fma_f64 v[10:11], v[8:9], v[10:11], v[12:13]
	v_add_f64 v[30:31], v[30:31], v[38:39]
	v_add_f64 v[32:33], v[10:11], v[32:33]
	v_mul_f64 v[10:11], v[8:9], v[16:17]
	v_fma_f64 v[10:11], v[6:7], v[14:15], -v[10:11]
	v_mul_f64 v[6:7], v[6:7], v[16:17]
	v_add_f64 v[18:19], v[18:19], v[10:11]
	v_fma_f64 v[6:7], v[8:9], v[14:15], v[6:7]
	v_add_f64 v[20:21], v[6:7], v[20:21]
	ds_read_b128 v[6:9], v25 offset:80
	ds_read_b128 v[10:13], v24 offset:2560
	s_waitcnt lgkmcnt(0)
	v_mul_f64 v[14:15], v[8:9], v[12:13]
	v_mul_f64 v[16:17], v[6:7], v[12:13]
	v_fma_f64 v[14:15], v[6:7], v[10:11], -v[14:15]
	v_fma_f64 v[16:17], v[8:9], v[10:11], v[16:17]
	v_add_f64 v[34:35], v[34:35], v[14:15]
	v_add_f64 v[36:37], v[16:17], v[36:37]
	ds_read_b128 v[14:17], v24 offset:2816
	s_waitcnt lgkmcnt(0)
	v_mul_f64 v[38:39], v[8:9], v[16:17]
	v_fma_f64 v[38:39], v[6:7], v[14:15], -v[38:39]
	v_mul_f64 v[6:7], v[6:7], v[16:17]
	v_add_f64 v[28:29], v[28:29], v[38:39]
	v_fma_f64 v[6:7], v[8:9], v[14:15], v[6:7]
	v_add_f64 v[26:27], v[6:7], v[26:27]
	ds_read_b128 v[6:9], v25 offset:2128
	s_waitcnt lgkmcnt(0)
	v_mul_f64 v[38:39], v[8:9], v[12:13]
	v_mul_f64 v[12:13], v[6:7], v[12:13]
	v_fma_f64 v[38:39], v[6:7], v[10:11], -v[38:39]
	v_fma_f64 v[10:11], v[8:9], v[10:11], v[12:13]
	v_add_f64 v[30:31], v[30:31], v[38:39]
	v_add_f64 v[32:33], v[10:11], v[32:33]
	v_mul_f64 v[10:11], v[8:9], v[16:17]
	v_fma_f64 v[10:11], v[6:7], v[14:15], -v[10:11]
	v_mul_f64 v[6:7], v[6:7], v[16:17]
	v_add_f64 v[18:19], v[18:19], v[10:11]
	v_fma_f64 v[6:7], v[8:9], v[14:15], v[6:7]
	;; [unrolled: 31-line block ×3, first 2 shown]
	v_add_f64 v[48:49], v[6:7], v[20:21]
	ds_read_b128 v[6:9], v25 offset:112
	ds_read_b128 v[10:13], v24 offset:3584
	;; [unrolled: 1-line block ×4, first 2 shown]
	s_waitcnt lgkmcnt(0)
	s_barrier
	v_mul_f64 v[14:15], v[8:9], v[12:13]
	v_mul_f64 v[16:17], v[6:7], v[12:13]
	v_fma_f64 v[14:15], v[6:7], v[10:11], -v[14:15]
	v_fma_f64 v[16:17], v[8:9], v[10:11], v[16:17]
	v_add_f64 v[18:19], v[34:35], v[14:15]
	v_mul_f64 v[14:15], v[8:9], v[28:29]
	v_add_f64 v[20:21], v[16:17], v[36:37]
	v_fma_f64 v[14:15], v[6:7], v[26:27], -v[14:15]
	v_mul_f64 v[6:7], v[6:7], v[28:29]
	v_fma_f64 v[8:9], v[8:9], v[26:27], v[6:7]
	v_add_f64 v[6:7], v[38:39], v[14:15]
	v_mul_f64 v[14:15], v[32:33], v[12:13]
	v_mul_f64 v[12:13], v[30:31], v[12:13]
	v_add_f64 v[8:9], v[8:9], v[40:41]
	v_fma_f64 v[14:15], v[30:31], v[10:11], -v[14:15]
	v_fma_f64 v[10:11], v[32:33], v[10:11], v[12:13]
	v_mul_f64 v[12:13], v[30:31], v[28:29]
	v_add_f64 v[14:15], v[42:43], v[14:15]
	v_add_f64 v[16:17], v[10:11], v[44:45]
	v_mul_f64 v[10:11], v[32:33], v[28:29]
	v_fma_f64 v[10:11], v[30:31], v[26:27], -v[10:11]
	v_fma_f64 v[26:27], v[32:33], v[26:27], v[12:13]
	v_add_f64 v[12:13], v[46:47], v[10:11]
	v_add_f64 v[10:11], v[26:27], v[48:49]
	v_mov_b32_e32 v27, s1
	v_mov_b32_e32 v26, s0
	v_cmp_le_u64_e32 vcc, s[12:13], v[26:27]
	s_cbranch_vccz .LBB1317_2
	s_branch .LBB1317_4
.LBB1317_3:
	v_mov_b32_e32 v18, 0
	v_mov_b32_e32 v20, 0
	;; [unrolled: 1-line block ×16, first 2 shown]
.LBB1317_4:
	s_load_dwordx4 s[12:15], s[4:5], 0x48
	s_load_dword s9, s[4:5], 0x0
	v_add_u32_e32 v4, s3, v1
	v_ashrrev_i32_e32 v1, 31, v4
	v_add_u32_e32 v0, s2, v0
	s_waitcnt lgkmcnt(0)
	v_mul_lo_u32 v3, s12, v1
	v_mul_lo_u32 v5, s13, v4
	v_mad_u64_u32 v[1:2], s[4:5], s12, v4, 0
	s_mul_i32 s1, s15, s8
	s_mul_hi_u32 s3, s14, s8
	s_mul_i32 s0, s14, s8
	s_add_i32 s1, s3, s1
	s_lshl_b64 s[0:1], s[0:1], 4
	v_add3_u32 v2, v2, v3, v5
	s_add_u32 s6, s26, s0
	v_lshlrev_b64 v[1:2], 4, v[1:2]
	s_addc_u32 s7, s27, s1
	v_mov_b32_e32 v3, s7
	v_add_co_u32_e32 v5, vcc, s6, v1
	v_addc_co_u32_e32 v22, vcc, v3, v2, vcc
	v_cmp_le_i32_e64 s[0:1], v4, v0
	v_cmp_gt_i32_e32 vcc, s9, v0
	s_and_b64 s[0:1], s[0:1], vcc
	s_and_saveexec_b64 s[2:3], s[0:1]
	s_cbranch_execz .LBB1317_6
; %bb.5:
	v_ashrrev_i32_e32 v1, 31, v0
	v_lshlrev_b64 v[1:2], 4, v[0:1]
	v_add_co_u32_e64 v1, s[0:1], v5, v1
	v_addc_co_u32_e64 v2, s[0:1], v22, v2, s[0:1]
	global_load_dwordx4 v[23:26], v[1:2], off
	v_cmp_ne_u32_e64 s[0:1], v4, v0
	s_waitcnt vmcnt(0)
	v_add_f64 v[20:21], v[20:21], -v[25:26]
	v_add_f64 v[18:19], v[18:19], -v[23:24]
	v_cndmask_b32_e64 v21, 0, v21, s[0:1]
	v_cndmask_b32_e64 v20, 0, v20, s[0:1]
	global_store_dwordx4 v[1:2], v[18:21], off
.LBB1317_6:
	s_or_b64 exec, exec, s[2:3]
	v_add_u32_e32 v2, 16, v0
	v_cmp_le_i32_e64 s[2:3], v4, v2
	v_cmp_gt_i32_e64 s[0:1], s9, v2
	s_and_b64 s[2:3], s[2:3], s[0:1]
	s_and_saveexec_b64 s[4:5], s[2:3]
	s_cbranch_execz .LBB1317_8
; %bb.7:
	v_ashrrev_i32_e32 v3, 31, v2
	v_lshlrev_b64 v[18:19], 4, v[2:3]
	v_add_co_u32_e64 v23, s[2:3], v5, v18
	v_addc_co_u32_e64 v24, s[2:3], v22, v19, s[2:3]
	global_load_dwordx4 v[18:21], v[23:24], off
	v_cmp_ne_u32_e64 s[2:3], v4, v2
	s_waitcnt vmcnt(0)
	v_add_f64 v[20:21], v[8:9], -v[20:21]
	v_add_f64 v[5:6], v[6:7], -v[18:19]
	v_cndmask_b32_e64 v8, 0, v21, s[2:3]
	v_cndmask_b32_e64 v7, 0, v20, s[2:3]
	global_store_dwordx4 v[23:24], v[5:8], off
.LBB1317_8:
	s_or_b64 exec, exec, s[4:5]
	v_add_u32_e32 v3, 16, v4
	v_ashrrev_i32_e32 v1, 31, v3
	v_mul_lo_u32 v7, s13, v3
	v_mad_u64_u32 v[5:6], s[2:3], s12, v3, 0
	v_mul_lo_u32 v1, s12, v1
	v_add3_u32 v6, v6, v1, v7
	v_lshlrev_b64 v[5:6], 4, v[5:6]
	v_mov_b32_e32 v1, s7
	v_add_co_u32_e64 v5, s[2:3], s6, v5
	v_addc_co_u32_e64 v6, s[2:3], v1, v6, s[2:3]
	v_cmp_le_i32_e64 s[2:3], v3, v0
	s_and_b64 s[4:5], s[2:3], vcc
	s_and_saveexec_b64 s[2:3], s[4:5]
	s_cbranch_execz .LBB1317_10
; %bb.9:
	v_ashrrev_i32_e32 v1, 31, v0
	v_lshlrev_b64 v[7:8], 4, v[0:1]
	v_add_co_u32_e32 v7, vcc, v5, v7
	v_addc_co_u32_e32 v8, vcc, v6, v8, vcc
	global_load_dwordx4 v[18:21], v[7:8], off
	v_cmp_ne_u32_e32 vcc, v3, v0
	s_waitcnt vmcnt(0)
	v_add_f64 v[16:17], v[16:17], -v[20:21]
	v_add_f64 v[14:15], v[14:15], -v[18:19]
	v_cndmask_b32_e32 v17, 0, v17, vcc
	v_cndmask_b32_e32 v16, 0, v16, vcc
	global_store_dwordx4 v[7:8], v[14:17], off
.LBB1317_10:
	s_or_b64 exec, exec, s[2:3]
	v_cmp_le_i32_e32 vcc, v3, v2
	s_and_b64 s[0:1], vcc, s[0:1]
	s_and_saveexec_b64 s[2:3], s[0:1]
	s_cbranch_execz .LBB1317_12
; %bb.11:
	v_ashrrev_i32_e32 v3, 31, v2
	v_lshlrev_b64 v[1:2], 4, v[2:3]
	v_add_co_u32_e32 v14, vcc, v5, v1
	v_addc_co_u32_e32 v15, vcc, v6, v2, vcc
	global_load_dwordx4 v[5:8], v[14:15], off
	v_cmp_ne_u32_e32 vcc, v4, v0
	s_waitcnt vmcnt(0)
	v_add_f64 v[7:8], v[10:11], -v[7:8]
	v_add_f64 v[1:2], v[12:13], -v[5:6]
	v_cndmask_b32_e32 v4, 0, v8, vcc
	v_cndmask_b32_e32 v3, 0, v7, vcc
	global_store_dwordx4 v[14:15], v[1:4], off
.LBB1317_12:
	s_endpgm
	.section	.rodata,"a",@progbits
	.p2align	6, 0x0
	.amdhsa_kernel _ZL37rocblas_syrkx_herkx_restricted_kernelIl19rocblas_complex_numIdELi16ELi32ELi8ELi1ELin1ELb1ELc84ELc76EKS1_S1_EviT_PT9_S3_lS5_S3_lPT10_S3_li
		.amdhsa_group_segment_fixed_size 8192
		.amdhsa_private_segment_fixed_size 0
		.amdhsa_kernarg_size 92
		.amdhsa_user_sgpr_count 6
		.amdhsa_user_sgpr_private_segment_buffer 1
		.amdhsa_user_sgpr_dispatch_ptr 0
		.amdhsa_user_sgpr_queue_ptr 0
		.amdhsa_user_sgpr_kernarg_segment_ptr 1
		.amdhsa_user_sgpr_dispatch_id 0
		.amdhsa_user_sgpr_flat_scratch_init 0
		.amdhsa_user_sgpr_private_segment_size 0
		.amdhsa_uses_dynamic_stack 0
		.amdhsa_system_sgpr_private_segment_wavefront_offset 0
		.amdhsa_system_sgpr_workgroup_id_x 1
		.amdhsa_system_sgpr_workgroup_id_y 1
		.amdhsa_system_sgpr_workgroup_id_z 1
		.amdhsa_system_sgpr_workgroup_info 0
		.amdhsa_system_vgpr_workitem_id 1
		.amdhsa_next_free_vgpr 52
		.amdhsa_next_free_sgpr 61
		.amdhsa_reserve_vcc 1
		.amdhsa_reserve_flat_scratch 0
		.amdhsa_float_round_mode_32 0
		.amdhsa_float_round_mode_16_64 0
		.amdhsa_float_denorm_mode_32 3
		.amdhsa_float_denorm_mode_16_64 3
		.amdhsa_dx10_clamp 1
		.amdhsa_ieee_mode 1
		.amdhsa_fp16_overflow 0
		.amdhsa_exception_fp_ieee_invalid_op 0
		.amdhsa_exception_fp_denorm_src 0
		.amdhsa_exception_fp_ieee_div_zero 0
		.amdhsa_exception_fp_ieee_overflow 0
		.amdhsa_exception_fp_ieee_underflow 0
		.amdhsa_exception_fp_ieee_inexact 0
		.amdhsa_exception_int_div_zero 0
	.end_amdhsa_kernel
	.section	.text._ZL37rocblas_syrkx_herkx_restricted_kernelIl19rocblas_complex_numIdELi16ELi32ELi8ELi1ELin1ELb1ELc84ELc76EKS1_S1_EviT_PT9_S3_lS5_S3_lPT10_S3_li,"axG",@progbits,_ZL37rocblas_syrkx_herkx_restricted_kernelIl19rocblas_complex_numIdELi16ELi32ELi8ELi1ELin1ELb1ELc84ELc76EKS1_S1_EviT_PT9_S3_lS5_S3_lPT10_S3_li,comdat
.Lfunc_end1317:
	.size	_ZL37rocblas_syrkx_herkx_restricted_kernelIl19rocblas_complex_numIdELi16ELi32ELi8ELi1ELin1ELb1ELc84ELc76EKS1_S1_EviT_PT9_S3_lS5_S3_lPT10_S3_li, .Lfunc_end1317-_ZL37rocblas_syrkx_herkx_restricted_kernelIl19rocblas_complex_numIdELi16ELi32ELi8ELi1ELin1ELb1ELc84ELc76EKS1_S1_EviT_PT9_S3_lS5_S3_lPT10_S3_li
                                        ; -- End function
	.set _ZL37rocblas_syrkx_herkx_restricted_kernelIl19rocblas_complex_numIdELi16ELi32ELi8ELi1ELin1ELb1ELc84ELc76EKS1_S1_EviT_PT9_S3_lS5_S3_lPT10_S3_li.num_vgpr, 52
	.set _ZL37rocblas_syrkx_herkx_restricted_kernelIl19rocblas_complex_numIdELi16ELi32ELi8ELi1ELin1ELb1ELc84ELc76EKS1_S1_EviT_PT9_S3_lS5_S3_lPT10_S3_li.num_agpr, 0
	.set _ZL37rocblas_syrkx_herkx_restricted_kernelIl19rocblas_complex_numIdELi16ELi32ELi8ELi1ELin1ELb1ELc84ELc76EKS1_S1_EviT_PT9_S3_lS5_S3_lPT10_S3_li.numbered_sgpr, 28
	.set _ZL37rocblas_syrkx_herkx_restricted_kernelIl19rocblas_complex_numIdELi16ELi32ELi8ELi1ELin1ELb1ELc84ELc76EKS1_S1_EviT_PT9_S3_lS5_S3_lPT10_S3_li.num_named_barrier, 0
	.set _ZL37rocblas_syrkx_herkx_restricted_kernelIl19rocblas_complex_numIdELi16ELi32ELi8ELi1ELin1ELb1ELc84ELc76EKS1_S1_EviT_PT9_S3_lS5_S3_lPT10_S3_li.private_seg_size, 0
	.set _ZL37rocblas_syrkx_herkx_restricted_kernelIl19rocblas_complex_numIdELi16ELi32ELi8ELi1ELin1ELb1ELc84ELc76EKS1_S1_EviT_PT9_S3_lS5_S3_lPT10_S3_li.uses_vcc, 1
	.set _ZL37rocblas_syrkx_herkx_restricted_kernelIl19rocblas_complex_numIdELi16ELi32ELi8ELi1ELin1ELb1ELc84ELc76EKS1_S1_EviT_PT9_S3_lS5_S3_lPT10_S3_li.uses_flat_scratch, 0
	.set _ZL37rocblas_syrkx_herkx_restricted_kernelIl19rocblas_complex_numIdELi16ELi32ELi8ELi1ELin1ELb1ELc84ELc76EKS1_S1_EviT_PT9_S3_lS5_S3_lPT10_S3_li.has_dyn_sized_stack, 0
	.set _ZL37rocblas_syrkx_herkx_restricted_kernelIl19rocblas_complex_numIdELi16ELi32ELi8ELi1ELin1ELb1ELc84ELc76EKS1_S1_EviT_PT9_S3_lS5_S3_lPT10_S3_li.has_recursion, 0
	.set _ZL37rocblas_syrkx_herkx_restricted_kernelIl19rocblas_complex_numIdELi16ELi32ELi8ELi1ELin1ELb1ELc84ELc76EKS1_S1_EviT_PT9_S3_lS5_S3_lPT10_S3_li.has_indirect_call, 0
	.section	.AMDGPU.csdata,"",@progbits
; Kernel info:
; codeLenInByte = 3028
; TotalNumSgprs: 32
; NumVgprs: 52
; ScratchSize: 0
; MemoryBound: 0
; FloatMode: 240
; IeeeMode: 1
; LDSByteSize: 8192 bytes/workgroup (compile time only)
; SGPRBlocks: 8
; VGPRBlocks: 12
; NumSGPRsForWavesPerEU: 65
; NumVGPRsForWavesPerEU: 52
; Occupancy: 4
; WaveLimiterHint : 1
; COMPUTE_PGM_RSRC2:SCRATCH_EN: 0
; COMPUTE_PGM_RSRC2:USER_SGPR: 6
; COMPUTE_PGM_RSRC2:TRAP_HANDLER: 0
; COMPUTE_PGM_RSRC2:TGID_X_EN: 1
; COMPUTE_PGM_RSRC2:TGID_Y_EN: 1
; COMPUTE_PGM_RSRC2:TGID_Z_EN: 1
; COMPUTE_PGM_RSRC2:TIDIG_COMP_CNT: 1
	.section	.text._ZL37rocblas_syrkx_herkx_restricted_kernelIl19rocblas_complex_numIdELi16ELi32ELi8ELi1ELin1ELb1ELc67ELc76EKS1_S1_EviT_PT9_S3_lS5_S3_lPT10_S3_li,"axG",@progbits,_ZL37rocblas_syrkx_herkx_restricted_kernelIl19rocblas_complex_numIdELi16ELi32ELi8ELi1ELin1ELb1ELc67ELc76EKS1_S1_EviT_PT9_S3_lS5_S3_lPT10_S3_li,comdat
	.globl	_ZL37rocblas_syrkx_herkx_restricted_kernelIl19rocblas_complex_numIdELi16ELi32ELi8ELi1ELin1ELb1ELc67ELc76EKS1_S1_EviT_PT9_S3_lS5_S3_lPT10_S3_li ; -- Begin function _ZL37rocblas_syrkx_herkx_restricted_kernelIl19rocblas_complex_numIdELi16ELi32ELi8ELi1ELin1ELb1ELc67ELc76EKS1_S1_EviT_PT9_S3_lS5_S3_lPT10_S3_li
	.p2align	8
	.type	_ZL37rocblas_syrkx_herkx_restricted_kernelIl19rocblas_complex_numIdELi16ELi32ELi8ELi1ELin1ELb1ELc67ELc76EKS1_S1_EviT_PT9_S3_lS5_S3_lPT10_S3_li,@function
_ZL37rocblas_syrkx_herkx_restricted_kernelIl19rocblas_complex_numIdELi16ELi32ELi8ELi1ELin1ELb1ELc67ELc76EKS1_S1_EviT_PT9_S3_lS5_S3_lPT10_S3_li: ; @_ZL37rocblas_syrkx_herkx_restricted_kernelIl19rocblas_complex_numIdELi16ELi32ELi8ELi1ELin1ELb1ELc67ELc76EKS1_S1_EviT_PT9_S3_lS5_S3_lPT10_S3_li
; %bb.0:
	s_load_dwordx16 s[12:27], s[4:5], 0x8
	s_lshl_b32 s2, s6, 5
	s_lshl_b32 s3, s7, 5
	s_waitcnt lgkmcnt(0)
	v_cmp_lt_i64_e64 s[0:1], s[12:13], 1
	s_and_b64 vcc, exec, s[0:1]
	s_cbranch_vccnz .LBB1318_3
; %bb.1:
	v_lshl_add_u32 v6, v1, 4, v0
	v_lshrrev_b32_e32 v8, 3, v6
	v_add_u32_e32 v4, s3, v8
	v_ashrrev_i32_e32 v5, 31, v4
	v_and_b32_e32 v2, 7, v0
	v_mov_b32_e32 v3, 0
	v_mul_lo_u32 v7, s22, v5
	v_mul_lo_u32 v9, s23, v4
	v_mad_u64_u32 v[4:5], s[0:1], s22, v4, v[2:3]
	v_lshlrev_b32_e32 v2, 4, v2
	v_lshl_or_b32 v2, v8, 7, v2
	v_add3_u32 v5, v9, v5, v7
	v_and_b32_e32 v9, 31, v6
	v_add_u32_e32 v23, 0x1000, v2
	v_mov_b32_e32 v2, 0x1000
	v_add_u32_e32 v8, s2, v9
	v_lshrrev_b32_e32 v6, 5, v6
	v_mov_b32_e32 v7, v3
	v_lshlrev_b32_e32 v3, 4, v9
	v_lshl_add_u32 v25, v1, 7, v2
	v_ashrrev_i32_e32 v2, 31, v8
	v_lshl_or_b32 v22, v6, 9, v3
	v_mul_lo_u32 v9, s16, v2
	v_mad_u64_u32 v[2:3], s[0:1], s16, v8, v[6:7]
	v_mul_lo_u32 v6, s17, v8
	s_mul_i32 s6, s19, s8
	s_mul_hi_u32 s7, s18, s8
	s_add_i32 s1, s7, s6
	s_mul_i32 s0, s18, s8
	s_lshl_b64 s[0:1], s[0:1], 4
	v_add3_u32 v3, v6, v3, v9
	v_lshlrev_b64 v[2:3], 4, v[2:3]
	s_add_u32 s0, s14, s0
	s_addc_u32 s1, s15, s1
	v_mov_b32_e32 v6, s1
	v_add_co_u32_e32 v2, vcc, s0, v2
	s_mul_i32 s0, s25, s8
	s_mul_hi_u32 s1, s24, s8
	s_add_i32 s1, s1, s0
	s_mul_i32 s0, s24, s8
	v_addc_co_u32_e32 v3, vcc, v6, v3, vcc
	s_lshl_b64 s[0:1], s[0:1], 4
	v_add_co_u32_e32 v2, vcc, 8, v2
	v_lshlrev_b64 v[4:5], 4, v[4:5]
	s_add_u32 s0, s20, s0
	v_addc_co_u32_e32 v3, vcc, 0, v3, vcc
	s_addc_u32 s1, s21, s1
	v_mov_b32_e32 v6, s1
	v_add_co_u32_e32 v4, vcc, s0, v4
	v_addc_co_u32_e32 v5, vcc, v6, v5, vcc
	v_add_co_u32_e32 v4, vcc, 8, v4
	v_mov_b32_e32 v10, 0
	v_mov_b32_e32 v12, 0
	;; [unrolled: 1-line block ×8, first 2 shown]
	v_lshlrev_b32_e32 v24, 4, v0
	v_addc_co_u32_e32 v5, vcc, 0, v5, vcc
	v_mov_b32_e32 v11, 0
	v_mov_b32_e32 v13, 0
	;; [unrolled: 1-line block ×8, first 2 shown]
	s_mov_b64 s[0:1], 0
.LBB1318_2:                             ; =>This Inner Loop Header: Depth=1
	global_load_dwordx4 v[26:29], v[2:3], off offset:-8
	s_add_u32 s0, s0, 8
	v_add_co_u32_e32 v2, vcc, 0x80, v2
	s_addc_u32 s1, s1, 0
	v_addc_co_u32_e32 v3, vcc, 0, v3, vcc
	s_waitcnt vmcnt(0)
	v_xor_b32_e32 v29, 0x80000000, v29
	ds_write_b128 v22, v[26:29]
	global_load_dwordx4 v[26:29], v[4:5], off offset:-8
	v_add_co_u32_e32 v4, vcc, 0x80, v4
	v_addc_co_u32_e32 v5, vcc, 0, v5, vcc
	s_waitcnt vmcnt(0)
	ds_write_b128 v23, v[26:29]
	s_waitcnt lgkmcnt(0)
	s_barrier
	ds_read_b128 v[26:29], v25
	ds_read_b128 v[30:33], v25 offset:16
	ds_read_b128 v[34:37], v25 offset:32
	;; [unrolled: 1-line block ×3, first 2 shown]
	ds_read_b128 v[42:45], v24
	s_waitcnt lgkmcnt(0)
	v_mul_f64 v[46:47], v[28:29], v[44:45]
	v_mul_f64 v[48:49], v[26:27], v[44:45]
	v_fma_f64 v[46:47], v[26:27], v[42:43], -v[46:47]
	v_fma_f64 v[48:49], v[28:29], v[42:43], v[48:49]
	v_add_f64 v[46:47], v[18:19], v[46:47]
	v_add_f64 v[48:49], v[48:49], v[20:21]
	ds_read_b128 v[18:21], v24 offset:256
	s_waitcnt lgkmcnt(0)
	v_mul_f64 v[50:51], v[28:29], v[20:21]
	v_fma_f64 v[50:51], v[26:27], v[18:19], -v[50:51]
	v_mul_f64 v[26:27], v[26:27], v[20:21]
	v_fma_f64 v[26:27], v[28:29], v[18:19], v[26:27]
	v_add_f64 v[28:29], v[6:7], v[50:51]
	v_add_f64 v[26:27], v[26:27], v[8:9]
	ds_read_b128 v[6:9], v25 offset:2048
	s_waitcnt lgkmcnt(0)
	v_mul_f64 v[50:51], v[8:9], v[44:45]
	v_mul_f64 v[44:45], v[6:7], v[44:45]
	v_fma_f64 v[50:51], v[6:7], v[42:43], -v[50:51]
	v_fma_f64 v[42:43], v[8:9], v[42:43], v[44:45]
	v_add_f64 v[44:45], v[14:15], v[50:51]
	v_mul_f64 v[14:15], v[8:9], v[20:21]
	v_add_f64 v[42:43], v[42:43], v[16:17]
	v_fma_f64 v[14:15], v[6:7], v[18:19], -v[14:15]
	v_mul_f64 v[6:7], v[6:7], v[20:21]
	v_fma_f64 v[6:7], v[8:9], v[18:19], v[6:7]
	v_add_f64 v[18:19], v[12:13], v[14:15]
	v_add_f64 v[20:21], v[6:7], v[10:11]
	ds_read_b128 v[6:9], v24 offset:512
	s_waitcnt lgkmcnt(0)
	v_mul_f64 v[10:11], v[32:33], v[8:9]
	v_mul_f64 v[12:13], v[30:31], v[8:9]
	v_fma_f64 v[10:11], v[30:31], v[6:7], -v[10:11]
	v_fma_f64 v[12:13], v[32:33], v[6:7], v[12:13]
	v_add_f64 v[46:47], v[46:47], v[10:11]
	v_add_f64 v[48:49], v[12:13], v[48:49]
	ds_read_b128 v[10:13], v24 offset:768
	s_waitcnt lgkmcnt(0)
	v_mul_f64 v[14:15], v[32:33], v[12:13]
	v_mul_f64 v[16:17], v[30:31], v[12:13]
	v_fma_f64 v[14:15], v[30:31], v[10:11], -v[14:15]
	;; [unrolled: 8-line block ×3, first 2 shown]
	v_fma_f64 v[6:7], v[16:17], v[6:7], v[8:9]
	v_mul_f64 v[8:9], v[14:15], v[12:13]
	v_add_f64 v[30:31], v[44:45], v[30:31]
	v_add_f64 v[32:33], v[6:7], v[42:43]
	v_mul_f64 v[6:7], v[16:17], v[12:13]
	v_fma_f64 v[8:9], v[16:17], v[10:11], v[8:9]
	v_fma_f64 v[6:7], v[14:15], v[10:11], -v[6:7]
	v_add_f64 v[20:21], v[8:9], v[20:21]
	v_add_f64 v[18:19], v[18:19], v[6:7]
	ds_read_b128 v[6:9], v24 offset:1024
	s_waitcnt lgkmcnt(0)
	v_mul_f64 v[10:11], v[36:37], v[8:9]
	v_mul_f64 v[12:13], v[34:35], v[8:9]
	v_fma_f64 v[10:11], v[34:35], v[6:7], -v[10:11]
	v_fma_f64 v[12:13], v[36:37], v[6:7], v[12:13]
	v_add_f64 v[42:43], v[46:47], v[10:11]
	v_add_f64 v[44:45], v[12:13], v[48:49]
	ds_read_b128 v[10:13], v24 offset:1280
	s_waitcnt lgkmcnt(0)
	v_mul_f64 v[14:15], v[36:37], v[12:13]
	v_mul_f64 v[16:17], v[34:35], v[12:13]
	v_fma_f64 v[14:15], v[34:35], v[10:11], -v[14:15]
	v_fma_f64 v[16:17], v[36:37], v[10:11], v[16:17]
	;; [unrolled: 8-line block ×3, first 2 shown]
	v_mul_f64 v[8:9], v[14:15], v[12:13]
	v_add_f64 v[30:31], v[30:31], v[34:35]
	v_add_f64 v[32:33], v[6:7], v[32:33]
	v_mul_f64 v[6:7], v[16:17], v[12:13]
	v_fma_f64 v[8:9], v[16:17], v[10:11], v[8:9]
	v_fma_f64 v[6:7], v[14:15], v[10:11], -v[6:7]
	v_add_f64 v[20:21], v[8:9], v[20:21]
	v_add_f64 v[18:19], v[18:19], v[6:7]
	ds_read_b128 v[6:9], v24 offset:1536
	s_waitcnt lgkmcnt(0)
	v_mul_f64 v[10:11], v[40:41], v[8:9]
	v_mul_f64 v[12:13], v[38:39], v[8:9]
	v_fma_f64 v[10:11], v[38:39], v[6:7], -v[10:11]
	v_fma_f64 v[12:13], v[40:41], v[6:7], v[12:13]
	v_add_f64 v[34:35], v[42:43], v[10:11]
	v_add_f64 v[36:37], v[12:13], v[44:45]
	ds_read_b128 v[10:13], v24 offset:1792
	s_waitcnt lgkmcnt(0)
	v_mul_f64 v[14:15], v[40:41], v[12:13]
	v_mul_f64 v[16:17], v[38:39], v[12:13]
	v_fma_f64 v[14:15], v[38:39], v[10:11], -v[14:15]
	v_fma_f64 v[16:17], v[40:41], v[10:11], v[16:17]
	;; [unrolled: 8-line block ×3, first 2 shown]
	v_mul_f64 v[8:9], v[14:15], v[12:13]
	v_add_f64 v[30:31], v[30:31], v[38:39]
	v_add_f64 v[32:33], v[6:7], v[32:33]
	v_mul_f64 v[6:7], v[16:17], v[12:13]
	v_fma_f64 v[8:9], v[16:17], v[10:11], v[8:9]
	v_fma_f64 v[6:7], v[14:15], v[10:11], -v[6:7]
	v_add_f64 v[20:21], v[8:9], v[20:21]
	v_add_f64 v[18:19], v[18:19], v[6:7]
	ds_read_b128 v[6:9], v25 offset:64
	ds_read_b128 v[10:13], v24 offset:2048
	s_waitcnt lgkmcnt(0)
	v_mul_f64 v[14:15], v[8:9], v[12:13]
	v_mul_f64 v[16:17], v[6:7], v[12:13]
	v_fma_f64 v[14:15], v[6:7], v[10:11], -v[14:15]
	v_fma_f64 v[16:17], v[8:9], v[10:11], v[16:17]
	v_add_f64 v[34:35], v[34:35], v[14:15]
	v_add_f64 v[36:37], v[16:17], v[36:37]
	ds_read_b128 v[14:17], v24 offset:2304
	s_waitcnt lgkmcnt(0)
	v_mul_f64 v[38:39], v[8:9], v[16:17]
	v_fma_f64 v[38:39], v[6:7], v[14:15], -v[38:39]
	v_mul_f64 v[6:7], v[6:7], v[16:17]
	v_add_f64 v[28:29], v[28:29], v[38:39]
	v_fma_f64 v[6:7], v[8:9], v[14:15], v[6:7]
	v_add_f64 v[26:27], v[6:7], v[26:27]
	ds_read_b128 v[6:9], v25 offset:2112
	s_waitcnt lgkmcnt(0)
	v_mul_f64 v[38:39], v[8:9], v[12:13]
	v_mul_f64 v[12:13], v[6:7], v[12:13]
	v_fma_f64 v[38:39], v[6:7], v[10:11], -v[38:39]
	v_fma_f64 v[10:11], v[8:9], v[10:11], v[12:13]
	v_add_f64 v[30:31], v[30:31], v[38:39]
	v_add_f64 v[32:33], v[10:11], v[32:33]
	v_mul_f64 v[10:11], v[8:9], v[16:17]
	v_fma_f64 v[10:11], v[6:7], v[14:15], -v[10:11]
	v_mul_f64 v[6:7], v[6:7], v[16:17]
	v_add_f64 v[18:19], v[18:19], v[10:11]
	v_fma_f64 v[6:7], v[8:9], v[14:15], v[6:7]
	v_add_f64 v[20:21], v[6:7], v[20:21]
	ds_read_b128 v[6:9], v25 offset:80
	ds_read_b128 v[10:13], v24 offset:2560
	s_waitcnt lgkmcnt(0)
	v_mul_f64 v[14:15], v[8:9], v[12:13]
	v_mul_f64 v[16:17], v[6:7], v[12:13]
	v_fma_f64 v[14:15], v[6:7], v[10:11], -v[14:15]
	v_fma_f64 v[16:17], v[8:9], v[10:11], v[16:17]
	v_add_f64 v[34:35], v[34:35], v[14:15]
	v_add_f64 v[36:37], v[16:17], v[36:37]
	ds_read_b128 v[14:17], v24 offset:2816
	s_waitcnt lgkmcnt(0)
	v_mul_f64 v[38:39], v[8:9], v[16:17]
	v_fma_f64 v[38:39], v[6:7], v[14:15], -v[38:39]
	v_mul_f64 v[6:7], v[6:7], v[16:17]
	v_add_f64 v[28:29], v[28:29], v[38:39]
	v_fma_f64 v[6:7], v[8:9], v[14:15], v[6:7]
	v_add_f64 v[26:27], v[6:7], v[26:27]
	ds_read_b128 v[6:9], v25 offset:2128
	s_waitcnt lgkmcnt(0)
	v_mul_f64 v[38:39], v[8:9], v[12:13]
	v_mul_f64 v[12:13], v[6:7], v[12:13]
	v_fma_f64 v[38:39], v[6:7], v[10:11], -v[38:39]
	v_fma_f64 v[10:11], v[8:9], v[10:11], v[12:13]
	v_add_f64 v[30:31], v[30:31], v[38:39]
	v_add_f64 v[32:33], v[10:11], v[32:33]
	v_mul_f64 v[10:11], v[8:9], v[16:17]
	v_fma_f64 v[10:11], v[6:7], v[14:15], -v[10:11]
	v_mul_f64 v[6:7], v[6:7], v[16:17]
	v_add_f64 v[18:19], v[18:19], v[10:11]
	v_fma_f64 v[6:7], v[8:9], v[14:15], v[6:7]
	;; [unrolled: 31-line block ×3, first 2 shown]
	v_add_f64 v[48:49], v[6:7], v[20:21]
	ds_read_b128 v[6:9], v25 offset:112
	ds_read_b128 v[10:13], v24 offset:3584
	;; [unrolled: 1-line block ×4, first 2 shown]
	s_waitcnt lgkmcnt(0)
	s_barrier
	v_mul_f64 v[14:15], v[8:9], v[12:13]
	v_mul_f64 v[16:17], v[6:7], v[12:13]
	v_fma_f64 v[14:15], v[6:7], v[10:11], -v[14:15]
	v_fma_f64 v[16:17], v[8:9], v[10:11], v[16:17]
	v_add_f64 v[18:19], v[34:35], v[14:15]
	v_mul_f64 v[14:15], v[8:9], v[28:29]
	v_add_f64 v[20:21], v[16:17], v[36:37]
	v_fma_f64 v[14:15], v[6:7], v[26:27], -v[14:15]
	v_mul_f64 v[6:7], v[6:7], v[28:29]
	v_fma_f64 v[8:9], v[8:9], v[26:27], v[6:7]
	v_add_f64 v[6:7], v[38:39], v[14:15]
	v_mul_f64 v[14:15], v[32:33], v[12:13]
	v_mul_f64 v[12:13], v[30:31], v[12:13]
	v_add_f64 v[8:9], v[8:9], v[40:41]
	v_fma_f64 v[14:15], v[30:31], v[10:11], -v[14:15]
	v_fma_f64 v[10:11], v[32:33], v[10:11], v[12:13]
	v_mul_f64 v[12:13], v[30:31], v[28:29]
	v_add_f64 v[14:15], v[42:43], v[14:15]
	v_add_f64 v[16:17], v[10:11], v[44:45]
	v_mul_f64 v[10:11], v[32:33], v[28:29]
	v_fma_f64 v[10:11], v[30:31], v[26:27], -v[10:11]
	v_fma_f64 v[26:27], v[32:33], v[26:27], v[12:13]
	v_add_f64 v[12:13], v[46:47], v[10:11]
	v_add_f64 v[10:11], v[26:27], v[48:49]
	v_mov_b32_e32 v27, s1
	v_mov_b32_e32 v26, s0
	v_cmp_le_u64_e32 vcc, s[12:13], v[26:27]
	s_cbranch_vccz .LBB1318_2
	s_branch .LBB1318_4
.LBB1318_3:
	v_mov_b32_e32 v18, 0
	v_mov_b32_e32 v20, 0
	;; [unrolled: 1-line block ×16, first 2 shown]
.LBB1318_4:
	s_load_dwordx4 s[12:15], s[4:5], 0x48
	s_load_dword s9, s[4:5], 0x0
	v_add_u32_e32 v4, s3, v1
	v_ashrrev_i32_e32 v1, 31, v4
	v_add_u32_e32 v0, s2, v0
	s_waitcnt lgkmcnt(0)
	v_mul_lo_u32 v3, s12, v1
	v_mul_lo_u32 v5, s13, v4
	v_mad_u64_u32 v[1:2], s[4:5], s12, v4, 0
	s_mul_i32 s1, s15, s8
	s_mul_hi_u32 s3, s14, s8
	s_mul_i32 s0, s14, s8
	s_add_i32 s1, s3, s1
	s_lshl_b64 s[0:1], s[0:1], 4
	v_add3_u32 v2, v2, v3, v5
	s_add_u32 s6, s26, s0
	v_lshlrev_b64 v[1:2], 4, v[1:2]
	s_addc_u32 s7, s27, s1
	v_mov_b32_e32 v3, s7
	v_add_co_u32_e32 v5, vcc, s6, v1
	v_addc_co_u32_e32 v22, vcc, v3, v2, vcc
	v_cmp_le_i32_e64 s[0:1], v4, v0
	v_cmp_gt_i32_e32 vcc, s9, v0
	s_and_b64 s[0:1], s[0:1], vcc
	s_and_saveexec_b64 s[2:3], s[0:1]
	s_cbranch_execz .LBB1318_6
; %bb.5:
	v_ashrrev_i32_e32 v1, 31, v0
	v_lshlrev_b64 v[1:2], 4, v[0:1]
	v_add_co_u32_e64 v1, s[0:1], v5, v1
	v_addc_co_u32_e64 v2, s[0:1], v22, v2, s[0:1]
	global_load_dwordx4 v[23:26], v[1:2], off
	v_cmp_ne_u32_e64 s[0:1], v4, v0
	s_waitcnt vmcnt(0)
	v_add_f64 v[20:21], v[20:21], -v[25:26]
	v_add_f64 v[18:19], v[18:19], -v[23:24]
	v_cndmask_b32_e64 v21, 0, v21, s[0:1]
	v_cndmask_b32_e64 v20, 0, v20, s[0:1]
	global_store_dwordx4 v[1:2], v[18:21], off
.LBB1318_6:
	s_or_b64 exec, exec, s[2:3]
	v_add_u32_e32 v2, 16, v0
	v_cmp_le_i32_e64 s[2:3], v4, v2
	v_cmp_gt_i32_e64 s[0:1], s9, v2
	s_and_b64 s[2:3], s[2:3], s[0:1]
	s_and_saveexec_b64 s[4:5], s[2:3]
	s_cbranch_execz .LBB1318_8
; %bb.7:
	v_ashrrev_i32_e32 v3, 31, v2
	v_lshlrev_b64 v[18:19], 4, v[2:3]
	v_add_co_u32_e64 v23, s[2:3], v5, v18
	v_addc_co_u32_e64 v24, s[2:3], v22, v19, s[2:3]
	global_load_dwordx4 v[18:21], v[23:24], off
	v_cmp_ne_u32_e64 s[2:3], v4, v2
	s_waitcnt vmcnt(0)
	v_add_f64 v[20:21], v[8:9], -v[20:21]
	v_add_f64 v[5:6], v[6:7], -v[18:19]
	v_cndmask_b32_e64 v8, 0, v21, s[2:3]
	v_cndmask_b32_e64 v7, 0, v20, s[2:3]
	global_store_dwordx4 v[23:24], v[5:8], off
.LBB1318_8:
	s_or_b64 exec, exec, s[4:5]
	v_add_u32_e32 v3, 16, v4
	v_ashrrev_i32_e32 v1, 31, v3
	v_mul_lo_u32 v7, s13, v3
	v_mad_u64_u32 v[5:6], s[2:3], s12, v3, 0
	v_mul_lo_u32 v1, s12, v1
	v_add3_u32 v6, v6, v1, v7
	v_lshlrev_b64 v[5:6], 4, v[5:6]
	v_mov_b32_e32 v1, s7
	v_add_co_u32_e64 v5, s[2:3], s6, v5
	v_addc_co_u32_e64 v6, s[2:3], v1, v6, s[2:3]
	v_cmp_le_i32_e64 s[2:3], v3, v0
	s_and_b64 s[4:5], s[2:3], vcc
	s_and_saveexec_b64 s[2:3], s[4:5]
	s_cbranch_execz .LBB1318_10
; %bb.9:
	v_ashrrev_i32_e32 v1, 31, v0
	v_lshlrev_b64 v[7:8], 4, v[0:1]
	v_add_co_u32_e32 v7, vcc, v5, v7
	v_addc_co_u32_e32 v8, vcc, v6, v8, vcc
	global_load_dwordx4 v[18:21], v[7:8], off
	v_cmp_ne_u32_e32 vcc, v3, v0
	s_waitcnt vmcnt(0)
	v_add_f64 v[16:17], v[16:17], -v[20:21]
	v_add_f64 v[14:15], v[14:15], -v[18:19]
	v_cndmask_b32_e32 v17, 0, v17, vcc
	v_cndmask_b32_e32 v16, 0, v16, vcc
	global_store_dwordx4 v[7:8], v[14:17], off
.LBB1318_10:
	s_or_b64 exec, exec, s[2:3]
	v_cmp_le_i32_e32 vcc, v3, v2
	s_and_b64 s[0:1], vcc, s[0:1]
	s_and_saveexec_b64 s[2:3], s[0:1]
	s_cbranch_execz .LBB1318_12
; %bb.11:
	v_ashrrev_i32_e32 v3, 31, v2
	v_lshlrev_b64 v[1:2], 4, v[2:3]
	v_add_co_u32_e32 v14, vcc, v5, v1
	v_addc_co_u32_e32 v15, vcc, v6, v2, vcc
	global_load_dwordx4 v[5:8], v[14:15], off
	v_cmp_ne_u32_e32 vcc, v4, v0
	s_waitcnt vmcnt(0)
	v_add_f64 v[7:8], v[10:11], -v[7:8]
	v_add_f64 v[1:2], v[12:13], -v[5:6]
	v_cndmask_b32_e32 v4, 0, v8, vcc
	v_cndmask_b32_e32 v3, 0, v7, vcc
	global_store_dwordx4 v[14:15], v[1:4], off
.LBB1318_12:
	s_endpgm
	.section	.rodata,"a",@progbits
	.p2align	6, 0x0
	.amdhsa_kernel _ZL37rocblas_syrkx_herkx_restricted_kernelIl19rocblas_complex_numIdELi16ELi32ELi8ELi1ELin1ELb1ELc67ELc76EKS1_S1_EviT_PT9_S3_lS5_S3_lPT10_S3_li
		.amdhsa_group_segment_fixed_size 8192
		.amdhsa_private_segment_fixed_size 0
		.amdhsa_kernarg_size 92
		.amdhsa_user_sgpr_count 6
		.amdhsa_user_sgpr_private_segment_buffer 1
		.amdhsa_user_sgpr_dispatch_ptr 0
		.amdhsa_user_sgpr_queue_ptr 0
		.amdhsa_user_sgpr_kernarg_segment_ptr 1
		.amdhsa_user_sgpr_dispatch_id 0
		.amdhsa_user_sgpr_flat_scratch_init 0
		.amdhsa_user_sgpr_private_segment_size 0
		.amdhsa_uses_dynamic_stack 0
		.amdhsa_system_sgpr_private_segment_wavefront_offset 0
		.amdhsa_system_sgpr_workgroup_id_x 1
		.amdhsa_system_sgpr_workgroup_id_y 1
		.amdhsa_system_sgpr_workgroup_id_z 1
		.amdhsa_system_sgpr_workgroup_info 0
		.amdhsa_system_vgpr_workitem_id 1
		.amdhsa_next_free_vgpr 52
		.amdhsa_next_free_sgpr 61
		.amdhsa_reserve_vcc 1
		.amdhsa_reserve_flat_scratch 0
		.amdhsa_float_round_mode_32 0
		.amdhsa_float_round_mode_16_64 0
		.amdhsa_float_denorm_mode_32 3
		.amdhsa_float_denorm_mode_16_64 3
		.amdhsa_dx10_clamp 1
		.amdhsa_ieee_mode 1
		.amdhsa_fp16_overflow 0
		.amdhsa_exception_fp_ieee_invalid_op 0
		.amdhsa_exception_fp_denorm_src 0
		.amdhsa_exception_fp_ieee_div_zero 0
		.amdhsa_exception_fp_ieee_overflow 0
		.amdhsa_exception_fp_ieee_underflow 0
		.amdhsa_exception_fp_ieee_inexact 0
		.amdhsa_exception_int_div_zero 0
	.end_amdhsa_kernel
	.section	.text._ZL37rocblas_syrkx_herkx_restricted_kernelIl19rocblas_complex_numIdELi16ELi32ELi8ELi1ELin1ELb1ELc67ELc76EKS1_S1_EviT_PT9_S3_lS5_S3_lPT10_S3_li,"axG",@progbits,_ZL37rocblas_syrkx_herkx_restricted_kernelIl19rocblas_complex_numIdELi16ELi32ELi8ELi1ELin1ELb1ELc67ELc76EKS1_S1_EviT_PT9_S3_lS5_S3_lPT10_S3_li,comdat
.Lfunc_end1318:
	.size	_ZL37rocblas_syrkx_herkx_restricted_kernelIl19rocblas_complex_numIdELi16ELi32ELi8ELi1ELin1ELb1ELc67ELc76EKS1_S1_EviT_PT9_S3_lS5_S3_lPT10_S3_li, .Lfunc_end1318-_ZL37rocblas_syrkx_herkx_restricted_kernelIl19rocblas_complex_numIdELi16ELi32ELi8ELi1ELin1ELb1ELc67ELc76EKS1_S1_EviT_PT9_S3_lS5_S3_lPT10_S3_li
                                        ; -- End function
	.set _ZL37rocblas_syrkx_herkx_restricted_kernelIl19rocblas_complex_numIdELi16ELi32ELi8ELi1ELin1ELb1ELc67ELc76EKS1_S1_EviT_PT9_S3_lS5_S3_lPT10_S3_li.num_vgpr, 52
	.set _ZL37rocblas_syrkx_herkx_restricted_kernelIl19rocblas_complex_numIdELi16ELi32ELi8ELi1ELin1ELb1ELc67ELc76EKS1_S1_EviT_PT9_S3_lS5_S3_lPT10_S3_li.num_agpr, 0
	.set _ZL37rocblas_syrkx_herkx_restricted_kernelIl19rocblas_complex_numIdELi16ELi32ELi8ELi1ELin1ELb1ELc67ELc76EKS1_S1_EviT_PT9_S3_lS5_S3_lPT10_S3_li.numbered_sgpr, 28
	.set _ZL37rocblas_syrkx_herkx_restricted_kernelIl19rocblas_complex_numIdELi16ELi32ELi8ELi1ELin1ELb1ELc67ELc76EKS1_S1_EviT_PT9_S3_lS5_S3_lPT10_S3_li.num_named_barrier, 0
	.set _ZL37rocblas_syrkx_herkx_restricted_kernelIl19rocblas_complex_numIdELi16ELi32ELi8ELi1ELin1ELb1ELc67ELc76EKS1_S1_EviT_PT9_S3_lS5_S3_lPT10_S3_li.private_seg_size, 0
	.set _ZL37rocblas_syrkx_herkx_restricted_kernelIl19rocblas_complex_numIdELi16ELi32ELi8ELi1ELin1ELb1ELc67ELc76EKS1_S1_EviT_PT9_S3_lS5_S3_lPT10_S3_li.uses_vcc, 1
	.set _ZL37rocblas_syrkx_herkx_restricted_kernelIl19rocblas_complex_numIdELi16ELi32ELi8ELi1ELin1ELb1ELc67ELc76EKS1_S1_EviT_PT9_S3_lS5_S3_lPT10_S3_li.uses_flat_scratch, 0
	.set _ZL37rocblas_syrkx_herkx_restricted_kernelIl19rocblas_complex_numIdELi16ELi32ELi8ELi1ELin1ELb1ELc67ELc76EKS1_S1_EviT_PT9_S3_lS5_S3_lPT10_S3_li.has_dyn_sized_stack, 0
	.set _ZL37rocblas_syrkx_herkx_restricted_kernelIl19rocblas_complex_numIdELi16ELi32ELi8ELi1ELin1ELb1ELc67ELc76EKS1_S1_EviT_PT9_S3_lS5_S3_lPT10_S3_li.has_recursion, 0
	.set _ZL37rocblas_syrkx_herkx_restricted_kernelIl19rocblas_complex_numIdELi16ELi32ELi8ELi1ELin1ELb1ELc67ELc76EKS1_S1_EviT_PT9_S3_lS5_S3_lPT10_S3_li.has_indirect_call, 0
	.section	.AMDGPU.csdata,"",@progbits
; Kernel info:
; codeLenInByte = 3036
; TotalNumSgprs: 32
; NumVgprs: 52
; ScratchSize: 0
; MemoryBound: 0
; FloatMode: 240
; IeeeMode: 1
; LDSByteSize: 8192 bytes/workgroup (compile time only)
; SGPRBlocks: 8
; VGPRBlocks: 12
; NumSGPRsForWavesPerEU: 65
; NumVGPRsForWavesPerEU: 52
; Occupancy: 4
; WaveLimiterHint : 1
; COMPUTE_PGM_RSRC2:SCRATCH_EN: 0
; COMPUTE_PGM_RSRC2:USER_SGPR: 6
; COMPUTE_PGM_RSRC2:TRAP_HANDLER: 0
; COMPUTE_PGM_RSRC2:TGID_X_EN: 1
; COMPUTE_PGM_RSRC2:TGID_Y_EN: 1
; COMPUTE_PGM_RSRC2:TGID_Z_EN: 1
; COMPUTE_PGM_RSRC2:TIDIG_COMP_CNT: 1
	.section	.text._ZL37rocblas_syrkx_herkx_restricted_kernelIl19rocblas_complex_numIdELi16ELi32ELi8ELi1ELin1ELb1ELc78ELc76EKS1_S1_EviT_PT9_S3_lS5_S3_lPT10_S3_li,"axG",@progbits,_ZL37rocblas_syrkx_herkx_restricted_kernelIl19rocblas_complex_numIdELi16ELi32ELi8ELi1ELin1ELb1ELc78ELc76EKS1_S1_EviT_PT9_S3_lS5_S3_lPT10_S3_li,comdat
	.globl	_ZL37rocblas_syrkx_herkx_restricted_kernelIl19rocblas_complex_numIdELi16ELi32ELi8ELi1ELin1ELb1ELc78ELc76EKS1_S1_EviT_PT9_S3_lS5_S3_lPT10_S3_li ; -- Begin function _ZL37rocblas_syrkx_herkx_restricted_kernelIl19rocblas_complex_numIdELi16ELi32ELi8ELi1ELin1ELb1ELc78ELc76EKS1_S1_EviT_PT9_S3_lS5_S3_lPT10_S3_li
	.p2align	8
	.type	_ZL37rocblas_syrkx_herkx_restricted_kernelIl19rocblas_complex_numIdELi16ELi32ELi8ELi1ELin1ELb1ELc78ELc76EKS1_S1_EviT_PT9_S3_lS5_S3_lPT10_S3_li,@function
_ZL37rocblas_syrkx_herkx_restricted_kernelIl19rocblas_complex_numIdELi16ELi32ELi8ELi1ELin1ELb1ELc78ELc76EKS1_S1_EviT_PT9_S3_lS5_S3_lPT10_S3_li: ; @_ZL37rocblas_syrkx_herkx_restricted_kernelIl19rocblas_complex_numIdELi16ELi32ELi8ELi1ELin1ELb1ELc78ELc76EKS1_S1_EviT_PT9_S3_lS5_S3_lPT10_S3_li
; %bb.0:
	s_load_dwordx16 s[12:27], s[4:5], 0x8
	s_lshl_b32 s9, s6, 5
	s_lshl_b32 s10, s7, 5
	s_waitcnt lgkmcnt(0)
	v_cmp_lt_i64_e64 s[0:1], s[12:13], 1
	s_and_b64 vcc, exec, s[0:1]
	s_cbranch_vccnz .LBB1319_3
; %bb.1:
	v_lshl_add_u32 v7, v1, 4, v0
	v_lshrrev_b32_e32 v8, 3, v7
	v_add_u32_e32 v2, s10, v8
	v_and_b32_e32 v6, 7, v0
	v_ashrrev_i32_e32 v3, 31, v2
	v_mad_u64_u32 v[4:5], s[0:1], s22, v6, v[2:3]
	v_lshrrev_b32_e32 v9, 5, v7
	s_mul_i32 s2, s19, s8
	v_mov_b32_e32 v2, v5
	v_mad_u64_u32 v[2:3], s[0:1], s23, v6, v[2:3]
	v_and_b32_e32 v3, 31, v7
	v_lshlrev_b32_e32 v7, 4, v3
	v_mov_b32_e32 v5, v2
	v_lshlrev_b32_e32 v2, 4, v6
	v_lshl_or_b32 v2, v8, 7, v2
	v_add_u32_e32 v23, 0x1000, v2
	v_add_u32_e32 v2, s9, v3
	v_ashrrev_i32_e32 v3, 31, v2
	v_mad_u64_u32 v[2:3], s[0:1], s16, v9, v[2:3]
	v_mov_b32_e32 v6, 0x1000
	v_lshl_or_b32 v22, v9, 9, v7
	v_lshl_add_u32 v25, v1, 7, v6
	v_mad_u64_u32 v[6:7], s[0:1], s17, v9, v[3:4]
	s_mul_hi_u32 s3, s18, s8
	s_add_i32 s1, s3, s2
	s_mul_i32 s0, s18, s8
	s_lshl_b64 s[0:1], s[0:1], 4
	v_mov_b32_e32 v3, v6
	v_lshlrev_b64 v[2:3], 4, v[2:3]
	s_add_u32 s0, s14, s0
	s_addc_u32 s1, s15, s1
	s_mul_i32 s2, s25, s8
	s_mul_hi_u32 s3, s24, s8
	v_mov_b32_e32 v6, s1
	v_add_co_u32_e32 v2, vcc, s0, v2
	s_add_i32 s3, s3, s2
	s_mul_i32 s2, s24, s8
	v_addc_co_u32_e32 v3, vcc, v6, v3, vcc
	s_lshl_b64 s[0:1], s[16:17], 7
	s_lshl_b64 s[2:3], s[2:3], 4
	v_add_co_u32_e32 v2, vcc, 8, v2
	v_lshlrev_b64 v[4:5], 4, v[4:5]
	s_add_u32 s2, s20, s2
	v_addc_co_u32_e32 v3, vcc, 0, v3, vcc
	s_addc_u32 s3, s21, s3
	v_mov_b32_e32 v6, s3
	v_add_co_u32_e32 v4, vcc, s2, v4
	v_addc_co_u32_e32 v5, vcc, v6, v5, vcc
	v_add_co_u32_e32 v4, vcc, 8, v4
	s_lshl_b64 s[2:3], s[22:23], 7
	v_mov_b32_e32 v10, 0
	v_mov_b32_e32 v12, 0
	v_mov_b32_e32 v16, 0
	v_mov_b32_e32 v14, 0
	v_mov_b32_e32 v8, 0
	v_mov_b32_e32 v6, 0
	v_mov_b32_e32 v20, 0
	v_mov_b32_e32 v18, 0
	v_lshlrev_b32_e32 v24, 4, v0
	v_addc_co_u32_e32 v5, vcc, 0, v5, vcc
	v_mov_b32_e32 v11, 0
	s_mov_b64 s[6:7], 0
	v_mov_b32_e32 v26, s1
	v_mov_b32_e32 v13, 0
	;; [unrolled: 1-line block ×9, first 2 shown]
.LBB1319_2:                             ; =>This Inner Loop Header: Depth=1
	global_load_dwordx4 v[28:31], v[2:3], off offset:-8
	s_add_u32 s6, s6, 8
	v_add_co_u32_e32 v2, vcc, s0, v2
	s_addc_u32 s7, s7, 0
	v_addc_co_u32_e32 v3, vcc, v3, v26, vcc
	s_waitcnt vmcnt(0)
	ds_write_b128 v22, v[28:31]
	global_load_dwordx4 v[28:31], v[4:5], off offset:-8
	v_add_co_u32_e32 v4, vcc, s2, v4
	v_addc_co_u32_e32 v5, vcc, v5, v27, vcc
	s_waitcnt vmcnt(0)
	v_xor_b32_e32 v31, 0x80000000, v31
	ds_write_b128 v23, v[28:31]
	s_waitcnt lgkmcnt(0)
	s_barrier
	ds_read_b128 v[28:31], v25
	ds_read_b128 v[32:35], v25 offset:16
	ds_read_b128 v[36:39], v25 offset:32
	;; [unrolled: 1-line block ×3, first 2 shown]
	ds_read_b128 v[44:47], v24
	s_waitcnt lgkmcnt(0)
	v_mul_f64 v[48:49], v[30:31], v[46:47]
	v_mul_f64 v[50:51], v[28:29], v[46:47]
	v_fma_f64 v[48:49], v[28:29], v[44:45], -v[48:49]
	v_fma_f64 v[50:51], v[30:31], v[44:45], v[50:51]
	v_add_f64 v[48:49], v[18:19], v[48:49]
	v_add_f64 v[50:51], v[50:51], v[20:21]
	ds_read_b128 v[18:21], v24 offset:256
	s_waitcnt lgkmcnt(0)
	v_mul_f64 v[52:53], v[30:31], v[20:21]
	v_fma_f64 v[52:53], v[28:29], v[18:19], -v[52:53]
	v_mul_f64 v[28:29], v[28:29], v[20:21]
	v_fma_f64 v[28:29], v[30:31], v[18:19], v[28:29]
	v_add_f64 v[30:31], v[6:7], v[52:53]
	v_add_f64 v[28:29], v[28:29], v[8:9]
	ds_read_b128 v[6:9], v25 offset:2048
	s_waitcnt lgkmcnt(0)
	v_mul_f64 v[52:53], v[8:9], v[46:47]
	v_mul_f64 v[46:47], v[6:7], v[46:47]
	v_fma_f64 v[52:53], v[6:7], v[44:45], -v[52:53]
	v_fma_f64 v[44:45], v[8:9], v[44:45], v[46:47]
	v_add_f64 v[46:47], v[14:15], v[52:53]
	v_mul_f64 v[14:15], v[8:9], v[20:21]
	v_add_f64 v[44:45], v[44:45], v[16:17]
	v_fma_f64 v[14:15], v[6:7], v[18:19], -v[14:15]
	v_mul_f64 v[6:7], v[6:7], v[20:21]
	v_fma_f64 v[6:7], v[8:9], v[18:19], v[6:7]
	v_add_f64 v[18:19], v[12:13], v[14:15]
	v_add_f64 v[20:21], v[6:7], v[10:11]
	ds_read_b128 v[6:9], v24 offset:512
	s_waitcnt lgkmcnt(0)
	v_mul_f64 v[10:11], v[34:35], v[8:9]
	v_mul_f64 v[12:13], v[32:33], v[8:9]
	v_fma_f64 v[10:11], v[32:33], v[6:7], -v[10:11]
	v_fma_f64 v[12:13], v[34:35], v[6:7], v[12:13]
	v_add_f64 v[48:49], v[48:49], v[10:11]
	v_add_f64 v[50:51], v[12:13], v[50:51]
	ds_read_b128 v[10:13], v24 offset:768
	s_waitcnt lgkmcnt(0)
	v_mul_f64 v[14:15], v[34:35], v[12:13]
	v_mul_f64 v[16:17], v[32:33], v[12:13]
	v_fma_f64 v[14:15], v[32:33], v[10:11], -v[14:15]
	;; [unrolled: 8-line block ×3, first 2 shown]
	v_fma_f64 v[6:7], v[16:17], v[6:7], v[8:9]
	v_mul_f64 v[8:9], v[14:15], v[12:13]
	v_add_f64 v[32:33], v[46:47], v[32:33]
	v_add_f64 v[34:35], v[6:7], v[44:45]
	v_mul_f64 v[6:7], v[16:17], v[12:13]
	v_fma_f64 v[8:9], v[16:17], v[10:11], v[8:9]
	v_fma_f64 v[6:7], v[14:15], v[10:11], -v[6:7]
	v_add_f64 v[20:21], v[8:9], v[20:21]
	v_add_f64 v[18:19], v[18:19], v[6:7]
	ds_read_b128 v[6:9], v24 offset:1024
	s_waitcnt lgkmcnt(0)
	v_mul_f64 v[10:11], v[38:39], v[8:9]
	v_mul_f64 v[12:13], v[36:37], v[8:9]
	v_fma_f64 v[10:11], v[36:37], v[6:7], -v[10:11]
	v_fma_f64 v[12:13], v[38:39], v[6:7], v[12:13]
	v_add_f64 v[44:45], v[48:49], v[10:11]
	v_add_f64 v[46:47], v[12:13], v[50:51]
	ds_read_b128 v[10:13], v24 offset:1280
	s_waitcnt lgkmcnt(0)
	v_mul_f64 v[14:15], v[38:39], v[12:13]
	v_mul_f64 v[16:17], v[36:37], v[12:13]
	v_fma_f64 v[14:15], v[36:37], v[10:11], -v[14:15]
	v_fma_f64 v[16:17], v[38:39], v[10:11], v[16:17]
	;; [unrolled: 8-line block ×3, first 2 shown]
	v_mul_f64 v[8:9], v[14:15], v[12:13]
	v_add_f64 v[32:33], v[32:33], v[36:37]
	v_add_f64 v[34:35], v[6:7], v[34:35]
	v_mul_f64 v[6:7], v[16:17], v[12:13]
	v_fma_f64 v[8:9], v[16:17], v[10:11], v[8:9]
	v_fma_f64 v[6:7], v[14:15], v[10:11], -v[6:7]
	v_add_f64 v[20:21], v[8:9], v[20:21]
	v_add_f64 v[18:19], v[18:19], v[6:7]
	ds_read_b128 v[6:9], v24 offset:1536
	s_waitcnt lgkmcnt(0)
	v_mul_f64 v[10:11], v[42:43], v[8:9]
	v_mul_f64 v[12:13], v[40:41], v[8:9]
	v_fma_f64 v[10:11], v[40:41], v[6:7], -v[10:11]
	v_fma_f64 v[12:13], v[42:43], v[6:7], v[12:13]
	v_add_f64 v[36:37], v[44:45], v[10:11]
	v_add_f64 v[38:39], v[12:13], v[46:47]
	ds_read_b128 v[10:13], v24 offset:1792
	s_waitcnt lgkmcnt(0)
	v_mul_f64 v[14:15], v[42:43], v[12:13]
	v_mul_f64 v[16:17], v[40:41], v[12:13]
	v_fma_f64 v[14:15], v[40:41], v[10:11], -v[14:15]
	v_fma_f64 v[16:17], v[42:43], v[10:11], v[16:17]
	;; [unrolled: 8-line block ×3, first 2 shown]
	v_mul_f64 v[8:9], v[14:15], v[12:13]
	v_add_f64 v[32:33], v[32:33], v[40:41]
	v_add_f64 v[34:35], v[6:7], v[34:35]
	v_mul_f64 v[6:7], v[16:17], v[12:13]
	v_fma_f64 v[8:9], v[16:17], v[10:11], v[8:9]
	v_fma_f64 v[6:7], v[14:15], v[10:11], -v[6:7]
	v_add_f64 v[20:21], v[8:9], v[20:21]
	v_add_f64 v[18:19], v[18:19], v[6:7]
	ds_read_b128 v[6:9], v25 offset:64
	ds_read_b128 v[10:13], v24 offset:2048
	s_waitcnt lgkmcnt(0)
	v_mul_f64 v[14:15], v[8:9], v[12:13]
	v_mul_f64 v[16:17], v[6:7], v[12:13]
	v_fma_f64 v[14:15], v[6:7], v[10:11], -v[14:15]
	v_fma_f64 v[16:17], v[8:9], v[10:11], v[16:17]
	v_add_f64 v[36:37], v[36:37], v[14:15]
	v_add_f64 v[38:39], v[16:17], v[38:39]
	ds_read_b128 v[14:17], v24 offset:2304
	s_waitcnt lgkmcnt(0)
	v_mul_f64 v[40:41], v[8:9], v[16:17]
	v_fma_f64 v[40:41], v[6:7], v[14:15], -v[40:41]
	v_mul_f64 v[6:7], v[6:7], v[16:17]
	v_add_f64 v[30:31], v[30:31], v[40:41]
	v_fma_f64 v[6:7], v[8:9], v[14:15], v[6:7]
	v_add_f64 v[28:29], v[6:7], v[28:29]
	ds_read_b128 v[6:9], v25 offset:2112
	s_waitcnt lgkmcnt(0)
	v_mul_f64 v[40:41], v[8:9], v[12:13]
	v_mul_f64 v[12:13], v[6:7], v[12:13]
	v_fma_f64 v[40:41], v[6:7], v[10:11], -v[40:41]
	v_fma_f64 v[10:11], v[8:9], v[10:11], v[12:13]
	v_add_f64 v[32:33], v[32:33], v[40:41]
	v_add_f64 v[34:35], v[10:11], v[34:35]
	v_mul_f64 v[10:11], v[8:9], v[16:17]
	v_fma_f64 v[10:11], v[6:7], v[14:15], -v[10:11]
	v_mul_f64 v[6:7], v[6:7], v[16:17]
	v_add_f64 v[18:19], v[18:19], v[10:11]
	v_fma_f64 v[6:7], v[8:9], v[14:15], v[6:7]
	v_add_f64 v[20:21], v[6:7], v[20:21]
	ds_read_b128 v[6:9], v25 offset:80
	ds_read_b128 v[10:13], v24 offset:2560
	s_waitcnt lgkmcnt(0)
	v_mul_f64 v[14:15], v[8:9], v[12:13]
	v_mul_f64 v[16:17], v[6:7], v[12:13]
	v_fma_f64 v[14:15], v[6:7], v[10:11], -v[14:15]
	v_fma_f64 v[16:17], v[8:9], v[10:11], v[16:17]
	v_add_f64 v[36:37], v[36:37], v[14:15]
	v_add_f64 v[38:39], v[16:17], v[38:39]
	ds_read_b128 v[14:17], v24 offset:2816
	s_waitcnt lgkmcnt(0)
	v_mul_f64 v[40:41], v[8:9], v[16:17]
	v_fma_f64 v[40:41], v[6:7], v[14:15], -v[40:41]
	v_mul_f64 v[6:7], v[6:7], v[16:17]
	v_add_f64 v[30:31], v[30:31], v[40:41]
	v_fma_f64 v[6:7], v[8:9], v[14:15], v[6:7]
	v_add_f64 v[28:29], v[6:7], v[28:29]
	ds_read_b128 v[6:9], v25 offset:2128
	s_waitcnt lgkmcnt(0)
	v_mul_f64 v[40:41], v[8:9], v[12:13]
	v_mul_f64 v[12:13], v[6:7], v[12:13]
	v_fma_f64 v[40:41], v[6:7], v[10:11], -v[40:41]
	v_fma_f64 v[10:11], v[8:9], v[10:11], v[12:13]
	v_add_f64 v[32:33], v[32:33], v[40:41]
	v_add_f64 v[34:35], v[10:11], v[34:35]
	v_mul_f64 v[10:11], v[8:9], v[16:17]
	v_fma_f64 v[10:11], v[6:7], v[14:15], -v[10:11]
	v_mul_f64 v[6:7], v[6:7], v[16:17]
	v_add_f64 v[18:19], v[18:19], v[10:11]
	v_fma_f64 v[6:7], v[8:9], v[14:15], v[6:7]
	;; [unrolled: 31-line block ×3, first 2 shown]
	v_add_f64 v[50:51], v[6:7], v[20:21]
	ds_read_b128 v[6:9], v25 offset:112
	ds_read_b128 v[10:13], v24 offset:3584
	ds_read_b128 v[28:31], v24 offset:3840
	ds_read_b128 v[32:35], v25 offset:2160
	s_waitcnt lgkmcnt(0)
	s_barrier
	v_mul_f64 v[14:15], v[8:9], v[12:13]
	v_mul_f64 v[16:17], v[6:7], v[12:13]
	v_fma_f64 v[14:15], v[6:7], v[10:11], -v[14:15]
	v_fma_f64 v[16:17], v[8:9], v[10:11], v[16:17]
	v_add_f64 v[18:19], v[36:37], v[14:15]
	v_mul_f64 v[14:15], v[8:9], v[30:31]
	v_add_f64 v[20:21], v[16:17], v[38:39]
	v_fma_f64 v[14:15], v[6:7], v[28:29], -v[14:15]
	v_mul_f64 v[6:7], v[6:7], v[30:31]
	v_fma_f64 v[8:9], v[8:9], v[28:29], v[6:7]
	v_add_f64 v[6:7], v[40:41], v[14:15]
	v_mul_f64 v[14:15], v[34:35], v[12:13]
	v_mul_f64 v[12:13], v[32:33], v[12:13]
	v_add_f64 v[8:9], v[8:9], v[42:43]
	v_fma_f64 v[14:15], v[32:33], v[10:11], -v[14:15]
	v_fma_f64 v[10:11], v[34:35], v[10:11], v[12:13]
	v_mul_f64 v[12:13], v[32:33], v[30:31]
	v_add_f64 v[14:15], v[44:45], v[14:15]
	v_add_f64 v[16:17], v[10:11], v[46:47]
	v_mul_f64 v[10:11], v[34:35], v[30:31]
	v_fma_f64 v[10:11], v[32:33], v[28:29], -v[10:11]
	v_fma_f64 v[28:29], v[34:35], v[28:29], v[12:13]
	v_add_f64 v[12:13], v[48:49], v[10:11]
	v_add_f64 v[10:11], v[28:29], v[50:51]
	v_mov_b32_e32 v29, s7
	v_mov_b32_e32 v28, s6
	v_cmp_le_u64_e32 vcc, s[12:13], v[28:29]
	s_cbranch_vccz .LBB1319_2
	s_branch .LBB1319_4
.LBB1319_3:
	v_mov_b32_e32 v18, 0
	v_mov_b32_e32 v20, 0
	;; [unrolled: 1-line block ×16, first 2 shown]
.LBB1319_4:
	s_load_dwordx4 s[12:15], s[4:5], 0x48
	s_load_dword s11, s[4:5], 0x0
	v_add_u32_e32 v4, s10, v1
	v_ashrrev_i32_e32 v1, 31, v4
	v_add_u32_e32 v0, s9, v0
	s_waitcnt lgkmcnt(0)
	s_mul_i32 s1, s15, s8
	s_mul_hi_u32 s2, s14, s8
	s_add_i32 s1, s2, s1
	v_mul_lo_u32 v3, s12, v1
	v_mul_lo_u32 v5, s13, v4
	v_mad_u64_u32 v[1:2], s[2:3], s12, v4, 0
	s_mul_i32 s0, s14, s8
	s_lshl_b64 s[0:1], s[0:1], 4
	v_add3_u32 v2, v2, v3, v5
	s_add_u32 s6, s26, s0
	v_lshlrev_b64 v[1:2], 4, v[1:2]
	s_addc_u32 s7, s27, s1
	v_mov_b32_e32 v3, s7
	v_add_co_u32_e32 v5, vcc, s6, v1
	v_addc_co_u32_e32 v22, vcc, v3, v2, vcc
	v_cmp_le_i32_e64 s[0:1], v4, v0
	v_cmp_gt_i32_e32 vcc, s11, v0
	s_and_b64 s[0:1], s[0:1], vcc
	s_and_saveexec_b64 s[2:3], s[0:1]
	s_cbranch_execz .LBB1319_6
; %bb.5:
	v_ashrrev_i32_e32 v1, 31, v0
	v_lshlrev_b64 v[1:2], 4, v[0:1]
	v_add_co_u32_e64 v1, s[0:1], v5, v1
	v_addc_co_u32_e64 v2, s[0:1], v22, v2, s[0:1]
	global_load_dwordx4 v[23:26], v[1:2], off
	v_cmp_ne_u32_e64 s[0:1], v4, v0
	s_waitcnt vmcnt(0)
	v_add_f64 v[20:21], v[20:21], -v[25:26]
	v_add_f64 v[18:19], v[18:19], -v[23:24]
	v_cndmask_b32_e64 v21, 0, v21, s[0:1]
	v_cndmask_b32_e64 v20, 0, v20, s[0:1]
	global_store_dwordx4 v[1:2], v[18:21], off
.LBB1319_6:
	s_or_b64 exec, exec, s[2:3]
	v_add_u32_e32 v2, 16, v0
	v_cmp_le_i32_e64 s[2:3], v4, v2
	v_cmp_gt_i32_e64 s[0:1], s11, v2
	s_and_b64 s[2:3], s[2:3], s[0:1]
	s_and_saveexec_b64 s[4:5], s[2:3]
	s_cbranch_execz .LBB1319_8
; %bb.7:
	v_ashrrev_i32_e32 v3, 31, v2
	v_lshlrev_b64 v[18:19], 4, v[2:3]
	v_add_co_u32_e64 v23, s[2:3], v5, v18
	v_addc_co_u32_e64 v24, s[2:3], v22, v19, s[2:3]
	global_load_dwordx4 v[18:21], v[23:24], off
	v_cmp_ne_u32_e64 s[2:3], v4, v2
	s_waitcnt vmcnt(0)
	v_add_f64 v[20:21], v[8:9], -v[20:21]
	v_add_f64 v[5:6], v[6:7], -v[18:19]
	v_cndmask_b32_e64 v8, 0, v21, s[2:3]
	v_cndmask_b32_e64 v7, 0, v20, s[2:3]
	global_store_dwordx4 v[23:24], v[5:8], off
.LBB1319_8:
	s_or_b64 exec, exec, s[4:5]
	v_add_u32_e32 v3, 16, v4
	v_ashrrev_i32_e32 v1, 31, v3
	v_mul_lo_u32 v7, s13, v3
	v_mad_u64_u32 v[5:6], s[2:3], s12, v3, 0
	v_mul_lo_u32 v1, s12, v1
	v_add3_u32 v6, v6, v1, v7
	v_lshlrev_b64 v[5:6], 4, v[5:6]
	v_mov_b32_e32 v1, s7
	v_add_co_u32_e64 v5, s[2:3], s6, v5
	v_addc_co_u32_e64 v6, s[2:3], v1, v6, s[2:3]
	v_cmp_le_i32_e64 s[2:3], v3, v0
	s_and_b64 s[4:5], s[2:3], vcc
	s_and_saveexec_b64 s[2:3], s[4:5]
	s_cbranch_execz .LBB1319_10
; %bb.9:
	v_ashrrev_i32_e32 v1, 31, v0
	v_lshlrev_b64 v[7:8], 4, v[0:1]
	v_add_co_u32_e32 v7, vcc, v5, v7
	v_addc_co_u32_e32 v8, vcc, v6, v8, vcc
	global_load_dwordx4 v[18:21], v[7:8], off
	v_cmp_ne_u32_e32 vcc, v3, v0
	s_waitcnt vmcnt(0)
	v_add_f64 v[16:17], v[16:17], -v[20:21]
	v_add_f64 v[14:15], v[14:15], -v[18:19]
	v_cndmask_b32_e32 v17, 0, v17, vcc
	v_cndmask_b32_e32 v16, 0, v16, vcc
	global_store_dwordx4 v[7:8], v[14:17], off
.LBB1319_10:
	s_or_b64 exec, exec, s[2:3]
	v_cmp_le_i32_e32 vcc, v3, v2
	s_and_b64 s[0:1], vcc, s[0:1]
	s_and_saveexec_b64 s[2:3], s[0:1]
	s_cbranch_execz .LBB1319_12
; %bb.11:
	v_ashrrev_i32_e32 v3, 31, v2
	v_lshlrev_b64 v[1:2], 4, v[2:3]
	v_add_co_u32_e32 v14, vcc, v5, v1
	v_addc_co_u32_e32 v15, vcc, v6, v2, vcc
	global_load_dwordx4 v[5:8], v[14:15], off
	v_cmp_ne_u32_e32 vcc, v4, v0
	s_waitcnt vmcnt(0)
	v_add_f64 v[7:8], v[10:11], -v[7:8]
	v_add_f64 v[1:2], v[12:13], -v[5:6]
	v_cndmask_b32_e32 v4, 0, v8, vcc
	v_cndmask_b32_e32 v3, 0, v7, vcc
	global_store_dwordx4 v[14:15], v[1:4], off
.LBB1319_12:
	s_endpgm
	.section	.rodata,"a",@progbits
	.p2align	6, 0x0
	.amdhsa_kernel _ZL37rocblas_syrkx_herkx_restricted_kernelIl19rocblas_complex_numIdELi16ELi32ELi8ELi1ELin1ELb1ELc78ELc76EKS1_S1_EviT_PT9_S3_lS5_S3_lPT10_S3_li
		.amdhsa_group_segment_fixed_size 8192
		.amdhsa_private_segment_fixed_size 0
		.amdhsa_kernarg_size 92
		.amdhsa_user_sgpr_count 6
		.amdhsa_user_sgpr_private_segment_buffer 1
		.amdhsa_user_sgpr_dispatch_ptr 0
		.amdhsa_user_sgpr_queue_ptr 0
		.amdhsa_user_sgpr_kernarg_segment_ptr 1
		.amdhsa_user_sgpr_dispatch_id 0
		.amdhsa_user_sgpr_flat_scratch_init 0
		.amdhsa_user_sgpr_private_segment_size 0
		.amdhsa_uses_dynamic_stack 0
		.amdhsa_system_sgpr_private_segment_wavefront_offset 0
		.amdhsa_system_sgpr_workgroup_id_x 1
		.amdhsa_system_sgpr_workgroup_id_y 1
		.amdhsa_system_sgpr_workgroup_id_z 1
		.amdhsa_system_sgpr_workgroup_info 0
		.amdhsa_system_vgpr_workitem_id 1
		.amdhsa_next_free_vgpr 54
		.amdhsa_next_free_sgpr 61
		.amdhsa_reserve_vcc 1
		.amdhsa_reserve_flat_scratch 0
		.amdhsa_float_round_mode_32 0
		.amdhsa_float_round_mode_16_64 0
		.amdhsa_float_denorm_mode_32 3
		.amdhsa_float_denorm_mode_16_64 3
		.amdhsa_dx10_clamp 1
		.amdhsa_ieee_mode 1
		.amdhsa_fp16_overflow 0
		.amdhsa_exception_fp_ieee_invalid_op 0
		.amdhsa_exception_fp_denorm_src 0
		.amdhsa_exception_fp_ieee_div_zero 0
		.amdhsa_exception_fp_ieee_overflow 0
		.amdhsa_exception_fp_ieee_underflow 0
		.amdhsa_exception_fp_ieee_inexact 0
		.amdhsa_exception_int_div_zero 0
	.end_amdhsa_kernel
	.section	.text._ZL37rocblas_syrkx_herkx_restricted_kernelIl19rocblas_complex_numIdELi16ELi32ELi8ELi1ELin1ELb1ELc78ELc76EKS1_S1_EviT_PT9_S3_lS5_S3_lPT10_S3_li,"axG",@progbits,_ZL37rocblas_syrkx_herkx_restricted_kernelIl19rocblas_complex_numIdELi16ELi32ELi8ELi1ELin1ELb1ELc78ELc76EKS1_S1_EviT_PT9_S3_lS5_S3_lPT10_S3_li,comdat
.Lfunc_end1319:
	.size	_ZL37rocblas_syrkx_herkx_restricted_kernelIl19rocblas_complex_numIdELi16ELi32ELi8ELi1ELin1ELb1ELc78ELc76EKS1_S1_EviT_PT9_S3_lS5_S3_lPT10_S3_li, .Lfunc_end1319-_ZL37rocblas_syrkx_herkx_restricted_kernelIl19rocblas_complex_numIdELi16ELi32ELi8ELi1ELin1ELb1ELc78ELc76EKS1_S1_EviT_PT9_S3_lS5_S3_lPT10_S3_li
                                        ; -- End function
	.set _ZL37rocblas_syrkx_herkx_restricted_kernelIl19rocblas_complex_numIdELi16ELi32ELi8ELi1ELin1ELb1ELc78ELc76EKS1_S1_EviT_PT9_S3_lS5_S3_lPT10_S3_li.num_vgpr, 54
	.set _ZL37rocblas_syrkx_herkx_restricted_kernelIl19rocblas_complex_numIdELi16ELi32ELi8ELi1ELin1ELb1ELc78ELc76EKS1_S1_EviT_PT9_S3_lS5_S3_lPT10_S3_li.num_agpr, 0
	.set _ZL37rocblas_syrkx_herkx_restricted_kernelIl19rocblas_complex_numIdELi16ELi32ELi8ELi1ELin1ELb1ELc78ELc76EKS1_S1_EviT_PT9_S3_lS5_S3_lPT10_S3_li.numbered_sgpr, 28
	.set _ZL37rocblas_syrkx_herkx_restricted_kernelIl19rocblas_complex_numIdELi16ELi32ELi8ELi1ELin1ELb1ELc78ELc76EKS1_S1_EviT_PT9_S3_lS5_S3_lPT10_S3_li.num_named_barrier, 0
	.set _ZL37rocblas_syrkx_herkx_restricted_kernelIl19rocblas_complex_numIdELi16ELi32ELi8ELi1ELin1ELb1ELc78ELc76EKS1_S1_EviT_PT9_S3_lS5_S3_lPT10_S3_li.private_seg_size, 0
	.set _ZL37rocblas_syrkx_herkx_restricted_kernelIl19rocblas_complex_numIdELi16ELi32ELi8ELi1ELin1ELb1ELc78ELc76EKS1_S1_EviT_PT9_S3_lS5_S3_lPT10_S3_li.uses_vcc, 1
	.set _ZL37rocblas_syrkx_herkx_restricted_kernelIl19rocblas_complex_numIdELi16ELi32ELi8ELi1ELin1ELb1ELc78ELc76EKS1_S1_EviT_PT9_S3_lS5_S3_lPT10_S3_li.uses_flat_scratch, 0
	.set _ZL37rocblas_syrkx_herkx_restricted_kernelIl19rocblas_complex_numIdELi16ELi32ELi8ELi1ELin1ELb1ELc78ELc76EKS1_S1_EviT_PT9_S3_lS5_S3_lPT10_S3_li.has_dyn_sized_stack, 0
	.set _ZL37rocblas_syrkx_herkx_restricted_kernelIl19rocblas_complex_numIdELi16ELi32ELi8ELi1ELin1ELb1ELc78ELc76EKS1_S1_EviT_PT9_S3_lS5_S3_lPT10_S3_li.has_recursion, 0
	.set _ZL37rocblas_syrkx_herkx_restricted_kernelIl19rocblas_complex_numIdELi16ELi32ELi8ELi1ELin1ELb1ELc78ELc76EKS1_S1_EviT_PT9_S3_lS5_S3_lPT10_S3_li.has_indirect_call, 0
	.section	.AMDGPU.csdata,"",@progbits
; Kernel info:
; codeLenInByte = 3016
; TotalNumSgprs: 32
; NumVgprs: 54
; ScratchSize: 0
; MemoryBound: 0
; FloatMode: 240
; IeeeMode: 1
; LDSByteSize: 8192 bytes/workgroup (compile time only)
; SGPRBlocks: 8
; VGPRBlocks: 13
; NumSGPRsForWavesPerEU: 65
; NumVGPRsForWavesPerEU: 54
; Occupancy: 4
; WaveLimiterHint : 1
; COMPUTE_PGM_RSRC2:SCRATCH_EN: 0
; COMPUTE_PGM_RSRC2:USER_SGPR: 6
; COMPUTE_PGM_RSRC2:TRAP_HANDLER: 0
; COMPUTE_PGM_RSRC2:TGID_X_EN: 1
; COMPUTE_PGM_RSRC2:TGID_Y_EN: 1
; COMPUTE_PGM_RSRC2:TGID_Z_EN: 1
; COMPUTE_PGM_RSRC2:TIDIG_COMP_CNT: 1
	.section	.text._ZL37rocblas_syrkx_herkx_restricted_kernelIl19rocblas_complex_numIdELi16ELi32ELi8ELi1ELin1ELb1ELc84ELc85EKS1_S1_EviT_PT9_S3_lS5_S3_lPT10_S3_li,"axG",@progbits,_ZL37rocblas_syrkx_herkx_restricted_kernelIl19rocblas_complex_numIdELi16ELi32ELi8ELi1ELin1ELb1ELc84ELc85EKS1_S1_EviT_PT9_S3_lS5_S3_lPT10_S3_li,comdat
	.globl	_ZL37rocblas_syrkx_herkx_restricted_kernelIl19rocblas_complex_numIdELi16ELi32ELi8ELi1ELin1ELb1ELc84ELc85EKS1_S1_EviT_PT9_S3_lS5_S3_lPT10_S3_li ; -- Begin function _ZL37rocblas_syrkx_herkx_restricted_kernelIl19rocblas_complex_numIdELi16ELi32ELi8ELi1ELin1ELb1ELc84ELc85EKS1_S1_EviT_PT9_S3_lS5_S3_lPT10_S3_li
	.p2align	8
	.type	_ZL37rocblas_syrkx_herkx_restricted_kernelIl19rocblas_complex_numIdELi16ELi32ELi8ELi1ELin1ELb1ELc84ELc85EKS1_S1_EviT_PT9_S3_lS5_S3_lPT10_S3_li,@function
_ZL37rocblas_syrkx_herkx_restricted_kernelIl19rocblas_complex_numIdELi16ELi32ELi8ELi1ELin1ELb1ELc84ELc85EKS1_S1_EviT_PT9_S3_lS5_S3_lPT10_S3_li: ; @_ZL37rocblas_syrkx_herkx_restricted_kernelIl19rocblas_complex_numIdELi16ELi32ELi8ELi1ELin1ELb1ELc84ELc85EKS1_S1_EviT_PT9_S3_lS5_S3_lPT10_S3_li
; %bb.0:
	s_load_dwordx16 s[12:27], s[4:5], 0x8
	s_lshl_b32 s2, s6, 5
	s_lshl_b32 s3, s7, 5
	s_waitcnt lgkmcnt(0)
	v_cmp_lt_i64_e64 s[0:1], s[12:13], 1
	s_and_b64 vcc, exec, s[0:1]
	s_cbranch_vccnz .LBB1320_3
; %bb.1:
	v_lshl_add_u32 v6, v1, 4, v0
	v_lshrrev_b32_e32 v8, 3, v6
	v_add_u32_e32 v4, s3, v8
	v_ashrrev_i32_e32 v5, 31, v4
	v_and_b32_e32 v2, 7, v0
	v_mov_b32_e32 v3, 0
	v_mul_lo_u32 v7, s22, v5
	v_mul_lo_u32 v9, s23, v4
	v_mad_u64_u32 v[4:5], s[0:1], s22, v4, v[2:3]
	v_lshlrev_b32_e32 v2, 4, v2
	v_lshl_or_b32 v2, v8, 7, v2
	v_add3_u32 v5, v9, v5, v7
	v_and_b32_e32 v9, 31, v6
	v_add_u32_e32 v23, 0x1000, v2
	v_mov_b32_e32 v2, 0x1000
	v_add_u32_e32 v8, s2, v9
	v_lshrrev_b32_e32 v6, 5, v6
	v_mov_b32_e32 v7, v3
	v_lshlrev_b32_e32 v3, 4, v9
	v_lshl_add_u32 v25, v1, 7, v2
	v_ashrrev_i32_e32 v2, 31, v8
	v_lshl_or_b32 v22, v6, 9, v3
	v_mul_lo_u32 v9, s16, v2
	v_mad_u64_u32 v[2:3], s[0:1], s16, v8, v[6:7]
	v_mul_lo_u32 v6, s17, v8
	s_mul_i32 s6, s19, s8
	s_mul_hi_u32 s7, s18, s8
	s_add_i32 s1, s7, s6
	s_mul_i32 s0, s18, s8
	s_lshl_b64 s[0:1], s[0:1], 4
	v_add3_u32 v3, v6, v3, v9
	v_lshlrev_b64 v[2:3], 4, v[2:3]
	s_add_u32 s0, s14, s0
	s_addc_u32 s1, s15, s1
	v_mov_b32_e32 v6, s1
	v_add_co_u32_e32 v2, vcc, s0, v2
	s_mul_i32 s0, s25, s8
	s_mul_hi_u32 s1, s24, s8
	s_add_i32 s1, s1, s0
	s_mul_i32 s0, s24, s8
	v_addc_co_u32_e32 v3, vcc, v6, v3, vcc
	s_lshl_b64 s[0:1], s[0:1], 4
	v_add_co_u32_e32 v2, vcc, 8, v2
	v_lshlrev_b64 v[4:5], 4, v[4:5]
	s_add_u32 s0, s20, s0
	v_addc_co_u32_e32 v3, vcc, 0, v3, vcc
	s_addc_u32 s1, s21, s1
	v_mov_b32_e32 v6, s1
	v_add_co_u32_e32 v4, vcc, s0, v4
	v_addc_co_u32_e32 v5, vcc, v6, v5, vcc
	v_add_co_u32_e32 v4, vcc, 8, v4
	v_mov_b32_e32 v10, 0
	v_mov_b32_e32 v12, 0
	v_mov_b32_e32 v16, 0
	v_mov_b32_e32 v14, 0
	v_mov_b32_e32 v8, 0
	v_mov_b32_e32 v6, 0
	v_mov_b32_e32 v20, 0
	v_mov_b32_e32 v18, 0
	v_lshlrev_b32_e32 v24, 4, v0
	v_addc_co_u32_e32 v5, vcc, 0, v5, vcc
	v_mov_b32_e32 v11, 0
	v_mov_b32_e32 v13, 0
	;; [unrolled: 1-line block ×8, first 2 shown]
	s_mov_b64 s[0:1], 0
.LBB1320_2:                             ; =>This Inner Loop Header: Depth=1
	global_load_dwordx4 v[26:29], v[2:3], off offset:-8
	s_add_u32 s0, s0, 8
	v_add_co_u32_e32 v2, vcc, 0x80, v2
	s_addc_u32 s1, s1, 0
	v_addc_co_u32_e32 v3, vcc, 0, v3, vcc
	s_waitcnt vmcnt(0)
	ds_write_b128 v22, v[26:29]
	global_load_dwordx4 v[26:29], v[4:5], off offset:-8
	v_add_co_u32_e32 v4, vcc, 0x80, v4
	v_addc_co_u32_e32 v5, vcc, 0, v5, vcc
	s_waitcnt vmcnt(0)
	ds_write_b128 v23, v[26:29]
	s_waitcnt lgkmcnt(0)
	s_barrier
	ds_read_b128 v[26:29], v25
	ds_read_b128 v[30:33], v25 offset:16
	ds_read_b128 v[34:37], v25 offset:32
	ds_read_b128 v[38:41], v25 offset:48
	ds_read_b128 v[42:45], v24
	s_waitcnt lgkmcnt(0)
	v_mul_f64 v[46:47], v[28:29], v[44:45]
	v_mul_f64 v[48:49], v[26:27], v[44:45]
	v_fma_f64 v[46:47], v[26:27], v[42:43], -v[46:47]
	v_fma_f64 v[48:49], v[28:29], v[42:43], v[48:49]
	v_add_f64 v[46:47], v[18:19], v[46:47]
	v_add_f64 v[48:49], v[48:49], v[20:21]
	ds_read_b128 v[18:21], v24 offset:256
	s_waitcnt lgkmcnt(0)
	v_mul_f64 v[50:51], v[28:29], v[20:21]
	v_fma_f64 v[50:51], v[26:27], v[18:19], -v[50:51]
	v_mul_f64 v[26:27], v[26:27], v[20:21]
	v_fma_f64 v[26:27], v[28:29], v[18:19], v[26:27]
	v_add_f64 v[28:29], v[6:7], v[50:51]
	v_add_f64 v[26:27], v[26:27], v[8:9]
	ds_read_b128 v[6:9], v25 offset:2048
	s_waitcnt lgkmcnt(0)
	v_mul_f64 v[50:51], v[8:9], v[44:45]
	v_mul_f64 v[44:45], v[6:7], v[44:45]
	v_fma_f64 v[50:51], v[6:7], v[42:43], -v[50:51]
	v_fma_f64 v[42:43], v[8:9], v[42:43], v[44:45]
	v_add_f64 v[44:45], v[14:15], v[50:51]
	v_mul_f64 v[14:15], v[8:9], v[20:21]
	v_add_f64 v[42:43], v[42:43], v[16:17]
	v_fma_f64 v[14:15], v[6:7], v[18:19], -v[14:15]
	v_mul_f64 v[6:7], v[6:7], v[20:21]
	v_fma_f64 v[6:7], v[8:9], v[18:19], v[6:7]
	v_add_f64 v[18:19], v[12:13], v[14:15]
	v_add_f64 v[20:21], v[6:7], v[10:11]
	ds_read_b128 v[6:9], v24 offset:512
	s_waitcnt lgkmcnt(0)
	v_mul_f64 v[10:11], v[32:33], v[8:9]
	v_mul_f64 v[12:13], v[30:31], v[8:9]
	v_fma_f64 v[10:11], v[30:31], v[6:7], -v[10:11]
	v_fma_f64 v[12:13], v[32:33], v[6:7], v[12:13]
	v_add_f64 v[46:47], v[46:47], v[10:11]
	v_add_f64 v[48:49], v[12:13], v[48:49]
	ds_read_b128 v[10:13], v24 offset:768
	s_waitcnt lgkmcnt(0)
	v_mul_f64 v[14:15], v[32:33], v[12:13]
	v_mul_f64 v[16:17], v[30:31], v[12:13]
	v_fma_f64 v[14:15], v[30:31], v[10:11], -v[14:15]
	;; [unrolled: 8-line block ×3, first 2 shown]
	v_fma_f64 v[6:7], v[16:17], v[6:7], v[8:9]
	v_mul_f64 v[8:9], v[14:15], v[12:13]
	v_add_f64 v[30:31], v[44:45], v[30:31]
	v_add_f64 v[32:33], v[6:7], v[42:43]
	v_mul_f64 v[6:7], v[16:17], v[12:13]
	v_fma_f64 v[8:9], v[16:17], v[10:11], v[8:9]
	v_fma_f64 v[6:7], v[14:15], v[10:11], -v[6:7]
	v_add_f64 v[20:21], v[8:9], v[20:21]
	v_add_f64 v[18:19], v[18:19], v[6:7]
	ds_read_b128 v[6:9], v24 offset:1024
	s_waitcnt lgkmcnt(0)
	v_mul_f64 v[10:11], v[36:37], v[8:9]
	v_mul_f64 v[12:13], v[34:35], v[8:9]
	v_fma_f64 v[10:11], v[34:35], v[6:7], -v[10:11]
	v_fma_f64 v[12:13], v[36:37], v[6:7], v[12:13]
	v_add_f64 v[42:43], v[46:47], v[10:11]
	v_add_f64 v[44:45], v[12:13], v[48:49]
	ds_read_b128 v[10:13], v24 offset:1280
	s_waitcnt lgkmcnt(0)
	v_mul_f64 v[14:15], v[36:37], v[12:13]
	v_mul_f64 v[16:17], v[34:35], v[12:13]
	v_fma_f64 v[14:15], v[34:35], v[10:11], -v[14:15]
	v_fma_f64 v[16:17], v[36:37], v[10:11], v[16:17]
	;; [unrolled: 8-line block ×3, first 2 shown]
	v_mul_f64 v[8:9], v[14:15], v[12:13]
	v_add_f64 v[30:31], v[30:31], v[34:35]
	v_add_f64 v[32:33], v[6:7], v[32:33]
	v_mul_f64 v[6:7], v[16:17], v[12:13]
	v_fma_f64 v[8:9], v[16:17], v[10:11], v[8:9]
	v_fma_f64 v[6:7], v[14:15], v[10:11], -v[6:7]
	v_add_f64 v[20:21], v[8:9], v[20:21]
	v_add_f64 v[18:19], v[18:19], v[6:7]
	ds_read_b128 v[6:9], v24 offset:1536
	s_waitcnt lgkmcnt(0)
	v_mul_f64 v[10:11], v[40:41], v[8:9]
	v_mul_f64 v[12:13], v[38:39], v[8:9]
	v_fma_f64 v[10:11], v[38:39], v[6:7], -v[10:11]
	v_fma_f64 v[12:13], v[40:41], v[6:7], v[12:13]
	v_add_f64 v[34:35], v[42:43], v[10:11]
	v_add_f64 v[36:37], v[12:13], v[44:45]
	ds_read_b128 v[10:13], v24 offset:1792
	s_waitcnt lgkmcnt(0)
	v_mul_f64 v[14:15], v[40:41], v[12:13]
	v_mul_f64 v[16:17], v[38:39], v[12:13]
	v_fma_f64 v[14:15], v[38:39], v[10:11], -v[14:15]
	v_fma_f64 v[16:17], v[40:41], v[10:11], v[16:17]
	;; [unrolled: 8-line block ×3, first 2 shown]
	v_mul_f64 v[8:9], v[14:15], v[12:13]
	v_add_f64 v[30:31], v[30:31], v[38:39]
	v_add_f64 v[32:33], v[6:7], v[32:33]
	v_mul_f64 v[6:7], v[16:17], v[12:13]
	v_fma_f64 v[8:9], v[16:17], v[10:11], v[8:9]
	v_fma_f64 v[6:7], v[14:15], v[10:11], -v[6:7]
	v_add_f64 v[20:21], v[8:9], v[20:21]
	v_add_f64 v[18:19], v[18:19], v[6:7]
	ds_read_b128 v[6:9], v25 offset:64
	ds_read_b128 v[10:13], v24 offset:2048
	s_waitcnt lgkmcnt(0)
	v_mul_f64 v[14:15], v[8:9], v[12:13]
	v_mul_f64 v[16:17], v[6:7], v[12:13]
	v_fma_f64 v[14:15], v[6:7], v[10:11], -v[14:15]
	v_fma_f64 v[16:17], v[8:9], v[10:11], v[16:17]
	v_add_f64 v[34:35], v[34:35], v[14:15]
	v_add_f64 v[36:37], v[16:17], v[36:37]
	ds_read_b128 v[14:17], v24 offset:2304
	s_waitcnt lgkmcnt(0)
	v_mul_f64 v[38:39], v[8:9], v[16:17]
	v_fma_f64 v[38:39], v[6:7], v[14:15], -v[38:39]
	v_mul_f64 v[6:7], v[6:7], v[16:17]
	v_add_f64 v[28:29], v[28:29], v[38:39]
	v_fma_f64 v[6:7], v[8:9], v[14:15], v[6:7]
	v_add_f64 v[26:27], v[6:7], v[26:27]
	ds_read_b128 v[6:9], v25 offset:2112
	s_waitcnt lgkmcnt(0)
	v_mul_f64 v[38:39], v[8:9], v[12:13]
	v_mul_f64 v[12:13], v[6:7], v[12:13]
	v_fma_f64 v[38:39], v[6:7], v[10:11], -v[38:39]
	v_fma_f64 v[10:11], v[8:9], v[10:11], v[12:13]
	v_add_f64 v[30:31], v[30:31], v[38:39]
	v_add_f64 v[32:33], v[10:11], v[32:33]
	v_mul_f64 v[10:11], v[8:9], v[16:17]
	v_fma_f64 v[10:11], v[6:7], v[14:15], -v[10:11]
	v_mul_f64 v[6:7], v[6:7], v[16:17]
	v_add_f64 v[18:19], v[18:19], v[10:11]
	v_fma_f64 v[6:7], v[8:9], v[14:15], v[6:7]
	v_add_f64 v[20:21], v[6:7], v[20:21]
	ds_read_b128 v[6:9], v25 offset:80
	ds_read_b128 v[10:13], v24 offset:2560
	s_waitcnt lgkmcnt(0)
	v_mul_f64 v[14:15], v[8:9], v[12:13]
	v_mul_f64 v[16:17], v[6:7], v[12:13]
	v_fma_f64 v[14:15], v[6:7], v[10:11], -v[14:15]
	v_fma_f64 v[16:17], v[8:9], v[10:11], v[16:17]
	v_add_f64 v[34:35], v[34:35], v[14:15]
	v_add_f64 v[36:37], v[16:17], v[36:37]
	ds_read_b128 v[14:17], v24 offset:2816
	s_waitcnt lgkmcnt(0)
	v_mul_f64 v[38:39], v[8:9], v[16:17]
	v_fma_f64 v[38:39], v[6:7], v[14:15], -v[38:39]
	v_mul_f64 v[6:7], v[6:7], v[16:17]
	v_add_f64 v[28:29], v[28:29], v[38:39]
	v_fma_f64 v[6:7], v[8:9], v[14:15], v[6:7]
	v_add_f64 v[26:27], v[6:7], v[26:27]
	ds_read_b128 v[6:9], v25 offset:2128
	s_waitcnt lgkmcnt(0)
	v_mul_f64 v[38:39], v[8:9], v[12:13]
	v_mul_f64 v[12:13], v[6:7], v[12:13]
	v_fma_f64 v[38:39], v[6:7], v[10:11], -v[38:39]
	v_fma_f64 v[10:11], v[8:9], v[10:11], v[12:13]
	v_add_f64 v[30:31], v[30:31], v[38:39]
	v_add_f64 v[32:33], v[10:11], v[32:33]
	v_mul_f64 v[10:11], v[8:9], v[16:17]
	v_fma_f64 v[10:11], v[6:7], v[14:15], -v[10:11]
	v_mul_f64 v[6:7], v[6:7], v[16:17]
	v_add_f64 v[18:19], v[18:19], v[10:11]
	v_fma_f64 v[6:7], v[8:9], v[14:15], v[6:7]
	;; [unrolled: 31-line block ×3, first 2 shown]
	v_add_f64 v[48:49], v[6:7], v[20:21]
	ds_read_b128 v[6:9], v25 offset:112
	ds_read_b128 v[10:13], v24 offset:3584
	;; [unrolled: 1-line block ×4, first 2 shown]
	s_waitcnt lgkmcnt(0)
	s_barrier
	v_mul_f64 v[14:15], v[8:9], v[12:13]
	v_mul_f64 v[16:17], v[6:7], v[12:13]
	v_fma_f64 v[14:15], v[6:7], v[10:11], -v[14:15]
	v_fma_f64 v[16:17], v[8:9], v[10:11], v[16:17]
	v_add_f64 v[18:19], v[34:35], v[14:15]
	v_mul_f64 v[14:15], v[8:9], v[28:29]
	v_add_f64 v[20:21], v[16:17], v[36:37]
	v_fma_f64 v[14:15], v[6:7], v[26:27], -v[14:15]
	v_mul_f64 v[6:7], v[6:7], v[28:29]
	v_fma_f64 v[8:9], v[8:9], v[26:27], v[6:7]
	v_add_f64 v[6:7], v[38:39], v[14:15]
	v_mul_f64 v[14:15], v[32:33], v[12:13]
	v_mul_f64 v[12:13], v[30:31], v[12:13]
	v_add_f64 v[8:9], v[8:9], v[40:41]
	v_fma_f64 v[14:15], v[30:31], v[10:11], -v[14:15]
	v_fma_f64 v[10:11], v[32:33], v[10:11], v[12:13]
	v_mul_f64 v[12:13], v[30:31], v[28:29]
	v_add_f64 v[14:15], v[42:43], v[14:15]
	v_add_f64 v[16:17], v[10:11], v[44:45]
	v_mul_f64 v[10:11], v[32:33], v[28:29]
	v_fma_f64 v[10:11], v[30:31], v[26:27], -v[10:11]
	v_fma_f64 v[26:27], v[32:33], v[26:27], v[12:13]
	v_add_f64 v[12:13], v[46:47], v[10:11]
	v_add_f64 v[10:11], v[26:27], v[48:49]
	v_mov_b32_e32 v27, s1
	v_mov_b32_e32 v26, s0
	v_cmp_le_u64_e32 vcc, s[12:13], v[26:27]
	s_cbranch_vccz .LBB1320_2
	s_branch .LBB1320_4
.LBB1320_3:
	v_mov_b32_e32 v18, 0
	v_mov_b32_e32 v20, 0
	;; [unrolled: 1-line block ×16, first 2 shown]
.LBB1320_4:
	s_load_dwordx4 s[12:15], s[4:5], 0x48
	s_load_dword s6, s[4:5], 0x0
	v_add_u32_e32 v4, s3, v1
	v_ashrrev_i32_e32 v1, 31, v4
	v_add_u32_e32 v0, s2, v0
	s_waitcnt lgkmcnt(0)
	s_mul_i32 s1, s15, s8
	s_mul_hi_u32 s3, s14, s8
	s_mul_i32 s0, s14, s8
	v_mul_lo_u32 v3, s12, v1
	v_mul_lo_u32 v5, s13, v4
	v_mad_u64_u32 v[1:2], s[8:9], s12, v4, 0
	s_add_i32 s1, s3, s1
	s_lshl_b64 s[0:1], s[0:1], 4
	v_add3_u32 v2, v2, v3, v5
	s_add_u32 s4, s26, s0
	v_lshlrev_b64 v[1:2], 4, v[1:2]
	s_addc_u32 s5, s27, s1
	v_mov_b32_e32 v3, s5
	v_add_co_u32_e64 v5, s[0:1], s4, v1
	v_addc_co_u32_e64 v22, s[0:1], v3, v2, s[0:1]
	v_cmp_gt_i32_e32 vcc, s6, v4
	v_cmp_le_i32_e64 s[0:1], v0, v4
	s_and_b64 s[0:1], vcc, s[0:1]
	s_and_saveexec_b64 s[2:3], s[0:1]
	s_cbranch_execz .LBB1320_6
; %bb.5:
	v_ashrrev_i32_e32 v1, 31, v0
	v_lshlrev_b64 v[1:2], 4, v[0:1]
	v_add_co_u32_e64 v1, s[0:1], v5, v1
	v_addc_co_u32_e64 v2, s[0:1], v22, v2, s[0:1]
	global_load_dwordx4 v[23:26], v[1:2], off
	v_cmp_ne_u32_e64 s[0:1], v4, v0
	s_waitcnt vmcnt(0)
	v_add_f64 v[20:21], v[20:21], -v[25:26]
	v_add_f64 v[18:19], v[18:19], -v[23:24]
	v_cndmask_b32_e64 v21, 0, v21, s[0:1]
	v_cndmask_b32_e64 v20, 0, v20, s[0:1]
	global_store_dwordx4 v[1:2], v[18:21], off
.LBB1320_6:
	s_or_b64 exec, exec, s[2:3]
	v_add_u32_e32 v2, 16, v0
	v_cmp_le_i32_e64 s[0:1], v2, v4
	s_and_b64 s[2:3], vcc, s[0:1]
	s_and_saveexec_b64 s[0:1], s[2:3]
	s_cbranch_execz .LBB1320_8
; %bb.7:
	v_ashrrev_i32_e32 v3, 31, v2
	v_lshlrev_b64 v[18:19], 4, v[2:3]
	v_add_co_u32_e32 v23, vcc, v5, v18
	v_addc_co_u32_e32 v24, vcc, v22, v19, vcc
	global_load_dwordx4 v[18:21], v[23:24], off
	v_cmp_ne_u32_e32 vcc, v4, v2
	s_waitcnt vmcnt(0)
	v_add_f64 v[20:21], v[8:9], -v[20:21]
	v_add_f64 v[5:6], v[6:7], -v[18:19]
	v_cndmask_b32_e32 v8, 0, v21, vcc
	v_cndmask_b32_e32 v7, 0, v20, vcc
	global_store_dwordx4 v[23:24], v[5:8], off
.LBB1320_8:
	s_or_b64 exec, exec, s[0:1]
	v_add_u32_e32 v3, 16, v4
	v_ashrrev_i32_e32 v1, 31, v3
	v_mul_lo_u32 v1, s12, v1
	v_mul_lo_u32 v7, s13, v3
	v_mad_u64_u32 v[5:6], s[0:1], s12, v3, 0
	v_cmp_gt_i32_e32 vcc, s6, v3
	v_add3_u32 v6, v6, v1, v7
	v_lshlrev_b64 v[5:6], 4, v[5:6]
	v_mov_b32_e32 v1, s5
	v_add_co_u32_e64 v5, s[0:1], s4, v5
	v_addc_co_u32_e64 v6, s[0:1], v1, v6, s[0:1]
	v_cmp_le_i32_e64 s[0:1], v0, v3
	s_and_b64 s[0:1], vcc, s[0:1]
	s_and_saveexec_b64 s[2:3], s[0:1]
	s_cbranch_execz .LBB1320_10
; %bb.9:
	v_ashrrev_i32_e32 v1, 31, v0
	v_lshlrev_b64 v[7:8], 4, v[0:1]
	v_add_co_u32_e64 v7, s[0:1], v5, v7
	v_addc_co_u32_e64 v8, s[0:1], v6, v8, s[0:1]
	global_load_dwordx4 v[18:21], v[7:8], off
	v_cmp_ne_u32_e64 s[0:1], v3, v0
	s_waitcnt vmcnt(0)
	v_add_f64 v[16:17], v[16:17], -v[20:21]
	v_add_f64 v[14:15], v[14:15], -v[18:19]
	v_cndmask_b32_e64 v17, 0, v17, s[0:1]
	v_cndmask_b32_e64 v16, 0, v16, s[0:1]
	global_store_dwordx4 v[7:8], v[14:17], off
.LBB1320_10:
	s_or_b64 exec, exec, s[2:3]
	v_cmp_le_i32_e64 s[0:1], v2, v3
	s_and_b64 s[0:1], vcc, s[0:1]
	s_and_saveexec_b64 s[2:3], s[0:1]
	s_cbranch_execz .LBB1320_12
; %bb.11:
	v_ashrrev_i32_e32 v3, 31, v2
	v_lshlrev_b64 v[1:2], 4, v[2:3]
	v_add_co_u32_e32 v14, vcc, v5, v1
	v_addc_co_u32_e32 v15, vcc, v6, v2, vcc
	global_load_dwordx4 v[5:8], v[14:15], off
	v_cmp_ne_u32_e32 vcc, v4, v0
	s_waitcnt vmcnt(0)
	v_add_f64 v[7:8], v[10:11], -v[7:8]
	v_add_f64 v[1:2], v[12:13], -v[5:6]
	v_cndmask_b32_e32 v4, 0, v8, vcc
	v_cndmask_b32_e32 v3, 0, v7, vcc
	global_store_dwordx4 v[14:15], v[1:4], off
.LBB1320_12:
	s_endpgm
	.section	.rodata,"a",@progbits
	.p2align	6, 0x0
	.amdhsa_kernel _ZL37rocblas_syrkx_herkx_restricted_kernelIl19rocblas_complex_numIdELi16ELi32ELi8ELi1ELin1ELb1ELc84ELc85EKS1_S1_EviT_PT9_S3_lS5_S3_lPT10_S3_li
		.amdhsa_group_segment_fixed_size 8192
		.amdhsa_private_segment_fixed_size 0
		.amdhsa_kernarg_size 92
		.amdhsa_user_sgpr_count 6
		.amdhsa_user_sgpr_private_segment_buffer 1
		.amdhsa_user_sgpr_dispatch_ptr 0
		.amdhsa_user_sgpr_queue_ptr 0
		.amdhsa_user_sgpr_kernarg_segment_ptr 1
		.amdhsa_user_sgpr_dispatch_id 0
		.amdhsa_user_sgpr_flat_scratch_init 0
		.amdhsa_user_sgpr_private_segment_size 0
		.amdhsa_uses_dynamic_stack 0
		.amdhsa_system_sgpr_private_segment_wavefront_offset 0
		.amdhsa_system_sgpr_workgroup_id_x 1
		.amdhsa_system_sgpr_workgroup_id_y 1
		.amdhsa_system_sgpr_workgroup_id_z 1
		.amdhsa_system_sgpr_workgroup_info 0
		.amdhsa_system_vgpr_workitem_id 1
		.amdhsa_next_free_vgpr 52
		.amdhsa_next_free_sgpr 61
		.amdhsa_reserve_vcc 1
		.amdhsa_reserve_flat_scratch 0
		.amdhsa_float_round_mode_32 0
		.amdhsa_float_round_mode_16_64 0
		.amdhsa_float_denorm_mode_32 3
		.amdhsa_float_denorm_mode_16_64 3
		.amdhsa_dx10_clamp 1
		.amdhsa_ieee_mode 1
		.amdhsa_fp16_overflow 0
		.amdhsa_exception_fp_ieee_invalid_op 0
		.amdhsa_exception_fp_denorm_src 0
		.amdhsa_exception_fp_ieee_div_zero 0
		.amdhsa_exception_fp_ieee_overflow 0
		.amdhsa_exception_fp_ieee_underflow 0
		.amdhsa_exception_fp_ieee_inexact 0
		.amdhsa_exception_int_div_zero 0
	.end_amdhsa_kernel
	.section	.text._ZL37rocblas_syrkx_herkx_restricted_kernelIl19rocblas_complex_numIdELi16ELi32ELi8ELi1ELin1ELb1ELc84ELc85EKS1_S1_EviT_PT9_S3_lS5_S3_lPT10_S3_li,"axG",@progbits,_ZL37rocblas_syrkx_herkx_restricted_kernelIl19rocblas_complex_numIdELi16ELi32ELi8ELi1ELin1ELb1ELc84ELc85EKS1_S1_EviT_PT9_S3_lS5_S3_lPT10_S3_li,comdat
.Lfunc_end1320:
	.size	_ZL37rocblas_syrkx_herkx_restricted_kernelIl19rocblas_complex_numIdELi16ELi32ELi8ELi1ELin1ELb1ELc84ELc85EKS1_S1_EviT_PT9_S3_lS5_S3_lPT10_S3_li, .Lfunc_end1320-_ZL37rocblas_syrkx_herkx_restricted_kernelIl19rocblas_complex_numIdELi16ELi32ELi8ELi1ELin1ELb1ELc84ELc85EKS1_S1_EviT_PT9_S3_lS5_S3_lPT10_S3_li
                                        ; -- End function
	.set _ZL37rocblas_syrkx_herkx_restricted_kernelIl19rocblas_complex_numIdELi16ELi32ELi8ELi1ELin1ELb1ELc84ELc85EKS1_S1_EviT_PT9_S3_lS5_S3_lPT10_S3_li.num_vgpr, 52
	.set _ZL37rocblas_syrkx_herkx_restricted_kernelIl19rocblas_complex_numIdELi16ELi32ELi8ELi1ELin1ELb1ELc84ELc85EKS1_S1_EviT_PT9_S3_lS5_S3_lPT10_S3_li.num_agpr, 0
	.set _ZL37rocblas_syrkx_herkx_restricted_kernelIl19rocblas_complex_numIdELi16ELi32ELi8ELi1ELin1ELb1ELc84ELc85EKS1_S1_EviT_PT9_S3_lS5_S3_lPT10_S3_li.numbered_sgpr, 28
	.set _ZL37rocblas_syrkx_herkx_restricted_kernelIl19rocblas_complex_numIdELi16ELi32ELi8ELi1ELin1ELb1ELc84ELc85EKS1_S1_EviT_PT9_S3_lS5_S3_lPT10_S3_li.num_named_barrier, 0
	.set _ZL37rocblas_syrkx_herkx_restricted_kernelIl19rocblas_complex_numIdELi16ELi32ELi8ELi1ELin1ELb1ELc84ELc85EKS1_S1_EviT_PT9_S3_lS5_S3_lPT10_S3_li.private_seg_size, 0
	.set _ZL37rocblas_syrkx_herkx_restricted_kernelIl19rocblas_complex_numIdELi16ELi32ELi8ELi1ELin1ELb1ELc84ELc85EKS1_S1_EviT_PT9_S3_lS5_S3_lPT10_S3_li.uses_vcc, 1
	.set _ZL37rocblas_syrkx_herkx_restricted_kernelIl19rocblas_complex_numIdELi16ELi32ELi8ELi1ELin1ELb1ELc84ELc85EKS1_S1_EviT_PT9_S3_lS5_S3_lPT10_S3_li.uses_flat_scratch, 0
	.set _ZL37rocblas_syrkx_herkx_restricted_kernelIl19rocblas_complex_numIdELi16ELi32ELi8ELi1ELin1ELb1ELc84ELc85EKS1_S1_EviT_PT9_S3_lS5_S3_lPT10_S3_li.has_dyn_sized_stack, 0
	.set _ZL37rocblas_syrkx_herkx_restricted_kernelIl19rocblas_complex_numIdELi16ELi32ELi8ELi1ELin1ELb1ELc84ELc85EKS1_S1_EviT_PT9_S3_lS5_S3_lPT10_S3_li.has_recursion, 0
	.set _ZL37rocblas_syrkx_herkx_restricted_kernelIl19rocblas_complex_numIdELi16ELi32ELi8ELi1ELin1ELb1ELc84ELc85EKS1_S1_EviT_PT9_S3_lS5_S3_lPT10_S3_li.has_indirect_call, 0
	.section	.AMDGPU.csdata,"",@progbits
; Kernel info:
; codeLenInByte = 3036
; TotalNumSgprs: 32
; NumVgprs: 52
; ScratchSize: 0
; MemoryBound: 0
; FloatMode: 240
; IeeeMode: 1
; LDSByteSize: 8192 bytes/workgroup (compile time only)
; SGPRBlocks: 8
; VGPRBlocks: 12
; NumSGPRsForWavesPerEU: 65
; NumVGPRsForWavesPerEU: 52
; Occupancy: 4
; WaveLimiterHint : 1
; COMPUTE_PGM_RSRC2:SCRATCH_EN: 0
; COMPUTE_PGM_RSRC2:USER_SGPR: 6
; COMPUTE_PGM_RSRC2:TRAP_HANDLER: 0
; COMPUTE_PGM_RSRC2:TGID_X_EN: 1
; COMPUTE_PGM_RSRC2:TGID_Y_EN: 1
; COMPUTE_PGM_RSRC2:TGID_Z_EN: 1
; COMPUTE_PGM_RSRC2:TIDIG_COMP_CNT: 1
	.section	.text._ZL37rocblas_syrkx_herkx_restricted_kernelIl19rocblas_complex_numIdELi16ELi32ELi8ELi1ELin1ELb1ELc67ELc85EKS1_S1_EviT_PT9_S3_lS5_S3_lPT10_S3_li,"axG",@progbits,_ZL37rocblas_syrkx_herkx_restricted_kernelIl19rocblas_complex_numIdELi16ELi32ELi8ELi1ELin1ELb1ELc67ELc85EKS1_S1_EviT_PT9_S3_lS5_S3_lPT10_S3_li,comdat
	.globl	_ZL37rocblas_syrkx_herkx_restricted_kernelIl19rocblas_complex_numIdELi16ELi32ELi8ELi1ELin1ELb1ELc67ELc85EKS1_S1_EviT_PT9_S3_lS5_S3_lPT10_S3_li ; -- Begin function _ZL37rocblas_syrkx_herkx_restricted_kernelIl19rocblas_complex_numIdELi16ELi32ELi8ELi1ELin1ELb1ELc67ELc85EKS1_S1_EviT_PT9_S3_lS5_S3_lPT10_S3_li
	.p2align	8
	.type	_ZL37rocblas_syrkx_herkx_restricted_kernelIl19rocblas_complex_numIdELi16ELi32ELi8ELi1ELin1ELb1ELc67ELc85EKS1_S1_EviT_PT9_S3_lS5_S3_lPT10_S3_li,@function
_ZL37rocblas_syrkx_herkx_restricted_kernelIl19rocblas_complex_numIdELi16ELi32ELi8ELi1ELin1ELb1ELc67ELc85EKS1_S1_EviT_PT9_S3_lS5_S3_lPT10_S3_li: ; @_ZL37rocblas_syrkx_herkx_restricted_kernelIl19rocblas_complex_numIdELi16ELi32ELi8ELi1ELin1ELb1ELc67ELc85EKS1_S1_EviT_PT9_S3_lS5_S3_lPT10_S3_li
; %bb.0:
	s_load_dwordx16 s[12:27], s[4:5], 0x8
	s_lshl_b32 s2, s6, 5
	s_lshl_b32 s3, s7, 5
	s_waitcnt lgkmcnt(0)
	v_cmp_lt_i64_e64 s[0:1], s[12:13], 1
	s_and_b64 vcc, exec, s[0:1]
	s_cbranch_vccnz .LBB1321_3
; %bb.1:
	v_lshl_add_u32 v6, v1, 4, v0
	v_lshrrev_b32_e32 v8, 3, v6
	v_add_u32_e32 v4, s3, v8
	v_ashrrev_i32_e32 v5, 31, v4
	v_and_b32_e32 v2, 7, v0
	v_mov_b32_e32 v3, 0
	v_mul_lo_u32 v7, s22, v5
	v_mul_lo_u32 v9, s23, v4
	v_mad_u64_u32 v[4:5], s[0:1], s22, v4, v[2:3]
	v_lshlrev_b32_e32 v2, 4, v2
	v_lshl_or_b32 v2, v8, 7, v2
	v_add3_u32 v5, v9, v5, v7
	v_and_b32_e32 v9, 31, v6
	v_add_u32_e32 v23, 0x1000, v2
	v_mov_b32_e32 v2, 0x1000
	v_add_u32_e32 v8, s2, v9
	v_lshrrev_b32_e32 v6, 5, v6
	v_mov_b32_e32 v7, v3
	v_lshlrev_b32_e32 v3, 4, v9
	v_lshl_add_u32 v25, v1, 7, v2
	v_ashrrev_i32_e32 v2, 31, v8
	v_lshl_or_b32 v22, v6, 9, v3
	v_mul_lo_u32 v9, s16, v2
	v_mad_u64_u32 v[2:3], s[0:1], s16, v8, v[6:7]
	v_mul_lo_u32 v6, s17, v8
	s_mul_i32 s6, s19, s8
	s_mul_hi_u32 s7, s18, s8
	s_add_i32 s1, s7, s6
	s_mul_i32 s0, s18, s8
	s_lshl_b64 s[0:1], s[0:1], 4
	v_add3_u32 v3, v6, v3, v9
	v_lshlrev_b64 v[2:3], 4, v[2:3]
	s_add_u32 s0, s14, s0
	s_addc_u32 s1, s15, s1
	v_mov_b32_e32 v6, s1
	v_add_co_u32_e32 v2, vcc, s0, v2
	s_mul_i32 s0, s25, s8
	s_mul_hi_u32 s1, s24, s8
	s_add_i32 s1, s1, s0
	s_mul_i32 s0, s24, s8
	v_addc_co_u32_e32 v3, vcc, v6, v3, vcc
	s_lshl_b64 s[0:1], s[0:1], 4
	v_add_co_u32_e32 v2, vcc, 8, v2
	v_lshlrev_b64 v[4:5], 4, v[4:5]
	s_add_u32 s0, s20, s0
	v_addc_co_u32_e32 v3, vcc, 0, v3, vcc
	s_addc_u32 s1, s21, s1
	v_mov_b32_e32 v6, s1
	v_add_co_u32_e32 v4, vcc, s0, v4
	v_addc_co_u32_e32 v5, vcc, v6, v5, vcc
	v_add_co_u32_e32 v4, vcc, 8, v4
	v_mov_b32_e32 v10, 0
	v_mov_b32_e32 v12, 0
	;; [unrolled: 1-line block ×8, first 2 shown]
	v_lshlrev_b32_e32 v24, 4, v0
	v_addc_co_u32_e32 v5, vcc, 0, v5, vcc
	v_mov_b32_e32 v11, 0
	v_mov_b32_e32 v13, 0
	;; [unrolled: 1-line block ×8, first 2 shown]
	s_mov_b64 s[0:1], 0
.LBB1321_2:                             ; =>This Inner Loop Header: Depth=1
	global_load_dwordx4 v[26:29], v[2:3], off offset:-8
	s_add_u32 s0, s0, 8
	v_add_co_u32_e32 v2, vcc, 0x80, v2
	s_addc_u32 s1, s1, 0
	v_addc_co_u32_e32 v3, vcc, 0, v3, vcc
	s_waitcnt vmcnt(0)
	v_xor_b32_e32 v29, 0x80000000, v29
	ds_write_b128 v22, v[26:29]
	global_load_dwordx4 v[26:29], v[4:5], off offset:-8
	v_add_co_u32_e32 v4, vcc, 0x80, v4
	v_addc_co_u32_e32 v5, vcc, 0, v5, vcc
	s_waitcnt vmcnt(0)
	ds_write_b128 v23, v[26:29]
	s_waitcnt lgkmcnt(0)
	s_barrier
	ds_read_b128 v[26:29], v25
	ds_read_b128 v[30:33], v25 offset:16
	ds_read_b128 v[34:37], v25 offset:32
	ds_read_b128 v[38:41], v25 offset:48
	ds_read_b128 v[42:45], v24
	s_waitcnt lgkmcnt(0)
	v_mul_f64 v[46:47], v[28:29], v[44:45]
	v_mul_f64 v[48:49], v[26:27], v[44:45]
	v_fma_f64 v[46:47], v[26:27], v[42:43], -v[46:47]
	v_fma_f64 v[48:49], v[28:29], v[42:43], v[48:49]
	v_add_f64 v[46:47], v[18:19], v[46:47]
	v_add_f64 v[48:49], v[48:49], v[20:21]
	ds_read_b128 v[18:21], v24 offset:256
	s_waitcnt lgkmcnt(0)
	v_mul_f64 v[50:51], v[28:29], v[20:21]
	v_fma_f64 v[50:51], v[26:27], v[18:19], -v[50:51]
	v_mul_f64 v[26:27], v[26:27], v[20:21]
	v_fma_f64 v[26:27], v[28:29], v[18:19], v[26:27]
	v_add_f64 v[28:29], v[6:7], v[50:51]
	v_add_f64 v[26:27], v[26:27], v[8:9]
	ds_read_b128 v[6:9], v25 offset:2048
	s_waitcnt lgkmcnt(0)
	v_mul_f64 v[50:51], v[8:9], v[44:45]
	v_mul_f64 v[44:45], v[6:7], v[44:45]
	v_fma_f64 v[50:51], v[6:7], v[42:43], -v[50:51]
	v_fma_f64 v[42:43], v[8:9], v[42:43], v[44:45]
	v_add_f64 v[44:45], v[14:15], v[50:51]
	v_mul_f64 v[14:15], v[8:9], v[20:21]
	v_add_f64 v[42:43], v[42:43], v[16:17]
	v_fma_f64 v[14:15], v[6:7], v[18:19], -v[14:15]
	v_mul_f64 v[6:7], v[6:7], v[20:21]
	v_fma_f64 v[6:7], v[8:9], v[18:19], v[6:7]
	v_add_f64 v[18:19], v[12:13], v[14:15]
	v_add_f64 v[20:21], v[6:7], v[10:11]
	ds_read_b128 v[6:9], v24 offset:512
	s_waitcnt lgkmcnt(0)
	v_mul_f64 v[10:11], v[32:33], v[8:9]
	v_mul_f64 v[12:13], v[30:31], v[8:9]
	v_fma_f64 v[10:11], v[30:31], v[6:7], -v[10:11]
	v_fma_f64 v[12:13], v[32:33], v[6:7], v[12:13]
	v_add_f64 v[46:47], v[46:47], v[10:11]
	v_add_f64 v[48:49], v[12:13], v[48:49]
	ds_read_b128 v[10:13], v24 offset:768
	s_waitcnt lgkmcnt(0)
	v_mul_f64 v[14:15], v[32:33], v[12:13]
	v_mul_f64 v[16:17], v[30:31], v[12:13]
	v_fma_f64 v[14:15], v[30:31], v[10:11], -v[14:15]
	;; [unrolled: 8-line block ×3, first 2 shown]
	v_fma_f64 v[6:7], v[16:17], v[6:7], v[8:9]
	v_mul_f64 v[8:9], v[14:15], v[12:13]
	v_add_f64 v[30:31], v[44:45], v[30:31]
	v_add_f64 v[32:33], v[6:7], v[42:43]
	v_mul_f64 v[6:7], v[16:17], v[12:13]
	v_fma_f64 v[8:9], v[16:17], v[10:11], v[8:9]
	v_fma_f64 v[6:7], v[14:15], v[10:11], -v[6:7]
	v_add_f64 v[20:21], v[8:9], v[20:21]
	v_add_f64 v[18:19], v[18:19], v[6:7]
	ds_read_b128 v[6:9], v24 offset:1024
	s_waitcnt lgkmcnt(0)
	v_mul_f64 v[10:11], v[36:37], v[8:9]
	v_mul_f64 v[12:13], v[34:35], v[8:9]
	v_fma_f64 v[10:11], v[34:35], v[6:7], -v[10:11]
	v_fma_f64 v[12:13], v[36:37], v[6:7], v[12:13]
	v_add_f64 v[42:43], v[46:47], v[10:11]
	v_add_f64 v[44:45], v[12:13], v[48:49]
	ds_read_b128 v[10:13], v24 offset:1280
	s_waitcnt lgkmcnt(0)
	v_mul_f64 v[14:15], v[36:37], v[12:13]
	v_mul_f64 v[16:17], v[34:35], v[12:13]
	v_fma_f64 v[14:15], v[34:35], v[10:11], -v[14:15]
	v_fma_f64 v[16:17], v[36:37], v[10:11], v[16:17]
	;; [unrolled: 8-line block ×3, first 2 shown]
	v_mul_f64 v[8:9], v[14:15], v[12:13]
	v_add_f64 v[30:31], v[30:31], v[34:35]
	v_add_f64 v[32:33], v[6:7], v[32:33]
	v_mul_f64 v[6:7], v[16:17], v[12:13]
	v_fma_f64 v[8:9], v[16:17], v[10:11], v[8:9]
	v_fma_f64 v[6:7], v[14:15], v[10:11], -v[6:7]
	v_add_f64 v[20:21], v[8:9], v[20:21]
	v_add_f64 v[18:19], v[18:19], v[6:7]
	ds_read_b128 v[6:9], v24 offset:1536
	s_waitcnt lgkmcnt(0)
	v_mul_f64 v[10:11], v[40:41], v[8:9]
	v_mul_f64 v[12:13], v[38:39], v[8:9]
	v_fma_f64 v[10:11], v[38:39], v[6:7], -v[10:11]
	v_fma_f64 v[12:13], v[40:41], v[6:7], v[12:13]
	v_add_f64 v[34:35], v[42:43], v[10:11]
	v_add_f64 v[36:37], v[12:13], v[44:45]
	ds_read_b128 v[10:13], v24 offset:1792
	s_waitcnt lgkmcnt(0)
	v_mul_f64 v[14:15], v[40:41], v[12:13]
	v_mul_f64 v[16:17], v[38:39], v[12:13]
	v_fma_f64 v[14:15], v[38:39], v[10:11], -v[14:15]
	v_fma_f64 v[16:17], v[40:41], v[10:11], v[16:17]
	;; [unrolled: 8-line block ×3, first 2 shown]
	v_mul_f64 v[8:9], v[14:15], v[12:13]
	v_add_f64 v[30:31], v[30:31], v[38:39]
	v_add_f64 v[32:33], v[6:7], v[32:33]
	v_mul_f64 v[6:7], v[16:17], v[12:13]
	v_fma_f64 v[8:9], v[16:17], v[10:11], v[8:9]
	v_fma_f64 v[6:7], v[14:15], v[10:11], -v[6:7]
	v_add_f64 v[20:21], v[8:9], v[20:21]
	v_add_f64 v[18:19], v[18:19], v[6:7]
	ds_read_b128 v[6:9], v25 offset:64
	ds_read_b128 v[10:13], v24 offset:2048
	s_waitcnt lgkmcnt(0)
	v_mul_f64 v[14:15], v[8:9], v[12:13]
	v_mul_f64 v[16:17], v[6:7], v[12:13]
	v_fma_f64 v[14:15], v[6:7], v[10:11], -v[14:15]
	v_fma_f64 v[16:17], v[8:9], v[10:11], v[16:17]
	v_add_f64 v[34:35], v[34:35], v[14:15]
	v_add_f64 v[36:37], v[16:17], v[36:37]
	ds_read_b128 v[14:17], v24 offset:2304
	s_waitcnt lgkmcnt(0)
	v_mul_f64 v[38:39], v[8:9], v[16:17]
	v_fma_f64 v[38:39], v[6:7], v[14:15], -v[38:39]
	v_mul_f64 v[6:7], v[6:7], v[16:17]
	v_add_f64 v[28:29], v[28:29], v[38:39]
	v_fma_f64 v[6:7], v[8:9], v[14:15], v[6:7]
	v_add_f64 v[26:27], v[6:7], v[26:27]
	ds_read_b128 v[6:9], v25 offset:2112
	s_waitcnt lgkmcnt(0)
	v_mul_f64 v[38:39], v[8:9], v[12:13]
	v_mul_f64 v[12:13], v[6:7], v[12:13]
	v_fma_f64 v[38:39], v[6:7], v[10:11], -v[38:39]
	v_fma_f64 v[10:11], v[8:9], v[10:11], v[12:13]
	v_add_f64 v[30:31], v[30:31], v[38:39]
	v_add_f64 v[32:33], v[10:11], v[32:33]
	v_mul_f64 v[10:11], v[8:9], v[16:17]
	v_fma_f64 v[10:11], v[6:7], v[14:15], -v[10:11]
	v_mul_f64 v[6:7], v[6:7], v[16:17]
	v_add_f64 v[18:19], v[18:19], v[10:11]
	v_fma_f64 v[6:7], v[8:9], v[14:15], v[6:7]
	v_add_f64 v[20:21], v[6:7], v[20:21]
	ds_read_b128 v[6:9], v25 offset:80
	ds_read_b128 v[10:13], v24 offset:2560
	s_waitcnt lgkmcnt(0)
	v_mul_f64 v[14:15], v[8:9], v[12:13]
	v_mul_f64 v[16:17], v[6:7], v[12:13]
	v_fma_f64 v[14:15], v[6:7], v[10:11], -v[14:15]
	v_fma_f64 v[16:17], v[8:9], v[10:11], v[16:17]
	v_add_f64 v[34:35], v[34:35], v[14:15]
	v_add_f64 v[36:37], v[16:17], v[36:37]
	ds_read_b128 v[14:17], v24 offset:2816
	s_waitcnt lgkmcnt(0)
	v_mul_f64 v[38:39], v[8:9], v[16:17]
	v_fma_f64 v[38:39], v[6:7], v[14:15], -v[38:39]
	v_mul_f64 v[6:7], v[6:7], v[16:17]
	v_add_f64 v[28:29], v[28:29], v[38:39]
	v_fma_f64 v[6:7], v[8:9], v[14:15], v[6:7]
	v_add_f64 v[26:27], v[6:7], v[26:27]
	ds_read_b128 v[6:9], v25 offset:2128
	s_waitcnt lgkmcnt(0)
	v_mul_f64 v[38:39], v[8:9], v[12:13]
	v_mul_f64 v[12:13], v[6:7], v[12:13]
	v_fma_f64 v[38:39], v[6:7], v[10:11], -v[38:39]
	v_fma_f64 v[10:11], v[8:9], v[10:11], v[12:13]
	v_add_f64 v[30:31], v[30:31], v[38:39]
	v_add_f64 v[32:33], v[10:11], v[32:33]
	v_mul_f64 v[10:11], v[8:9], v[16:17]
	v_fma_f64 v[10:11], v[6:7], v[14:15], -v[10:11]
	v_mul_f64 v[6:7], v[6:7], v[16:17]
	v_add_f64 v[18:19], v[18:19], v[10:11]
	v_fma_f64 v[6:7], v[8:9], v[14:15], v[6:7]
	v_add_f64 v[20:21], v[6:7], v[20:21]
	ds_read_b128 v[6:9], v25 offset:96
	ds_read_b128 v[10:13], v24 offset:3072
	s_waitcnt lgkmcnt(0)
	v_mul_f64 v[14:15], v[8:9], v[12:13]
	v_mul_f64 v[16:17], v[6:7], v[12:13]
	v_fma_f64 v[14:15], v[6:7], v[10:11], -v[14:15]
	v_fma_f64 v[16:17], v[8:9], v[10:11], v[16:17]
	v_add_f64 v[34:35], v[34:35], v[14:15]
	v_add_f64 v[36:37], v[16:17], v[36:37]
	ds_read_b128 v[14:17], v24 offset:3328
	s_waitcnt lgkmcnt(0)
	v_mul_f64 v[38:39], v[8:9], v[16:17]
	v_fma_f64 v[38:39], v[6:7], v[14:15], -v[38:39]
	v_mul_f64 v[6:7], v[6:7], v[16:17]
	v_add_f64 v[38:39], v[28:29], v[38:39]
	v_fma_f64 v[6:7], v[8:9], v[14:15], v[6:7]
	v_add_f64 v[40:41], v[6:7], v[26:27]
	ds_read_b128 v[6:9], v25 offset:2144
	s_waitcnt lgkmcnt(0)
	v_mul_f64 v[26:27], v[8:9], v[12:13]
	v_mul_f64 v[12:13], v[6:7], v[12:13]
	v_fma_f64 v[26:27], v[6:7], v[10:11], -v[26:27]
	v_fma_f64 v[10:11], v[8:9], v[10:11], v[12:13]
	v_add_f64 v[42:43], v[30:31], v[26:27]
	v_add_f64 v[44:45], v[10:11], v[32:33]
	v_mul_f64 v[10:11], v[8:9], v[16:17]
	v_fma_f64 v[10:11], v[6:7], v[14:15], -v[10:11]
	v_mul_f64 v[6:7], v[6:7], v[16:17]
	v_add_f64 v[46:47], v[18:19], v[10:11]
	v_fma_f64 v[6:7], v[8:9], v[14:15], v[6:7]
	v_add_f64 v[48:49], v[6:7], v[20:21]
	ds_read_b128 v[6:9], v25 offset:112
	ds_read_b128 v[10:13], v24 offset:3584
	;; [unrolled: 1-line block ×4, first 2 shown]
	s_waitcnt lgkmcnt(0)
	s_barrier
	v_mul_f64 v[14:15], v[8:9], v[12:13]
	v_mul_f64 v[16:17], v[6:7], v[12:13]
	v_fma_f64 v[14:15], v[6:7], v[10:11], -v[14:15]
	v_fma_f64 v[16:17], v[8:9], v[10:11], v[16:17]
	v_add_f64 v[18:19], v[34:35], v[14:15]
	v_mul_f64 v[14:15], v[8:9], v[28:29]
	v_add_f64 v[20:21], v[16:17], v[36:37]
	v_fma_f64 v[14:15], v[6:7], v[26:27], -v[14:15]
	v_mul_f64 v[6:7], v[6:7], v[28:29]
	v_fma_f64 v[8:9], v[8:9], v[26:27], v[6:7]
	v_add_f64 v[6:7], v[38:39], v[14:15]
	v_mul_f64 v[14:15], v[32:33], v[12:13]
	v_mul_f64 v[12:13], v[30:31], v[12:13]
	v_add_f64 v[8:9], v[8:9], v[40:41]
	v_fma_f64 v[14:15], v[30:31], v[10:11], -v[14:15]
	v_fma_f64 v[10:11], v[32:33], v[10:11], v[12:13]
	v_mul_f64 v[12:13], v[30:31], v[28:29]
	v_add_f64 v[14:15], v[42:43], v[14:15]
	v_add_f64 v[16:17], v[10:11], v[44:45]
	v_mul_f64 v[10:11], v[32:33], v[28:29]
	v_fma_f64 v[10:11], v[30:31], v[26:27], -v[10:11]
	v_fma_f64 v[26:27], v[32:33], v[26:27], v[12:13]
	v_add_f64 v[12:13], v[46:47], v[10:11]
	v_add_f64 v[10:11], v[26:27], v[48:49]
	v_mov_b32_e32 v27, s1
	v_mov_b32_e32 v26, s0
	v_cmp_le_u64_e32 vcc, s[12:13], v[26:27]
	s_cbranch_vccz .LBB1321_2
	s_branch .LBB1321_4
.LBB1321_3:
	v_mov_b32_e32 v18, 0
	v_mov_b32_e32 v20, 0
	;; [unrolled: 1-line block ×16, first 2 shown]
.LBB1321_4:
	s_load_dwordx4 s[12:15], s[4:5], 0x48
	s_load_dword s6, s[4:5], 0x0
	v_add_u32_e32 v4, s3, v1
	v_ashrrev_i32_e32 v1, 31, v4
	v_add_u32_e32 v0, s2, v0
	s_waitcnt lgkmcnt(0)
	s_mul_i32 s1, s15, s8
	s_mul_hi_u32 s3, s14, s8
	s_mul_i32 s0, s14, s8
	v_mul_lo_u32 v3, s12, v1
	v_mul_lo_u32 v5, s13, v4
	v_mad_u64_u32 v[1:2], s[8:9], s12, v4, 0
	s_add_i32 s1, s3, s1
	s_lshl_b64 s[0:1], s[0:1], 4
	v_add3_u32 v2, v2, v3, v5
	s_add_u32 s4, s26, s0
	v_lshlrev_b64 v[1:2], 4, v[1:2]
	s_addc_u32 s5, s27, s1
	v_mov_b32_e32 v3, s5
	v_add_co_u32_e64 v5, s[0:1], s4, v1
	v_addc_co_u32_e64 v22, s[0:1], v3, v2, s[0:1]
	v_cmp_gt_i32_e32 vcc, s6, v4
	v_cmp_le_i32_e64 s[0:1], v0, v4
	s_and_b64 s[0:1], vcc, s[0:1]
	s_and_saveexec_b64 s[2:3], s[0:1]
	s_cbranch_execz .LBB1321_6
; %bb.5:
	v_ashrrev_i32_e32 v1, 31, v0
	v_lshlrev_b64 v[1:2], 4, v[0:1]
	v_add_co_u32_e64 v1, s[0:1], v5, v1
	v_addc_co_u32_e64 v2, s[0:1], v22, v2, s[0:1]
	global_load_dwordx4 v[23:26], v[1:2], off
	v_cmp_ne_u32_e64 s[0:1], v4, v0
	s_waitcnt vmcnt(0)
	v_add_f64 v[20:21], v[20:21], -v[25:26]
	v_add_f64 v[18:19], v[18:19], -v[23:24]
	v_cndmask_b32_e64 v21, 0, v21, s[0:1]
	v_cndmask_b32_e64 v20, 0, v20, s[0:1]
	global_store_dwordx4 v[1:2], v[18:21], off
.LBB1321_6:
	s_or_b64 exec, exec, s[2:3]
	v_add_u32_e32 v2, 16, v0
	v_cmp_le_i32_e64 s[0:1], v2, v4
	s_and_b64 s[2:3], vcc, s[0:1]
	s_and_saveexec_b64 s[0:1], s[2:3]
	s_cbranch_execz .LBB1321_8
; %bb.7:
	v_ashrrev_i32_e32 v3, 31, v2
	v_lshlrev_b64 v[18:19], 4, v[2:3]
	v_add_co_u32_e32 v23, vcc, v5, v18
	v_addc_co_u32_e32 v24, vcc, v22, v19, vcc
	global_load_dwordx4 v[18:21], v[23:24], off
	v_cmp_ne_u32_e32 vcc, v4, v2
	s_waitcnt vmcnt(0)
	v_add_f64 v[20:21], v[8:9], -v[20:21]
	v_add_f64 v[5:6], v[6:7], -v[18:19]
	v_cndmask_b32_e32 v8, 0, v21, vcc
	v_cndmask_b32_e32 v7, 0, v20, vcc
	global_store_dwordx4 v[23:24], v[5:8], off
.LBB1321_8:
	s_or_b64 exec, exec, s[0:1]
	v_add_u32_e32 v3, 16, v4
	v_ashrrev_i32_e32 v1, 31, v3
	v_mul_lo_u32 v1, s12, v1
	v_mul_lo_u32 v7, s13, v3
	v_mad_u64_u32 v[5:6], s[0:1], s12, v3, 0
	v_cmp_gt_i32_e32 vcc, s6, v3
	v_add3_u32 v6, v6, v1, v7
	v_lshlrev_b64 v[5:6], 4, v[5:6]
	v_mov_b32_e32 v1, s5
	v_add_co_u32_e64 v5, s[0:1], s4, v5
	v_addc_co_u32_e64 v6, s[0:1], v1, v6, s[0:1]
	v_cmp_le_i32_e64 s[0:1], v0, v3
	s_and_b64 s[0:1], vcc, s[0:1]
	s_and_saveexec_b64 s[2:3], s[0:1]
	s_cbranch_execz .LBB1321_10
; %bb.9:
	v_ashrrev_i32_e32 v1, 31, v0
	v_lshlrev_b64 v[7:8], 4, v[0:1]
	v_add_co_u32_e64 v7, s[0:1], v5, v7
	v_addc_co_u32_e64 v8, s[0:1], v6, v8, s[0:1]
	global_load_dwordx4 v[18:21], v[7:8], off
	v_cmp_ne_u32_e64 s[0:1], v3, v0
	s_waitcnt vmcnt(0)
	v_add_f64 v[16:17], v[16:17], -v[20:21]
	v_add_f64 v[14:15], v[14:15], -v[18:19]
	v_cndmask_b32_e64 v17, 0, v17, s[0:1]
	v_cndmask_b32_e64 v16, 0, v16, s[0:1]
	global_store_dwordx4 v[7:8], v[14:17], off
.LBB1321_10:
	s_or_b64 exec, exec, s[2:3]
	v_cmp_le_i32_e64 s[0:1], v2, v3
	s_and_b64 s[0:1], vcc, s[0:1]
	s_and_saveexec_b64 s[2:3], s[0:1]
	s_cbranch_execz .LBB1321_12
; %bb.11:
	v_ashrrev_i32_e32 v3, 31, v2
	v_lshlrev_b64 v[1:2], 4, v[2:3]
	v_add_co_u32_e32 v14, vcc, v5, v1
	v_addc_co_u32_e32 v15, vcc, v6, v2, vcc
	global_load_dwordx4 v[5:8], v[14:15], off
	v_cmp_ne_u32_e32 vcc, v4, v0
	s_waitcnt vmcnt(0)
	v_add_f64 v[7:8], v[10:11], -v[7:8]
	v_add_f64 v[1:2], v[12:13], -v[5:6]
	v_cndmask_b32_e32 v4, 0, v8, vcc
	v_cndmask_b32_e32 v3, 0, v7, vcc
	global_store_dwordx4 v[14:15], v[1:4], off
.LBB1321_12:
	s_endpgm
	.section	.rodata,"a",@progbits
	.p2align	6, 0x0
	.amdhsa_kernel _ZL37rocblas_syrkx_herkx_restricted_kernelIl19rocblas_complex_numIdELi16ELi32ELi8ELi1ELin1ELb1ELc67ELc85EKS1_S1_EviT_PT9_S3_lS5_S3_lPT10_S3_li
		.amdhsa_group_segment_fixed_size 8192
		.amdhsa_private_segment_fixed_size 0
		.amdhsa_kernarg_size 92
		.amdhsa_user_sgpr_count 6
		.amdhsa_user_sgpr_private_segment_buffer 1
		.amdhsa_user_sgpr_dispatch_ptr 0
		.amdhsa_user_sgpr_queue_ptr 0
		.amdhsa_user_sgpr_kernarg_segment_ptr 1
		.amdhsa_user_sgpr_dispatch_id 0
		.amdhsa_user_sgpr_flat_scratch_init 0
		.amdhsa_user_sgpr_private_segment_size 0
		.amdhsa_uses_dynamic_stack 0
		.amdhsa_system_sgpr_private_segment_wavefront_offset 0
		.amdhsa_system_sgpr_workgroup_id_x 1
		.amdhsa_system_sgpr_workgroup_id_y 1
		.amdhsa_system_sgpr_workgroup_id_z 1
		.amdhsa_system_sgpr_workgroup_info 0
		.amdhsa_system_vgpr_workitem_id 1
		.amdhsa_next_free_vgpr 52
		.amdhsa_next_free_sgpr 61
		.amdhsa_reserve_vcc 1
		.amdhsa_reserve_flat_scratch 0
		.amdhsa_float_round_mode_32 0
		.amdhsa_float_round_mode_16_64 0
		.amdhsa_float_denorm_mode_32 3
		.amdhsa_float_denorm_mode_16_64 3
		.amdhsa_dx10_clamp 1
		.amdhsa_ieee_mode 1
		.amdhsa_fp16_overflow 0
		.amdhsa_exception_fp_ieee_invalid_op 0
		.amdhsa_exception_fp_denorm_src 0
		.amdhsa_exception_fp_ieee_div_zero 0
		.amdhsa_exception_fp_ieee_overflow 0
		.amdhsa_exception_fp_ieee_underflow 0
		.amdhsa_exception_fp_ieee_inexact 0
		.amdhsa_exception_int_div_zero 0
	.end_amdhsa_kernel
	.section	.text._ZL37rocblas_syrkx_herkx_restricted_kernelIl19rocblas_complex_numIdELi16ELi32ELi8ELi1ELin1ELb1ELc67ELc85EKS1_S1_EviT_PT9_S3_lS5_S3_lPT10_S3_li,"axG",@progbits,_ZL37rocblas_syrkx_herkx_restricted_kernelIl19rocblas_complex_numIdELi16ELi32ELi8ELi1ELin1ELb1ELc67ELc85EKS1_S1_EviT_PT9_S3_lS5_S3_lPT10_S3_li,comdat
.Lfunc_end1321:
	.size	_ZL37rocblas_syrkx_herkx_restricted_kernelIl19rocblas_complex_numIdELi16ELi32ELi8ELi1ELin1ELb1ELc67ELc85EKS1_S1_EviT_PT9_S3_lS5_S3_lPT10_S3_li, .Lfunc_end1321-_ZL37rocblas_syrkx_herkx_restricted_kernelIl19rocblas_complex_numIdELi16ELi32ELi8ELi1ELin1ELb1ELc67ELc85EKS1_S1_EviT_PT9_S3_lS5_S3_lPT10_S3_li
                                        ; -- End function
	.set _ZL37rocblas_syrkx_herkx_restricted_kernelIl19rocblas_complex_numIdELi16ELi32ELi8ELi1ELin1ELb1ELc67ELc85EKS1_S1_EviT_PT9_S3_lS5_S3_lPT10_S3_li.num_vgpr, 52
	.set _ZL37rocblas_syrkx_herkx_restricted_kernelIl19rocblas_complex_numIdELi16ELi32ELi8ELi1ELin1ELb1ELc67ELc85EKS1_S1_EviT_PT9_S3_lS5_S3_lPT10_S3_li.num_agpr, 0
	.set _ZL37rocblas_syrkx_herkx_restricted_kernelIl19rocblas_complex_numIdELi16ELi32ELi8ELi1ELin1ELb1ELc67ELc85EKS1_S1_EviT_PT9_S3_lS5_S3_lPT10_S3_li.numbered_sgpr, 28
	.set _ZL37rocblas_syrkx_herkx_restricted_kernelIl19rocblas_complex_numIdELi16ELi32ELi8ELi1ELin1ELb1ELc67ELc85EKS1_S1_EviT_PT9_S3_lS5_S3_lPT10_S3_li.num_named_barrier, 0
	.set _ZL37rocblas_syrkx_herkx_restricted_kernelIl19rocblas_complex_numIdELi16ELi32ELi8ELi1ELin1ELb1ELc67ELc85EKS1_S1_EviT_PT9_S3_lS5_S3_lPT10_S3_li.private_seg_size, 0
	.set _ZL37rocblas_syrkx_herkx_restricted_kernelIl19rocblas_complex_numIdELi16ELi32ELi8ELi1ELin1ELb1ELc67ELc85EKS1_S1_EviT_PT9_S3_lS5_S3_lPT10_S3_li.uses_vcc, 1
	.set _ZL37rocblas_syrkx_herkx_restricted_kernelIl19rocblas_complex_numIdELi16ELi32ELi8ELi1ELin1ELb1ELc67ELc85EKS1_S1_EviT_PT9_S3_lS5_S3_lPT10_S3_li.uses_flat_scratch, 0
	.set _ZL37rocblas_syrkx_herkx_restricted_kernelIl19rocblas_complex_numIdELi16ELi32ELi8ELi1ELin1ELb1ELc67ELc85EKS1_S1_EviT_PT9_S3_lS5_S3_lPT10_S3_li.has_dyn_sized_stack, 0
	.set _ZL37rocblas_syrkx_herkx_restricted_kernelIl19rocblas_complex_numIdELi16ELi32ELi8ELi1ELin1ELb1ELc67ELc85EKS1_S1_EviT_PT9_S3_lS5_S3_lPT10_S3_li.has_recursion, 0
	.set _ZL37rocblas_syrkx_herkx_restricted_kernelIl19rocblas_complex_numIdELi16ELi32ELi8ELi1ELin1ELb1ELc67ELc85EKS1_S1_EviT_PT9_S3_lS5_S3_lPT10_S3_li.has_indirect_call, 0
	.section	.AMDGPU.csdata,"",@progbits
; Kernel info:
; codeLenInByte = 3044
; TotalNumSgprs: 32
; NumVgprs: 52
; ScratchSize: 0
; MemoryBound: 0
; FloatMode: 240
; IeeeMode: 1
; LDSByteSize: 8192 bytes/workgroup (compile time only)
; SGPRBlocks: 8
; VGPRBlocks: 12
; NumSGPRsForWavesPerEU: 65
; NumVGPRsForWavesPerEU: 52
; Occupancy: 4
; WaveLimiterHint : 1
; COMPUTE_PGM_RSRC2:SCRATCH_EN: 0
; COMPUTE_PGM_RSRC2:USER_SGPR: 6
; COMPUTE_PGM_RSRC2:TRAP_HANDLER: 0
; COMPUTE_PGM_RSRC2:TGID_X_EN: 1
; COMPUTE_PGM_RSRC2:TGID_Y_EN: 1
; COMPUTE_PGM_RSRC2:TGID_Z_EN: 1
; COMPUTE_PGM_RSRC2:TIDIG_COMP_CNT: 1
	.section	.text._ZL37rocblas_syrkx_herkx_restricted_kernelIl19rocblas_complex_numIdELi16ELi32ELi8ELi1ELin1ELb1ELc78ELc85EKS1_S1_EviT_PT9_S3_lS5_S3_lPT10_S3_li,"axG",@progbits,_ZL37rocblas_syrkx_herkx_restricted_kernelIl19rocblas_complex_numIdELi16ELi32ELi8ELi1ELin1ELb1ELc78ELc85EKS1_S1_EviT_PT9_S3_lS5_S3_lPT10_S3_li,comdat
	.globl	_ZL37rocblas_syrkx_herkx_restricted_kernelIl19rocblas_complex_numIdELi16ELi32ELi8ELi1ELin1ELb1ELc78ELc85EKS1_S1_EviT_PT9_S3_lS5_S3_lPT10_S3_li ; -- Begin function _ZL37rocblas_syrkx_herkx_restricted_kernelIl19rocblas_complex_numIdELi16ELi32ELi8ELi1ELin1ELb1ELc78ELc85EKS1_S1_EviT_PT9_S3_lS5_S3_lPT10_S3_li
	.p2align	8
	.type	_ZL37rocblas_syrkx_herkx_restricted_kernelIl19rocblas_complex_numIdELi16ELi32ELi8ELi1ELin1ELb1ELc78ELc85EKS1_S1_EviT_PT9_S3_lS5_S3_lPT10_S3_li,@function
_ZL37rocblas_syrkx_herkx_restricted_kernelIl19rocblas_complex_numIdELi16ELi32ELi8ELi1ELin1ELb1ELc78ELc85EKS1_S1_EviT_PT9_S3_lS5_S3_lPT10_S3_li: ; @_ZL37rocblas_syrkx_herkx_restricted_kernelIl19rocblas_complex_numIdELi16ELi32ELi8ELi1ELin1ELb1ELc78ELc85EKS1_S1_EviT_PT9_S3_lS5_S3_lPT10_S3_li
; %bb.0:
	s_load_dwordx16 s[12:27], s[4:5], 0x8
	s_lshl_b32 s9, s6, 5
	s_lshl_b32 s10, s7, 5
	s_waitcnt lgkmcnt(0)
	v_cmp_lt_i64_e64 s[0:1], s[12:13], 1
	s_and_b64 vcc, exec, s[0:1]
	s_cbranch_vccnz .LBB1322_3
; %bb.1:
	v_lshl_add_u32 v7, v1, 4, v0
	v_lshrrev_b32_e32 v8, 3, v7
	v_add_u32_e32 v2, s10, v8
	v_and_b32_e32 v6, 7, v0
	v_ashrrev_i32_e32 v3, 31, v2
	v_mad_u64_u32 v[4:5], s[0:1], s22, v6, v[2:3]
	v_lshrrev_b32_e32 v9, 5, v7
	s_mul_i32 s2, s19, s8
	v_mov_b32_e32 v2, v5
	v_mad_u64_u32 v[2:3], s[0:1], s23, v6, v[2:3]
	v_and_b32_e32 v3, 31, v7
	v_lshlrev_b32_e32 v7, 4, v3
	v_mov_b32_e32 v5, v2
	v_lshlrev_b32_e32 v2, 4, v6
	v_lshl_or_b32 v2, v8, 7, v2
	v_add_u32_e32 v23, 0x1000, v2
	v_add_u32_e32 v2, s9, v3
	v_ashrrev_i32_e32 v3, 31, v2
	v_mad_u64_u32 v[2:3], s[0:1], s16, v9, v[2:3]
	v_mov_b32_e32 v6, 0x1000
	v_lshl_or_b32 v22, v9, 9, v7
	v_lshl_add_u32 v25, v1, 7, v6
	v_mad_u64_u32 v[6:7], s[0:1], s17, v9, v[3:4]
	s_mul_hi_u32 s3, s18, s8
	s_add_i32 s1, s3, s2
	s_mul_i32 s0, s18, s8
	s_lshl_b64 s[0:1], s[0:1], 4
	v_mov_b32_e32 v3, v6
	v_lshlrev_b64 v[2:3], 4, v[2:3]
	s_add_u32 s0, s14, s0
	s_addc_u32 s1, s15, s1
	s_mul_i32 s2, s25, s8
	s_mul_hi_u32 s3, s24, s8
	v_mov_b32_e32 v6, s1
	v_add_co_u32_e32 v2, vcc, s0, v2
	s_add_i32 s3, s3, s2
	s_mul_i32 s2, s24, s8
	v_addc_co_u32_e32 v3, vcc, v6, v3, vcc
	s_lshl_b64 s[0:1], s[16:17], 7
	s_lshl_b64 s[2:3], s[2:3], 4
	v_add_co_u32_e32 v2, vcc, 8, v2
	v_lshlrev_b64 v[4:5], 4, v[4:5]
	s_add_u32 s2, s20, s2
	v_addc_co_u32_e32 v3, vcc, 0, v3, vcc
	s_addc_u32 s3, s21, s3
	v_mov_b32_e32 v6, s3
	v_add_co_u32_e32 v4, vcc, s2, v4
	v_addc_co_u32_e32 v5, vcc, v6, v5, vcc
	v_add_co_u32_e32 v4, vcc, 8, v4
	s_lshl_b64 s[2:3], s[22:23], 7
	v_mov_b32_e32 v10, 0
	v_mov_b32_e32 v12, 0
	;; [unrolled: 1-line block ×8, first 2 shown]
	v_lshlrev_b32_e32 v24, 4, v0
	v_addc_co_u32_e32 v5, vcc, 0, v5, vcc
	v_mov_b32_e32 v11, 0
	s_mov_b64 s[6:7], 0
	v_mov_b32_e32 v26, s1
	v_mov_b32_e32 v13, 0
	;; [unrolled: 1-line block ×9, first 2 shown]
.LBB1322_2:                             ; =>This Inner Loop Header: Depth=1
	global_load_dwordx4 v[28:31], v[2:3], off offset:-8
	s_add_u32 s6, s6, 8
	v_add_co_u32_e32 v2, vcc, s0, v2
	s_addc_u32 s7, s7, 0
	v_addc_co_u32_e32 v3, vcc, v3, v26, vcc
	s_waitcnt vmcnt(0)
	ds_write_b128 v22, v[28:31]
	global_load_dwordx4 v[28:31], v[4:5], off offset:-8
	v_add_co_u32_e32 v4, vcc, s2, v4
	v_addc_co_u32_e32 v5, vcc, v5, v27, vcc
	s_waitcnt vmcnt(0)
	v_xor_b32_e32 v31, 0x80000000, v31
	ds_write_b128 v23, v[28:31]
	s_waitcnt lgkmcnt(0)
	s_barrier
	ds_read_b128 v[28:31], v25
	ds_read_b128 v[32:35], v25 offset:16
	ds_read_b128 v[36:39], v25 offset:32
	;; [unrolled: 1-line block ×3, first 2 shown]
	ds_read_b128 v[44:47], v24
	s_waitcnt lgkmcnt(0)
	v_mul_f64 v[48:49], v[30:31], v[46:47]
	v_mul_f64 v[50:51], v[28:29], v[46:47]
	v_fma_f64 v[48:49], v[28:29], v[44:45], -v[48:49]
	v_fma_f64 v[50:51], v[30:31], v[44:45], v[50:51]
	v_add_f64 v[48:49], v[18:19], v[48:49]
	v_add_f64 v[50:51], v[50:51], v[20:21]
	ds_read_b128 v[18:21], v24 offset:256
	s_waitcnt lgkmcnt(0)
	v_mul_f64 v[52:53], v[30:31], v[20:21]
	v_fma_f64 v[52:53], v[28:29], v[18:19], -v[52:53]
	v_mul_f64 v[28:29], v[28:29], v[20:21]
	v_fma_f64 v[28:29], v[30:31], v[18:19], v[28:29]
	v_add_f64 v[30:31], v[6:7], v[52:53]
	v_add_f64 v[28:29], v[28:29], v[8:9]
	ds_read_b128 v[6:9], v25 offset:2048
	s_waitcnt lgkmcnt(0)
	v_mul_f64 v[52:53], v[8:9], v[46:47]
	v_mul_f64 v[46:47], v[6:7], v[46:47]
	v_fma_f64 v[52:53], v[6:7], v[44:45], -v[52:53]
	v_fma_f64 v[44:45], v[8:9], v[44:45], v[46:47]
	v_add_f64 v[46:47], v[14:15], v[52:53]
	v_mul_f64 v[14:15], v[8:9], v[20:21]
	v_add_f64 v[44:45], v[44:45], v[16:17]
	v_fma_f64 v[14:15], v[6:7], v[18:19], -v[14:15]
	v_mul_f64 v[6:7], v[6:7], v[20:21]
	v_fma_f64 v[6:7], v[8:9], v[18:19], v[6:7]
	v_add_f64 v[18:19], v[12:13], v[14:15]
	v_add_f64 v[20:21], v[6:7], v[10:11]
	ds_read_b128 v[6:9], v24 offset:512
	s_waitcnt lgkmcnt(0)
	v_mul_f64 v[10:11], v[34:35], v[8:9]
	v_mul_f64 v[12:13], v[32:33], v[8:9]
	v_fma_f64 v[10:11], v[32:33], v[6:7], -v[10:11]
	v_fma_f64 v[12:13], v[34:35], v[6:7], v[12:13]
	v_add_f64 v[48:49], v[48:49], v[10:11]
	v_add_f64 v[50:51], v[12:13], v[50:51]
	ds_read_b128 v[10:13], v24 offset:768
	s_waitcnt lgkmcnt(0)
	v_mul_f64 v[14:15], v[34:35], v[12:13]
	v_mul_f64 v[16:17], v[32:33], v[12:13]
	v_fma_f64 v[14:15], v[32:33], v[10:11], -v[14:15]
	;; [unrolled: 8-line block ×3, first 2 shown]
	v_fma_f64 v[6:7], v[16:17], v[6:7], v[8:9]
	v_mul_f64 v[8:9], v[14:15], v[12:13]
	v_add_f64 v[32:33], v[46:47], v[32:33]
	v_add_f64 v[34:35], v[6:7], v[44:45]
	v_mul_f64 v[6:7], v[16:17], v[12:13]
	v_fma_f64 v[8:9], v[16:17], v[10:11], v[8:9]
	v_fma_f64 v[6:7], v[14:15], v[10:11], -v[6:7]
	v_add_f64 v[20:21], v[8:9], v[20:21]
	v_add_f64 v[18:19], v[18:19], v[6:7]
	ds_read_b128 v[6:9], v24 offset:1024
	s_waitcnt lgkmcnt(0)
	v_mul_f64 v[10:11], v[38:39], v[8:9]
	v_mul_f64 v[12:13], v[36:37], v[8:9]
	v_fma_f64 v[10:11], v[36:37], v[6:7], -v[10:11]
	v_fma_f64 v[12:13], v[38:39], v[6:7], v[12:13]
	v_add_f64 v[44:45], v[48:49], v[10:11]
	v_add_f64 v[46:47], v[12:13], v[50:51]
	ds_read_b128 v[10:13], v24 offset:1280
	s_waitcnt lgkmcnt(0)
	v_mul_f64 v[14:15], v[38:39], v[12:13]
	v_mul_f64 v[16:17], v[36:37], v[12:13]
	v_fma_f64 v[14:15], v[36:37], v[10:11], -v[14:15]
	v_fma_f64 v[16:17], v[38:39], v[10:11], v[16:17]
	;; [unrolled: 8-line block ×3, first 2 shown]
	v_mul_f64 v[8:9], v[14:15], v[12:13]
	v_add_f64 v[32:33], v[32:33], v[36:37]
	v_add_f64 v[34:35], v[6:7], v[34:35]
	v_mul_f64 v[6:7], v[16:17], v[12:13]
	v_fma_f64 v[8:9], v[16:17], v[10:11], v[8:9]
	v_fma_f64 v[6:7], v[14:15], v[10:11], -v[6:7]
	v_add_f64 v[20:21], v[8:9], v[20:21]
	v_add_f64 v[18:19], v[18:19], v[6:7]
	ds_read_b128 v[6:9], v24 offset:1536
	s_waitcnt lgkmcnt(0)
	v_mul_f64 v[10:11], v[42:43], v[8:9]
	v_mul_f64 v[12:13], v[40:41], v[8:9]
	v_fma_f64 v[10:11], v[40:41], v[6:7], -v[10:11]
	v_fma_f64 v[12:13], v[42:43], v[6:7], v[12:13]
	v_add_f64 v[36:37], v[44:45], v[10:11]
	v_add_f64 v[38:39], v[12:13], v[46:47]
	ds_read_b128 v[10:13], v24 offset:1792
	s_waitcnt lgkmcnt(0)
	v_mul_f64 v[14:15], v[42:43], v[12:13]
	v_mul_f64 v[16:17], v[40:41], v[12:13]
	v_fma_f64 v[14:15], v[40:41], v[10:11], -v[14:15]
	v_fma_f64 v[16:17], v[42:43], v[10:11], v[16:17]
	v_add_f64 v[30:31], v[30:31], v[14:15]
	v_add_f64 v[28:29], v[16:17], v[28:29]
	ds_read_b128 v[14:17], v25 offset:2096
	s_waitcnt lgkmcnt(0)
	v_mul_f64 v[40:41], v[16:17], v[8:9]
	v_mul_f64 v[8:9], v[14:15], v[8:9]
	v_fma_f64 v[40:41], v[14:15], v[6:7], -v[40:41]
	v_fma_f64 v[6:7], v[16:17], v[6:7], v[8:9]
	v_mul_f64 v[8:9], v[14:15], v[12:13]
	v_add_f64 v[32:33], v[32:33], v[40:41]
	v_add_f64 v[34:35], v[6:7], v[34:35]
	v_mul_f64 v[6:7], v[16:17], v[12:13]
	v_fma_f64 v[8:9], v[16:17], v[10:11], v[8:9]
	v_fma_f64 v[6:7], v[14:15], v[10:11], -v[6:7]
	v_add_f64 v[20:21], v[8:9], v[20:21]
	v_add_f64 v[18:19], v[18:19], v[6:7]
	ds_read_b128 v[6:9], v25 offset:64
	ds_read_b128 v[10:13], v24 offset:2048
	s_waitcnt lgkmcnt(0)
	v_mul_f64 v[14:15], v[8:9], v[12:13]
	v_mul_f64 v[16:17], v[6:7], v[12:13]
	v_fma_f64 v[14:15], v[6:7], v[10:11], -v[14:15]
	v_fma_f64 v[16:17], v[8:9], v[10:11], v[16:17]
	v_add_f64 v[36:37], v[36:37], v[14:15]
	v_add_f64 v[38:39], v[16:17], v[38:39]
	ds_read_b128 v[14:17], v24 offset:2304
	s_waitcnt lgkmcnt(0)
	v_mul_f64 v[40:41], v[8:9], v[16:17]
	v_fma_f64 v[40:41], v[6:7], v[14:15], -v[40:41]
	v_mul_f64 v[6:7], v[6:7], v[16:17]
	v_add_f64 v[30:31], v[30:31], v[40:41]
	v_fma_f64 v[6:7], v[8:9], v[14:15], v[6:7]
	v_add_f64 v[28:29], v[6:7], v[28:29]
	ds_read_b128 v[6:9], v25 offset:2112
	s_waitcnt lgkmcnt(0)
	v_mul_f64 v[40:41], v[8:9], v[12:13]
	v_mul_f64 v[12:13], v[6:7], v[12:13]
	v_fma_f64 v[40:41], v[6:7], v[10:11], -v[40:41]
	v_fma_f64 v[10:11], v[8:9], v[10:11], v[12:13]
	v_add_f64 v[32:33], v[32:33], v[40:41]
	v_add_f64 v[34:35], v[10:11], v[34:35]
	v_mul_f64 v[10:11], v[8:9], v[16:17]
	v_fma_f64 v[10:11], v[6:7], v[14:15], -v[10:11]
	v_mul_f64 v[6:7], v[6:7], v[16:17]
	v_add_f64 v[18:19], v[18:19], v[10:11]
	v_fma_f64 v[6:7], v[8:9], v[14:15], v[6:7]
	v_add_f64 v[20:21], v[6:7], v[20:21]
	ds_read_b128 v[6:9], v25 offset:80
	ds_read_b128 v[10:13], v24 offset:2560
	s_waitcnt lgkmcnt(0)
	v_mul_f64 v[14:15], v[8:9], v[12:13]
	v_mul_f64 v[16:17], v[6:7], v[12:13]
	v_fma_f64 v[14:15], v[6:7], v[10:11], -v[14:15]
	v_fma_f64 v[16:17], v[8:9], v[10:11], v[16:17]
	v_add_f64 v[36:37], v[36:37], v[14:15]
	v_add_f64 v[38:39], v[16:17], v[38:39]
	ds_read_b128 v[14:17], v24 offset:2816
	s_waitcnt lgkmcnt(0)
	v_mul_f64 v[40:41], v[8:9], v[16:17]
	v_fma_f64 v[40:41], v[6:7], v[14:15], -v[40:41]
	v_mul_f64 v[6:7], v[6:7], v[16:17]
	v_add_f64 v[30:31], v[30:31], v[40:41]
	v_fma_f64 v[6:7], v[8:9], v[14:15], v[6:7]
	v_add_f64 v[28:29], v[6:7], v[28:29]
	ds_read_b128 v[6:9], v25 offset:2128
	s_waitcnt lgkmcnt(0)
	v_mul_f64 v[40:41], v[8:9], v[12:13]
	v_mul_f64 v[12:13], v[6:7], v[12:13]
	v_fma_f64 v[40:41], v[6:7], v[10:11], -v[40:41]
	v_fma_f64 v[10:11], v[8:9], v[10:11], v[12:13]
	v_add_f64 v[32:33], v[32:33], v[40:41]
	v_add_f64 v[34:35], v[10:11], v[34:35]
	v_mul_f64 v[10:11], v[8:9], v[16:17]
	v_fma_f64 v[10:11], v[6:7], v[14:15], -v[10:11]
	v_mul_f64 v[6:7], v[6:7], v[16:17]
	v_add_f64 v[18:19], v[18:19], v[10:11]
	v_fma_f64 v[6:7], v[8:9], v[14:15], v[6:7]
	;; [unrolled: 31-line block ×3, first 2 shown]
	v_add_f64 v[50:51], v[6:7], v[20:21]
	ds_read_b128 v[6:9], v25 offset:112
	ds_read_b128 v[10:13], v24 offset:3584
	;; [unrolled: 1-line block ×4, first 2 shown]
	s_waitcnt lgkmcnt(0)
	s_barrier
	v_mul_f64 v[14:15], v[8:9], v[12:13]
	v_mul_f64 v[16:17], v[6:7], v[12:13]
	v_fma_f64 v[14:15], v[6:7], v[10:11], -v[14:15]
	v_fma_f64 v[16:17], v[8:9], v[10:11], v[16:17]
	v_add_f64 v[18:19], v[36:37], v[14:15]
	v_mul_f64 v[14:15], v[8:9], v[30:31]
	v_add_f64 v[20:21], v[16:17], v[38:39]
	v_fma_f64 v[14:15], v[6:7], v[28:29], -v[14:15]
	v_mul_f64 v[6:7], v[6:7], v[30:31]
	v_fma_f64 v[8:9], v[8:9], v[28:29], v[6:7]
	v_add_f64 v[6:7], v[40:41], v[14:15]
	v_mul_f64 v[14:15], v[34:35], v[12:13]
	v_mul_f64 v[12:13], v[32:33], v[12:13]
	v_add_f64 v[8:9], v[8:9], v[42:43]
	v_fma_f64 v[14:15], v[32:33], v[10:11], -v[14:15]
	v_fma_f64 v[10:11], v[34:35], v[10:11], v[12:13]
	v_mul_f64 v[12:13], v[32:33], v[30:31]
	v_add_f64 v[14:15], v[44:45], v[14:15]
	v_add_f64 v[16:17], v[10:11], v[46:47]
	v_mul_f64 v[10:11], v[34:35], v[30:31]
	v_fma_f64 v[10:11], v[32:33], v[28:29], -v[10:11]
	v_fma_f64 v[28:29], v[34:35], v[28:29], v[12:13]
	v_add_f64 v[12:13], v[48:49], v[10:11]
	v_add_f64 v[10:11], v[28:29], v[50:51]
	v_mov_b32_e32 v29, s7
	v_mov_b32_e32 v28, s6
	v_cmp_le_u64_e32 vcc, s[12:13], v[28:29]
	s_cbranch_vccz .LBB1322_2
	s_branch .LBB1322_4
.LBB1322_3:
	v_mov_b32_e32 v18, 0
	v_mov_b32_e32 v20, 0
	;; [unrolled: 1-line block ×16, first 2 shown]
.LBB1322_4:
	s_load_dwordx4 s[12:15], s[4:5], 0x48
	s_load_dword s6, s[4:5], 0x0
	v_add_u32_e32 v4, s10, v1
	v_ashrrev_i32_e32 v1, 31, v4
	v_add_u32_e32 v0, s9, v0
	s_waitcnt lgkmcnt(0)
	s_mul_i32 s1, s15, s8
	s_mul_hi_u32 s2, s14, s8
	s_add_i32 s1, s2, s1
	v_mul_lo_u32 v3, s12, v1
	v_mul_lo_u32 v5, s13, v4
	v_mad_u64_u32 v[1:2], s[2:3], s12, v4, 0
	s_mul_i32 s0, s14, s8
	s_lshl_b64 s[0:1], s[0:1], 4
	v_add3_u32 v2, v2, v3, v5
	s_add_u32 s4, s26, s0
	v_lshlrev_b64 v[1:2], 4, v[1:2]
	s_addc_u32 s5, s27, s1
	v_mov_b32_e32 v3, s5
	v_add_co_u32_e64 v5, s[0:1], s4, v1
	v_addc_co_u32_e64 v22, s[0:1], v3, v2, s[0:1]
	v_cmp_gt_i32_e32 vcc, s6, v4
	v_cmp_le_i32_e64 s[0:1], v0, v4
	s_and_b64 s[0:1], vcc, s[0:1]
	s_and_saveexec_b64 s[2:3], s[0:1]
	s_cbranch_execz .LBB1322_6
; %bb.5:
	v_ashrrev_i32_e32 v1, 31, v0
	v_lshlrev_b64 v[1:2], 4, v[0:1]
	v_add_co_u32_e64 v1, s[0:1], v5, v1
	v_addc_co_u32_e64 v2, s[0:1], v22, v2, s[0:1]
	global_load_dwordx4 v[23:26], v[1:2], off
	v_cmp_ne_u32_e64 s[0:1], v4, v0
	s_waitcnt vmcnt(0)
	v_add_f64 v[20:21], v[20:21], -v[25:26]
	v_add_f64 v[18:19], v[18:19], -v[23:24]
	v_cndmask_b32_e64 v21, 0, v21, s[0:1]
	v_cndmask_b32_e64 v20, 0, v20, s[0:1]
	global_store_dwordx4 v[1:2], v[18:21], off
.LBB1322_6:
	s_or_b64 exec, exec, s[2:3]
	v_add_u32_e32 v2, 16, v0
	v_cmp_le_i32_e64 s[0:1], v2, v4
	s_and_b64 s[2:3], vcc, s[0:1]
	s_and_saveexec_b64 s[0:1], s[2:3]
	s_cbranch_execz .LBB1322_8
; %bb.7:
	v_ashrrev_i32_e32 v3, 31, v2
	v_lshlrev_b64 v[18:19], 4, v[2:3]
	v_add_co_u32_e32 v23, vcc, v5, v18
	v_addc_co_u32_e32 v24, vcc, v22, v19, vcc
	global_load_dwordx4 v[18:21], v[23:24], off
	v_cmp_ne_u32_e32 vcc, v4, v2
	s_waitcnt vmcnt(0)
	v_add_f64 v[20:21], v[8:9], -v[20:21]
	v_add_f64 v[5:6], v[6:7], -v[18:19]
	v_cndmask_b32_e32 v8, 0, v21, vcc
	v_cndmask_b32_e32 v7, 0, v20, vcc
	global_store_dwordx4 v[23:24], v[5:8], off
.LBB1322_8:
	s_or_b64 exec, exec, s[0:1]
	v_add_u32_e32 v3, 16, v4
	v_ashrrev_i32_e32 v1, 31, v3
	v_mul_lo_u32 v1, s12, v1
	v_mul_lo_u32 v7, s13, v3
	v_mad_u64_u32 v[5:6], s[0:1], s12, v3, 0
	v_cmp_gt_i32_e32 vcc, s6, v3
	v_add3_u32 v6, v6, v1, v7
	v_lshlrev_b64 v[5:6], 4, v[5:6]
	v_mov_b32_e32 v1, s5
	v_add_co_u32_e64 v5, s[0:1], s4, v5
	v_addc_co_u32_e64 v6, s[0:1], v1, v6, s[0:1]
	v_cmp_le_i32_e64 s[0:1], v0, v3
	s_and_b64 s[0:1], vcc, s[0:1]
	s_and_saveexec_b64 s[2:3], s[0:1]
	s_cbranch_execz .LBB1322_10
; %bb.9:
	v_ashrrev_i32_e32 v1, 31, v0
	v_lshlrev_b64 v[7:8], 4, v[0:1]
	v_add_co_u32_e64 v7, s[0:1], v5, v7
	v_addc_co_u32_e64 v8, s[0:1], v6, v8, s[0:1]
	global_load_dwordx4 v[18:21], v[7:8], off
	v_cmp_ne_u32_e64 s[0:1], v3, v0
	s_waitcnt vmcnt(0)
	v_add_f64 v[16:17], v[16:17], -v[20:21]
	v_add_f64 v[14:15], v[14:15], -v[18:19]
	v_cndmask_b32_e64 v17, 0, v17, s[0:1]
	v_cndmask_b32_e64 v16, 0, v16, s[0:1]
	global_store_dwordx4 v[7:8], v[14:17], off
.LBB1322_10:
	s_or_b64 exec, exec, s[2:3]
	v_cmp_le_i32_e64 s[0:1], v2, v3
	s_and_b64 s[0:1], vcc, s[0:1]
	s_and_saveexec_b64 s[2:3], s[0:1]
	s_cbranch_execz .LBB1322_12
; %bb.11:
	v_ashrrev_i32_e32 v3, 31, v2
	v_lshlrev_b64 v[1:2], 4, v[2:3]
	v_add_co_u32_e32 v14, vcc, v5, v1
	v_addc_co_u32_e32 v15, vcc, v6, v2, vcc
	global_load_dwordx4 v[5:8], v[14:15], off
	v_cmp_ne_u32_e32 vcc, v4, v0
	s_waitcnt vmcnt(0)
	v_add_f64 v[7:8], v[10:11], -v[7:8]
	v_add_f64 v[1:2], v[12:13], -v[5:6]
	v_cndmask_b32_e32 v4, 0, v8, vcc
	v_cndmask_b32_e32 v3, 0, v7, vcc
	global_store_dwordx4 v[14:15], v[1:4], off
.LBB1322_12:
	s_endpgm
	.section	.rodata,"a",@progbits
	.p2align	6, 0x0
	.amdhsa_kernel _ZL37rocblas_syrkx_herkx_restricted_kernelIl19rocblas_complex_numIdELi16ELi32ELi8ELi1ELin1ELb1ELc78ELc85EKS1_S1_EviT_PT9_S3_lS5_S3_lPT10_S3_li
		.amdhsa_group_segment_fixed_size 8192
		.amdhsa_private_segment_fixed_size 0
		.amdhsa_kernarg_size 92
		.amdhsa_user_sgpr_count 6
		.amdhsa_user_sgpr_private_segment_buffer 1
		.amdhsa_user_sgpr_dispatch_ptr 0
		.amdhsa_user_sgpr_queue_ptr 0
		.amdhsa_user_sgpr_kernarg_segment_ptr 1
		.amdhsa_user_sgpr_dispatch_id 0
		.amdhsa_user_sgpr_flat_scratch_init 0
		.amdhsa_user_sgpr_private_segment_size 0
		.amdhsa_uses_dynamic_stack 0
		.amdhsa_system_sgpr_private_segment_wavefront_offset 0
		.amdhsa_system_sgpr_workgroup_id_x 1
		.amdhsa_system_sgpr_workgroup_id_y 1
		.amdhsa_system_sgpr_workgroup_id_z 1
		.amdhsa_system_sgpr_workgroup_info 0
		.amdhsa_system_vgpr_workitem_id 1
		.amdhsa_next_free_vgpr 54
		.amdhsa_next_free_sgpr 61
		.amdhsa_reserve_vcc 1
		.amdhsa_reserve_flat_scratch 0
		.amdhsa_float_round_mode_32 0
		.amdhsa_float_round_mode_16_64 0
		.amdhsa_float_denorm_mode_32 3
		.amdhsa_float_denorm_mode_16_64 3
		.amdhsa_dx10_clamp 1
		.amdhsa_ieee_mode 1
		.amdhsa_fp16_overflow 0
		.amdhsa_exception_fp_ieee_invalid_op 0
		.amdhsa_exception_fp_denorm_src 0
		.amdhsa_exception_fp_ieee_div_zero 0
		.amdhsa_exception_fp_ieee_overflow 0
		.amdhsa_exception_fp_ieee_underflow 0
		.amdhsa_exception_fp_ieee_inexact 0
		.amdhsa_exception_int_div_zero 0
	.end_amdhsa_kernel
	.section	.text._ZL37rocblas_syrkx_herkx_restricted_kernelIl19rocblas_complex_numIdELi16ELi32ELi8ELi1ELin1ELb1ELc78ELc85EKS1_S1_EviT_PT9_S3_lS5_S3_lPT10_S3_li,"axG",@progbits,_ZL37rocblas_syrkx_herkx_restricted_kernelIl19rocblas_complex_numIdELi16ELi32ELi8ELi1ELin1ELb1ELc78ELc85EKS1_S1_EviT_PT9_S3_lS5_S3_lPT10_S3_li,comdat
.Lfunc_end1322:
	.size	_ZL37rocblas_syrkx_herkx_restricted_kernelIl19rocblas_complex_numIdELi16ELi32ELi8ELi1ELin1ELb1ELc78ELc85EKS1_S1_EviT_PT9_S3_lS5_S3_lPT10_S3_li, .Lfunc_end1322-_ZL37rocblas_syrkx_herkx_restricted_kernelIl19rocblas_complex_numIdELi16ELi32ELi8ELi1ELin1ELb1ELc78ELc85EKS1_S1_EviT_PT9_S3_lS5_S3_lPT10_S3_li
                                        ; -- End function
	.set _ZL37rocblas_syrkx_herkx_restricted_kernelIl19rocblas_complex_numIdELi16ELi32ELi8ELi1ELin1ELb1ELc78ELc85EKS1_S1_EviT_PT9_S3_lS5_S3_lPT10_S3_li.num_vgpr, 54
	.set _ZL37rocblas_syrkx_herkx_restricted_kernelIl19rocblas_complex_numIdELi16ELi32ELi8ELi1ELin1ELb1ELc78ELc85EKS1_S1_EviT_PT9_S3_lS5_S3_lPT10_S3_li.num_agpr, 0
	.set _ZL37rocblas_syrkx_herkx_restricted_kernelIl19rocblas_complex_numIdELi16ELi32ELi8ELi1ELin1ELb1ELc78ELc85EKS1_S1_EviT_PT9_S3_lS5_S3_lPT10_S3_li.numbered_sgpr, 28
	.set _ZL37rocblas_syrkx_herkx_restricted_kernelIl19rocblas_complex_numIdELi16ELi32ELi8ELi1ELin1ELb1ELc78ELc85EKS1_S1_EviT_PT9_S3_lS5_S3_lPT10_S3_li.num_named_barrier, 0
	.set _ZL37rocblas_syrkx_herkx_restricted_kernelIl19rocblas_complex_numIdELi16ELi32ELi8ELi1ELin1ELb1ELc78ELc85EKS1_S1_EviT_PT9_S3_lS5_S3_lPT10_S3_li.private_seg_size, 0
	.set _ZL37rocblas_syrkx_herkx_restricted_kernelIl19rocblas_complex_numIdELi16ELi32ELi8ELi1ELin1ELb1ELc78ELc85EKS1_S1_EviT_PT9_S3_lS5_S3_lPT10_S3_li.uses_vcc, 1
	.set _ZL37rocblas_syrkx_herkx_restricted_kernelIl19rocblas_complex_numIdELi16ELi32ELi8ELi1ELin1ELb1ELc78ELc85EKS1_S1_EviT_PT9_S3_lS5_S3_lPT10_S3_li.uses_flat_scratch, 0
	.set _ZL37rocblas_syrkx_herkx_restricted_kernelIl19rocblas_complex_numIdELi16ELi32ELi8ELi1ELin1ELb1ELc78ELc85EKS1_S1_EviT_PT9_S3_lS5_S3_lPT10_S3_li.has_dyn_sized_stack, 0
	.set _ZL37rocblas_syrkx_herkx_restricted_kernelIl19rocblas_complex_numIdELi16ELi32ELi8ELi1ELin1ELb1ELc78ELc85EKS1_S1_EviT_PT9_S3_lS5_S3_lPT10_S3_li.has_recursion, 0
	.set _ZL37rocblas_syrkx_herkx_restricted_kernelIl19rocblas_complex_numIdELi16ELi32ELi8ELi1ELin1ELb1ELc78ELc85EKS1_S1_EviT_PT9_S3_lS5_S3_lPT10_S3_li.has_indirect_call, 0
	.section	.AMDGPU.csdata,"",@progbits
; Kernel info:
; codeLenInByte = 3024
; TotalNumSgprs: 32
; NumVgprs: 54
; ScratchSize: 0
; MemoryBound: 0
; FloatMode: 240
; IeeeMode: 1
; LDSByteSize: 8192 bytes/workgroup (compile time only)
; SGPRBlocks: 8
; VGPRBlocks: 13
; NumSGPRsForWavesPerEU: 65
; NumVGPRsForWavesPerEU: 54
; Occupancy: 4
; WaveLimiterHint : 1
; COMPUTE_PGM_RSRC2:SCRATCH_EN: 0
; COMPUTE_PGM_RSRC2:USER_SGPR: 6
; COMPUTE_PGM_RSRC2:TRAP_HANDLER: 0
; COMPUTE_PGM_RSRC2:TGID_X_EN: 1
; COMPUTE_PGM_RSRC2:TGID_Y_EN: 1
; COMPUTE_PGM_RSRC2:TGID_Z_EN: 1
; COMPUTE_PGM_RSRC2:TIDIG_COMP_CNT: 1
	.section	.text._ZL37rocblas_syrkx_herkx_restricted_kernelIl19rocblas_complex_numIdELi16ELi32ELi8ELi1ELi0ELb1ELc84ELc76EKS1_S1_EviT_PT9_S3_lS5_S3_lPT10_S3_li,"axG",@progbits,_ZL37rocblas_syrkx_herkx_restricted_kernelIl19rocblas_complex_numIdELi16ELi32ELi8ELi1ELi0ELb1ELc84ELc76EKS1_S1_EviT_PT9_S3_lS5_S3_lPT10_S3_li,comdat
	.globl	_ZL37rocblas_syrkx_herkx_restricted_kernelIl19rocblas_complex_numIdELi16ELi32ELi8ELi1ELi0ELb1ELc84ELc76EKS1_S1_EviT_PT9_S3_lS5_S3_lPT10_S3_li ; -- Begin function _ZL37rocblas_syrkx_herkx_restricted_kernelIl19rocblas_complex_numIdELi16ELi32ELi8ELi1ELi0ELb1ELc84ELc76EKS1_S1_EviT_PT9_S3_lS5_S3_lPT10_S3_li
	.p2align	8
	.type	_ZL37rocblas_syrkx_herkx_restricted_kernelIl19rocblas_complex_numIdELi16ELi32ELi8ELi1ELi0ELb1ELc84ELc76EKS1_S1_EviT_PT9_S3_lS5_S3_lPT10_S3_li,@function
_ZL37rocblas_syrkx_herkx_restricted_kernelIl19rocblas_complex_numIdELi16ELi32ELi8ELi1ELi0ELb1ELc84ELc76EKS1_S1_EviT_PT9_S3_lS5_S3_lPT10_S3_li: ; @_ZL37rocblas_syrkx_herkx_restricted_kernelIl19rocblas_complex_numIdELi16ELi32ELi8ELi1ELi0ELb1ELc84ELc76EKS1_S1_EviT_PT9_S3_lS5_S3_lPT10_S3_li
; %bb.0:
	s_load_dwordx16 s[12:27], s[4:5], 0x8
	s_lshl_b32 s2, s6, 5
	s_lshl_b32 s3, s7, 5
	s_waitcnt lgkmcnt(0)
	v_cmp_lt_i64_e64 s[0:1], s[12:13], 1
	s_and_b64 vcc, exec, s[0:1]
	s_cbranch_vccnz .LBB1323_3
; %bb.1:
	v_lshl_add_u32 v4, v1, 4, v0
	v_lshrrev_b32_e32 v8, 3, v4
	v_add_u32_e32 v5, s3, v8
	v_ashrrev_i32_e32 v6, 31, v5
	v_and_b32_e32 v2, 7, v0
	v_mov_b32_e32 v3, 0
	v_mul_lo_u32 v9, s22, v6
	v_mul_lo_u32 v10, s23, v5
	v_mad_u64_u32 v[6:7], s[0:1], s22, v5, v[2:3]
	v_lshlrev_b32_e32 v2, 4, v2
	v_lshl_or_b32 v2, v8, 7, v2
	v_add3_u32 v7, v10, v7, v9
	v_and_b32_e32 v9, 31, v4
	v_add_u32_e32 v23, 0x1000, v2
	v_mov_b32_e32 v2, 0x1000
	v_add_u32_e32 v8, s2, v9
	v_lshrrev_b32_e32 v4, 5, v4
	v_mov_b32_e32 v5, v3
	v_lshlrev_b32_e32 v3, 4, v9
	v_lshl_add_u32 v25, v1, 7, v2
	v_ashrrev_i32_e32 v2, 31, v8
	v_lshl_or_b32 v22, v4, 9, v3
	v_mul_lo_u32 v9, s16, v2
	v_mad_u64_u32 v[2:3], s[0:1], s16, v8, v[4:5]
	v_mul_lo_u32 v4, s17, v8
	s_mul_i32 s6, s19, s8
	s_mul_hi_u32 s7, s18, s8
	s_add_i32 s1, s7, s6
	s_mul_i32 s0, s18, s8
	s_lshl_b64 s[0:1], s[0:1], 4
	v_add3_u32 v3, v4, v3, v9
	v_lshlrev_b64 v[2:3], 4, v[2:3]
	s_add_u32 s0, s14, s0
	s_addc_u32 s1, s15, s1
	v_mov_b32_e32 v4, s1
	v_add_co_u32_e32 v2, vcc, s0, v2
	s_mul_i32 s0, s25, s8
	s_mul_hi_u32 s1, s24, s8
	v_addc_co_u32_e32 v3, vcc, v4, v3, vcc
	s_add_i32 s1, s1, s0
	s_mul_i32 s0, s24, s8
	v_add_co_u32_e32 v4, vcc, 8, v2
	s_lshl_b64 s[0:1], s[0:1], 4
	v_addc_co_u32_e32 v5, vcc, 0, v3, vcc
	v_lshlrev_b64 v[2:3], 4, v[6:7]
	s_add_u32 s0, s20, s0
	s_addc_u32 s1, s21, s1
	v_mov_b32_e32 v6, s1
	v_add_co_u32_e32 v2, vcc, s0, v2
	v_addc_co_u32_e32 v3, vcc, v6, v3, vcc
	v_add_co_u32_e32 v12, vcc, 8, v2
	v_addc_co_u32_e32 v13, vcc, 0, v3, vcc
	v_mov_b32_e32 v16, 0
	v_mov_b32_e32 v6, 0
	;; [unrolled: 1-line block ×8, first 2 shown]
	v_lshlrev_b32_e32 v24, 4, v0
	v_mov_b32_e32 v17, 0
	v_mov_b32_e32 v7, 0
	;; [unrolled: 1-line block ×8, first 2 shown]
	s_mov_b64 s[0:1], 0
.LBB1323_2:                             ; =>This Inner Loop Header: Depth=1
	global_load_dwordx4 v[26:29], v[4:5], off offset:-8
	s_add_u32 s0, s0, 8
	v_add_co_u32_e32 v4, vcc, 0x80, v4
	s_addc_u32 s1, s1, 0
	v_addc_co_u32_e32 v5, vcc, 0, v5, vcc
	s_waitcnt vmcnt(0)
	ds_write_b128 v22, v[26:29]
	global_load_dwordx4 v[26:29], v[12:13], off offset:-8
	v_add_co_u32_e32 v12, vcc, 0x80, v12
	v_addc_co_u32_e32 v13, vcc, 0, v13, vcc
	s_waitcnt vmcnt(0)
	ds_write_b128 v23, v[26:29]
	s_waitcnt lgkmcnt(0)
	s_barrier
	ds_read_b128 v[26:29], v25
	ds_read_b128 v[30:33], v25 offset:16
	ds_read_b128 v[34:37], v25 offset:32
	;; [unrolled: 1-line block ×3, first 2 shown]
	ds_read_b128 v[42:45], v24
	s_waitcnt lgkmcnt(0)
	v_mul_f64 v[46:47], v[28:29], v[44:45]
	v_mul_f64 v[48:49], v[26:27], v[44:45]
	v_fma_f64 v[46:47], v[26:27], v[42:43], -v[46:47]
	v_fma_f64 v[48:49], v[28:29], v[42:43], v[48:49]
	v_add_f64 v[10:11], v[10:11], v[46:47]
	v_add_f64 v[20:21], v[48:49], v[20:21]
	ds_read_b128 v[46:49], v24 offset:256
	s_waitcnt lgkmcnt(0)
	v_mul_f64 v[50:51], v[28:29], v[48:49]
	v_fma_f64 v[50:51], v[26:27], v[46:47], -v[50:51]
	v_mul_f64 v[26:27], v[26:27], v[48:49]
	v_add_f64 v[2:3], v[2:3], v[50:51]
	v_fma_f64 v[26:27], v[28:29], v[46:47], v[26:27]
	v_add_f64 v[50:51], v[26:27], v[14:15]
	ds_read_b128 v[26:29], v25 offset:2048
	s_waitcnt lgkmcnt(0)
	v_mul_f64 v[14:15], v[28:29], v[44:45]
	v_mul_f64 v[44:45], v[26:27], v[44:45]
	v_fma_f64 v[14:15], v[26:27], v[42:43], -v[14:15]
	v_fma_f64 v[42:43], v[28:29], v[42:43], v[44:45]
	v_add_f64 v[44:45], v[8:9], v[14:15]
	v_mul_f64 v[8:9], v[28:29], v[48:49]
	v_mul_f64 v[14:15], v[26:27], v[48:49]
	v_add_f64 v[42:43], v[42:43], v[18:19]
	v_fma_f64 v[8:9], v[26:27], v[46:47], -v[8:9]
	v_fma_f64 v[14:15], v[28:29], v[46:47], v[14:15]
	v_add_f64 v[26:27], v[6:7], v[8:9]
	ds_read_b128 v[6:9], v24 offset:512
	v_add_f64 v[28:29], v[14:15], v[16:17]
	s_waitcnt lgkmcnt(0)
	v_mul_f64 v[14:15], v[32:33], v[8:9]
	v_mul_f64 v[16:17], v[30:31], v[8:9]
	v_fma_f64 v[14:15], v[30:31], v[6:7], -v[14:15]
	v_fma_f64 v[16:17], v[32:33], v[6:7], v[16:17]
	v_add_f64 v[10:11], v[10:11], v[14:15]
	v_add_f64 v[46:47], v[16:17], v[20:21]
	ds_read_b128 v[14:17], v24 offset:768
	s_waitcnt lgkmcnt(0)
	v_mul_f64 v[18:19], v[32:33], v[16:17]
	v_mul_f64 v[20:21], v[30:31], v[16:17]
	v_fma_f64 v[18:19], v[30:31], v[14:15], -v[18:19]
	v_fma_f64 v[20:21], v[32:33], v[14:15], v[20:21]
	v_add_f64 v[2:3], v[2:3], v[18:19]
	v_add_f64 v[30:31], v[20:21], v[50:51]
	ds_read_b128 v[18:21], v25 offset:2064
	s_waitcnt lgkmcnt(0)
	v_mul_f64 v[32:33], v[20:21], v[8:9]
	v_mul_f64 v[8:9], v[18:19], v[8:9]
	v_fma_f64 v[32:33], v[18:19], v[6:7], -v[32:33]
	v_fma_f64 v[6:7], v[20:21], v[6:7], v[8:9]
	v_mul_f64 v[8:9], v[18:19], v[16:17]
	v_add_f64 v[32:33], v[44:45], v[32:33]
	v_add_f64 v[42:43], v[6:7], v[42:43]
	v_mul_f64 v[6:7], v[20:21], v[16:17]
	v_fma_f64 v[8:9], v[20:21], v[14:15], v[8:9]
	v_fma_f64 v[6:7], v[18:19], v[14:15], -v[6:7]
	v_add_f64 v[28:29], v[8:9], v[28:29]
	v_add_f64 v[26:27], v[26:27], v[6:7]
	ds_read_b128 v[6:9], v24 offset:1024
	s_waitcnt lgkmcnt(0)
	v_mul_f64 v[14:15], v[36:37], v[8:9]
	v_mul_f64 v[16:17], v[34:35], v[8:9]
	v_fma_f64 v[14:15], v[34:35], v[6:7], -v[14:15]
	v_fma_f64 v[16:17], v[36:37], v[6:7], v[16:17]
	v_add_f64 v[10:11], v[10:11], v[14:15]
	v_add_f64 v[44:45], v[16:17], v[46:47]
	ds_read_b128 v[14:17], v24 offset:1280
	s_waitcnt lgkmcnt(0)
	v_mul_f64 v[18:19], v[36:37], v[16:17]
	v_mul_f64 v[20:21], v[34:35], v[16:17]
	v_fma_f64 v[18:19], v[34:35], v[14:15], -v[18:19]
	v_fma_f64 v[20:21], v[36:37], v[14:15], v[20:21]
	v_add_f64 v[2:3], v[2:3], v[18:19]
	v_add_f64 v[30:31], v[20:21], v[30:31]
	ds_read_b128 v[18:21], v25 offset:2080
	s_waitcnt lgkmcnt(0)
	v_mul_f64 v[34:35], v[20:21], v[8:9]
	v_mul_f64 v[8:9], v[18:19], v[8:9]
	v_fma_f64 v[34:35], v[18:19], v[6:7], -v[34:35]
	v_fma_f64 v[6:7], v[20:21], v[6:7], v[8:9]
	v_mul_f64 v[8:9], v[18:19], v[16:17]
	v_add_f64 v[32:33], v[32:33], v[34:35]
	v_add_f64 v[34:35], v[6:7], v[42:43]
	v_mul_f64 v[6:7], v[20:21], v[16:17]
	v_fma_f64 v[8:9], v[20:21], v[14:15], v[8:9]
	v_fma_f64 v[6:7], v[18:19], v[14:15], -v[6:7]
	v_add_f64 v[28:29], v[8:9], v[28:29]
	v_add_f64 v[26:27], v[26:27], v[6:7]
	ds_read_b128 v[6:9], v24 offset:1536
	;; [unrolled: 30-line block ×3, first 2 shown]
	ds_read_b128 v[14:17], v24 offset:2048
	s_waitcnt lgkmcnt(0)
	v_mul_f64 v[18:19], v[8:9], v[16:17]
	v_mul_f64 v[20:21], v[6:7], v[16:17]
	v_fma_f64 v[18:19], v[6:7], v[14:15], -v[18:19]
	v_fma_f64 v[20:21], v[8:9], v[14:15], v[20:21]
	v_add_f64 v[10:11], v[10:11], v[18:19]
	v_add_f64 v[36:37], v[20:21], v[36:37]
	ds_read_b128 v[18:21], v24 offset:2304
	s_waitcnt lgkmcnt(0)
	v_mul_f64 v[38:39], v[8:9], v[20:21]
	v_fma_f64 v[38:39], v[6:7], v[18:19], -v[38:39]
	v_mul_f64 v[6:7], v[6:7], v[20:21]
	v_add_f64 v[2:3], v[2:3], v[38:39]
	v_fma_f64 v[6:7], v[8:9], v[18:19], v[6:7]
	v_add_f64 v[30:31], v[6:7], v[30:31]
	ds_read_b128 v[6:9], v25 offset:2112
	s_waitcnt lgkmcnt(0)
	v_mul_f64 v[38:39], v[8:9], v[16:17]
	v_mul_f64 v[16:17], v[6:7], v[16:17]
	v_fma_f64 v[38:39], v[6:7], v[14:15], -v[38:39]
	v_fma_f64 v[14:15], v[8:9], v[14:15], v[16:17]
	v_add_f64 v[32:33], v[32:33], v[38:39]
	v_add_f64 v[34:35], v[14:15], v[34:35]
	v_mul_f64 v[14:15], v[8:9], v[20:21]
	v_fma_f64 v[14:15], v[6:7], v[18:19], -v[14:15]
	v_mul_f64 v[6:7], v[6:7], v[20:21]
	v_add_f64 v[26:27], v[26:27], v[14:15]
	v_fma_f64 v[6:7], v[8:9], v[18:19], v[6:7]
	v_add_f64 v[28:29], v[6:7], v[28:29]
	ds_read_b128 v[6:9], v25 offset:80
	ds_read_b128 v[14:17], v24 offset:2560
	s_waitcnt lgkmcnt(0)
	v_mul_f64 v[18:19], v[8:9], v[16:17]
	v_mul_f64 v[20:21], v[6:7], v[16:17]
	v_fma_f64 v[18:19], v[6:7], v[14:15], -v[18:19]
	v_fma_f64 v[20:21], v[8:9], v[14:15], v[20:21]
	v_add_f64 v[10:11], v[10:11], v[18:19]
	v_add_f64 v[36:37], v[20:21], v[36:37]
	ds_read_b128 v[18:21], v24 offset:2816
	s_waitcnt lgkmcnt(0)
	v_mul_f64 v[38:39], v[8:9], v[20:21]
	v_fma_f64 v[38:39], v[6:7], v[18:19], -v[38:39]
	v_mul_f64 v[6:7], v[6:7], v[20:21]
	v_add_f64 v[2:3], v[2:3], v[38:39]
	v_fma_f64 v[6:7], v[8:9], v[18:19], v[6:7]
	v_add_f64 v[30:31], v[6:7], v[30:31]
	ds_read_b128 v[6:9], v25 offset:2128
	s_waitcnt lgkmcnt(0)
	v_mul_f64 v[38:39], v[8:9], v[16:17]
	v_mul_f64 v[16:17], v[6:7], v[16:17]
	v_fma_f64 v[38:39], v[6:7], v[14:15], -v[38:39]
	v_fma_f64 v[14:15], v[8:9], v[14:15], v[16:17]
	v_add_f64 v[32:33], v[32:33], v[38:39]
	v_add_f64 v[34:35], v[14:15], v[34:35]
	v_mul_f64 v[14:15], v[8:9], v[20:21]
	v_fma_f64 v[14:15], v[6:7], v[18:19], -v[14:15]
	v_mul_f64 v[6:7], v[6:7], v[20:21]
	v_add_f64 v[26:27], v[26:27], v[14:15]
	v_fma_f64 v[6:7], v[8:9], v[18:19], v[6:7]
	v_add_f64 v[28:29], v[6:7], v[28:29]
	ds_read_b128 v[6:9], v25 offset:96
	;; [unrolled: 31-line block ×3, first 2 shown]
	ds_read_b128 v[16:19], v24 offset:3584
	ds_read_b128 v[26:29], v24 offset:3840
	s_waitcnt lgkmcnt(1)
	v_mul_f64 v[14:15], v[8:9], v[18:19]
	v_mul_f64 v[20:21], v[6:7], v[18:19]
	v_fma_f64 v[14:15], v[6:7], v[16:17], -v[14:15]
	v_fma_f64 v[20:21], v[8:9], v[16:17], v[20:21]
	v_add_f64 v[10:11], v[10:11], v[14:15]
	s_waitcnt lgkmcnt(0)
	v_mul_f64 v[14:15], v[8:9], v[28:29]
	v_add_f64 v[20:21], v[20:21], v[36:37]
	v_fma_f64 v[14:15], v[6:7], v[26:27], -v[14:15]
	v_mul_f64 v[6:7], v[6:7], v[28:29]
	v_add_f64 v[2:3], v[2:3], v[14:15]
	v_fma_f64 v[6:7], v[8:9], v[26:27], v[6:7]
	v_add_f64 v[14:15], v[6:7], v[30:31]
	ds_read_b128 v[30:33], v25 offset:2160
	s_waitcnt lgkmcnt(0)
	s_barrier
	v_mul_f64 v[6:7], v[32:33], v[18:19]
	v_mul_f64 v[8:9], v[30:31], v[18:19]
	v_fma_f64 v[6:7], v[30:31], v[16:17], -v[6:7]
	v_fma_f64 v[16:17], v[32:33], v[16:17], v[8:9]
	v_add_f64 v[8:9], v[38:39], v[6:7]
	v_add_f64 v[18:19], v[16:17], v[34:35]
	v_mul_f64 v[6:7], v[32:33], v[28:29]
	v_mul_f64 v[16:17], v[30:31], v[28:29]
	v_fma_f64 v[6:7], v[30:31], v[26:27], -v[6:7]
	v_fma_f64 v[16:17], v[32:33], v[26:27], v[16:17]
	v_mov_b32_e32 v27, s1
	v_mov_b32_e32 v26, s0
	v_cmp_le_u64_e32 vcc, s[12:13], v[26:27]
	v_add_f64 v[6:7], v[40:41], v[6:7]
	v_add_f64 v[16:17], v[16:17], v[42:43]
	s_cbranch_vccz .LBB1323_2
	s_branch .LBB1323_4
.LBB1323_3:
	v_mov_b32_e32 v10, 0
	v_mov_b32_e32 v20, 0
	;; [unrolled: 1-line block ×16, first 2 shown]
.LBB1323_4:
	s_load_dwordx4 s[12:15], s[4:5], 0x48
	s_load_dword s9, s[4:5], 0x0
	v_add_u32_e32 v22, s3, v1
	v_ashrrev_i32_e32 v1, 31, v22
	v_add_u32_e32 v0, s2, v0
	s_waitcnt lgkmcnt(0)
	v_mul_lo_u32 v1, s12, v1
	v_mul_lo_u32 v12, s13, v22
	v_mad_u64_u32 v[4:5], s[4:5], s12, v22, 0
	s_mul_i32 s1, s15, s8
	s_mul_hi_u32 s3, s14, s8
	s_mul_i32 s0, s14, s8
	s_add_i32 s1, s3, s1
	s_lshl_b64 s[0:1], s[0:1], 4
	v_add3_u32 v5, v5, v1, v12
	s_add_u32 s6, s26, s0
	v_lshlrev_b64 v[4:5], 4, v[4:5]
	s_addc_u32 s7, s27, s1
	v_mov_b32_e32 v1, s7
	v_add_co_u32_e32 v4, vcc, s6, v4
	v_addc_co_u32_e32 v5, vcc, v1, v5, vcc
	v_cmp_le_i32_e64 s[0:1], v22, v0
	v_cmp_gt_i32_e32 vcc, s9, v0
	s_and_b64 s[0:1], s[0:1], vcc
	s_and_saveexec_b64 s[2:3], s[0:1]
	s_cbranch_execz .LBB1323_6
; %bb.5:
	v_ashrrev_i32_e32 v1, 31, v0
	v_lshlrev_b64 v[12:13], 4, v[0:1]
	v_add_co_u32_e64 v23, s[0:1], v4, v12
	v_addc_co_u32_e64 v24, s[0:1], v5, v13, s[0:1]
	v_cmp_ne_u32_e64 s[0:1], v22, v0
	v_cndmask_b32_e64 v13, 0, v21, s[0:1]
	v_cndmask_b32_e64 v12, 0, v20, s[0:1]
	global_store_dwordx4 v[23:24], v[10:13], off
.LBB1323_6:
	s_or_b64 exec, exec, s[2:3]
	v_add_u32_e32 v12, 16, v0
	v_cmp_le_i32_e64 s[2:3], v22, v12
	v_cmp_gt_i32_e64 s[0:1], s9, v12
	s_and_b64 s[2:3], s[2:3], s[0:1]
	s_and_saveexec_b64 s[4:5], s[2:3]
	s_cbranch_execz .LBB1323_8
; %bb.7:
	v_ashrrev_i32_e32 v13, 31, v12
	v_lshlrev_b64 v[10:11], 4, v[12:13]
	v_add_co_u32_e64 v10, s[2:3], v4, v10
	v_addc_co_u32_e64 v11, s[2:3], v5, v11, s[2:3]
	v_cmp_ne_u32_e64 s[2:3], v22, v12
	v_cndmask_b32_e64 v5, 0, v15, s[2:3]
	v_cndmask_b32_e64 v4, 0, v14, s[2:3]
	global_store_dwordx4 v[10:11], v[2:5], off
.LBB1323_8:
	s_or_b64 exec, exec, s[4:5]
	v_add_u32_e32 v2, 16, v22
	v_ashrrev_i32_e32 v1, 31, v2
	v_mul_lo_u32 v5, s13, v2
	v_mad_u64_u32 v[3:4], s[2:3], s12, v2, 0
	v_mul_lo_u32 v1, s12, v1
	v_add3_u32 v4, v4, v1, v5
	v_lshlrev_b64 v[3:4], 4, v[3:4]
	v_mov_b32_e32 v1, s7
	v_add_co_u32_e64 v3, s[2:3], s6, v3
	v_addc_co_u32_e64 v4, s[2:3], v1, v4, s[2:3]
	v_cmp_le_i32_e64 s[2:3], v2, v0
	s_and_b64 s[4:5], s[2:3], vcc
	s_and_saveexec_b64 s[2:3], s[4:5]
	s_cbranch_execz .LBB1323_10
; %bb.9:
	v_ashrrev_i32_e32 v1, 31, v0
	v_lshlrev_b64 v[10:11], 4, v[0:1]
	v_add_co_u32_e32 v13, vcc, v3, v10
	v_addc_co_u32_e32 v14, vcc, v4, v11, vcc
	v_cmp_ne_u32_e32 vcc, v2, v0
	v_cndmask_b32_e32 v11, 0, v19, vcc
	v_cndmask_b32_e32 v10, 0, v18, vcc
	global_store_dwordx4 v[13:14], v[8:11], off
.LBB1323_10:
	s_or_b64 exec, exec, s[2:3]
	v_cmp_le_i32_e32 vcc, v2, v12
	s_and_b64 s[0:1], vcc, s[0:1]
	s_and_saveexec_b64 s[2:3], s[0:1]
	s_cbranch_execz .LBB1323_12
; %bb.11:
	v_ashrrev_i32_e32 v13, 31, v12
	v_lshlrev_b64 v[1:2], 4, v[12:13]
	v_add_co_u32_e32 v1, vcc, v3, v1
	v_addc_co_u32_e32 v2, vcc, v4, v2, vcc
	v_cmp_ne_u32_e32 vcc, v22, v0
	v_cndmask_b32_e32 v9, 0, v17, vcc
	v_cndmask_b32_e32 v8, 0, v16, vcc
	global_store_dwordx4 v[1:2], v[6:9], off
.LBB1323_12:
	s_endpgm
	.section	.rodata,"a",@progbits
	.p2align	6, 0x0
	.amdhsa_kernel _ZL37rocblas_syrkx_herkx_restricted_kernelIl19rocblas_complex_numIdELi16ELi32ELi8ELi1ELi0ELb1ELc84ELc76EKS1_S1_EviT_PT9_S3_lS5_S3_lPT10_S3_li
		.amdhsa_group_segment_fixed_size 8192
		.amdhsa_private_segment_fixed_size 0
		.amdhsa_kernarg_size 92
		.amdhsa_user_sgpr_count 6
		.amdhsa_user_sgpr_private_segment_buffer 1
		.amdhsa_user_sgpr_dispatch_ptr 0
		.amdhsa_user_sgpr_queue_ptr 0
		.amdhsa_user_sgpr_kernarg_segment_ptr 1
		.amdhsa_user_sgpr_dispatch_id 0
		.amdhsa_user_sgpr_flat_scratch_init 0
		.amdhsa_user_sgpr_private_segment_size 0
		.amdhsa_uses_dynamic_stack 0
		.amdhsa_system_sgpr_private_segment_wavefront_offset 0
		.amdhsa_system_sgpr_workgroup_id_x 1
		.amdhsa_system_sgpr_workgroup_id_y 1
		.amdhsa_system_sgpr_workgroup_id_z 1
		.amdhsa_system_sgpr_workgroup_info 0
		.amdhsa_system_vgpr_workitem_id 1
		.amdhsa_next_free_vgpr 52
		.amdhsa_next_free_sgpr 61
		.amdhsa_reserve_vcc 1
		.amdhsa_reserve_flat_scratch 0
		.amdhsa_float_round_mode_32 0
		.amdhsa_float_round_mode_16_64 0
		.amdhsa_float_denorm_mode_32 3
		.amdhsa_float_denorm_mode_16_64 3
		.amdhsa_dx10_clamp 1
		.amdhsa_ieee_mode 1
		.amdhsa_fp16_overflow 0
		.amdhsa_exception_fp_ieee_invalid_op 0
		.amdhsa_exception_fp_denorm_src 0
		.amdhsa_exception_fp_ieee_div_zero 0
		.amdhsa_exception_fp_ieee_overflow 0
		.amdhsa_exception_fp_ieee_underflow 0
		.amdhsa_exception_fp_ieee_inexact 0
		.amdhsa_exception_int_div_zero 0
	.end_amdhsa_kernel
	.section	.text._ZL37rocblas_syrkx_herkx_restricted_kernelIl19rocblas_complex_numIdELi16ELi32ELi8ELi1ELi0ELb1ELc84ELc76EKS1_S1_EviT_PT9_S3_lS5_S3_lPT10_S3_li,"axG",@progbits,_ZL37rocblas_syrkx_herkx_restricted_kernelIl19rocblas_complex_numIdELi16ELi32ELi8ELi1ELi0ELb1ELc84ELc76EKS1_S1_EviT_PT9_S3_lS5_S3_lPT10_S3_li,comdat
.Lfunc_end1323:
	.size	_ZL37rocblas_syrkx_herkx_restricted_kernelIl19rocblas_complex_numIdELi16ELi32ELi8ELi1ELi0ELb1ELc84ELc76EKS1_S1_EviT_PT9_S3_lS5_S3_lPT10_S3_li, .Lfunc_end1323-_ZL37rocblas_syrkx_herkx_restricted_kernelIl19rocblas_complex_numIdELi16ELi32ELi8ELi1ELi0ELb1ELc84ELc76EKS1_S1_EviT_PT9_S3_lS5_S3_lPT10_S3_li
                                        ; -- End function
	.set _ZL37rocblas_syrkx_herkx_restricted_kernelIl19rocblas_complex_numIdELi16ELi32ELi8ELi1ELi0ELb1ELc84ELc76EKS1_S1_EviT_PT9_S3_lS5_S3_lPT10_S3_li.num_vgpr, 52
	.set _ZL37rocblas_syrkx_herkx_restricted_kernelIl19rocblas_complex_numIdELi16ELi32ELi8ELi1ELi0ELb1ELc84ELc76EKS1_S1_EviT_PT9_S3_lS5_S3_lPT10_S3_li.num_agpr, 0
	.set _ZL37rocblas_syrkx_herkx_restricted_kernelIl19rocblas_complex_numIdELi16ELi32ELi8ELi1ELi0ELb1ELc84ELc76EKS1_S1_EviT_PT9_S3_lS5_S3_lPT10_S3_li.numbered_sgpr, 28
	.set _ZL37rocblas_syrkx_herkx_restricted_kernelIl19rocblas_complex_numIdELi16ELi32ELi8ELi1ELi0ELb1ELc84ELc76EKS1_S1_EviT_PT9_S3_lS5_S3_lPT10_S3_li.num_named_barrier, 0
	.set _ZL37rocblas_syrkx_herkx_restricted_kernelIl19rocblas_complex_numIdELi16ELi32ELi8ELi1ELi0ELb1ELc84ELc76EKS1_S1_EviT_PT9_S3_lS5_S3_lPT10_S3_li.private_seg_size, 0
	.set _ZL37rocblas_syrkx_herkx_restricted_kernelIl19rocblas_complex_numIdELi16ELi32ELi8ELi1ELi0ELb1ELc84ELc76EKS1_S1_EviT_PT9_S3_lS5_S3_lPT10_S3_li.uses_vcc, 1
	.set _ZL37rocblas_syrkx_herkx_restricted_kernelIl19rocblas_complex_numIdELi16ELi32ELi8ELi1ELi0ELb1ELc84ELc76EKS1_S1_EviT_PT9_S3_lS5_S3_lPT10_S3_li.uses_flat_scratch, 0
	.set _ZL37rocblas_syrkx_herkx_restricted_kernelIl19rocblas_complex_numIdELi16ELi32ELi8ELi1ELi0ELb1ELc84ELc76EKS1_S1_EviT_PT9_S3_lS5_S3_lPT10_S3_li.has_dyn_sized_stack, 0
	.set _ZL37rocblas_syrkx_herkx_restricted_kernelIl19rocblas_complex_numIdELi16ELi32ELi8ELi1ELi0ELb1ELc84ELc76EKS1_S1_EviT_PT9_S3_lS5_S3_lPT10_S3_li.has_recursion, 0
	.set _ZL37rocblas_syrkx_herkx_restricted_kernelIl19rocblas_complex_numIdELi16ELi32ELi8ELi1ELi0ELb1ELc84ELc76EKS1_S1_EviT_PT9_S3_lS5_S3_lPT10_S3_li.has_indirect_call, 0
	.section	.AMDGPU.csdata,"",@progbits
; Kernel info:
; codeLenInByte = 2924
; TotalNumSgprs: 32
; NumVgprs: 52
; ScratchSize: 0
; MemoryBound: 0
; FloatMode: 240
; IeeeMode: 1
; LDSByteSize: 8192 bytes/workgroup (compile time only)
; SGPRBlocks: 8
; VGPRBlocks: 12
; NumSGPRsForWavesPerEU: 65
; NumVGPRsForWavesPerEU: 52
; Occupancy: 4
; WaveLimiterHint : 1
; COMPUTE_PGM_RSRC2:SCRATCH_EN: 0
; COMPUTE_PGM_RSRC2:USER_SGPR: 6
; COMPUTE_PGM_RSRC2:TRAP_HANDLER: 0
; COMPUTE_PGM_RSRC2:TGID_X_EN: 1
; COMPUTE_PGM_RSRC2:TGID_Y_EN: 1
; COMPUTE_PGM_RSRC2:TGID_Z_EN: 1
; COMPUTE_PGM_RSRC2:TIDIG_COMP_CNT: 1
	.section	.text._ZL37rocblas_syrkx_herkx_restricted_kernelIl19rocblas_complex_numIdELi16ELi32ELi8ELi1ELi0ELb1ELc67ELc76EKS1_S1_EviT_PT9_S3_lS5_S3_lPT10_S3_li,"axG",@progbits,_ZL37rocblas_syrkx_herkx_restricted_kernelIl19rocblas_complex_numIdELi16ELi32ELi8ELi1ELi0ELb1ELc67ELc76EKS1_S1_EviT_PT9_S3_lS5_S3_lPT10_S3_li,comdat
	.globl	_ZL37rocblas_syrkx_herkx_restricted_kernelIl19rocblas_complex_numIdELi16ELi32ELi8ELi1ELi0ELb1ELc67ELc76EKS1_S1_EviT_PT9_S3_lS5_S3_lPT10_S3_li ; -- Begin function _ZL37rocblas_syrkx_herkx_restricted_kernelIl19rocblas_complex_numIdELi16ELi32ELi8ELi1ELi0ELb1ELc67ELc76EKS1_S1_EviT_PT9_S3_lS5_S3_lPT10_S3_li
	.p2align	8
	.type	_ZL37rocblas_syrkx_herkx_restricted_kernelIl19rocblas_complex_numIdELi16ELi32ELi8ELi1ELi0ELb1ELc67ELc76EKS1_S1_EviT_PT9_S3_lS5_S3_lPT10_S3_li,@function
_ZL37rocblas_syrkx_herkx_restricted_kernelIl19rocblas_complex_numIdELi16ELi32ELi8ELi1ELi0ELb1ELc67ELc76EKS1_S1_EviT_PT9_S3_lS5_S3_lPT10_S3_li: ; @_ZL37rocblas_syrkx_herkx_restricted_kernelIl19rocblas_complex_numIdELi16ELi32ELi8ELi1ELi0ELb1ELc67ELc76EKS1_S1_EviT_PT9_S3_lS5_S3_lPT10_S3_li
; %bb.0:
	s_load_dwordx16 s[12:27], s[4:5], 0x8
	s_lshl_b32 s2, s6, 5
	s_lshl_b32 s3, s7, 5
	s_waitcnt lgkmcnt(0)
	v_cmp_lt_i64_e64 s[0:1], s[12:13], 1
	s_and_b64 vcc, exec, s[0:1]
	s_cbranch_vccnz .LBB1324_3
; %bb.1:
	v_lshl_add_u32 v4, v1, 4, v0
	v_lshrrev_b32_e32 v8, 3, v4
	v_add_u32_e32 v5, s3, v8
	v_ashrrev_i32_e32 v6, 31, v5
	v_and_b32_e32 v2, 7, v0
	v_mov_b32_e32 v3, 0
	v_mul_lo_u32 v9, s22, v6
	v_mul_lo_u32 v10, s23, v5
	v_mad_u64_u32 v[6:7], s[0:1], s22, v5, v[2:3]
	v_lshlrev_b32_e32 v2, 4, v2
	v_lshl_or_b32 v2, v8, 7, v2
	v_add3_u32 v7, v10, v7, v9
	v_and_b32_e32 v9, 31, v4
	v_add_u32_e32 v23, 0x1000, v2
	v_mov_b32_e32 v2, 0x1000
	v_add_u32_e32 v8, s2, v9
	v_lshrrev_b32_e32 v4, 5, v4
	v_mov_b32_e32 v5, v3
	v_lshlrev_b32_e32 v3, 4, v9
	v_lshl_add_u32 v25, v1, 7, v2
	v_ashrrev_i32_e32 v2, 31, v8
	v_lshl_or_b32 v22, v4, 9, v3
	v_mul_lo_u32 v9, s16, v2
	v_mad_u64_u32 v[2:3], s[0:1], s16, v8, v[4:5]
	v_mul_lo_u32 v4, s17, v8
	s_mul_i32 s6, s19, s8
	s_mul_hi_u32 s7, s18, s8
	s_add_i32 s1, s7, s6
	s_mul_i32 s0, s18, s8
	s_lshl_b64 s[0:1], s[0:1], 4
	v_add3_u32 v3, v4, v3, v9
	v_lshlrev_b64 v[2:3], 4, v[2:3]
	s_add_u32 s0, s14, s0
	s_addc_u32 s1, s15, s1
	v_mov_b32_e32 v4, s1
	v_add_co_u32_e32 v2, vcc, s0, v2
	s_mul_i32 s0, s25, s8
	s_mul_hi_u32 s1, s24, s8
	v_addc_co_u32_e32 v3, vcc, v4, v3, vcc
	s_add_i32 s1, s1, s0
	s_mul_i32 s0, s24, s8
	v_add_co_u32_e32 v4, vcc, 8, v2
	s_lshl_b64 s[0:1], s[0:1], 4
	v_addc_co_u32_e32 v5, vcc, 0, v3, vcc
	v_lshlrev_b64 v[2:3], 4, v[6:7]
	s_add_u32 s0, s20, s0
	s_addc_u32 s1, s21, s1
	v_mov_b32_e32 v6, s1
	v_add_co_u32_e32 v2, vcc, s0, v2
	v_addc_co_u32_e32 v3, vcc, v6, v3, vcc
	v_add_co_u32_e32 v12, vcc, 8, v2
	v_addc_co_u32_e32 v13, vcc, 0, v3, vcc
	v_mov_b32_e32 v16, 0
	v_mov_b32_e32 v6, 0
	;; [unrolled: 1-line block ×8, first 2 shown]
	v_lshlrev_b32_e32 v24, 4, v0
	v_mov_b32_e32 v17, 0
	v_mov_b32_e32 v7, 0
	;; [unrolled: 1-line block ×8, first 2 shown]
	s_mov_b64 s[0:1], 0
.LBB1324_2:                             ; =>This Inner Loop Header: Depth=1
	global_load_dwordx4 v[26:29], v[4:5], off offset:-8
	s_add_u32 s0, s0, 8
	v_add_co_u32_e32 v4, vcc, 0x80, v4
	s_addc_u32 s1, s1, 0
	v_addc_co_u32_e32 v5, vcc, 0, v5, vcc
	s_waitcnt vmcnt(0)
	v_xor_b32_e32 v29, 0x80000000, v29
	ds_write_b128 v22, v[26:29]
	global_load_dwordx4 v[26:29], v[12:13], off offset:-8
	v_add_co_u32_e32 v12, vcc, 0x80, v12
	v_addc_co_u32_e32 v13, vcc, 0, v13, vcc
	s_waitcnt vmcnt(0)
	ds_write_b128 v23, v[26:29]
	s_waitcnt lgkmcnt(0)
	s_barrier
	ds_read_b128 v[26:29], v25
	ds_read_b128 v[30:33], v25 offset:16
	ds_read_b128 v[34:37], v25 offset:32
	;; [unrolled: 1-line block ×3, first 2 shown]
	ds_read_b128 v[42:45], v24
	s_waitcnt lgkmcnt(0)
	v_mul_f64 v[46:47], v[28:29], v[44:45]
	v_mul_f64 v[48:49], v[26:27], v[44:45]
	v_fma_f64 v[46:47], v[26:27], v[42:43], -v[46:47]
	v_fma_f64 v[48:49], v[28:29], v[42:43], v[48:49]
	v_add_f64 v[10:11], v[10:11], v[46:47]
	v_add_f64 v[20:21], v[48:49], v[20:21]
	ds_read_b128 v[46:49], v24 offset:256
	s_waitcnt lgkmcnt(0)
	v_mul_f64 v[50:51], v[28:29], v[48:49]
	v_fma_f64 v[50:51], v[26:27], v[46:47], -v[50:51]
	v_mul_f64 v[26:27], v[26:27], v[48:49]
	v_add_f64 v[2:3], v[2:3], v[50:51]
	v_fma_f64 v[26:27], v[28:29], v[46:47], v[26:27]
	v_add_f64 v[50:51], v[26:27], v[14:15]
	ds_read_b128 v[26:29], v25 offset:2048
	s_waitcnt lgkmcnt(0)
	v_mul_f64 v[14:15], v[28:29], v[44:45]
	v_mul_f64 v[44:45], v[26:27], v[44:45]
	v_fma_f64 v[14:15], v[26:27], v[42:43], -v[14:15]
	v_fma_f64 v[42:43], v[28:29], v[42:43], v[44:45]
	v_add_f64 v[44:45], v[8:9], v[14:15]
	v_mul_f64 v[8:9], v[28:29], v[48:49]
	v_mul_f64 v[14:15], v[26:27], v[48:49]
	v_add_f64 v[42:43], v[42:43], v[18:19]
	v_fma_f64 v[8:9], v[26:27], v[46:47], -v[8:9]
	v_fma_f64 v[14:15], v[28:29], v[46:47], v[14:15]
	v_add_f64 v[26:27], v[6:7], v[8:9]
	ds_read_b128 v[6:9], v24 offset:512
	v_add_f64 v[28:29], v[14:15], v[16:17]
	s_waitcnt lgkmcnt(0)
	v_mul_f64 v[14:15], v[32:33], v[8:9]
	v_mul_f64 v[16:17], v[30:31], v[8:9]
	v_fma_f64 v[14:15], v[30:31], v[6:7], -v[14:15]
	v_fma_f64 v[16:17], v[32:33], v[6:7], v[16:17]
	v_add_f64 v[10:11], v[10:11], v[14:15]
	v_add_f64 v[46:47], v[16:17], v[20:21]
	ds_read_b128 v[14:17], v24 offset:768
	s_waitcnt lgkmcnt(0)
	v_mul_f64 v[18:19], v[32:33], v[16:17]
	v_mul_f64 v[20:21], v[30:31], v[16:17]
	v_fma_f64 v[18:19], v[30:31], v[14:15], -v[18:19]
	v_fma_f64 v[20:21], v[32:33], v[14:15], v[20:21]
	v_add_f64 v[2:3], v[2:3], v[18:19]
	v_add_f64 v[30:31], v[20:21], v[50:51]
	ds_read_b128 v[18:21], v25 offset:2064
	s_waitcnt lgkmcnt(0)
	v_mul_f64 v[32:33], v[20:21], v[8:9]
	v_mul_f64 v[8:9], v[18:19], v[8:9]
	v_fma_f64 v[32:33], v[18:19], v[6:7], -v[32:33]
	v_fma_f64 v[6:7], v[20:21], v[6:7], v[8:9]
	v_mul_f64 v[8:9], v[18:19], v[16:17]
	v_add_f64 v[32:33], v[44:45], v[32:33]
	v_add_f64 v[42:43], v[6:7], v[42:43]
	v_mul_f64 v[6:7], v[20:21], v[16:17]
	v_fma_f64 v[8:9], v[20:21], v[14:15], v[8:9]
	v_fma_f64 v[6:7], v[18:19], v[14:15], -v[6:7]
	v_add_f64 v[28:29], v[8:9], v[28:29]
	v_add_f64 v[26:27], v[26:27], v[6:7]
	ds_read_b128 v[6:9], v24 offset:1024
	s_waitcnt lgkmcnt(0)
	v_mul_f64 v[14:15], v[36:37], v[8:9]
	v_mul_f64 v[16:17], v[34:35], v[8:9]
	v_fma_f64 v[14:15], v[34:35], v[6:7], -v[14:15]
	v_fma_f64 v[16:17], v[36:37], v[6:7], v[16:17]
	v_add_f64 v[10:11], v[10:11], v[14:15]
	v_add_f64 v[44:45], v[16:17], v[46:47]
	ds_read_b128 v[14:17], v24 offset:1280
	s_waitcnt lgkmcnt(0)
	v_mul_f64 v[18:19], v[36:37], v[16:17]
	v_mul_f64 v[20:21], v[34:35], v[16:17]
	v_fma_f64 v[18:19], v[34:35], v[14:15], -v[18:19]
	v_fma_f64 v[20:21], v[36:37], v[14:15], v[20:21]
	v_add_f64 v[2:3], v[2:3], v[18:19]
	v_add_f64 v[30:31], v[20:21], v[30:31]
	ds_read_b128 v[18:21], v25 offset:2080
	s_waitcnt lgkmcnt(0)
	v_mul_f64 v[34:35], v[20:21], v[8:9]
	v_mul_f64 v[8:9], v[18:19], v[8:9]
	v_fma_f64 v[34:35], v[18:19], v[6:7], -v[34:35]
	v_fma_f64 v[6:7], v[20:21], v[6:7], v[8:9]
	v_mul_f64 v[8:9], v[18:19], v[16:17]
	v_add_f64 v[32:33], v[32:33], v[34:35]
	v_add_f64 v[34:35], v[6:7], v[42:43]
	v_mul_f64 v[6:7], v[20:21], v[16:17]
	v_fma_f64 v[8:9], v[20:21], v[14:15], v[8:9]
	v_fma_f64 v[6:7], v[18:19], v[14:15], -v[6:7]
	v_add_f64 v[28:29], v[8:9], v[28:29]
	v_add_f64 v[26:27], v[26:27], v[6:7]
	ds_read_b128 v[6:9], v24 offset:1536
	s_waitcnt lgkmcnt(0)
	v_mul_f64 v[14:15], v[40:41], v[8:9]
	v_mul_f64 v[16:17], v[38:39], v[8:9]
	v_fma_f64 v[14:15], v[38:39], v[6:7], -v[14:15]
	v_fma_f64 v[16:17], v[40:41], v[6:7], v[16:17]
	v_add_f64 v[10:11], v[10:11], v[14:15]
	v_add_f64 v[36:37], v[16:17], v[44:45]
	ds_read_b128 v[14:17], v24 offset:1792
	s_waitcnt lgkmcnt(0)
	v_mul_f64 v[18:19], v[40:41], v[16:17]
	v_mul_f64 v[20:21], v[38:39], v[16:17]
	v_fma_f64 v[18:19], v[38:39], v[14:15], -v[18:19]
	v_fma_f64 v[20:21], v[40:41], v[14:15], v[20:21]
	v_add_f64 v[2:3], v[2:3], v[18:19]
	v_add_f64 v[30:31], v[20:21], v[30:31]
	ds_read_b128 v[18:21], v25 offset:2096
	s_waitcnt lgkmcnt(0)
	v_mul_f64 v[38:39], v[20:21], v[8:9]
	v_mul_f64 v[8:9], v[18:19], v[8:9]
	v_fma_f64 v[38:39], v[18:19], v[6:7], -v[38:39]
	v_fma_f64 v[6:7], v[20:21], v[6:7], v[8:9]
	v_mul_f64 v[8:9], v[18:19], v[16:17]
	v_add_f64 v[32:33], v[32:33], v[38:39]
	v_add_f64 v[34:35], v[6:7], v[34:35]
	v_mul_f64 v[6:7], v[20:21], v[16:17]
	v_fma_f64 v[8:9], v[20:21], v[14:15], v[8:9]
	v_fma_f64 v[6:7], v[18:19], v[14:15], -v[6:7]
	v_add_f64 v[28:29], v[8:9], v[28:29]
	v_add_f64 v[26:27], v[26:27], v[6:7]
	ds_read_b128 v[6:9], v25 offset:64
	ds_read_b128 v[14:17], v24 offset:2048
	s_waitcnt lgkmcnt(0)
	v_mul_f64 v[18:19], v[8:9], v[16:17]
	v_mul_f64 v[20:21], v[6:7], v[16:17]
	v_fma_f64 v[18:19], v[6:7], v[14:15], -v[18:19]
	v_fma_f64 v[20:21], v[8:9], v[14:15], v[20:21]
	v_add_f64 v[10:11], v[10:11], v[18:19]
	v_add_f64 v[36:37], v[20:21], v[36:37]
	ds_read_b128 v[18:21], v24 offset:2304
	s_waitcnt lgkmcnt(0)
	v_mul_f64 v[38:39], v[8:9], v[20:21]
	v_fma_f64 v[38:39], v[6:7], v[18:19], -v[38:39]
	v_mul_f64 v[6:7], v[6:7], v[20:21]
	v_add_f64 v[2:3], v[2:3], v[38:39]
	v_fma_f64 v[6:7], v[8:9], v[18:19], v[6:7]
	v_add_f64 v[30:31], v[6:7], v[30:31]
	ds_read_b128 v[6:9], v25 offset:2112
	s_waitcnt lgkmcnt(0)
	v_mul_f64 v[38:39], v[8:9], v[16:17]
	v_mul_f64 v[16:17], v[6:7], v[16:17]
	v_fma_f64 v[38:39], v[6:7], v[14:15], -v[38:39]
	v_fma_f64 v[14:15], v[8:9], v[14:15], v[16:17]
	v_add_f64 v[32:33], v[32:33], v[38:39]
	v_add_f64 v[34:35], v[14:15], v[34:35]
	v_mul_f64 v[14:15], v[8:9], v[20:21]
	v_fma_f64 v[14:15], v[6:7], v[18:19], -v[14:15]
	v_mul_f64 v[6:7], v[6:7], v[20:21]
	v_add_f64 v[26:27], v[26:27], v[14:15]
	v_fma_f64 v[6:7], v[8:9], v[18:19], v[6:7]
	v_add_f64 v[28:29], v[6:7], v[28:29]
	ds_read_b128 v[6:9], v25 offset:80
	ds_read_b128 v[14:17], v24 offset:2560
	s_waitcnt lgkmcnt(0)
	v_mul_f64 v[18:19], v[8:9], v[16:17]
	v_mul_f64 v[20:21], v[6:7], v[16:17]
	v_fma_f64 v[18:19], v[6:7], v[14:15], -v[18:19]
	v_fma_f64 v[20:21], v[8:9], v[14:15], v[20:21]
	v_add_f64 v[10:11], v[10:11], v[18:19]
	v_add_f64 v[36:37], v[20:21], v[36:37]
	ds_read_b128 v[18:21], v24 offset:2816
	s_waitcnt lgkmcnt(0)
	v_mul_f64 v[38:39], v[8:9], v[20:21]
	v_fma_f64 v[38:39], v[6:7], v[18:19], -v[38:39]
	v_mul_f64 v[6:7], v[6:7], v[20:21]
	v_add_f64 v[2:3], v[2:3], v[38:39]
	v_fma_f64 v[6:7], v[8:9], v[18:19], v[6:7]
	v_add_f64 v[30:31], v[6:7], v[30:31]
	ds_read_b128 v[6:9], v25 offset:2128
	s_waitcnt lgkmcnt(0)
	v_mul_f64 v[38:39], v[8:9], v[16:17]
	v_mul_f64 v[16:17], v[6:7], v[16:17]
	v_fma_f64 v[38:39], v[6:7], v[14:15], -v[38:39]
	v_fma_f64 v[14:15], v[8:9], v[14:15], v[16:17]
	v_add_f64 v[32:33], v[32:33], v[38:39]
	v_add_f64 v[34:35], v[14:15], v[34:35]
	v_mul_f64 v[14:15], v[8:9], v[20:21]
	v_fma_f64 v[14:15], v[6:7], v[18:19], -v[14:15]
	v_mul_f64 v[6:7], v[6:7], v[20:21]
	v_add_f64 v[26:27], v[26:27], v[14:15]
	v_fma_f64 v[6:7], v[8:9], v[18:19], v[6:7]
	v_add_f64 v[28:29], v[6:7], v[28:29]
	ds_read_b128 v[6:9], v25 offset:96
	;; [unrolled: 31-line block ×3, first 2 shown]
	ds_read_b128 v[16:19], v24 offset:3584
	ds_read_b128 v[26:29], v24 offset:3840
	s_waitcnt lgkmcnt(1)
	v_mul_f64 v[14:15], v[8:9], v[18:19]
	v_mul_f64 v[20:21], v[6:7], v[18:19]
	v_fma_f64 v[14:15], v[6:7], v[16:17], -v[14:15]
	v_fma_f64 v[20:21], v[8:9], v[16:17], v[20:21]
	v_add_f64 v[10:11], v[10:11], v[14:15]
	s_waitcnt lgkmcnt(0)
	v_mul_f64 v[14:15], v[8:9], v[28:29]
	v_add_f64 v[20:21], v[20:21], v[36:37]
	v_fma_f64 v[14:15], v[6:7], v[26:27], -v[14:15]
	v_mul_f64 v[6:7], v[6:7], v[28:29]
	v_add_f64 v[2:3], v[2:3], v[14:15]
	v_fma_f64 v[6:7], v[8:9], v[26:27], v[6:7]
	v_add_f64 v[14:15], v[6:7], v[30:31]
	ds_read_b128 v[30:33], v25 offset:2160
	s_waitcnt lgkmcnt(0)
	s_barrier
	v_mul_f64 v[6:7], v[32:33], v[18:19]
	v_mul_f64 v[8:9], v[30:31], v[18:19]
	v_fma_f64 v[6:7], v[30:31], v[16:17], -v[6:7]
	v_fma_f64 v[16:17], v[32:33], v[16:17], v[8:9]
	v_add_f64 v[8:9], v[38:39], v[6:7]
	v_add_f64 v[18:19], v[16:17], v[34:35]
	v_mul_f64 v[6:7], v[32:33], v[28:29]
	v_mul_f64 v[16:17], v[30:31], v[28:29]
	v_fma_f64 v[6:7], v[30:31], v[26:27], -v[6:7]
	v_fma_f64 v[16:17], v[32:33], v[26:27], v[16:17]
	v_mov_b32_e32 v27, s1
	v_mov_b32_e32 v26, s0
	v_cmp_le_u64_e32 vcc, s[12:13], v[26:27]
	v_add_f64 v[6:7], v[40:41], v[6:7]
	v_add_f64 v[16:17], v[16:17], v[42:43]
	s_cbranch_vccz .LBB1324_2
	s_branch .LBB1324_4
.LBB1324_3:
	v_mov_b32_e32 v10, 0
	v_mov_b32_e32 v20, 0
	;; [unrolled: 1-line block ×16, first 2 shown]
.LBB1324_4:
	s_load_dwordx4 s[12:15], s[4:5], 0x48
	s_load_dword s9, s[4:5], 0x0
	v_add_u32_e32 v22, s3, v1
	v_ashrrev_i32_e32 v1, 31, v22
	v_add_u32_e32 v0, s2, v0
	s_waitcnt lgkmcnt(0)
	v_mul_lo_u32 v1, s12, v1
	v_mul_lo_u32 v12, s13, v22
	v_mad_u64_u32 v[4:5], s[4:5], s12, v22, 0
	s_mul_i32 s1, s15, s8
	s_mul_hi_u32 s3, s14, s8
	s_mul_i32 s0, s14, s8
	s_add_i32 s1, s3, s1
	s_lshl_b64 s[0:1], s[0:1], 4
	v_add3_u32 v5, v5, v1, v12
	s_add_u32 s6, s26, s0
	v_lshlrev_b64 v[4:5], 4, v[4:5]
	s_addc_u32 s7, s27, s1
	v_mov_b32_e32 v1, s7
	v_add_co_u32_e32 v4, vcc, s6, v4
	v_addc_co_u32_e32 v5, vcc, v1, v5, vcc
	v_cmp_le_i32_e64 s[0:1], v22, v0
	v_cmp_gt_i32_e32 vcc, s9, v0
	s_and_b64 s[0:1], s[0:1], vcc
	s_and_saveexec_b64 s[2:3], s[0:1]
	s_cbranch_execz .LBB1324_6
; %bb.5:
	v_ashrrev_i32_e32 v1, 31, v0
	v_lshlrev_b64 v[12:13], 4, v[0:1]
	v_add_co_u32_e64 v23, s[0:1], v4, v12
	v_addc_co_u32_e64 v24, s[0:1], v5, v13, s[0:1]
	v_cmp_ne_u32_e64 s[0:1], v22, v0
	v_cndmask_b32_e64 v13, 0, v21, s[0:1]
	v_cndmask_b32_e64 v12, 0, v20, s[0:1]
	global_store_dwordx4 v[23:24], v[10:13], off
.LBB1324_6:
	s_or_b64 exec, exec, s[2:3]
	v_add_u32_e32 v12, 16, v0
	v_cmp_le_i32_e64 s[2:3], v22, v12
	v_cmp_gt_i32_e64 s[0:1], s9, v12
	s_and_b64 s[2:3], s[2:3], s[0:1]
	s_and_saveexec_b64 s[4:5], s[2:3]
	s_cbranch_execz .LBB1324_8
; %bb.7:
	v_ashrrev_i32_e32 v13, 31, v12
	v_lshlrev_b64 v[10:11], 4, v[12:13]
	v_add_co_u32_e64 v10, s[2:3], v4, v10
	v_addc_co_u32_e64 v11, s[2:3], v5, v11, s[2:3]
	v_cmp_ne_u32_e64 s[2:3], v22, v12
	v_cndmask_b32_e64 v5, 0, v15, s[2:3]
	v_cndmask_b32_e64 v4, 0, v14, s[2:3]
	global_store_dwordx4 v[10:11], v[2:5], off
.LBB1324_8:
	s_or_b64 exec, exec, s[4:5]
	v_add_u32_e32 v2, 16, v22
	v_ashrrev_i32_e32 v1, 31, v2
	v_mul_lo_u32 v5, s13, v2
	v_mad_u64_u32 v[3:4], s[2:3], s12, v2, 0
	v_mul_lo_u32 v1, s12, v1
	v_add3_u32 v4, v4, v1, v5
	v_lshlrev_b64 v[3:4], 4, v[3:4]
	v_mov_b32_e32 v1, s7
	v_add_co_u32_e64 v3, s[2:3], s6, v3
	v_addc_co_u32_e64 v4, s[2:3], v1, v4, s[2:3]
	v_cmp_le_i32_e64 s[2:3], v2, v0
	s_and_b64 s[4:5], s[2:3], vcc
	s_and_saveexec_b64 s[2:3], s[4:5]
	s_cbranch_execz .LBB1324_10
; %bb.9:
	v_ashrrev_i32_e32 v1, 31, v0
	v_lshlrev_b64 v[10:11], 4, v[0:1]
	v_add_co_u32_e32 v13, vcc, v3, v10
	v_addc_co_u32_e32 v14, vcc, v4, v11, vcc
	v_cmp_ne_u32_e32 vcc, v2, v0
	v_cndmask_b32_e32 v11, 0, v19, vcc
	v_cndmask_b32_e32 v10, 0, v18, vcc
	global_store_dwordx4 v[13:14], v[8:11], off
.LBB1324_10:
	s_or_b64 exec, exec, s[2:3]
	v_cmp_le_i32_e32 vcc, v2, v12
	s_and_b64 s[0:1], vcc, s[0:1]
	s_and_saveexec_b64 s[2:3], s[0:1]
	s_cbranch_execz .LBB1324_12
; %bb.11:
	v_ashrrev_i32_e32 v13, 31, v12
	v_lshlrev_b64 v[1:2], 4, v[12:13]
	v_add_co_u32_e32 v1, vcc, v3, v1
	v_addc_co_u32_e32 v2, vcc, v4, v2, vcc
	v_cmp_ne_u32_e32 vcc, v22, v0
	v_cndmask_b32_e32 v9, 0, v17, vcc
	v_cndmask_b32_e32 v8, 0, v16, vcc
	global_store_dwordx4 v[1:2], v[6:9], off
.LBB1324_12:
	s_endpgm
	.section	.rodata,"a",@progbits
	.p2align	6, 0x0
	.amdhsa_kernel _ZL37rocblas_syrkx_herkx_restricted_kernelIl19rocblas_complex_numIdELi16ELi32ELi8ELi1ELi0ELb1ELc67ELc76EKS1_S1_EviT_PT9_S3_lS5_S3_lPT10_S3_li
		.amdhsa_group_segment_fixed_size 8192
		.amdhsa_private_segment_fixed_size 0
		.amdhsa_kernarg_size 92
		.amdhsa_user_sgpr_count 6
		.amdhsa_user_sgpr_private_segment_buffer 1
		.amdhsa_user_sgpr_dispatch_ptr 0
		.amdhsa_user_sgpr_queue_ptr 0
		.amdhsa_user_sgpr_kernarg_segment_ptr 1
		.amdhsa_user_sgpr_dispatch_id 0
		.amdhsa_user_sgpr_flat_scratch_init 0
		.amdhsa_user_sgpr_private_segment_size 0
		.amdhsa_uses_dynamic_stack 0
		.amdhsa_system_sgpr_private_segment_wavefront_offset 0
		.amdhsa_system_sgpr_workgroup_id_x 1
		.amdhsa_system_sgpr_workgroup_id_y 1
		.amdhsa_system_sgpr_workgroup_id_z 1
		.amdhsa_system_sgpr_workgroup_info 0
		.amdhsa_system_vgpr_workitem_id 1
		.amdhsa_next_free_vgpr 52
		.amdhsa_next_free_sgpr 61
		.amdhsa_reserve_vcc 1
		.amdhsa_reserve_flat_scratch 0
		.amdhsa_float_round_mode_32 0
		.amdhsa_float_round_mode_16_64 0
		.amdhsa_float_denorm_mode_32 3
		.amdhsa_float_denorm_mode_16_64 3
		.amdhsa_dx10_clamp 1
		.amdhsa_ieee_mode 1
		.amdhsa_fp16_overflow 0
		.amdhsa_exception_fp_ieee_invalid_op 0
		.amdhsa_exception_fp_denorm_src 0
		.amdhsa_exception_fp_ieee_div_zero 0
		.amdhsa_exception_fp_ieee_overflow 0
		.amdhsa_exception_fp_ieee_underflow 0
		.amdhsa_exception_fp_ieee_inexact 0
		.amdhsa_exception_int_div_zero 0
	.end_amdhsa_kernel
	.section	.text._ZL37rocblas_syrkx_herkx_restricted_kernelIl19rocblas_complex_numIdELi16ELi32ELi8ELi1ELi0ELb1ELc67ELc76EKS1_S1_EviT_PT9_S3_lS5_S3_lPT10_S3_li,"axG",@progbits,_ZL37rocblas_syrkx_herkx_restricted_kernelIl19rocblas_complex_numIdELi16ELi32ELi8ELi1ELi0ELb1ELc67ELc76EKS1_S1_EviT_PT9_S3_lS5_S3_lPT10_S3_li,comdat
.Lfunc_end1324:
	.size	_ZL37rocblas_syrkx_herkx_restricted_kernelIl19rocblas_complex_numIdELi16ELi32ELi8ELi1ELi0ELb1ELc67ELc76EKS1_S1_EviT_PT9_S3_lS5_S3_lPT10_S3_li, .Lfunc_end1324-_ZL37rocblas_syrkx_herkx_restricted_kernelIl19rocblas_complex_numIdELi16ELi32ELi8ELi1ELi0ELb1ELc67ELc76EKS1_S1_EviT_PT9_S3_lS5_S3_lPT10_S3_li
                                        ; -- End function
	.set _ZL37rocblas_syrkx_herkx_restricted_kernelIl19rocblas_complex_numIdELi16ELi32ELi8ELi1ELi0ELb1ELc67ELc76EKS1_S1_EviT_PT9_S3_lS5_S3_lPT10_S3_li.num_vgpr, 52
	.set _ZL37rocblas_syrkx_herkx_restricted_kernelIl19rocblas_complex_numIdELi16ELi32ELi8ELi1ELi0ELb1ELc67ELc76EKS1_S1_EviT_PT9_S3_lS5_S3_lPT10_S3_li.num_agpr, 0
	.set _ZL37rocblas_syrkx_herkx_restricted_kernelIl19rocblas_complex_numIdELi16ELi32ELi8ELi1ELi0ELb1ELc67ELc76EKS1_S1_EviT_PT9_S3_lS5_S3_lPT10_S3_li.numbered_sgpr, 28
	.set _ZL37rocblas_syrkx_herkx_restricted_kernelIl19rocblas_complex_numIdELi16ELi32ELi8ELi1ELi0ELb1ELc67ELc76EKS1_S1_EviT_PT9_S3_lS5_S3_lPT10_S3_li.num_named_barrier, 0
	.set _ZL37rocblas_syrkx_herkx_restricted_kernelIl19rocblas_complex_numIdELi16ELi32ELi8ELi1ELi0ELb1ELc67ELc76EKS1_S1_EviT_PT9_S3_lS5_S3_lPT10_S3_li.private_seg_size, 0
	.set _ZL37rocblas_syrkx_herkx_restricted_kernelIl19rocblas_complex_numIdELi16ELi32ELi8ELi1ELi0ELb1ELc67ELc76EKS1_S1_EviT_PT9_S3_lS5_S3_lPT10_S3_li.uses_vcc, 1
	.set _ZL37rocblas_syrkx_herkx_restricted_kernelIl19rocblas_complex_numIdELi16ELi32ELi8ELi1ELi0ELb1ELc67ELc76EKS1_S1_EviT_PT9_S3_lS5_S3_lPT10_S3_li.uses_flat_scratch, 0
	.set _ZL37rocblas_syrkx_herkx_restricted_kernelIl19rocblas_complex_numIdELi16ELi32ELi8ELi1ELi0ELb1ELc67ELc76EKS1_S1_EviT_PT9_S3_lS5_S3_lPT10_S3_li.has_dyn_sized_stack, 0
	.set _ZL37rocblas_syrkx_herkx_restricted_kernelIl19rocblas_complex_numIdELi16ELi32ELi8ELi1ELi0ELb1ELc67ELc76EKS1_S1_EviT_PT9_S3_lS5_S3_lPT10_S3_li.has_recursion, 0
	.set _ZL37rocblas_syrkx_herkx_restricted_kernelIl19rocblas_complex_numIdELi16ELi32ELi8ELi1ELi0ELb1ELc67ELc76EKS1_S1_EviT_PT9_S3_lS5_S3_lPT10_S3_li.has_indirect_call, 0
	.section	.AMDGPU.csdata,"",@progbits
; Kernel info:
; codeLenInByte = 2932
; TotalNumSgprs: 32
; NumVgprs: 52
; ScratchSize: 0
; MemoryBound: 0
; FloatMode: 240
; IeeeMode: 1
; LDSByteSize: 8192 bytes/workgroup (compile time only)
; SGPRBlocks: 8
; VGPRBlocks: 12
; NumSGPRsForWavesPerEU: 65
; NumVGPRsForWavesPerEU: 52
; Occupancy: 4
; WaveLimiterHint : 1
; COMPUTE_PGM_RSRC2:SCRATCH_EN: 0
; COMPUTE_PGM_RSRC2:USER_SGPR: 6
; COMPUTE_PGM_RSRC2:TRAP_HANDLER: 0
; COMPUTE_PGM_RSRC2:TGID_X_EN: 1
; COMPUTE_PGM_RSRC2:TGID_Y_EN: 1
; COMPUTE_PGM_RSRC2:TGID_Z_EN: 1
; COMPUTE_PGM_RSRC2:TIDIG_COMP_CNT: 1
	.section	.text._ZL37rocblas_syrkx_herkx_restricted_kernelIl19rocblas_complex_numIdELi16ELi32ELi8ELi1ELi0ELb1ELc78ELc76EKS1_S1_EviT_PT9_S3_lS5_S3_lPT10_S3_li,"axG",@progbits,_ZL37rocblas_syrkx_herkx_restricted_kernelIl19rocblas_complex_numIdELi16ELi32ELi8ELi1ELi0ELb1ELc78ELc76EKS1_S1_EviT_PT9_S3_lS5_S3_lPT10_S3_li,comdat
	.globl	_ZL37rocblas_syrkx_herkx_restricted_kernelIl19rocblas_complex_numIdELi16ELi32ELi8ELi1ELi0ELb1ELc78ELc76EKS1_S1_EviT_PT9_S3_lS5_S3_lPT10_S3_li ; -- Begin function _ZL37rocblas_syrkx_herkx_restricted_kernelIl19rocblas_complex_numIdELi16ELi32ELi8ELi1ELi0ELb1ELc78ELc76EKS1_S1_EviT_PT9_S3_lS5_S3_lPT10_S3_li
	.p2align	8
	.type	_ZL37rocblas_syrkx_herkx_restricted_kernelIl19rocblas_complex_numIdELi16ELi32ELi8ELi1ELi0ELb1ELc78ELc76EKS1_S1_EviT_PT9_S3_lS5_S3_lPT10_S3_li,@function
_ZL37rocblas_syrkx_herkx_restricted_kernelIl19rocblas_complex_numIdELi16ELi32ELi8ELi1ELi0ELb1ELc78ELc76EKS1_S1_EviT_PT9_S3_lS5_S3_lPT10_S3_li: ; @_ZL37rocblas_syrkx_herkx_restricted_kernelIl19rocblas_complex_numIdELi16ELi32ELi8ELi1ELi0ELb1ELc78ELc76EKS1_S1_EviT_PT9_S3_lS5_S3_lPT10_S3_li
; %bb.0:
	s_load_dwordx16 s[12:27], s[4:5], 0x8
	s_lshl_b32 s9, s6, 5
	s_lshl_b32 s10, s7, 5
	s_waitcnt lgkmcnt(0)
	v_cmp_lt_i64_e64 s[0:1], s[12:13], 1
	s_and_b64 vcc, exec, s[0:1]
	s_cbranch_vccnz .LBB1325_3
; %bb.1:
	v_lshl_add_u32 v6, v1, 4, v0
	v_lshrrev_b32_e32 v7, 3, v6
	v_add_u32_e32 v2, s10, v7
	v_and_b32_e32 v5, 7, v0
	v_ashrrev_i32_e32 v3, 31, v2
	v_mad_u64_u32 v[2:3], s[0:1], s22, v5, v[2:3]
	v_lshrrev_b32_e32 v8, 5, v6
	s_mul_i32 s2, s19, s8
	v_mad_u64_u32 v[3:4], s[0:1], s23, v5, v[3:4]
	v_and_b32_e32 v4, 31, v6
	v_lshlrev_b32_e32 v5, 4, v5
	v_lshlrev_b32_e32 v6, 4, v4
	v_lshl_or_b32 v5, v7, 7, v5
	v_add_u32_e32 v4, s9, v4
	v_add_u32_e32 v23, 0x1000, v5
	v_ashrrev_i32_e32 v5, 31, v4
	v_mad_u64_u32 v[4:5], s[0:1], s16, v8, v[4:5]
	v_lshl_or_b32 v22, v8, 9, v6
	v_mov_b32_e32 v6, 0x1000
	v_lshl_add_u32 v25, v1, 7, v6
	v_mad_u64_u32 v[5:6], s[0:1], s17, v8, v[5:6]
	s_mul_hi_u32 s3, s18, s8
	s_add_i32 s1, s3, s2
	s_mul_i32 s0, s18, s8
	s_lshl_b64 s[0:1], s[0:1], 4
	v_lshlrev_b64 v[4:5], 4, v[4:5]
	s_add_u32 s0, s14, s0
	s_addc_u32 s1, s15, s1
	s_mul_i32 s2, s25, s8
	s_mul_hi_u32 s3, s24, s8
	v_mov_b32_e32 v6, s1
	v_add_co_u32_e32 v4, vcc, s0, v4
	s_add_i32 s3, s3, s2
	s_mul_i32 s2, s24, s8
	v_addc_co_u32_e32 v5, vcc, v6, v5, vcc
	s_lshl_b64 s[0:1], s[16:17], 7
	s_lshl_b64 s[2:3], s[2:3], 4
	v_add_co_u32_e32 v4, vcc, 8, v4
	v_lshlrev_b64 v[2:3], 4, v[2:3]
	s_add_u32 s2, s20, s2
	v_addc_co_u32_e32 v5, vcc, 0, v5, vcc
	s_addc_u32 s3, s21, s3
	v_mov_b32_e32 v6, s3
	v_add_co_u32_e32 v2, vcc, s2, v2
	v_addc_co_u32_e32 v3, vcc, v6, v3, vcc
	v_add_co_u32_e32 v12, vcc, 8, v2
	v_addc_co_u32_e32 v13, vcc, 0, v3, vcc
	s_lshl_b64 s[2:3], s[22:23], 7
	v_mov_b32_e32 v16, 0
	v_mov_b32_e32 v6, 0
	;; [unrolled: 1-line block ×8, first 2 shown]
	v_lshlrev_b32_e32 v24, 4, v0
	v_mov_b32_e32 v17, 0
	s_mov_b64 s[6:7], 0
	v_mov_b32_e32 v26, s1
	v_mov_b32_e32 v7, 0
	v_mov_b32_e32 v19, 0
	v_mov_b32_e32 v9, 0
	v_mov_b32_e32 v15, 0
	v_mov_b32_e32 v21, 0
	v_mov_b32_e32 v3, 0
	v_mov_b32_e32 v11, 0
	v_mov_b32_e32 v27, s3
.LBB1325_2:                             ; =>This Inner Loop Header: Depth=1
	global_load_dwordx4 v[28:31], v[4:5], off offset:-8
	s_add_u32 s6, s6, 8
	v_add_co_u32_e32 v4, vcc, s0, v4
	s_addc_u32 s7, s7, 0
	v_addc_co_u32_e32 v5, vcc, v5, v26, vcc
	s_waitcnt vmcnt(0)
	ds_write_b128 v22, v[28:31]
	global_load_dwordx4 v[28:31], v[12:13], off offset:-8
	v_add_co_u32_e32 v12, vcc, s2, v12
	v_addc_co_u32_e32 v13, vcc, v13, v27, vcc
	s_waitcnt vmcnt(0)
	v_xor_b32_e32 v31, 0x80000000, v31
	ds_write_b128 v23, v[28:31]
	s_waitcnt lgkmcnt(0)
	s_barrier
	ds_read_b128 v[28:31], v25
	ds_read_b128 v[32:35], v25 offset:16
	ds_read_b128 v[36:39], v25 offset:32
	;; [unrolled: 1-line block ×3, first 2 shown]
	ds_read_b128 v[44:47], v24
	s_waitcnt lgkmcnt(0)
	v_mul_f64 v[48:49], v[30:31], v[46:47]
	v_mul_f64 v[50:51], v[28:29], v[46:47]
	v_fma_f64 v[48:49], v[28:29], v[44:45], -v[48:49]
	v_fma_f64 v[50:51], v[30:31], v[44:45], v[50:51]
	v_add_f64 v[10:11], v[10:11], v[48:49]
	v_add_f64 v[20:21], v[50:51], v[20:21]
	ds_read_b128 v[48:51], v24 offset:256
	s_waitcnt lgkmcnt(0)
	v_mul_f64 v[52:53], v[30:31], v[50:51]
	v_fma_f64 v[52:53], v[28:29], v[48:49], -v[52:53]
	v_mul_f64 v[28:29], v[28:29], v[50:51]
	v_add_f64 v[2:3], v[2:3], v[52:53]
	v_fma_f64 v[28:29], v[30:31], v[48:49], v[28:29]
	v_add_f64 v[52:53], v[28:29], v[14:15]
	ds_read_b128 v[28:31], v25 offset:2048
	s_waitcnt lgkmcnt(0)
	v_mul_f64 v[14:15], v[30:31], v[46:47]
	v_mul_f64 v[46:47], v[28:29], v[46:47]
	v_fma_f64 v[14:15], v[28:29], v[44:45], -v[14:15]
	v_fma_f64 v[44:45], v[30:31], v[44:45], v[46:47]
	v_add_f64 v[46:47], v[8:9], v[14:15]
	v_mul_f64 v[8:9], v[30:31], v[50:51]
	v_mul_f64 v[14:15], v[28:29], v[50:51]
	v_add_f64 v[44:45], v[44:45], v[18:19]
	v_fma_f64 v[8:9], v[28:29], v[48:49], -v[8:9]
	v_fma_f64 v[14:15], v[30:31], v[48:49], v[14:15]
	v_add_f64 v[28:29], v[6:7], v[8:9]
	ds_read_b128 v[6:9], v24 offset:512
	v_add_f64 v[30:31], v[14:15], v[16:17]
	s_waitcnt lgkmcnt(0)
	v_mul_f64 v[14:15], v[34:35], v[8:9]
	v_mul_f64 v[16:17], v[32:33], v[8:9]
	v_fma_f64 v[14:15], v[32:33], v[6:7], -v[14:15]
	v_fma_f64 v[16:17], v[34:35], v[6:7], v[16:17]
	v_add_f64 v[10:11], v[10:11], v[14:15]
	v_add_f64 v[48:49], v[16:17], v[20:21]
	ds_read_b128 v[14:17], v24 offset:768
	s_waitcnt lgkmcnt(0)
	v_mul_f64 v[18:19], v[34:35], v[16:17]
	v_mul_f64 v[20:21], v[32:33], v[16:17]
	v_fma_f64 v[18:19], v[32:33], v[14:15], -v[18:19]
	v_fma_f64 v[20:21], v[34:35], v[14:15], v[20:21]
	v_add_f64 v[2:3], v[2:3], v[18:19]
	v_add_f64 v[32:33], v[20:21], v[52:53]
	ds_read_b128 v[18:21], v25 offset:2064
	s_waitcnt lgkmcnt(0)
	v_mul_f64 v[34:35], v[20:21], v[8:9]
	v_mul_f64 v[8:9], v[18:19], v[8:9]
	v_fma_f64 v[34:35], v[18:19], v[6:7], -v[34:35]
	v_fma_f64 v[6:7], v[20:21], v[6:7], v[8:9]
	v_mul_f64 v[8:9], v[18:19], v[16:17]
	v_add_f64 v[34:35], v[46:47], v[34:35]
	v_add_f64 v[44:45], v[6:7], v[44:45]
	v_mul_f64 v[6:7], v[20:21], v[16:17]
	v_fma_f64 v[8:9], v[20:21], v[14:15], v[8:9]
	v_fma_f64 v[6:7], v[18:19], v[14:15], -v[6:7]
	v_add_f64 v[30:31], v[8:9], v[30:31]
	v_add_f64 v[28:29], v[28:29], v[6:7]
	ds_read_b128 v[6:9], v24 offset:1024
	s_waitcnt lgkmcnt(0)
	v_mul_f64 v[14:15], v[38:39], v[8:9]
	v_mul_f64 v[16:17], v[36:37], v[8:9]
	v_fma_f64 v[14:15], v[36:37], v[6:7], -v[14:15]
	v_fma_f64 v[16:17], v[38:39], v[6:7], v[16:17]
	v_add_f64 v[10:11], v[10:11], v[14:15]
	v_add_f64 v[46:47], v[16:17], v[48:49]
	ds_read_b128 v[14:17], v24 offset:1280
	s_waitcnt lgkmcnt(0)
	v_mul_f64 v[18:19], v[38:39], v[16:17]
	v_mul_f64 v[20:21], v[36:37], v[16:17]
	v_fma_f64 v[18:19], v[36:37], v[14:15], -v[18:19]
	v_fma_f64 v[20:21], v[38:39], v[14:15], v[20:21]
	v_add_f64 v[2:3], v[2:3], v[18:19]
	v_add_f64 v[32:33], v[20:21], v[32:33]
	ds_read_b128 v[18:21], v25 offset:2080
	s_waitcnt lgkmcnt(0)
	v_mul_f64 v[36:37], v[20:21], v[8:9]
	v_mul_f64 v[8:9], v[18:19], v[8:9]
	v_fma_f64 v[36:37], v[18:19], v[6:7], -v[36:37]
	v_fma_f64 v[6:7], v[20:21], v[6:7], v[8:9]
	v_mul_f64 v[8:9], v[18:19], v[16:17]
	v_add_f64 v[34:35], v[34:35], v[36:37]
	v_add_f64 v[36:37], v[6:7], v[44:45]
	v_mul_f64 v[6:7], v[20:21], v[16:17]
	v_fma_f64 v[8:9], v[20:21], v[14:15], v[8:9]
	v_fma_f64 v[6:7], v[18:19], v[14:15], -v[6:7]
	v_add_f64 v[30:31], v[8:9], v[30:31]
	v_add_f64 v[28:29], v[28:29], v[6:7]
	ds_read_b128 v[6:9], v24 offset:1536
	;; [unrolled: 30-line block ×3, first 2 shown]
	ds_read_b128 v[14:17], v24 offset:2048
	s_waitcnt lgkmcnt(0)
	v_mul_f64 v[18:19], v[8:9], v[16:17]
	v_mul_f64 v[20:21], v[6:7], v[16:17]
	v_fma_f64 v[18:19], v[6:7], v[14:15], -v[18:19]
	v_fma_f64 v[20:21], v[8:9], v[14:15], v[20:21]
	v_add_f64 v[10:11], v[10:11], v[18:19]
	v_add_f64 v[38:39], v[20:21], v[38:39]
	ds_read_b128 v[18:21], v24 offset:2304
	s_waitcnt lgkmcnt(0)
	v_mul_f64 v[40:41], v[8:9], v[20:21]
	v_fma_f64 v[40:41], v[6:7], v[18:19], -v[40:41]
	v_mul_f64 v[6:7], v[6:7], v[20:21]
	v_add_f64 v[2:3], v[2:3], v[40:41]
	v_fma_f64 v[6:7], v[8:9], v[18:19], v[6:7]
	v_add_f64 v[32:33], v[6:7], v[32:33]
	ds_read_b128 v[6:9], v25 offset:2112
	s_waitcnt lgkmcnt(0)
	v_mul_f64 v[40:41], v[8:9], v[16:17]
	v_mul_f64 v[16:17], v[6:7], v[16:17]
	v_fma_f64 v[40:41], v[6:7], v[14:15], -v[40:41]
	v_fma_f64 v[14:15], v[8:9], v[14:15], v[16:17]
	v_add_f64 v[34:35], v[34:35], v[40:41]
	v_add_f64 v[36:37], v[14:15], v[36:37]
	v_mul_f64 v[14:15], v[8:9], v[20:21]
	v_fma_f64 v[14:15], v[6:7], v[18:19], -v[14:15]
	v_mul_f64 v[6:7], v[6:7], v[20:21]
	v_add_f64 v[28:29], v[28:29], v[14:15]
	v_fma_f64 v[6:7], v[8:9], v[18:19], v[6:7]
	v_add_f64 v[30:31], v[6:7], v[30:31]
	ds_read_b128 v[6:9], v25 offset:80
	ds_read_b128 v[14:17], v24 offset:2560
	s_waitcnt lgkmcnt(0)
	v_mul_f64 v[18:19], v[8:9], v[16:17]
	v_mul_f64 v[20:21], v[6:7], v[16:17]
	v_fma_f64 v[18:19], v[6:7], v[14:15], -v[18:19]
	v_fma_f64 v[20:21], v[8:9], v[14:15], v[20:21]
	v_add_f64 v[10:11], v[10:11], v[18:19]
	v_add_f64 v[38:39], v[20:21], v[38:39]
	ds_read_b128 v[18:21], v24 offset:2816
	s_waitcnt lgkmcnt(0)
	v_mul_f64 v[40:41], v[8:9], v[20:21]
	v_fma_f64 v[40:41], v[6:7], v[18:19], -v[40:41]
	v_mul_f64 v[6:7], v[6:7], v[20:21]
	v_add_f64 v[2:3], v[2:3], v[40:41]
	v_fma_f64 v[6:7], v[8:9], v[18:19], v[6:7]
	v_add_f64 v[32:33], v[6:7], v[32:33]
	ds_read_b128 v[6:9], v25 offset:2128
	s_waitcnt lgkmcnt(0)
	v_mul_f64 v[40:41], v[8:9], v[16:17]
	v_mul_f64 v[16:17], v[6:7], v[16:17]
	v_fma_f64 v[40:41], v[6:7], v[14:15], -v[40:41]
	v_fma_f64 v[14:15], v[8:9], v[14:15], v[16:17]
	v_add_f64 v[34:35], v[34:35], v[40:41]
	v_add_f64 v[36:37], v[14:15], v[36:37]
	v_mul_f64 v[14:15], v[8:9], v[20:21]
	v_fma_f64 v[14:15], v[6:7], v[18:19], -v[14:15]
	v_mul_f64 v[6:7], v[6:7], v[20:21]
	v_add_f64 v[28:29], v[28:29], v[14:15]
	v_fma_f64 v[6:7], v[8:9], v[18:19], v[6:7]
	v_add_f64 v[30:31], v[6:7], v[30:31]
	ds_read_b128 v[6:9], v25 offset:96
	;; [unrolled: 31-line block ×3, first 2 shown]
	ds_read_b128 v[16:19], v24 offset:3584
	ds_read_b128 v[28:31], v24 offset:3840
	s_waitcnt lgkmcnt(1)
	v_mul_f64 v[14:15], v[8:9], v[18:19]
	v_mul_f64 v[20:21], v[6:7], v[18:19]
	v_fma_f64 v[14:15], v[6:7], v[16:17], -v[14:15]
	v_fma_f64 v[20:21], v[8:9], v[16:17], v[20:21]
	v_add_f64 v[10:11], v[10:11], v[14:15]
	s_waitcnt lgkmcnt(0)
	v_mul_f64 v[14:15], v[8:9], v[30:31]
	v_add_f64 v[20:21], v[20:21], v[38:39]
	v_fma_f64 v[14:15], v[6:7], v[28:29], -v[14:15]
	v_mul_f64 v[6:7], v[6:7], v[30:31]
	v_add_f64 v[2:3], v[2:3], v[14:15]
	v_fma_f64 v[6:7], v[8:9], v[28:29], v[6:7]
	v_add_f64 v[14:15], v[6:7], v[32:33]
	ds_read_b128 v[32:35], v25 offset:2160
	s_waitcnt lgkmcnt(0)
	s_barrier
	v_mul_f64 v[6:7], v[34:35], v[18:19]
	v_mul_f64 v[8:9], v[32:33], v[18:19]
	v_fma_f64 v[6:7], v[32:33], v[16:17], -v[6:7]
	v_fma_f64 v[16:17], v[34:35], v[16:17], v[8:9]
	v_add_f64 v[8:9], v[40:41], v[6:7]
	v_add_f64 v[18:19], v[16:17], v[36:37]
	v_mul_f64 v[6:7], v[34:35], v[30:31]
	v_mul_f64 v[16:17], v[32:33], v[30:31]
	v_fma_f64 v[6:7], v[32:33], v[28:29], -v[6:7]
	v_fma_f64 v[16:17], v[34:35], v[28:29], v[16:17]
	v_mov_b32_e32 v29, s7
	v_mov_b32_e32 v28, s6
	v_cmp_le_u64_e32 vcc, s[12:13], v[28:29]
	v_add_f64 v[6:7], v[42:43], v[6:7]
	v_add_f64 v[16:17], v[16:17], v[44:45]
	s_cbranch_vccz .LBB1325_2
	s_branch .LBB1325_4
.LBB1325_3:
	v_mov_b32_e32 v10, 0
	v_mov_b32_e32 v20, 0
	;; [unrolled: 1-line block ×16, first 2 shown]
.LBB1325_4:
	s_load_dwordx4 s[12:15], s[4:5], 0x48
	s_load_dword s11, s[4:5], 0x0
	v_add_u32_e32 v22, s10, v1
	v_ashrrev_i32_e32 v1, 31, v22
	v_add_u32_e32 v0, s9, v0
	s_waitcnt lgkmcnt(0)
	s_mul_i32 s1, s15, s8
	s_mul_hi_u32 s2, s14, s8
	s_add_i32 s1, s2, s1
	v_mul_lo_u32 v1, s12, v1
	v_mul_lo_u32 v12, s13, v22
	v_mad_u64_u32 v[4:5], s[2:3], s12, v22, 0
	s_mul_i32 s0, s14, s8
	s_lshl_b64 s[0:1], s[0:1], 4
	v_add3_u32 v5, v5, v1, v12
	s_add_u32 s6, s26, s0
	v_lshlrev_b64 v[4:5], 4, v[4:5]
	s_addc_u32 s7, s27, s1
	v_mov_b32_e32 v1, s7
	v_add_co_u32_e32 v4, vcc, s6, v4
	v_addc_co_u32_e32 v5, vcc, v1, v5, vcc
	v_cmp_le_i32_e64 s[0:1], v22, v0
	v_cmp_gt_i32_e32 vcc, s11, v0
	s_and_b64 s[0:1], s[0:1], vcc
	s_and_saveexec_b64 s[2:3], s[0:1]
	s_cbranch_execz .LBB1325_6
; %bb.5:
	v_ashrrev_i32_e32 v1, 31, v0
	v_lshlrev_b64 v[12:13], 4, v[0:1]
	v_add_co_u32_e64 v23, s[0:1], v4, v12
	v_addc_co_u32_e64 v24, s[0:1], v5, v13, s[0:1]
	v_cmp_ne_u32_e64 s[0:1], v22, v0
	v_cndmask_b32_e64 v13, 0, v21, s[0:1]
	v_cndmask_b32_e64 v12, 0, v20, s[0:1]
	global_store_dwordx4 v[23:24], v[10:13], off
.LBB1325_6:
	s_or_b64 exec, exec, s[2:3]
	v_add_u32_e32 v12, 16, v0
	v_cmp_le_i32_e64 s[2:3], v22, v12
	v_cmp_gt_i32_e64 s[0:1], s11, v12
	s_and_b64 s[2:3], s[2:3], s[0:1]
	s_and_saveexec_b64 s[4:5], s[2:3]
	s_cbranch_execz .LBB1325_8
; %bb.7:
	v_ashrrev_i32_e32 v13, 31, v12
	v_lshlrev_b64 v[10:11], 4, v[12:13]
	v_add_co_u32_e64 v10, s[2:3], v4, v10
	v_addc_co_u32_e64 v11, s[2:3], v5, v11, s[2:3]
	v_cmp_ne_u32_e64 s[2:3], v22, v12
	v_cndmask_b32_e64 v5, 0, v15, s[2:3]
	v_cndmask_b32_e64 v4, 0, v14, s[2:3]
	global_store_dwordx4 v[10:11], v[2:5], off
.LBB1325_8:
	s_or_b64 exec, exec, s[4:5]
	v_add_u32_e32 v2, 16, v22
	v_ashrrev_i32_e32 v1, 31, v2
	v_mul_lo_u32 v5, s13, v2
	v_mad_u64_u32 v[3:4], s[2:3], s12, v2, 0
	v_mul_lo_u32 v1, s12, v1
	v_add3_u32 v4, v4, v1, v5
	v_lshlrev_b64 v[3:4], 4, v[3:4]
	v_mov_b32_e32 v1, s7
	v_add_co_u32_e64 v3, s[2:3], s6, v3
	v_addc_co_u32_e64 v4, s[2:3], v1, v4, s[2:3]
	v_cmp_le_i32_e64 s[2:3], v2, v0
	s_and_b64 s[4:5], s[2:3], vcc
	s_and_saveexec_b64 s[2:3], s[4:5]
	s_cbranch_execz .LBB1325_10
; %bb.9:
	v_ashrrev_i32_e32 v1, 31, v0
	v_lshlrev_b64 v[10:11], 4, v[0:1]
	v_add_co_u32_e32 v13, vcc, v3, v10
	v_addc_co_u32_e32 v14, vcc, v4, v11, vcc
	v_cmp_ne_u32_e32 vcc, v2, v0
	v_cndmask_b32_e32 v11, 0, v19, vcc
	v_cndmask_b32_e32 v10, 0, v18, vcc
	global_store_dwordx4 v[13:14], v[8:11], off
.LBB1325_10:
	s_or_b64 exec, exec, s[2:3]
	v_cmp_le_i32_e32 vcc, v2, v12
	s_and_b64 s[0:1], vcc, s[0:1]
	s_and_saveexec_b64 s[2:3], s[0:1]
	s_cbranch_execz .LBB1325_12
; %bb.11:
	v_ashrrev_i32_e32 v13, 31, v12
	v_lshlrev_b64 v[1:2], 4, v[12:13]
	v_add_co_u32_e32 v1, vcc, v3, v1
	v_addc_co_u32_e32 v2, vcc, v4, v2, vcc
	v_cmp_ne_u32_e32 vcc, v22, v0
	v_cndmask_b32_e32 v9, 0, v17, vcc
	v_cndmask_b32_e32 v8, 0, v16, vcc
	global_store_dwordx4 v[1:2], v[6:9], off
.LBB1325_12:
	s_endpgm
	.section	.rodata,"a",@progbits
	.p2align	6, 0x0
	.amdhsa_kernel _ZL37rocblas_syrkx_herkx_restricted_kernelIl19rocblas_complex_numIdELi16ELi32ELi8ELi1ELi0ELb1ELc78ELc76EKS1_S1_EviT_PT9_S3_lS5_S3_lPT10_S3_li
		.amdhsa_group_segment_fixed_size 8192
		.amdhsa_private_segment_fixed_size 0
		.amdhsa_kernarg_size 92
		.amdhsa_user_sgpr_count 6
		.amdhsa_user_sgpr_private_segment_buffer 1
		.amdhsa_user_sgpr_dispatch_ptr 0
		.amdhsa_user_sgpr_queue_ptr 0
		.amdhsa_user_sgpr_kernarg_segment_ptr 1
		.amdhsa_user_sgpr_dispatch_id 0
		.amdhsa_user_sgpr_flat_scratch_init 0
		.amdhsa_user_sgpr_private_segment_size 0
		.amdhsa_uses_dynamic_stack 0
		.amdhsa_system_sgpr_private_segment_wavefront_offset 0
		.amdhsa_system_sgpr_workgroup_id_x 1
		.amdhsa_system_sgpr_workgroup_id_y 1
		.amdhsa_system_sgpr_workgroup_id_z 1
		.amdhsa_system_sgpr_workgroup_info 0
		.amdhsa_system_vgpr_workitem_id 1
		.amdhsa_next_free_vgpr 54
		.amdhsa_next_free_sgpr 61
		.amdhsa_reserve_vcc 1
		.amdhsa_reserve_flat_scratch 0
		.amdhsa_float_round_mode_32 0
		.amdhsa_float_round_mode_16_64 0
		.amdhsa_float_denorm_mode_32 3
		.amdhsa_float_denorm_mode_16_64 3
		.amdhsa_dx10_clamp 1
		.amdhsa_ieee_mode 1
		.amdhsa_fp16_overflow 0
		.amdhsa_exception_fp_ieee_invalid_op 0
		.amdhsa_exception_fp_denorm_src 0
		.amdhsa_exception_fp_ieee_div_zero 0
		.amdhsa_exception_fp_ieee_overflow 0
		.amdhsa_exception_fp_ieee_underflow 0
		.amdhsa_exception_fp_ieee_inexact 0
		.amdhsa_exception_int_div_zero 0
	.end_amdhsa_kernel
	.section	.text._ZL37rocblas_syrkx_herkx_restricted_kernelIl19rocblas_complex_numIdELi16ELi32ELi8ELi1ELi0ELb1ELc78ELc76EKS1_S1_EviT_PT9_S3_lS5_S3_lPT10_S3_li,"axG",@progbits,_ZL37rocblas_syrkx_herkx_restricted_kernelIl19rocblas_complex_numIdELi16ELi32ELi8ELi1ELi0ELb1ELc78ELc76EKS1_S1_EviT_PT9_S3_lS5_S3_lPT10_S3_li,comdat
.Lfunc_end1325:
	.size	_ZL37rocblas_syrkx_herkx_restricted_kernelIl19rocblas_complex_numIdELi16ELi32ELi8ELi1ELi0ELb1ELc78ELc76EKS1_S1_EviT_PT9_S3_lS5_S3_lPT10_S3_li, .Lfunc_end1325-_ZL37rocblas_syrkx_herkx_restricted_kernelIl19rocblas_complex_numIdELi16ELi32ELi8ELi1ELi0ELb1ELc78ELc76EKS1_S1_EviT_PT9_S3_lS5_S3_lPT10_S3_li
                                        ; -- End function
	.set _ZL37rocblas_syrkx_herkx_restricted_kernelIl19rocblas_complex_numIdELi16ELi32ELi8ELi1ELi0ELb1ELc78ELc76EKS1_S1_EviT_PT9_S3_lS5_S3_lPT10_S3_li.num_vgpr, 54
	.set _ZL37rocblas_syrkx_herkx_restricted_kernelIl19rocblas_complex_numIdELi16ELi32ELi8ELi1ELi0ELb1ELc78ELc76EKS1_S1_EviT_PT9_S3_lS5_S3_lPT10_S3_li.num_agpr, 0
	.set _ZL37rocblas_syrkx_herkx_restricted_kernelIl19rocblas_complex_numIdELi16ELi32ELi8ELi1ELi0ELb1ELc78ELc76EKS1_S1_EviT_PT9_S3_lS5_S3_lPT10_S3_li.numbered_sgpr, 28
	.set _ZL37rocblas_syrkx_herkx_restricted_kernelIl19rocblas_complex_numIdELi16ELi32ELi8ELi1ELi0ELb1ELc78ELc76EKS1_S1_EviT_PT9_S3_lS5_S3_lPT10_S3_li.num_named_barrier, 0
	.set _ZL37rocblas_syrkx_herkx_restricted_kernelIl19rocblas_complex_numIdELi16ELi32ELi8ELi1ELi0ELb1ELc78ELc76EKS1_S1_EviT_PT9_S3_lS5_S3_lPT10_S3_li.private_seg_size, 0
	.set _ZL37rocblas_syrkx_herkx_restricted_kernelIl19rocblas_complex_numIdELi16ELi32ELi8ELi1ELi0ELb1ELc78ELc76EKS1_S1_EviT_PT9_S3_lS5_S3_lPT10_S3_li.uses_vcc, 1
	.set _ZL37rocblas_syrkx_herkx_restricted_kernelIl19rocblas_complex_numIdELi16ELi32ELi8ELi1ELi0ELb1ELc78ELc76EKS1_S1_EviT_PT9_S3_lS5_S3_lPT10_S3_li.uses_flat_scratch, 0
	.set _ZL37rocblas_syrkx_herkx_restricted_kernelIl19rocblas_complex_numIdELi16ELi32ELi8ELi1ELi0ELb1ELc78ELc76EKS1_S1_EviT_PT9_S3_lS5_S3_lPT10_S3_li.has_dyn_sized_stack, 0
	.set _ZL37rocblas_syrkx_herkx_restricted_kernelIl19rocblas_complex_numIdELi16ELi32ELi8ELi1ELi0ELb1ELc78ELc76EKS1_S1_EviT_PT9_S3_lS5_S3_lPT10_S3_li.has_recursion, 0
	.set _ZL37rocblas_syrkx_herkx_restricted_kernelIl19rocblas_complex_numIdELi16ELi32ELi8ELi1ELi0ELb1ELc78ELc76EKS1_S1_EviT_PT9_S3_lS5_S3_lPT10_S3_li.has_indirect_call, 0
	.section	.AMDGPU.csdata,"",@progbits
; Kernel info:
; codeLenInByte = 2900
; TotalNumSgprs: 32
; NumVgprs: 54
; ScratchSize: 0
; MemoryBound: 0
; FloatMode: 240
; IeeeMode: 1
; LDSByteSize: 8192 bytes/workgroup (compile time only)
; SGPRBlocks: 8
; VGPRBlocks: 13
; NumSGPRsForWavesPerEU: 65
; NumVGPRsForWavesPerEU: 54
; Occupancy: 4
; WaveLimiterHint : 1
; COMPUTE_PGM_RSRC2:SCRATCH_EN: 0
; COMPUTE_PGM_RSRC2:USER_SGPR: 6
; COMPUTE_PGM_RSRC2:TRAP_HANDLER: 0
; COMPUTE_PGM_RSRC2:TGID_X_EN: 1
; COMPUTE_PGM_RSRC2:TGID_Y_EN: 1
; COMPUTE_PGM_RSRC2:TGID_Z_EN: 1
; COMPUTE_PGM_RSRC2:TIDIG_COMP_CNT: 1
	.section	.text._ZL37rocblas_syrkx_herkx_restricted_kernelIl19rocblas_complex_numIdELi16ELi32ELi8ELi1ELi0ELb1ELc84ELc85EKS1_S1_EviT_PT9_S3_lS5_S3_lPT10_S3_li,"axG",@progbits,_ZL37rocblas_syrkx_herkx_restricted_kernelIl19rocblas_complex_numIdELi16ELi32ELi8ELi1ELi0ELb1ELc84ELc85EKS1_S1_EviT_PT9_S3_lS5_S3_lPT10_S3_li,comdat
	.globl	_ZL37rocblas_syrkx_herkx_restricted_kernelIl19rocblas_complex_numIdELi16ELi32ELi8ELi1ELi0ELb1ELc84ELc85EKS1_S1_EviT_PT9_S3_lS5_S3_lPT10_S3_li ; -- Begin function _ZL37rocblas_syrkx_herkx_restricted_kernelIl19rocblas_complex_numIdELi16ELi32ELi8ELi1ELi0ELb1ELc84ELc85EKS1_S1_EviT_PT9_S3_lS5_S3_lPT10_S3_li
	.p2align	8
	.type	_ZL37rocblas_syrkx_herkx_restricted_kernelIl19rocblas_complex_numIdELi16ELi32ELi8ELi1ELi0ELb1ELc84ELc85EKS1_S1_EviT_PT9_S3_lS5_S3_lPT10_S3_li,@function
_ZL37rocblas_syrkx_herkx_restricted_kernelIl19rocblas_complex_numIdELi16ELi32ELi8ELi1ELi0ELb1ELc84ELc85EKS1_S1_EviT_PT9_S3_lS5_S3_lPT10_S3_li: ; @_ZL37rocblas_syrkx_herkx_restricted_kernelIl19rocblas_complex_numIdELi16ELi32ELi8ELi1ELi0ELb1ELc84ELc85EKS1_S1_EviT_PT9_S3_lS5_S3_lPT10_S3_li
; %bb.0:
	s_load_dwordx16 s[12:27], s[4:5], 0x8
	s_lshl_b32 s2, s6, 5
	s_lshl_b32 s3, s7, 5
	s_waitcnt lgkmcnt(0)
	v_cmp_lt_i64_e64 s[0:1], s[12:13], 1
	s_and_b64 vcc, exec, s[0:1]
	s_cbranch_vccnz .LBB1326_3
; %bb.1:
	v_lshl_add_u32 v4, v1, 4, v0
	v_lshrrev_b32_e32 v8, 3, v4
	v_add_u32_e32 v5, s3, v8
	v_ashrrev_i32_e32 v6, 31, v5
	v_and_b32_e32 v2, 7, v0
	v_mov_b32_e32 v3, 0
	v_mul_lo_u32 v9, s22, v6
	v_mul_lo_u32 v10, s23, v5
	v_mad_u64_u32 v[6:7], s[0:1], s22, v5, v[2:3]
	v_lshlrev_b32_e32 v2, 4, v2
	v_lshl_or_b32 v2, v8, 7, v2
	v_add3_u32 v7, v10, v7, v9
	v_and_b32_e32 v9, 31, v4
	v_add_u32_e32 v23, 0x1000, v2
	v_mov_b32_e32 v2, 0x1000
	v_add_u32_e32 v8, s2, v9
	v_lshrrev_b32_e32 v4, 5, v4
	v_mov_b32_e32 v5, v3
	v_lshlrev_b32_e32 v3, 4, v9
	v_lshl_add_u32 v25, v1, 7, v2
	v_ashrrev_i32_e32 v2, 31, v8
	v_lshl_or_b32 v22, v4, 9, v3
	v_mul_lo_u32 v9, s16, v2
	v_mad_u64_u32 v[2:3], s[0:1], s16, v8, v[4:5]
	v_mul_lo_u32 v4, s17, v8
	s_mul_i32 s6, s19, s8
	s_mul_hi_u32 s7, s18, s8
	s_add_i32 s1, s7, s6
	s_mul_i32 s0, s18, s8
	s_lshl_b64 s[0:1], s[0:1], 4
	v_add3_u32 v3, v4, v3, v9
	v_lshlrev_b64 v[2:3], 4, v[2:3]
	s_add_u32 s0, s14, s0
	s_addc_u32 s1, s15, s1
	v_mov_b32_e32 v4, s1
	v_add_co_u32_e32 v2, vcc, s0, v2
	s_mul_i32 s0, s25, s8
	s_mul_hi_u32 s1, s24, s8
	v_addc_co_u32_e32 v3, vcc, v4, v3, vcc
	s_add_i32 s1, s1, s0
	s_mul_i32 s0, s24, s8
	v_add_co_u32_e32 v4, vcc, 8, v2
	s_lshl_b64 s[0:1], s[0:1], 4
	v_addc_co_u32_e32 v5, vcc, 0, v3, vcc
	v_lshlrev_b64 v[2:3], 4, v[6:7]
	s_add_u32 s0, s20, s0
	s_addc_u32 s1, s21, s1
	v_mov_b32_e32 v6, s1
	v_add_co_u32_e32 v2, vcc, s0, v2
	v_addc_co_u32_e32 v3, vcc, v6, v3, vcc
	v_add_co_u32_e32 v12, vcc, 8, v2
	v_addc_co_u32_e32 v13, vcc, 0, v3, vcc
	v_mov_b32_e32 v16, 0
	v_mov_b32_e32 v6, 0
	;; [unrolled: 1-line block ×8, first 2 shown]
	v_lshlrev_b32_e32 v24, 4, v0
	v_mov_b32_e32 v17, 0
	v_mov_b32_e32 v7, 0
	;; [unrolled: 1-line block ×8, first 2 shown]
	s_mov_b64 s[0:1], 0
.LBB1326_2:                             ; =>This Inner Loop Header: Depth=1
	global_load_dwordx4 v[26:29], v[4:5], off offset:-8
	s_add_u32 s0, s0, 8
	v_add_co_u32_e32 v4, vcc, 0x80, v4
	s_addc_u32 s1, s1, 0
	v_addc_co_u32_e32 v5, vcc, 0, v5, vcc
	s_waitcnt vmcnt(0)
	ds_write_b128 v22, v[26:29]
	global_load_dwordx4 v[26:29], v[12:13], off offset:-8
	v_add_co_u32_e32 v12, vcc, 0x80, v12
	v_addc_co_u32_e32 v13, vcc, 0, v13, vcc
	s_waitcnt vmcnt(0)
	ds_write_b128 v23, v[26:29]
	s_waitcnt lgkmcnt(0)
	s_barrier
	ds_read_b128 v[26:29], v25
	ds_read_b128 v[30:33], v25 offset:16
	ds_read_b128 v[34:37], v25 offset:32
	;; [unrolled: 1-line block ×3, first 2 shown]
	ds_read_b128 v[42:45], v24
	s_waitcnt lgkmcnt(0)
	v_mul_f64 v[46:47], v[28:29], v[44:45]
	v_mul_f64 v[48:49], v[26:27], v[44:45]
	v_fma_f64 v[46:47], v[26:27], v[42:43], -v[46:47]
	v_fma_f64 v[48:49], v[28:29], v[42:43], v[48:49]
	v_add_f64 v[10:11], v[10:11], v[46:47]
	v_add_f64 v[20:21], v[48:49], v[20:21]
	ds_read_b128 v[46:49], v24 offset:256
	s_waitcnt lgkmcnt(0)
	v_mul_f64 v[50:51], v[28:29], v[48:49]
	v_fma_f64 v[50:51], v[26:27], v[46:47], -v[50:51]
	v_mul_f64 v[26:27], v[26:27], v[48:49]
	v_add_f64 v[2:3], v[2:3], v[50:51]
	v_fma_f64 v[26:27], v[28:29], v[46:47], v[26:27]
	v_add_f64 v[50:51], v[26:27], v[14:15]
	ds_read_b128 v[26:29], v25 offset:2048
	s_waitcnt lgkmcnt(0)
	v_mul_f64 v[14:15], v[28:29], v[44:45]
	v_mul_f64 v[44:45], v[26:27], v[44:45]
	v_fma_f64 v[14:15], v[26:27], v[42:43], -v[14:15]
	v_fma_f64 v[42:43], v[28:29], v[42:43], v[44:45]
	v_add_f64 v[44:45], v[8:9], v[14:15]
	v_mul_f64 v[8:9], v[28:29], v[48:49]
	v_mul_f64 v[14:15], v[26:27], v[48:49]
	v_add_f64 v[42:43], v[42:43], v[18:19]
	v_fma_f64 v[8:9], v[26:27], v[46:47], -v[8:9]
	v_fma_f64 v[14:15], v[28:29], v[46:47], v[14:15]
	v_add_f64 v[26:27], v[6:7], v[8:9]
	ds_read_b128 v[6:9], v24 offset:512
	v_add_f64 v[28:29], v[14:15], v[16:17]
	s_waitcnt lgkmcnt(0)
	v_mul_f64 v[14:15], v[32:33], v[8:9]
	v_mul_f64 v[16:17], v[30:31], v[8:9]
	v_fma_f64 v[14:15], v[30:31], v[6:7], -v[14:15]
	v_fma_f64 v[16:17], v[32:33], v[6:7], v[16:17]
	v_add_f64 v[10:11], v[10:11], v[14:15]
	v_add_f64 v[46:47], v[16:17], v[20:21]
	ds_read_b128 v[14:17], v24 offset:768
	s_waitcnt lgkmcnt(0)
	v_mul_f64 v[18:19], v[32:33], v[16:17]
	v_mul_f64 v[20:21], v[30:31], v[16:17]
	v_fma_f64 v[18:19], v[30:31], v[14:15], -v[18:19]
	v_fma_f64 v[20:21], v[32:33], v[14:15], v[20:21]
	v_add_f64 v[2:3], v[2:3], v[18:19]
	v_add_f64 v[30:31], v[20:21], v[50:51]
	ds_read_b128 v[18:21], v25 offset:2064
	s_waitcnt lgkmcnt(0)
	v_mul_f64 v[32:33], v[20:21], v[8:9]
	v_mul_f64 v[8:9], v[18:19], v[8:9]
	v_fma_f64 v[32:33], v[18:19], v[6:7], -v[32:33]
	v_fma_f64 v[6:7], v[20:21], v[6:7], v[8:9]
	v_mul_f64 v[8:9], v[18:19], v[16:17]
	v_add_f64 v[32:33], v[44:45], v[32:33]
	v_add_f64 v[42:43], v[6:7], v[42:43]
	v_mul_f64 v[6:7], v[20:21], v[16:17]
	v_fma_f64 v[8:9], v[20:21], v[14:15], v[8:9]
	v_fma_f64 v[6:7], v[18:19], v[14:15], -v[6:7]
	v_add_f64 v[28:29], v[8:9], v[28:29]
	v_add_f64 v[26:27], v[26:27], v[6:7]
	ds_read_b128 v[6:9], v24 offset:1024
	s_waitcnt lgkmcnt(0)
	v_mul_f64 v[14:15], v[36:37], v[8:9]
	v_mul_f64 v[16:17], v[34:35], v[8:9]
	v_fma_f64 v[14:15], v[34:35], v[6:7], -v[14:15]
	v_fma_f64 v[16:17], v[36:37], v[6:7], v[16:17]
	v_add_f64 v[10:11], v[10:11], v[14:15]
	v_add_f64 v[44:45], v[16:17], v[46:47]
	ds_read_b128 v[14:17], v24 offset:1280
	s_waitcnt lgkmcnt(0)
	v_mul_f64 v[18:19], v[36:37], v[16:17]
	v_mul_f64 v[20:21], v[34:35], v[16:17]
	v_fma_f64 v[18:19], v[34:35], v[14:15], -v[18:19]
	v_fma_f64 v[20:21], v[36:37], v[14:15], v[20:21]
	v_add_f64 v[2:3], v[2:3], v[18:19]
	v_add_f64 v[30:31], v[20:21], v[30:31]
	ds_read_b128 v[18:21], v25 offset:2080
	s_waitcnt lgkmcnt(0)
	v_mul_f64 v[34:35], v[20:21], v[8:9]
	v_mul_f64 v[8:9], v[18:19], v[8:9]
	v_fma_f64 v[34:35], v[18:19], v[6:7], -v[34:35]
	v_fma_f64 v[6:7], v[20:21], v[6:7], v[8:9]
	v_mul_f64 v[8:9], v[18:19], v[16:17]
	v_add_f64 v[32:33], v[32:33], v[34:35]
	v_add_f64 v[34:35], v[6:7], v[42:43]
	v_mul_f64 v[6:7], v[20:21], v[16:17]
	v_fma_f64 v[8:9], v[20:21], v[14:15], v[8:9]
	v_fma_f64 v[6:7], v[18:19], v[14:15], -v[6:7]
	v_add_f64 v[28:29], v[8:9], v[28:29]
	v_add_f64 v[26:27], v[26:27], v[6:7]
	ds_read_b128 v[6:9], v24 offset:1536
	;; [unrolled: 30-line block ×3, first 2 shown]
	ds_read_b128 v[14:17], v24 offset:2048
	s_waitcnt lgkmcnt(0)
	v_mul_f64 v[18:19], v[8:9], v[16:17]
	v_mul_f64 v[20:21], v[6:7], v[16:17]
	v_fma_f64 v[18:19], v[6:7], v[14:15], -v[18:19]
	v_fma_f64 v[20:21], v[8:9], v[14:15], v[20:21]
	v_add_f64 v[10:11], v[10:11], v[18:19]
	v_add_f64 v[36:37], v[20:21], v[36:37]
	ds_read_b128 v[18:21], v24 offset:2304
	s_waitcnt lgkmcnt(0)
	v_mul_f64 v[38:39], v[8:9], v[20:21]
	v_fma_f64 v[38:39], v[6:7], v[18:19], -v[38:39]
	v_mul_f64 v[6:7], v[6:7], v[20:21]
	v_add_f64 v[2:3], v[2:3], v[38:39]
	v_fma_f64 v[6:7], v[8:9], v[18:19], v[6:7]
	v_add_f64 v[30:31], v[6:7], v[30:31]
	ds_read_b128 v[6:9], v25 offset:2112
	s_waitcnt lgkmcnt(0)
	v_mul_f64 v[38:39], v[8:9], v[16:17]
	v_mul_f64 v[16:17], v[6:7], v[16:17]
	v_fma_f64 v[38:39], v[6:7], v[14:15], -v[38:39]
	v_fma_f64 v[14:15], v[8:9], v[14:15], v[16:17]
	v_add_f64 v[32:33], v[32:33], v[38:39]
	v_add_f64 v[34:35], v[14:15], v[34:35]
	v_mul_f64 v[14:15], v[8:9], v[20:21]
	v_fma_f64 v[14:15], v[6:7], v[18:19], -v[14:15]
	v_mul_f64 v[6:7], v[6:7], v[20:21]
	v_add_f64 v[26:27], v[26:27], v[14:15]
	v_fma_f64 v[6:7], v[8:9], v[18:19], v[6:7]
	v_add_f64 v[28:29], v[6:7], v[28:29]
	ds_read_b128 v[6:9], v25 offset:80
	ds_read_b128 v[14:17], v24 offset:2560
	s_waitcnt lgkmcnt(0)
	v_mul_f64 v[18:19], v[8:9], v[16:17]
	v_mul_f64 v[20:21], v[6:7], v[16:17]
	v_fma_f64 v[18:19], v[6:7], v[14:15], -v[18:19]
	v_fma_f64 v[20:21], v[8:9], v[14:15], v[20:21]
	v_add_f64 v[10:11], v[10:11], v[18:19]
	v_add_f64 v[36:37], v[20:21], v[36:37]
	ds_read_b128 v[18:21], v24 offset:2816
	s_waitcnt lgkmcnt(0)
	v_mul_f64 v[38:39], v[8:9], v[20:21]
	v_fma_f64 v[38:39], v[6:7], v[18:19], -v[38:39]
	v_mul_f64 v[6:7], v[6:7], v[20:21]
	v_add_f64 v[2:3], v[2:3], v[38:39]
	v_fma_f64 v[6:7], v[8:9], v[18:19], v[6:7]
	v_add_f64 v[30:31], v[6:7], v[30:31]
	ds_read_b128 v[6:9], v25 offset:2128
	s_waitcnt lgkmcnt(0)
	v_mul_f64 v[38:39], v[8:9], v[16:17]
	v_mul_f64 v[16:17], v[6:7], v[16:17]
	v_fma_f64 v[38:39], v[6:7], v[14:15], -v[38:39]
	v_fma_f64 v[14:15], v[8:9], v[14:15], v[16:17]
	v_add_f64 v[32:33], v[32:33], v[38:39]
	v_add_f64 v[34:35], v[14:15], v[34:35]
	v_mul_f64 v[14:15], v[8:9], v[20:21]
	v_fma_f64 v[14:15], v[6:7], v[18:19], -v[14:15]
	v_mul_f64 v[6:7], v[6:7], v[20:21]
	v_add_f64 v[26:27], v[26:27], v[14:15]
	v_fma_f64 v[6:7], v[8:9], v[18:19], v[6:7]
	v_add_f64 v[28:29], v[6:7], v[28:29]
	ds_read_b128 v[6:9], v25 offset:96
	;; [unrolled: 31-line block ×3, first 2 shown]
	ds_read_b128 v[16:19], v24 offset:3584
	ds_read_b128 v[26:29], v24 offset:3840
	s_waitcnt lgkmcnt(1)
	v_mul_f64 v[14:15], v[8:9], v[18:19]
	v_mul_f64 v[20:21], v[6:7], v[18:19]
	v_fma_f64 v[14:15], v[6:7], v[16:17], -v[14:15]
	v_fma_f64 v[20:21], v[8:9], v[16:17], v[20:21]
	v_add_f64 v[10:11], v[10:11], v[14:15]
	s_waitcnt lgkmcnt(0)
	v_mul_f64 v[14:15], v[8:9], v[28:29]
	v_add_f64 v[20:21], v[20:21], v[36:37]
	v_fma_f64 v[14:15], v[6:7], v[26:27], -v[14:15]
	v_mul_f64 v[6:7], v[6:7], v[28:29]
	v_add_f64 v[2:3], v[2:3], v[14:15]
	v_fma_f64 v[6:7], v[8:9], v[26:27], v[6:7]
	v_add_f64 v[14:15], v[6:7], v[30:31]
	ds_read_b128 v[30:33], v25 offset:2160
	s_waitcnt lgkmcnt(0)
	s_barrier
	v_mul_f64 v[6:7], v[32:33], v[18:19]
	v_mul_f64 v[8:9], v[30:31], v[18:19]
	v_fma_f64 v[6:7], v[30:31], v[16:17], -v[6:7]
	v_fma_f64 v[16:17], v[32:33], v[16:17], v[8:9]
	v_add_f64 v[8:9], v[38:39], v[6:7]
	v_add_f64 v[18:19], v[16:17], v[34:35]
	v_mul_f64 v[6:7], v[32:33], v[28:29]
	v_mul_f64 v[16:17], v[30:31], v[28:29]
	v_fma_f64 v[6:7], v[30:31], v[26:27], -v[6:7]
	v_fma_f64 v[16:17], v[32:33], v[26:27], v[16:17]
	v_mov_b32_e32 v27, s1
	v_mov_b32_e32 v26, s0
	v_cmp_le_u64_e32 vcc, s[12:13], v[26:27]
	v_add_f64 v[6:7], v[40:41], v[6:7]
	v_add_f64 v[16:17], v[16:17], v[42:43]
	s_cbranch_vccz .LBB1326_2
	s_branch .LBB1326_4
.LBB1326_3:
	v_mov_b32_e32 v10, 0
	v_mov_b32_e32 v20, 0
	;; [unrolled: 1-line block ×16, first 2 shown]
.LBB1326_4:
	s_load_dwordx4 s[12:15], s[4:5], 0x48
	s_load_dword s6, s[4:5], 0x0
	v_add_u32_e32 v22, s3, v1
	v_ashrrev_i32_e32 v1, 31, v22
	v_add_u32_e32 v0, s2, v0
	s_waitcnt lgkmcnt(0)
	s_mul_i32 s1, s15, s8
	s_mul_hi_u32 s3, s14, s8
	s_mul_i32 s0, s14, s8
	v_mul_lo_u32 v1, s12, v1
	v_mul_lo_u32 v12, s13, v22
	v_mad_u64_u32 v[4:5], s[8:9], s12, v22, 0
	s_add_i32 s1, s3, s1
	s_lshl_b64 s[0:1], s[0:1], 4
	v_add3_u32 v5, v5, v1, v12
	s_add_u32 s4, s26, s0
	v_lshlrev_b64 v[4:5], 4, v[4:5]
	s_addc_u32 s5, s27, s1
	v_mov_b32_e32 v1, s5
	v_add_co_u32_e64 v4, s[0:1], s4, v4
	v_addc_co_u32_e64 v5, s[0:1], v1, v5, s[0:1]
	v_cmp_gt_i32_e32 vcc, s6, v22
	v_cmp_le_i32_e64 s[0:1], v0, v22
	s_and_b64 s[0:1], vcc, s[0:1]
	s_and_saveexec_b64 s[2:3], s[0:1]
	s_cbranch_execz .LBB1326_6
; %bb.5:
	v_ashrrev_i32_e32 v1, 31, v0
	v_lshlrev_b64 v[12:13], 4, v[0:1]
	v_add_co_u32_e64 v23, s[0:1], v4, v12
	v_addc_co_u32_e64 v24, s[0:1], v5, v13, s[0:1]
	v_cmp_ne_u32_e64 s[0:1], v22, v0
	v_cndmask_b32_e64 v13, 0, v21, s[0:1]
	v_cndmask_b32_e64 v12, 0, v20, s[0:1]
	global_store_dwordx4 v[23:24], v[10:13], off
.LBB1326_6:
	s_or_b64 exec, exec, s[2:3]
	v_add_u32_e32 v12, 16, v0
	v_cmp_le_i32_e64 s[0:1], v12, v22
	s_and_b64 s[2:3], vcc, s[0:1]
	s_and_saveexec_b64 s[0:1], s[2:3]
	s_cbranch_execz .LBB1326_8
; %bb.7:
	v_ashrrev_i32_e32 v13, 31, v12
	v_lshlrev_b64 v[10:11], 4, v[12:13]
	v_add_co_u32_e32 v10, vcc, v4, v10
	v_addc_co_u32_e32 v11, vcc, v5, v11, vcc
	v_cmp_ne_u32_e32 vcc, v22, v12
	v_cndmask_b32_e32 v5, 0, v15, vcc
	v_cndmask_b32_e32 v4, 0, v14, vcc
	global_store_dwordx4 v[10:11], v[2:5], off
.LBB1326_8:
	s_or_b64 exec, exec, s[0:1]
	v_add_u32_e32 v2, 16, v22
	v_ashrrev_i32_e32 v1, 31, v2
	v_mul_lo_u32 v1, s12, v1
	v_mul_lo_u32 v5, s13, v2
	v_mad_u64_u32 v[3:4], s[0:1], s12, v2, 0
	v_cmp_gt_i32_e32 vcc, s6, v2
	v_add3_u32 v4, v4, v1, v5
	v_lshlrev_b64 v[3:4], 4, v[3:4]
	v_mov_b32_e32 v1, s5
	v_add_co_u32_e64 v3, s[0:1], s4, v3
	v_addc_co_u32_e64 v4, s[0:1], v1, v4, s[0:1]
	v_cmp_le_i32_e64 s[0:1], v0, v2
	s_and_b64 s[0:1], vcc, s[0:1]
	s_and_saveexec_b64 s[2:3], s[0:1]
	s_cbranch_execz .LBB1326_10
; %bb.9:
	v_ashrrev_i32_e32 v1, 31, v0
	v_lshlrev_b64 v[10:11], 4, v[0:1]
	v_add_co_u32_e64 v13, s[0:1], v3, v10
	v_addc_co_u32_e64 v14, s[0:1], v4, v11, s[0:1]
	v_cmp_ne_u32_e64 s[0:1], v2, v0
	v_cndmask_b32_e64 v11, 0, v19, s[0:1]
	v_cndmask_b32_e64 v10, 0, v18, s[0:1]
	global_store_dwordx4 v[13:14], v[8:11], off
.LBB1326_10:
	s_or_b64 exec, exec, s[2:3]
	v_cmp_le_i32_e64 s[0:1], v12, v2
	s_and_b64 s[0:1], vcc, s[0:1]
	s_and_saveexec_b64 s[2:3], s[0:1]
	s_cbranch_execz .LBB1326_12
; %bb.11:
	v_ashrrev_i32_e32 v13, 31, v12
	v_lshlrev_b64 v[1:2], 4, v[12:13]
	v_add_co_u32_e32 v1, vcc, v3, v1
	v_addc_co_u32_e32 v2, vcc, v4, v2, vcc
	v_cmp_ne_u32_e32 vcc, v22, v0
	v_cndmask_b32_e32 v9, 0, v17, vcc
	v_cndmask_b32_e32 v8, 0, v16, vcc
	global_store_dwordx4 v[1:2], v[6:9], off
.LBB1326_12:
	s_endpgm
	.section	.rodata,"a",@progbits
	.p2align	6, 0x0
	.amdhsa_kernel _ZL37rocblas_syrkx_herkx_restricted_kernelIl19rocblas_complex_numIdELi16ELi32ELi8ELi1ELi0ELb1ELc84ELc85EKS1_S1_EviT_PT9_S3_lS5_S3_lPT10_S3_li
		.amdhsa_group_segment_fixed_size 8192
		.amdhsa_private_segment_fixed_size 0
		.amdhsa_kernarg_size 92
		.amdhsa_user_sgpr_count 6
		.amdhsa_user_sgpr_private_segment_buffer 1
		.amdhsa_user_sgpr_dispatch_ptr 0
		.amdhsa_user_sgpr_queue_ptr 0
		.amdhsa_user_sgpr_kernarg_segment_ptr 1
		.amdhsa_user_sgpr_dispatch_id 0
		.amdhsa_user_sgpr_flat_scratch_init 0
		.amdhsa_user_sgpr_private_segment_size 0
		.amdhsa_uses_dynamic_stack 0
		.amdhsa_system_sgpr_private_segment_wavefront_offset 0
		.amdhsa_system_sgpr_workgroup_id_x 1
		.amdhsa_system_sgpr_workgroup_id_y 1
		.amdhsa_system_sgpr_workgroup_id_z 1
		.amdhsa_system_sgpr_workgroup_info 0
		.amdhsa_system_vgpr_workitem_id 1
		.amdhsa_next_free_vgpr 52
		.amdhsa_next_free_sgpr 61
		.amdhsa_reserve_vcc 1
		.amdhsa_reserve_flat_scratch 0
		.amdhsa_float_round_mode_32 0
		.amdhsa_float_round_mode_16_64 0
		.amdhsa_float_denorm_mode_32 3
		.amdhsa_float_denorm_mode_16_64 3
		.amdhsa_dx10_clamp 1
		.amdhsa_ieee_mode 1
		.amdhsa_fp16_overflow 0
		.amdhsa_exception_fp_ieee_invalid_op 0
		.amdhsa_exception_fp_denorm_src 0
		.amdhsa_exception_fp_ieee_div_zero 0
		.amdhsa_exception_fp_ieee_overflow 0
		.amdhsa_exception_fp_ieee_underflow 0
		.amdhsa_exception_fp_ieee_inexact 0
		.amdhsa_exception_int_div_zero 0
	.end_amdhsa_kernel
	.section	.text._ZL37rocblas_syrkx_herkx_restricted_kernelIl19rocblas_complex_numIdELi16ELi32ELi8ELi1ELi0ELb1ELc84ELc85EKS1_S1_EviT_PT9_S3_lS5_S3_lPT10_S3_li,"axG",@progbits,_ZL37rocblas_syrkx_herkx_restricted_kernelIl19rocblas_complex_numIdELi16ELi32ELi8ELi1ELi0ELb1ELc84ELc85EKS1_S1_EviT_PT9_S3_lS5_S3_lPT10_S3_li,comdat
.Lfunc_end1326:
	.size	_ZL37rocblas_syrkx_herkx_restricted_kernelIl19rocblas_complex_numIdELi16ELi32ELi8ELi1ELi0ELb1ELc84ELc85EKS1_S1_EviT_PT9_S3_lS5_S3_lPT10_S3_li, .Lfunc_end1326-_ZL37rocblas_syrkx_herkx_restricted_kernelIl19rocblas_complex_numIdELi16ELi32ELi8ELi1ELi0ELb1ELc84ELc85EKS1_S1_EviT_PT9_S3_lS5_S3_lPT10_S3_li
                                        ; -- End function
	.set _ZL37rocblas_syrkx_herkx_restricted_kernelIl19rocblas_complex_numIdELi16ELi32ELi8ELi1ELi0ELb1ELc84ELc85EKS1_S1_EviT_PT9_S3_lS5_S3_lPT10_S3_li.num_vgpr, 52
	.set _ZL37rocblas_syrkx_herkx_restricted_kernelIl19rocblas_complex_numIdELi16ELi32ELi8ELi1ELi0ELb1ELc84ELc85EKS1_S1_EviT_PT9_S3_lS5_S3_lPT10_S3_li.num_agpr, 0
	.set _ZL37rocblas_syrkx_herkx_restricted_kernelIl19rocblas_complex_numIdELi16ELi32ELi8ELi1ELi0ELb1ELc84ELc85EKS1_S1_EviT_PT9_S3_lS5_S3_lPT10_S3_li.numbered_sgpr, 28
	.set _ZL37rocblas_syrkx_herkx_restricted_kernelIl19rocblas_complex_numIdELi16ELi32ELi8ELi1ELi0ELb1ELc84ELc85EKS1_S1_EviT_PT9_S3_lS5_S3_lPT10_S3_li.num_named_barrier, 0
	.set _ZL37rocblas_syrkx_herkx_restricted_kernelIl19rocblas_complex_numIdELi16ELi32ELi8ELi1ELi0ELb1ELc84ELc85EKS1_S1_EviT_PT9_S3_lS5_S3_lPT10_S3_li.private_seg_size, 0
	.set _ZL37rocblas_syrkx_herkx_restricted_kernelIl19rocblas_complex_numIdELi16ELi32ELi8ELi1ELi0ELb1ELc84ELc85EKS1_S1_EviT_PT9_S3_lS5_S3_lPT10_S3_li.uses_vcc, 1
	.set _ZL37rocblas_syrkx_herkx_restricted_kernelIl19rocblas_complex_numIdELi16ELi32ELi8ELi1ELi0ELb1ELc84ELc85EKS1_S1_EviT_PT9_S3_lS5_S3_lPT10_S3_li.uses_flat_scratch, 0
	.set _ZL37rocblas_syrkx_herkx_restricted_kernelIl19rocblas_complex_numIdELi16ELi32ELi8ELi1ELi0ELb1ELc84ELc85EKS1_S1_EviT_PT9_S3_lS5_S3_lPT10_S3_li.has_dyn_sized_stack, 0
	.set _ZL37rocblas_syrkx_herkx_restricted_kernelIl19rocblas_complex_numIdELi16ELi32ELi8ELi1ELi0ELb1ELc84ELc85EKS1_S1_EviT_PT9_S3_lS5_S3_lPT10_S3_li.has_recursion, 0
	.set _ZL37rocblas_syrkx_herkx_restricted_kernelIl19rocblas_complex_numIdELi16ELi32ELi8ELi1ELi0ELb1ELc84ELc85EKS1_S1_EviT_PT9_S3_lS5_S3_lPT10_S3_li.has_indirect_call, 0
	.section	.AMDGPU.csdata,"",@progbits
; Kernel info:
; codeLenInByte = 2932
; TotalNumSgprs: 32
; NumVgprs: 52
; ScratchSize: 0
; MemoryBound: 0
; FloatMode: 240
; IeeeMode: 1
; LDSByteSize: 8192 bytes/workgroup (compile time only)
; SGPRBlocks: 8
; VGPRBlocks: 12
; NumSGPRsForWavesPerEU: 65
; NumVGPRsForWavesPerEU: 52
; Occupancy: 4
; WaveLimiterHint : 1
; COMPUTE_PGM_RSRC2:SCRATCH_EN: 0
; COMPUTE_PGM_RSRC2:USER_SGPR: 6
; COMPUTE_PGM_RSRC2:TRAP_HANDLER: 0
; COMPUTE_PGM_RSRC2:TGID_X_EN: 1
; COMPUTE_PGM_RSRC2:TGID_Y_EN: 1
; COMPUTE_PGM_RSRC2:TGID_Z_EN: 1
; COMPUTE_PGM_RSRC2:TIDIG_COMP_CNT: 1
	.section	.text._ZL37rocblas_syrkx_herkx_restricted_kernelIl19rocblas_complex_numIdELi16ELi32ELi8ELi1ELi0ELb1ELc67ELc85EKS1_S1_EviT_PT9_S3_lS5_S3_lPT10_S3_li,"axG",@progbits,_ZL37rocblas_syrkx_herkx_restricted_kernelIl19rocblas_complex_numIdELi16ELi32ELi8ELi1ELi0ELb1ELc67ELc85EKS1_S1_EviT_PT9_S3_lS5_S3_lPT10_S3_li,comdat
	.globl	_ZL37rocblas_syrkx_herkx_restricted_kernelIl19rocblas_complex_numIdELi16ELi32ELi8ELi1ELi0ELb1ELc67ELc85EKS1_S1_EviT_PT9_S3_lS5_S3_lPT10_S3_li ; -- Begin function _ZL37rocblas_syrkx_herkx_restricted_kernelIl19rocblas_complex_numIdELi16ELi32ELi8ELi1ELi0ELb1ELc67ELc85EKS1_S1_EviT_PT9_S3_lS5_S3_lPT10_S3_li
	.p2align	8
	.type	_ZL37rocblas_syrkx_herkx_restricted_kernelIl19rocblas_complex_numIdELi16ELi32ELi8ELi1ELi0ELb1ELc67ELc85EKS1_S1_EviT_PT9_S3_lS5_S3_lPT10_S3_li,@function
_ZL37rocblas_syrkx_herkx_restricted_kernelIl19rocblas_complex_numIdELi16ELi32ELi8ELi1ELi0ELb1ELc67ELc85EKS1_S1_EviT_PT9_S3_lS5_S3_lPT10_S3_li: ; @_ZL37rocblas_syrkx_herkx_restricted_kernelIl19rocblas_complex_numIdELi16ELi32ELi8ELi1ELi0ELb1ELc67ELc85EKS1_S1_EviT_PT9_S3_lS5_S3_lPT10_S3_li
; %bb.0:
	s_load_dwordx16 s[12:27], s[4:5], 0x8
	s_lshl_b32 s2, s6, 5
	s_lshl_b32 s3, s7, 5
	s_waitcnt lgkmcnt(0)
	v_cmp_lt_i64_e64 s[0:1], s[12:13], 1
	s_and_b64 vcc, exec, s[0:1]
	s_cbranch_vccnz .LBB1327_3
; %bb.1:
	v_lshl_add_u32 v4, v1, 4, v0
	v_lshrrev_b32_e32 v8, 3, v4
	v_add_u32_e32 v5, s3, v8
	v_ashrrev_i32_e32 v6, 31, v5
	v_and_b32_e32 v2, 7, v0
	v_mov_b32_e32 v3, 0
	v_mul_lo_u32 v9, s22, v6
	v_mul_lo_u32 v10, s23, v5
	v_mad_u64_u32 v[6:7], s[0:1], s22, v5, v[2:3]
	v_lshlrev_b32_e32 v2, 4, v2
	v_lshl_or_b32 v2, v8, 7, v2
	v_add3_u32 v7, v10, v7, v9
	v_and_b32_e32 v9, 31, v4
	v_add_u32_e32 v23, 0x1000, v2
	v_mov_b32_e32 v2, 0x1000
	v_add_u32_e32 v8, s2, v9
	v_lshrrev_b32_e32 v4, 5, v4
	v_mov_b32_e32 v5, v3
	v_lshlrev_b32_e32 v3, 4, v9
	v_lshl_add_u32 v25, v1, 7, v2
	v_ashrrev_i32_e32 v2, 31, v8
	v_lshl_or_b32 v22, v4, 9, v3
	v_mul_lo_u32 v9, s16, v2
	v_mad_u64_u32 v[2:3], s[0:1], s16, v8, v[4:5]
	v_mul_lo_u32 v4, s17, v8
	s_mul_i32 s6, s19, s8
	s_mul_hi_u32 s7, s18, s8
	s_add_i32 s1, s7, s6
	s_mul_i32 s0, s18, s8
	s_lshl_b64 s[0:1], s[0:1], 4
	v_add3_u32 v3, v4, v3, v9
	v_lshlrev_b64 v[2:3], 4, v[2:3]
	s_add_u32 s0, s14, s0
	s_addc_u32 s1, s15, s1
	v_mov_b32_e32 v4, s1
	v_add_co_u32_e32 v2, vcc, s0, v2
	s_mul_i32 s0, s25, s8
	s_mul_hi_u32 s1, s24, s8
	v_addc_co_u32_e32 v3, vcc, v4, v3, vcc
	s_add_i32 s1, s1, s0
	s_mul_i32 s0, s24, s8
	v_add_co_u32_e32 v4, vcc, 8, v2
	s_lshl_b64 s[0:1], s[0:1], 4
	v_addc_co_u32_e32 v5, vcc, 0, v3, vcc
	v_lshlrev_b64 v[2:3], 4, v[6:7]
	s_add_u32 s0, s20, s0
	s_addc_u32 s1, s21, s1
	v_mov_b32_e32 v6, s1
	v_add_co_u32_e32 v2, vcc, s0, v2
	v_addc_co_u32_e32 v3, vcc, v6, v3, vcc
	v_add_co_u32_e32 v12, vcc, 8, v2
	v_addc_co_u32_e32 v13, vcc, 0, v3, vcc
	v_mov_b32_e32 v16, 0
	v_mov_b32_e32 v6, 0
	;; [unrolled: 1-line block ×8, first 2 shown]
	v_lshlrev_b32_e32 v24, 4, v0
	v_mov_b32_e32 v17, 0
	v_mov_b32_e32 v7, 0
	;; [unrolled: 1-line block ×8, first 2 shown]
	s_mov_b64 s[0:1], 0
.LBB1327_2:                             ; =>This Inner Loop Header: Depth=1
	global_load_dwordx4 v[26:29], v[4:5], off offset:-8
	s_add_u32 s0, s0, 8
	v_add_co_u32_e32 v4, vcc, 0x80, v4
	s_addc_u32 s1, s1, 0
	v_addc_co_u32_e32 v5, vcc, 0, v5, vcc
	s_waitcnt vmcnt(0)
	v_xor_b32_e32 v29, 0x80000000, v29
	ds_write_b128 v22, v[26:29]
	global_load_dwordx4 v[26:29], v[12:13], off offset:-8
	v_add_co_u32_e32 v12, vcc, 0x80, v12
	v_addc_co_u32_e32 v13, vcc, 0, v13, vcc
	s_waitcnt vmcnt(0)
	ds_write_b128 v23, v[26:29]
	s_waitcnt lgkmcnt(0)
	s_barrier
	ds_read_b128 v[26:29], v25
	ds_read_b128 v[30:33], v25 offset:16
	ds_read_b128 v[34:37], v25 offset:32
	;; [unrolled: 1-line block ×3, first 2 shown]
	ds_read_b128 v[42:45], v24
	s_waitcnt lgkmcnt(0)
	v_mul_f64 v[46:47], v[28:29], v[44:45]
	v_mul_f64 v[48:49], v[26:27], v[44:45]
	v_fma_f64 v[46:47], v[26:27], v[42:43], -v[46:47]
	v_fma_f64 v[48:49], v[28:29], v[42:43], v[48:49]
	v_add_f64 v[10:11], v[10:11], v[46:47]
	v_add_f64 v[20:21], v[48:49], v[20:21]
	ds_read_b128 v[46:49], v24 offset:256
	s_waitcnt lgkmcnt(0)
	v_mul_f64 v[50:51], v[28:29], v[48:49]
	v_fma_f64 v[50:51], v[26:27], v[46:47], -v[50:51]
	v_mul_f64 v[26:27], v[26:27], v[48:49]
	v_add_f64 v[2:3], v[2:3], v[50:51]
	v_fma_f64 v[26:27], v[28:29], v[46:47], v[26:27]
	v_add_f64 v[50:51], v[26:27], v[14:15]
	ds_read_b128 v[26:29], v25 offset:2048
	s_waitcnt lgkmcnt(0)
	v_mul_f64 v[14:15], v[28:29], v[44:45]
	v_mul_f64 v[44:45], v[26:27], v[44:45]
	v_fma_f64 v[14:15], v[26:27], v[42:43], -v[14:15]
	v_fma_f64 v[42:43], v[28:29], v[42:43], v[44:45]
	v_add_f64 v[44:45], v[8:9], v[14:15]
	v_mul_f64 v[8:9], v[28:29], v[48:49]
	v_mul_f64 v[14:15], v[26:27], v[48:49]
	v_add_f64 v[42:43], v[42:43], v[18:19]
	v_fma_f64 v[8:9], v[26:27], v[46:47], -v[8:9]
	v_fma_f64 v[14:15], v[28:29], v[46:47], v[14:15]
	v_add_f64 v[26:27], v[6:7], v[8:9]
	ds_read_b128 v[6:9], v24 offset:512
	v_add_f64 v[28:29], v[14:15], v[16:17]
	s_waitcnt lgkmcnt(0)
	v_mul_f64 v[14:15], v[32:33], v[8:9]
	v_mul_f64 v[16:17], v[30:31], v[8:9]
	v_fma_f64 v[14:15], v[30:31], v[6:7], -v[14:15]
	v_fma_f64 v[16:17], v[32:33], v[6:7], v[16:17]
	v_add_f64 v[10:11], v[10:11], v[14:15]
	v_add_f64 v[46:47], v[16:17], v[20:21]
	ds_read_b128 v[14:17], v24 offset:768
	s_waitcnt lgkmcnt(0)
	v_mul_f64 v[18:19], v[32:33], v[16:17]
	v_mul_f64 v[20:21], v[30:31], v[16:17]
	v_fma_f64 v[18:19], v[30:31], v[14:15], -v[18:19]
	v_fma_f64 v[20:21], v[32:33], v[14:15], v[20:21]
	v_add_f64 v[2:3], v[2:3], v[18:19]
	v_add_f64 v[30:31], v[20:21], v[50:51]
	ds_read_b128 v[18:21], v25 offset:2064
	s_waitcnt lgkmcnt(0)
	v_mul_f64 v[32:33], v[20:21], v[8:9]
	v_mul_f64 v[8:9], v[18:19], v[8:9]
	v_fma_f64 v[32:33], v[18:19], v[6:7], -v[32:33]
	v_fma_f64 v[6:7], v[20:21], v[6:7], v[8:9]
	v_mul_f64 v[8:9], v[18:19], v[16:17]
	v_add_f64 v[32:33], v[44:45], v[32:33]
	v_add_f64 v[42:43], v[6:7], v[42:43]
	v_mul_f64 v[6:7], v[20:21], v[16:17]
	v_fma_f64 v[8:9], v[20:21], v[14:15], v[8:9]
	v_fma_f64 v[6:7], v[18:19], v[14:15], -v[6:7]
	v_add_f64 v[28:29], v[8:9], v[28:29]
	v_add_f64 v[26:27], v[26:27], v[6:7]
	ds_read_b128 v[6:9], v24 offset:1024
	s_waitcnt lgkmcnt(0)
	v_mul_f64 v[14:15], v[36:37], v[8:9]
	v_mul_f64 v[16:17], v[34:35], v[8:9]
	v_fma_f64 v[14:15], v[34:35], v[6:7], -v[14:15]
	v_fma_f64 v[16:17], v[36:37], v[6:7], v[16:17]
	v_add_f64 v[10:11], v[10:11], v[14:15]
	v_add_f64 v[44:45], v[16:17], v[46:47]
	ds_read_b128 v[14:17], v24 offset:1280
	s_waitcnt lgkmcnt(0)
	v_mul_f64 v[18:19], v[36:37], v[16:17]
	v_mul_f64 v[20:21], v[34:35], v[16:17]
	v_fma_f64 v[18:19], v[34:35], v[14:15], -v[18:19]
	v_fma_f64 v[20:21], v[36:37], v[14:15], v[20:21]
	v_add_f64 v[2:3], v[2:3], v[18:19]
	v_add_f64 v[30:31], v[20:21], v[30:31]
	ds_read_b128 v[18:21], v25 offset:2080
	s_waitcnt lgkmcnt(0)
	v_mul_f64 v[34:35], v[20:21], v[8:9]
	v_mul_f64 v[8:9], v[18:19], v[8:9]
	v_fma_f64 v[34:35], v[18:19], v[6:7], -v[34:35]
	v_fma_f64 v[6:7], v[20:21], v[6:7], v[8:9]
	v_mul_f64 v[8:9], v[18:19], v[16:17]
	v_add_f64 v[32:33], v[32:33], v[34:35]
	v_add_f64 v[34:35], v[6:7], v[42:43]
	v_mul_f64 v[6:7], v[20:21], v[16:17]
	v_fma_f64 v[8:9], v[20:21], v[14:15], v[8:9]
	v_fma_f64 v[6:7], v[18:19], v[14:15], -v[6:7]
	v_add_f64 v[28:29], v[8:9], v[28:29]
	v_add_f64 v[26:27], v[26:27], v[6:7]
	ds_read_b128 v[6:9], v24 offset:1536
	;; [unrolled: 30-line block ×3, first 2 shown]
	ds_read_b128 v[14:17], v24 offset:2048
	s_waitcnt lgkmcnt(0)
	v_mul_f64 v[18:19], v[8:9], v[16:17]
	v_mul_f64 v[20:21], v[6:7], v[16:17]
	v_fma_f64 v[18:19], v[6:7], v[14:15], -v[18:19]
	v_fma_f64 v[20:21], v[8:9], v[14:15], v[20:21]
	v_add_f64 v[10:11], v[10:11], v[18:19]
	v_add_f64 v[36:37], v[20:21], v[36:37]
	ds_read_b128 v[18:21], v24 offset:2304
	s_waitcnt lgkmcnt(0)
	v_mul_f64 v[38:39], v[8:9], v[20:21]
	v_fma_f64 v[38:39], v[6:7], v[18:19], -v[38:39]
	v_mul_f64 v[6:7], v[6:7], v[20:21]
	v_add_f64 v[2:3], v[2:3], v[38:39]
	v_fma_f64 v[6:7], v[8:9], v[18:19], v[6:7]
	v_add_f64 v[30:31], v[6:7], v[30:31]
	ds_read_b128 v[6:9], v25 offset:2112
	s_waitcnt lgkmcnt(0)
	v_mul_f64 v[38:39], v[8:9], v[16:17]
	v_mul_f64 v[16:17], v[6:7], v[16:17]
	v_fma_f64 v[38:39], v[6:7], v[14:15], -v[38:39]
	v_fma_f64 v[14:15], v[8:9], v[14:15], v[16:17]
	v_add_f64 v[32:33], v[32:33], v[38:39]
	v_add_f64 v[34:35], v[14:15], v[34:35]
	v_mul_f64 v[14:15], v[8:9], v[20:21]
	v_fma_f64 v[14:15], v[6:7], v[18:19], -v[14:15]
	v_mul_f64 v[6:7], v[6:7], v[20:21]
	v_add_f64 v[26:27], v[26:27], v[14:15]
	v_fma_f64 v[6:7], v[8:9], v[18:19], v[6:7]
	v_add_f64 v[28:29], v[6:7], v[28:29]
	ds_read_b128 v[6:9], v25 offset:80
	ds_read_b128 v[14:17], v24 offset:2560
	s_waitcnt lgkmcnt(0)
	v_mul_f64 v[18:19], v[8:9], v[16:17]
	v_mul_f64 v[20:21], v[6:7], v[16:17]
	v_fma_f64 v[18:19], v[6:7], v[14:15], -v[18:19]
	v_fma_f64 v[20:21], v[8:9], v[14:15], v[20:21]
	v_add_f64 v[10:11], v[10:11], v[18:19]
	v_add_f64 v[36:37], v[20:21], v[36:37]
	ds_read_b128 v[18:21], v24 offset:2816
	s_waitcnt lgkmcnt(0)
	v_mul_f64 v[38:39], v[8:9], v[20:21]
	v_fma_f64 v[38:39], v[6:7], v[18:19], -v[38:39]
	v_mul_f64 v[6:7], v[6:7], v[20:21]
	v_add_f64 v[2:3], v[2:3], v[38:39]
	v_fma_f64 v[6:7], v[8:9], v[18:19], v[6:7]
	v_add_f64 v[30:31], v[6:7], v[30:31]
	ds_read_b128 v[6:9], v25 offset:2128
	s_waitcnt lgkmcnt(0)
	v_mul_f64 v[38:39], v[8:9], v[16:17]
	v_mul_f64 v[16:17], v[6:7], v[16:17]
	v_fma_f64 v[38:39], v[6:7], v[14:15], -v[38:39]
	v_fma_f64 v[14:15], v[8:9], v[14:15], v[16:17]
	v_add_f64 v[32:33], v[32:33], v[38:39]
	v_add_f64 v[34:35], v[14:15], v[34:35]
	v_mul_f64 v[14:15], v[8:9], v[20:21]
	v_fma_f64 v[14:15], v[6:7], v[18:19], -v[14:15]
	v_mul_f64 v[6:7], v[6:7], v[20:21]
	v_add_f64 v[26:27], v[26:27], v[14:15]
	v_fma_f64 v[6:7], v[8:9], v[18:19], v[6:7]
	v_add_f64 v[28:29], v[6:7], v[28:29]
	ds_read_b128 v[6:9], v25 offset:96
	;; [unrolled: 31-line block ×3, first 2 shown]
	ds_read_b128 v[16:19], v24 offset:3584
	ds_read_b128 v[26:29], v24 offset:3840
	s_waitcnt lgkmcnt(1)
	v_mul_f64 v[14:15], v[8:9], v[18:19]
	v_mul_f64 v[20:21], v[6:7], v[18:19]
	v_fma_f64 v[14:15], v[6:7], v[16:17], -v[14:15]
	v_fma_f64 v[20:21], v[8:9], v[16:17], v[20:21]
	v_add_f64 v[10:11], v[10:11], v[14:15]
	s_waitcnt lgkmcnt(0)
	v_mul_f64 v[14:15], v[8:9], v[28:29]
	v_add_f64 v[20:21], v[20:21], v[36:37]
	v_fma_f64 v[14:15], v[6:7], v[26:27], -v[14:15]
	v_mul_f64 v[6:7], v[6:7], v[28:29]
	v_add_f64 v[2:3], v[2:3], v[14:15]
	v_fma_f64 v[6:7], v[8:9], v[26:27], v[6:7]
	v_add_f64 v[14:15], v[6:7], v[30:31]
	ds_read_b128 v[30:33], v25 offset:2160
	s_waitcnt lgkmcnt(0)
	s_barrier
	v_mul_f64 v[6:7], v[32:33], v[18:19]
	v_mul_f64 v[8:9], v[30:31], v[18:19]
	v_fma_f64 v[6:7], v[30:31], v[16:17], -v[6:7]
	v_fma_f64 v[16:17], v[32:33], v[16:17], v[8:9]
	v_add_f64 v[8:9], v[38:39], v[6:7]
	v_add_f64 v[18:19], v[16:17], v[34:35]
	v_mul_f64 v[6:7], v[32:33], v[28:29]
	v_mul_f64 v[16:17], v[30:31], v[28:29]
	v_fma_f64 v[6:7], v[30:31], v[26:27], -v[6:7]
	v_fma_f64 v[16:17], v[32:33], v[26:27], v[16:17]
	v_mov_b32_e32 v27, s1
	v_mov_b32_e32 v26, s0
	v_cmp_le_u64_e32 vcc, s[12:13], v[26:27]
	v_add_f64 v[6:7], v[40:41], v[6:7]
	v_add_f64 v[16:17], v[16:17], v[42:43]
	s_cbranch_vccz .LBB1327_2
	s_branch .LBB1327_4
.LBB1327_3:
	v_mov_b32_e32 v10, 0
	v_mov_b32_e32 v20, 0
	;; [unrolled: 1-line block ×16, first 2 shown]
.LBB1327_4:
	s_load_dwordx4 s[12:15], s[4:5], 0x48
	s_load_dword s6, s[4:5], 0x0
	v_add_u32_e32 v22, s3, v1
	v_ashrrev_i32_e32 v1, 31, v22
	v_add_u32_e32 v0, s2, v0
	s_waitcnt lgkmcnt(0)
	s_mul_i32 s1, s15, s8
	s_mul_hi_u32 s3, s14, s8
	s_mul_i32 s0, s14, s8
	v_mul_lo_u32 v1, s12, v1
	v_mul_lo_u32 v12, s13, v22
	v_mad_u64_u32 v[4:5], s[8:9], s12, v22, 0
	s_add_i32 s1, s3, s1
	s_lshl_b64 s[0:1], s[0:1], 4
	v_add3_u32 v5, v5, v1, v12
	s_add_u32 s4, s26, s0
	v_lshlrev_b64 v[4:5], 4, v[4:5]
	s_addc_u32 s5, s27, s1
	v_mov_b32_e32 v1, s5
	v_add_co_u32_e64 v4, s[0:1], s4, v4
	v_addc_co_u32_e64 v5, s[0:1], v1, v5, s[0:1]
	v_cmp_gt_i32_e32 vcc, s6, v22
	v_cmp_le_i32_e64 s[0:1], v0, v22
	s_and_b64 s[0:1], vcc, s[0:1]
	s_and_saveexec_b64 s[2:3], s[0:1]
	s_cbranch_execz .LBB1327_6
; %bb.5:
	v_ashrrev_i32_e32 v1, 31, v0
	v_lshlrev_b64 v[12:13], 4, v[0:1]
	v_add_co_u32_e64 v23, s[0:1], v4, v12
	v_addc_co_u32_e64 v24, s[0:1], v5, v13, s[0:1]
	v_cmp_ne_u32_e64 s[0:1], v22, v0
	v_cndmask_b32_e64 v13, 0, v21, s[0:1]
	v_cndmask_b32_e64 v12, 0, v20, s[0:1]
	global_store_dwordx4 v[23:24], v[10:13], off
.LBB1327_6:
	s_or_b64 exec, exec, s[2:3]
	v_add_u32_e32 v12, 16, v0
	v_cmp_le_i32_e64 s[0:1], v12, v22
	s_and_b64 s[2:3], vcc, s[0:1]
	s_and_saveexec_b64 s[0:1], s[2:3]
	s_cbranch_execz .LBB1327_8
; %bb.7:
	v_ashrrev_i32_e32 v13, 31, v12
	v_lshlrev_b64 v[10:11], 4, v[12:13]
	v_add_co_u32_e32 v10, vcc, v4, v10
	v_addc_co_u32_e32 v11, vcc, v5, v11, vcc
	v_cmp_ne_u32_e32 vcc, v22, v12
	v_cndmask_b32_e32 v5, 0, v15, vcc
	v_cndmask_b32_e32 v4, 0, v14, vcc
	global_store_dwordx4 v[10:11], v[2:5], off
.LBB1327_8:
	s_or_b64 exec, exec, s[0:1]
	v_add_u32_e32 v2, 16, v22
	v_ashrrev_i32_e32 v1, 31, v2
	v_mul_lo_u32 v1, s12, v1
	v_mul_lo_u32 v5, s13, v2
	v_mad_u64_u32 v[3:4], s[0:1], s12, v2, 0
	v_cmp_gt_i32_e32 vcc, s6, v2
	v_add3_u32 v4, v4, v1, v5
	v_lshlrev_b64 v[3:4], 4, v[3:4]
	v_mov_b32_e32 v1, s5
	v_add_co_u32_e64 v3, s[0:1], s4, v3
	v_addc_co_u32_e64 v4, s[0:1], v1, v4, s[0:1]
	v_cmp_le_i32_e64 s[0:1], v0, v2
	s_and_b64 s[0:1], vcc, s[0:1]
	s_and_saveexec_b64 s[2:3], s[0:1]
	s_cbranch_execz .LBB1327_10
; %bb.9:
	v_ashrrev_i32_e32 v1, 31, v0
	v_lshlrev_b64 v[10:11], 4, v[0:1]
	v_add_co_u32_e64 v13, s[0:1], v3, v10
	v_addc_co_u32_e64 v14, s[0:1], v4, v11, s[0:1]
	v_cmp_ne_u32_e64 s[0:1], v2, v0
	v_cndmask_b32_e64 v11, 0, v19, s[0:1]
	v_cndmask_b32_e64 v10, 0, v18, s[0:1]
	global_store_dwordx4 v[13:14], v[8:11], off
.LBB1327_10:
	s_or_b64 exec, exec, s[2:3]
	v_cmp_le_i32_e64 s[0:1], v12, v2
	s_and_b64 s[0:1], vcc, s[0:1]
	s_and_saveexec_b64 s[2:3], s[0:1]
	s_cbranch_execz .LBB1327_12
; %bb.11:
	v_ashrrev_i32_e32 v13, 31, v12
	v_lshlrev_b64 v[1:2], 4, v[12:13]
	v_add_co_u32_e32 v1, vcc, v3, v1
	v_addc_co_u32_e32 v2, vcc, v4, v2, vcc
	v_cmp_ne_u32_e32 vcc, v22, v0
	v_cndmask_b32_e32 v9, 0, v17, vcc
	v_cndmask_b32_e32 v8, 0, v16, vcc
	global_store_dwordx4 v[1:2], v[6:9], off
.LBB1327_12:
	s_endpgm
	.section	.rodata,"a",@progbits
	.p2align	6, 0x0
	.amdhsa_kernel _ZL37rocblas_syrkx_herkx_restricted_kernelIl19rocblas_complex_numIdELi16ELi32ELi8ELi1ELi0ELb1ELc67ELc85EKS1_S1_EviT_PT9_S3_lS5_S3_lPT10_S3_li
		.amdhsa_group_segment_fixed_size 8192
		.amdhsa_private_segment_fixed_size 0
		.amdhsa_kernarg_size 92
		.amdhsa_user_sgpr_count 6
		.amdhsa_user_sgpr_private_segment_buffer 1
		.amdhsa_user_sgpr_dispatch_ptr 0
		.amdhsa_user_sgpr_queue_ptr 0
		.amdhsa_user_sgpr_kernarg_segment_ptr 1
		.amdhsa_user_sgpr_dispatch_id 0
		.amdhsa_user_sgpr_flat_scratch_init 0
		.amdhsa_user_sgpr_private_segment_size 0
		.amdhsa_uses_dynamic_stack 0
		.amdhsa_system_sgpr_private_segment_wavefront_offset 0
		.amdhsa_system_sgpr_workgroup_id_x 1
		.amdhsa_system_sgpr_workgroup_id_y 1
		.amdhsa_system_sgpr_workgroup_id_z 1
		.amdhsa_system_sgpr_workgroup_info 0
		.amdhsa_system_vgpr_workitem_id 1
		.amdhsa_next_free_vgpr 52
		.amdhsa_next_free_sgpr 61
		.amdhsa_reserve_vcc 1
		.amdhsa_reserve_flat_scratch 0
		.amdhsa_float_round_mode_32 0
		.amdhsa_float_round_mode_16_64 0
		.amdhsa_float_denorm_mode_32 3
		.amdhsa_float_denorm_mode_16_64 3
		.amdhsa_dx10_clamp 1
		.amdhsa_ieee_mode 1
		.amdhsa_fp16_overflow 0
		.amdhsa_exception_fp_ieee_invalid_op 0
		.amdhsa_exception_fp_denorm_src 0
		.amdhsa_exception_fp_ieee_div_zero 0
		.amdhsa_exception_fp_ieee_overflow 0
		.amdhsa_exception_fp_ieee_underflow 0
		.amdhsa_exception_fp_ieee_inexact 0
		.amdhsa_exception_int_div_zero 0
	.end_amdhsa_kernel
	.section	.text._ZL37rocblas_syrkx_herkx_restricted_kernelIl19rocblas_complex_numIdELi16ELi32ELi8ELi1ELi0ELb1ELc67ELc85EKS1_S1_EviT_PT9_S3_lS5_S3_lPT10_S3_li,"axG",@progbits,_ZL37rocblas_syrkx_herkx_restricted_kernelIl19rocblas_complex_numIdELi16ELi32ELi8ELi1ELi0ELb1ELc67ELc85EKS1_S1_EviT_PT9_S3_lS5_S3_lPT10_S3_li,comdat
.Lfunc_end1327:
	.size	_ZL37rocblas_syrkx_herkx_restricted_kernelIl19rocblas_complex_numIdELi16ELi32ELi8ELi1ELi0ELb1ELc67ELc85EKS1_S1_EviT_PT9_S3_lS5_S3_lPT10_S3_li, .Lfunc_end1327-_ZL37rocblas_syrkx_herkx_restricted_kernelIl19rocblas_complex_numIdELi16ELi32ELi8ELi1ELi0ELb1ELc67ELc85EKS1_S1_EviT_PT9_S3_lS5_S3_lPT10_S3_li
                                        ; -- End function
	.set _ZL37rocblas_syrkx_herkx_restricted_kernelIl19rocblas_complex_numIdELi16ELi32ELi8ELi1ELi0ELb1ELc67ELc85EKS1_S1_EviT_PT9_S3_lS5_S3_lPT10_S3_li.num_vgpr, 52
	.set _ZL37rocblas_syrkx_herkx_restricted_kernelIl19rocblas_complex_numIdELi16ELi32ELi8ELi1ELi0ELb1ELc67ELc85EKS1_S1_EviT_PT9_S3_lS5_S3_lPT10_S3_li.num_agpr, 0
	.set _ZL37rocblas_syrkx_herkx_restricted_kernelIl19rocblas_complex_numIdELi16ELi32ELi8ELi1ELi0ELb1ELc67ELc85EKS1_S1_EviT_PT9_S3_lS5_S3_lPT10_S3_li.numbered_sgpr, 28
	.set _ZL37rocblas_syrkx_herkx_restricted_kernelIl19rocblas_complex_numIdELi16ELi32ELi8ELi1ELi0ELb1ELc67ELc85EKS1_S1_EviT_PT9_S3_lS5_S3_lPT10_S3_li.num_named_barrier, 0
	.set _ZL37rocblas_syrkx_herkx_restricted_kernelIl19rocblas_complex_numIdELi16ELi32ELi8ELi1ELi0ELb1ELc67ELc85EKS1_S1_EviT_PT9_S3_lS5_S3_lPT10_S3_li.private_seg_size, 0
	.set _ZL37rocblas_syrkx_herkx_restricted_kernelIl19rocblas_complex_numIdELi16ELi32ELi8ELi1ELi0ELb1ELc67ELc85EKS1_S1_EviT_PT9_S3_lS5_S3_lPT10_S3_li.uses_vcc, 1
	.set _ZL37rocblas_syrkx_herkx_restricted_kernelIl19rocblas_complex_numIdELi16ELi32ELi8ELi1ELi0ELb1ELc67ELc85EKS1_S1_EviT_PT9_S3_lS5_S3_lPT10_S3_li.uses_flat_scratch, 0
	.set _ZL37rocblas_syrkx_herkx_restricted_kernelIl19rocblas_complex_numIdELi16ELi32ELi8ELi1ELi0ELb1ELc67ELc85EKS1_S1_EviT_PT9_S3_lS5_S3_lPT10_S3_li.has_dyn_sized_stack, 0
	.set _ZL37rocblas_syrkx_herkx_restricted_kernelIl19rocblas_complex_numIdELi16ELi32ELi8ELi1ELi0ELb1ELc67ELc85EKS1_S1_EviT_PT9_S3_lS5_S3_lPT10_S3_li.has_recursion, 0
	.set _ZL37rocblas_syrkx_herkx_restricted_kernelIl19rocblas_complex_numIdELi16ELi32ELi8ELi1ELi0ELb1ELc67ELc85EKS1_S1_EviT_PT9_S3_lS5_S3_lPT10_S3_li.has_indirect_call, 0
	.section	.AMDGPU.csdata,"",@progbits
; Kernel info:
; codeLenInByte = 2940
; TotalNumSgprs: 32
; NumVgprs: 52
; ScratchSize: 0
; MemoryBound: 0
; FloatMode: 240
; IeeeMode: 1
; LDSByteSize: 8192 bytes/workgroup (compile time only)
; SGPRBlocks: 8
; VGPRBlocks: 12
; NumSGPRsForWavesPerEU: 65
; NumVGPRsForWavesPerEU: 52
; Occupancy: 4
; WaveLimiterHint : 1
; COMPUTE_PGM_RSRC2:SCRATCH_EN: 0
; COMPUTE_PGM_RSRC2:USER_SGPR: 6
; COMPUTE_PGM_RSRC2:TRAP_HANDLER: 0
; COMPUTE_PGM_RSRC2:TGID_X_EN: 1
; COMPUTE_PGM_RSRC2:TGID_Y_EN: 1
; COMPUTE_PGM_RSRC2:TGID_Z_EN: 1
; COMPUTE_PGM_RSRC2:TIDIG_COMP_CNT: 1
	.section	.text._ZL37rocblas_syrkx_herkx_restricted_kernelIl19rocblas_complex_numIdELi16ELi32ELi8ELi1ELi0ELb1ELc78ELc85EKS1_S1_EviT_PT9_S3_lS5_S3_lPT10_S3_li,"axG",@progbits,_ZL37rocblas_syrkx_herkx_restricted_kernelIl19rocblas_complex_numIdELi16ELi32ELi8ELi1ELi0ELb1ELc78ELc85EKS1_S1_EviT_PT9_S3_lS5_S3_lPT10_S3_li,comdat
	.globl	_ZL37rocblas_syrkx_herkx_restricted_kernelIl19rocblas_complex_numIdELi16ELi32ELi8ELi1ELi0ELb1ELc78ELc85EKS1_S1_EviT_PT9_S3_lS5_S3_lPT10_S3_li ; -- Begin function _ZL37rocblas_syrkx_herkx_restricted_kernelIl19rocblas_complex_numIdELi16ELi32ELi8ELi1ELi0ELb1ELc78ELc85EKS1_S1_EviT_PT9_S3_lS5_S3_lPT10_S3_li
	.p2align	8
	.type	_ZL37rocblas_syrkx_herkx_restricted_kernelIl19rocblas_complex_numIdELi16ELi32ELi8ELi1ELi0ELb1ELc78ELc85EKS1_S1_EviT_PT9_S3_lS5_S3_lPT10_S3_li,@function
_ZL37rocblas_syrkx_herkx_restricted_kernelIl19rocblas_complex_numIdELi16ELi32ELi8ELi1ELi0ELb1ELc78ELc85EKS1_S1_EviT_PT9_S3_lS5_S3_lPT10_S3_li: ; @_ZL37rocblas_syrkx_herkx_restricted_kernelIl19rocblas_complex_numIdELi16ELi32ELi8ELi1ELi0ELb1ELc78ELc85EKS1_S1_EviT_PT9_S3_lS5_S3_lPT10_S3_li
; %bb.0:
	s_load_dwordx16 s[12:27], s[4:5], 0x8
	s_lshl_b32 s9, s6, 5
	s_lshl_b32 s10, s7, 5
	s_waitcnt lgkmcnt(0)
	v_cmp_lt_i64_e64 s[0:1], s[12:13], 1
	s_and_b64 vcc, exec, s[0:1]
	s_cbranch_vccnz .LBB1328_3
; %bb.1:
	v_lshl_add_u32 v6, v1, 4, v0
	v_lshrrev_b32_e32 v7, 3, v6
	v_add_u32_e32 v2, s10, v7
	v_and_b32_e32 v5, 7, v0
	v_ashrrev_i32_e32 v3, 31, v2
	v_mad_u64_u32 v[2:3], s[0:1], s22, v5, v[2:3]
	v_lshrrev_b32_e32 v8, 5, v6
	s_mul_i32 s2, s19, s8
	v_mad_u64_u32 v[3:4], s[0:1], s23, v5, v[3:4]
	v_and_b32_e32 v4, 31, v6
	v_lshlrev_b32_e32 v5, 4, v5
	v_lshlrev_b32_e32 v6, 4, v4
	v_lshl_or_b32 v5, v7, 7, v5
	v_add_u32_e32 v4, s9, v4
	v_add_u32_e32 v23, 0x1000, v5
	v_ashrrev_i32_e32 v5, 31, v4
	v_mad_u64_u32 v[4:5], s[0:1], s16, v8, v[4:5]
	v_lshl_or_b32 v22, v8, 9, v6
	v_mov_b32_e32 v6, 0x1000
	v_lshl_add_u32 v25, v1, 7, v6
	v_mad_u64_u32 v[5:6], s[0:1], s17, v8, v[5:6]
	s_mul_hi_u32 s3, s18, s8
	s_add_i32 s1, s3, s2
	s_mul_i32 s0, s18, s8
	s_lshl_b64 s[0:1], s[0:1], 4
	v_lshlrev_b64 v[4:5], 4, v[4:5]
	s_add_u32 s0, s14, s0
	s_addc_u32 s1, s15, s1
	s_mul_i32 s2, s25, s8
	s_mul_hi_u32 s3, s24, s8
	v_mov_b32_e32 v6, s1
	v_add_co_u32_e32 v4, vcc, s0, v4
	s_add_i32 s3, s3, s2
	s_mul_i32 s2, s24, s8
	v_addc_co_u32_e32 v5, vcc, v6, v5, vcc
	s_lshl_b64 s[0:1], s[16:17], 7
	s_lshl_b64 s[2:3], s[2:3], 4
	v_add_co_u32_e32 v4, vcc, 8, v4
	v_lshlrev_b64 v[2:3], 4, v[2:3]
	s_add_u32 s2, s20, s2
	v_addc_co_u32_e32 v5, vcc, 0, v5, vcc
	s_addc_u32 s3, s21, s3
	v_mov_b32_e32 v6, s3
	v_add_co_u32_e32 v2, vcc, s2, v2
	v_addc_co_u32_e32 v3, vcc, v6, v3, vcc
	v_add_co_u32_e32 v12, vcc, 8, v2
	v_addc_co_u32_e32 v13, vcc, 0, v3, vcc
	s_lshl_b64 s[2:3], s[22:23], 7
	v_mov_b32_e32 v16, 0
	v_mov_b32_e32 v6, 0
	;; [unrolled: 1-line block ×8, first 2 shown]
	v_lshlrev_b32_e32 v24, 4, v0
	v_mov_b32_e32 v17, 0
	s_mov_b64 s[6:7], 0
	v_mov_b32_e32 v26, s1
	v_mov_b32_e32 v7, 0
	;; [unrolled: 1-line block ×9, first 2 shown]
.LBB1328_2:                             ; =>This Inner Loop Header: Depth=1
	global_load_dwordx4 v[28:31], v[4:5], off offset:-8
	s_add_u32 s6, s6, 8
	v_add_co_u32_e32 v4, vcc, s0, v4
	s_addc_u32 s7, s7, 0
	v_addc_co_u32_e32 v5, vcc, v5, v26, vcc
	s_waitcnt vmcnt(0)
	ds_write_b128 v22, v[28:31]
	global_load_dwordx4 v[28:31], v[12:13], off offset:-8
	v_add_co_u32_e32 v12, vcc, s2, v12
	v_addc_co_u32_e32 v13, vcc, v13, v27, vcc
	s_waitcnt vmcnt(0)
	v_xor_b32_e32 v31, 0x80000000, v31
	ds_write_b128 v23, v[28:31]
	s_waitcnt lgkmcnt(0)
	s_barrier
	ds_read_b128 v[28:31], v25
	ds_read_b128 v[32:35], v25 offset:16
	ds_read_b128 v[36:39], v25 offset:32
	;; [unrolled: 1-line block ×3, first 2 shown]
	ds_read_b128 v[44:47], v24
	s_waitcnt lgkmcnt(0)
	v_mul_f64 v[48:49], v[30:31], v[46:47]
	v_mul_f64 v[50:51], v[28:29], v[46:47]
	v_fma_f64 v[48:49], v[28:29], v[44:45], -v[48:49]
	v_fma_f64 v[50:51], v[30:31], v[44:45], v[50:51]
	v_add_f64 v[10:11], v[10:11], v[48:49]
	v_add_f64 v[20:21], v[50:51], v[20:21]
	ds_read_b128 v[48:51], v24 offset:256
	s_waitcnt lgkmcnt(0)
	v_mul_f64 v[52:53], v[30:31], v[50:51]
	v_fma_f64 v[52:53], v[28:29], v[48:49], -v[52:53]
	v_mul_f64 v[28:29], v[28:29], v[50:51]
	v_add_f64 v[2:3], v[2:3], v[52:53]
	v_fma_f64 v[28:29], v[30:31], v[48:49], v[28:29]
	v_add_f64 v[52:53], v[28:29], v[14:15]
	ds_read_b128 v[28:31], v25 offset:2048
	s_waitcnt lgkmcnt(0)
	v_mul_f64 v[14:15], v[30:31], v[46:47]
	v_mul_f64 v[46:47], v[28:29], v[46:47]
	v_fma_f64 v[14:15], v[28:29], v[44:45], -v[14:15]
	v_fma_f64 v[44:45], v[30:31], v[44:45], v[46:47]
	v_add_f64 v[46:47], v[8:9], v[14:15]
	v_mul_f64 v[8:9], v[30:31], v[50:51]
	v_mul_f64 v[14:15], v[28:29], v[50:51]
	v_add_f64 v[44:45], v[44:45], v[18:19]
	v_fma_f64 v[8:9], v[28:29], v[48:49], -v[8:9]
	v_fma_f64 v[14:15], v[30:31], v[48:49], v[14:15]
	v_add_f64 v[28:29], v[6:7], v[8:9]
	ds_read_b128 v[6:9], v24 offset:512
	v_add_f64 v[30:31], v[14:15], v[16:17]
	s_waitcnt lgkmcnt(0)
	v_mul_f64 v[14:15], v[34:35], v[8:9]
	v_mul_f64 v[16:17], v[32:33], v[8:9]
	v_fma_f64 v[14:15], v[32:33], v[6:7], -v[14:15]
	v_fma_f64 v[16:17], v[34:35], v[6:7], v[16:17]
	v_add_f64 v[10:11], v[10:11], v[14:15]
	v_add_f64 v[48:49], v[16:17], v[20:21]
	ds_read_b128 v[14:17], v24 offset:768
	s_waitcnt lgkmcnt(0)
	v_mul_f64 v[18:19], v[34:35], v[16:17]
	v_mul_f64 v[20:21], v[32:33], v[16:17]
	v_fma_f64 v[18:19], v[32:33], v[14:15], -v[18:19]
	v_fma_f64 v[20:21], v[34:35], v[14:15], v[20:21]
	v_add_f64 v[2:3], v[2:3], v[18:19]
	v_add_f64 v[32:33], v[20:21], v[52:53]
	ds_read_b128 v[18:21], v25 offset:2064
	s_waitcnt lgkmcnt(0)
	v_mul_f64 v[34:35], v[20:21], v[8:9]
	v_mul_f64 v[8:9], v[18:19], v[8:9]
	v_fma_f64 v[34:35], v[18:19], v[6:7], -v[34:35]
	v_fma_f64 v[6:7], v[20:21], v[6:7], v[8:9]
	v_mul_f64 v[8:9], v[18:19], v[16:17]
	v_add_f64 v[34:35], v[46:47], v[34:35]
	v_add_f64 v[44:45], v[6:7], v[44:45]
	v_mul_f64 v[6:7], v[20:21], v[16:17]
	v_fma_f64 v[8:9], v[20:21], v[14:15], v[8:9]
	v_fma_f64 v[6:7], v[18:19], v[14:15], -v[6:7]
	v_add_f64 v[30:31], v[8:9], v[30:31]
	v_add_f64 v[28:29], v[28:29], v[6:7]
	ds_read_b128 v[6:9], v24 offset:1024
	s_waitcnt lgkmcnt(0)
	v_mul_f64 v[14:15], v[38:39], v[8:9]
	v_mul_f64 v[16:17], v[36:37], v[8:9]
	v_fma_f64 v[14:15], v[36:37], v[6:7], -v[14:15]
	v_fma_f64 v[16:17], v[38:39], v[6:7], v[16:17]
	v_add_f64 v[10:11], v[10:11], v[14:15]
	v_add_f64 v[46:47], v[16:17], v[48:49]
	ds_read_b128 v[14:17], v24 offset:1280
	s_waitcnt lgkmcnt(0)
	v_mul_f64 v[18:19], v[38:39], v[16:17]
	v_mul_f64 v[20:21], v[36:37], v[16:17]
	v_fma_f64 v[18:19], v[36:37], v[14:15], -v[18:19]
	v_fma_f64 v[20:21], v[38:39], v[14:15], v[20:21]
	v_add_f64 v[2:3], v[2:3], v[18:19]
	v_add_f64 v[32:33], v[20:21], v[32:33]
	ds_read_b128 v[18:21], v25 offset:2080
	s_waitcnt lgkmcnt(0)
	v_mul_f64 v[36:37], v[20:21], v[8:9]
	v_mul_f64 v[8:9], v[18:19], v[8:9]
	v_fma_f64 v[36:37], v[18:19], v[6:7], -v[36:37]
	v_fma_f64 v[6:7], v[20:21], v[6:7], v[8:9]
	v_mul_f64 v[8:9], v[18:19], v[16:17]
	v_add_f64 v[34:35], v[34:35], v[36:37]
	v_add_f64 v[36:37], v[6:7], v[44:45]
	v_mul_f64 v[6:7], v[20:21], v[16:17]
	v_fma_f64 v[8:9], v[20:21], v[14:15], v[8:9]
	v_fma_f64 v[6:7], v[18:19], v[14:15], -v[6:7]
	v_add_f64 v[30:31], v[8:9], v[30:31]
	v_add_f64 v[28:29], v[28:29], v[6:7]
	ds_read_b128 v[6:9], v24 offset:1536
	;; [unrolled: 30-line block ×3, first 2 shown]
	ds_read_b128 v[14:17], v24 offset:2048
	s_waitcnt lgkmcnt(0)
	v_mul_f64 v[18:19], v[8:9], v[16:17]
	v_mul_f64 v[20:21], v[6:7], v[16:17]
	v_fma_f64 v[18:19], v[6:7], v[14:15], -v[18:19]
	v_fma_f64 v[20:21], v[8:9], v[14:15], v[20:21]
	v_add_f64 v[10:11], v[10:11], v[18:19]
	v_add_f64 v[38:39], v[20:21], v[38:39]
	ds_read_b128 v[18:21], v24 offset:2304
	s_waitcnt lgkmcnt(0)
	v_mul_f64 v[40:41], v[8:9], v[20:21]
	v_fma_f64 v[40:41], v[6:7], v[18:19], -v[40:41]
	v_mul_f64 v[6:7], v[6:7], v[20:21]
	v_add_f64 v[2:3], v[2:3], v[40:41]
	v_fma_f64 v[6:7], v[8:9], v[18:19], v[6:7]
	v_add_f64 v[32:33], v[6:7], v[32:33]
	ds_read_b128 v[6:9], v25 offset:2112
	s_waitcnt lgkmcnt(0)
	v_mul_f64 v[40:41], v[8:9], v[16:17]
	v_mul_f64 v[16:17], v[6:7], v[16:17]
	v_fma_f64 v[40:41], v[6:7], v[14:15], -v[40:41]
	v_fma_f64 v[14:15], v[8:9], v[14:15], v[16:17]
	v_add_f64 v[34:35], v[34:35], v[40:41]
	v_add_f64 v[36:37], v[14:15], v[36:37]
	v_mul_f64 v[14:15], v[8:9], v[20:21]
	v_fma_f64 v[14:15], v[6:7], v[18:19], -v[14:15]
	v_mul_f64 v[6:7], v[6:7], v[20:21]
	v_add_f64 v[28:29], v[28:29], v[14:15]
	v_fma_f64 v[6:7], v[8:9], v[18:19], v[6:7]
	v_add_f64 v[30:31], v[6:7], v[30:31]
	ds_read_b128 v[6:9], v25 offset:80
	ds_read_b128 v[14:17], v24 offset:2560
	s_waitcnt lgkmcnt(0)
	v_mul_f64 v[18:19], v[8:9], v[16:17]
	v_mul_f64 v[20:21], v[6:7], v[16:17]
	v_fma_f64 v[18:19], v[6:7], v[14:15], -v[18:19]
	v_fma_f64 v[20:21], v[8:9], v[14:15], v[20:21]
	v_add_f64 v[10:11], v[10:11], v[18:19]
	v_add_f64 v[38:39], v[20:21], v[38:39]
	ds_read_b128 v[18:21], v24 offset:2816
	s_waitcnt lgkmcnt(0)
	v_mul_f64 v[40:41], v[8:9], v[20:21]
	v_fma_f64 v[40:41], v[6:7], v[18:19], -v[40:41]
	v_mul_f64 v[6:7], v[6:7], v[20:21]
	v_add_f64 v[2:3], v[2:3], v[40:41]
	v_fma_f64 v[6:7], v[8:9], v[18:19], v[6:7]
	v_add_f64 v[32:33], v[6:7], v[32:33]
	ds_read_b128 v[6:9], v25 offset:2128
	s_waitcnt lgkmcnt(0)
	v_mul_f64 v[40:41], v[8:9], v[16:17]
	v_mul_f64 v[16:17], v[6:7], v[16:17]
	v_fma_f64 v[40:41], v[6:7], v[14:15], -v[40:41]
	v_fma_f64 v[14:15], v[8:9], v[14:15], v[16:17]
	v_add_f64 v[34:35], v[34:35], v[40:41]
	v_add_f64 v[36:37], v[14:15], v[36:37]
	v_mul_f64 v[14:15], v[8:9], v[20:21]
	v_fma_f64 v[14:15], v[6:7], v[18:19], -v[14:15]
	v_mul_f64 v[6:7], v[6:7], v[20:21]
	v_add_f64 v[28:29], v[28:29], v[14:15]
	v_fma_f64 v[6:7], v[8:9], v[18:19], v[6:7]
	v_add_f64 v[30:31], v[6:7], v[30:31]
	ds_read_b128 v[6:9], v25 offset:96
	ds_read_b128 v[14:17], v24 offset:3072
	s_waitcnt lgkmcnt(0)
	v_mul_f64 v[18:19], v[8:9], v[16:17]
	v_mul_f64 v[20:21], v[6:7], v[16:17]
	v_fma_f64 v[18:19], v[6:7], v[14:15], -v[18:19]
	v_fma_f64 v[20:21], v[8:9], v[14:15], v[20:21]
	v_add_f64 v[10:11], v[10:11], v[18:19]
	v_add_f64 v[38:39], v[20:21], v[38:39]
	ds_read_b128 v[18:21], v24 offset:3328
	s_waitcnt lgkmcnt(0)
	v_mul_f64 v[40:41], v[8:9], v[20:21]
	v_fma_f64 v[40:41], v[6:7], v[18:19], -v[40:41]
	v_mul_f64 v[6:7], v[6:7], v[20:21]
	v_add_f64 v[2:3], v[2:3], v[40:41]
	v_fma_f64 v[6:7], v[8:9], v[18:19], v[6:7]
	v_add_f64 v[32:33], v[6:7], v[32:33]
	ds_read_b128 v[6:9], v25 offset:2144
	s_waitcnt lgkmcnt(0)
	v_mul_f64 v[40:41], v[8:9], v[16:17]
	v_mul_f64 v[16:17], v[6:7], v[16:17]
	v_fma_f64 v[40:41], v[6:7], v[14:15], -v[40:41]
	v_fma_f64 v[14:15], v[8:9], v[14:15], v[16:17]
	v_add_f64 v[40:41], v[34:35], v[40:41]
	v_add_f64 v[36:37], v[14:15], v[36:37]
	v_mul_f64 v[14:15], v[8:9], v[20:21]
	v_fma_f64 v[14:15], v[6:7], v[18:19], -v[14:15]
	v_mul_f64 v[6:7], v[6:7], v[20:21]
	v_add_f64 v[42:43], v[28:29], v[14:15]
	v_fma_f64 v[6:7], v[8:9], v[18:19], v[6:7]
	v_add_f64 v[44:45], v[6:7], v[30:31]
	ds_read_b128 v[6:9], v25 offset:112
	ds_read_b128 v[16:19], v24 offset:3584
	ds_read_b128 v[28:31], v24 offset:3840
	s_waitcnt lgkmcnt(1)
	v_mul_f64 v[14:15], v[8:9], v[18:19]
	v_mul_f64 v[20:21], v[6:7], v[18:19]
	v_fma_f64 v[14:15], v[6:7], v[16:17], -v[14:15]
	v_fma_f64 v[20:21], v[8:9], v[16:17], v[20:21]
	v_add_f64 v[10:11], v[10:11], v[14:15]
	s_waitcnt lgkmcnt(0)
	v_mul_f64 v[14:15], v[8:9], v[30:31]
	v_add_f64 v[20:21], v[20:21], v[38:39]
	v_fma_f64 v[14:15], v[6:7], v[28:29], -v[14:15]
	v_mul_f64 v[6:7], v[6:7], v[30:31]
	v_add_f64 v[2:3], v[2:3], v[14:15]
	v_fma_f64 v[6:7], v[8:9], v[28:29], v[6:7]
	v_add_f64 v[14:15], v[6:7], v[32:33]
	ds_read_b128 v[32:35], v25 offset:2160
	s_waitcnt lgkmcnt(0)
	s_barrier
	v_mul_f64 v[6:7], v[34:35], v[18:19]
	v_mul_f64 v[8:9], v[32:33], v[18:19]
	v_fma_f64 v[6:7], v[32:33], v[16:17], -v[6:7]
	v_fma_f64 v[16:17], v[34:35], v[16:17], v[8:9]
	v_add_f64 v[8:9], v[40:41], v[6:7]
	v_add_f64 v[18:19], v[16:17], v[36:37]
	v_mul_f64 v[6:7], v[34:35], v[30:31]
	v_mul_f64 v[16:17], v[32:33], v[30:31]
	v_fma_f64 v[6:7], v[32:33], v[28:29], -v[6:7]
	v_fma_f64 v[16:17], v[34:35], v[28:29], v[16:17]
	v_mov_b32_e32 v29, s7
	v_mov_b32_e32 v28, s6
	v_cmp_le_u64_e32 vcc, s[12:13], v[28:29]
	v_add_f64 v[6:7], v[42:43], v[6:7]
	v_add_f64 v[16:17], v[16:17], v[44:45]
	s_cbranch_vccz .LBB1328_2
	s_branch .LBB1328_4
.LBB1328_3:
	v_mov_b32_e32 v10, 0
	v_mov_b32_e32 v20, 0
	;; [unrolled: 1-line block ×16, first 2 shown]
.LBB1328_4:
	s_load_dwordx4 s[12:15], s[4:5], 0x48
	s_load_dword s6, s[4:5], 0x0
	v_add_u32_e32 v22, s10, v1
	v_ashrrev_i32_e32 v1, 31, v22
	v_add_u32_e32 v0, s9, v0
	s_waitcnt lgkmcnt(0)
	s_mul_i32 s1, s15, s8
	s_mul_hi_u32 s2, s14, s8
	s_add_i32 s1, s2, s1
	v_mul_lo_u32 v1, s12, v1
	v_mul_lo_u32 v12, s13, v22
	v_mad_u64_u32 v[4:5], s[2:3], s12, v22, 0
	s_mul_i32 s0, s14, s8
	s_lshl_b64 s[0:1], s[0:1], 4
	v_add3_u32 v5, v5, v1, v12
	s_add_u32 s4, s26, s0
	v_lshlrev_b64 v[4:5], 4, v[4:5]
	s_addc_u32 s5, s27, s1
	v_mov_b32_e32 v1, s5
	v_add_co_u32_e64 v4, s[0:1], s4, v4
	v_addc_co_u32_e64 v5, s[0:1], v1, v5, s[0:1]
	v_cmp_gt_i32_e32 vcc, s6, v22
	v_cmp_le_i32_e64 s[0:1], v0, v22
	s_and_b64 s[0:1], vcc, s[0:1]
	s_and_saveexec_b64 s[2:3], s[0:1]
	s_cbranch_execz .LBB1328_6
; %bb.5:
	v_ashrrev_i32_e32 v1, 31, v0
	v_lshlrev_b64 v[12:13], 4, v[0:1]
	v_add_co_u32_e64 v23, s[0:1], v4, v12
	v_addc_co_u32_e64 v24, s[0:1], v5, v13, s[0:1]
	v_cmp_ne_u32_e64 s[0:1], v22, v0
	v_cndmask_b32_e64 v13, 0, v21, s[0:1]
	v_cndmask_b32_e64 v12, 0, v20, s[0:1]
	global_store_dwordx4 v[23:24], v[10:13], off
.LBB1328_6:
	s_or_b64 exec, exec, s[2:3]
	v_add_u32_e32 v12, 16, v0
	v_cmp_le_i32_e64 s[0:1], v12, v22
	s_and_b64 s[2:3], vcc, s[0:1]
	s_and_saveexec_b64 s[0:1], s[2:3]
	s_cbranch_execz .LBB1328_8
; %bb.7:
	v_ashrrev_i32_e32 v13, 31, v12
	v_lshlrev_b64 v[10:11], 4, v[12:13]
	v_add_co_u32_e32 v10, vcc, v4, v10
	v_addc_co_u32_e32 v11, vcc, v5, v11, vcc
	v_cmp_ne_u32_e32 vcc, v22, v12
	v_cndmask_b32_e32 v5, 0, v15, vcc
	v_cndmask_b32_e32 v4, 0, v14, vcc
	global_store_dwordx4 v[10:11], v[2:5], off
.LBB1328_8:
	s_or_b64 exec, exec, s[0:1]
	v_add_u32_e32 v2, 16, v22
	v_ashrrev_i32_e32 v1, 31, v2
	v_mul_lo_u32 v1, s12, v1
	v_mul_lo_u32 v5, s13, v2
	v_mad_u64_u32 v[3:4], s[0:1], s12, v2, 0
	v_cmp_gt_i32_e32 vcc, s6, v2
	v_add3_u32 v4, v4, v1, v5
	v_lshlrev_b64 v[3:4], 4, v[3:4]
	v_mov_b32_e32 v1, s5
	v_add_co_u32_e64 v3, s[0:1], s4, v3
	v_addc_co_u32_e64 v4, s[0:1], v1, v4, s[0:1]
	v_cmp_le_i32_e64 s[0:1], v0, v2
	s_and_b64 s[0:1], vcc, s[0:1]
	s_and_saveexec_b64 s[2:3], s[0:1]
	s_cbranch_execz .LBB1328_10
; %bb.9:
	v_ashrrev_i32_e32 v1, 31, v0
	v_lshlrev_b64 v[10:11], 4, v[0:1]
	v_add_co_u32_e64 v13, s[0:1], v3, v10
	v_addc_co_u32_e64 v14, s[0:1], v4, v11, s[0:1]
	v_cmp_ne_u32_e64 s[0:1], v2, v0
	v_cndmask_b32_e64 v11, 0, v19, s[0:1]
	v_cndmask_b32_e64 v10, 0, v18, s[0:1]
	global_store_dwordx4 v[13:14], v[8:11], off
.LBB1328_10:
	s_or_b64 exec, exec, s[2:3]
	v_cmp_le_i32_e64 s[0:1], v12, v2
	s_and_b64 s[0:1], vcc, s[0:1]
	s_and_saveexec_b64 s[2:3], s[0:1]
	s_cbranch_execz .LBB1328_12
; %bb.11:
	v_ashrrev_i32_e32 v13, 31, v12
	v_lshlrev_b64 v[1:2], 4, v[12:13]
	v_add_co_u32_e32 v1, vcc, v3, v1
	v_addc_co_u32_e32 v2, vcc, v4, v2, vcc
	v_cmp_ne_u32_e32 vcc, v22, v0
	v_cndmask_b32_e32 v9, 0, v17, vcc
	v_cndmask_b32_e32 v8, 0, v16, vcc
	global_store_dwordx4 v[1:2], v[6:9], off
.LBB1328_12:
	s_endpgm
	.section	.rodata,"a",@progbits
	.p2align	6, 0x0
	.amdhsa_kernel _ZL37rocblas_syrkx_herkx_restricted_kernelIl19rocblas_complex_numIdELi16ELi32ELi8ELi1ELi0ELb1ELc78ELc85EKS1_S1_EviT_PT9_S3_lS5_S3_lPT10_S3_li
		.amdhsa_group_segment_fixed_size 8192
		.amdhsa_private_segment_fixed_size 0
		.amdhsa_kernarg_size 92
		.amdhsa_user_sgpr_count 6
		.amdhsa_user_sgpr_private_segment_buffer 1
		.amdhsa_user_sgpr_dispatch_ptr 0
		.amdhsa_user_sgpr_queue_ptr 0
		.amdhsa_user_sgpr_kernarg_segment_ptr 1
		.amdhsa_user_sgpr_dispatch_id 0
		.amdhsa_user_sgpr_flat_scratch_init 0
		.amdhsa_user_sgpr_private_segment_size 0
		.amdhsa_uses_dynamic_stack 0
		.amdhsa_system_sgpr_private_segment_wavefront_offset 0
		.amdhsa_system_sgpr_workgroup_id_x 1
		.amdhsa_system_sgpr_workgroup_id_y 1
		.amdhsa_system_sgpr_workgroup_id_z 1
		.amdhsa_system_sgpr_workgroup_info 0
		.amdhsa_system_vgpr_workitem_id 1
		.amdhsa_next_free_vgpr 54
		.amdhsa_next_free_sgpr 61
		.amdhsa_reserve_vcc 1
		.amdhsa_reserve_flat_scratch 0
		.amdhsa_float_round_mode_32 0
		.amdhsa_float_round_mode_16_64 0
		.amdhsa_float_denorm_mode_32 3
		.amdhsa_float_denorm_mode_16_64 3
		.amdhsa_dx10_clamp 1
		.amdhsa_ieee_mode 1
		.amdhsa_fp16_overflow 0
		.amdhsa_exception_fp_ieee_invalid_op 0
		.amdhsa_exception_fp_denorm_src 0
		.amdhsa_exception_fp_ieee_div_zero 0
		.amdhsa_exception_fp_ieee_overflow 0
		.amdhsa_exception_fp_ieee_underflow 0
		.amdhsa_exception_fp_ieee_inexact 0
		.amdhsa_exception_int_div_zero 0
	.end_amdhsa_kernel
	.section	.text._ZL37rocblas_syrkx_herkx_restricted_kernelIl19rocblas_complex_numIdELi16ELi32ELi8ELi1ELi0ELb1ELc78ELc85EKS1_S1_EviT_PT9_S3_lS5_S3_lPT10_S3_li,"axG",@progbits,_ZL37rocblas_syrkx_herkx_restricted_kernelIl19rocblas_complex_numIdELi16ELi32ELi8ELi1ELi0ELb1ELc78ELc85EKS1_S1_EviT_PT9_S3_lS5_S3_lPT10_S3_li,comdat
.Lfunc_end1328:
	.size	_ZL37rocblas_syrkx_herkx_restricted_kernelIl19rocblas_complex_numIdELi16ELi32ELi8ELi1ELi0ELb1ELc78ELc85EKS1_S1_EviT_PT9_S3_lS5_S3_lPT10_S3_li, .Lfunc_end1328-_ZL37rocblas_syrkx_herkx_restricted_kernelIl19rocblas_complex_numIdELi16ELi32ELi8ELi1ELi0ELb1ELc78ELc85EKS1_S1_EviT_PT9_S3_lS5_S3_lPT10_S3_li
                                        ; -- End function
	.set _ZL37rocblas_syrkx_herkx_restricted_kernelIl19rocblas_complex_numIdELi16ELi32ELi8ELi1ELi0ELb1ELc78ELc85EKS1_S1_EviT_PT9_S3_lS5_S3_lPT10_S3_li.num_vgpr, 54
	.set _ZL37rocblas_syrkx_herkx_restricted_kernelIl19rocblas_complex_numIdELi16ELi32ELi8ELi1ELi0ELb1ELc78ELc85EKS1_S1_EviT_PT9_S3_lS5_S3_lPT10_S3_li.num_agpr, 0
	.set _ZL37rocblas_syrkx_herkx_restricted_kernelIl19rocblas_complex_numIdELi16ELi32ELi8ELi1ELi0ELb1ELc78ELc85EKS1_S1_EviT_PT9_S3_lS5_S3_lPT10_S3_li.numbered_sgpr, 28
	.set _ZL37rocblas_syrkx_herkx_restricted_kernelIl19rocblas_complex_numIdELi16ELi32ELi8ELi1ELi0ELb1ELc78ELc85EKS1_S1_EviT_PT9_S3_lS5_S3_lPT10_S3_li.num_named_barrier, 0
	.set _ZL37rocblas_syrkx_herkx_restricted_kernelIl19rocblas_complex_numIdELi16ELi32ELi8ELi1ELi0ELb1ELc78ELc85EKS1_S1_EviT_PT9_S3_lS5_S3_lPT10_S3_li.private_seg_size, 0
	.set _ZL37rocblas_syrkx_herkx_restricted_kernelIl19rocblas_complex_numIdELi16ELi32ELi8ELi1ELi0ELb1ELc78ELc85EKS1_S1_EviT_PT9_S3_lS5_S3_lPT10_S3_li.uses_vcc, 1
	.set _ZL37rocblas_syrkx_herkx_restricted_kernelIl19rocblas_complex_numIdELi16ELi32ELi8ELi1ELi0ELb1ELc78ELc85EKS1_S1_EviT_PT9_S3_lS5_S3_lPT10_S3_li.uses_flat_scratch, 0
	.set _ZL37rocblas_syrkx_herkx_restricted_kernelIl19rocblas_complex_numIdELi16ELi32ELi8ELi1ELi0ELb1ELc78ELc85EKS1_S1_EviT_PT9_S3_lS5_S3_lPT10_S3_li.has_dyn_sized_stack, 0
	.set _ZL37rocblas_syrkx_herkx_restricted_kernelIl19rocblas_complex_numIdELi16ELi32ELi8ELi1ELi0ELb1ELc78ELc85EKS1_S1_EviT_PT9_S3_lS5_S3_lPT10_S3_li.has_recursion, 0
	.set _ZL37rocblas_syrkx_herkx_restricted_kernelIl19rocblas_complex_numIdELi16ELi32ELi8ELi1ELi0ELb1ELc78ELc85EKS1_S1_EviT_PT9_S3_lS5_S3_lPT10_S3_li.has_indirect_call, 0
	.section	.AMDGPU.csdata,"",@progbits
; Kernel info:
; codeLenInByte = 2908
; TotalNumSgprs: 32
; NumVgprs: 54
; ScratchSize: 0
; MemoryBound: 0
; FloatMode: 240
; IeeeMode: 1
; LDSByteSize: 8192 bytes/workgroup (compile time only)
; SGPRBlocks: 8
; VGPRBlocks: 13
; NumSGPRsForWavesPerEU: 65
; NumVGPRsForWavesPerEU: 54
; Occupancy: 4
; WaveLimiterHint : 1
; COMPUTE_PGM_RSRC2:SCRATCH_EN: 0
; COMPUTE_PGM_RSRC2:USER_SGPR: 6
; COMPUTE_PGM_RSRC2:TRAP_HANDLER: 0
; COMPUTE_PGM_RSRC2:TGID_X_EN: 1
; COMPUTE_PGM_RSRC2:TGID_Y_EN: 1
; COMPUTE_PGM_RSRC2:TGID_Z_EN: 1
; COMPUTE_PGM_RSRC2:TIDIG_COMP_CNT: 1
	.section	.text._ZL37rocblas_syrkx_herkx_restricted_kernelIl19rocblas_complex_numIdELi16ELi32ELi8ELin1ELi0ELb1ELc84ELc76EKS1_S1_EviT_PT9_S3_lS5_S3_lPT10_S3_li,"axG",@progbits,_ZL37rocblas_syrkx_herkx_restricted_kernelIl19rocblas_complex_numIdELi16ELi32ELi8ELin1ELi0ELb1ELc84ELc76EKS1_S1_EviT_PT9_S3_lS5_S3_lPT10_S3_li,comdat
	.globl	_ZL37rocblas_syrkx_herkx_restricted_kernelIl19rocblas_complex_numIdELi16ELi32ELi8ELin1ELi0ELb1ELc84ELc76EKS1_S1_EviT_PT9_S3_lS5_S3_lPT10_S3_li ; -- Begin function _ZL37rocblas_syrkx_herkx_restricted_kernelIl19rocblas_complex_numIdELi16ELi32ELi8ELin1ELi0ELb1ELc84ELc76EKS1_S1_EviT_PT9_S3_lS5_S3_lPT10_S3_li
	.p2align	8
	.type	_ZL37rocblas_syrkx_herkx_restricted_kernelIl19rocblas_complex_numIdELi16ELi32ELi8ELin1ELi0ELb1ELc84ELc76EKS1_S1_EviT_PT9_S3_lS5_S3_lPT10_S3_li,@function
_ZL37rocblas_syrkx_herkx_restricted_kernelIl19rocblas_complex_numIdELi16ELi32ELi8ELin1ELi0ELb1ELc84ELc76EKS1_S1_EviT_PT9_S3_lS5_S3_lPT10_S3_li: ; @_ZL37rocblas_syrkx_herkx_restricted_kernelIl19rocblas_complex_numIdELi16ELi32ELi8ELin1ELi0ELb1ELc84ELc76EKS1_S1_EviT_PT9_S3_lS5_S3_lPT10_S3_li
; %bb.0:
	s_load_dwordx16 s[12:27], s[4:5], 0x8
	s_lshl_b32 s2, s6, 5
	s_lshl_b32 s3, s7, 5
	s_waitcnt lgkmcnt(0)
	v_cmp_lt_i64_e64 s[0:1], s[12:13], 1
	s_and_b64 vcc, exec, s[0:1]
	s_cbranch_vccnz .LBB1329_3
; %bb.1:
	v_lshl_add_u32 v4, v1, 4, v0
	v_lshrrev_b32_e32 v8, 3, v4
	v_add_u32_e32 v5, s3, v8
	v_ashrrev_i32_e32 v6, 31, v5
	v_and_b32_e32 v2, 7, v0
	v_mov_b32_e32 v3, 0
	v_mul_lo_u32 v9, s22, v6
	v_mul_lo_u32 v10, s23, v5
	v_mad_u64_u32 v[6:7], s[0:1], s22, v5, v[2:3]
	v_lshlrev_b32_e32 v2, 4, v2
	v_lshl_or_b32 v2, v8, 7, v2
	v_add3_u32 v7, v10, v7, v9
	v_and_b32_e32 v9, 31, v4
	v_add_u32_e32 v23, 0x1000, v2
	v_mov_b32_e32 v2, 0x1000
	v_add_u32_e32 v8, s2, v9
	v_lshrrev_b32_e32 v4, 5, v4
	v_mov_b32_e32 v5, v3
	v_lshlrev_b32_e32 v3, 4, v9
	v_lshl_add_u32 v25, v1, 7, v2
	v_ashrrev_i32_e32 v2, 31, v8
	v_lshl_or_b32 v22, v4, 9, v3
	v_mul_lo_u32 v9, s16, v2
	v_mad_u64_u32 v[2:3], s[0:1], s16, v8, v[4:5]
	v_mul_lo_u32 v4, s17, v8
	s_mul_i32 s6, s19, s8
	s_mul_hi_u32 s7, s18, s8
	s_add_i32 s1, s7, s6
	s_mul_i32 s0, s18, s8
	s_lshl_b64 s[0:1], s[0:1], 4
	v_add3_u32 v3, v4, v3, v9
	v_lshlrev_b64 v[2:3], 4, v[2:3]
	s_add_u32 s0, s14, s0
	s_addc_u32 s1, s15, s1
	v_mov_b32_e32 v4, s1
	v_add_co_u32_e32 v2, vcc, s0, v2
	s_mul_i32 s0, s25, s8
	s_mul_hi_u32 s1, s24, s8
	v_addc_co_u32_e32 v3, vcc, v4, v3, vcc
	s_add_i32 s1, s1, s0
	s_mul_i32 s0, s24, s8
	v_add_co_u32_e32 v4, vcc, 8, v2
	s_lshl_b64 s[0:1], s[0:1], 4
	v_addc_co_u32_e32 v5, vcc, 0, v3, vcc
	v_lshlrev_b64 v[2:3], 4, v[6:7]
	s_add_u32 s0, s20, s0
	s_addc_u32 s1, s21, s1
	v_mov_b32_e32 v6, s1
	v_add_co_u32_e32 v2, vcc, s0, v2
	v_addc_co_u32_e32 v3, vcc, v6, v3, vcc
	v_add_co_u32_e32 v12, vcc, 8, v2
	v_addc_co_u32_e32 v13, vcc, 0, v3, vcc
	v_mov_b32_e32 v16, 0
	v_mov_b32_e32 v6, 0
	;; [unrolled: 1-line block ×8, first 2 shown]
	v_lshlrev_b32_e32 v24, 4, v0
	v_mov_b32_e32 v17, 0
	v_mov_b32_e32 v7, 0
	;; [unrolled: 1-line block ×8, first 2 shown]
	s_mov_b64 s[0:1], 0
.LBB1329_2:                             ; =>This Inner Loop Header: Depth=1
	global_load_dwordx4 v[26:29], v[4:5], off offset:-8
	s_add_u32 s0, s0, 8
	v_add_co_u32_e32 v4, vcc, 0x80, v4
	s_addc_u32 s1, s1, 0
	v_addc_co_u32_e32 v5, vcc, 0, v5, vcc
	s_waitcnt vmcnt(0)
	ds_write_b128 v22, v[26:29]
	global_load_dwordx4 v[26:29], v[12:13], off offset:-8
	v_add_co_u32_e32 v12, vcc, 0x80, v12
	v_addc_co_u32_e32 v13, vcc, 0, v13, vcc
	s_waitcnt vmcnt(0)
	ds_write_b128 v23, v[26:29]
	s_waitcnt lgkmcnt(0)
	s_barrier
	ds_read_b128 v[26:29], v25
	ds_read_b128 v[30:33], v25 offset:16
	ds_read_b128 v[34:37], v25 offset:32
	;; [unrolled: 1-line block ×3, first 2 shown]
	ds_read_b128 v[42:45], v24
	s_waitcnt lgkmcnt(0)
	v_mul_f64 v[46:47], v[28:29], v[44:45]
	v_mul_f64 v[48:49], v[26:27], v[44:45]
	v_fma_f64 v[46:47], v[26:27], v[42:43], -v[46:47]
	v_fma_f64 v[48:49], v[28:29], v[42:43], v[48:49]
	v_add_f64 v[10:11], v[10:11], v[46:47]
	v_add_f64 v[20:21], v[48:49], v[20:21]
	ds_read_b128 v[46:49], v24 offset:256
	s_waitcnt lgkmcnt(0)
	v_mul_f64 v[50:51], v[28:29], v[48:49]
	v_fma_f64 v[50:51], v[26:27], v[46:47], -v[50:51]
	v_mul_f64 v[26:27], v[26:27], v[48:49]
	v_add_f64 v[2:3], v[2:3], v[50:51]
	v_fma_f64 v[26:27], v[28:29], v[46:47], v[26:27]
	v_add_f64 v[50:51], v[26:27], v[14:15]
	ds_read_b128 v[26:29], v25 offset:2048
	s_waitcnt lgkmcnt(0)
	v_mul_f64 v[14:15], v[28:29], v[44:45]
	v_mul_f64 v[44:45], v[26:27], v[44:45]
	v_fma_f64 v[14:15], v[26:27], v[42:43], -v[14:15]
	v_fma_f64 v[42:43], v[28:29], v[42:43], v[44:45]
	v_add_f64 v[44:45], v[8:9], v[14:15]
	v_mul_f64 v[8:9], v[28:29], v[48:49]
	v_mul_f64 v[14:15], v[26:27], v[48:49]
	v_add_f64 v[42:43], v[42:43], v[18:19]
	v_fma_f64 v[8:9], v[26:27], v[46:47], -v[8:9]
	v_fma_f64 v[14:15], v[28:29], v[46:47], v[14:15]
	v_add_f64 v[26:27], v[6:7], v[8:9]
	ds_read_b128 v[6:9], v24 offset:512
	v_add_f64 v[28:29], v[14:15], v[16:17]
	s_waitcnt lgkmcnt(0)
	v_mul_f64 v[14:15], v[32:33], v[8:9]
	v_mul_f64 v[16:17], v[30:31], v[8:9]
	v_fma_f64 v[14:15], v[30:31], v[6:7], -v[14:15]
	v_fma_f64 v[16:17], v[32:33], v[6:7], v[16:17]
	v_add_f64 v[10:11], v[10:11], v[14:15]
	v_add_f64 v[46:47], v[16:17], v[20:21]
	ds_read_b128 v[14:17], v24 offset:768
	s_waitcnt lgkmcnt(0)
	v_mul_f64 v[18:19], v[32:33], v[16:17]
	v_mul_f64 v[20:21], v[30:31], v[16:17]
	v_fma_f64 v[18:19], v[30:31], v[14:15], -v[18:19]
	v_fma_f64 v[20:21], v[32:33], v[14:15], v[20:21]
	v_add_f64 v[2:3], v[2:3], v[18:19]
	v_add_f64 v[30:31], v[20:21], v[50:51]
	ds_read_b128 v[18:21], v25 offset:2064
	s_waitcnt lgkmcnt(0)
	v_mul_f64 v[32:33], v[20:21], v[8:9]
	v_mul_f64 v[8:9], v[18:19], v[8:9]
	v_fma_f64 v[32:33], v[18:19], v[6:7], -v[32:33]
	v_fma_f64 v[6:7], v[20:21], v[6:7], v[8:9]
	v_mul_f64 v[8:9], v[18:19], v[16:17]
	v_add_f64 v[32:33], v[44:45], v[32:33]
	v_add_f64 v[42:43], v[6:7], v[42:43]
	v_mul_f64 v[6:7], v[20:21], v[16:17]
	v_fma_f64 v[8:9], v[20:21], v[14:15], v[8:9]
	v_fma_f64 v[6:7], v[18:19], v[14:15], -v[6:7]
	v_add_f64 v[28:29], v[8:9], v[28:29]
	v_add_f64 v[26:27], v[26:27], v[6:7]
	ds_read_b128 v[6:9], v24 offset:1024
	s_waitcnt lgkmcnt(0)
	v_mul_f64 v[14:15], v[36:37], v[8:9]
	v_mul_f64 v[16:17], v[34:35], v[8:9]
	v_fma_f64 v[14:15], v[34:35], v[6:7], -v[14:15]
	v_fma_f64 v[16:17], v[36:37], v[6:7], v[16:17]
	v_add_f64 v[10:11], v[10:11], v[14:15]
	v_add_f64 v[44:45], v[16:17], v[46:47]
	ds_read_b128 v[14:17], v24 offset:1280
	s_waitcnt lgkmcnt(0)
	v_mul_f64 v[18:19], v[36:37], v[16:17]
	v_mul_f64 v[20:21], v[34:35], v[16:17]
	v_fma_f64 v[18:19], v[34:35], v[14:15], -v[18:19]
	v_fma_f64 v[20:21], v[36:37], v[14:15], v[20:21]
	v_add_f64 v[2:3], v[2:3], v[18:19]
	v_add_f64 v[30:31], v[20:21], v[30:31]
	ds_read_b128 v[18:21], v25 offset:2080
	s_waitcnt lgkmcnt(0)
	v_mul_f64 v[34:35], v[20:21], v[8:9]
	v_mul_f64 v[8:9], v[18:19], v[8:9]
	v_fma_f64 v[34:35], v[18:19], v[6:7], -v[34:35]
	v_fma_f64 v[6:7], v[20:21], v[6:7], v[8:9]
	v_mul_f64 v[8:9], v[18:19], v[16:17]
	v_add_f64 v[32:33], v[32:33], v[34:35]
	v_add_f64 v[34:35], v[6:7], v[42:43]
	v_mul_f64 v[6:7], v[20:21], v[16:17]
	v_fma_f64 v[8:9], v[20:21], v[14:15], v[8:9]
	v_fma_f64 v[6:7], v[18:19], v[14:15], -v[6:7]
	v_add_f64 v[28:29], v[8:9], v[28:29]
	v_add_f64 v[26:27], v[26:27], v[6:7]
	ds_read_b128 v[6:9], v24 offset:1536
	;; [unrolled: 30-line block ×3, first 2 shown]
	ds_read_b128 v[14:17], v24 offset:2048
	s_waitcnt lgkmcnt(0)
	v_mul_f64 v[18:19], v[8:9], v[16:17]
	v_mul_f64 v[20:21], v[6:7], v[16:17]
	v_fma_f64 v[18:19], v[6:7], v[14:15], -v[18:19]
	v_fma_f64 v[20:21], v[8:9], v[14:15], v[20:21]
	v_add_f64 v[10:11], v[10:11], v[18:19]
	v_add_f64 v[36:37], v[20:21], v[36:37]
	ds_read_b128 v[18:21], v24 offset:2304
	s_waitcnt lgkmcnt(0)
	v_mul_f64 v[38:39], v[8:9], v[20:21]
	v_fma_f64 v[38:39], v[6:7], v[18:19], -v[38:39]
	v_mul_f64 v[6:7], v[6:7], v[20:21]
	v_add_f64 v[2:3], v[2:3], v[38:39]
	v_fma_f64 v[6:7], v[8:9], v[18:19], v[6:7]
	v_add_f64 v[30:31], v[6:7], v[30:31]
	ds_read_b128 v[6:9], v25 offset:2112
	s_waitcnt lgkmcnt(0)
	v_mul_f64 v[38:39], v[8:9], v[16:17]
	v_mul_f64 v[16:17], v[6:7], v[16:17]
	v_fma_f64 v[38:39], v[6:7], v[14:15], -v[38:39]
	v_fma_f64 v[14:15], v[8:9], v[14:15], v[16:17]
	v_add_f64 v[32:33], v[32:33], v[38:39]
	v_add_f64 v[34:35], v[14:15], v[34:35]
	v_mul_f64 v[14:15], v[8:9], v[20:21]
	v_fma_f64 v[14:15], v[6:7], v[18:19], -v[14:15]
	v_mul_f64 v[6:7], v[6:7], v[20:21]
	v_add_f64 v[26:27], v[26:27], v[14:15]
	v_fma_f64 v[6:7], v[8:9], v[18:19], v[6:7]
	v_add_f64 v[28:29], v[6:7], v[28:29]
	ds_read_b128 v[6:9], v25 offset:80
	ds_read_b128 v[14:17], v24 offset:2560
	s_waitcnt lgkmcnt(0)
	v_mul_f64 v[18:19], v[8:9], v[16:17]
	v_mul_f64 v[20:21], v[6:7], v[16:17]
	v_fma_f64 v[18:19], v[6:7], v[14:15], -v[18:19]
	v_fma_f64 v[20:21], v[8:9], v[14:15], v[20:21]
	v_add_f64 v[10:11], v[10:11], v[18:19]
	v_add_f64 v[36:37], v[20:21], v[36:37]
	ds_read_b128 v[18:21], v24 offset:2816
	s_waitcnt lgkmcnt(0)
	v_mul_f64 v[38:39], v[8:9], v[20:21]
	v_fma_f64 v[38:39], v[6:7], v[18:19], -v[38:39]
	v_mul_f64 v[6:7], v[6:7], v[20:21]
	v_add_f64 v[2:3], v[2:3], v[38:39]
	v_fma_f64 v[6:7], v[8:9], v[18:19], v[6:7]
	v_add_f64 v[30:31], v[6:7], v[30:31]
	ds_read_b128 v[6:9], v25 offset:2128
	s_waitcnt lgkmcnt(0)
	v_mul_f64 v[38:39], v[8:9], v[16:17]
	v_mul_f64 v[16:17], v[6:7], v[16:17]
	v_fma_f64 v[38:39], v[6:7], v[14:15], -v[38:39]
	v_fma_f64 v[14:15], v[8:9], v[14:15], v[16:17]
	v_add_f64 v[32:33], v[32:33], v[38:39]
	v_add_f64 v[34:35], v[14:15], v[34:35]
	v_mul_f64 v[14:15], v[8:9], v[20:21]
	v_fma_f64 v[14:15], v[6:7], v[18:19], -v[14:15]
	v_mul_f64 v[6:7], v[6:7], v[20:21]
	v_add_f64 v[26:27], v[26:27], v[14:15]
	v_fma_f64 v[6:7], v[8:9], v[18:19], v[6:7]
	v_add_f64 v[28:29], v[6:7], v[28:29]
	ds_read_b128 v[6:9], v25 offset:96
	;; [unrolled: 31-line block ×3, first 2 shown]
	ds_read_b128 v[16:19], v24 offset:3584
	ds_read_b128 v[26:29], v24 offset:3840
	s_waitcnt lgkmcnt(1)
	v_mul_f64 v[14:15], v[8:9], v[18:19]
	v_mul_f64 v[20:21], v[6:7], v[18:19]
	v_fma_f64 v[14:15], v[6:7], v[16:17], -v[14:15]
	v_fma_f64 v[20:21], v[8:9], v[16:17], v[20:21]
	v_add_f64 v[10:11], v[10:11], v[14:15]
	s_waitcnt lgkmcnt(0)
	v_mul_f64 v[14:15], v[8:9], v[28:29]
	v_add_f64 v[20:21], v[20:21], v[36:37]
	v_fma_f64 v[14:15], v[6:7], v[26:27], -v[14:15]
	v_mul_f64 v[6:7], v[6:7], v[28:29]
	v_add_f64 v[2:3], v[2:3], v[14:15]
	v_fma_f64 v[6:7], v[8:9], v[26:27], v[6:7]
	v_add_f64 v[14:15], v[6:7], v[30:31]
	ds_read_b128 v[30:33], v25 offset:2160
	s_waitcnt lgkmcnt(0)
	s_barrier
	v_mul_f64 v[6:7], v[32:33], v[18:19]
	v_mul_f64 v[8:9], v[30:31], v[18:19]
	v_fma_f64 v[6:7], v[30:31], v[16:17], -v[6:7]
	v_fma_f64 v[16:17], v[32:33], v[16:17], v[8:9]
	v_add_f64 v[8:9], v[38:39], v[6:7]
	v_add_f64 v[18:19], v[16:17], v[34:35]
	v_mul_f64 v[6:7], v[32:33], v[28:29]
	v_mul_f64 v[16:17], v[30:31], v[28:29]
	v_fma_f64 v[6:7], v[30:31], v[26:27], -v[6:7]
	v_fma_f64 v[16:17], v[32:33], v[26:27], v[16:17]
	v_mov_b32_e32 v27, s1
	v_mov_b32_e32 v26, s0
	v_cmp_le_u64_e32 vcc, s[12:13], v[26:27]
	v_add_f64 v[6:7], v[40:41], v[6:7]
	v_add_f64 v[16:17], v[16:17], v[42:43]
	s_cbranch_vccz .LBB1329_2
	s_branch .LBB1329_4
.LBB1329_3:
	v_mov_b32_e32 v10, 0
	v_mov_b32_e32 v20, 0
	;; [unrolled: 1-line block ×16, first 2 shown]
.LBB1329_4:
	s_load_dwordx4 s[12:15], s[4:5], 0x48
	s_load_dword s9, s[4:5], 0x0
	v_add_u32_e32 v22, s3, v1
	v_ashrrev_i32_e32 v1, 31, v22
	v_add_u32_e32 v0, s2, v0
	s_waitcnt lgkmcnt(0)
	v_mul_lo_u32 v1, s12, v1
	v_mul_lo_u32 v12, s13, v22
	v_mad_u64_u32 v[4:5], s[4:5], s12, v22, 0
	s_mul_i32 s1, s15, s8
	s_mul_hi_u32 s3, s14, s8
	s_mul_i32 s0, s14, s8
	s_add_i32 s1, s3, s1
	s_lshl_b64 s[0:1], s[0:1], 4
	v_add3_u32 v5, v5, v1, v12
	s_add_u32 s6, s26, s0
	v_lshlrev_b64 v[4:5], 4, v[4:5]
	s_addc_u32 s7, s27, s1
	v_mov_b32_e32 v1, s7
	v_add_co_u32_e32 v4, vcc, s6, v4
	v_addc_co_u32_e32 v5, vcc, v1, v5, vcc
	v_cmp_le_i32_e64 s[0:1], v22, v0
	v_cmp_gt_i32_e32 vcc, s9, v0
	s_and_b64 s[0:1], s[0:1], vcc
	s_and_saveexec_b64 s[2:3], s[0:1]
	s_cbranch_execz .LBB1329_6
; %bb.5:
	v_ashrrev_i32_e32 v1, 31, v0
	v_lshlrev_b64 v[12:13], 4, v[0:1]
	v_xor_b32_e32 v11, 0x80000000, v11
	v_add_co_u32_e64 v23, s[0:1], v4, v12
	v_addc_co_u32_e64 v24, s[0:1], v5, v13, s[0:1]
	v_cmp_ne_u32_e64 s[0:1], v22, v0
	v_cndmask_b32_e64 v13, 0, -v21, s[0:1]
	v_cndmask_b32_e64 v12, 0, v20, s[0:1]
	global_store_dwordx4 v[23:24], v[10:13], off
.LBB1329_6:
	s_or_b64 exec, exec, s[2:3]
	v_add_u32_e32 v12, 16, v0
	v_cmp_le_i32_e64 s[2:3], v22, v12
	v_cmp_gt_i32_e64 s[0:1], s9, v12
	s_and_b64 s[2:3], s[2:3], s[0:1]
	s_and_saveexec_b64 s[4:5], s[2:3]
	s_cbranch_execz .LBB1329_8
; %bb.7:
	v_ashrrev_i32_e32 v13, 31, v12
	v_lshlrev_b64 v[10:11], 4, v[12:13]
	v_xor_b32_e32 v3, 0x80000000, v3
	v_add_co_u32_e64 v10, s[2:3], v4, v10
	v_addc_co_u32_e64 v11, s[2:3], v5, v11, s[2:3]
	v_cmp_ne_u32_e64 s[2:3], v22, v12
	v_cndmask_b32_e64 v5, 0, -v15, s[2:3]
	v_cndmask_b32_e64 v4, 0, v14, s[2:3]
	global_store_dwordx4 v[10:11], v[2:5], off
.LBB1329_8:
	s_or_b64 exec, exec, s[4:5]
	v_add_u32_e32 v4, 16, v22
	v_ashrrev_i32_e32 v3, 31, v4
	v_mul_lo_u32 v5, s13, v4
	v_mad_u64_u32 v[1:2], s[2:3], s12, v4, 0
	v_mul_lo_u32 v3, s12, v3
	v_add3_u32 v2, v2, v3, v5
	v_lshlrev_b64 v[2:3], 4, v[1:2]
	v_mov_b32_e32 v1, s7
	v_add_co_u32_e64 v2, s[2:3], s6, v2
	v_addc_co_u32_e64 v3, s[2:3], v1, v3, s[2:3]
	v_cmp_le_i32_e64 s[2:3], v4, v0
	s_and_b64 s[4:5], s[2:3], vcc
	s_and_saveexec_b64 s[2:3], s[4:5]
	s_cbranch_execz .LBB1329_10
; %bb.9:
	v_ashrrev_i32_e32 v1, 31, v0
	v_lshlrev_b64 v[10:11], 4, v[0:1]
	v_xor_b32_e32 v9, 0x80000000, v9
	v_add_co_u32_e32 v13, vcc, v2, v10
	v_addc_co_u32_e32 v14, vcc, v3, v11, vcc
	v_cmp_ne_u32_e32 vcc, v4, v0
	v_cndmask_b32_e64 v11, 0, -v19, vcc
	v_cndmask_b32_e32 v10, 0, v18, vcc
	global_store_dwordx4 v[13:14], v[8:11], off
.LBB1329_10:
	s_or_b64 exec, exec, s[2:3]
	v_cmp_le_i32_e32 vcc, v4, v12
	s_and_b64 s[0:1], vcc, s[0:1]
	s_and_saveexec_b64 s[2:3], s[0:1]
	s_cbranch_execz .LBB1329_12
; %bb.11:
	v_ashrrev_i32_e32 v13, 31, v12
	v_lshlrev_b64 v[4:5], 4, v[12:13]
	v_xor_b32_e32 v7, 0x80000000, v7
	v_add_co_u32_e32 v1, vcc, v2, v4
	v_addc_co_u32_e32 v2, vcc, v3, v5, vcc
	v_cmp_ne_u32_e32 vcc, v22, v0
	v_cndmask_b32_e64 v9, 0, -v17, vcc
	v_cndmask_b32_e32 v8, 0, v16, vcc
	global_store_dwordx4 v[1:2], v[6:9], off
.LBB1329_12:
	s_endpgm
	.section	.rodata,"a",@progbits
	.p2align	6, 0x0
	.amdhsa_kernel _ZL37rocblas_syrkx_herkx_restricted_kernelIl19rocblas_complex_numIdELi16ELi32ELi8ELin1ELi0ELb1ELc84ELc76EKS1_S1_EviT_PT9_S3_lS5_S3_lPT10_S3_li
		.amdhsa_group_segment_fixed_size 8192
		.amdhsa_private_segment_fixed_size 0
		.amdhsa_kernarg_size 92
		.amdhsa_user_sgpr_count 6
		.amdhsa_user_sgpr_private_segment_buffer 1
		.amdhsa_user_sgpr_dispatch_ptr 0
		.amdhsa_user_sgpr_queue_ptr 0
		.amdhsa_user_sgpr_kernarg_segment_ptr 1
		.amdhsa_user_sgpr_dispatch_id 0
		.amdhsa_user_sgpr_flat_scratch_init 0
		.amdhsa_user_sgpr_private_segment_size 0
		.amdhsa_uses_dynamic_stack 0
		.amdhsa_system_sgpr_private_segment_wavefront_offset 0
		.amdhsa_system_sgpr_workgroup_id_x 1
		.amdhsa_system_sgpr_workgroup_id_y 1
		.amdhsa_system_sgpr_workgroup_id_z 1
		.amdhsa_system_sgpr_workgroup_info 0
		.amdhsa_system_vgpr_workitem_id 1
		.amdhsa_next_free_vgpr 52
		.amdhsa_next_free_sgpr 61
		.amdhsa_reserve_vcc 1
		.amdhsa_reserve_flat_scratch 0
		.amdhsa_float_round_mode_32 0
		.amdhsa_float_round_mode_16_64 0
		.amdhsa_float_denorm_mode_32 3
		.amdhsa_float_denorm_mode_16_64 3
		.amdhsa_dx10_clamp 1
		.amdhsa_ieee_mode 1
		.amdhsa_fp16_overflow 0
		.amdhsa_exception_fp_ieee_invalid_op 0
		.amdhsa_exception_fp_denorm_src 0
		.amdhsa_exception_fp_ieee_div_zero 0
		.amdhsa_exception_fp_ieee_overflow 0
		.amdhsa_exception_fp_ieee_underflow 0
		.amdhsa_exception_fp_ieee_inexact 0
		.amdhsa_exception_int_div_zero 0
	.end_amdhsa_kernel
	.section	.text._ZL37rocblas_syrkx_herkx_restricted_kernelIl19rocblas_complex_numIdELi16ELi32ELi8ELin1ELi0ELb1ELc84ELc76EKS1_S1_EviT_PT9_S3_lS5_S3_lPT10_S3_li,"axG",@progbits,_ZL37rocblas_syrkx_herkx_restricted_kernelIl19rocblas_complex_numIdELi16ELi32ELi8ELin1ELi0ELb1ELc84ELc76EKS1_S1_EviT_PT9_S3_lS5_S3_lPT10_S3_li,comdat
.Lfunc_end1329:
	.size	_ZL37rocblas_syrkx_herkx_restricted_kernelIl19rocblas_complex_numIdELi16ELi32ELi8ELin1ELi0ELb1ELc84ELc76EKS1_S1_EviT_PT9_S3_lS5_S3_lPT10_S3_li, .Lfunc_end1329-_ZL37rocblas_syrkx_herkx_restricted_kernelIl19rocblas_complex_numIdELi16ELi32ELi8ELin1ELi0ELb1ELc84ELc76EKS1_S1_EviT_PT9_S3_lS5_S3_lPT10_S3_li
                                        ; -- End function
	.set _ZL37rocblas_syrkx_herkx_restricted_kernelIl19rocblas_complex_numIdELi16ELi32ELi8ELin1ELi0ELb1ELc84ELc76EKS1_S1_EviT_PT9_S3_lS5_S3_lPT10_S3_li.num_vgpr, 52
	.set _ZL37rocblas_syrkx_herkx_restricted_kernelIl19rocblas_complex_numIdELi16ELi32ELi8ELin1ELi0ELb1ELc84ELc76EKS1_S1_EviT_PT9_S3_lS5_S3_lPT10_S3_li.num_agpr, 0
	.set _ZL37rocblas_syrkx_herkx_restricted_kernelIl19rocblas_complex_numIdELi16ELi32ELi8ELin1ELi0ELb1ELc84ELc76EKS1_S1_EviT_PT9_S3_lS5_S3_lPT10_S3_li.numbered_sgpr, 28
	.set _ZL37rocblas_syrkx_herkx_restricted_kernelIl19rocblas_complex_numIdELi16ELi32ELi8ELin1ELi0ELb1ELc84ELc76EKS1_S1_EviT_PT9_S3_lS5_S3_lPT10_S3_li.num_named_barrier, 0
	.set _ZL37rocblas_syrkx_herkx_restricted_kernelIl19rocblas_complex_numIdELi16ELi32ELi8ELin1ELi0ELb1ELc84ELc76EKS1_S1_EviT_PT9_S3_lS5_S3_lPT10_S3_li.private_seg_size, 0
	.set _ZL37rocblas_syrkx_herkx_restricted_kernelIl19rocblas_complex_numIdELi16ELi32ELi8ELin1ELi0ELb1ELc84ELc76EKS1_S1_EviT_PT9_S3_lS5_S3_lPT10_S3_li.uses_vcc, 1
	.set _ZL37rocblas_syrkx_herkx_restricted_kernelIl19rocblas_complex_numIdELi16ELi32ELi8ELin1ELi0ELb1ELc84ELc76EKS1_S1_EviT_PT9_S3_lS5_S3_lPT10_S3_li.uses_flat_scratch, 0
	.set _ZL37rocblas_syrkx_herkx_restricted_kernelIl19rocblas_complex_numIdELi16ELi32ELi8ELin1ELi0ELb1ELc84ELc76EKS1_S1_EviT_PT9_S3_lS5_S3_lPT10_S3_li.has_dyn_sized_stack, 0
	.set _ZL37rocblas_syrkx_herkx_restricted_kernelIl19rocblas_complex_numIdELi16ELi32ELi8ELin1ELi0ELb1ELc84ELc76EKS1_S1_EviT_PT9_S3_lS5_S3_lPT10_S3_li.has_recursion, 0
	.set _ZL37rocblas_syrkx_herkx_restricted_kernelIl19rocblas_complex_numIdELi16ELi32ELi8ELin1ELi0ELb1ELc84ELc76EKS1_S1_EviT_PT9_S3_lS5_S3_lPT10_S3_li.has_indirect_call, 0
	.section	.AMDGPU.csdata,"",@progbits
; Kernel info:
; codeLenInByte = 2964
; TotalNumSgprs: 32
; NumVgprs: 52
; ScratchSize: 0
; MemoryBound: 0
; FloatMode: 240
; IeeeMode: 1
; LDSByteSize: 8192 bytes/workgroup (compile time only)
; SGPRBlocks: 8
; VGPRBlocks: 12
; NumSGPRsForWavesPerEU: 65
; NumVGPRsForWavesPerEU: 52
; Occupancy: 4
; WaveLimiterHint : 1
; COMPUTE_PGM_RSRC2:SCRATCH_EN: 0
; COMPUTE_PGM_RSRC2:USER_SGPR: 6
; COMPUTE_PGM_RSRC2:TRAP_HANDLER: 0
; COMPUTE_PGM_RSRC2:TGID_X_EN: 1
; COMPUTE_PGM_RSRC2:TGID_Y_EN: 1
; COMPUTE_PGM_RSRC2:TGID_Z_EN: 1
; COMPUTE_PGM_RSRC2:TIDIG_COMP_CNT: 1
	.section	.text._ZL37rocblas_syrkx_herkx_restricted_kernelIl19rocblas_complex_numIdELi16ELi32ELi8ELin1ELi0ELb1ELc67ELc76EKS1_S1_EviT_PT9_S3_lS5_S3_lPT10_S3_li,"axG",@progbits,_ZL37rocblas_syrkx_herkx_restricted_kernelIl19rocblas_complex_numIdELi16ELi32ELi8ELin1ELi0ELb1ELc67ELc76EKS1_S1_EviT_PT9_S3_lS5_S3_lPT10_S3_li,comdat
	.globl	_ZL37rocblas_syrkx_herkx_restricted_kernelIl19rocblas_complex_numIdELi16ELi32ELi8ELin1ELi0ELb1ELc67ELc76EKS1_S1_EviT_PT9_S3_lS5_S3_lPT10_S3_li ; -- Begin function _ZL37rocblas_syrkx_herkx_restricted_kernelIl19rocblas_complex_numIdELi16ELi32ELi8ELin1ELi0ELb1ELc67ELc76EKS1_S1_EviT_PT9_S3_lS5_S3_lPT10_S3_li
	.p2align	8
	.type	_ZL37rocblas_syrkx_herkx_restricted_kernelIl19rocblas_complex_numIdELi16ELi32ELi8ELin1ELi0ELb1ELc67ELc76EKS1_S1_EviT_PT9_S3_lS5_S3_lPT10_S3_li,@function
_ZL37rocblas_syrkx_herkx_restricted_kernelIl19rocblas_complex_numIdELi16ELi32ELi8ELin1ELi0ELb1ELc67ELc76EKS1_S1_EviT_PT9_S3_lS5_S3_lPT10_S3_li: ; @_ZL37rocblas_syrkx_herkx_restricted_kernelIl19rocblas_complex_numIdELi16ELi32ELi8ELin1ELi0ELb1ELc67ELc76EKS1_S1_EviT_PT9_S3_lS5_S3_lPT10_S3_li
; %bb.0:
	s_load_dwordx16 s[12:27], s[4:5], 0x8
	s_lshl_b32 s2, s6, 5
	s_lshl_b32 s3, s7, 5
	s_waitcnt lgkmcnt(0)
	v_cmp_lt_i64_e64 s[0:1], s[12:13], 1
	s_and_b64 vcc, exec, s[0:1]
	s_cbranch_vccnz .LBB1330_3
; %bb.1:
	v_lshl_add_u32 v4, v1, 4, v0
	v_lshrrev_b32_e32 v8, 3, v4
	v_add_u32_e32 v5, s3, v8
	v_ashrrev_i32_e32 v6, 31, v5
	v_and_b32_e32 v2, 7, v0
	v_mov_b32_e32 v3, 0
	v_mul_lo_u32 v9, s22, v6
	v_mul_lo_u32 v10, s23, v5
	v_mad_u64_u32 v[6:7], s[0:1], s22, v5, v[2:3]
	v_lshlrev_b32_e32 v2, 4, v2
	v_lshl_or_b32 v2, v8, 7, v2
	v_add3_u32 v7, v10, v7, v9
	v_and_b32_e32 v9, 31, v4
	v_add_u32_e32 v23, 0x1000, v2
	v_mov_b32_e32 v2, 0x1000
	v_add_u32_e32 v8, s2, v9
	v_lshrrev_b32_e32 v4, 5, v4
	v_mov_b32_e32 v5, v3
	v_lshlrev_b32_e32 v3, 4, v9
	v_lshl_add_u32 v25, v1, 7, v2
	v_ashrrev_i32_e32 v2, 31, v8
	v_lshl_or_b32 v22, v4, 9, v3
	v_mul_lo_u32 v9, s16, v2
	v_mad_u64_u32 v[2:3], s[0:1], s16, v8, v[4:5]
	v_mul_lo_u32 v4, s17, v8
	s_mul_i32 s6, s19, s8
	s_mul_hi_u32 s7, s18, s8
	s_add_i32 s1, s7, s6
	s_mul_i32 s0, s18, s8
	s_lshl_b64 s[0:1], s[0:1], 4
	v_add3_u32 v3, v4, v3, v9
	v_lshlrev_b64 v[2:3], 4, v[2:3]
	s_add_u32 s0, s14, s0
	s_addc_u32 s1, s15, s1
	v_mov_b32_e32 v4, s1
	v_add_co_u32_e32 v2, vcc, s0, v2
	s_mul_i32 s0, s25, s8
	s_mul_hi_u32 s1, s24, s8
	v_addc_co_u32_e32 v3, vcc, v4, v3, vcc
	s_add_i32 s1, s1, s0
	s_mul_i32 s0, s24, s8
	v_add_co_u32_e32 v4, vcc, 8, v2
	s_lshl_b64 s[0:1], s[0:1], 4
	v_addc_co_u32_e32 v5, vcc, 0, v3, vcc
	v_lshlrev_b64 v[2:3], 4, v[6:7]
	s_add_u32 s0, s20, s0
	s_addc_u32 s1, s21, s1
	v_mov_b32_e32 v6, s1
	v_add_co_u32_e32 v2, vcc, s0, v2
	v_addc_co_u32_e32 v3, vcc, v6, v3, vcc
	v_add_co_u32_e32 v12, vcc, 8, v2
	v_addc_co_u32_e32 v13, vcc, 0, v3, vcc
	v_mov_b32_e32 v16, 0
	v_mov_b32_e32 v6, 0
	;; [unrolled: 1-line block ×8, first 2 shown]
	v_lshlrev_b32_e32 v24, 4, v0
	v_mov_b32_e32 v17, 0
	v_mov_b32_e32 v7, 0
	;; [unrolled: 1-line block ×8, first 2 shown]
	s_mov_b64 s[0:1], 0
.LBB1330_2:                             ; =>This Inner Loop Header: Depth=1
	global_load_dwordx4 v[26:29], v[4:5], off offset:-8
	s_add_u32 s0, s0, 8
	v_add_co_u32_e32 v4, vcc, 0x80, v4
	s_addc_u32 s1, s1, 0
	v_addc_co_u32_e32 v5, vcc, 0, v5, vcc
	s_waitcnt vmcnt(0)
	v_xor_b32_e32 v29, 0x80000000, v29
	ds_write_b128 v22, v[26:29]
	global_load_dwordx4 v[26:29], v[12:13], off offset:-8
	v_add_co_u32_e32 v12, vcc, 0x80, v12
	v_addc_co_u32_e32 v13, vcc, 0, v13, vcc
	s_waitcnt vmcnt(0)
	ds_write_b128 v23, v[26:29]
	s_waitcnt lgkmcnt(0)
	s_barrier
	ds_read_b128 v[26:29], v25
	ds_read_b128 v[30:33], v25 offset:16
	ds_read_b128 v[34:37], v25 offset:32
	;; [unrolled: 1-line block ×3, first 2 shown]
	ds_read_b128 v[42:45], v24
	s_waitcnt lgkmcnt(0)
	v_mul_f64 v[46:47], v[28:29], v[44:45]
	v_mul_f64 v[48:49], v[26:27], v[44:45]
	v_fma_f64 v[46:47], v[26:27], v[42:43], -v[46:47]
	v_fma_f64 v[48:49], v[28:29], v[42:43], v[48:49]
	v_add_f64 v[10:11], v[10:11], v[46:47]
	v_add_f64 v[20:21], v[48:49], v[20:21]
	ds_read_b128 v[46:49], v24 offset:256
	s_waitcnt lgkmcnt(0)
	v_mul_f64 v[50:51], v[28:29], v[48:49]
	v_fma_f64 v[50:51], v[26:27], v[46:47], -v[50:51]
	v_mul_f64 v[26:27], v[26:27], v[48:49]
	v_add_f64 v[2:3], v[2:3], v[50:51]
	v_fma_f64 v[26:27], v[28:29], v[46:47], v[26:27]
	v_add_f64 v[50:51], v[26:27], v[14:15]
	ds_read_b128 v[26:29], v25 offset:2048
	s_waitcnt lgkmcnt(0)
	v_mul_f64 v[14:15], v[28:29], v[44:45]
	v_mul_f64 v[44:45], v[26:27], v[44:45]
	v_fma_f64 v[14:15], v[26:27], v[42:43], -v[14:15]
	v_fma_f64 v[42:43], v[28:29], v[42:43], v[44:45]
	v_add_f64 v[44:45], v[8:9], v[14:15]
	v_mul_f64 v[8:9], v[28:29], v[48:49]
	v_mul_f64 v[14:15], v[26:27], v[48:49]
	v_add_f64 v[42:43], v[42:43], v[18:19]
	v_fma_f64 v[8:9], v[26:27], v[46:47], -v[8:9]
	v_fma_f64 v[14:15], v[28:29], v[46:47], v[14:15]
	v_add_f64 v[26:27], v[6:7], v[8:9]
	ds_read_b128 v[6:9], v24 offset:512
	v_add_f64 v[28:29], v[14:15], v[16:17]
	s_waitcnt lgkmcnt(0)
	v_mul_f64 v[14:15], v[32:33], v[8:9]
	v_mul_f64 v[16:17], v[30:31], v[8:9]
	v_fma_f64 v[14:15], v[30:31], v[6:7], -v[14:15]
	v_fma_f64 v[16:17], v[32:33], v[6:7], v[16:17]
	v_add_f64 v[10:11], v[10:11], v[14:15]
	v_add_f64 v[46:47], v[16:17], v[20:21]
	ds_read_b128 v[14:17], v24 offset:768
	s_waitcnt lgkmcnt(0)
	v_mul_f64 v[18:19], v[32:33], v[16:17]
	v_mul_f64 v[20:21], v[30:31], v[16:17]
	v_fma_f64 v[18:19], v[30:31], v[14:15], -v[18:19]
	v_fma_f64 v[20:21], v[32:33], v[14:15], v[20:21]
	v_add_f64 v[2:3], v[2:3], v[18:19]
	v_add_f64 v[30:31], v[20:21], v[50:51]
	ds_read_b128 v[18:21], v25 offset:2064
	s_waitcnt lgkmcnt(0)
	v_mul_f64 v[32:33], v[20:21], v[8:9]
	v_mul_f64 v[8:9], v[18:19], v[8:9]
	v_fma_f64 v[32:33], v[18:19], v[6:7], -v[32:33]
	v_fma_f64 v[6:7], v[20:21], v[6:7], v[8:9]
	v_mul_f64 v[8:9], v[18:19], v[16:17]
	v_add_f64 v[32:33], v[44:45], v[32:33]
	v_add_f64 v[42:43], v[6:7], v[42:43]
	v_mul_f64 v[6:7], v[20:21], v[16:17]
	v_fma_f64 v[8:9], v[20:21], v[14:15], v[8:9]
	v_fma_f64 v[6:7], v[18:19], v[14:15], -v[6:7]
	v_add_f64 v[28:29], v[8:9], v[28:29]
	v_add_f64 v[26:27], v[26:27], v[6:7]
	ds_read_b128 v[6:9], v24 offset:1024
	s_waitcnt lgkmcnt(0)
	v_mul_f64 v[14:15], v[36:37], v[8:9]
	v_mul_f64 v[16:17], v[34:35], v[8:9]
	v_fma_f64 v[14:15], v[34:35], v[6:7], -v[14:15]
	v_fma_f64 v[16:17], v[36:37], v[6:7], v[16:17]
	v_add_f64 v[10:11], v[10:11], v[14:15]
	v_add_f64 v[44:45], v[16:17], v[46:47]
	ds_read_b128 v[14:17], v24 offset:1280
	s_waitcnt lgkmcnt(0)
	v_mul_f64 v[18:19], v[36:37], v[16:17]
	v_mul_f64 v[20:21], v[34:35], v[16:17]
	v_fma_f64 v[18:19], v[34:35], v[14:15], -v[18:19]
	v_fma_f64 v[20:21], v[36:37], v[14:15], v[20:21]
	v_add_f64 v[2:3], v[2:3], v[18:19]
	v_add_f64 v[30:31], v[20:21], v[30:31]
	ds_read_b128 v[18:21], v25 offset:2080
	s_waitcnt lgkmcnt(0)
	v_mul_f64 v[34:35], v[20:21], v[8:9]
	v_mul_f64 v[8:9], v[18:19], v[8:9]
	v_fma_f64 v[34:35], v[18:19], v[6:7], -v[34:35]
	v_fma_f64 v[6:7], v[20:21], v[6:7], v[8:9]
	v_mul_f64 v[8:9], v[18:19], v[16:17]
	v_add_f64 v[32:33], v[32:33], v[34:35]
	v_add_f64 v[34:35], v[6:7], v[42:43]
	v_mul_f64 v[6:7], v[20:21], v[16:17]
	v_fma_f64 v[8:9], v[20:21], v[14:15], v[8:9]
	v_fma_f64 v[6:7], v[18:19], v[14:15], -v[6:7]
	v_add_f64 v[28:29], v[8:9], v[28:29]
	v_add_f64 v[26:27], v[26:27], v[6:7]
	ds_read_b128 v[6:9], v24 offset:1536
	;; [unrolled: 30-line block ×3, first 2 shown]
	ds_read_b128 v[14:17], v24 offset:2048
	s_waitcnt lgkmcnt(0)
	v_mul_f64 v[18:19], v[8:9], v[16:17]
	v_mul_f64 v[20:21], v[6:7], v[16:17]
	v_fma_f64 v[18:19], v[6:7], v[14:15], -v[18:19]
	v_fma_f64 v[20:21], v[8:9], v[14:15], v[20:21]
	v_add_f64 v[10:11], v[10:11], v[18:19]
	v_add_f64 v[36:37], v[20:21], v[36:37]
	ds_read_b128 v[18:21], v24 offset:2304
	s_waitcnt lgkmcnt(0)
	v_mul_f64 v[38:39], v[8:9], v[20:21]
	v_fma_f64 v[38:39], v[6:7], v[18:19], -v[38:39]
	v_mul_f64 v[6:7], v[6:7], v[20:21]
	v_add_f64 v[2:3], v[2:3], v[38:39]
	v_fma_f64 v[6:7], v[8:9], v[18:19], v[6:7]
	v_add_f64 v[30:31], v[6:7], v[30:31]
	ds_read_b128 v[6:9], v25 offset:2112
	s_waitcnt lgkmcnt(0)
	v_mul_f64 v[38:39], v[8:9], v[16:17]
	v_mul_f64 v[16:17], v[6:7], v[16:17]
	v_fma_f64 v[38:39], v[6:7], v[14:15], -v[38:39]
	v_fma_f64 v[14:15], v[8:9], v[14:15], v[16:17]
	v_add_f64 v[32:33], v[32:33], v[38:39]
	v_add_f64 v[34:35], v[14:15], v[34:35]
	v_mul_f64 v[14:15], v[8:9], v[20:21]
	v_fma_f64 v[14:15], v[6:7], v[18:19], -v[14:15]
	v_mul_f64 v[6:7], v[6:7], v[20:21]
	v_add_f64 v[26:27], v[26:27], v[14:15]
	v_fma_f64 v[6:7], v[8:9], v[18:19], v[6:7]
	v_add_f64 v[28:29], v[6:7], v[28:29]
	ds_read_b128 v[6:9], v25 offset:80
	ds_read_b128 v[14:17], v24 offset:2560
	s_waitcnt lgkmcnt(0)
	v_mul_f64 v[18:19], v[8:9], v[16:17]
	v_mul_f64 v[20:21], v[6:7], v[16:17]
	v_fma_f64 v[18:19], v[6:7], v[14:15], -v[18:19]
	v_fma_f64 v[20:21], v[8:9], v[14:15], v[20:21]
	v_add_f64 v[10:11], v[10:11], v[18:19]
	v_add_f64 v[36:37], v[20:21], v[36:37]
	ds_read_b128 v[18:21], v24 offset:2816
	s_waitcnt lgkmcnt(0)
	v_mul_f64 v[38:39], v[8:9], v[20:21]
	v_fma_f64 v[38:39], v[6:7], v[18:19], -v[38:39]
	v_mul_f64 v[6:7], v[6:7], v[20:21]
	v_add_f64 v[2:3], v[2:3], v[38:39]
	v_fma_f64 v[6:7], v[8:9], v[18:19], v[6:7]
	v_add_f64 v[30:31], v[6:7], v[30:31]
	ds_read_b128 v[6:9], v25 offset:2128
	s_waitcnt lgkmcnt(0)
	v_mul_f64 v[38:39], v[8:9], v[16:17]
	v_mul_f64 v[16:17], v[6:7], v[16:17]
	v_fma_f64 v[38:39], v[6:7], v[14:15], -v[38:39]
	v_fma_f64 v[14:15], v[8:9], v[14:15], v[16:17]
	v_add_f64 v[32:33], v[32:33], v[38:39]
	v_add_f64 v[34:35], v[14:15], v[34:35]
	v_mul_f64 v[14:15], v[8:9], v[20:21]
	v_fma_f64 v[14:15], v[6:7], v[18:19], -v[14:15]
	v_mul_f64 v[6:7], v[6:7], v[20:21]
	v_add_f64 v[26:27], v[26:27], v[14:15]
	v_fma_f64 v[6:7], v[8:9], v[18:19], v[6:7]
	v_add_f64 v[28:29], v[6:7], v[28:29]
	ds_read_b128 v[6:9], v25 offset:96
	;; [unrolled: 31-line block ×3, first 2 shown]
	ds_read_b128 v[16:19], v24 offset:3584
	ds_read_b128 v[26:29], v24 offset:3840
	s_waitcnt lgkmcnt(1)
	v_mul_f64 v[14:15], v[8:9], v[18:19]
	v_mul_f64 v[20:21], v[6:7], v[18:19]
	v_fma_f64 v[14:15], v[6:7], v[16:17], -v[14:15]
	v_fma_f64 v[20:21], v[8:9], v[16:17], v[20:21]
	v_add_f64 v[10:11], v[10:11], v[14:15]
	s_waitcnt lgkmcnt(0)
	v_mul_f64 v[14:15], v[8:9], v[28:29]
	v_add_f64 v[20:21], v[20:21], v[36:37]
	v_fma_f64 v[14:15], v[6:7], v[26:27], -v[14:15]
	v_mul_f64 v[6:7], v[6:7], v[28:29]
	v_add_f64 v[2:3], v[2:3], v[14:15]
	v_fma_f64 v[6:7], v[8:9], v[26:27], v[6:7]
	v_add_f64 v[14:15], v[6:7], v[30:31]
	ds_read_b128 v[30:33], v25 offset:2160
	s_waitcnt lgkmcnt(0)
	s_barrier
	v_mul_f64 v[6:7], v[32:33], v[18:19]
	v_mul_f64 v[8:9], v[30:31], v[18:19]
	v_fma_f64 v[6:7], v[30:31], v[16:17], -v[6:7]
	v_fma_f64 v[16:17], v[32:33], v[16:17], v[8:9]
	v_add_f64 v[8:9], v[38:39], v[6:7]
	v_add_f64 v[18:19], v[16:17], v[34:35]
	v_mul_f64 v[6:7], v[32:33], v[28:29]
	v_mul_f64 v[16:17], v[30:31], v[28:29]
	v_fma_f64 v[6:7], v[30:31], v[26:27], -v[6:7]
	v_fma_f64 v[16:17], v[32:33], v[26:27], v[16:17]
	v_mov_b32_e32 v27, s1
	v_mov_b32_e32 v26, s0
	v_cmp_le_u64_e32 vcc, s[12:13], v[26:27]
	v_add_f64 v[6:7], v[40:41], v[6:7]
	v_add_f64 v[16:17], v[16:17], v[42:43]
	s_cbranch_vccz .LBB1330_2
	s_branch .LBB1330_4
.LBB1330_3:
	v_mov_b32_e32 v10, 0
	v_mov_b32_e32 v20, 0
	;; [unrolled: 1-line block ×16, first 2 shown]
.LBB1330_4:
	s_load_dwordx4 s[12:15], s[4:5], 0x48
	s_load_dword s9, s[4:5], 0x0
	v_add_u32_e32 v22, s3, v1
	v_ashrrev_i32_e32 v1, 31, v22
	v_add_u32_e32 v0, s2, v0
	s_waitcnt lgkmcnt(0)
	v_mul_lo_u32 v1, s12, v1
	v_mul_lo_u32 v12, s13, v22
	v_mad_u64_u32 v[4:5], s[4:5], s12, v22, 0
	s_mul_i32 s1, s15, s8
	s_mul_hi_u32 s3, s14, s8
	s_mul_i32 s0, s14, s8
	s_add_i32 s1, s3, s1
	s_lshl_b64 s[0:1], s[0:1], 4
	v_add3_u32 v5, v5, v1, v12
	s_add_u32 s6, s26, s0
	v_lshlrev_b64 v[4:5], 4, v[4:5]
	s_addc_u32 s7, s27, s1
	v_mov_b32_e32 v1, s7
	v_add_co_u32_e32 v4, vcc, s6, v4
	v_addc_co_u32_e32 v5, vcc, v1, v5, vcc
	v_cmp_le_i32_e64 s[0:1], v22, v0
	v_cmp_gt_i32_e32 vcc, s9, v0
	s_and_b64 s[0:1], s[0:1], vcc
	s_and_saveexec_b64 s[2:3], s[0:1]
	s_cbranch_execz .LBB1330_6
; %bb.5:
	v_ashrrev_i32_e32 v1, 31, v0
	v_lshlrev_b64 v[12:13], 4, v[0:1]
	v_xor_b32_e32 v11, 0x80000000, v11
	v_add_co_u32_e64 v23, s[0:1], v4, v12
	v_addc_co_u32_e64 v24, s[0:1], v5, v13, s[0:1]
	v_cmp_ne_u32_e64 s[0:1], v22, v0
	v_cndmask_b32_e64 v13, 0, -v21, s[0:1]
	v_cndmask_b32_e64 v12, 0, v20, s[0:1]
	global_store_dwordx4 v[23:24], v[10:13], off
.LBB1330_6:
	s_or_b64 exec, exec, s[2:3]
	v_add_u32_e32 v12, 16, v0
	v_cmp_le_i32_e64 s[2:3], v22, v12
	v_cmp_gt_i32_e64 s[0:1], s9, v12
	s_and_b64 s[2:3], s[2:3], s[0:1]
	s_and_saveexec_b64 s[4:5], s[2:3]
	s_cbranch_execz .LBB1330_8
; %bb.7:
	v_ashrrev_i32_e32 v13, 31, v12
	v_lshlrev_b64 v[10:11], 4, v[12:13]
	v_xor_b32_e32 v3, 0x80000000, v3
	v_add_co_u32_e64 v10, s[2:3], v4, v10
	v_addc_co_u32_e64 v11, s[2:3], v5, v11, s[2:3]
	v_cmp_ne_u32_e64 s[2:3], v22, v12
	v_cndmask_b32_e64 v5, 0, -v15, s[2:3]
	v_cndmask_b32_e64 v4, 0, v14, s[2:3]
	global_store_dwordx4 v[10:11], v[2:5], off
.LBB1330_8:
	s_or_b64 exec, exec, s[4:5]
	v_add_u32_e32 v4, 16, v22
	v_ashrrev_i32_e32 v3, 31, v4
	v_mul_lo_u32 v5, s13, v4
	v_mad_u64_u32 v[1:2], s[2:3], s12, v4, 0
	v_mul_lo_u32 v3, s12, v3
	v_add3_u32 v2, v2, v3, v5
	v_lshlrev_b64 v[2:3], 4, v[1:2]
	v_mov_b32_e32 v1, s7
	v_add_co_u32_e64 v2, s[2:3], s6, v2
	v_addc_co_u32_e64 v3, s[2:3], v1, v3, s[2:3]
	v_cmp_le_i32_e64 s[2:3], v4, v0
	s_and_b64 s[4:5], s[2:3], vcc
	s_and_saveexec_b64 s[2:3], s[4:5]
	s_cbranch_execz .LBB1330_10
; %bb.9:
	v_ashrrev_i32_e32 v1, 31, v0
	v_lshlrev_b64 v[10:11], 4, v[0:1]
	v_xor_b32_e32 v9, 0x80000000, v9
	v_add_co_u32_e32 v13, vcc, v2, v10
	v_addc_co_u32_e32 v14, vcc, v3, v11, vcc
	v_cmp_ne_u32_e32 vcc, v4, v0
	v_cndmask_b32_e64 v11, 0, -v19, vcc
	v_cndmask_b32_e32 v10, 0, v18, vcc
	global_store_dwordx4 v[13:14], v[8:11], off
.LBB1330_10:
	s_or_b64 exec, exec, s[2:3]
	v_cmp_le_i32_e32 vcc, v4, v12
	s_and_b64 s[0:1], vcc, s[0:1]
	s_and_saveexec_b64 s[2:3], s[0:1]
	s_cbranch_execz .LBB1330_12
; %bb.11:
	v_ashrrev_i32_e32 v13, 31, v12
	v_lshlrev_b64 v[4:5], 4, v[12:13]
	v_xor_b32_e32 v7, 0x80000000, v7
	v_add_co_u32_e32 v1, vcc, v2, v4
	v_addc_co_u32_e32 v2, vcc, v3, v5, vcc
	v_cmp_ne_u32_e32 vcc, v22, v0
	v_cndmask_b32_e64 v9, 0, -v17, vcc
	v_cndmask_b32_e32 v8, 0, v16, vcc
	global_store_dwordx4 v[1:2], v[6:9], off
.LBB1330_12:
	s_endpgm
	.section	.rodata,"a",@progbits
	.p2align	6, 0x0
	.amdhsa_kernel _ZL37rocblas_syrkx_herkx_restricted_kernelIl19rocblas_complex_numIdELi16ELi32ELi8ELin1ELi0ELb1ELc67ELc76EKS1_S1_EviT_PT9_S3_lS5_S3_lPT10_S3_li
		.amdhsa_group_segment_fixed_size 8192
		.amdhsa_private_segment_fixed_size 0
		.amdhsa_kernarg_size 92
		.amdhsa_user_sgpr_count 6
		.amdhsa_user_sgpr_private_segment_buffer 1
		.amdhsa_user_sgpr_dispatch_ptr 0
		.amdhsa_user_sgpr_queue_ptr 0
		.amdhsa_user_sgpr_kernarg_segment_ptr 1
		.amdhsa_user_sgpr_dispatch_id 0
		.amdhsa_user_sgpr_flat_scratch_init 0
		.amdhsa_user_sgpr_private_segment_size 0
		.amdhsa_uses_dynamic_stack 0
		.amdhsa_system_sgpr_private_segment_wavefront_offset 0
		.amdhsa_system_sgpr_workgroup_id_x 1
		.amdhsa_system_sgpr_workgroup_id_y 1
		.amdhsa_system_sgpr_workgroup_id_z 1
		.amdhsa_system_sgpr_workgroup_info 0
		.amdhsa_system_vgpr_workitem_id 1
		.amdhsa_next_free_vgpr 52
		.amdhsa_next_free_sgpr 61
		.amdhsa_reserve_vcc 1
		.amdhsa_reserve_flat_scratch 0
		.amdhsa_float_round_mode_32 0
		.amdhsa_float_round_mode_16_64 0
		.amdhsa_float_denorm_mode_32 3
		.amdhsa_float_denorm_mode_16_64 3
		.amdhsa_dx10_clamp 1
		.amdhsa_ieee_mode 1
		.amdhsa_fp16_overflow 0
		.amdhsa_exception_fp_ieee_invalid_op 0
		.amdhsa_exception_fp_denorm_src 0
		.amdhsa_exception_fp_ieee_div_zero 0
		.amdhsa_exception_fp_ieee_overflow 0
		.amdhsa_exception_fp_ieee_underflow 0
		.amdhsa_exception_fp_ieee_inexact 0
		.amdhsa_exception_int_div_zero 0
	.end_amdhsa_kernel
	.section	.text._ZL37rocblas_syrkx_herkx_restricted_kernelIl19rocblas_complex_numIdELi16ELi32ELi8ELin1ELi0ELb1ELc67ELc76EKS1_S1_EviT_PT9_S3_lS5_S3_lPT10_S3_li,"axG",@progbits,_ZL37rocblas_syrkx_herkx_restricted_kernelIl19rocblas_complex_numIdELi16ELi32ELi8ELin1ELi0ELb1ELc67ELc76EKS1_S1_EviT_PT9_S3_lS5_S3_lPT10_S3_li,comdat
.Lfunc_end1330:
	.size	_ZL37rocblas_syrkx_herkx_restricted_kernelIl19rocblas_complex_numIdELi16ELi32ELi8ELin1ELi0ELb1ELc67ELc76EKS1_S1_EviT_PT9_S3_lS5_S3_lPT10_S3_li, .Lfunc_end1330-_ZL37rocblas_syrkx_herkx_restricted_kernelIl19rocblas_complex_numIdELi16ELi32ELi8ELin1ELi0ELb1ELc67ELc76EKS1_S1_EviT_PT9_S3_lS5_S3_lPT10_S3_li
                                        ; -- End function
	.set _ZL37rocblas_syrkx_herkx_restricted_kernelIl19rocblas_complex_numIdELi16ELi32ELi8ELin1ELi0ELb1ELc67ELc76EKS1_S1_EviT_PT9_S3_lS5_S3_lPT10_S3_li.num_vgpr, 52
	.set _ZL37rocblas_syrkx_herkx_restricted_kernelIl19rocblas_complex_numIdELi16ELi32ELi8ELin1ELi0ELb1ELc67ELc76EKS1_S1_EviT_PT9_S3_lS5_S3_lPT10_S3_li.num_agpr, 0
	.set _ZL37rocblas_syrkx_herkx_restricted_kernelIl19rocblas_complex_numIdELi16ELi32ELi8ELin1ELi0ELb1ELc67ELc76EKS1_S1_EviT_PT9_S3_lS5_S3_lPT10_S3_li.numbered_sgpr, 28
	.set _ZL37rocblas_syrkx_herkx_restricted_kernelIl19rocblas_complex_numIdELi16ELi32ELi8ELin1ELi0ELb1ELc67ELc76EKS1_S1_EviT_PT9_S3_lS5_S3_lPT10_S3_li.num_named_barrier, 0
	.set _ZL37rocblas_syrkx_herkx_restricted_kernelIl19rocblas_complex_numIdELi16ELi32ELi8ELin1ELi0ELb1ELc67ELc76EKS1_S1_EviT_PT9_S3_lS5_S3_lPT10_S3_li.private_seg_size, 0
	.set _ZL37rocblas_syrkx_herkx_restricted_kernelIl19rocblas_complex_numIdELi16ELi32ELi8ELin1ELi0ELb1ELc67ELc76EKS1_S1_EviT_PT9_S3_lS5_S3_lPT10_S3_li.uses_vcc, 1
	.set _ZL37rocblas_syrkx_herkx_restricted_kernelIl19rocblas_complex_numIdELi16ELi32ELi8ELin1ELi0ELb1ELc67ELc76EKS1_S1_EviT_PT9_S3_lS5_S3_lPT10_S3_li.uses_flat_scratch, 0
	.set _ZL37rocblas_syrkx_herkx_restricted_kernelIl19rocblas_complex_numIdELi16ELi32ELi8ELin1ELi0ELb1ELc67ELc76EKS1_S1_EviT_PT9_S3_lS5_S3_lPT10_S3_li.has_dyn_sized_stack, 0
	.set _ZL37rocblas_syrkx_herkx_restricted_kernelIl19rocblas_complex_numIdELi16ELi32ELi8ELin1ELi0ELb1ELc67ELc76EKS1_S1_EviT_PT9_S3_lS5_S3_lPT10_S3_li.has_recursion, 0
	.set _ZL37rocblas_syrkx_herkx_restricted_kernelIl19rocblas_complex_numIdELi16ELi32ELi8ELin1ELi0ELb1ELc67ELc76EKS1_S1_EviT_PT9_S3_lS5_S3_lPT10_S3_li.has_indirect_call, 0
	.section	.AMDGPU.csdata,"",@progbits
; Kernel info:
; codeLenInByte = 2972
; TotalNumSgprs: 32
; NumVgprs: 52
; ScratchSize: 0
; MemoryBound: 0
; FloatMode: 240
; IeeeMode: 1
; LDSByteSize: 8192 bytes/workgroup (compile time only)
; SGPRBlocks: 8
; VGPRBlocks: 12
; NumSGPRsForWavesPerEU: 65
; NumVGPRsForWavesPerEU: 52
; Occupancy: 4
; WaveLimiterHint : 1
; COMPUTE_PGM_RSRC2:SCRATCH_EN: 0
; COMPUTE_PGM_RSRC2:USER_SGPR: 6
; COMPUTE_PGM_RSRC2:TRAP_HANDLER: 0
; COMPUTE_PGM_RSRC2:TGID_X_EN: 1
; COMPUTE_PGM_RSRC2:TGID_Y_EN: 1
; COMPUTE_PGM_RSRC2:TGID_Z_EN: 1
; COMPUTE_PGM_RSRC2:TIDIG_COMP_CNT: 1
	.section	.text._ZL37rocblas_syrkx_herkx_restricted_kernelIl19rocblas_complex_numIdELi16ELi32ELi8ELin1ELi0ELb1ELc78ELc76EKS1_S1_EviT_PT9_S3_lS5_S3_lPT10_S3_li,"axG",@progbits,_ZL37rocblas_syrkx_herkx_restricted_kernelIl19rocblas_complex_numIdELi16ELi32ELi8ELin1ELi0ELb1ELc78ELc76EKS1_S1_EviT_PT9_S3_lS5_S3_lPT10_S3_li,comdat
	.globl	_ZL37rocblas_syrkx_herkx_restricted_kernelIl19rocblas_complex_numIdELi16ELi32ELi8ELin1ELi0ELb1ELc78ELc76EKS1_S1_EviT_PT9_S3_lS5_S3_lPT10_S3_li ; -- Begin function _ZL37rocblas_syrkx_herkx_restricted_kernelIl19rocblas_complex_numIdELi16ELi32ELi8ELin1ELi0ELb1ELc78ELc76EKS1_S1_EviT_PT9_S3_lS5_S3_lPT10_S3_li
	.p2align	8
	.type	_ZL37rocblas_syrkx_herkx_restricted_kernelIl19rocblas_complex_numIdELi16ELi32ELi8ELin1ELi0ELb1ELc78ELc76EKS1_S1_EviT_PT9_S3_lS5_S3_lPT10_S3_li,@function
_ZL37rocblas_syrkx_herkx_restricted_kernelIl19rocblas_complex_numIdELi16ELi32ELi8ELin1ELi0ELb1ELc78ELc76EKS1_S1_EviT_PT9_S3_lS5_S3_lPT10_S3_li: ; @_ZL37rocblas_syrkx_herkx_restricted_kernelIl19rocblas_complex_numIdELi16ELi32ELi8ELin1ELi0ELb1ELc78ELc76EKS1_S1_EviT_PT9_S3_lS5_S3_lPT10_S3_li
; %bb.0:
	s_load_dwordx16 s[12:27], s[4:5], 0x8
	s_lshl_b32 s9, s6, 5
	s_lshl_b32 s10, s7, 5
	s_waitcnt lgkmcnt(0)
	v_cmp_lt_i64_e64 s[0:1], s[12:13], 1
	s_and_b64 vcc, exec, s[0:1]
	s_cbranch_vccnz .LBB1331_3
; %bb.1:
	v_lshl_add_u32 v6, v1, 4, v0
	v_lshrrev_b32_e32 v7, 3, v6
	v_add_u32_e32 v2, s10, v7
	v_and_b32_e32 v5, 7, v0
	v_ashrrev_i32_e32 v3, 31, v2
	v_mad_u64_u32 v[2:3], s[0:1], s22, v5, v[2:3]
	v_lshrrev_b32_e32 v8, 5, v6
	s_mul_i32 s2, s19, s8
	v_mad_u64_u32 v[3:4], s[0:1], s23, v5, v[3:4]
	v_and_b32_e32 v4, 31, v6
	v_lshlrev_b32_e32 v5, 4, v5
	v_lshlrev_b32_e32 v6, 4, v4
	v_lshl_or_b32 v5, v7, 7, v5
	v_add_u32_e32 v4, s9, v4
	v_add_u32_e32 v23, 0x1000, v5
	v_ashrrev_i32_e32 v5, 31, v4
	v_mad_u64_u32 v[4:5], s[0:1], s16, v8, v[4:5]
	v_lshl_or_b32 v22, v8, 9, v6
	v_mov_b32_e32 v6, 0x1000
	v_lshl_add_u32 v25, v1, 7, v6
	v_mad_u64_u32 v[5:6], s[0:1], s17, v8, v[5:6]
	s_mul_hi_u32 s3, s18, s8
	s_add_i32 s1, s3, s2
	s_mul_i32 s0, s18, s8
	s_lshl_b64 s[0:1], s[0:1], 4
	v_lshlrev_b64 v[4:5], 4, v[4:5]
	s_add_u32 s0, s14, s0
	s_addc_u32 s1, s15, s1
	s_mul_i32 s2, s25, s8
	s_mul_hi_u32 s3, s24, s8
	v_mov_b32_e32 v6, s1
	v_add_co_u32_e32 v4, vcc, s0, v4
	s_add_i32 s3, s3, s2
	s_mul_i32 s2, s24, s8
	v_addc_co_u32_e32 v5, vcc, v6, v5, vcc
	s_lshl_b64 s[0:1], s[16:17], 7
	s_lshl_b64 s[2:3], s[2:3], 4
	v_add_co_u32_e32 v4, vcc, 8, v4
	v_lshlrev_b64 v[2:3], 4, v[2:3]
	s_add_u32 s2, s20, s2
	v_addc_co_u32_e32 v5, vcc, 0, v5, vcc
	s_addc_u32 s3, s21, s3
	v_mov_b32_e32 v6, s3
	v_add_co_u32_e32 v2, vcc, s2, v2
	v_addc_co_u32_e32 v3, vcc, v6, v3, vcc
	v_add_co_u32_e32 v12, vcc, 8, v2
	v_addc_co_u32_e32 v13, vcc, 0, v3, vcc
	s_lshl_b64 s[2:3], s[22:23], 7
	v_mov_b32_e32 v16, 0
	v_mov_b32_e32 v6, 0
	;; [unrolled: 1-line block ×8, first 2 shown]
	v_lshlrev_b32_e32 v24, 4, v0
	v_mov_b32_e32 v17, 0
	s_mov_b64 s[6:7], 0
	v_mov_b32_e32 v26, s1
	v_mov_b32_e32 v7, 0
	;; [unrolled: 1-line block ×9, first 2 shown]
.LBB1331_2:                             ; =>This Inner Loop Header: Depth=1
	global_load_dwordx4 v[28:31], v[4:5], off offset:-8
	s_add_u32 s6, s6, 8
	v_add_co_u32_e32 v4, vcc, s0, v4
	s_addc_u32 s7, s7, 0
	v_addc_co_u32_e32 v5, vcc, v5, v26, vcc
	s_waitcnt vmcnt(0)
	ds_write_b128 v22, v[28:31]
	global_load_dwordx4 v[28:31], v[12:13], off offset:-8
	v_add_co_u32_e32 v12, vcc, s2, v12
	v_addc_co_u32_e32 v13, vcc, v13, v27, vcc
	s_waitcnt vmcnt(0)
	v_xor_b32_e32 v31, 0x80000000, v31
	ds_write_b128 v23, v[28:31]
	s_waitcnt lgkmcnt(0)
	s_barrier
	ds_read_b128 v[28:31], v25
	ds_read_b128 v[32:35], v25 offset:16
	ds_read_b128 v[36:39], v25 offset:32
	;; [unrolled: 1-line block ×3, first 2 shown]
	ds_read_b128 v[44:47], v24
	s_waitcnt lgkmcnt(0)
	v_mul_f64 v[48:49], v[30:31], v[46:47]
	v_mul_f64 v[50:51], v[28:29], v[46:47]
	v_fma_f64 v[48:49], v[28:29], v[44:45], -v[48:49]
	v_fma_f64 v[50:51], v[30:31], v[44:45], v[50:51]
	v_add_f64 v[10:11], v[10:11], v[48:49]
	v_add_f64 v[20:21], v[50:51], v[20:21]
	ds_read_b128 v[48:51], v24 offset:256
	s_waitcnt lgkmcnt(0)
	v_mul_f64 v[52:53], v[30:31], v[50:51]
	v_fma_f64 v[52:53], v[28:29], v[48:49], -v[52:53]
	v_mul_f64 v[28:29], v[28:29], v[50:51]
	v_add_f64 v[2:3], v[2:3], v[52:53]
	v_fma_f64 v[28:29], v[30:31], v[48:49], v[28:29]
	v_add_f64 v[52:53], v[28:29], v[14:15]
	ds_read_b128 v[28:31], v25 offset:2048
	s_waitcnt lgkmcnt(0)
	v_mul_f64 v[14:15], v[30:31], v[46:47]
	v_mul_f64 v[46:47], v[28:29], v[46:47]
	v_fma_f64 v[14:15], v[28:29], v[44:45], -v[14:15]
	v_fma_f64 v[44:45], v[30:31], v[44:45], v[46:47]
	v_add_f64 v[46:47], v[8:9], v[14:15]
	v_mul_f64 v[8:9], v[30:31], v[50:51]
	v_mul_f64 v[14:15], v[28:29], v[50:51]
	v_add_f64 v[44:45], v[44:45], v[18:19]
	v_fma_f64 v[8:9], v[28:29], v[48:49], -v[8:9]
	v_fma_f64 v[14:15], v[30:31], v[48:49], v[14:15]
	v_add_f64 v[28:29], v[6:7], v[8:9]
	ds_read_b128 v[6:9], v24 offset:512
	v_add_f64 v[30:31], v[14:15], v[16:17]
	s_waitcnt lgkmcnt(0)
	v_mul_f64 v[14:15], v[34:35], v[8:9]
	v_mul_f64 v[16:17], v[32:33], v[8:9]
	v_fma_f64 v[14:15], v[32:33], v[6:7], -v[14:15]
	v_fma_f64 v[16:17], v[34:35], v[6:7], v[16:17]
	v_add_f64 v[10:11], v[10:11], v[14:15]
	v_add_f64 v[48:49], v[16:17], v[20:21]
	ds_read_b128 v[14:17], v24 offset:768
	s_waitcnt lgkmcnt(0)
	v_mul_f64 v[18:19], v[34:35], v[16:17]
	v_mul_f64 v[20:21], v[32:33], v[16:17]
	v_fma_f64 v[18:19], v[32:33], v[14:15], -v[18:19]
	v_fma_f64 v[20:21], v[34:35], v[14:15], v[20:21]
	v_add_f64 v[2:3], v[2:3], v[18:19]
	v_add_f64 v[32:33], v[20:21], v[52:53]
	ds_read_b128 v[18:21], v25 offset:2064
	s_waitcnt lgkmcnt(0)
	v_mul_f64 v[34:35], v[20:21], v[8:9]
	v_mul_f64 v[8:9], v[18:19], v[8:9]
	v_fma_f64 v[34:35], v[18:19], v[6:7], -v[34:35]
	v_fma_f64 v[6:7], v[20:21], v[6:7], v[8:9]
	v_mul_f64 v[8:9], v[18:19], v[16:17]
	v_add_f64 v[34:35], v[46:47], v[34:35]
	v_add_f64 v[44:45], v[6:7], v[44:45]
	v_mul_f64 v[6:7], v[20:21], v[16:17]
	v_fma_f64 v[8:9], v[20:21], v[14:15], v[8:9]
	v_fma_f64 v[6:7], v[18:19], v[14:15], -v[6:7]
	v_add_f64 v[30:31], v[8:9], v[30:31]
	v_add_f64 v[28:29], v[28:29], v[6:7]
	ds_read_b128 v[6:9], v24 offset:1024
	s_waitcnt lgkmcnt(0)
	v_mul_f64 v[14:15], v[38:39], v[8:9]
	v_mul_f64 v[16:17], v[36:37], v[8:9]
	v_fma_f64 v[14:15], v[36:37], v[6:7], -v[14:15]
	v_fma_f64 v[16:17], v[38:39], v[6:7], v[16:17]
	v_add_f64 v[10:11], v[10:11], v[14:15]
	v_add_f64 v[46:47], v[16:17], v[48:49]
	ds_read_b128 v[14:17], v24 offset:1280
	s_waitcnt lgkmcnt(0)
	v_mul_f64 v[18:19], v[38:39], v[16:17]
	v_mul_f64 v[20:21], v[36:37], v[16:17]
	v_fma_f64 v[18:19], v[36:37], v[14:15], -v[18:19]
	v_fma_f64 v[20:21], v[38:39], v[14:15], v[20:21]
	v_add_f64 v[2:3], v[2:3], v[18:19]
	v_add_f64 v[32:33], v[20:21], v[32:33]
	ds_read_b128 v[18:21], v25 offset:2080
	s_waitcnt lgkmcnt(0)
	v_mul_f64 v[36:37], v[20:21], v[8:9]
	v_mul_f64 v[8:9], v[18:19], v[8:9]
	v_fma_f64 v[36:37], v[18:19], v[6:7], -v[36:37]
	v_fma_f64 v[6:7], v[20:21], v[6:7], v[8:9]
	v_mul_f64 v[8:9], v[18:19], v[16:17]
	v_add_f64 v[34:35], v[34:35], v[36:37]
	v_add_f64 v[36:37], v[6:7], v[44:45]
	v_mul_f64 v[6:7], v[20:21], v[16:17]
	v_fma_f64 v[8:9], v[20:21], v[14:15], v[8:9]
	v_fma_f64 v[6:7], v[18:19], v[14:15], -v[6:7]
	v_add_f64 v[30:31], v[8:9], v[30:31]
	v_add_f64 v[28:29], v[28:29], v[6:7]
	ds_read_b128 v[6:9], v24 offset:1536
	;; [unrolled: 30-line block ×3, first 2 shown]
	ds_read_b128 v[14:17], v24 offset:2048
	s_waitcnt lgkmcnt(0)
	v_mul_f64 v[18:19], v[8:9], v[16:17]
	v_mul_f64 v[20:21], v[6:7], v[16:17]
	v_fma_f64 v[18:19], v[6:7], v[14:15], -v[18:19]
	v_fma_f64 v[20:21], v[8:9], v[14:15], v[20:21]
	v_add_f64 v[10:11], v[10:11], v[18:19]
	v_add_f64 v[38:39], v[20:21], v[38:39]
	ds_read_b128 v[18:21], v24 offset:2304
	s_waitcnt lgkmcnt(0)
	v_mul_f64 v[40:41], v[8:9], v[20:21]
	v_fma_f64 v[40:41], v[6:7], v[18:19], -v[40:41]
	v_mul_f64 v[6:7], v[6:7], v[20:21]
	v_add_f64 v[2:3], v[2:3], v[40:41]
	v_fma_f64 v[6:7], v[8:9], v[18:19], v[6:7]
	v_add_f64 v[32:33], v[6:7], v[32:33]
	ds_read_b128 v[6:9], v25 offset:2112
	s_waitcnt lgkmcnt(0)
	v_mul_f64 v[40:41], v[8:9], v[16:17]
	v_mul_f64 v[16:17], v[6:7], v[16:17]
	v_fma_f64 v[40:41], v[6:7], v[14:15], -v[40:41]
	v_fma_f64 v[14:15], v[8:9], v[14:15], v[16:17]
	v_add_f64 v[34:35], v[34:35], v[40:41]
	v_add_f64 v[36:37], v[14:15], v[36:37]
	v_mul_f64 v[14:15], v[8:9], v[20:21]
	v_fma_f64 v[14:15], v[6:7], v[18:19], -v[14:15]
	v_mul_f64 v[6:7], v[6:7], v[20:21]
	v_add_f64 v[28:29], v[28:29], v[14:15]
	v_fma_f64 v[6:7], v[8:9], v[18:19], v[6:7]
	v_add_f64 v[30:31], v[6:7], v[30:31]
	ds_read_b128 v[6:9], v25 offset:80
	ds_read_b128 v[14:17], v24 offset:2560
	s_waitcnt lgkmcnt(0)
	v_mul_f64 v[18:19], v[8:9], v[16:17]
	v_mul_f64 v[20:21], v[6:7], v[16:17]
	v_fma_f64 v[18:19], v[6:7], v[14:15], -v[18:19]
	v_fma_f64 v[20:21], v[8:9], v[14:15], v[20:21]
	v_add_f64 v[10:11], v[10:11], v[18:19]
	v_add_f64 v[38:39], v[20:21], v[38:39]
	ds_read_b128 v[18:21], v24 offset:2816
	s_waitcnt lgkmcnt(0)
	v_mul_f64 v[40:41], v[8:9], v[20:21]
	v_fma_f64 v[40:41], v[6:7], v[18:19], -v[40:41]
	v_mul_f64 v[6:7], v[6:7], v[20:21]
	v_add_f64 v[2:3], v[2:3], v[40:41]
	v_fma_f64 v[6:7], v[8:9], v[18:19], v[6:7]
	v_add_f64 v[32:33], v[6:7], v[32:33]
	ds_read_b128 v[6:9], v25 offset:2128
	s_waitcnt lgkmcnt(0)
	v_mul_f64 v[40:41], v[8:9], v[16:17]
	v_mul_f64 v[16:17], v[6:7], v[16:17]
	v_fma_f64 v[40:41], v[6:7], v[14:15], -v[40:41]
	v_fma_f64 v[14:15], v[8:9], v[14:15], v[16:17]
	v_add_f64 v[34:35], v[34:35], v[40:41]
	v_add_f64 v[36:37], v[14:15], v[36:37]
	v_mul_f64 v[14:15], v[8:9], v[20:21]
	v_fma_f64 v[14:15], v[6:7], v[18:19], -v[14:15]
	v_mul_f64 v[6:7], v[6:7], v[20:21]
	v_add_f64 v[28:29], v[28:29], v[14:15]
	v_fma_f64 v[6:7], v[8:9], v[18:19], v[6:7]
	v_add_f64 v[30:31], v[6:7], v[30:31]
	ds_read_b128 v[6:9], v25 offset:96
	;; [unrolled: 31-line block ×3, first 2 shown]
	ds_read_b128 v[16:19], v24 offset:3584
	ds_read_b128 v[28:31], v24 offset:3840
	s_waitcnt lgkmcnt(1)
	v_mul_f64 v[14:15], v[8:9], v[18:19]
	v_mul_f64 v[20:21], v[6:7], v[18:19]
	v_fma_f64 v[14:15], v[6:7], v[16:17], -v[14:15]
	v_fma_f64 v[20:21], v[8:9], v[16:17], v[20:21]
	v_add_f64 v[10:11], v[10:11], v[14:15]
	s_waitcnt lgkmcnt(0)
	v_mul_f64 v[14:15], v[8:9], v[30:31]
	v_add_f64 v[20:21], v[20:21], v[38:39]
	v_fma_f64 v[14:15], v[6:7], v[28:29], -v[14:15]
	v_mul_f64 v[6:7], v[6:7], v[30:31]
	v_add_f64 v[2:3], v[2:3], v[14:15]
	v_fma_f64 v[6:7], v[8:9], v[28:29], v[6:7]
	v_add_f64 v[14:15], v[6:7], v[32:33]
	ds_read_b128 v[32:35], v25 offset:2160
	s_waitcnt lgkmcnt(0)
	s_barrier
	v_mul_f64 v[6:7], v[34:35], v[18:19]
	v_mul_f64 v[8:9], v[32:33], v[18:19]
	v_fma_f64 v[6:7], v[32:33], v[16:17], -v[6:7]
	v_fma_f64 v[16:17], v[34:35], v[16:17], v[8:9]
	v_add_f64 v[8:9], v[40:41], v[6:7]
	v_add_f64 v[18:19], v[16:17], v[36:37]
	v_mul_f64 v[6:7], v[34:35], v[30:31]
	v_mul_f64 v[16:17], v[32:33], v[30:31]
	v_fma_f64 v[6:7], v[32:33], v[28:29], -v[6:7]
	v_fma_f64 v[16:17], v[34:35], v[28:29], v[16:17]
	v_mov_b32_e32 v29, s7
	v_mov_b32_e32 v28, s6
	v_cmp_le_u64_e32 vcc, s[12:13], v[28:29]
	v_add_f64 v[6:7], v[42:43], v[6:7]
	v_add_f64 v[16:17], v[16:17], v[44:45]
	s_cbranch_vccz .LBB1331_2
	s_branch .LBB1331_4
.LBB1331_3:
	v_mov_b32_e32 v10, 0
	v_mov_b32_e32 v20, 0
	;; [unrolled: 1-line block ×16, first 2 shown]
.LBB1331_4:
	s_load_dwordx4 s[12:15], s[4:5], 0x48
	s_load_dword s11, s[4:5], 0x0
	v_add_u32_e32 v22, s10, v1
	v_ashrrev_i32_e32 v1, 31, v22
	v_add_u32_e32 v0, s9, v0
	s_waitcnt lgkmcnt(0)
	s_mul_i32 s1, s15, s8
	s_mul_hi_u32 s2, s14, s8
	s_add_i32 s1, s2, s1
	v_mul_lo_u32 v1, s12, v1
	v_mul_lo_u32 v12, s13, v22
	v_mad_u64_u32 v[4:5], s[2:3], s12, v22, 0
	s_mul_i32 s0, s14, s8
	s_lshl_b64 s[0:1], s[0:1], 4
	v_add3_u32 v5, v5, v1, v12
	s_add_u32 s6, s26, s0
	v_lshlrev_b64 v[4:5], 4, v[4:5]
	s_addc_u32 s7, s27, s1
	v_mov_b32_e32 v1, s7
	v_add_co_u32_e32 v4, vcc, s6, v4
	v_addc_co_u32_e32 v5, vcc, v1, v5, vcc
	v_cmp_le_i32_e64 s[0:1], v22, v0
	v_cmp_gt_i32_e32 vcc, s11, v0
	s_and_b64 s[0:1], s[0:1], vcc
	s_and_saveexec_b64 s[2:3], s[0:1]
	s_cbranch_execz .LBB1331_6
; %bb.5:
	v_ashrrev_i32_e32 v1, 31, v0
	v_lshlrev_b64 v[12:13], 4, v[0:1]
	v_xor_b32_e32 v11, 0x80000000, v11
	v_add_co_u32_e64 v23, s[0:1], v4, v12
	v_addc_co_u32_e64 v24, s[0:1], v5, v13, s[0:1]
	v_cmp_ne_u32_e64 s[0:1], v22, v0
	v_cndmask_b32_e64 v13, 0, -v21, s[0:1]
	v_cndmask_b32_e64 v12, 0, v20, s[0:1]
	global_store_dwordx4 v[23:24], v[10:13], off
.LBB1331_6:
	s_or_b64 exec, exec, s[2:3]
	v_add_u32_e32 v12, 16, v0
	v_cmp_le_i32_e64 s[2:3], v22, v12
	v_cmp_gt_i32_e64 s[0:1], s11, v12
	s_and_b64 s[2:3], s[2:3], s[0:1]
	s_and_saveexec_b64 s[4:5], s[2:3]
	s_cbranch_execz .LBB1331_8
; %bb.7:
	v_ashrrev_i32_e32 v13, 31, v12
	v_lshlrev_b64 v[10:11], 4, v[12:13]
	v_xor_b32_e32 v3, 0x80000000, v3
	v_add_co_u32_e64 v10, s[2:3], v4, v10
	v_addc_co_u32_e64 v11, s[2:3], v5, v11, s[2:3]
	v_cmp_ne_u32_e64 s[2:3], v22, v12
	v_cndmask_b32_e64 v5, 0, -v15, s[2:3]
	v_cndmask_b32_e64 v4, 0, v14, s[2:3]
	global_store_dwordx4 v[10:11], v[2:5], off
.LBB1331_8:
	s_or_b64 exec, exec, s[4:5]
	v_add_u32_e32 v4, 16, v22
	v_ashrrev_i32_e32 v3, 31, v4
	v_mul_lo_u32 v5, s13, v4
	v_mad_u64_u32 v[1:2], s[2:3], s12, v4, 0
	v_mul_lo_u32 v3, s12, v3
	v_add3_u32 v2, v2, v3, v5
	v_lshlrev_b64 v[2:3], 4, v[1:2]
	v_mov_b32_e32 v1, s7
	v_add_co_u32_e64 v2, s[2:3], s6, v2
	v_addc_co_u32_e64 v3, s[2:3], v1, v3, s[2:3]
	v_cmp_le_i32_e64 s[2:3], v4, v0
	s_and_b64 s[4:5], s[2:3], vcc
	s_and_saveexec_b64 s[2:3], s[4:5]
	s_cbranch_execz .LBB1331_10
; %bb.9:
	v_ashrrev_i32_e32 v1, 31, v0
	v_lshlrev_b64 v[10:11], 4, v[0:1]
	v_xor_b32_e32 v9, 0x80000000, v9
	v_add_co_u32_e32 v13, vcc, v2, v10
	v_addc_co_u32_e32 v14, vcc, v3, v11, vcc
	v_cmp_ne_u32_e32 vcc, v4, v0
	v_cndmask_b32_e64 v11, 0, -v19, vcc
	v_cndmask_b32_e32 v10, 0, v18, vcc
	global_store_dwordx4 v[13:14], v[8:11], off
.LBB1331_10:
	s_or_b64 exec, exec, s[2:3]
	v_cmp_le_i32_e32 vcc, v4, v12
	s_and_b64 s[0:1], vcc, s[0:1]
	s_and_saveexec_b64 s[2:3], s[0:1]
	s_cbranch_execz .LBB1331_12
; %bb.11:
	v_ashrrev_i32_e32 v13, 31, v12
	v_lshlrev_b64 v[4:5], 4, v[12:13]
	v_xor_b32_e32 v7, 0x80000000, v7
	v_add_co_u32_e32 v1, vcc, v2, v4
	v_addc_co_u32_e32 v2, vcc, v3, v5, vcc
	v_cmp_ne_u32_e32 vcc, v22, v0
	v_cndmask_b32_e64 v9, 0, -v17, vcc
	v_cndmask_b32_e32 v8, 0, v16, vcc
	global_store_dwordx4 v[1:2], v[6:9], off
.LBB1331_12:
	s_endpgm
	.section	.rodata,"a",@progbits
	.p2align	6, 0x0
	.amdhsa_kernel _ZL37rocblas_syrkx_herkx_restricted_kernelIl19rocblas_complex_numIdELi16ELi32ELi8ELin1ELi0ELb1ELc78ELc76EKS1_S1_EviT_PT9_S3_lS5_S3_lPT10_S3_li
		.amdhsa_group_segment_fixed_size 8192
		.amdhsa_private_segment_fixed_size 0
		.amdhsa_kernarg_size 92
		.amdhsa_user_sgpr_count 6
		.amdhsa_user_sgpr_private_segment_buffer 1
		.amdhsa_user_sgpr_dispatch_ptr 0
		.amdhsa_user_sgpr_queue_ptr 0
		.amdhsa_user_sgpr_kernarg_segment_ptr 1
		.amdhsa_user_sgpr_dispatch_id 0
		.amdhsa_user_sgpr_flat_scratch_init 0
		.amdhsa_user_sgpr_private_segment_size 0
		.amdhsa_uses_dynamic_stack 0
		.amdhsa_system_sgpr_private_segment_wavefront_offset 0
		.amdhsa_system_sgpr_workgroup_id_x 1
		.amdhsa_system_sgpr_workgroup_id_y 1
		.amdhsa_system_sgpr_workgroup_id_z 1
		.amdhsa_system_sgpr_workgroup_info 0
		.amdhsa_system_vgpr_workitem_id 1
		.amdhsa_next_free_vgpr 54
		.amdhsa_next_free_sgpr 61
		.amdhsa_reserve_vcc 1
		.amdhsa_reserve_flat_scratch 0
		.amdhsa_float_round_mode_32 0
		.amdhsa_float_round_mode_16_64 0
		.amdhsa_float_denorm_mode_32 3
		.amdhsa_float_denorm_mode_16_64 3
		.amdhsa_dx10_clamp 1
		.amdhsa_ieee_mode 1
		.amdhsa_fp16_overflow 0
		.amdhsa_exception_fp_ieee_invalid_op 0
		.amdhsa_exception_fp_denorm_src 0
		.amdhsa_exception_fp_ieee_div_zero 0
		.amdhsa_exception_fp_ieee_overflow 0
		.amdhsa_exception_fp_ieee_underflow 0
		.amdhsa_exception_fp_ieee_inexact 0
		.amdhsa_exception_int_div_zero 0
	.end_amdhsa_kernel
	.section	.text._ZL37rocblas_syrkx_herkx_restricted_kernelIl19rocblas_complex_numIdELi16ELi32ELi8ELin1ELi0ELb1ELc78ELc76EKS1_S1_EviT_PT9_S3_lS5_S3_lPT10_S3_li,"axG",@progbits,_ZL37rocblas_syrkx_herkx_restricted_kernelIl19rocblas_complex_numIdELi16ELi32ELi8ELin1ELi0ELb1ELc78ELc76EKS1_S1_EviT_PT9_S3_lS5_S3_lPT10_S3_li,comdat
.Lfunc_end1331:
	.size	_ZL37rocblas_syrkx_herkx_restricted_kernelIl19rocblas_complex_numIdELi16ELi32ELi8ELin1ELi0ELb1ELc78ELc76EKS1_S1_EviT_PT9_S3_lS5_S3_lPT10_S3_li, .Lfunc_end1331-_ZL37rocblas_syrkx_herkx_restricted_kernelIl19rocblas_complex_numIdELi16ELi32ELi8ELin1ELi0ELb1ELc78ELc76EKS1_S1_EviT_PT9_S3_lS5_S3_lPT10_S3_li
                                        ; -- End function
	.set _ZL37rocblas_syrkx_herkx_restricted_kernelIl19rocblas_complex_numIdELi16ELi32ELi8ELin1ELi0ELb1ELc78ELc76EKS1_S1_EviT_PT9_S3_lS5_S3_lPT10_S3_li.num_vgpr, 54
	.set _ZL37rocblas_syrkx_herkx_restricted_kernelIl19rocblas_complex_numIdELi16ELi32ELi8ELin1ELi0ELb1ELc78ELc76EKS1_S1_EviT_PT9_S3_lS5_S3_lPT10_S3_li.num_agpr, 0
	.set _ZL37rocblas_syrkx_herkx_restricted_kernelIl19rocblas_complex_numIdELi16ELi32ELi8ELin1ELi0ELb1ELc78ELc76EKS1_S1_EviT_PT9_S3_lS5_S3_lPT10_S3_li.numbered_sgpr, 28
	.set _ZL37rocblas_syrkx_herkx_restricted_kernelIl19rocblas_complex_numIdELi16ELi32ELi8ELin1ELi0ELb1ELc78ELc76EKS1_S1_EviT_PT9_S3_lS5_S3_lPT10_S3_li.num_named_barrier, 0
	.set _ZL37rocblas_syrkx_herkx_restricted_kernelIl19rocblas_complex_numIdELi16ELi32ELi8ELin1ELi0ELb1ELc78ELc76EKS1_S1_EviT_PT9_S3_lS5_S3_lPT10_S3_li.private_seg_size, 0
	.set _ZL37rocblas_syrkx_herkx_restricted_kernelIl19rocblas_complex_numIdELi16ELi32ELi8ELin1ELi0ELb1ELc78ELc76EKS1_S1_EviT_PT9_S3_lS5_S3_lPT10_S3_li.uses_vcc, 1
	.set _ZL37rocblas_syrkx_herkx_restricted_kernelIl19rocblas_complex_numIdELi16ELi32ELi8ELin1ELi0ELb1ELc78ELc76EKS1_S1_EviT_PT9_S3_lS5_S3_lPT10_S3_li.uses_flat_scratch, 0
	.set _ZL37rocblas_syrkx_herkx_restricted_kernelIl19rocblas_complex_numIdELi16ELi32ELi8ELin1ELi0ELb1ELc78ELc76EKS1_S1_EviT_PT9_S3_lS5_S3_lPT10_S3_li.has_dyn_sized_stack, 0
	.set _ZL37rocblas_syrkx_herkx_restricted_kernelIl19rocblas_complex_numIdELi16ELi32ELi8ELin1ELi0ELb1ELc78ELc76EKS1_S1_EviT_PT9_S3_lS5_S3_lPT10_S3_li.has_recursion, 0
	.set _ZL37rocblas_syrkx_herkx_restricted_kernelIl19rocblas_complex_numIdELi16ELi32ELi8ELin1ELi0ELb1ELc78ELc76EKS1_S1_EviT_PT9_S3_lS5_S3_lPT10_S3_li.has_indirect_call, 0
	.section	.AMDGPU.csdata,"",@progbits
; Kernel info:
; codeLenInByte = 2940
; TotalNumSgprs: 32
; NumVgprs: 54
; ScratchSize: 0
; MemoryBound: 0
; FloatMode: 240
; IeeeMode: 1
; LDSByteSize: 8192 bytes/workgroup (compile time only)
; SGPRBlocks: 8
; VGPRBlocks: 13
; NumSGPRsForWavesPerEU: 65
; NumVGPRsForWavesPerEU: 54
; Occupancy: 4
; WaveLimiterHint : 1
; COMPUTE_PGM_RSRC2:SCRATCH_EN: 0
; COMPUTE_PGM_RSRC2:USER_SGPR: 6
; COMPUTE_PGM_RSRC2:TRAP_HANDLER: 0
; COMPUTE_PGM_RSRC2:TGID_X_EN: 1
; COMPUTE_PGM_RSRC2:TGID_Y_EN: 1
; COMPUTE_PGM_RSRC2:TGID_Z_EN: 1
; COMPUTE_PGM_RSRC2:TIDIG_COMP_CNT: 1
	.section	.text._ZL37rocblas_syrkx_herkx_restricted_kernelIl19rocblas_complex_numIdELi16ELi32ELi8ELin1ELi0ELb1ELc84ELc85EKS1_S1_EviT_PT9_S3_lS5_S3_lPT10_S3_li,"axG",@progbits,_ZL37rocblas_syrkx_herkx_restricted_kernelIl19rocblas_complex_numIdELi16ELi32ELi8ELin1ELi0ELb1ELc84ELc85EKS1_S1_EviT_PT9_S3_lS5_S3_lPT10_S3_li,comdat
	.globl	_ZL37rocblas_syrkx_herkx_restricted_kernelIl19rocblas_complex_numIdELi16ELi32ELi8ELin1ELi0ELb1ELc84ELc85EKS1_S1_EviT_PT9_S3_lS5_S3_lPT10_S3_li ; -- Begin function _ZL37rocblas_syrkx_herkx_restricted_kernelIl19rocblas_complex_numIdELi16ELi32ELi8ELin1ELi0ELb1ELc84ELc85EKS1_S1_EviT_PT9_S3_lS5_S3_lPT10_S3_li
	.p2align	8
	.type	_ZL37rocblas_syrkx_herkx_restricted_kernelIl19rocblas_complex_numIdELi16ELi32ELi8ELin1ELi0ELb1ELc84ELc85EKS1_S1_EviT_PT9_S3_lS5_S3_lPT10_S3_li,@function
_ZL37rocblas_syrkx_herkx_restricted_kernelIl19rocblas_complex_numIdELi16ELi32ELi8ELin1ELi0ELb1ELc84ELc85EKS1_S1_EviT_PT9_S3_lS5_S3_lPT10_S3_li: ; @_ZL37rocblas_syrkx_herkx_restricted_kernelIl19rocblas_complex_numIdELi16ELi32ELi8ELin1ELi0ELb1ELc84ELc85EKS1_S1_EviT_PT9_S3_lS5_S3_lPT10_S3_li
; %bb.0:
	s_load_dwordx16 s[12:27], s[4:5], 0x8
	s_lshl_b32 s2, s6, 5
	s_lshl_b32 s3, s7, 5
	s_waitcnt lgkmcnt(0)
	v_cmp_lt_i64_e64 s[0:1], s[12:13], 1
	s_and_b64 vcc, exec, s[0:1]
	s_cbranch_vccnz .LBB1332_3
; %bb.1:
	v_lshl_add_u32 v4, v1, 4, v0
	v_lshrrev_b32_e32 v8, 3, v4
	v_add_u32_e32 v5, s3, v8
	v_ashrrev_i32_e32 v6, 31, v5
	v_and_b32_e32 v2, 7, v0
	v_mov_b32_e32 v3, 0
	v_mul_lo_u32 v9, s22, v6
	v_mul_lo_u32 v10, s23, v5
	v_mad_u64_u32 v[6:7], s[0:1], s22, v5, v[2:3]
	v_lshlrev_b32_e32 v2, 4, v2
	v_lshl_or_b32 v2, v8, 7, v2
	v_add3_u32 v7, v10, v7, v9
	v_and_b32_e32 v9, 31, v4
	v_add_u32_e32 v23, 0x1000, v2
	v_mov_b32_e32 v2, 0x1000
	v_add_u32_e32 v8, s2, v9
	v_lshrrev_b32_e32 v4, 5, v4
	v_mov_b32_e32 v5, v3
	v_lshlrev_b32_e32 v3, 4, v9
	v_lshl_add_u32 v25, v1, 7, v2
	v_ashrrev_i32_e32 v2, 31, v8
	v_lshl_or_b32 v22, v4, 9, v3
	v_mul_lo_u32 v9, s16, v2
	v_mad_u64_u32 v[2:3], s[0:1], s16, v8, v[4:5]
	v_mul_lo_u32 v4, s17, v8
	s_mul_i32 s6, s19, s8
	s_mul_hi_u32 s7, s18, s8
	s_add_i32 s1, s7, s6
	s_mul_i32 s0, s18, s8
	s_lshl_b64 s[0:1], s[0:1], 4
	v_add3_u32 v3, v4, v3, v9
	v_lshlrev_b64 v[2:3], 4, v[2:3]
	s_add_u32 s0, s14, s0
	s_addc_u32 s1, s15, s1
	v_mov_b32_e32 v4, s1
	v_add_co_u32_e32 v2, vcc, s0, v2
	s_mul_i32 s0, s25, s8
	s_mul_hi_u32 s1, s24, s8
	v_addc_co_u32_e32 v3, vcc, v4, v3, vcc
	s_add_i32 s1, s1, s0
	s_mul_i32 s0, s24, s8
	v_add_co_u32_e32 v4, vcc, 8, v2
	s_lshl_b64 s[0:1], s[0:1], 4
	v_addc_co_u32_e32 v5, vcc, 0, v3, vcc
	v_lshlrev_b64 v[2:3], 4, v[6:7]
	s_add_u32 s0, s20, s0
	s_addc_u32 s1, s21, s1
	v_mov_b32_e32 v6, s1
	v_add_co_u32_e32 v2, vcc, s0, v2
	v_addc_co_u32_e32 v3, vcc, v6, v3, vcc
	v_add_co_u32_e32 v12, vcc, 8, v2
	v_addc_co_u32_e32 v13, vcc, 0, v3, vcc
	v_mov_b32_e32 v16, 0
	v_mov_b32_e32 v6, 0
	;; [unrolled: 1-line block ×8, first 2 shown]
	v_lshlrev_b32_e32 v24, 4, v0
	v_mov_b32_e32 v17, 0
	v_mov_b32_e32 v7, 0
	;; [unrolled: 1-line block ×8, first 2 shown]
	s_mov_b64 s[0:1], 0
.LBB1332_2:                             ; =>This Inner Loop Header: Depth=1
	global_load_dwordx4 v[26:29], v[4:5], off offset:-8
	s_add_u32 s0, s0, 8
	v_add_co_u32_e32 v4, vcc, 0x80, v4
	s_addc_u32 s1, s1, 0
	v_addc_co_u32_e32 v5, vcc, 0, v5, vcc
	s_waitcnt vmcnt(0)
	ds_write_b128 v22, v[26:29]
	global_load_dwordx4 v[26:29], v[12:13], off offset:-8
	v_add_co_u32_e32 v12, vcc, 0x80, v12
	v_addc_co_u32_e32 v13, vcc, 0, v13, vcc
	s_waitcnt vmcnt(0)
	ds_write_b128 v23, v[26:29]
	s_waitcnt lgkmcnt(0)
	s_barrier
	ds_read_b128 v[26:29], v25
	ds_read_b128 v[30:33], v25 offset:16
	ds_read_b128 v[34:37], v25 offset:32
	;; [unrolled: 1-line block ×3, first 2 shown]
	ds_read_b128 v[42:45], v24
	s_waitcnt lgkmcnt(0)
	v_mul_f64 v[46:47], v[28:29], v[44:45]
	v_mul_f64 v[48:49], v[26:27], v[44:45]
	v_fma_f64 v[46:47], v[26:27], v[42:43], -v[46:47]
	v_fma_f64 v[48:49], v[28:29], v[42:43], v[48:49]
	v_add_f64 v[10:11], v[10:11], v[46:47]
	v_add_f64 v[20:21], v[48:49], v[20:21]
	ds_read_b128 v[46:49], v24 offset:256
	s_waitcnt lgkmcnt(0)
	v_mul_f64 v[50:51], v[28:29], v[48:49]
	v_fma_f64 v[50:51], v[26:27], v[46:47], -v[50:51]
	v_mul_f64 v[26:27], v[26:27], v[48:49]
	v_add_f64 v[2:3], v[2:3], v[50:51]
	v_fma_f64 v[26:27], v[28:29], v[46:47], v[26:27]
	v_add_f64 v[50:51], v[26:27], v[14:15]
	ds_read_b128 v[26:29], v25 offset:2048
	s_waitcnt lgkmcnt(0)
	v_mul_f64 v[14:15], v[28:29], v[44:45]
	v_mul_f64 v[44:45], v[26:27], v[44:45]
	v_fma_f64 v[14:15], v[26:27], v[42:43], -v[14:15]
	v_fma_f64 v[42:43], v[28:29], v[42:43], v[44:45]
	v_add_f64 v[44:45], v[8:9], v[14:15]
	v_mul_f64 v[8:9], v[28:29], v[48:49]
	v_mul_f64 v[14:15], v[26:27], v[48:49]
	v_add_f64 v[42:43], v[42:43], v[18:19]
	v_fma_f64 v[8:9], v[26:27], v[46:47], -v[8:9]
	v_fma_f64 v[14:15], v[28:29], v[46:47], v[14:15]
	v_add_f64 v[26:27], v[6:7], v[8:9]
	ds_read_b128 v[6:9], v24 offset:512
	v_add_f64 v[28:29], v[14:15], v[16:17]
	s_waitcnt lgkmcnt(0)
	v_mul_f64 v[14:15], v[32:33], v[8:9]
	v_mul_f64 v[16:17], v[30:31], v[8:9]
	v_fma_f64 v[14:15], v[30:31], v[6:7], -v[14:15]
	v_fma_f64 v[16:17], v[32:33], v[6:7], v[16:17]
	v_add_f64 v[10:11], v[10:11], v[14:15]
	v_add_f64 v[46:47], v[16:17], v[20:21]
	ds_read_b128 v[14:17], v24 offset:768
	s_waitcnt lgkmcnt(0)
	v_mul_f64 v[18:19], v[32:33], v[16:17]
	v_mul_f64 v[20:21], v[30:31], v[16:17]
	v_fma_f64 v[18:19], v[30:31], v[14:15], -v[18:19]
	v_fma_f64 v[20:21], v[32:33], v[14:15], v[20:21]
	v_add_f64 v[2:3], v[2:3], v[18:19]
	v_add_f64 v[30:31], v[20:21], v[50:51]
	ds_read_b128 v[18:21], v25 offset:2064
	s_waitcnt lgkmcnt(0)
	v_mul_f64 v[32:33], v[20:21], v[8:9]
	v_mul_f64 v[8:9], v[18:19], v[8:9]
	v_fma_f64 v[32:33], v[18:19], v[6:7], -v[32:33]
	v_fma_f64 v[6:7], v[20:21], v[6:7], v[8:9]
	v_mul_f64 v[8:9], v[18:19], v[16:17]
	v_add_f64 v[32:33], v[44:45], v[32:33]
	v_add_f64 v[42:43], v[6:7], v[42:43]
	v_mul_f64 v[6:7], v[20:21], v[16:17]
	v_fma_f64 v[8:9], v[20:21], v[14:15], v[8:9]
	v_fma_f64 v[6:7], v[18:19], v[14:15], -v[6:7]
	v_add_f64 v[28:29], v[8:9], v[28:29]
	v_add_f64 v[26:27], v[26:27], v[6:7]
	ds_read_b128 v[6:9], v24 offset:1024
	s_waitcnt lgkmcnt(0)
	v_mul_f64 v[14:15], v[36:37], v[8:9]
	v_mul_f64 v[16:17], v[34:35], v[8:9]
	v_fma_f64 v[14:15], v[34:35], v[6:7], -v[14:15]
	v_fma_f64 v[16:17], v[36:37], v[6:7], v[16:17]
	v_add_f64 v[10:11], v[10:11], v[14:15]
	v_add_f64 v[44:45], v[16:17], v[46:47]
	ds_read_b128 v[14:17], v24 offset:1280
	s_waitcnt lgkmcnt(0)
	v_mul_f64 v[18:19], v[36:37], v[16:17]
	v_mul_f64 v[20:21], v[34:35], v[16:17]
	v_fma_f64 v[18:19], v[34:35], v[14:15], -v[18:19]
	v_fma_f64 v[20:21], v[36:37], v[14:15], v[20:21]
	v_add_f64 v[2:3], v[2:3], v[18:19]
	v_add_f64 v[30:31], v[20:21], v[30:31]
	ds_read_b128 v[18:21], v25 offset:2080
	s_waitcnt lgkmcnt(0)
	v_mul_f64 v[34:35], v[20:21], v[8:9]
	v_mul_f64 v[8:9], v[18:19], v[8:9]
	v_fma_f64 v[34:35], v[18:19], v[6:7], -v[34:35]
	v_fma_f64 v[6:7], v[20:21], v[6:7], v[8:9]
	v_mul_f64 v[8:9], v[18:19], v[16:17]
	v_add_f64 v[32:33], v[32:33], v[34:35]
	v_add_f64 v[34:35], v[6:7], v[42:43]
	v_mul_f64 v[6:7], v[20:21], v[16:17]
	v_fma_f64 v[8:9], v[20:21], v[14:15], v[8:9]
	v_fma_f64 v[6:7], v[18:19], v[14:15], -v[6:7]
	v_add_f64 v[28:29], v[8:9], v[28:29]
	v_add_f64 v[26:27], v[26:27], v[6:7]
	ds_read_b128 v[6:9], v24 offset:1536
	;; [unrolled: 30-line block ×3, first 2 shown]
	ds_read_b128 v[14:17], v24 offset:2048
	s_waitcnt lgkmcnt(0)
	v_mul_f64 v[18:19], v[8:9], v[16:17]
	v_mul_f64 v[20:21], v[6:7], v[16:17]
	v_fma_f64 v[18:19], v[6:7], v[14:15], -v[18:19]
	v_fma_f64 v[20:21], v[8:9], v[14:15], v[20:21]
	v_add_f64 v[10:11], v[10:11], v[18:19]
	v_add_f64 v[36:37], v[20:21], v[36:37]
	ds_read_b128 v[18:21], v24 offset:2304
	s_waitcnt lgkmcnt(0)
	v_mul_f64 v[38:39], v[8:9], v[20:21]
	v_fma_f64 v[38:39], v[6:7], v[18:19], -v[38:39]
	v_mul_f64 v[6:7], v[6:7], v[20:21]
	v_add_f64 v[2:3], v[2:3], v[38:39]
	v_fma_f64 v[6:7], v[8:9], v[18:19], v[6:7]
	v_add_f64 v[30:31], v[6:7], v[30:31]
	ds_read_b128 v[6:9], v25 offset:2112
	s_waitcnt lgkmcnt(0)
	v_mul_f64 v[38:39], v[8:9], v[16:17]
	v_mul_f64 v[16:17], v[6:7], v[16:17]
	v_fma_f64 v[38:39], v[6:7], v[14:15], -v[38:39]
	v_fma_f64 v[14:15], v[8:9], v[14:15], v[16:17]
	v_add_f64 v[32:33], v[32:33], v[38:39]
	v_add_f64 v[34:35], v[14:15], v[34:35]
	v_mul_f64 v[14:15], v[8:9], v[20:21]
	v_fma_f64 v[14:15], v[6:7], v[18:19], -v[14:15]
	v_mul_f64 v[6:7], v[6:7], v[20:21]
	v_add_f64 v[26:27], v[26:27], v[14:15]
	v_fma_f64 v[6:7], v[8:9], v[18:19], v[6:7]
	v_add_f64 v[28:29], v[6:7], v[28:29]
	ds_read_b128 v[6:9], v25 offset:80
	ds_read_b128 v[14:17], v24 offset:2560
	s_waitcnt lgkmcnt(0)
	v_mul_f64 v[18:19], v[8:9], v[16:17]
	v_mul_f64 v[20:21], v[6:7], v[16:17]
	v_fma_f64 v[18:19], v[6:7], v[14:15], -v[18:19]
	v_fma_f64 v[20:21], v[8:9], v[14:15], v[20:21]
	v_add_f64 v[10:11], v[10:11], v[18:19]
	v_add_f64 v[36:37], v[20:21], v[36:37]
	ds_read_b128 v[18:21], v24 offset:2816
	s_waitcnt lgkmcnt(0)
	v_mul_f64 v[38:39], v[8:9], v[20:21]
	v_fma_f64 v[38:39], v[6:7], v[18:19], -v[38:39]
	v_mul_f64 v[6:7], v[6:7], v[20:21]
	v_add_f64 v[2:3], v[2:3], v[38:39]
	v_fma_f64 v[6:7], v[8:9], v[18:19], v[6:7]
	v_add_f64 v[30:31], v[6:7], v[30:31]
	ds_read_b128 v[6:9], v25 offset:2128
	s_waitcnt lgkmcnt(0)
	v_mul_f64 v[38:39], v[8:9], v[16:17]
	v_mul_f64 v[16:17], v[6:7], v[16:17]
	v_fma_f64 v[38:39], v[6:7], v[14:15], -v[38:39]
	v_fma_f64 v[14:15], v[8:9], v[14:15], v[16:17]
	v_add_f64 v[32:33], v[32:33], v[38:39]
	v_add_f64 v[34:35], v[14:15], v[34:35]
	v_mul_f64 v[14:15], v[8:9], v[20:21]
	v_fma_f64 v[14:15], v[6:7], v[18:19], -v[14:15]
	v_mul_f64 v[6:7], v[6:7], v[20:21]
	v_add_f64 v[26:27], v[26:27], v[14:15]
	v_fma_f64 v[6:7], v[8:9], v[18:19], v[6:7]
	v_add_f64 v[28:29], v[6:7], v[28:29]
	ds_read_b128 v[6:9], v25 offset:96
	;; [unrolled: 31-line block ×3, first 2 shown]
	ds_read_b128 v[16:19], v24 offset:3584
	ds_read_b128 v[26:29], v24 offset:3840
	s_waitcnt lgkmcnt(1)
	v_mul_f64 v[14:15], v[8:9], v[18:19]
	v_mul_f64 v[20:21], v[6:7], v[18:19]
	v_fma_f64 v[14:15], v[6:7], v[16:17], -v[14:15]
	v_fma_f64 v[20:21], v[8:9], v[16:17], v[20:21]
	v_add_f64 v[10:11], v[10:11], v[14:15]
	s_waitcnt lgkmcnt(0)
	v_mul_f64 v[14:15], v[8:9], v[28:29]
	v_add_f64 v[20:21], v[20:21], v[36:37]
	v_fma_f64 v[14:15], v[6:7], v[26:27], -v[14:15]
	v_mul_f64 v[6:7], v[6:7], v[28:29]
	v_add_f64 v[2:3], v[2:3], v[14:15]
	v_fma_f64 v[6:7], v[8:9], v[26:27], v[6:7]
	v_add_f64 v[14:15], v[6:7], v[30:31]
	ds_read_b128 v[30:33], v25 offset:2160
	s_waitcnt lgkmcnt(0)
	s_barrier
	v_mul_f64 v[6:7], v[32:33], v[18:19]
	v_mul_f64 v[8:9], v[30:31], v[18:19]
	v_fma_f64 v[6:7], v[30:31], v[16:17], -v[6:7]
	v_fma_f64 v[16:17], v[32:33], v[16:17], v[8:9]
	v_add_f64 v[8:9], v[38:39], v[6:7]
	v_add_f64 v[18:19], v[16:17], v[34:35]
	v_mul_f64 v[6:7], v[32:33], v[28:29]
	v_mul_f64 v[16:17], v[30:31], v[28:29]
	v_fma_f64 v[6:7], v[30:31], v[26:27], -v[6:7]
	v_fma_f64 v[16:17], v[32:33], v[26:27], v[16:17]
	v_mov_b32_e32 v27, s1
	v_mov_b32_e32 v26, s0
	v_cmp_le_u64_e32 vcc, s[12:13], v[26:27]
	v_add_f64 v[6:7], v[40:41], v[6:7]
	v_add_f64 v[16:17], v[16:17], v[42:43]
	s_cbranch_vccz .LBB1332_2
	s_branch .LBB1332_4
.LBB1332_3:
	v_mov_b32_e32 v10, 0
	v_mov_b32_e32 v20, 0
	;; [unrolled: 1-line block ×16, first 2 shown]
.LBB1332_4:
	s_load_dwordx4 s[12:15], s[4:5], 0x48
	s_load_dword s6, s[4:5], 0x0
	v_add_u32_e32 v22, s3, v1
	v_ashrrev_i32_e32 v1, 31, v22
	v_add_u32_e32 v0, s2, v0
	s_waitcnt lgkmcnt(0)
	s_mul_i32 s1, s15, s8
	s_mul_hi_u32 s3, s14, s8
	s_mul_i32 s0, s14, s8
	v_mul_lo_u32 v1, s12, v1
	v_mul_lo_u32 v12, s13, v22
	v_mad_u64_u32 v[4:5], s[8:9], s12, v22, 0
	s_add_i32 s1, s3, s1
	s_lshl_b64 s[0:1], s[0:1], 4
	v_add3_u32 v5, v5, v1, v12
	s_add_u32 s4, s26, s0
	v_lshlrev_b64 v[4:5], 4, v[4:5]
	s_addc_u32 s5, s27, s1
	v_mov_b32_e32 v1, s5
	v_add_co_u32_e64 v4, s[0:1], s4, v4
	v_addc_co_u32_e64 v5, s[0:1], v1, v5, s[0:1]
	v_cmp_gt_i32_e32 vcc, s6, v22
	v_cmp_le_i32_e64 s[0:1], v0, v22
	s_and_b64 s[0:1], vcc, s[0:1]
	s_and_saveexec_b64 s[2:3], s[0:1]
	s_cbranch_execz .LBB1332_6
; %bb.5:
	v_ashrrev_i32_e32 v1, 31, v0
	v_lshlrev_b64 v[12:13], 4, v[0:1]
	v_xor_b32_e32 v11, 0x80000000, v11
	v_add_co_u32_e64 v23, s[0:1], v4, v12
	v_addc_co_u32_e64 v24, s[0:1], v5, v13, s[0:1]
	v_cmp_ne_u32_e64 s[0:1], v22, v0
	v_cndmask_b32_e64 v13, 0, -v21, s[0:1]
	v_cndmask_b32_e64 v12, 0, v20, s[0:1]
	global_store_dwordx4 v[23:24], v[10:13], off
.LBB1332_6:
	s_or_b64 exec, exec, s[2:3]
	v_add_u32_e32 v12, 16, v0
	v_cmp_le_i32_e64 s[0:1], v12, v22
	s_and_b64 s[2:3], vcc, s[0:1]
	s_and_saveexec_b64 s[0:1], s[2:3]
	s_cbranch_execz .LBB1332_8
; %bb.7:
	v_ashrrev_i32_e32 v13, 31, v12
	v_lshlrev_b64 v[10:11], 4, v[12:13]
	v_xor_b32_e32 v3, 0x80000000, v3
	v_add_co_u32_e32 v10, vcc, v4, v10
	v_addc_co_u32_e32 v11, vcc, v5, v11, vcc
	v_cmp_ne_u32_e32 vcc, v22, v12
	v_cndmask_b32_e64 v5, 0, -v15, vcc
	v_cndmask_b32_e32 v4, 0, v14, vcc
	global_store_dwordx4 v[10:11], v[2:5], off
.LBB1332_8:
	s_or_b64 exec, exec, s[0:1]
	v_add_u32_e32 v2, 16, v22
	v_ashrrev_i32_e32 v1, 31, v2
	v_mul_lo_u32 v1, s12, v1
	v_mul_lo_u32 v5, s13, v2
	v_mad_u64_u32 v[3:4], s[0:1], s12, v2, 0
	v_cmp_gt_i32_e32 vcc, s6, v2
	v_add3_u32 v4, v4, v1, v5
	v_lshlrev_b64 v[3:4], 4, v[3:4]
	v_mov_b32_e32 v1, s5
	v_add_co_u32_e64 v3, s[0:1], s4, v3
	v_addc_co_u32_e64 v4, s[0:1], v1, v4, s[0:1]
	v_cmp_le_i32_e64 s[0:1], v0, v2
	s_and_b64 s[0:1], vcc, s[0:1]
	s_and_saveexec_b64 s[2:3], s[0:1]
	s_cbranch_execz .LBB1332_10
; %bb.9:
	v_ashrrev_i32_e32 v1, 31, v0
	v_lshlrev_b64 v[10:11], 4, v[0:1]
	v_xor_b32_e32 v9, 0x80000000, v9
	v_add_co_u32_e64 v13, s[0:1], v3, v10
	v_addc_co_u32_e64 v14, s[0:1], v4, v11, s[0:1]
	v_cmp_ne_u32_e64 s[0:1], v2, v0
	v_cndmask_b32_e64 v11, 0, -v19, s[0:1]
	v_cndmask_b32_e64 v10, 0, v18, s[0:1]
	global_store_dwordx4 v[13:14], v[8:11], off
.LBB1332_10:
	s_or_b64 exec, exec, s[2:3]
	v_cmp_le_i32_e64 s[0:1], v12, v2
	s_and_b64 s[0:1], vcc, s[0:1]
	s_and_saveexec_b64 s[2:3], s[0:1]
	s_cbranch_execz .LBB1332_12
; %bb.11:
	v_ashrrev_i32_e32 v13, 31, v12
	v_lshlrev_b64 v[1:2], 4, v[12:13]
	v_xor_b32_e32 v7, 0x80000000, v7
	v_add_co_u32_e32 v1, vcc, v3, v1
	v_addc_co_u32_e32 v2, vcc, v4, v2, vcc
	v_cmp_ne_u32_e32 vcc, v22, v0
	v_cndmask_b32_e64 v9, 0, -v17, vcc
	v_cndmask_b32_e32 v8, 0, v16, vcc
	global_store_dwordx4 v[1:2], v[6:9], off
.LBB1332_12:
	s_endpgm
	.section	.rodata,"a",@progbits
	.p2align	6, 0x0
	.amdhsa_kernel _ZL37rocblas_syrkx_herkx_restricted_kernelIl19rocblas_complex_numIdELi16ELi32ELi8ELin1ELi0ELb1ELc84ELc85EKS1_S1_EviT_PT9_S3_lS5_S3_lPT10_S3_li
		.amdhsa_group_segment_fixed_size 8192
		.amdhsa_private_segment_fixed_size 0
		.amdhsa_kernarg_size 92
		.amdhsa_user_sgpr_count 6
		.amdhsa_user_sgpr_private_segment_buffer 1
		.amdhsa_user_sgpr_dispatch_ptr 0
		.amdhsa_user_sgpr_queue_ptr 0
		.amdhsa_user_sgpr_kernarg_segment_ptr 1
		.amdhsa_user_sgpr_dispatch_id 0
		.amdhsa_user_sgpr_flat_scratch_init 0
		.amdhsa_user_sgpr_private_segment_size 0
		.amdhsa_uses_dynamic_stack 0
		.amdhsa_system_sgpr_private_segment_wavefront_offset 0
		.amdhsa_system_sgpr_workgroup_id_x 1
		.amdhsa_system_sgpr_workgroup_id_y 1
		.amdhsa_system_sgpr_workgroup_id_z 1
		.amdhsa_system_sgpr_workgroup_info 0
		.amdhsa_system_vgpr_workitem_id 1
		.amdhsa_next_free_vgpr 52
		.amdhsa_next_free_sgpr 61
		.amdhsa_reserve_vcc 1
		.amdhsa_reserve_flat_scratch 0
		.amdhsa_float_round_mode_32 0
		.amdhsa_float_round_mode_16_64 0
		.amdhsa_float_denorm_mode_32 3
		.amdhsa_float_denorm_mode_16_64 3
		.amdhsa_dx10_clamp 1
		.amdhsa_ieee_mode 1
		.amdhsa_fp16_overflow 0
		.amdhsa_exception_fp_ieee_invalid_op 0
		.amdhsa_exception_fp_denorm_src 0
		.amdhsa_exception_fp_ieee_div_zero 0
		.amdhsa_exception_fp_ieee_overflow 0
		.amdhsa_exception_fp_ieee_underflow 0
		.amdhsa_exception_fp_ieee_inexact 0
		.amdhsa_exception_int_div_zero 0
	.end_amdhsa_kernel
	.section	.text._ZL37rocblas_syrkx_herkx_restricted_kernelIl19rocblas_complex_numIdELi16ELi32ELi8ELin1ELi0ELb1ELc84ELc85EKS1_S1_EviT_PT9_S3_lS5_S3_lPT10_S3_li,"axG",@progbits,_ZL37rocblas_syrkx_herkx_restricted_kernelIl19rocblas_complex_numIdELi16ELi32ELi8ELin1ELi0ELb1ELc84ELc85EKS1_S1_EviT_PT9_S3_lS5_S3_lPT10_S3_li,comdat
.Lfunc_end1332:
	.size	_ZL37rocblas_syrkx_herkx_restricted_kernelIl19rocblas_complex_numIdELi16ELi32ELi8ELin1ELi0ELb1ELc84ELc85EKS1_S1_EviT_PT9_S3_lS5_S3_lPT10_S3_li, .Lfunc_end1332-_ZL37rocblas_syrkx_herkx_restricted_kernelIl19rocblas_complex_numIdELi16ELi32ELi8ELin1ELi0ELb1ELc84ELc85EKS1_S1_EviT_PT9_S3_lS5_S3_lPT10_S3_li
                                        ; -- End function
	.set _ZL37rocblas_syrkx_herkx_restricted_kernelIl19rocblas_complex_numIdELi16ELi32ELi8ELin1ELi0ELb1ELc84ELc85EKS1_S1_EviT_PT9_S3_lS5_S3_lPT10_S3_li.num_vgpr, 52
	.set _ZL37rocblas_syrkx_herkx_restricted_kernelIl19rocblas_complex_numIdELi16ELi32ELi8ELin1ELi0ELb1ELc84ELc85EKS1_S1_EviT_PT9_S3_lS5_S3_lPT10_S3_li.num_agpr, 0
	.set _ZL37rocblas_syrkx_herkx_restricted_kernelIl19rocblas_complex_numIdELi16ELi32ELi8ELin1ELi0ELb1ELc84ELc85EKS1_S1_EviT_PT9_S3_lS5_S3_lPT10_S3_li.numbered_sgpr, 28
	.set _ZL37rocblas_syrkx_herkx_restricted_kernelIl19rocblas_complex_numIdELi16ELi32ELi8ELin1ELi0ELb1ELc84ELc85EKS1_S1_EviT_PT9_S3_lS5_S3_lPT10_S3_li.num_named_barrier, 0
	.set _ZL37rocblas_syrkx_herkx_restricted_kernelIl19rocblas_complex_numIdELi16ELi32ELi8ELin1ELi0ELb1ELc84ELc85EKS1_S1_EviT_PT9_S3_lS5_S3_lPT10_S3_li.private_seg_size, 0
	.set _ZL37rocblas_syrkx_herkx_restricted_kernelIl19rocblas_complex_numIdELi16ELi32ELi8ELin1ELi0ELb1ELc84ELc85EKS1_S1_EviT_PT9_S3_lS5_S3_lPT10_S3_li.uses_vcc, 1
	.set _ZL37rocblas_syrkx_herkx_restricted_kernelIl19rocblas_complex_numIdELi16ELi32ELi8ELin1ELi0ELb1ELc84ELc85EKS1_S1_EviT_PT9_S3_lS5_S3_lPT10_S3_li.uses_flat_scratch, 0
	.set _ZL37rocblas_syrkx_herkx_restricted_kernelIl19rocblas_complex_numIdELi16ELi32ELi8ELin1ELi0ELb1ELc84ELc85EKS1_S1_EviT_PT9_S3_lS5_S3_lPT10_S3_li.has_dyn_sized_stack, 0
	.set _ZL37rocblas_syrkx_herkx_restricted_kernelIl19rocblas_complex_numIdELi16ELi32ELi8ELin1ELi0ELb1ELc84ELc85EKS1_S1_EviT_PT9_S3_lS5_S3_lPT10_S3_li.has_recursion, 0
	.set _ZL37rocblas_syrkx_herkx_restricted_kernelIl19rocblas_complex_numIdELi16ELi32ELi8ELin1ELi0ELb1ELc84ELc85EKS1_S1_EviT_PT9_S3_lS5_S3_lPT10_S3_li.has_indirect_call, 0
	.section	.AMDGPU.csdata,"",@progbits
; Kernel info:
; codeLenInByte = 2972
; TotalNumSgprs: 32
; NumVgprs: 52
; ScratchSize: 0
; MemoryBound: 0
; FloatMode: 240
; IeeeMode: 1
; LDSByteSize: 8192 bytes/workgroup (compile time only)
; SGPRBlocks: 8
; VGPRBlocks: 12
; NumSGPRsForWavesPerEU: 65
; NumVGPRsForWavesPerEU: 52
; Occupancy: 4
; WaveLimiterHint : 1
; COMPUTE_PGM_RSRC2:SCRATCH_EN: 0
; COMPUTE_PGM_RSRC2:USER_SGPR: 6
; COMPUTE_PGM_RSRC2:TRAP_HANDLER: 0
; COMPUTE_PGM_RSRC2:TGID_X_EN: 1
; COMPUTE_PGM_RSRC2:TGID_Y_EN: 1
; COMPUTE_PGM_RSRC2:TGID_Z_EN: 1
; COMPUTE_PGM_RSRC2:TIDIG_COMP_CNT: 1
	.section	.text._ZL37rocblas_syrkx_herkx_restricted_kernelIl19rocblas_complex_numIdELi16ELi32ELi8ELin1ELi0ELb1ELc67ELc85EKS1_S1_EviT_PT9_S3_lS5_S3_lPT10_S3_li,"axG",@progbits,_ZL37rocblas_syrkx_herkx_restricted_kernelIl19rocblas_complex_numIdELi16ELi32ELi8ELin1ELi0ELb1ELc67ELc85EKS1_S1_EviT_PT9_S3_lS5_S3_lPT10_S3_li,comdat
	.globl	_ZL37rocblas_syrkx_herkx_restricted_kernelIl19rocblas_complex_numIdELi16ELi32ELi8ELin1ELi0ELb1ELc67ELc85EKS1_S1_EviT_PT9_S3_lS5_S3_lPT10_S3_li ; -- Begin function _ZL37rocblas_syrkx_herkx_restricted_kernelIl19rocblas_complex_numIdELi16ELi32ELi8ELin1ELi0ELb1ELc67ELc85EKS1_S1_EviT_PT9_S3_lS5_S3_lPT10_S3_li
	.p2align	8
	.type	_ZL37rocblas_syrkx_herkx_restricted_kernelIl19rocblas_complex_numIdELi16ELi32ELi8ELin1ELi0ELb1ELc67ELc85EKS1_S1_EviT_PT9_S3_lS5_S3_lPT10_S3_li,@function
_ZL37rocblas_syrkx_herkx_restricted_kernelIl19rocblas_complex_numIdELi16ELi32ELi8ELin1ELi0ELb1ELc67ELc85EKS1_S1_EviT_PT9_S3_lS5_S3_lPT10_S3_li: ; @_ZL37rocblas_syrkx_herkx_restricted_kernelIl19rocblas_complex_numIdELi16ELi32ELi8ELin1ELi0ELb1ELc67ELc85EKS1_S1_EviT_PT9_S3_lS5_S3_lPT10_S3_li
; %bb.0:
	s_load_dwordx16 s[12:27], s[4:5], 0x8
	s_lshl_b32 s2, s6, 5
	s_lshl_b32 s3, s7, 5
	s_waitcnt lgkmcnt(0)
	v_cmp_lt_i64_e64 s[0:1], s[12:13], 1
	s_and_b64 vcc, exec, s[0:1]
	s_cbranch_vccnz .LBB1333_3
; %bb.1:
	v_lshl_add_u32 v4, v1, 4, v0
	v_lshrrev_b32_e32 v8, 3, v4
	v_add_u32_e32 v5, s3, v8
	v_ashrrev_i32_e32 v6, 31, v5
	v_and_b32_e32 v2, 7, v0
	v_mov_b32_e32 v3, 0
	v_mul_lo_u32 v9, s22, v6
	v_mul_lo_u32 v10, s23, v5
	v_mad_u64_u32 v[6:7], s[0:1], s22, v5, v[2:3]
	v_lshlrev_b32_e32 v2, 4, v2
	v_lshl_or_b32 v2, v8, 7, v2
	v_add3_u32 v7, v10, v7, v9
	v_and_b32_e32 v9, 31, v4
	v_add_u32_e32 v23, 0x1000, v2
	v_mov_b32_e32 v2, 0x1000
	v_add_u32_e32 v8, s2, v9
	v_lshrrev_b32_e32 v4, 5, v4
	v_mov_b32_e32 v5, v3
	v_lshlrev_b32_e32 v3, 4, v9
	v_lshl_add_u32 v25, v1, 7, v2
	v_ashrrev_i32_e32 v2, 31, v8
	v_lshl_or_b32 v22, v4, 9, v3
	v_mul_lo_u32 v9, s16, v2
	v_mad_u64_u32 v[2:3], s[0:1], s16, v8, v[4:5]
	v_mul_lo_u32 v4, s17, v8
	s_mul_i32 s6, s19, s8
	s_mul_hi_u32 s7, s18, s8
	s_add_i32 s1, s7, s6
	s_mul_i32 s0, s18, s8
	s_lshl_b64 s[0:1], s[0:1], 4
	v_add3_u32 v3, v4, v3, v9
	v_lshlrev_b64 v[2:3], 4, v[2:3]
	s_add_u32 s0, s14, s0
	s_addc_u32 s1, s15, s1
	v_mov_b32_e32 v4, s1
	v_add_co_u32_e32 v2, vcc, s0, v2
	s_mul_i32 s0, s25, s8
	s_mul_hi_u32 s1, s24, s8
	v_addc_co_u32_e32 v3, vcc, v4, v3, vcc
	s_add_i32 s1, s1, s0
	s_mul_i32 s0, s24, s8
	v_add_co_u32_e32 v4, vcc, 8, v2
	s_lshl_b64 s[0:1], s[0:1], 4
	v_addc_co_u32_e32 v5, vcc, 0, v3, vcc
	v_lshlrev_b64 v[2:3], 4, v[6:7]
	s_add_u32 s0, s20, s0
	s_addc_u32 s1, s21, s1
	v_mov_b32_e32 v6, s1
	v_add_co_u32_e32 v2, vcc, s0, v2
	v_addc_co_u32_e32 v3, vcc, v6, v3, vcc
	v_add_co_u32_e32 v12, vcc, 8, v2
	v_addc_co_u32_e32 v13, vcc, 0, v3, vcc
	v_mov_b32_e32 v16, 0
	v_mov_b32_e32 v6, 0
	;; [unrolled: 1-line block ×8, first 2 shown]
	v_lshlrev_b32_e32 v24, 4, v0
	v_mov_b32_e32 v17, 0
	v_mov_b32_e32 v7, 0
	;; [unrolled: 1-line block ×8, first 2 shown]
	s_mov_b64 s[0:1], 0
.LBB1333_2:                             ; =>This Inner Loop Header: Depth=1
	global_load_dwordx4 v[26:29], v[4:5], off offset:-8
	s_add_u32 s0, s0, 8
	v_add_co_u32_e32 v4, vcc, 0x80, v4
	s_addc_u32 s1, s1, 0
	v_addc_co_u32_e32 v5, vcc, 0, v5, vcc
	s_waitcnt vmcnt(0)
	v_xor_b32_e32 v29, 0x80000000, v29
	ds_write_b128 v22, v[26:29]
	global_load_dwordx4 v[26:29], v[12:13], off offset:-8
	v_add_co_u32_e32 v12, vcc, 0x80, v12
	v_addc_co_u32_e32 v13, vcc, 0, v13, vcc
	s_waitcnt vmcnt(0)
	ds_write_b128 v23, v[26:29]
	s_waitcnt lgkmcnt(0)
	s_barrier
	ds_read_b128 v[26:29], v25
	ds_read_b128 v[30:33], v25 offset:16
	ds_read_b128 v[34:37], v25 offset:32
	;; [unrolled: 1-line block ×3, first 2 shown]
	ds_read_b128 v[42:45], v24
	s_waitcnt lgkmcnt(0)
	v_mul_f64 v[46:47], v[28:29], v[44:45]
	v_mul_f64 v[48:49], v[26:27], v[44:45]
	v_fma_f64 v[46:47], v[26:27], v[42:43], -v[46:47]
	v_fma_f64 v[48:49], v[28:29], v[42:43], v[48:49]
	v_add_f64 v[10:11], v[10:11], v[46:47]
	v_add_f64 v[20:21], v[48:49], v[20:21]
	ds_read_b128 v[46:49], v24 offset:256
	s_waitcnt lgkmcnt(0)
	v_mul_f64 v[50:51], v[28:29], v[48:49]
	v_fma_f64 v[50:51], v[26:27], v[46:47], -v[50:51]
	v_mul_f64 v[26:27], v[26:27], v[48:49]
	v_add_f64 v[2:3], v[2:3], v[50:51]
	v_fma_f64 v[26:27], v[28:29], v[46:47], v[26:27]
	v_add_f64 v[50:51], v[26:27], v[14:15]
	ds_read_b128 v[26:29], v25 offset:2048
	s_waitcnt lgkmcnt(0)
	v_mul_f64 v[14:15], v[28:29], v[44:45]
	v_mul_f64 v[44:45], v[26:27], v[44:45]
	v_fma_f64 v[14:15], v[26:27], v[42:43], -v[14:15]
	v_fma_f64 v[42:43], v[28:29], v[42:43], v[44:45]
	v_add_f64 v[44:45], v[8:9], v[14:15]
	v_mul_f64 v[8:9], v[28:29], v[48:49]
	v_mul_f64 v[14:15], v[26:27], v[48:49]
	v_add_f64 v[42:43], v[42:43], v[18:19]
	v_fma_f64 v[8:9], v[26:27], v[46:47], -v[8:9]
	v_fma_f64 v[14:15], v[28:29], v[46:47], v[14:15]
	v_add_f64 v[26:27], v[6:7], v[8:9]
	ds_read_b128 v[6:9], v24 offset:512
	v_add_f64 v[28:29], v[14:15], v[16:17]
	s_waitcnt lgkmcnt(0)
	v_mul_f64 v[14:15], v[32:33], v[8:9]
	v_mul_f64 v[16:17], v[30:31], v[8:9]
	v_fma_f64 v[14:15], v[30:31], v[6:7], -v[14:15]
	v_fma_f64 v[16:17], v[32:33], v[6:7], v[16:17]
	v_add_f64 v[10:11], v[10:11], v[14:15]
	v_add_f64 v[46:47], v[16:17], v[20:21]
	ds_read_b128 v[14:17], v24 offset:768
	s_waitcnt lgkmcnt(0)
	v_mul_f64 v[18:19], v[32:33], v[16:17]
	v_mul_f64 v[20:21], v[30:31], v[16:17]
	v_fma_f64 v[18:19], v[30:31], v[14:15], -v[18:19]
	v_fma_f64 v[20:21], v[32:33], v[14:15], v[20:21]
	v_add_f64 v[2:3], v[2:3], v[18:19]
	v_add_f64 v[30:31], v[20:21], v[50:51]
	ds_read_b128 v[18:21], v25 offset:2064
	s_waitcnt lgkmcnt(0)
	v_mul_f64 v[32:33], v[20:21], v[8:9]
	v_mul_f64 v[8:9], v[18:19], v[8:9]
	v_fma_f64 v[32:33], v[18:19], v[6:7], -v[32:33]
	v_fma_f64 v[6:7], v[20:21], v[6:7], v[8:9]
	v_mul_f64 v[8:9], v[18:19], v[16:17]
	v_add_f64 v[32:33], v[44:45], v[32:33]
	v_add_f64 v[42:43], v[6:7], v[42:43]
	v_mul_f64 v[6:7], v[20:21], v[16:17]
	v_fma_f64 v[8:9], v[20:21], v[14:15], v[8:9]
	v_fma_f64 v[6:7], v[18:19], v[14:15], -v[6:7]
	v_add_f64 v[28:29], v[8:9], v[28:29]
	v_add_f64 v[26:27], v[26:27], v[6:7]
	ds_read_b128 v[6:9], v24 offset:1024
	s_waitcnt lgkmcnt(0)
	v_mul_f64 v[14:15], v[36:37], v[8:9]
	v_mul_f64 v[16:17], v[34:35], v[8:9]
	v_fma_f64 v[14:15], v[34:35], v[6:7], -v[14:15]
	v_fma_f64 v[16:17], v[36:37], v[6:7], v[16:17]
	v_add_f64 v[10:11], v[10:11], v[14:15]
	v_add_f64 v[44:45], v[16:17], v[46:47]
	ds_read_b128 v[14:17], v24 offset:1280
	s_waitcnt lgkmcnt(0)
	v_mul_f64 v[18:19], v[36:37], v[16:17]
	v_mul_f64 v[20:21], v[34:35], v[16:17]
	v_fma_f64 v[18:19], v[34:35], v[14:15], -v[18:19]
	v_fma_f64 v[20:21], v[36:37], v[14:15], v[20:21]
	v_add_f64 v[2:3], v[2:3], v[18:19]
	v_add_f64 v[30:31], v[20:21], v[30:31]
	ds_read_b128 v[18:21], v25 offset:2080
	s_waitcnt lgkmcnt(0)
	v_mul_f64 v[34:35], v[20:21], v[8:9]
	v_mul_f64 v[8:9], v[18:19], v[8:9]
	v_fma_f64 v[34:35], v[18:19], v[6:7], -v[34:35]
	v_fma_f64 v[6:7], v[20:21], v[6:7], v[8:9]
	v_mul_f64 v[8:9], v[18:19], v[16:17]
	v_add_f64 v[32:33], v[32:33], v[34:35]
	v_add_f64 v[34:35], v[6:7], v[42:43]
	v_mul_f64 v[6:7], v[20:21], v[16:17]
	v_fma_f64 v[8:9], v[20:21], v[14:15], v[8:9]
	v_fma_f64 v[6:7], v[18:19], v[14:15], -v[6:7]
	v_add_f64 v[28:29], v[8:9], v[28:29]
	v_add_f64 v[26:27], v[26:27], v[6:7]
	ds_read_b128 v[6:9], v24 offset:1536
	;; [unrolled: 30-line block ×3, first 2 shown]
	ds_read_b128 v[14:17], v24 offset:2048
	s_waitcnt lgkmcnt(0)
	v_mul_f64 v[18:19], v[8:9], v[16:17]
	v_mul_f64 v[20:21], v[6:7], v[16:17]
	v_fma_f64 v[18:19], v[6:7], v[14:15], -v[18:19]
	v_fma_f64 v[20:21], v[8:9], v[14:15], v[20:21]
	v_add_f64 v[10:11], v[10:11], v[18:19]
	v_add_f64 v[36:37], v[20:21], v[36:37]
	ds_read_b128 v[18:21], v24 offset:2304
	s_waitcnt lgkmcnt(0)
	v_mul_f64 v[38:39], v[8:9], v[20:21]
	v_fma_f64 v[38:39], v[6:7], v[18:19], -v[38:39]
	v_mul_f64 v[6:7], v[6:7], v[20:21]
	v_add_f64 v[2:3], v[2:3], v[38:39]
	v_fma_f64 v[6:7], v[8:9], v[18:19], v[6:7]
	v_add_f64 v[30:31], v[6:7], v[30:31]
	ds_read_b128 v[6:9], v25 offset:2112
	s_waitcnt lgkmcnt(0)
	v_mul_f64 v[38:39], v[8:9], v[16:17]
	v_mul_f64 v[16:17], v[6:7], v[16:17]
	v_fma_f64 v[38:39], v[6:7], v[14:15], -v[38:39]
	v_fma_f64 v[14:15], v[8:9], v[14:15], v[16:17]
	v_add_f64 v[32:33], v[32:33], v[38:39]
	v_add_f64 v[34:35], v[14:15], v[34:35]
	v_mul_f64 v[14:15], v[8:9], v[20:21]
	v_fma_f64 v[14:15], v[6:7], v[18:19], -v[14:15]
	v_mul_f64 v[6:7], v[6:7], v[20:21]
	v_add_f64 v[26:27], v[26:27], v[14:15]
	v_fma_f64 v[6:7], v[8:9], v[18:19], v[6:7]
	v_add_f64 v[28:29], v[6:7], v[28:29]
	ds_read_b128 v[6:9], v25 offset:80
	ds_read_b128 v[14:17], v24 offset:2560
	s_waitcnt lgkmcnt(0)
	v_mul_f64 v[18:19], v[8:9], v[16:17]
	v_mul_f64 v[20:21], v[6:7], v[16:17]
	v_fma_f64 v[18:19], v[6:7], v[14:15], -v[18:19]
	v_fma_f64 v[20:21], v[8:9], v[14:15], v[20:21]
	v_add_f64 v[10:11], v[10:11], v[18:19]
	v_add_f64 v[36:37], v[20:21], v[36:37]
	ds_read_b128 v[18:21], v24 offset:2816
	s_waitcnt lgkmcnt(0)
	v_mul_f64 v[38:39], v[8:9], v[20:21]
	v_fma_f64 v[38:39], v[6:7], v[18:19], -v[38:39]
	v_mul_f64 v[6:7], v[6:7], v[20:21]
	v_add_f64 v[2:3], v[2:3], v[38:39]
	v_fma_f64 v[6:7], v[8:9], v[18:19], v[6:7]
	v_add_f64 v[30:31], v[6:7], v[30:31]
	ds_read_b128 v[6:9], v25 offset:2128
	s_waitcnt lgkmcnt(0)
	v_mul_f64 v[38:39], v[8:9], v[16:17]
	v_mul_f64 v[16:17], v[6:7], v[16:17]
	v_fma_f64 v[38:39], v[6:7], v[14:15], -v[38:39]
	v_fma_f64 v[14:15], v[8:9], v[14:15], v[16:17]
	v_add_f64 v[32:33], v[32:33], v[38:39]
	v_add_f64 v[34:35], v[14:15], v[34:35]
	v_mul_f64 v[14:15], v[8:9], v[20:21]
	v_fma_f64 v[14:15], v[6:7], v[18:19], -v[14:15]
	v_mul_f64 v[6:7], v[6:7], v[20:21]
	v_add_f64 v[26:27], v[26:27], v[14:15]
	v_fma_f64 v[6:7], v[8:9], v[18:19], v[6:7]
	v_add_f64 v[28:29], v[6:7], v[28:29]
	ds_read_b128 v[6:9], v25 offset:96
	;; [unrolled: 31-line block ×3, first 2 shown]
	ds_read_b128 v[16:19], v24 offset:3584
	ds_read_b128 v[26:29], v24 offset:3840
	s_waitcnt lgkmcnt(1)
	v_mul_f64 v[14:15], v[8:9], v[18:19]
	v_mul_f64 v[20:21], v[6:7], v[18:19]
	v_fma_f64 v[14:15], v[6:7], v[16:17], -v[14:15]
	v_fma_f64 v[20:21], v[8:9], v[16:17], v[20:21]
	v_add_f64 v[10:11], v[10:11], v[14:15]
	s_waitcnt lgkmcnt(0)
	v_mul_f64 v[14:15], v[8:9], v[28:29]
	v_add_f64 v[20:21], v[20:21], v[36:37]
	v_fma_f64 v[14:15], v[6:7], v[26:27], -v[14:15]
	v_mul_f64 v[6:7], v[6:7], v[28:29]
	v_add_f64 v[2:3], v[2:3], v[14:15]
	v_fma_f64 v[6:7], v[8:9], v[26:27], v[6:7]
	v_add_f64 v[14:15], v[6:7], v[30:31]
	ds_read_b128 v[30:33], v25 offset:2160
	s_waitcnt lgkmcnt(0)
	s_barrier
	v_mul_f64 v[6:7], v[32:33], v[18:19]
	v_mul_f64 v[8:9], v[30:31], v[18:19]
	v_fma_f64 v[6:7], v[30:31], v[16:17], -v[6:7]
	v_fma_f64 v[16:17], v[32:33], v[16:17], v[8:9]
	v_add_f64 v[8:9], v[38:39], v[6:7]
	v_add_f64 v[18:19], v[16:17], v[34:35]
	v_mul_f64 v[6:7], v[32:33], v[28:29]
	v_mul_f64 v[16:17], v[30:31], v[28:29]
	v_fma_f64 v[6:7], v[30:31], v[26:27], -v[6:7]
	v_fma_f64 v[16:17], v[32:33], v[26:27], v[16:17]
	v_mov_b32_e32 v27, s1
	v_mov_b32_e32 v26, s0
	v_cmp_le_u64_e32 vcc, s[12:13], v[26:27]
	v_add_f64 v[6:7], v[40:41], v[6:7]
	v_add_f64 v[16:17], v[16:17], v[42:43]
	s_cbranch_vccz .LBB1333_2
	s_branch .LBB1333_4
.LBB1333_3:
	v_mov_b32_e32 v10, 0
	v_mov_b32_e32 v20, 0
	v_mov_b32_e32 v2, 0
	v_mov_b32_e32 v14, 0
	v_mov_b32_e32 v8, 0
	v_mov_b32_e32 v18, 0
	v_mov_b32_e32 v6, 0
	v_mov_b32_e32 v16, 0
	v_mov_b32_e32 v11, 0
	v_mov_b32_e32 v21, 0
	v_mov_b32_e32 v3, 0
	v_mov_b32_e32 v15, 0
	v_mov_b32_e32 v9, 0
	v_mov_b32_e32 v19, 0
	v_mov_b32_e32 v7, 0
	v_mov_b32_e32 v17, 0
.LBB1333_4:
	s_load_dwordx4 s[12:15], s[4:5], 0x48
	s_load_dword s6, s[4:5], 0x0
	v_add_u32_e32 v22, s3, v1
	v_ashrrev_i32_e32 v1, 31, v22
	v_add_u32_e32 v0, s2, v0
	s_waitcnt lgkmcnt(0)
	s_mul_i32 s1, s15, s8
	s_mul_hi_u32 s3, s14, s8
	s_mul_i32 s0, s14, s8
	v_mul_lo_u32 v1, s12, v1
	v_mul_lo_u32 v12, s13, v22
	v_mad_u64_u32 v[4:5], s[8:9], s12, v22, 0
	s_add_i32 s1, s3, s1
	s_lshl_b64 s[0:1], s[0:1], 4
	v_add3_u32 v5, v5, v1, v12
	s_add_u32 s4, s26, s0
	v_lshlrev_b64 v[4:5], 4, v[4:5]
	s_addc_u32 s5, s27, s1
	v_mov_b32_e32 v1, s5
	v_add_co_u32_e64 v4, s[0:1], s4, v4
	v_addc_co_u32_e64 v5, s[0:1], v1, v5, s[0:1]
	v_cmp_gt_i32_e32 vcc, s6, v22
	v_cmp_le_i32_e64 s[0:1], v0, v22
	s_and_b64 s[0:1], vcc, s[0:1]
	s_and_saveexec_b64 s[2:3], s[0:1]
	s_cbranch_execz .LBB1333_6
; %bb.5:
	v_ashrrev_i32_e32 v1, 31, v0
	v_lshlrev_b64 v[12:13], 4, v[0:1]
	v_xor_b32_e32 v11, 0x80000000, v11
	v_add_co_u32_e64 v23, s[0:1], v4, v12
	v_addc_co_u32_e64 v24, s[0:1], v5, v13, s[0:1]
	v_cmp_ne_u32_e64 s[0:1], v22, v0
	v_cndmask_b32_e64 v13, 0, -v21, s[0:1]
	v_cndmask_b32_e64 v12, 0, v20, s[0:1]
	global_store_dwordx4 v[23:24], v[10:13], off
.LBB1333_6:
	s_or_b64 exec, exec, s[2:3]
	v_add_u32_e32 v12, 16, v0
	v_cmp_le_i32_e64 s[0:1], v12, v22
	s_and_b64 s[2:3], vcc, s[0:1]
	s_and_saveexec_b64 s[0:1], s[2:3]
	s_cbranch_execz .LBB1333_8
; %bb.7:
	v_ashrrev_i32_e32 v13, 31, v12
	v_lshlrev_b64 v[10:11], 4, v[12:13]
	v_xor_b32_e32 v3, 0x80000000, v3
	v_add_co_u32_e32 v10, vcc, v4, v10
	v_addc_co_u32_e32 v11, vcc, v5, v11, vcc
	v_cmp_ne_u32_e32 vcc, v22, v12
	v_cndmask_b32_e64 v5, 0, -v15, vcc
	v_cndmask_b32_e32 v4, 0, v14, vcc
	global_store_dwordx4 v[10:11], v[2:5], off
.LBB1333_8:
	s_or_b64 exec, exec, s[0:1]
	v_add_u32_e32 v2, 16, v22
	v_ashrrev_i32_e32 v1, 31, v2
	v_mul_lo_u32 v1, s12, v1
	v_mul_lo_u32 v5, s13, v2
	v_mad_u64_u32 v[3:4], s[0:1], s12, v2, 0
	v_cmp_gt_i32_e32 vcc, s6, v2
	v_add3_u32 v4, v4, v1, v5
	v_lshlrev_b64 v[3:4], 4, v[3:4]
	v_mov_b32_e32 v1, s5
	v_add_co_u32_e64 v3, s[0:1], s4, v3
	v_addc_co_u32_e64 v4, s[0:1], v1, v4, s[0:1]
	v_cmp_le_i32_e64 s[0:1], v0, v2
	s_and_b64 s[0:1], vcc, s[0:1]
	s_and_saveexec_b64 s[2:3], s[0:1]
	s_cbranch_execz .LBB1333_10
; %bb.9:
	v_ashrrev_i32_e32 v1, 31, v0
	v_lshlrev_b64 v[10:11], 4, v[0:1]
	v_xor_b32_e32 v9, 0x80000000, v9
	v_add_co_u32_e64 v13, s[0:1], v3, v10
	v_addc_co_u32_e64 v14, s[0:1], v4, v11, s[0:1]
	v_cmp_ne_u32_e64 s[0:1], v2, v0
	v_cndmask_b32_e64 v11, 0, -v19, s[0:1]
	v_cndmask_b32_e64 v10, 0, v18, s[0:1]
	global_store_dwordx4 v[13:14], v[8:11], off
.LBB1333_10:
	s_or_b64 exec, exec, s[2:3]
	v_cmp_le_i32_e64 s[0:1], v12, v2
	s_and_b64 s[0:1], vcc, s[0:1]
	s_and_saveexec_b64 s[2:3], s[0:1]
	s_cbranch_execz .LBB1333_12
; %bb.11:
	v_ashrrev_i32_e32 v13, 31, v12
	v_lshlrev_b64 v[1:2], 4, v[12:13]
	v_xor_b32_e32 v7, 0x80000000, v7
	v_add_co_u32_e32 v1, vcc, v3, v1
	v_addc_co_u32_e32 v2, vcc, v4, v2, vcc
	v_cmp_ne_u32_e32 vcc, v22, v0
	v_cndmask_b32_e64 v9, 0, -v17, vcc
	v_cndmask_b32_e32 v8, 0, v16, vcc
	global_store_dwordx4 v[1:2], v[6:9], off
.LBB1333_12:
	s_endpgm
	.section	.rodata,"a",@progbits
	.p2align	6, 0x0
	.amdhsa_kernel _ZL37rocblas_syrkx_herkx_restricted_kernelIl19rocblas_complex_numIdELi16ELi32ELi8ELin1ELi0ELb1ELc67ELc85EKS1_S1_EviT_PT9_S3_lS5_S3_lPT10_S3_li
		.amdhsa_group_segment_fixed_size 8192
		.amdhsa_private_segment_fixed_size 0
		.amdhsa_kernarg_size 92
		.amdhsa_user_sgpr_count 6
		.amdhsa_user_sgpr_private_segment_buffer 1
		.amdhsa_user_sgpr_dispatch_ptr 0
		.amdhsa_user_sgpr_queue_ptr 0
		.amdhsa_user_sgpr_kernarg_segment_ptr 1
		.amdhsa_user_sgpr_dispatch_id 0
		.amdhsa_user_sgpr_flat_scratch_init 0
		.amdhsa_user_sgpr_private_segment_size 0
		.amdhsa_uses_dynamic_stack 0
		.amdhsa_system_sgpr_private_segment_wavefront_offset 0
		.amdhsa_system_sgpr_workgroup_id_x 1
		.amdhsa_system_sgpr_workgroup_id_y 1
		.amdhsa_system_sgpr_workgroup_id_z 1
		.amdhsa_system_sgpr_workgroup_info 0
		.amdhsa_system_vgpr_workitem_id 1
		.amdhsa_next_free_vgpr 52
		.amdhsa_next_free_sgpr 61
		.amdhsa_reserve_vcc 1
		.amdhsa_reserve_flat_scratch 0
		.amdhsa_float_round_mode_32 0
		.amdhsa_float_round_mode_16_64 0
		.amdhsa_float_denorm_mode_32 3
		.amdhsa_float_denorm_mode_16_64 3
		.amdhsa_dx10_clamp 1
		.amdhsa_ieee_mode 1
		.amdhsa_fp16_overflow 0
		.amdhsa_exception_fp_ieee_invalid_op 0
		.amdhsa_exception_fp_denorm_src 0
		.amdhsa_exception_fp_ieee_div_zero 0
		.amdhsa_exception_fp_ieee_overflow 0
		.amdhsa_exception_fp_ieee_underflow 0
		.amdhsa_exception_fp_ieee_inexact 0
		.amdhsa_exception_int_div_zero 0
	.end_amdhsa_kernel
	.section	.text._ZL37rocblas_syrkx_herkx_restricted_kernelIl19rocblas_complex_numIdELi16ELi32ELi8ELin1ELi0ELb1ELc67ELc85EKS1_S1_EviT_PT9_S3_lS5_S3_lPT10_S3_li,"axG",@progbits,_ZL37rocblas_syrkx_herkx_restricted_kernelIl19rocblas_complex_numIdELi16ELi32ELi8ELin1ELi0ELb1ELc67ELc85EKS1_S1_EviT_PT9_S3_lS5_S3_lPT10_S3_li,comdat
.Lfunc_end1333:
	.size	_ZL37rocblas_syrkx_herkx_restricted_kernelIl19rocblas_complex_numIdELi16ELi32ELi8ELin1ELi0ELb1ELc67ELc85EKS1_S1_EviT_PT9_S3_lS5_S3_lPT10_S3_li, .Lfunc_end1333-_ZL37rocblas_syrkx_herkx_restricted_kernelIl19rocblas_complex_numIdELi16ELi32ELi8ELin1ELi0ELb1ELc67ELc85EKS1_S1_EviT_PT9_S3_lS5_S3_lPT10_S3_li
                                        ; -- End function
	.set _ZL37rocblas_syrkx_herkx_restricted_kernelIl19rocblas_complex_numIdELi16ELi32ELi8ELin1ELi0ELb1ELc67ELc85EKS1_S1_EviT_PT9_S3_lS5_S3_lPT10_S3_li.num_vgpr, 52
	.set _ZL37rocblas_syrkx_herkx_restricted_kernelIl19rocblas_complex_numIdELi16ELi32ELi8ELin1ELi0ELb1ELc67ELc85EKS1_S1_EviT_PT9_S3_lS5_S3_lPT10_S3_li.num_agpr, 0
	.set _ZL37rocblas_syrkx_herkx_restricted_kernelIl19rocblas_complex_numIdELi16ELi32ELi8ELin1ELi0ELb1ELc67ELc85EKS1_S1_EviT_PT9_S3_lS5_S3_lPT10_S3_li.numbered_sgpr, 28
	.set _ZL37rocblas_syrkx_herkx_restricted_kernelIl19rocblas_complex_numIdELi16ELi32ELi8ELin1ELi0ELb1ELc67ELc85EKS1_S1_EviT_PT9_S3_lS5_S3_lPT10_S3_li.num_named_barrier, 0
	.set _ZL37rocblas_syrkx_herkx_restricted_kernelIl19rocblas_complex_numIdELi16ELi32ELi8ELin1ELi0ELb1ELc67ELc85EKS1_S1_EviT_PT9_S3_lS5_S3_lPT10_S3_li.private_seg_size, 0
	.set _ZL37rocblas_syrkx_herkx_restricted_kernelIl19rocblas_complex_numIdELi16ELi32ELi8ELin1ELi0ELb1ELc67ELc85EKS1_S1_EviT_PT9_S3_lS5_S3_lPT10_S3_li.uses_vcc, 1
	.set _ZL37rocblas_syrkx_herkx_restricted_kernelIl19rocblas_complex_numIdELi16ELi32ELi8ELin1ELi0ELb1ELc67ELc85EKS1_S1_EviT_PT9_S3_lS5_S3_lPT10_S3_li.uses_flat_scratch, 0
	.set _ZL37rocblas_syrkx_herkx_restricted_kernelIl19rocblas_complex_numIdELi16ELi32ELi8ELin1ELi0ELb1ELc67ELc85EKS1_S1_EviT_PT9_S3_lS5_S3_lPT10_S3_li.has_dyn_sized_stack, 0
	.set _ZL37rocblas_syrkx_herkx_restricted_kernelIl19rocblas_complex_numIdELi16ELi32ELi8ELin1ELi0ELb1ELc67ELc85EKS1_S1_EviT_PT9_S3_lS5_S3_lPT10_S3_li.has_recursion, 0
	.set _ZL37rocblas_syrkx_herkx_restricted_kernelIl19rocblas_complex_numIdELi16ELi32ELi8ELin1ELi0ELb1ELc67ELc85EKS1_S1_EviT_PT9_S3_lS5_S3_lPT10_S3_li.has_indirect_call, 0
	.section	.AMDGPU.csdata,"",@progbits
; Kernel info:
; codeLenInByte = 2980
; TotalNumSgprs: 32
; NumVgprs: 52
; ScratchSize: 0
; MemoryBound: 0
; FloatMode: 240
; IeeeMode: 1
; LDSByteSize: 8192 bytes/workgroup (compile time only)
; SGPRBlocks: 8
; VGPRBlocks: 12
; NumSGPRsForWavesPerEU: 65
; NumVGPRsForWavesPerEU: 52
; Occupancy: 4
; WaveLimiterHint : 1
; COMPUTE_PGM_RSRC2:SCRATCH_EN: 0
; COMPUTE_PGM_RSRC2:USER_SGPR: 6
; COMPUTE_PGM_RSRC2:TRAP_HANDLER: 0
; COMPUTE_PGM_RSRC2:TGID_X_EN: 1
; COMPUTE_PGM_RSRC2:TGID_Y_EN: 1
; COMPUTE_PGM_RSRC2:TGID_Z_EN: 1
; COMPUTE_PGM_RSRC2:TIDIG_COMP_CNT: 1
	.section	.text._ZL37rocblas_syrkx_herkx_restricted_kernelIl19rocblas_complex_numIdELi16ELi32ELi8ELin1ELi0ELb1ELc78ELc85EKS1_S1_EviT_PT9_S3_lS5_S3_lPT10_S3_li,"axG",@progbits,_ZL37rocblas_syrkx_herkx_restricted_kernelIl19rocblas_complex_numIdELi16ELi32ELi8ELin1ELi0ELb1ELc78ELc85EKS1_S1_EviT_PT9_S3_lS5_S3_lPT10_S3_li,comdat
	.globl	_ZL37rocblas_syrkx_herkx_restricted_kernelIl19rocblas_complex_numIdELi16ELi32ELi8ELin1ELi0ELb1ELc78ELc85EKS1_S1_EviT_PT9_S3_lS5_S3_lPT10_S3_li ; -- Begin function _ZL37rocblas_syrkx_herkx_restricted_kernelIl19rocblas_complex_numIdELi16ELi32ELi8ELin1ELi0ELb1ELc78ELc85EKS1_S1_EviT_PT9_S3_lS5_S3_lPT10_S3_li
	.p2align	8
	.type	_ZL37rocblas_syrkx_herkx_restricted_kernelIl19rocblas_complex_numIdELi16ELi32ELi8ELin1ELi0ELb1ELc78ELc85EKS1_S1_EviT_PT9_S3_lS5_S3_lPT10_S3_li,@function
_ZL37rocblas_syrkx_herkx_restricted_kernelIl19rocblas_complex_numIdELi16ELi32ELi8ELin1ELi0ELb1ELc78ELc85EKS1_S1_EviT_PT9_S3_lS5_S3_lPT10_S3_li: ; @_ZL37rocblas_syrkx_herkx_restricted_kernelIl19rocblas_complex_numIdELi16ELi32ELi8ELin1ELi0ELb1ELc78ELc85EKS1_S1_EviT_PT9_S3_lS5_S3_lPT10_S3_li
; %bb.0:
	s_load_dwordx16 s[12:27], s[4:5], 0x8
	s_lshl_b32 s9, s6, 5
	s_lshl_b32 s10, s7, 5
	s_waitcnt lgkmcnt(0)
	v_cmp_lt_i64_e64 s[0:1], s[12:13], 1
	s_and_b64 vcc, exec, s[0:1]
	s_cbranch_vccnz .LBB1334_3
; %bb.1:
	v_lshl_add_u32 v6, v1, 4, v0
	v_lshrrev_b32_e32 v7, 3, v6
	v_add_u32_e32 v2, s10, v7
	v_and_b32_e32 v5, 7, v0
	v_ashrrev_i32_e32 v3, 31, v2
	v_mad_u64_u32 v[2:3], s[0:1], s22, v5, v[2:3]
	v_lshrrev_b32_e32 v8, 5, v6
	s_mul_i32 s2, s19, s8
	v_mad_u64_u32 v[3:4], s[0:1], s23, v5, v[3:4]
	v_and_b32_e32 v4, 31, v6
	v_lshlrev_b32_e32 v5, 4, v5
	v_lshlrev_b32_e32 v6, 4, v4
	v_lshl_or_b32 v5, v7, 7, v5
	v_add_u32_e32 v4, s9, v4
	v_add_u32_e32 v23, 0x1000, v5
	v_ashrrev_i32_e32 v5, 31, v4
	v_mad_u64_u32 v[4:5], s[0:1], s16, v8, v[4:5]
	v_lshl_or_b32 v22, v8, 9, v6
	v_mov_b32_e32 v6, 0x1000
	v_lshl_add_u32 v25, v1, 7, v6
	v_mad_u64_u32 v[5:6], s[0:1], s17, v8, v[5:6]
	s_mul_hi_u32 s3, s18, s8
	s_add_i32 s1, s3, s2
	s_mul_i32 s0, s18, s8
	s_lshl_b64 s[0:1], s[0:1], 4
	v_lshlrev_b64 v[4:5], 4, v[4:5]
	s_add_u32 s0, s14, s0
	s_addc_u32 s1, s15, s1
	s_mul_i32 s2, s25, s8
	s_mul_hi_u32 s3, s24, s8
	v_mov_b32_e32 v6, s1
	v_add_co_u32_e32 v4, vcc, s0, v4
	s_add_i32 s3, s3, s2
	s_mul_i32 s2, s24, s8
	v_addc_co_u32_e32 v5, vcc, v6, v5, vcc
	s_lshl_b64 s[0:1], s[16:17], 7
	s_lshl_b64 s[2:3], s[2:3], 4
	v_add_co_u32_e32 v4, vcc, 8, v4
	v_lshlrev_b64 v[2:3], 4, v[2:3]
	s_add_u32 s2, s20, s2
	v_addc_co_u32_e32 v5, vcc, 0, v5, vcc
	s_addc_u32 s3, s21, s3
	v_mov_b32_e32 v6, s3
	v_add_co_u32_e32 v2, vcc, s2, v2
	v_addc_co_u32_e32 v3, vcc, v6, v3, vcc
	v_add_co_u32_e32 v12, vcc, 8, v2
	v_addc_co_u32_e32 v13, vcc, 0, v3, vcc
	s_lshl_b64 s[2:3], s[22:23], 7
	v_mov_b32_e32 v16, 0
	v_mov_b32_e32 v6, 0
	;; [unrolled: 1-line block ×8, first 2 shown]
	v_lshlrev_b32_e32 v24, 4, v0
	v_mov_b32_e32 v17, 0
	s_mov_b64 s[6:7], 0
	v_mov_b32_e32 v26, s1
	v_mov_b32_e32 v7, 0
	;; [unrolled: 1-line block ×9, first 2 shown]
.LBB1334_2:                             ; =>This Inner Loop Header: Depth=1
	global_load_dwordx4 v[28:31], v[4:5], off offset:-8
	s_add_u32 s6, s6, 8
	v_add_co_u32_e32 v4, vcc, s0, v4
	s_addc_u32 s7, s7, 0
	v_addc_co_u32_e32 v5, vcc, v5, v26, vcc
	s_waitcnt vmcnt(0)
	ds_write_b128 v22, v[28:31]
	global_load_dwordx4 v[28:31], v[12:13], off offset:-8
	v_add_co_u32_e32 v12, vcc, s2, v12
	v_addc_co_u32_e32 v13, vcc, v13, v27, vcc
	s_waitcnt vmcnt(0)
	v_xor_b32_e32 v31, 0x80000000, v31
	ds_write_b128 v23, v[28:31]
	s_waitcnt lgkmcnt(0)
	s_barrier
	ds_read_b128 v[28:31], v25
	ds_read_b128 v[32:35], v25 offset:16
	ds_read_b128 v[36:39], v25 offset:32
	;; [unrolled: 1-line block ×3, first 2 shown]
	ds_read_b128 v[44:47], v24
	s_waitcnt lgkmcnt(0)
	v_mul_f64 v[48:49], v[30:31], v[46:47]
	v_mul_f64 v[50:51], v[28:29], v[46:47]
	v_fma_f64 v[48:49], v[28:29], v[44:45], -v[48:49]
	v_fma_f64 v[50:51], v[30:31], v[44:45], v[50:51]
	v_add_f64 v[10:11], v[10:11], v[48:49]
	v_add_f64 v[20:21], v[50:51], v[20:21]
	ds_read_b128 v[48:51], v24 offset:256
	s_waitcnt lgkmcnt(0)
	v_mul_f64 v[52:53], v[30:31], v[50:51]
	v_fma_f64 v[52:53], v[28:29], v[48:49], -v[52:53]
	v_mul_f64 v[28:29], v[28:29], v[50:51]
	v_add_f64 v[2:3], v[2:3], v[52:53]
	v_fma_f64 v[28:29], v[30:31], v[48:49], v[28:29]
	v_add_f64 v[52:53], v[28:29], v[14:15]
	ds_read_b128 v[28:31], v25 offset:2048
	s_waitcnt lgkmcnt(0)
	v_mul_f64 v[14:15], v[30:31], v[46:47]
	v_mul_f64 v[46:47], v[28:29], v[46:47]
	v_fma_f64 v[14:15], v[28:29], v[44:45], -v[14:15]
	v_fma_f64 v[44:45], v[30:31], v[44:45], v[46:47]
	v_add_f64 v[46:47], v[8:9], v[14:15]
	v_mul_f64 v[8:9], v[30:31], v[50:51]
	v_mul_f64 v[14:15], v[28:29], v[50:51]
	v_add_f64 v[44:45], v[44:45], v[18:19]
	v_fma_f64 v[8:9], v[28:29], v[48:49], -v[8:9]
	v_fma_f64 v[14:15], v[30:31], v[48:49], v[14:15]
	v_add_f64 v[28:29], v[6:7], v[8:9]
	ds_read_b128 v[6:9], v24 offset:512
	v_add_f64 v[30:31], v[14:15], v[16:17]
	s_waitcnt lgkmcnt(0)
	v_mul_f64 v[14:15], v[34:35], v[8:9]
	v_mul_f64 v[16:17], v[32:33], v[8:9]
	v_fma_f64 v[14:15], v[32:33], v[6:7], -v[14:15]
	v_fma_f64 v[16:17], v[34:35], v[6:7], v[16:17]
	v_add_f64 v[10:11], v[10:11], v[14:15]
	v_add_f64 v[48:49], v[16:17], v[20:21]
	ds_read_b128 v[14:17], v24 offset:768
	s_waitcnt lgkmcnt(0)
	v_mul_f64 v[18:19], v[34:35], v[16:17]
	v_mul_f64 v[20:21], v[32:33], v[16:17]
	v_fma_f64 v[18:19], v[32:33], v[14:15], -v[18:19]
	v_fma_f64 v[20:21], v[34:35], v[14:15], v[20:21]
	v_add_f64 v[2:3], v[2:3], v[18:19]
	v_add_f64 v[32:33], v[20:21], v[52:53]
	ds_read_b128 v[18:21], v25 offset:2064
	s_waitcnt lgkmcnt(0)
	v_mul_f64 v[34:35], v[20:21], v[8:9]
	v_mul_f64 v[8:9], v[18:19], v[8:9]
	v_fma_f64 v[34:35], v[18:19], v[6:7], -v[34:35]
	v_fma_f64 v[6:7], v[20:21], v[6:7], v[8:9]
	v_mul_f64 v[8:9], v[18:19], v[16:17]
	v_add_f64 v[34:35], v[46:47], v[34:35]
	v_add_f64 v[44:45], v[6:7], v[44:45]
	v_mul_f64 v[6:7], v[20:21], v[16:17]
	v_fma_f64 v[8:9], v[20:21], v[14:15], v[8:9]
	v_fma_f64 v[6:7], v[18:19], v[14:15], -v[6:7]
	v_add_f64 v[30:31], v[8:9], v[30:31]
	v_add_f64 v[28:29], v[28:29], v[6:7]
	ds_read_b128 v[6:9], v24 offset:1024
	s_waitcnt lgkmcnt(0)
	v_mul_f64 v[14:15], v[38:39], v[8:9]
	v_mul_f64 v[16:17], v[36:37], v[8:9]
	v_fma_f64 v[14:15], v[36:37], v[6:7], -v[14:15]
	v_fma_f64 v[16:17], v[38:39], v[6:7], v[16:17]
	v_add_f64 v[10:11], v[10:11], v[14:15]
	v_add_f64 v[46:47], v[16:17], v[48:49]
	ds_read_b128 v[14:17], v24 offset:1280
	s_waitcnt lgkmcnt(0)
	v_mul_f64 v[18:19], v[38:39], v[16:17]
	v_mul_f64 v[20:21], v[36:37], v[16:17]
	v_fma_f64 v[18:19], v[36:37], v[14:15], -v[18:19]
	v_fma_f64 v[20:21], v[38:39], v[14:15], v[20:21]
	v_add_f64 v[2:3], v[2:3], v[18:19]
	v_add_f64 v[32:33], v[20:21], v[32:33]
	ds_read_b128 v[18:21], v25 offset:2080
	s_waitcnt lgkmcnt(0)
	v_mul_f64 v[36:37], v[20:21], v[8:9]
	v_mul_f64 v[8:9], v[18:19], v[8:9]
	v_fma_f64 v[36:37], v[18:19], v[6:7], -v[36:37]
	v_fma_f64 v[6:7], v[20:21], v[6:7], v[8:9]
	v_mul_f64 v[8:9], v[18:19], v[16:17]
	v_add_f64 v[34:35], v[34:35], v[36:37]
	v_add_f64 v[36:37], v[6:7], v[44:45]
	v_mul_f64 v[6:7], v[20:21], v[16:17]
	v_fma_f64 v[8:9], v[20:21], v[14:15], v[8:9]
	v_fma_f64 v[6:7], v[18:19], v[14:15], -v[6:7]
	v_add_f64 v[30:31], v[8:9], v[30:31]
	v_add_f64 v[28:29], v[28:29], v[6:7]
	ds_read_b128 v[6:9], v24 offset:1536
	;; [unrolled: 30-line block ×3, first 2 shown]
	ds_read_b128 v[14:17], v24 offset:2048
	s_waitcnt lgkmcnt(0)
	v_mul_f64 v[18:19], v[8:9], v[16:17]
	v_mul_f64 v[20:21], v[6:7], v[16:17]
	v_fma_f64 v[18:19], v[6:7], v[14:15], -v[18:19]
	v_fma_f64 v[20:21], v[8:9], v[14:15], v[20:21]
	v_add_f64 v[10:11], v[10:11], v[18:19]
	v_add_f64 v[38:39], v[20:21], v[38:39]
	ds_read_b128 v[18:21], v24 offset:2304
	s_waitcnt lgkmcnt(0)
	v_mul_f64 v[40:41], v[8:9], v[20:21]
	v_fma_f64 v[40:41], v[6:7], v[18:19], -v[40:41]
	v_mul_f64 v[6:7], v[6:7], v[20:21]
	v_add_f64 v[2:3], v[2:3], v[40:41]
	v_fma_f64 v[6:7], v[8:9], v[18:19], v[6:7]
	v_add_f64 v[32:33], v[6:7], v[32:33]
	ds_read_b128 v[6:9], v25 offset:2112
	s_waitcnt lgkmcnt(0)
	v_mul_f64 v[40:41], v[8:9], v[16:17]
	v_mul_f64 v[16:17], v[6:7], v[16:17]
	v_fma_f64 v[40:41], v[6:7], v[14:15], -v[40:41]
	v_fma_f64 v[14:15], v[8:9], v[14:15], v[16:17]
	v_add_f64 v[34:35], v[34:35], v[40:41]
	v_add_f64 v[36:37], v[14:15], v[36:37]
	v_mul_f64 v[14:15], v[8:9], v[20:21]
	v_fma_f64 v[14:15], v[6:7], v[18:19], -v[14:15]
	v_mul_f64 v[6:7], v[6:7], v[20:21]
	v_add_f64 v[28:29], v[28:29], v[14:15]
	v_fma_f64 v[6:7], v[8:9], v[18:19], v[6:7]
	v_add_f64 v[30:31], v[6:7], v[30:31]
	ds_read_b128 v[6:9], v25 offset:80
	ds_read_b128 v[14:17], v24 offset:2560
	s_waitcnt lgkmcnt(0)
	v_mul_f64 v[18:19], v[8:9], v[16:17]
	v_mul_f64 v[20:21], v[6:7], v[16:17]
	v_fma_f64 v[18:19], v[6:7], v[14:15], -v[18:19]
	v_fma_f64 v[20:21], v[8:9], v[14:15], v[20:21]
	v_add_f64 v[10:11], v[10:11], v[18:19]
	v_add_f64 v[38:39], v[20:21], v[38:39]
	ds_read_b128 v[18:21], v24 offset:2816
	s_waitcnt lgkmcnt(0)
	v_mul_f64 v[40:41], v[8:9], v[20:21]
	v_fma_f64 v[40:41], v[6:7], v[18:19], -v[40:41]
	v_mul_f64 v[6:7], v[6:7], v[20:21]
	v_add_f64 v[2:3], v[2:3], v[40:41]
	v_fma_f64 v[6:7], v[8:9], v[18:19], v[6:7]
	v_add_f64 v[32:33], v[6:7], v[32:33]
	ds_read_b128 v[6:9], v25 offset:2128
	s_waitcnt lgkmcnt(0)
	v_mul_f64 v[40:41], v[8:9], v[16:17]
	v_mul_f64 v[16:17], v[6:7], v[16:17]
	v_fma_f64 v[40:41], v[6:7], v[14:15], -v[40:41]
	v_fma_f64 v[14:15], v[8:9], v[14:15], v[16:17]
	v_add_f64 v[34:35], v[34:35], v[40:41]
	v_add_f64 v[36:37], v[14:15], v[36:37]
	v_mul_f64 v[14:15], v[8:9], v[20:21]
	v_fma_f64 v[14:15], v[6:7], v[18:19], -v[14:15]
	v_mul_f64 v[6:7], v[6:7], v[20:21]
	v_add_f64 v[28:29], v[28:29], v[14:15]
	v_fma_f64 v[6:7], v[8:9], v[18:19], v[6:7]
	v_add_f64 v[30:31], v[6:7], v[30:31]
	ds_read_b128 v[6:9], v25 offset:96
	;; [unrolled: 31-line block ×3, first 2 shown]
	ds_read_b128 v[16:19], v24 offset:3584
	ds_read_b128 v[28:31], v24 offset:3840
	s_waitcnt lgkmcnt(1)
	v_mul_f64 v[14:15], v[8:9], v[18:19]
	v_mul_f64 v[20:21], v[6:7], v[18:19]
	v_fma_f64 v[14:15], v[6:7], v[16:17], -v[14:15]
	v_fma_f64 v[20:21], v[8:9], v[16:17], v[20:21]
	v_add_f64 v[10:11], v[10:11], v[14:15]
	s_waitcnt lgkmcnt(0)
	v_mul_f64 v[14:15], v[8:9], v[30:31]
	v_add_f64 v[20:21], v[20:21], v[38:39]
	v_fma_f64 v[14:15], v[6:7], v[28:29], -v[14:15]
	v_mul_f64 v[6:7], v[6:7], v[30:31]
	v_add_f64 v[2:3], v[2:3], v[14:15]
	v_fma_f64 v[6:7], v[8:9], v[28:29], v[6:7]
	v_add_f64 v[14:15], v[6:7], v[32:33]
	ds_read_b128 v[32:35], v25 offset:2160
	s_waitcnt lgkmcnt(0)
	s_barrier
	v_mul_f64 v[6:7], v[34:35], v[18:19]
	v_mul_f64 v[8:9], v[32:33], v[18:19]
	v_fma_f64 v[6:7], v[32:33], v[16:17], -v[6:7]
	v_fma_f64 v[16:17], v[34:35], v[16:17], v[8:9]
	v_add_f64 v[8:9], v[40:41], v[6:7]
	v_add_f64 v[18:19], v[16:17], v[36:37]
	v_mul_f64 v[6:7], v[34:35], v[30:31]
	v_mul_f64 v[16:17], v[32:33], v[30:31]
	v_fma_f64 v[6:7], v[32:33], v[28:29], -v[6:7]
	v_fma_f64 v[16:17], v[34:35], v[28:29], v[16:17]
	v_mov_b32_e32 v29, s7
	v_mov_b32_e32 v28, s6
	v_cmp_le_u64_e32 vcc, s[12:13], v[28:29]
	v_add_f64 v[6:7], v[42:43], v[6:7]
	v_add_f64 v[16:17], v[16:17], v[44:45]
	s_cbranch_vccz .LBB1334_2
	s_branch .LBB1334_4
.LBB1334_3:
	v_mov_b32_e32 v10, 0
	v_mov_b32_e32 v20, 0
	;; [unrolled: 1-line block ×16, first 2 shown]
.LBB1334_4:
	s_load_dwordx4 s[12:15], s[4:5], 0x48
	s_load_dword s6, s[4:5], 0x0
	v_add_u32_e32 v22, s10, v1
	v_ashrrev_i32_e32 v1, 31, v22
	v_add_u32_e32 v0, s9, v0
	s_waitcnt lgkmcnt(0)
	s_mul_i32 s1, s15, s8
	s_mul_hi_u32 s2, s14, s8
	s_add_i32 s1, s2, s1
	v_mul_lo_u32 v1, s12, v1
	v_mul_lo_u32 v12, s13, v22
	v_mad_u64_u32 v[4:5], s[2:3], s12, v22, 0
	s_mul_i32 s0, s14, s8
	s_lshl_b64 s[0:1], s[0:1], 4
	v_add3_u32 v5, v5, v1, v12
	s_add_u32 s4, s26, s0
	v_lshlrev_b64 v[4:5], 4, v[4:5]
	s_addc_u32 s5, s27, s1
	v_mov_b32_e32 v1, s5
	v_add_co_u32_e64 v4, s[0:1], s4, v4
	v_addc_co_u32_e64 v5, s[0:1], v1, v5, s[0:1]
	v_cmp_gt_i32_e32 vcc, s6, v22
	v_cmp_le_i32_e64 s[0:1], v0, v22
	s_and_b64 s[0:1], vcc, s[0:1]
	s_and_saveexec_b64 s[2:3], s[0:1]
	s_cbranch_execz .LBB1334_6
; %bb.5:
	v_ashrrev_i32_e32 v1, 31, v0
	v_lshlrev_b64 v[12:13], 4, v[0:1]
	v_xor_b32_e32 v11, 0x80000000, v11
	v_add_co_u32_e64 v23, s[0:1], v4, v12
	v_addc_co_u32_e64 v24, s[0:1], v5, v13, s[0:1]
	v_cmp_ne_u32_e64 s[0:1], v22, v0
	v_cndmask_b32_e64 v13, 0, -v21, s[0:1]
	v_cndmask_b32_e64 v12, 0, v20, s[0:1]
	global_store_dwordx4 v[23:24], v[10:13], off
.LBB1334_6:
	s_or_b64 exec, exec, s[2:3]
	v_add_u32_e32 v12, 16, v0
	v_cmp_le_i32_e64 s[0:1], v12, v22
	s_and_b64 s[2:3], vcc, s[0:1]
	s_and_saveexec_b64 s[0:1], s[2:3]
	s_cbranch_execz .LBB1334_8
; %bb.7:
	v_ashrrev_i32_e32 v13, 31, v12
	v_lshlrev_b64 v[10:11], 4, v[12:13]
	v_xor_b32_e32 v3, 0x80000000, v3
	v_add_co_u32_e32 v10, vcc, v4, v10
	v_addc_co_u32_e32 v11, vcc, v5, v11, vcc
	v_cmp_ne_u32_e32 vcc, v22, v12
	v_cndmask_b32_e64 v5, 0, -v15, vcc
	v_cndmask_b32_e32 v4, 0, v14, vcc
	global_store_dwordx4 v[10:11], v[2:5], off
.LBB1334_8:
	s_or_b64 exec, exec, s[0:1]
	v_add_u32_e32 v2, 16, v22
	v_ashrrev_i32_e32 v1, 31, v2
	v_mul_lo_u32 v1, s12, v1
	v_mul_lo_u32 v5, s13, v2
	v_mad_u64_u32 v[3:4], s[0:1], s12, v2, 0
	v_cmp_gt_i32_e32 vcc, s6, v2
	v_add3_u32 v4, v4, v1, v5
	v_lshlrev_b64 v[3:4], 4, v[3:4]
	v_mov_b32_e32 v1, s5
	v_add_co_u32_e64 v3, s[0:1], s4, v3
	v_addc_co_u32_e64 v4, s[0:1], v1, v4, s[0:1]
	v_cmp_le_i32_e64 s[0:1], v0, v2
	s_and_b64 s[0:1], vcc, s[0:1]
	s_and_saveexec_b64 s[2:3], s[0:1]
	s_cbranch_execz .LBB1334_10
; %bb.9:
	v_ashrrev_i32_e32 v1, 31, v0
	v_lshlrev_b64 v[10:11], 4, v[0:1]
	v_xor_b32_e32 v9, 0x80000000, v9
	v_add_co_u32_e64 v13, s[0:1], v3, v10
	v_addc_co_u32_e64 v14, s[0:1], v4, v11, s[0:1]
	v_cmp_ne_u32_e64 s[0:1], v2, v0
	v_cndmask_b32_e64 v11, 0, -v19, s[0:1]
	v_cndmask_b32_e64 v10, 0, v18, s[0:1]
	global_store_dwordx4 v[13:14], v[8:11], off
.LBB1334_10:
	s_or_b64 exec, exec, s[2:3]
	v_cmp_le_i32_e64 s[0:1], v12, v2
	s_and_b64 s[0:1], vcc, s[0:1]
	s_and_saveexec_b64 s[2:3], s[0:1]
	s_cbranch_execz .LBB1334_12
; %bb.11:
	v_ashrrev_i32_e32 v13, 31, v12
	v_lshlrev_b64 v[1:2], 4, v[12:13]
	v_xor_b32_e32 v7, 0x80000000, v7
	v_add_co_u32_e32 v1, vcc, v3, v1
	v_addc_co_u32_e32 v2, vcc, v4, v2, vcc
	v_cmp_ne_u32_e32 vcc, v22, v0
	v_cndmask_b32_e64 v9, 0, -v17, vcc
	v_cndmask_b32_e32 v8, 0, v16, vcc
	global_store_dwordx4 v[1:2], v[6:9], off
.LBB1334_12:
	s_endpgm
	.section	.rodata,"a",@progbits
	.p2align	6, 0x0
	.amdhsa_kernel _ZL37rocblas_syrkx_herkx_restricted_kernelIl19rocblas_complex_numIdELi16ELi32ELi8ELin1ELi0ELb1ELc78ELc85EKS1_S1_EviT_PT9_S3_lS5_S3_lPT10_S3_li
		.amdhsa_group_segment_fixed_size 8192
		.amdhsa_private_segment_fixed_size 0
		.amdhsa_kernarg_size 92
		.amdhsa_user_sgpr_count 6
		.amdhsa_user_sgpr_private_segment_buffer 1
		.amdhsa_user_sgpr_dispatch_ptr 0
		.amdhsa_user_sgpr_queue_ptr 0
		.amdhsa_user_sgpr_kernarg_segment_ptr 1
		.amdhsa_user_sgpr_dispatch_id 0
		.amdhsa_user_sgpr_flat_scratch_init 0
		.amdhsa_user_sgpr_private_segment_size 0
		.amdhsa_uses_dynamic_stack 0
		.amdhsa_system_sgpr_private_segment_wavefront_offset 0
		.amdhsa_system_sgpr_workgroup_id_x 1
		.amdhsa_system_sgpr_workgroup_id_y 1
		.amdhsa_system_sgpr_workgroup_id_z 1
		.amdhsa_system_sgpr_workgroup_info 0
		.amdhsa_system_vgpr_workitem_id 1
		.amdhsa_next_free_vgpr 54
		.amdhsa_next_free_sgpr 61
		.amdhsa_reserve_vcc 1
		.amdhsa_reserve_flat_scratch 0
		.amdhsa_float_round_mode_32 0
		.amdhsa_float_round_mode_16_64 0
		.amdhsa_float_denorm_mode_32 3
		.amdhsa_float_denorm_mode_16_64 3
		.amdhsa_dx10_clamp 1
		.amdhsa_ieee_mode 1
		.amdhsa_fp16_overflow 0
		.amdhsa_exception_fp_ieee_invalid_op 0
		.amdhsa_exception_fp_denorm_src 0
		.amdhsa_exception_fp_ieee_div_zero 0
		.amdhsa_exception_fp_ieee_overflow 0
		.amdhsa_exception_fp_ieee_underflow 0
		.amdhsa_exception_fp_ieee_inexact 0
		.amdhsa_exception_int_div_zero 0
	.end_amdhsa_kernel
	.section	.text._ZL37rocblas_syrkx_herkx_restricted_kernelIl19rocblas_complex_numIdELi16ELi32ELi8ELin1ELi0ELb1ELc78ELc85EKS1_S1_EviT_PT9_S3_lS5_S3_lPT10_S3_li,"axG",@progbits,_ZL37rocblas_syrkx_herkx_restricted_kernelIl19rocblas_complex_numIdELi16ELi32ELi8ELin1ELi0ELb1ELc78ELc85EKS1_S1_EviT_PT9_S3_lS5_S3_lPT10_S3_li,comdat
.Lfunc_end1334:
	.size	_ZL37rocblas_syrkx_herkx_restricted_kernelIl19rocblas_complex_numIdELi16ELi32ELi8ELin1ELi0ELb1ELc78ELc85EKS1_S1_EviT_PT9_S3_lS5_S3_lPT10_S3_li, .Lfunc_end1334-_ZL37rocblas_syrkx_herkx_restricted_kernelIl19rocblas_complex_numIdELi16ELi32ELi8ELin1ELi0ELb1ELc78ELc85EKS1_S1_EviT_PT9_S3_lS5_S3_lPT10_S3_li
                                        ; -- End function
	.set _ZL37rocblas_syrkx_herkx_restricted_kernelIl19rocblas_complex_numIdELi16ELi32ELi8ELin1ELi0ELb1ELc78ELc85EKS1_S1_EviT_PT9_S3_lS5_S3_lPT10_S3_li.num_vgpr, 54
	.set _ZL37rocblas_syrkx_herkx_restricted_kernelIl19rocblas_complex_numIdELi16ELi32ELi8ELin1ELi0ELb1ELc78ELc85EKS1_S1_EviT_PT9_S3_lS5_S3_lPT10_S3_li.num_agpr, 0
	.set _ZL37rocblas_syrkx_herkx_restricted_kernelIl19rocblas_complex_numIdELi16ELi32ELi8ELin1ELi0ELb1ELc78ELc85EKS1_S1_EviT_PT9_S3_lS5_S3_lPT10_S3_li.numbered_sgpr, 28
	.set _ZL37rocblas_syrkx_herkx_restricted_kernelIl19rocblas_complex_numIdELi16ELi32ELi8ELin1ELi0ELb1ELc78ELc85EKS1_S1_EviT_PT9_S3_lS5_S3_lPT10_S3_li.num_named_barrier, 0
	.set _ZL37rocblas_syrkx_herkx_restricted_kernelIl19rocblas_complex_numIdELi16ELi32ELi8ELin1ELi0ELb1ELc78ELc85EKS1_S1_EviT_PT9_S3_lS5_S3_lPT10_S3_li.private_seg_size, 0
	.set _ZL37rocblas_syrkx_herkx_restricted_kernelIl19rocblas_complex_numIdELi16ELi32ELi8ELin1ELi0ELb1ELc78ELc85EKS1_S1_EviT_PT9_S3_lS5_S3_lPT10_S3_li.uses_vcc, 1
	.set _ZL37rocblas_syrkx_herkx_restricted_kernelIl19rocblas_complex_numIdELi16ELi32ELi8ELin1ELi0ELb1ELc78ELc85EKS1_S1_EviT_PT9_S3_lS5_S3_lPT10_S3_li.uses_flat_scratch, 0
	.set _ZL37rocblas_syrkx_herkx_restricted_kernelIl19rocblas_complex_numIdELi16ELi32ELi8ELin1ELi0ELb1ELc78ELc85EKS1_S1_EviT_PT9_S3_lS5_S3_lPT10_S3_li.has_dyn_sized_stack, 0
	.set _ZL37rocblas_syrkx_herkx_restricted_kernelIl19rocblas_complex_numIdELi16ELi32ELi8ELin1ELi0ELb1ELc78ELc85EKS1_S1_EviT_PT9_S3_lS5_S3_lPT10_S3_li.has_recursion, 0
	.set _ZL37rocblas_syrkx_herkx_restricted_kernelIl19rocblas_complex_numIdELi16ELi32ELi8ELin1ELi0ELb1ELc78ELc85EKS1_S1_EviT_PT9_S3_lS5_S3_lPT10_S3_li.has_indirect_call, 0
	.section	.AMDGPU.csdata,"",@progbits
; Kernel info:
; codeLenInByte = 2948
; TotalNumSgprs: 32
; NumVgprs: 54
; ScratchSize: 0
; MemoryBound: 0
; FloatMode: 240
; IeeeMode: 1
; LDSByteSize: 8192 bytes/workgroup (compile time only)
; SGPRBlocks: 8
; VGPRBlocks: 13
; NumSGPRsForWavesPerEU: 65
; NumVGPRsForWavesPerEU: 54
; Occupancy: 4
; WaveLimiterHint : 1
; COMPUTE_PGM_RSRC2:SCRATCH_EN: 0
; COMPUTE_PGM_RSRC2:USER_SGPR: 6
; COMPUTE_PGM_RSRC2:TRAP_HANDLER: 0
; COMPUTE_PGM_RSRC2:TGID_X_EN: 1
; COMPUTE_PGM_RSRC2:TGID_Y_EN: 1
; COMPUTE_PGM_RSRC2:TGID_Z_EN: 1
; COMPUTE_PGM_RSRC2:TIDIG_COMP_CNT: 1
	.section	.text._ZL37rocblas_syrkx_herkx_restricted_kernelIl19rocblas_complex_numIdELi16ELi32ELi8ELb1ELb1ELc84ELc76EKS1_S1_EviT_T0_PT8_S3_lS6_S3_lS4_PT9_S3_li,"axG",@progbits,_ZL37rocblas_syrkx_herkx_restricted_kernelIl19rocblas_complex_numIdELi16ELi32ELi8ELb1ELb1ELc84ELc76EKS1_S1_EviT_T0_PT8_S3_lS6_S3_lS4_PT9_S3_li,comdat
	.globl	_ZL37rocblas_syrkx_herkx_restricted_kernelIl19rocblas_complex_numIdELi16ELi32ELi8ELb1ELb1ELc84ELc76EKS1_S1_EviT_T0_PT8_S3_lS6_S3_lS4_PT9_S3_li ; -- Begin function _ZL37rocblas_syrkx_herkx_restricted_kernelIl19rocblas_complex_numIdELi16ELi32ELi8ELb1ELb1ELc84ELc76EKS1_S1_EviT_T0_PT8_S3_lS6_S3_lS4_PT9_S3_li
	.p2align	8
	.type	_ZL37rocblas_syrkx_herkx_restricted_kernelIl19rocblas_complex_numIdELi16ELi32ELi8ELb1ELb1ELc84ELc76EKS1_S1_EviT_T0_PT8_S3_lS6_S3_lS4_PT9_S3_li,@function
_ZL37rocblas_syrkx_herkx_restricted_kernelIl19rocblas_complex_numIdELi16ELi32ELi8ELb1ELb1ELc84ELc76EKS1_S1_EviT_T0_PT8_S3_lS6_S3_lS4_PT9_S3_li: ; @_ZL37rocblas_syrkx_herkx_restricted_kernelIl19rocblas_complex_numIdELi16ELi32ELi8ELb1ELb1ELc84ELc76EKS1_S1_EviT_T0_PT8_S3_lS6_S3_lS4_PT9_S3_li
; %bb.0:
	s_load_dwordx16 s[12:27], s[4:5], 0x8
	s_lshl_b32 s2, s6, 5
	s_lshl_b32 s3, s7, 5
	s_waitcnt lgkmcnt(0)
	v_cmp_lt_i64_e64 s[0:1], s[12:13], 1
	s_and_b64 vcc, exec, s[0:1]
	s_cbranch_vccnz .LBB1335_3
; %bb.1:
	v_lshl_add_u32 v7, v1, 4, v0
	v_lshrrev_b32_e32 v8, 3, v7
	v_add_u32_e32 v4, s3, v8
	v_and_b32_e32 v2, 7, v0
	v_ashrrev_i32_e32 v5, 31, v4
	v_mov_b32_e32 v3, 0
	v_mul_lo_u32 v9, s26, v5
	v_mul_lo_u32 v10, s27, v4
	v_mad_u64_u32 v[4:5], s[0:1], s26, v4, v[2:3]
	v_lshlrev_b32_e32 v2, 4, v2
	v_and_b32_e32 v11, 31, v7
	v_lshl_or_b32 v2, v8, 7, v2
	v_add_u32_e32 v23, 0x1000, v2
	v_mov_b32_e32 v2, 0x1000
	v_add_u32_e32 v8, s2, v11
	v_lshrrev_b32_e32 v6, 5, v7
	v_mov_b32_e32 v7, v3
	v_lshlrev_b32_e32 v3, 4, v11
	v_lshl_add_u32 v25, v1, 7, v2
	v_ashrrev_i32_e32 v2, 31, v8
	v_add3_u32 v5, v10, v5, v9
	v_lshl_or_b32 v22, v6, 9, v3
	v_mul_lo_u32 v9, s20, v2
	v_mad_u64_u32 v[2:3], s[6:7], s20, v8, v[6:7]
	v_mul_lo_u32 v6, s21, v8
	s_load_dwordx2 s[0:1], s[4:5], 0x48
	s_mul_i32 s9, s23, s8
	s_mul_hi_u32 s10, s22, s8
	s_add_i32 s7, s10, s9
	s_mul_i32 s6, s22, s8
	v_add3_u32 v3, v6, v3, v9
	s_lshl_b64 s[6:7], s[6:7], 4
	v_lshlrev_b64 v[2:3], 4, v[2:3]
	s_add_u32 s6, s18, s6
	s_addc_u32 s7, s19, s7
	v_add_co_u32_e32 v2, vcc, s6, v2
	s_waitcnt lgkmcnt(0)
	s_mul_i32 s1, s1, s8
	s_mul_hi_u32 s6, s0, s8
	v_mov_b32_e32 v6, s7
	s_add_i32 s1, s6, s1
	s_mul_i32 s0, s0, s8
	v_addc_co_u32_e32 v3, vcc, v6, v3, vcc
	s_lshl_b64 s[0:1], s[0:1], 4
	v_add_co_u32_e32 v2, vcc, 8, v2
	v_lshlrev_b64 v[4:5], 4, v[4:5]
	s_add_u32 s0, s24, s0
	v_addc_co_u32_e32 v3, vcc, 0, v3, vcc
	s_addc_u32 s1, s25, s1
	v_mov_b32_e32 v6, s1
	v_add_co_u32_e32 v4, vcc, s0, v4
	v_addc_co_u32_e32 v5, vcc, v6, v5, vcc
	v_add_co_u32_e32 v4, vcc, 8, v4
	v_mov_b32_e32 v12, 0
	v_mov_b32_e32 v10, 0
	v_mov_b32_e32 v18, 0
	v_mov_b32_e32 v14, 0
	v_mov_b32_e32 v8, 0
	v_mov_b32_e32 v6, 0
	v_mov_b32_e32 v20, 0
	v_mov_b32_e32 v16, 0
	v_lshlrev_b32_e32 v24, 4, v0
	v_addc_co_u32_e32 v5, vcc, 0, v5, vcc
	v_mov_b32_e32 v13, 0
	v_mov_b32_e32 v11, 0
	;; [unrolled: 1-line block ×8, first 2 shown]
	s_mov_b64 s[0:1], 0
.LBB1335_2:                             ; =>This Inner Loop Header: Depth=1
	global_load_dwordx4 v[26:29], v[2:3], off offset:-8
	s_add_u32 s0, s0, 8
	v_add_co_u32_e32 v2, vcc, 0x80, v2
	s_addc_u32 s1, s1, 0
	v_addc_co_u32_e32 v3, vcc, 0, v3, vcc
	s_waitcnt vmcnt(0)
	ds_write_b128 v22, v[26:29]
	global_load_dwordx4 v[26:29], v[4:5], off offset:-8
	v_add_co_u32_e32 v4, vcc, 0x80, v4
	v_addc_co_u32_e32 v5, vcc, 0, v5, vcc
	s_waitcnt vmcnt(0)
	ds_write_b128 v23, v[26:29]
	s_waitcnt lgkmcnt(0)
	s_barrier
	ds_read_b128 v[26:29], v25
	ds_read_b128 v[30:33], v25 offset:16
	ds_read_b128 v[34:37], v25 offset:32
	ds_read_b128 v[38:41], v25 offset:48
	ds_read_b128 v[42:45], v24
	s_waitcnt lgkmcnt(0)
	v_mul_f64 v[46:47], v[28:29], v[44:45]
	v_mul_f64 v[48:49], v[26:27], v[44:45]
	v_fma_f64 v[46:47], v[26:27], v[42:43], -v[46:47]
	v_fma_f64 v[48:49], v[28:29], v[42:43], v[48:49]
	v_add_f64 v[16:17], v[16:17], v[46:47]
	v_add_f64 v[20:21], v[48:49], v[20:21]
	ds_read_b128 v[46:49], v24 offset:256
	s_waitcnt lgkmcnt(0)
	v_mul_f64 v[50:51], v[28:29], v[48:49]
	v_fma_f64 v[50:51], v[26:27], v[46:47], -v[50:51]
	v_mul_f64 v[26:27], v[26:27], v[48:49]
	v_fma_f64 v[26:27], v[28:29], v[46:47], v[26:27]
	v_add_f64 v[28:29], v[6:7], v[50:51]
	v_add_f64 v[26:27], v[26:27], v[8:9]
	ds_read_b128 v[6:9], v25 offset:2048
	s_waitcnt lgkmcnt(0)
	v_mul_f64 v[50:51], v[8:9], v[44:45]
	v_mul_f64 v[44:45], v[6:7], v[44:45]
	v_fma_f64 v[50:51], v[6:7], v[42:43], -v[50:51]
	v_fma_f64 v[42:43], v[8:9], v[42:43], v[44:45]
	v_add_f64 v[44:45], v[14:15], v[50:51]
	v_mul_f64 v[14:15], v[8:9], v[48:49]
	v_add_f64 v[18:19], v[42:43], v[18:19]
	v_fma_f64 v[14:15], v[6:7], v[46:47], -v[14:15]
	v_mul_f64 v[6:7], v[6:7], v[48:49]
	v_add_f64 v[42:43], v[10:11], v[14:15]
	v_fma_f64 v[6:7], v[8:9], v[46:47], v[6:7]
	v_add_f64 v[46:47], v[6:7], v[12:13]
	ds_read_b128 v[6:9], v24 offset:512
	s_waitcnt lgkmcnt(0)
	v_mul_f64 v[10:11], v[32:33], v[8:9]
	v_mul_f64 v[12:13], v[30:31], v[8:9]
	v_fma_f64 v[10:11], v[30:31], v[6:7], -v[10:11]
	v_fma_f64 v[12:13], v[32:33], v[6:7], v[12:13]
	v_add_f64 v[48:49], v[16:17], v[10:11]
	v_add_f64 v[20:21], v[12:13], v[20:21]
	ds_read_b128 v[10:13], v24 offset:768
	s_waitcnt lgkmcnt(0)
	v_mul_f64 v[14:15], v[32:33], v[12:13]
	v_mul_f64 v[16:17], v[30:31], v[12:13]
	v_fma_f64 v[14:15], v[30:31], v[10:11], -v[14:15]
	v_fma_f64 v[16:17], v[32:33], v[10:11], v[16:17]
	v_add_f64 v[28:29], v[28:29], v[14:15]
	v_add_f64 v[26:27], v[16:17], v[26:27]
	ds_read_b128 v[14:17], v25 offset:2064
	s_waitcnt lgkmcnt(0)
	v_mul_f64 v[30:31], v[16:17], v[8:9]
	v_mul_f64 v[8:9], v[14:15], v[8:9]
	v_fma_f64 v[30:31], v[14:15], v[6:7], -v[30:31]
	v_fma_f64 v[6:7], v[16:17], v[6:7], v[8:9]
	v_mul_f64 v[8:9], v[14:15], v[12:13]
	v_add_f64 v[30:31], v[44:45], v[30:31]
	v_add_f64 v[18:19], v[6:7], v[18:19]
	v_mul_f64 v[6:7], v[16:17], v[12:13]
	v_fma_f64 v[8:9], v[16:17], v[10:11], v[8:9]
	v_fma_f64 v[6:7], v[14:15], v[10:11], -v[6:7]
	v_add_f64 v[32:33], v[42:43], v[6:7]
	v_add_f64 v[42:43], v[8:9], v[46:47]
	ds_read_b128 v[6:9], v24 offset:1024
	s_waitcnt lgkmcnt(0)
	v_mul_f64 v[10:11], v[36:37], v[8:9]
	v_mul_f64 v[12:13], v[34:35], v[8:9]
	v_fma_f64 v[10:11], v[34:35], v[6:7], -v[10:11]
	v_fma_f64 v[12:13], v[36:37], v[6:7], v[12:13]
	v_add_f64 v[44:45], v[48:49], v[10:11]
	v_add_f64 v[20:21], v[12:13], v[20:21]
	ds_read_b128 v[10:13], v24 offset:1280
	s_waitcnt lgkmcnt(0)
	v_mul_f64 v[14:15], v[36:37], v[12:13]
	v_mul_f64 v[16:17], v[34:35], v[12:13]
	v_fma_f64 v[14:15], v[34:35], v[10:11], -v[14:15]
	v_fma_f64 v[16:17], v[36:37], v[10:11], v[16:17]
	v_add_f64 v[28:29], v[28:29], v[14:15]
	v_add_f64 v[26:27], v[16:17], v[26:27]
	ds_read_b128 v[14:17], v25 offset:2080
	s_waitcnt lgkmcnt(0)
	v_mul_f64 v[34:35], v[16:17], v[8:9]
	v_mul_f64 v[8:9], v[14:15], v[8:9]
	v_fma_f64 v[34:35], v[14:15], v[6:7], -v[34:35]
	v_fma_f64 v[6:7], v[16:17], v[6:7], v[8:9]
	v_mul_f64 v[8:9], v[14:15], v[12:13]
	v_add_f64 v[30:31], v[30:31], v[34:35]
	v_add_f64 v[18:19], v[6:7], v[18:19]
	v_mul_f64 v[6:7], v[16:17], v[12:13]
	v_fma_f64 v[8:9], v[16:17], v[10:11], v[8:9]
	v_fma_f64 v[6:7], v[14:15], v[10:11], -v[6:7]
	v_add_f64 v[34:35], v[8:9], v[42:43]
	;; [unrolled: 30-line block ×3, first 2 shown]
	v_add_f64 v[32:33], v[32:33], v[6:7]
	ds_read_b128 v[6:9], v25 offset:64
	ds_read_b128 v[10:13], v24 offset:2048
	s_waitcnt lgkmcnt(0)
	v_mul_f64 v[14:15], v[8:9], v[12:13]
	v_mul_f64 v[16:17], v[6:7], v[12:13]
	v_fma_f64 v[14:15], v[6:7], v[10:11], -v[14:15]
	v_fma_f64 v[16:17], v[8:9], v[10:11], v[16:17]
	v_add_f64 v[36:37], v[36:37], v[14:15]
	v_add_f64 v[20:21], v[16:17], v[20:21]
	ds_read_b128 v[14:17], v24 offset:2304
	s_waitcnt lgkmcnt(0)
	v_mul_f64 v[38:39], v[8:9], v[16:17]
	v_fma_f64 v[38:39], v[6:7], v[14:15], -v[38:39]
	v_mul_f64 v[6:7], v[6:7], v[16:17]
	v_add_f64 v[28:29], v[28:29], v[38:39]
	v_fma_f64 v[6:7], v[8:9], v[14:15], v[6:7]
	v_add_f64 v[26:27], v[6:7], v[26:27]
	ds_read_b128 v[6:9], v25 offset:2112
	s_waitcnt lgkmcnt(0)
	v_mul_f64 v[38:39], v[8:9], v[12:13]
	v_mul_f64 v[12:13], v[6:7], v[12:13]
	v_fma_f64 v[38:39], v[6:7], v[10:11], -v[38:39]
	v_fma_f64 v[10:11], v[8:9], v[10:11], v[12:13]
	v_add_f64 v[30:31], v[30:31], v[38:39]
	v_add_f64 v[18:19], v[10:11], v[18:19]
	v_mul_f64 v[10:11], v[8:9], v[16:17]
	v_fma_f64 v[10:11], v[6:7], v[14:15], -v[10:11]
	v_mul_f64 v[6:7], v[6:7], v[16:17]
	v_add_f64 v[32:33], v[32:33], v[10:11]
	v_fma_f64 v[6:7], v[8:9], v[14:15], v[6:7]
	v_add_f64 v[34:35], v[6:7], v[34:35]
	ds_read_b128 v[6:9], v25 offset:80
	ds_read_b128 v[10:13], v24 offset:2560
	s_waitcnt lgkmcnt(0)
	v_mul_f64 v[14:15], v[8:9], v[12:13]
	v_mul_f64 v[16:17], v[6:7], v[12:13]
	v_fma_f64 v[14:15], v[6:7], v[10:11], -v[14:15]
	v_fma_f64 v[16:17], v[8:9], v[10:11], v[16:17]
	v_add_f64 v[36:37], v[36:37], v[14:15]
	v_add_f64 v[20:21], v[16:17], v[20:21]
	ds_read_b128 v[14:17], v24 offset:2816
	s_waitcnt lgkmcnt(0)
	v_mul_f64 v[38:39], v[8:9], v[16:17]
	v_fma_f64 v[38:39], v[6:7], v[14:15], -v[38:39]
	v_mul_f64 v[6:7], v[6:7], v[16:17]
	v_add_f64 v[28:29], v[28:29], v[38:39]
	v_fma_f64 v[6:7], v[8:9], v[14:15], v[6:7]
	v_add_f64 v[26:27], v[6:7], v[26:27]
	ds_read_b128 v[6:9], v25 offset:2128
	s_waitcnt lgkmcnt(0)
	v_mul_f64 v[38:39], v[8:9], v[12:13]
	v_mul_f64 v[12:13], v[6:7], v[12:13]
	v_fma_f64 v[38:39], v[6:7], v[10:11], -v[38:39]
	v_fma_f64 v[10:11], v[8:9], v[10:11], v[12:13]
	v_add_f64 v[30:31], v[30:31], v[38:39]
	v_add_f64 v[18:19], v[10:11], v[18:19]
	v_mul_f64 v[10:11], v[8:9], v[16:17]
	v_fma_f64 v[10:11], v[6:7], v[14:15], -v[10:11]
	v_mul_f64 v[6:7], v[6:7], v[16:17]
	v_add_f64 v[32:33], v[32:33], v[10:11]
	v_fma_f64 v[6:7], v[8:9], v[14:15], v[6:7]
	;; [unrolled: 31-line block ×3, first 2 shown]
	v_add_f64 v[34:35], v[6:7], v[34:35]
	ds_read_b128 v[6:9], v25 offset:112
	ds_read_b128 v[10:13], v24 offset:3584
	;; [unrolled: 1-line block ×3, first 2 shown]
	s_waitcnt lgkmcnt(1)
	v_mul_f64 v[16:17], v[6:7], v[12:13]
	v_mul_f64 v[14:15], v[8:9], v[12:13]
	v_fma_f64 v[26:27], v[8:9], v[10:11], v[16:17]
	v_fma_f64 v[14:15], v[6:7], v[10:11], -v[14:15]
	v_add_f64 v[20:21], v[26:27], v[20:21]
	ds_read_b128 v[26:29], v24 offset:3840
	v_add_f64 v[16:17], v[36:37], v[14:15]
	s_waitcnt lgkmcnt(0)
	s_barrier
	v_mul_f64 v[14:15], v[8:9], v[28:29]
	v_fma_f64 v[14:15], v[6:7], v[26:27], -v[14:15]
	v_mul_f64 v[6:7], v[6:7], v[28:29]
	v_fma_f64 v[8:9], v[8:9], v[26:27], v[6:7]
	v_add_f64 v[6:7], v[38:39], v[14:15]
	v_mul_f64 v[14:15], v[32:33], v[12:13]
	v_mul_f64 v[12:13], v[30:31], v[12:13]
	v_add_f64 v[8:9], v[8:9], v[40:41]
	v_fma_f64 v[14:15], v[30:31], v[10:11], -v[14:15]
	v_fma_f64 v[10:11], v[32:33], v[10:11], v[12:13]
	v_mul_f64 v[12:13], v[30:31], v[28:29]
	v_add_f64 v[14:15], v[42:43], v[14:15]
	v_add_f64 v[18:19], v[10:11], v[18:19]
	v_mul_f64 v[10:11], v[32:33], v[28:29]
	v_fma_f64 v[12:13], v[32:33], v[26:27], v[12:13]
	v_fma_f64 v[10:11], v[30:31], v[26:27], -v[10:11]
	v_add_f64 v[12:13], v[12:13], v[34:35]
	v_mov_b32_e32 v27, s1
	v_mov_b32_e32 v26, s0
	v_cmp_le_u64_e32 vcc, s[12:13], v[26:27]
	v_add_f64 v[10:11], v[44:45], v[10:11]
	s_cbranch_vccz .LBB1335_2
	s_branch .LBB1335_4
.LBB1335_3:
	v_mov_b32_e32 v16, 0
	v_mov_b32_e32 v20, 0
	;; [unrolled: 1-line block ×16, first 2 shown]
.LBB1335_4:
	s_load_dwordx2 s[0:1], s[4:5], 0x70
	s_load_dword s9, s[4:5], 0x0
	s_load_dwordx4 s[20:23], s[4:5], 0x60
	v_add_u32_e32 v4, s3, v1
	v_ashrrev_i32_e32 v1, 31, v4
	s_waitcnt lgkmcnt(0)
	s_mul_i32 s1, s1, s8
	s_mul_hi_u32 s4, s0, s8
	s_add_i32 s1, s4, s1
	v_mul_lo_u32 v3, s22, v1
	v_mul_lo_u32 v5, s23, v4
	v_mad_u64_u32 v[1:2], s[4:5], s22, v4, 0
	s_mul_i32 s0, s0, s8
	s_lshl_b64 s[0:1], s[0:1], 4
	v_add3_u32 v2, v2, v3, v5
	s_add_u32 s6, s20, s0
	v_lshlrev_b64 v[1:2], 4, v[1:2]
	s_addc_u32 s7, s21, s1
	v_mov_b32_e32 v3, s7
	v_add_co_u32_e32 v5, vcc, s6, v1
	v_add_u32_e32 v0, s2, v0
	v_addc_co_u32_e32 v22, vcc, v3, v2, vcc
	v_cmp_le_i32_e64 s[0:1], v4, v0
	v_cmp_gt_i32_e32 vcc, s9, v0
	s_and_b64 s[0:1], s[0:1], vcc
	s_and_saveexec_b64 s[2:3], s[0:1]
	s_cbranch_execz .LBB1335_6
; %bb.5:
	v_mul_f64 v[2:3], s[14:15], v[20:21]
	v_mul_f64 v[20:21], s[16:17], v[20:21]
	v_ashrrev_i32_e32 v1, 31, v0
	v_lshlrev_b64 v[25:26], 4, v[0:1]
	v_fma_f64 v[2:3], s[16:17], v[16:17], v[2:3]
	v_fma_f64 v[23:24], s[14:15], v[16:17], -v[20:21]
	v_add_co_u32_e64 v16, s[0:1], v5, v25
	v_addc_co_u32_e64 v17, s[0:1], v22, v26, s[0:1]
	v_cmp_ne_u32_e64 s[0:1], v4, v0
	v_cndmask_b32_e64 v26, 0, v3, s[0:1]
	v_cndmask_b32_e64 v25, 0, v2, s[0:1]
	global_store_dwordx4 v[16:17], v[23:26], off
.LBB1335_6:
	s_or_b64 exec, exec, s[2:3]
	v_add_u32_e32 v2, 16, v0
	v_cmp_le_i32_e64 s[2:3], v4, v2
	v_cmp_gt_i32_e64 s[0:1], s9, v2
	s_and_b64 s[2:3], s[2:3], s[0:1]
	s_and_saveexec_b64 s[4:5], s[2:3]
	s_cbranch_execz .LBB1335_8
; %bb.7:
	v_mul_f64 v[16:17], s[14:15], v[8:9]
	v_mul_f64 v[8:9], s[16:17], v[8:9]
	v_ashrrev_i32_e32 v3, 31, v2
	v_lshlrev_b64 v[20:21], 4, v[2:3]
	v_add_co_u32_e64 v20, s[2:3], v5, v20
	v_addc_co_u32_e64 v21, s[2:3], v22, v21, s[2:3]
	v_fma_f64 v[16:17], s[16:17], v[6:7], v[16:17]
	v_fma_f64 v[6:7], s[14:15], v[6:7], -v[8:9]
	v_cmp_ne_u32_e64 s[2:3], v4, v2
	v_cndmask_b32_e64 v9, 0, v17, s[2:3]
	v_cndmask_b32_e64 v8, 0, v16, s[2:3]
	global_store_dwordx4 v[20:21], v[6:9], off
.LBB1335_8:
	s_or_b64 exec, exec, s[4:5]
	v_add_u32_e32 v3, 16, v4
	v_ashrrev_i32_e32 v1, 31, v3
	v_mul_lo_u32 v7, s23, v3
	v_mad_u64_u32 v[5:6], s[2:3], s22, v3, 0
	v_mul_lo_u32 v1, s22, v1
	v_add3_u32 v6, v6, v1, v7
	v_lshlrev_b64 v[5:6], 4, v[5:6]
	v_mov_b32_e32 v1, s7
	v_add_co_u32_e64 v5, s[2:3], s6, v5
	v_addc_co_u32_e64 v6, s[2:3], v1, v6, s[2:3]
	v_cmp_le_i32_e64 s[2:3], v3, v0
	s_and_b64 s[4:5], s[2:3], vcc
	s_and_saveexec_b64 s[2:3], s[4:5]
	s_cbranch_execz .LBB1335_10
; %bb.9:
	v_mul_f64 v[7:8], s[14:15], v[18:19]
	v_mul_f64 v[16:17], s[16:17], v[18:19]
	v_ashrrev_i32_e32 v1, 31, v0
	v_lshlrev_b64 v[18:19], 4, v[0:1]
	v_add_co_u32_e32 v18, vcc, v5, v18
	v_addc_co_u32_e32 v19, vcc, v6, v19, vcc
	v_fma_f64 v[7:8], s[16:17], v[14:15], v[7:8]
	v_fma_f64 v[14:15], s[14:15], v[14:15], -v[16:17]
	v_cmp_ne_u32_e32 vcc, v3, v0
	v_cndmask_b32_e32 v17, 0, v8, vcc
	v_cndmask_b32_e32 v16, 0, v7, vcc
	global_store_dwordx4 v[18:19], v[14:17], off
.LBB1335_10:
	s_or_b64 exec, exec, s[2:3]
	v_cmp_le_i32_e32 vcc, v3, v2
	s_and_b64 s[0:1], vcc, s[0:1]
	s_and_saveexec_b64 s[2:3], s[0:1]
	s_cbranch_execz .LBB1335_12
; %bb.11:
	v_mul_f64 v[7:8], s[14:15], v[12:13]
	v_mul_f64 v[12:13], s[16:17], v[12:13]
	v_ashrrev_i32_e32 v3, 31, v2
	v_lshlrev_b64 v[14:15], 4, v[2:3]
	v_add_co_u32_e32 v5, vcc, v5, v14
	v_addc_co_u32_e32 v6, vcc, v6, v15, vcc
	v_fma_f64 v[7:8], s[16:17], v[10:11], v[7:8]
	v_fma_f64 v[1:2], s[14:15], v[10:11], -v[12:13]
	v_cmp_ne_u32_e32 vcc, v4, v0
	v_cndmask_b32_e32 v4, 0, v8, vcc
	v_cndmask_b32_e32 v3, 0, v7, vcc
	global_store_dwordx4 v[5:6], v[1:4], off
.LBB1335_12:
	s_endpgm
	.section	.rodata,"a",@progbits
	.p2align	6, 0x0
	.amdhsa_kernel _ZL37rocblas_syrkx_herkx_restricted_kernelIl19rocblas_complex_numIdELi16ELi32ELi8ELb1ELb1ELc84ELc76EKS1_S1_EviT_T0_PT8_S3_lS6_S3_lS4_PT9_S3_li
		.amdhsa_group_segment_fixed_size 8192
		.amdhsa_private_segment_fixed_size 0
		.amdhsa_kernarg_size 124
		.amdhsa_user_sgpr_count 6
		.amdhsa_user_sgpr_private_segment_buffer 1
		.amdhsa_user_sgpr_dispatch_ptr 0
		.amdhsa_user_sgpr_queue_ptr 0
		.amdhsa_user_sgpr_kernarg_segment_ptr 1
		.amdhsa_user_sgpr_dispatch_id 0
		.amdhsa_user_sgpr_flat_scratch_init 0
		.amdhsa_user_sgpr_private_segment_size 0
		.amdhsa_uses_dynamic_stack 0
		.amdhsa_system_sgpr_private_segment_wavefront_offset 0
		.amdhsa_system_sgpr_workgroup_id_x 1
		.amdhsa_system_sgpr_workgroup_id_y 1
		.amdhsa_system_sgpr_workgroup_id_z 1
		.amdhsa_system_sgpr_workgroup_info 0
		.amdhsa_system_vgpr_workitem_id 1
		.amdhsa_next_free_vgpr 52
		.amdhsa_next_free_sgpr 61
		.amdhsa_reserve_vcc 1
		.amdhsa_reserve_flat_scratch 0
		.amdhsa_float_round_mode_32 0
		.amdhsa_float_round_mode_16_64 0
		.amdhsa_float_denorm_mode_32 3
		.amdhsa_float_denorm_mode_16_64 3
		.amdhsa_dx10_clamp 1
		.amdhsa_ieee_mode 1
		.amdhsa_fp16_overflow 0
		.amdhsa_exception_fp_ieee_invalid_op 0
		.amdhsa_exception_fp_denorm_src 0
		.amdhsa_exception_fp_ieee_div_zero 0
		.amdhsa_exception_fp_ieee_overflow 0
		.amdhsa_exception_fp_ieee_underflow 0
		.amdhsa_exception_fp_ieee_inexact 0
		.amdhsa_exception_int_div_zero 0
	.end_amdhsa_kernel
	.section	.text._ZL37rocblas_syrkx_herkx_restricted_kernelIl19rocblas_complex_numIdELi16ELi32ELi8ELb1ELb1ELc84ELc76EKS1_S1_EviT_T0_PT8_S3_lS6_S3_lS4_PT9_S3_li,"axG",@progbits,_ZL37rocblas_syrkx_herkx_restricted_kernelIl19rocblas_complex_numIdELi16ELi32ELi8ELb1ELb1ELc84ELc76EKS1_S1_EviT_T0_PT8_S3_lS6_S3_lS4_PT9_S3_li,comdat
.Lfunc_end1335:
	.size	_ZL37rocblas_syrkx_herkx_restricted_kernelIl19rocblas_complex_numIdELi16ELi32ELi8ELb1ELb1ELc84ELc76EKS1_S1_EviT_T0_PT8_S3_lS6_S3_lS4_PT9_S3_li, .Lfunc_end1335-_ZL37rocblas_syrkx_herkx_restricted_kernelIl19rocblas_complex_numIdELi16ELi32ELi8ELb1ELb1ELc84ELc76EKS1_S1_EviT_T0_PT8_S3_lS6_S3_lS4_PT9_S3_li
                                        ; -- End function
	.set _ZL37rocblas_syrkx_herkx_restricted_kernelIl19rocblas_complex_numIdELi16ELi32ELi8ELb1ELb1ELc84ELc76EKS1_S1_EviT_T0_PT8_S3_lS6_S3_lS4_PT9_S3_li.num_vgpr, 52
	.set _ZL37rocblas_syrkx_herkx_restricted_kernelIl19rocblas_complex_numIdELi16ELi32ELi8ELb1ELb1ELc84ELc76EKS1_S1_EviT_T0_PT8_S3_lS6_S3_lS4_PT9_S3_li.num_agpr, 0
	.set _ZL37rocblas_syrkx_herkx_restricted_kernelIl19rocblas_complex_numIdELi16ELi32ELi8ELb1ELb1ELc84ELc76EKS1_S1_EviT_T0_PT8_S3_lS6_S3_lS4_PT9_S3_li.numbered_sgpr, 28
	.set _ZL37rocblas_syrkx_herkx_restricted_kernelIl19rocblas_complex_numIdELi16ELi32ELi8ELb1ELb1ELc84ELc76EKS1_S1_EviT_T0_PT8_S3_lS6_S3_lS4_PT9_S3_li.num_named_barrier, 0
	.set _ZL37rocblas_syrkx_herkx_restricted_kernelIl19rocblas_complex_numIdELi16ELi32ELi8ELb1ELb1ELc84ELc76EKS1_S1_EviT_T0_PT8_S3_lS6_S3_lS4_PT9_S3_li.private_seg_size, 0
	.set _ZL37rocblas_syrkx_herkx_restricted_kernelIl19rocblas_complex_numIdELi16ELi32ELi8ELb1ELb1ELc84ELc76EKS1_S1_EviT_T0_PT8_S3_lS6_S3_lS4_PT9_S3_li.uses_vcc, 1
	.set _ZL37rocblas_syrkx_herkx_restricted_kernelIl19rocblas_complex_numIdELi16ELi32ELi8ELb1ELb1ELc84ELc76EKS1_S1_EviT_T0_PT8_S3_lS6_S3_lS4_PT9_S3_li.uses_flat_scratch, 0
	.set _ZL37rocblas_syrkx_herkx_restricted_kernelIl19rocblas_complex_numIdELi16ELi32ELi8ELb1ELb1ELc84ELc76EKS1_S1_EviT_T0_PT8_S3_lS6_S3_lS4_PT9_S3_li.has_dyn_sized_stack, 0
	.set _ZL37rocblas_syrkx_herkx_restricted_kernelIl19rocblas_complex_numIdELi16ELi32ELi8ELb1ELb1ELc84ELc76EKS1_S1_EviT_T0_PT8_S3_lS6_S3_lS4_PT9_S3_li.has_recursion, 0
	.set _ZL37rocblas_syrkx_herkx_restricted_kernelIl19rocblas_complex_numIdELi16ELi32ELi8ELb1ELb1ELc84ELc76EKS1_S1_EviT_T0_PT8_S3_lS6_S3_lS4_PT9_S3_li.has_indirect_call, 0
	.section	.AMDGPU.csdata,"",@progbits
; Kernel info:
; codeLenInByte = 3068
; TotalNumSgprs: 32
; NumVgprs: 52
; ScratchSize: 0
; MemoryBound: 0
; FloatMode: 240
; IeeeMode: 1
; LDSByteSize: 8192 bytes/workgroup (compile time only)
; SGPRBlocks: 8
; VGPRBlocks: 12
; NumSGPRsForWavesPerEU: 65
; NumVGPRsForWavesPerEU: 52
; Occupancy: 4
; WaveLimiterHint : 1
; COMPUTE_PGM_RSRC2:SCRATCH_EN: 0
; COMPUTE_PGM_RSRC2:USER_SGPR: 6
; COMPUTE_PGM_RSRC2:TRAP_HANDLER: 0
; COMPUTE_PGM_RSRC2:TGID_X_EN: 1
; COMPUTE_PGM_RSRC2:TGID_Y_EN: 1
; COMPUTE_PGM_RSRC2:TGID_Z_EN: 1
; COMPUTE_PGM_RSRC2:TIDIG_COMP_CNT: 1
	.section	.text._ZL37rocblas_syrkx_herkx_restricted_kernelIl19rocblas_complex_numIdELi16ELi32ELi8ELb1ELb1ELc67ELc76EKS1_S1_EviT_T0_PT8_S3_lS6_S3_lS4_PT9_S3_li,"axG",@progbits,_ZL37rocblas_syrkx_herkx_restricted_kernelIl19rocblas_complex_numIdELi16ELi32ELi8ELb1ELb1ELc67ELc76EKS1_S1_EviT_T0_PT8_S3_lS6_S3_lS4_PT9_S3_li,comdat
	.globl	_ZL37rocblas_syrkx_herkx_restricted_kernelIl19rocblas_complex_numIdELi16ELi32ELi8ELb1ELb1ELc67ELc76EKS1_S1_EviT_T0_PT8_S3_lS6_S3_lS4_PT9_S3_li ; -- Begin function _ZL37rocblas_syrkx_herkx_restricted_kernelIl19rocblas_complex_numIdELi16ELi32ELi8ELb1ELb1ELc67ELc76EKS1_S1_EviT_T0_PT8_S3_lS6_S3_lS4_PT9_S3_li
	.p2align	8
	.type	_ZL37rocblas_syrkx_herkx_restricted_kernelIl19rocblas_complex_numIdELi16ELi32ELi8ELb1ELb1ELc67ELc76EKS1_S1_EviT_T0_PT8_S3_lS6_S3_lS4_PT9_S3_li,@function
_ZL37rocblas_syrkx_herkx_restricted_kernelIl19rocblas_complex_numIdELi16ELi32ELi8ELb1ELb1ELc67ELc76EKS1_S1_EviT_T0_PT8_S3_lS6_S3_lS4_PT9_S3_li: ; @_ZL37rocblas_syrkx_herkx_restricted_kernelIl19rocblas_complex_numIdELi16ELi32ELi8ELb1ELb1ELc67ELc76EKS1_S1_EviT_T0_PT8_S3_lS6_S3_lS4_PT9_S3_li
; %bb.0:
	s_load_dwordx16 s[12:27], s[4:5], 0x8
	s_lshl_b32 s2, s6, 5
	s_lshl_b32 s3, s7, 5
	s_waitcnt lgkmcnt(0)
	v_cmp_lt_i64_e64 s[0:1], s[12:13], 1
	s_and_b64 vcc, exec, s[0:1]
	s_cbranch_vccnz .LBB1336_3
; %bb.1:
	v_lshl_add_u32 v7, v1, 4, v0
	v_lshrrev_b32_e32 v8, 3, v7
	v_add_u32_e32 v4, s3, v8
	v_and_b32_e32 v2, 7, v0
	v_ashrrev_i32_e32 v5, 31, v4
	v_mov_b32_e32 v3, 0
	v_mul_lo_u32 v9, s26, v5
	v_mul_lo_u32 v10, s27, v4
	v_mad_u64_u32 v[4:5], s[0:1], s26, v4, v[2:3]
	v_lshlrev_b32_e32 v2, 4, v2
	v_and_b32_e32 v11, 31, v7
	v_lshl_or_b32 v2, v8, 7, v2
	v_add_u32_e32 v23, 0x1000, v2
	v_mov_b32_e32 v2, 0x1000
	v_add_u32_e32 v8, s2, v11
	v_lshrrev_b32_e32 v6, 5, v7
	v_mov_b32_e32 v7, v3
	v_lshlrev_b32_e32 v3, 4, v11
	v_lshl_add_u32 v25, v1, 7, v2
	v_ashrrev_i32_e32 v2, 31, v8
	v_add3_u32 v5, v10, v5, v9
	v_lshl_or_b32 v22, v6, 9, v3
	v_mul_lo_u32 v9, s20, v2
	v_mad_u64_u32 v[2:3], s[6:7], s20, v8, v[6:7]
	v_mul_lo_u32 v6, s21, v8
	s_load_dwordx2 s[0:1], s[4:5], 0x48
	s_mul_i32 s9, s23, s8
	s_mul_hi_u32 s10, s22, s8
	s_add_i32 s7, s10, s9
	s_mul_i32 s6, s22, s8
	v_add3_u32 v3, v6, v3, v9
	s_lshl_b64 s[6:7], s[6:7], 4
	v_lshlrev_b64 v[2:3], 4, v[2:3]
	s_add_u32 s6, s18, s6
	s_addc_u32 s7, s19, s7
	v_add_co_u32_e32 v2, vcc, s6, v2
	s_waitcnt lgkmcnt(0)
	s_mul_i32 s1, s1, s8
	s_mul_hi_u32 s6, s0, s8
	v_mov_b32_e32 v6, s7
	s_add_i32 s1, s6, s1
	s_mul_i32 s0, s0, s8
	v_addc_co_u32_e32 v3, vcc, v6, v3, vcc
	s_lshl_b64 s[0:1], s[0:1], 4
	v_add_co_u32_e32 v2, vcc, 8, v2
	v_lshlrev_b64 v[4:5], 4, v[4:5]
	s_add_u32 s0, s24, s0
	v_addc_co_u32_e32 v3, vcc, 0, v3, vcc
	s_addc_u32 s1, s25, s1
	v_mov_b32_e32 v6, s1
	v_add_co_u32_e32 v4, vcc, s0, v4
	v_addc_co_u32_e32 v5, vcc, v6, v5, vcc
	v_add_co_u32_e32 v4, vcc, 8, v4
	v_mov_b32_e32 v12, 0
	v_mov_b32_e32 v10, 0
	;; [unrolled: 1-line block ×8, first 2 shown]
	v_lshlrev_b32_e32 v24, 4, v0
	v_addc_co_u32_e32 v5, vcc, 0, v5, vcc
	v_mov_b32_e32 v13, 0
	v_mov_b32_e32 v11, 0
	;; [unrolled: 1-line block ×8, first 2 shown]
	s_mov_b64 s[0:1], 0
.LBB1336_2:                             ; =>This Inner Loop Header: Depth=1
	global_load_dwordx4 v[26:29], v[2:3], off offset:-8
	s_add_u32 s0, s0, 8
	v_add_co_u32_e32 v2, vcc, 0x80, v2
	s_addc_u32 s1, s1, 0
	v_addc_co_u32_e32 v3, vcc, 0, v3, vcc
	s_waitcnt vmcnt(0)
	v_xor_b32_e32 v29, 0x80000000, v29
	ds_write_b128 v22, v[26:29]
	global_load_dwordx4 v[26:29], v[4:5], off offset:-8
	v_add_co_u32_e32 v4, vcc, 0x80, v4
	v_addc_co_u32_e32 v5, vcc, 0, v5, vcc
	s_waitcnt vmcnt(0)
	ds_write_b128 v23, v[26:29]
	s_waitcnt lgkmcnt(0)
	s_barrier
	ds_read_b128 v[26:29], v25
	ds_read_b128 v[30:33], v25 offset:16
	ds_read_b128 v[34:37], v25 offset:32
	;; [unrolled: 1-line block ×3, first 2 shown]
	ds_read_b128 v[42:45], v24
	s_waitcnt lgkmcnt(0)
	v_mul_f64 v[46:47], v[28:29], v[44:45]
	v_mul_f64 v[48:49], v[26:27], v[44:45]
	v_fma_f64 v[46:47], v[26:27], v[42:43], -v[46:47]
	v_fma_f64 v[48:49], v[28:29], v[42:43], v[48:49]
	v_add_f64 v[16:17], v[16:17], v[46:47]
	v_add_f64 v[20:21], v[48:49], v[20:21]
	ds_read_b128 v[46:49], v24 offset:256
	s_waitcnt lgkmcnt(0)
	v_mul_f64 v[50:51], v[28:29], v[48:49]
	v_fma_f64 v[50:51], v[26:27], v[46:47], -v[50:51]
	v_mul_f64 v[26:27], v[26:27], v[48:49]
	v_fma_f64 v[26:27], v[28:29], v[46:47], v[26:27]
	v_add_f64 v[28:29], v[6:7], v[50:51]
	v_add_f64 v[26:27], v[26:27], v[8:9]
	ds_read_b128 v[6:9], v25 offset:2048
	s_waitcnt lgkmcnt(0)
	v_mul_f64 v[50:51], v[8:9], v[44:45]
	v_mul_f64 v[44:45], v[6:7], v[44:45]
	v_fma_f64 v[50:51], v[6:7], v[42:43], -v[50:51]
	v_fma_f64 v[42:43], v[8:9], v[42:43], v[44:45]
	v_add_f64 v[44:45], v[14:15], v[50:51]
	v_mul_f64 v[14:15], v[8:9], v[48:49]
	v_add_f64 v[18:19], v[42:43], v[18:19]
	v_fma_f64 v[14:15], v[6:7], v[46:47], -v[14:15]
	v_mul_f64 v[6:7], v[6:7], v[48:49]
	v_add_f64 v[42:43], v[10:11], v[14:15]
	v_fma_f64 v[6:7], v[8:9], v[46:47], v[6:7]
	v_add_f64 v[46:47], v[6:7], v[12:13]
	ds_read_b128 v[6:9], v24 offset:512
	s_waitcnt lgkmcnt(0)
	v_mul_f64 v[10:11], v[32:33], v[8:9]
	v_mul_f64 v[12:13], v[30:31], v[8:9]
	v_fma_f64 v[10:11], v[30:31], v[6:7], -v[10:11]
	v_fma_f64 v[12:13], v[32:33], v[6:7], v[12:13]
	v_add_f64 v[48:49], v[16:17], v[10:11]
	v_add_f64 v[20:21], v[12:13], v[20:21]
	ds_read_b128 v[10:13], v24 offset:768
	s_waitcnt lgkmcnt(0)
	v_mul_f64 v[14:15], v[32:33], v[12:13]
	v_mul_f64 v[16:17], v[30:31], v[12:13]
	v_fma_f64 v[14:15], v[30:31], v[10:11], -v[14:15]
	v_fma_f64 v[16:17], v[32:33], v[10:11], v[16:17]
	v_add_f64 v[28:29], v[28:29], v[14:15]
	v_add_f64 v[26:27], v[16:17], v[26:27]
	ds_read_b128 v[14:17], v25 offset:2064
	s_waitcnt lgkmcnt(0)
	v_mul_f64 v[30:31], v[16:17], v[8:9]
	v_mul_f64 v[8:9], v[14:15], v[8:9]
	v_fma_f64 v[30:31], v[14:15], v[6:7], -v[30:31]
	v_fma_f64 v[6:7], v[16:17], v[6:7], v[8:9]
	v_mul_f64 v[8:9], v[14:15], v[12:13]
	v_add_f64 v[30:31], v[44:45], v[30:31]
	v_add_f64 v[18:19], v[6:7], v[18:19]
	v_mul_f64 v[6:7], v[16:17], v[12:13]
	v_fma_f64 v[8:9], v[16:17], v[10:11], v[8:9]
	v_fma_f64 v[6:7], v[14:15], v[10:11], -v[6:7]
	v_add_f64 v[32:33], v[42:43], v[6:7]
	v_add_f64 v[42:43], v[8:9], v[46:47]
	ds_read_b128 v[6:9], v24 offset:1024
	s_waitcnt lgkmcnt(0)
	v_mul_f64 v[10:11], v[36:37], v[8:9]
	v_mul_f64 v[12:13], v[34:35], v[8:9]
	v_fma_f64 v[10:11], v[34:35], v[6:7], -v[10:11]
	v_fma_f64 v[12:13], v[36:37], v[6:7], v[12:13]
	v_add_f64 v[44:45], v[48:49], v[10:11]
	v_add_f64 v[20:21], v[12:13], v[20:21]
	ds_read_b128 v[10:13], v24 offset:1280
	s_waitcnt lgkmcnt(0)
	v_mul_f64 v[14:15], v[36:37], v[12:13]
	v_mul_f64 v[16:17], v[34:35], v[12:13]
	v_fma_f64 v[14:15], v[34:35], v[10:11], -v[14:15]
	v_fma_f64 v[16:17], v[36:37], v[10:11], v[16:17]
	v_add_f64 v[28:29], v[28:29], v[14:15]
	v_add_f64 v[26:27], v[16:17], v[26:27]
	ds_read_b128 v[14:17], v25 offset:2080
	s_waitcnt lgkmcnt(0)
	v_mul_f64 v[34:35], v[16:17], v[8:9]
	v_mul_f64 v[8:9], v[14:15], v[8:9]
	v_fma_f64 v[34:35], v[14:15], v[6:7], -v[34:35]
	v_fma_f64 v[6:7], v[16:17], v[6:7], v[8:9]
	v_mul_f64 v[8:9], v[14:15], v[12:13]
	v_add_f64 v[30:31], v[30:31], v[34:35]
	v_add_f64 v[18:19], v[6:7], v[18:19]
	v_mul_f64 v[6:7], v[16:17], v[12:13]
	v_fma_f64 v[8:9], v[16:17], v[10:11], v[8:9]
	v_fma_f64 v[6:7], v[14:15], v[10:11], -v[6:7]
	v_add_f64 v[34:35], v[8:9], v[42:43]
	;; [unrolled: 30-line block ×3, first 2 shown]
	v_add_f64 v[32:33], v[32:33], v[6:7]
	ds_read_b128 v[6:9], v25 offset:64
	ds_read_b128 v[10:13], v24 offset:2048
	s_waitcnt lgkmcnt(0)
	v_mul_f64 v[14:15], v[8:9], v[12:13]
	v_mul_f64 v[16:17], v[6:7], v[12:13]
	v_fma_f64 v[14:15], v[6:7], v[10:11], -v[14:15]
	v_fma_f64 v[16:17], v[8:9], v[10:11], v[16:17]
	v_add_f64 v[36:37], v[36:37], v[14:15]
	v_add_f64 v[20:21], v[16:17], v[20:21]
	ds_read_b128 v[14:17], v24 offset:2304
	s_waitcnt lgkmcnt(0)
	v_mul_f64 v[38:39], v[8:9], v[16:17]
	v_fma_f64 v[38:39], v[6:7], v[14:15], -v[38:39]
	v_mul_f64 v[6:7], v[6:7], v[16:17]
	v_add_f64 v[28:29], v[28:29], v[38:39]
	v_fma_f64 v[6:7], v[8:9], v[14:15], v[6:7]
	v_add_f64 v[26:27], v[6:7], v[26:27]
	ds_read_b128 v[6:9], v25 offset:2112
	s_waitcnt lgkmcnt(0)
	v_mul_f64 v[38:39], v[8:9], v[12:13]
	v_mul_f64 v[12:13], v[6:7], v[12:13]
	v_fma_f64 v[38:39], v[6:7], v[10:11], -v[38:39]
	v_fma_f64 v[10:11], v[8:9], v[10:11], v[12:13]
	v_add_f64 v[30:31], v[30:31], v[38:39]
	v_add_f64 v[18:19], v[10:11], v[18:19]
	v_mul_f64 v[10:11], v[8:9], v[16:17]
	v_fma_f64 v[10:11], v[6:7], v[14:15], -v[10:11]
	v_mul_f64 v[6:7], v[6:7], v[16:17]
	v_add_f64 v[32:33], v[32:33], v[10:11]
	v_fma_f64 v[6:7], v[8:9], v[14:15], v[6:7]
	v_add_f64 v[34:35], v[6:7], v[34:35]
	ds_read_b128 v[6:9], v25 offset:80
	ds_read_b128 v[10:13], v24 offset:2560
	s_waitcnt lgkmcnt(0)
	v_mul_f64 v[14:15], v[8:9], v[12:13]
	v_mul_f64 v[16:17], v[6:7], v[12:13]
	v_fma_f64 v[14:15], v[6:7], v[10:11], -v[14:15]
	v_fma_f64 v[16:17], v[8:9], v[10:11], v[16:17]
	v_add_f64 v[36:37], v[36:37], v[14:15]
	v_add_f64 v[20:21], v[16:17], v[20:21]
	ds_read_b128 v[14:17], v24 offset:2816
	s_waitcnt lgkmcnt(0)
	v_mul_f64 v[38:39], v[8:9], v[16:17]
	v_fma_f64 v[38:39], v[6:7], v[14:15], -v[38:39]
	v_mul_f64 v[6:7], v[6:7], v[16:17]
	v_add_f64 v[28:29], v[28:29], v[38:39]
	v_fma_f64 v[6:7], v[8:9], v[14:15], v[6:7]
	v_add_f64 v[26:27], v[6:7], v[26:27]
	ds_read_b128 v[6:9], v25 offset:2128
	s_waitcnt lgkmcnt(0)
	v_mul_f64 v[38:39], v[8:9], v[12:13]
	v_mul_f64 v[12:13], v[6:7], v[12:13]
	v_fma_f64 v[38:39], v[6:7], v[10:11], -v[38:39]
	v_fma_f64 v[10:11], v[8:9], v[10:11], v[12:13]
	v_add_f64 v[30:31], v[30:31], v[38:39]
	v_add_f64 v[18:19], v[10:11], v[18:19]
	v_mul_f64 v[10:11], v[8:9], v[16:17]
	v_fma_f64 v[10:11], v[6:7], v[14:15], -v[10:11]
	v_mul_f64 v[6:7], v[6:7], v[16:17]
	v_add_f64 v[32:33], v[32:33], v[10:11]
	v_fma_f64 v[6:7], v[8:9], v[14:15], v[6:7]
	;; [unrolled: 31-line block ×3, first 2 shown]
	v_add_f64 v[34:35], v[6:7], v[34:35]
	ds_read_b128 v[6:9], v25 offset:112
	ds_read_b128 v[10:13], v24 offset:3584
	;; [unrolled: 1-line block ×3, first 2 shown]
	s_waitcnt lgkmcnt(1)
	v_mul_f64 v[16:17], v[6:7], v[12:13]
	v_mul_f64 v[14:15], v[8:9], v[12:13]
	v_fma_f64 v[26:27], v[8:9], v[10:11], v[16:17]
	v_fma_f64 v[14:15], v[6:7], v[10:11], -v[14:15]
	v_add_f64 v[20:21], v[26:27], v[20:21]
	ds_read_b128 v[26:29], v24 offset:3840
	v_add_f64 v[16:17], v[36:37], v[14:15]
	s_waitcnt lgkmcnt(0)
	s_barrier
	v_mul_f64 v[14:15], v[8:9], v[28:29]
	v_fma_f64 v[14:15], v[6:7], v[26:27], -v[14:15]
	v_mul_f64 v[6:7], v[6:7], v[28:29]
	v_fma_f64 v[8:9], v[8:9], v[26:27], v[6:7]
	v_add_f64 v[6:7], v[38:39], v[14:15]
	v_mul_f64 v[14:15], v[32:33], v[12:13]
	v_mul_f64 v[12:13], v[30:31], v[12:13]
	v_add_f64 v[8:9], v[8:9], v[40:41]
	v_fma_f64 v[14:15], v[30:31], v[10:11], -v[14:15]
	v_fma_f64 v[10:11], v[32:33], v[10:11], v[12:13]
	v_mul_f64 v[12:13], v[30:31], v[28:29]
	v_add_f64 v[14:15], v[42:43], v[14:15]
	v_add_f64 v[18:19], v[10:11], v[18:19]
	v_mul_f64 v[10:11], v[32:33], v[28:29]
	v_fma_f64 v[12:13], v[32:33], v[26:27], v[12:13]
	v_fma_f64 v[10:11], v[30:31], v[26:27], -v[10:11]
	v_add_f64 v[12:13], v[12:13], v[34:35]
	v_mov_b32_e32 v27, s1
	v_mov_b32_e32 v26, s0
	v_cmp_le_u64_e32 vcc, s[12:13], v[26:27]
	v_add_f64 v[10:11], v[44:45], v[10:11]
	s_cbranch_vccz .LBB1336_2
	s_branch .LBB1336_4
.LBB1336_3:
	v_mov_b32_e32 v16, 0
	v_mov_b32_e32 v20, 0
	;; [unrolled: 1-line block ×16, first 2 shown]
.LBB1336_4:
	s_load_dwordx2 s[0:1], s[4:5], 0x70
	s_load_dword s9, s[4:5], 0x0
	s_load_dwordx4 s[20:23], s[4:5], 0x60
	v_add_u32_e32 v4, s3, v1
	v_ashrrev_i32_e32 v1, 31, v4
	s_waitcnt lgkmcnt(0)
	s_mul_i32 s1, s1, s8
	s_mul_hi_u32 s4, s0, s8
	s_add_i32 s1, s4, s1
	v_mul_lo_u32 v3, s22, v1
	v_mul_lo_u32 v5, s23, v4
	v_mad_u64_u32 v[1:2], s[4:5], s22, v4, 0
	s_mul_i32 s0, s0, s8
	s_lshl_b64 s[0:1], s[0:1], 4
	v_add3_u32 v2, v2, v3, v5
	s_add_u32 s6, s20, s0
	v_lshlrev_b64 v[1:2], 4, v[1:2]
	s_addc_u32 s7, s21, s1
	v_mov_b32_e32 v3, s7
	v_add_co_u32_e32 v5, vcc, s6, v1
	v_add_u32_e32 v0, s2, v0
	v_addc_co_u32_e32 v22, vcc, v3, v2, vcc
	v_cmp_le_i32_e64 s[0:1], v4, v0
	v_cmp_gt_i32_e32 vcc, s9, v0
	s_and_b64 s[0:1], s[0:1], vcc
	s_and_saveexec_b64 s[2:3], s[0:1]
	s_cbranch_execz .LBB1336_6
; %bb.5:
	v_mul_f64 v[2:3], s[14:15], v[20:21]
	v_mul_f64 v[20:21], s[16:17], v[20:21]
	v_ashrrev_i32_e32 v1, 31, v0
	v_lshlrev_b64 v[25:26], 4, v[0:1]
	v_fma_f64 v[2:3], s[16:17], v[16:17], v[2:3]
	v_fma_f64 v[23:24], s[14:15], v[16:17], -v[20:21]
	v_add_co_u32_e64 v16, s[0:1], v5, v25
	v_addc_co_u32_e64 v17, s[0:1], v22, v26, s[0:1]
	v_cmp_ne_u32_e64 s[0:1], v4, v0
	v_cndmask_b32_e64 v26, 0, v3, s[0:1]
	v_cndmask_b32_e64 v25, 0, v2, s[0:1]
	global_store_dwordx4 v[16:17], v[23:26], off
.LBB1336_6:
	s_or_b64 exec, exec, s[2:3]
	v_add_u32_e32 v2, 16, v0
	v_cmp_le_i32_e64 s[2:3], v4, v2
	v_cmp_gt_i32_e64 s[0:1], s9, v2
	s_and_b64 s[2:3], s[2:3], s[0:1]
	s_and_saveexec_b64 s[4:5], s[2:3]
	s_cbranch_execz .LBB1336_8
; %bb.7:
	v_mul_f64 v[16:17], s[14:15], v[8:9]
	v_mul_f64 v[8:9], s[16:17], v[8:9]
	v_ashrrev_i32_e32 v3, 31, v2
	v_lshlrev_b64 v[20:21], 4, v[2:3]
	v_add_co_u32_e64 v20, s[2:3], v5, v20
	v_addc_co_u32_e64 v21, s[2:3], v22, v21, s[2:3]
	v_fma_f64 v[16:17], s[16:17], v[6:7], v[16:17]
	v_fma_f64 v[6:7], s[14:15], v[6:7], -v[8:9]
	v_cmp_ne_u32_e64 s[2:3], v4, v2
	v_cndmask_b32_e64 v9, 0, v17, s[2:3]
	v_cndmask_b32_e64 v8, 0, v16, s[2:3]
	global_store_dwordx4 v[20:21], v[6:9], off
.LBB1336_8:
	s_or_b64 exec, exec, s[4:5]
	v_add_u32_e32 v3, 16, v4
	v_ashrrev_i32_e32 v1, 31, v3
	v_mul_lo_u32 v7, s23, v3
	v_mad_u64_u32 v[5:6], s[2:3], s22, v3, 0
	v_mul_lo_u32 v1, s22, v1
	v_add3_u32 v6, v6, v1, v7
	v_lshlrev_b64 v[5:6], 4, v[5:6]
	v_mov_b32_e32 v1, s7
	v_add_co_u32_e64 v5, s[2:3], s6, v5
	v_addc_co_u32_e64 v6, s[2:3], v1, v6, s[2:3]
	v_cmp_le_i32_e64 s[2:3], v3, v0
	s_and_b64 s[4:5], s[2:3], vcc
	s_and_saveexec_b64 s[2:3], s[4:5]
	s_cbranch_execz .LBB1336_10
; %bb.9:
	v_mul_f64 v[7:8], s[14:15], v[18:19]
	v_mul_f64 v[16:17], s[16:17], v[18:19]
	v_ashrrev_i32_e32 v1, 31, v0
	v_lshlrev_b64 v[18:19], 4, v[0:1]
	v_add_co_u32_e32 v18, vcc, v5, v18
	v_addc_co_u32_e32 v19, vcc, v6, v19, vcc
	v_fma_f64 v[7:8], s[16:17], v[14:15], v[7:8]
	v_fma_f64 v[14:15], s[14:15], v[14:15], -v[16:17]
	v_cmp_ne_u32_e32 vcc, v3, v0
	v_cndmask_b32_e32 v17, 0, v8, vcc
	v_cndmask_b32_e32 v16, 0, v7, vcc
	global_store_dwordx4 v[18:19], v[14:17], off
.LBB1336_10:
	s_or_b64 exec, exec, s[2:3]
	v_cmp_le_i32_e32 vcc, v3, v2
	s_and_b64 s[0:1], vcc, s[0:1]
	s_and_saveexec_b64 s[2:3], s[0:1]
	s_cbranch_execz .LBB1336_12
; %bb.11:
	v_mul_f64 v[7:8], s[14:15], v[12:13]
	v_mul_f64 v[12:13], s[16:17], v[12:13]
	v_ashrrev_i32_e32 v3, 31, v2
	v_lshlrev_b64 v[14:15], 4, v[2:3]
	v_add_co_u32_e32 v5, vcc, v5, v14
	v_addc_co_u32_e32 v6, vcc, v6, v15, vcc
	v_fma_f64 v[7:8], s[16:17], v[10:11], v[7:8]
	v_fma_f64 v[1:2], s[14:15], v[10:11], -v[12:13]
	v_cmp_ne_u32_e32 vcc, v4, v0
	v_cndmask_b32_e32 v4, 0, v8, vcc
	v_cndmask_b32_e32 v3, 0, v7, vcc
	global_store_dwordx4 v[5:6], v[1:4], off
.LBB1336_12:
	s_endpgm
	.section	.rodata,"a",@progbits
	.p2align	6, 0x0
	.amdhsa_kernel _ZL37rocblas_syrkx_herkx_restricted_kernelIl19rocblas_complex_numIdELi16ELi32ELi8ELb1ELb1ELc67ELc76EKS1_S1_EviT_T0_PT8_S3_lS6_S3_lS4_PT9_S3_li
		.amdhsa_group_segment_fixed_size 8192
		.amdhsa_private_segment_fixed_size 0
		.amdhsa_kernarg_size 124
		.amdhsa_user_sgpr_count 6
		.amdhsa_user_sgpr_private_segment_buffer 1
		.amdhsa_user_sgpr_dispatch_ptr 0
		.amdhsa_user_sgpr_queue_ptr 0
		.amdhsa_user_sgpr_kernarg_segment_ptr 1
		.amdhsa_user_sgpr_dispatch_id 0
		.amdhsa_user_sgpr_flat_scratch_init 0
		.amdhsa_user_sgpr_private_segment_size 0
		.amdhsa_uses_dynamic_stack 0
		.amdhsa_system_sgpr_private_segment_wavefront_offset 0
		.amdhsa_system_sgpr_workgroup_id_x 1
		.amdhsa_system_sgpr_workgroup_id_y 1
		.amdhsa_system_sgpr_workgroup_id_z 1
		.amdhsa_system_sgpr_workgroup_info 0
		.amdhsa_system_vgpr_workitem_id 1
		.amdhsa_next_free_vgpr 52
		.amdhsa_next_free_sgpr 61
		.amdhsa_reserve_vcc 1
		.amdhsa_reserve_flat_scratch 0
		.amdhsa_float_round_mode_32 0
		.amdhsa_float_round_mode_16_64 0
		.amdhsa_float_denorm_mode_32 3
		.amdhsa_float_denorm_mode_16_64 3
		.amdhsa_dx10_clamp 1
		.amdhsa_ieee_mode 1
		.amdhsa_fp16_overflow 0
		.amdhsa_exception_fp_ieee_invalid_op 0
		.amdhsa_exception_fp_denorm_src 0
		.amdhsa_exception_fp_ieee_div_zero 0
		.amdhsa_exception_fp_ieee_overflow 0
		.amdhsa_exception_fp_ieee_underflow 0
		.amdhsa_exception_fp_ieee_inexact 0
		.amdhsa_exception_int_div_zero 0
	.end_amdhsa_kernel
	.section	.text._ZL37rocblas_syrkx_herkx_restricted_kernelIl19rocblas_complex_numIdELi16ELi32ELi8ELb1ELb1ELc67ELc76EKS1_S1_EviT_T0_PT8_S3_lS6_S3_lS4_PT9_S3_li,"axG",@progbits,_ZL37rocblas_syrkx_herkx_restricted_kernelIl19rocblas_complex_numIdELi16ELi32ELi8ELb1ELb1ELc67ELc76EKS1_S1_EviT_T0_PT8_S3_lS6_S3_lS4_PT9_S3_li,comdat
.Lfunc_end1336:
	.size	_ZL37rocblas_syrkx_herkx_restricted_kernelIl19rocblas_complex_numIdELi16ELi32ELi8ELb1ELb1ELc67ELc76EKS1_S1_EviT_T0_PT8_S3_lS6_S3_lS4_PT9_S3_li, .Lfunc_end1336-_ZL37rocblas_syrkx_herkx_restricted_kernelIl19rocblas_complex_numIdELi16ELi32ELi8ELb1ELb1ELc67ELc76EKS1_S1_EviT_T0_PT8_S3_lS6_S3_lS4_PT9_S3_li
                                        ; -- End function
	.set _ZL37rocblas_syrkx_herkx_restricted_kernelIl19rocblas_complex_numIdELi16ELi32ELi8ELb1ELb1ELc67ELc76EKS1_S1_EviT_T0_PT8_S3_lS6_S3_lS4_PT9_S3_li.num_vgpr, 52
	.set _ZL37rocblas_syrkx_herkx_restricted_kernelIl19rocblas_complex_numIdELi16ELi32ELi8ELb1ELb1ELc67ELc76EKS1_S1_EviT_T0_PT8_S3_lS6_S3_lS4_PT9_S3_li.num_agpr, 0
	.set _ZL37rocblas_syrkx_herkx_restricted_kernelIl19rocblas_complex_numIdELi16ELi32ELi8ELb1ELb1ELc67ELc76EKS1_S1_EviT_T0_PT8_S3_lS6_S3_lS4_PT9_S3_li.numbered_sgpr, 28
	.set _ZL37rocblas_syrkx_herkx_restricted_kernelIl19rocblas_complex_numIdELi16ELi32ELi8ELb1ELb1ELc67ELc76EKS1_S1_EviT_T0_PT8_S3_lS6_S3_lS4_PT9_S3_li.num_named_barrier, 0
	.set _ZL37rocblas_syrkx_herkx_restricted_kernelIl19rocblas_complex_numIdELi16ELi32ELi8ELb1ELb1ELc67ELc76EKS1_S1_EviT_T0_PT8_S3_lS6_S3_lS4_PT9_S3_li.private_seg_size, 0
	.set _ZL37rocblas_syrkx_herkx_restricted_kernelIl19rocblas_complex_numIdELi16ELi32ELi8ELb1ELb1ELc67ELc76EKS1_S1_EviT_T0_PT8_S3_lS6_S3_lS4_PT9_S3_li.uses_vcc, 1
	.set _ZL37rocblas_syrkx_herkx_restricted_kernelIl19rocblas_complex_numIdELi16ELi32ELi8ELb1ELb1ELc67ELc76EKS1_S1_EviT_T0_PT8_S3_lS6_S3_lS4_PT9_S3_li.uses_flat_scratch, 0
	.set _ZL37rocblas_syrkx_herkx_restricted_kernelIl19rocblas_complex_numIdELi16ELi32ELi8ELb1ELb1ELc67ELc76EKS1_S1_EviT_T0_PT8_S3_lS6_S3_lS4_PT9_S3_li.has_dyn_sized_stack, 0
	.set _ZL37rocblas_syrkx_herkx_restricted_kernelIl19rocblas_complex_numIdELi16ELi32ELi8ELb1ELb1ELc67ELc76EKS1_S1_EviT_T0_PT8_S3_lS6_S3_lS4_PT9_S3_li.has_recursion, 0
	.set _ZL37rocblas_syrkx_herkx_restricted_kernelIl19rocblas_complex_numIdELi16ELi32ELi8ELb1ELb1ELc67ELc76EKS1_S1_EviT_T0_PT8_S3_lS6_S3_lS4_PT9_S3_li.has_indirect_call, 0
	.section	.AMDGPU.csdata,"",@progbits
; Kernel info:
; codeLenInByte = 3076
; TotalNumSgprs: 32
; NumVgprs: 52
; ScratchSize: 0
; MemoryBound: 0
; FloatMode: 240
; IeeeMode: 1
; LDSByteSize: 8192 bytes/workgroup (compile time only)
; SGPRBlocks: 8
; VGPRBlocks: 12
; NumSGPRsForWavesPerEU: 65
; NumVGPRsForWavesPerEU: 52
; Occupancy: 4
; WaveLimiterHint : 1
; COMPUTE_PGM_RSRC2:SCRATCH_EN: 0
; COMPUTE_PGM_RSRC2:USER_SGPR: 6
; COMPUTE_PGM_RSRC2:TRAP_HANDLER: 0
; COMPUTE_PGM_RSRC2:TGID_X_EN: 1
; COMPUTE_PGM_RSRC2:TGID_Y_EN: 1
; COMPUTE_PGM_RSRC2:TGID_Z_EN: 1
; COMPUTE_PGM_RSRC2:TIDIG_COMP_CNT: 1
	.section	.text._ZL37rocblas_syrkx_herkx_restricted_kernelIl19rocblas_complex_numIdELi16ELi32ELi8ELb1ELb1ELc78ELc76EKS1_S1_EviT_T0_PT8_S3_lS6_S3_lS4_PT9_S3_li,"axG",@progbits,_ZL37rocblas_syrkx_herkx_restricted_kernelIl19rocblas_complex_numIdELi16ELi32ELi8ELb1ELb1ELc78ELc76EKS1_S1_EviT_T0_PT8_S3_lS6_S3_lS4_PT9_S3_li,comdat
	.globl	_ZL37rocblas_syrkx_herkx_restricted_kernelIl19rocblas_complex_numIdELi16ELi32ELi8ELb1ELb1ELc78ELc76EKS1_S1_EviT_T0_PT8_S3_lS6_S3_lS4_PT9_S3_li ; -- Begin function _ZL37rocblas_syrkx_herkx_restricted_kernelIl19rocblas_complex_numIdELi16ELi32ELi8ELb1ELb1ELc78ELc76EKS1_S1_EviT_T0_PT8_S3_lS6_S3_lS4_PT9_S3_li
	.p2align	8
	.type	_ZL37rocblas_syrkx_herkx_restricted_kernelIl19rocblas_complex_numIdELi16ELi32ELi8ELb1ELb1ELc78ELc76EKS1_S1_EviT_T0_PT8_S3_lS6_S3_lS4_PT9_S3_li,@function
_ZL37rocblas_syrkx_herkx_restricted_kernelIl19rocblas_complex_numIdELi16ELi32ELi8ELb1ELb1ELc78ELc76EKS1_S1_EviT_T0_PT8_S3_lS6_S3_lS4_PT9_S3_li: ; @_ZL37rocblas_syrkx_herkx_restricted_kernelIl19rocblas_complex_numIdELi16ELi32ELi8ELb1ELb1ELc78ELc76EKS1_S1_EviT_T0_PT8_S3_lS6_S3_lS4_PT9_S3_li
; %bb.0:
	s_load_dwordx16 s[12:27], s[4:5], 0x8
	s_lshl_b32 s9, s6, 5
	s_lshl_b32 s10, s7, 5
	s_waitcnt lgkmcnt(0)
	v_cmp_lt_i64_e64 s[0:1], s[12:13], 1
	s_and_b64 vcc, exec, s[0:1]
	s_cbranch_vccnz .LBB1337_3
; %bb.1:
	v_lshl_add_u32 v6, v1, 4, v0
	v_lshrrev_b32_e32 v7, 3, v6
	v_add_u32_e32 v2, s10, v7
	v_and_b32_e32 v8, 7, v0
	v_ashrrev_i32_e32 v3, 31, v2
	v_mad_u64_u32 v[4:5], s[0:1], s26, v8, v[2:3]
	v_lshrrev_b32_e32 v9, 5, v6
	s_load_dwordx2 s[2:3], s[4:5], 0x48
	v_mov_b32_e32 v2, v5
	v_mad_u64_u32 v[2:3], s[0:1], s27, v8, v[2:3]
	v_and_b32_e32 v3, 31, v6
	v_mov_b32_e32 v6, 0x1000
	v_mov_b32_e32 v5, v2
	v_lshlrev_b32_e32 v2, 4, v3
	v_lshl_or_b32 v22, v9, 9, v2
	v_lshlrev_b32_e32 v2, 4, v8
	v_lshl_or_b32 v2, v7, 7, v2
	v_add_u32_e32 v23, 0x1000, v2
	v_add_u32_e32 v2, s9, v3
	v_ashrrev_i32_e32 v3, 31, v2
	v_mad_u64_u32 v[2:3], s[0:1], s20, v9, v[2:3]
	v_lshl_add_u32 v25, v1, 7, v6
	s_mul_i32 s6, s23, s8
	v_mad_u64_u32 v[6:7], s[0:1], s21, v9, v[3:4]
	s_mul_hi_u32 s7, s22, s8
	s_add_i32 s1, s7, s6
	s_mul_i32 s0, s22, s8
	s_lshl_b64 s[0:1], s[0:1], 4
	v_mov_b32_e32 v3, v6
	v_lshlrev_b64 v[2:3], 4, v[2:3]
	s_add_u32 s0, s18, s0
	s_addc_u32 s1, s19, s1
	s_waitcnt lgkmcnt(0)
	s_mul_i32 s3, s3, s8
	s_mul_hi_u32 s6, s2, s8
	v_mov_b32_e32 v6, s1
	v_add_co_u32_e32 v2, vcc, s0, v2
	s_add_i32 s3, s6, s3
	s_mul_i32 s2, s2, s8
	v_addc_co_u32_e32 v3, vcc, v6, v3, vcc
	s_lshl_b64 s[0:1], s[20:21], 7
	s_lshl_b64 s[2:3], s[2:3], 4
	v_add_co_u32_e32 v2, vcc, 8, v2
	v_lshlrev_b64 v[4:5], 4, v[4:5]
	s_add_u32 s2, s24, s2
	v_addc_co_u32_e32 v3, vcc, 0, v3, vcc
	s_addc_u32 s3, s25, s3
	v_mov_b32_e32 v6, s3
	v_add_co_u32_e32 v4, vcc, s2, v4
	v_addc_co_u32_e32 v5, vcc, v6, v5, vcc
	v_add_co_u32_e32 v4, vcc, 8, v4
	s_lshl_b64 s[2:3], s[26:27], 7
	v_mov_b32_e32 v12, 0
	v_mov_b32_e32 v10, 0
	;; [unrolled: 1-line block ×8, first 2 shown]
	v_lshlrev_b32_e32 v24, 4, v0
	v_addc_co_u32_e32 v5, vcc, 0, v5, vcc
	v_mov_b32_e32 v13, 0
	s_mov_b64 s[6:7], 0
	v_mov_b32_e32 v26, s1
	v_mov_b32_e32 v11, 0
	;; [unrolled: 1-line block ×9, first 2 shown]
.LBB1337_2:                             ; =>This Inner Loop Header: Depth=1
	global_load_dwordx4 v[28:31], v[2:3], off offset:-8
	s_add_u32 s6, s6, 8
	v_add_co_u32_e32 v2, vcc, s0, v2
	s_addc_u32 s7, s7, 0
	v_addc_co_u32_e32 v3, vcc, v3, v26, vcc
	s_waitcnt vmcnt(0)
	ds_write_b128 v22, v[28:31]
	global_load_dwordx4 v[28:31], v[4:5], off offset:-8
	v_add_co_u32_e32 v4, vcc, s2, v4
	v_addc_co_u32_e32 v5, vcc, v5, v27, vcc
	s_waitcnt vmcnt(0)
	v_xor_b32_e32 v31, 0x80000000, v31
	ds_write_b128 v23, v[28:31]
	s_waitcnt lgkmcnt(0)
	s_barrier
	ds_read_b128 v[28:31], v25
	ds_read_b128 v[32:35], v25 offset:16
	ds_read_b128 v[36:39], v25 offset:32
	;; [unrolled: 1-line block ×3, first 2 shown]
	ds_read_b128 v[44:47], v24
	s_waitcnt lgkmcnt(0)
	v_mul_f64 v[48:49], v[30:31], v[46:47]
	v_mul_f64 v[50:51], v[28:29], v[46:47]
	v_fma_f64 v[48:49], v[28:29], v[44:45], -v[48:49]
	v_fma_f64 v[50:51], v[30:31], v[44:45], v[50:51]
	v_add_f64 v[48:49], v[18:19], v[48:49]
	v_add_f64 v[50:51], v[50:51], v[20:21]
	ds_read_b128 v[18:21], v24 offset:256
	s_waitcnt lgkmcnt(0)
	v_mul_f64 v[52:53], v[30:31], v[20:21]
	v_fma_f64 v[52:53], v[28:29], v[18:19], -v[52:53]
	v_mul_f64 v[28:29], v[28:29], v[20:21]
	v_fma_f64 v[28:29], v[30:31], v[18:19], v[28:29]
	v_add_f64 v[30:31], v[6:7], v[52:53]
	v_add_f64 v[28:29], v[28:29], v[8:9]
	ds_read_b128 v[6:9], v25 offset:2048
	s_waitcnt lgkmcnt(0)
	v_mul_f64 v[52:53], v[8:9], v[46:47]
	v_mul_f64 v[46:47], v[6:7], v[46:47]
	v_fma_f64 v[52:53], v[6:7], v[44:45], -v[52:53]
	v_fma_f64 v[44:45], v[8:9], v[44:45], v[46:47]
	v_add_f64 v[46:47], v[14:15], v[52:53]
	v_mul_f64 v[14:15], v[8:9], v[20:21]
	v_add_f64 v[44:45], v[44:45], v[16:17]
	v_fma_f64 v[14:15], v[6:7], v[18:19], -v[14:15]
	v_mul_f64 v[6:7], v[6:7], v[20:21]
	v_fma_f64 v[6:7], v[8:9], v[18:19], v[6:7]
	v_add_f64 v[18:19], v[10:11], v[14:15]
	v_add_f64 v[20:21], v[6:7], v[12:13]
	ds_read_b128 v[6:9], v24 offset:512
	s_waitcnt lgkmcnt(0)
	v_mul_f64 v[10:11], v[34:35], v[8:9]
	v_mul_f64 v[12:13], v[32:33], v[8:9]
	v_fma_f64 v[10:11], v[32:33], v[6:7], -v[10:11]
	v_fma_f64 v[12:13], v[34:35], v[6:7], v[12:13]
	v_add_f64 v[48:49], v[48:49], v[10:11]
	v_add_f64 v[50:51], v[12:13], v[50:51]
	ds_read_b128 v[10:13], v24 offset:768
	s_waitcnt lgkmcnt(0)
	v_mul_f64 v[14:15], v[34:35], v[12:13]
	v_mul_f64 v[16:17], v[32:33], v[12:13]
	v_fma_f64 v[14:15], v[32:33], v[10:11], -v[14:15]
	;; [unrolled: 8-line block ×3, first 2 shown]
	v_fma_f64 v[6:7], v[16:17], v[6:7], v[8:9]
	v_mul_f64 v[8:9], v[14:15], v[12:13]
	v_add_f64 v[32:33], v[46:47], v[32:33]
	v_add_f64 v[34:35], v[6:7], v[44:45]
	v_mul_f64 v[6:7], v[16:17], v[12:13]
	v_fma_f64 v[8:9], v[16:17], v[10:11], v[8:9]
	v_fma_f64 v[6:7], v[14:15], v[10:11], -v[6:7]
	v_add_f64 v[20:21], v[8:9], v[20:21]
	v_add_f64 v[18:19], v[18:19], v[6:7]
	ds_read_b128 v[6:9], v24 offset:1024
	s_waitcnt lgkmcnt(0)
	v_mul_f64 v[10:11], v[38:39], v[8:9]
	v_mul_f64 v[12:13], v[36:37], v[8:9]
	v_fma_f64 v[10:11], v[36:37], v[6:7], -v[10:11]
	v_fma_f64 v[12:13], v[38:39], v[6:7], v[12:13]
	v_add_f64 v[44:45], v[48:49], v[10:11]
	v_add_f64 v[46:47], v[12:13], v[50:51]
	ds_read_b128 v[10:13], v24 offset:1280
	s_waitcnt lgkmcnt(0)
	v_mul_f64 v[14:15], v[38:39], v[12:13]
	v_mul_f64 v[16:17], v[36:37], v[12:13]
	v_fma_f64 v[14:15], v[36:37], v[10:11], -v[14:15]
	v_fma_f64 v[16:17], v[38:39], v[10:11], v[16:17]
	;; [unrolled: 8-line block ×3, first 2 shown]
	v_mul_f64 v[8:9], v[14:15], v[12:13]
	v_add_f64 v[32:33], v[32:33], v[36:37]
	v_add_f64 v[34:35], v[6:7], v[34:35]
	v_mul_f64 v[6:7], v[16:17], v[12:13]
	v_fma_f64 v[8:9], v[16:17], v[10:11], v[8:9]
	v_fma_f64 v[6:7], v[14:15], v[10:11], -v[6:7]
	v_add_f64 v[20:21], v[8:9], v[20:21]
	v_add_f64 v[18:19], v[18:19], v[6:7]
	ds_read_b128 v[6:9], v24 offset:1536
	s_waitcnt lgkmcnt(0)
	v_mul_f64 v[10:11], v[42:43], v[8:9]
	v_mul_f64 v[12:13], v[40:41], v[8:9]
	v_fma_f64 v[10:11], v[40:41], v[6:7], -v[10:11]
	v_fma_f64 v[12:13], v[42:43], v[6:7], v[12:13]
	v_add_f64 v[36:37], v[44:45], v[10:11]
	v_add_f64 v[38:39], v[12:13], v[46:47]
	ds_read_b128 v[10:13], v24 offset:1792
	s_waitcnt lgkmcnt(0)
	v_mul_f64 v[14:15], v[42:43], v[12:13]
	v_mul_f64 v[16:17], v[40:41], v[12:13]
	v_fma_f64 v[14:15], v[40:41], v[10:11], -v[14:15]
	v_fma_f64 v[16:17], v[42:43], v[10:11], v[16:17]
	;; [unrolled: 8-line block ×3, first 2 shown]
	v_mul_f64 v[8:9], v[14:15], v[12:13]
	v_add_f64 v[32:33], v[32:33], v[40:41]
	v_add_f64 v[34:35], v[6:7], v[34:35]
	v_mul_f64 v[6:7], v[16:17], v[12:13]
	v_fma_f64 v[8:9], v[16:17], v[10:11], v[8:9]
	v_fma_f64 v[6:7], v[14:15], v[10:11], -v[6:7]
	v_add_f64 v[20:21], v[8:9], v[20:21]
	v_add_f64 v[18:19], v[18:19], v[6:7]
	ds_read_b128 v[6:9], v25 offset:64
	ds_read_b128 v[10:13], v24 offset:2048
	s_waitcnt lgkmcnt(0)
	v_mul_f64 v[14:15], v[8:9], v[12:13]
	v_mul_f64 v[16:17], v[6:7], v[12:13]
	v_fma_f64 v[14:15], v[6:7], v[10:11], -v[14:15]
	v_fma_f64 v[16:17], v[8:9], v[10:11], v[16:17]
	v_add_f64 v[36:37], v[36:37], v[14:15]
	v_add_f64 v[38:39], v[16:17], v[38:39]
	ds_read_b128 v[14:17], v24 offset:2304
	s_waitcnt lgkmcnt(0)
	v_mul_f64 v[40:41], v[8:9], v[16:17]
	v_fma_f64 v[40:41], v[6:7], v[14:15], -v[40:41]
	v_mul_f64 v[6:7], v[6:7], v[16:17]
	v_add_f64 v[30:31], v[30:31], v[40:41]
	v_fma_f64 v[6:7], v[8:9], v[14:15], v[6:7]
	v_add_f64 v[28:29], v[6:7], v[28:29]
	ds_read_b128 v[6:9], v25 offset:2112
	s_waitcnt lgkmcnt(0)
	v_mul_f64 v[40:41], v[8:9], v[12:13]
	v_mul_f64 v[12:13], v[6:7], v[12:13]
	v_fma_f64 v[40:41], v[6:7], v[10:11], -v[40:41]
	v_fma_f64 v[10:11], v[8:9], v[10:11], v[12:13]
	v_add_f64 v[32:33], v[32:33], v[40:41]
	v_add_f64 v[34:35], v[10:11], v[34:35]
	v_mul_f64 v[10:11], v[8:9], v[16:17]
	v_fma_f64 v[10:11], v[6:7], v[14:15], -v[10:11]
	v_mul_f64 v[6:7], v[6:7], v[16:17]
	v_add_f64 v[18:19], v[18:19], v[10:11]
	v_fma_f64 v[6:7], v[8:9], v[14:15], v[6:7]
	v_add_f64 v[20:21], v[6:7], v[20:21]
	ds_read_b128 v[6:9], v25 offset:80
	ds_read_b128 v[10:13], v24 offset:2560
	s_waitcnt lgkmcnt(0)
	v_mul_f64 v[14:15], v[8:9], v[12:13]
	v_mul_f64 v[16:17], v[6:7], v[12:13]
	v_fma_f64 v[14:15], v[6:7], v[10:11], -v[14:15]
	v_fma_f64 v[16:17], v[8:9], v[10:11], v[16:17]
	v_add_f64 v[36:37], v[36:37], v[14:15]
	v_add_f64 v[38:39], v[16:17], v[38:39]
	ds_read_b128 v[14:17], v24 offset:2816
	s_waitcnt lgkmcnt(0)
	v_mul_f64 v[40:41], v[8:9], v[16:17]
	v_fma_f64 v[40:41], v[6:7], v[14:15], -v[40:41]
	v_mul_f64 v[6:7], v[6:7], v[16:17]
	v_add_f64 v[30:31], v[30:31], v[40:41]
	v_fma_f64 v[6:7], v[8:9], v[14:15], v[6:7]
	v_add_f64 v[28:29], v[6:7], v[28:29]
	ds_read_b128 v[6:9], v25 offset:2128
	s_waitcnt lgkmcnt(0)
	v_mul_f64 v[40:41], v[8:9], v[12:13]
	v_mul_f64 v[12:13], v[6:7], v[12:13]
	v_fma_f64 v[40:41], v[6:7], v[10:11], -v[40:41]
	v_fma_f64 v[10:11], v[8:9], v[10:11], v[12:13]
	v_add_f64 v[32:33], v[32:33], v[40:41]
	v_add_f64 v[34:35], v[10:11], v[34:35]
	v_mul_f64 v[10:11], v[8:9], v[16:17]
	v_fma_f64 v[10:11], v[6:7], v[14:15], -v[10:11]
	v_mul_f64 v[6:7], v[6:7], v[16:17]
	v_add_f64 v[18:19], v[18:19], v[10:11]
	v_fma_f64 v[6:7], v[8:9], v[14:15], v[6:7]
	;; [unrolled: 31-line block ×3, first 2 shown]
	v_add_f64 v[50:51], v[6:7], v[20:21]
	ds_read_b128 v[6:9], v25 offset:112
	ds_read_b128 v[10:13], v24 offset:3584
	;; [unrolled: 1-line block ×4, first 2 shown]
	s_waitcnt lgkmcnt(0)
	s_barrier
	v_mul_f64 v[14:15], v[8:9], v[12:13]
	v_mul_f64 v[16:17], v[6:7], v[12:13]
	v_fma_f64 v[14:15], v[6:7], v[10:11], -v[14:15]
	v_fma_f64 v[16:17], v[8:9], v[10:11], v[16:17]
	v_add_f64 v[18:19], v[36:37], v[14:15]
	v_mul_f64 v[14:15], v[8:9], v[30:31]
	v_add_f64 v[20:21], v[16:17], v[38:39]
	v_fma_f64 v[14:15], v[6:7], v[28:29], -v[14:15]
	v_mul_f64 v[6:7], v[6:7], v[30:31]
	v_fma_f64 v[8:9], v[8:9], v[28:29], v[6:7]
	v_add_f64 v[6:7], v[40:41], v[14:15]
	v_mul_f64 v[14:15], v[34:35], v[12:13]
	v_mul_f64 v[12:13], v[32:33], v[12:13]
	v_add_f64 v[8:9], v[8:9], v[42:43]
	v_fma_f64 v[14:15], v[32:33], v[10:11], -v[14:15]
	v_fma_f64 v[10:11], v[34:35], v[10:11], v[12:13]
	v_mul_f64 v[12:13], v[32:33], v[30:31]
	v_add_f64 v[14:15], v[44:45], v[14:15]
	v_add_f64 v[16:17], v[10:11], v[46:47]
	v_mul_f64 v[10:11], v[34:35], v[30:31]
	v_fma_f64 v[12:13], v[34:35], v[28:29], v[12:13]
	v_fma_f64 v[10:11], v[32:33], v[28:29], -v[10:11]
	v_add_f64 v[12:13], v[12:13], v[50:51]
	v_mov_b32_e32 v29, s7
	v_mov_b32_e32 v28, s6
	v_cmp_le_u64_e32 vcc, s[12:13], v[28:29]
	v_add_f64 v[10:11], v[48:49], v[10:11]
	s_cbranch_vccz .LBB1337_2
	s_branch .LBB1337_4
.LBB1337_3:
	v_mov_b32_e32 v18, 0
	v_mov_b32_e32 v20, 0
	;; [unrolled: 1-line block ×16, first 2 shown]
.LBB1337_4:
	s_load_dwordx2 s[0:1], s[4:5], 0x70
	s_load_dword s11, s[4:5], 0x0
	s_load_dwordx4 s[20:23], s[4:5], 0x60
	v_add_u32_e32 v4, s10, v1
	v_ashrrev_i32_e32 v1, 31, v4
	s_waitcnt lgkmcnt(0)
	s_mul_i32 s1, s1, s8
	s_mul_hi_u32 s2, s0, s8
	s_add_i32 s1, s2, s1
	v_mul_lo_u32 v3, s22, v1
	v_mul_lo_u32 v5, s23, v4
	v_mad_u64_u32 v[1:2], s[2:3], s22, v4, 0
	s_mul_i32 s0, s0, s8
	s_lshl_b64 s[0:1], s[0:1], 4
	v_add3_u32 v2, v2, v3, v5
	s_add_u32 s6, s20, s0
	v_lshlrev_b64 v[1:2], 4, v[1:2]
	s_addc_u32 s7, s21, s1
	v_mov_b32_e32 v3, s7
	v_add_co_u32_e32 v5, vcc, s6, v1
	v_add_u32_e32 v0, s9, v0
	v_addc_co_u32_e32 v22, vcc, v3, v2, vcc
	v_cmp_le_i32_e64 s[0:1], v4, v0
	v_cmp_gt_i32_e32 vcc, s11, v0
	s_and_b64 s[0:1], s[0:1], vcc
	s_and_saveexec_b64 s[2:3], s[0:1]
	s_cbranch_execz .LBB1337_6
; %bb.5:
	v_mul_f64 v[2:3], s[14:15], v[20:21]
	v_mul_f64 v[20:21], s[16:17], v[20:21]
	v_ashrrev_i32_e32 v1, 31, v0
	v_lshlrev_b64 v[23:24], 4, v[0:1]
	v_add_co_u32_e64 v23, s[0:1], v5, v23
	v_addc_co_u32_e64 v24, s[0:1], v22, v24, s[0:1]
	v_fma_f64 v[2:3], s[16:17], v[18:19], v[2:3]
	v_fma_f64 v[18:19], s[14:15], v[18:19], -v[20:21]
	v_cmp_ne_u32_e64 s[0:1], v4, v0
	v_cndmask_b32_e64 v21, 0, v3, s[0:1]
	v_cndmask_b32_e64 v20, 0, v2, s[0:1]
	global_store_dwordx4 v[23:24], v[18:21], off
.LBB1337_6:
	s_or_b64 exec, exec, s[2:3]
	v_add_u32_e32 v2, 16, v0
	v_cmp_le_i32_e64 s[2:3], v4, v2
	v_cmp_gt_i32_e64 s[0:1], s11, v2
	s_and_b64 s[2:3], s[2:3], s[0:1]
	s_and_saveexec_b64 s[4:5], s[2:3]
	s_cbranch_execz .LBB1337_8
; %bb.7:
	v_mul_f64 v[18:19], s[14:15], v[8:9]
	v_mul_f64 v[8:9], s[16:17], v[8:9]
	v_ashrrev_i32_e32 v3, 31, v2
	v_lshlrev_b64 v[20:21], 4, v[2:3]
	v_add_co_u32_e64 v20, s[2:3], v5, v20
	v_addc_co_u32_e64 v21, s[2:3], v22, v21, s[2:3]
	v_fma_f64 v[18:19], s[16:17], v[6:7], v[18:19]
	v_fma_f64 v[6:7], s[14:15], v[6:7], -v[8:9]
	v_cmp_ne_u32_e64 s[2:3], v4, v2
	v_cndmask_b32_e64 v9, 0, v19, s[2:3]
	v_cndmask_b32_e64 v8, 0, v18, s[2:3]
	global_store_dwordx4 v[20:21], v[6:9], off
.LBB1337_8:
	s_or_b64 exec, exec, s[4:5]
	v_add_u32_e32 v3, 16, v4
	v_ashrrev_i32_e32 v1, 31, v3
	v_mul_lo_u32 v7, s23, v3
	v_mad_u64_u32 v[5:6], s[2:3], s22, v3, 0
	v_mul_lo_u32 v1, s22, v1
	v_add3_u32 v6, v6, v1, v7
	v_lshlrev_b64 v[5:6], 4, v[5:6]
	v_mov_b32_e32 v1, s7
	v_add_co_u32_e64 v5, s[2:3], s6, v5
	v_addc_co_u32_e64 v6, s[2:3], v1, v6, s[2:3]
	v_cmp_le_i32_e64 s[2:3], v3, v0
	s_and_b64 s[4:5], s[2:3], vcc
	s_and_saveexec_b64 s[2:3], s[4:5]
	s_cbranch_execz .LBB1337_10
; %bb.9:
	v_mul_f64 v[7:8], s[14:15], v[16:17]
	v_mul_f64 v[16:17], s[16:17], v[16:17]
	v_ashrrev_i32_e32 v1, 31, v0
	v_lshlrev_b64 v[18:19], 4, v[0:1]
	v_add_co_u32_e32 v18, vcc, v5, v18
	v_addc_co_u32_e32 v19, vcc, v6, v19, vcc
	v_fma_f64 v[7:8], s[16:17], v[14:15], v[7:8]
	v_fma_f64 v[14:15], s[14:15], v[14:15], -v[16:17]
	v_cmp_ne_u32_e32 vcc, v3, v0
	v_cndmask_b32_e32 v17, 0, v8, vcc
	v_cndmask_b32_e32 v16, 0, v7, vcc
	global_store_dwordx4 v[18:19], v[14:17], off
.LBB1337_10:
	s_or_b64 exec, exec, s[2:3]
	v_cmp_le_i32_e32 vcc, v3, v2
	s_and_b64 s[0:1], vcc, s[0:1]
	s_and_saveexec_b64 s[2:3], s[0:1]
	s_cbranch_execz .LBB1337_12
; %bb.11:
	v_mul_f64 v[7:8], s[14:15], v[12:13]
	v_mul_f64 v[12:13], s[16:17], v[12:13]
	v_ashrrev_i32_e32 v3, 31, v2
	v_lshlrev_b64 v[14:15], 4, v[2:3]
	v_add_co_u32_e32 v5, vcc, v5, v14
	v_addc_co_u32_e32 v6, vcc, v6, v15, vcc
	v_fma_f64 v[7:8], s[16:17], v[10:11], v[7:8]
	v_fma_f64 v[1:2], s[14:15], v[10:11], -v[12:13]
	v_cmp_ne_u32_e32 vcc, v4, v0
	v_cndmask_b32_e32 v4, 0, v8, vcc
	v_cndmask_b32_e32 v3, 0, v7, vcc
	global_store_dwordx4 v[5:6], v[1:4], off
.LBB1337_12:
	s_endpgm
	.section	.rodata,"a",@progbits
	.p2align	6, 0x0
	.amdhsa_kernel _ZL37rocblas_syrkx_herkx_restricted_kernelIl19rocblas_complex_numIdELi16ELi32ELi8ELb1ELb1ELc78ELc76EKS1_S1_EviT_T0_PT8_S3_lS6_S3_lS4_PT9_S3_li
		.amdhsa_group_segment_fixed_size 8192
		.amdhsa_private_segment_fixed_size 0
		.amdhsa_kernarg_size 124
		.amdhsa_user_sgpr_count 6
		.amdhsa_user_sgpr_private_segment_buffer 1
		.amdhsa_user_sgpr_dispatch_ptr 0
		.amdhsa_user_sgpr_queue_ptr 0
		.amdhsa_user_sgpr_kernarg_segment_ptr 1
		.amdhsa_user_sgpr_dispatch_id 0
		.amdhsa_user_sgpr_flat_scratch_init 0
		.amdhsa_user_sgpr_private_segment_size 0
		.amdhsa_uses_dynamic_stack 0
		.amdhsa_system_sgpr_private_segment_wavefront_offset 0
		.amdhsa_system_sgpr_workgroup_id_x 1
		.amdhsa_system_sgpr_workgroup_id_y 1
		.amdhsa_system_sgpr_workgroup_id_z 1
		.amdhsa_system_sgpr_workgroup_info 0
		.amdhsa_system_vgpr_workitem_id 1
		.amdhsa_next_free_vgpr 54
		.amdhsa_next_free_sgpr 61
		.amdhsa_reserve_vcc 1
		.amdhsa_reserve_flat_scratch 0
		.amdhsa_float_round_mode_32 0
		.amdhsa_float_round_mode_16_64 0
		.amdhsa_float_denorm_mode_32 3
		.amdhsa_float_denorm_mode_16_64 3
		.amdhsa_dx10_clamp 1
		.amdhsa_ieee_mode 1
		.amdhsa_fp16_overflow 0
		.amdhsa_exception_fp_ieee_invalid_op 0
		.amdhsa_exception_fp_denorm_src 0
		.amdhsa_exception_fp_ieee_div_zero 0
		.amdhsa_exception_fp_ieee_overflow 0
		.amdhsa_exception_fp_ieee_underflow 0
		.amdhsa_exception_fp_ieee_inexact 0
		.amdhsa_exception_int_div_zero 0
	.end_amdhsa_kernel
	.section	.text._ZL37rocblas_syrkx_herkx_restricted_kernelIl19rocblas_complex_numIdELi16ELi32ELi8ELb1ELb1ELc78ELc76EKS1_S1_EviT_T0_PT8_S3_lS6_S3_lS4_PT9_S3_li,"axG",@progbits,_ZL37rocblas_syrkx_herkx_restricted_kernelIl19rocblas_complex_numIdELi16ELi32ELi8ELb1ELb1ELc78ELc76EKS1_S1_EviT_T0_PT8_S3_lS6_S3_lS4_PT9_S3_li,comdat
.Lfunc_end1337:
	.size	_ZL37rocblas_syrkx_herkx_restricted_kernelIl19rocblas_complex_numIdELi16ELi32ELi8ELb1ELb1ELc78ELc76EKS1_S1_EviT_T0_PT8_S3_lS6_S3_lS4_PT9_S3_li, .Lfunc_end1337-_ZL37rocblas_syrkx_herkx_restricted_kernelIl19rocblas_complex_numIdELi16ELi32ELi8ELb1ELb1ELc78ELc76EKS1_S1_EviT_T0_PT8_S3_lS6_S3_lS4_PT9_S3_li
                                        ; -- End function
	.set _ZL37rocblas_syrkx_herkx_restricted_kernelIl19rocblas_complex_numIdELi16ELi32ELi8ELb1ELb1ELc78ELc76EKS1_S1_EviT_T0_PT8_S3_lS6_S3_lS4_PT9_S3_li.num_vgpr, 54
	.set _ZL37rocblas_syrkx_herkx_restricted_kernelIl19rocblas_complex_numIdELi16ELi32ELi8ELb1ELb1ELc78ELc76EKS1_S1_EviT_T0_PT8_S3_lS6_S3_lS4_PT9_S3_li.num_agpr, 0
	.set _ZL37rocblas_syrkx_herkx_restricted_kernelIl19rocblas_complex_numIdELi16ELi32ELi8ELb1ELb1ELc78ELc76EKS1_S1_EviT_T0_PT8_S3_lS6_S3_lS4_PT9_S3_li.numbered_sgpr, 28
	.set _ZL37rocblas_syrkx_herkx_restricted_kernelIl19rocblas_complex_numIdELi16ELi32ELi8ELb1ELb1ELc78ELc76EKS1_S1_EviT_T0_PT8_S3_lS6_S3_lS4_PT9_S3_li.num_named_barrier, 0
	.set _ZL37rocblas_syrkx_herkx_restricted_kernelIl19rocblas_complex_numIdELi16ELi32ELi8ELb1ELb1ELc78ELc76EKS1_S1_EviT_T0_PT8_S3_lS6_S3_lS4_PT9_S3_li.private_seg_size, 0
	.set _ZL37rocblas_syrkx_herkx_restricted_kernelIl19rocblas_complex_numIdELi16ELi32ELi8ELb1ELb1ELc78ELc76EKS1_S1_EviT_T0_PT8_S3_lS6_S3_lS4_PT9_S3_li.uses_vcc, 1
	.set _ZL37rocblas_syrkx_herkx_restricted_kernelIl19rocblas_complex_numIdELi16ELi32ELi8ELb1ELb1ELc78ELc76EKS1_S1_EviT_T0_PT8_S3_lS6_S3_lS4_PT9_S3_li.uses_flat_scratch, 0
	.set _ZL37rocblas_syrkx_herkx_restricted_kernelIl19rocblas_complex_numIdELi16ELi32ELi8ELb1ELb1ELc78ELc76EKS1_S1_EviT_T0_PT8_S3_lS6_S3_lS4_PT9_S3_li.has_dyn_sized_stack, 0
	.set _ZL37rocblas_syrkx_herkx_restricted_kernelIl19rocblas_complex_numIdELi16ELi32ELi8ELb1ELb1ELc78ELc76EKS1_S1_EviT_T0_PT8_S3_lS6_S3_lS4_PT9_S3_li.has_recursion, 0
	.set _ZL37rocblas_syrkx_herkx_restricted_kernelIl19rocblas_complex_numIdELi16ELi32ELi8ELb1ELb1ELc78ELc76EKS1_S1_EviT_T0_PT8_S3_lS6_S3_lS4_PT9_S3_li.has_indirect_call, 0
	.section	.AMDGPU.csdata,"",@progbits
; Kernel info:
; codeLenInByte = 3052
; TotalNumSgprs: 32
; NumVgprs: 54
; ScratchSize: 0
; MemoryBound: 0
; FloatMode: 240
; IeeeMode: 1
; LDSByteSize: 8192 bytes/workgroup (compile time only)
; SGPRBlocks: 8
; VGPRBlocks: 13
; NumSGPRsForWavesPerEU: 65
; NumVGPRsForWavesPerEU: 54
; Occupancy: 4
; WaveLimiterHint : 1
; COMPUTE_PGM_RSRC2:SCRATCH_EN: 0
; COMPUTE_PGM_RSRC2:USER_SGPR: 6
; COMPUTE_PGM_RSRC2:TRAP_HANDLER: 0
; COMPUTE_PGM_RSRC2:TGID_X_EN: 1
; COMPUTE_PGM_RSRC2:TGID_Y_EN: 1
; COMPUTE_PGM_RSRC2:TGID_Z_EN: 1
; COMPUTE_PGM_RSRC2:TIDIG_COMP_CNT: 1
	.section	.text._ZL37rocblas_syrkx_herkx_restricted_kernelIl19rocblas_complex_numIdELi16ELi32ELi8ELb1ELb1ELc84ELc85EKS1_S1_EviT_T0_PT8_S3_lS6_S3_lS4_PT9_S3_li,"axG",@progbits,_ZL37rocblas_syrkx_herkx_restricted_kernelIl19rocblas_complex_numIdELi16ELi32ELi8ELb1ELb1ELc84ELc85EKS1_S1_EviT_T0_PT8_S3_lS6_S3_lS4_PT9_S3_li,comdat
	.globl	_ZL37rocblas_syrkx_herkx_restricted_kernelIl19rocblas_complex_numIdELi16ELi32ELi8ELb1ELb1ELc84ELc85EKS1_S1_EviT_T0_PT8_S3_lS6_S3_lS4_PT9_S3_li ; -- Begin function _ZL37rocblas_syrkx_herkx_restricted_kernelIl19rocblas_complex_numIdELi16ELi32ELi8ELb1ELb1ELc84ELc85EKS1_S1_EviT_T0_PT8_S3_lS6_S3_lS4_PT9_S3_li
	.p2align	8
	.type	_ZL37rocblas_syrkx_herkx_restricted_kernelIl19rocblas_complex_numIdELi16ELi32ELi8ELb1ELb1ELc84ELc85EKS1_S1_EviT_T0_PT8_S3_lS6_S3_lS4_PT9_S3_li,@function
_ZL37rocblas_syrkx_herkx_restricted_kernelIl19rocblas_complex_numIdELi16ELi32ELi8ELb1ELb1ELc84ELc85EKS1_S1_EviT_T0_PT8_S3_lS6_S3_lS4_PT9_S3_li: ; @_ZL37rocblas_syrkx_herkx_restricted_kernelIl19rocblas_complex_numIdELi16ELi32ELi8ELb1ELb1ELc84ELc85EKS1_S1_EviT_T0_PT8_S3_lS6_S3_lS4_PT9_S3_li
; %bb.0:
	s_load_dwordx16 s[12:27], s[4:5], 0x8
	s_lshl_b32 s6, s6, 5
	s_lshl_b32 s7, s7, 5
	s_waitcnt lgkmcnt(0)
	v_cmp_lt_i64_e64 s[0:1], s[12:13], 1
	s_and_b64 vcc, exec, s[0:1]
	s_cbranch_vccnz .LBB1338_3
; %bb.1:
	v_lshl_add_u32 v7, v1, 4, v0
	v_lshrrev_b32_e32 v8, 3, v7
	v_add_u32_e32 v4, s7, v8
	v_and_b32_e32 v2, 7, v0
	v_ashrrev_i32_e32 v5, 31, v4
	v_mov_b32_e32 v3, 0
	v_mul_lo_u32 v9, s26, v5
	v_mul_lo_u32 v10, s27, v4
	v_mad_u64_u32 v[4:5], s[0:1], s26, v4, v[2:3]
	v_lshlrev_b32_e32 v2, 4, v2
	v_and_b32_e32 v11, 31, v7
	v_lshl_or_b32 v2, v8, 7, v2
	v_add_u32_e32 v23, 0x1000, v2
	v_mov_b32_e32 v2, 0x1000
	v_add_u32_e32 v8, s6, v11
	v_lshrrev_b32_e32 v6, 5, v7
	v_mov_b32_e32 v7, v3
	v_lshlrev_b32_e32 v3, 4, v11
	v_lshl_add_u32 v25, v1, 7, v2
	v_ashrrev_i32_e32 v2, 31, v8
	v_add3_u32 v5, v10, v5, v9
	v_lshl_or_b32 v22, v6, 9, v3
	v_mul_lo_u32 v9, s20, v2
	v_mad_u64_u32 v[2:3], s[2:3], s20, v8, v[6:7]
	v_mul_lo_u32 v6, s21, v8
	s_load_dwordx2 s[0:1], s[4:5], 0x48
	s_mul_i32 s9, s23, s8
	s_mul_hi_u32 s10, s22, s8
	s_add_i32 s3, s10, s9
	s_mul_i32 s2, s22, s8
	v_add3_u32 v3, v6, v3, v9
	s_lshl_b64 s[2:3], s[2:3], 4
	v_lshlrev_b64 v[2:3], 4, v[2:3]
	s_add_u32 s2, s18, s2
	s_addc_u32 s3, s19, s3
	v_add_co_u32_e32 v2, vcc, s2, v2
	s_waitcnt lgkmcnt(0)
	s_mul_i32 s1, s1, s8
	s_mul_hi_u32 s2, s0, s8
	v_mov_b32_e32 v6, s3
	s_add_i32 s1, s2, s1
	s_mul_i32 s0, s0, s8
	v_addc_co_u32_e32 v3, vcc, v6, v3, vcc
	s_lshl_b64 s[0:1], s[0:1], 4
	v_add_co_u32_e32 v2, vcc, 8, v2
	v_lshlrev_b64 v[4:5], 4, v[4:5]
	s_add_u32 s0, s24, s0
	v_addc_co_u32_e32 v3, vcc, 0, v3, vcc
	s_addc_u32 s1, s25, s1
	v_mov_b32_e32 v6, s1
	v_add_co_u32_e32 v4, vcc, s0, v4
	v_addc_co_u32_e32 v5, vcc, v6, v5, vcc
	v_add_co_u32_e32 v4, vcc, 8, v4
	v_mov_b32_e32 v12, 0
	v_mov_b32_e32 v10, 0
	;; [unrolled: 1-line block ×8, first 2 shown]
	v_lshlrev_b32_e32 v24, 4, v0
	v_addc_co_u32_e32 v5, vcc, 0, v5, vcc
	v_mov_b32_e32 v13, 0
	v_mov_b32_e32 v11, 0
	;; [unrolled: 1-line block ×8, first 2 shown]
	s_mov_b64 s[0:1], 0
.LBB1338_2:                             ; =>This Inner Loop Header: Depth=1
	global_load_dwordx4 v[26:29], v[2:3], off offset:-8
	s_add_u32 s0, s0, 8
	v_add_co_u32_e32 v2, vcc, 0x80, v2
	s_addc_u32 s1, s1, 0
	v_addc_co_u32_e32 v3, vcc, 0, v3, vcc
	s_waitcnt vmcnt(0)
	ds_write_b128 v22, v[26:29]
	global_load_dwordx4 v[26:29], v[4:5], off offset:-8
	v_add_co_u32_e32 v4, vcc, 0x80, v4
	v_addc_co_u32_e32 v5, vcc, 0, v5, vcc
	s_waitcnt vmcnt(0)
	ds_write_b128 v23, v[26:29]
	s_waitcnt lgkmcnt(0)
	s_barrier
	ds_read_b128 v[26:29], v25
	ds_read_b128 v[30:33], v25 offset:16
	ds_read_b128 v[34:37], v25 offset:32
	;; [unrolled: 1-line block ×3, first 2 shown]
	ds_read_b128 v[42:45], v24
	s_waitcnt lgkmcnt(0)
	v_mul_f64 v[46:47], v[28:29], v[44:45]
	v_mul_f64 v[48:49], v[26:27], v[44:45]
	v_fma_f64 v[46:47], v[26:27], v[42:43], -v[46:47]
	v_fma_f64 v[48:49], v[28:29], v[42:43], v[48:49]
	v_add_f64 v[16:17], v[16:17], v[46:47]
	v_add_f64 v[20:21], v[48:49], v[20:21]
	ds_read_b128 v[46:49], v24 offset:256
	s_waitcnt lgkmcnt(0)
	v_mul_f64 v[50:51], v[28:29], v[48:49]
	v_fma_f64 v[50:51], v[26:27], v[46:47], -v[50:51]
	v_mul_f64 v[26:27], v[26:27], v[48:49]
	v_fma_f64 v[26:27], v[28:29], v[46:47], v[26:27]
	v_add_f64 v[28:29], v[6:7], v[50:51]
	v_add_f64 v[26:27], v[26:27], v[8:9]
	ds_read_b128 v[6:9], v25 offset:2048
	s_waitcnt lgkmcnt(0)
	v_mul_f64 v[50:51], v[8:9], v[44:45]
	v_mul_f64 v[44:45], v[6:7], v[44:45]
	v_fma_f64 v[50:51], v[6:7], v[42:43], -v[50:51]
	v_fma_f64 v[42:43], v[8:9], v[42:43], v[44:45]
	v_add_f64 v[44:45], v[14:15], v[50:51]
	v_mul_f64 v[14:15], v[8:9], v[48:49]
	v_add_f64 v[18:19], v[42:43], v[18:19]
	v_fma_f64 v[14:15], v[6:7], v[46:47], -v[14:15]
	v_mul_f64 v[6:7], v[6:7], v[48:49]
	v_add_f64 v[42:43], v[10:11], v[14:15]
	v_fma_f64 v[6:7], v[8:9], v[46:47], v[6:7]
	v_add_f64 v[46:47], v[6:7], v[12:13]
	ds_read_b128 v[6:9], v24 offset:512
	s_waitcnt lgkmcnt(0)
	v_mul_f64 v[10:11], v[32:33], v[8:9]
	v_mul_f64 v[12:13], v[30:31], v[8:9]
	v_fma_f64 v[10:11], v[30:31], v[6:7], -v[10:11]
	v_fma_f64 v[12:13], v[32:33], v[6:7], v[12:13]
	v_add_f64 v[48:49], v[16:17], v[10:11]
	v_add_f64 v[20:21], v[12:13], v[20:21]
	ds_read_b128 v[10:13], v24 offset:768
	s_waitcnt lgkmcnt(0)
	v_mul_f64 v[14:15], v[32:33], v[12:13]
	v_mul_f64 v[16:17], v[30:31], v[12:13]
	v_fma_f64 v[14:15], v[30:31], v[10:11], -v[14:15]
	v_fma_f64 v[16:17], v[32:33], v[10:11], v[16:17]
	v_add_f64 v[28:29], v[28:29], v[14:15]
	v_add_f64 v[26:27], v[16:17], v[26:27]
	ds_read_b128 v[14:17], v25 offset:2064
	s_waitcnt lgkmcnt(0)
	v_mul_f64 v[30:31], v[16:17], v[8:9]
	v_mul_f64 v[8:9], v[14:15], v[8:9]
	v_fma_f64 v[30:31], v[14:15], v[6:7], -v[30:31]
	v_fma_f64 v[6:7], v[16:17], v[6:7], v[8:9]
	v_mul_f64 v[8:9], v[14:15], v[12:13]
	v_add_f64 v[30:31], v[44:45], v[30:31]
	v_add_f64 v[18:19], v[6:7], v[18:19]
	v_mul_f64 v[6:7], v[16:17], v[12:13]
	v_fma_f64 v[8:9], v[16:17], v[10:11], v[8:9]
	v_fma_f64 v[6:7], v[14:15], v[10:11], -v[6:7]
	v_add_f64 v[32:33], v[42:43], v[6:7]
	v_add_f64 v[42:43], v[8:9], v[46:47]
	ds_read_b128 v[6:9], v24 offset:1024
	s_waitcnt lgkmcnt(0)
	v_mul_f64 v[10:11], v[36:37], v[8:9]
	v_mul_f64 v[12:13], v[34:35], v[8:9]
	v_fma_f64 v[10:11], v[34:35], v[6:7], -v[10:11]
	v_fma_f64 v[12:13], v[36:37], v[6:7], v[12:13]
	v_add_f64 v[44:45], v[48:49], v[10:11]
	v_add_f64 v[20:21], v[12:13], v[20:21]
	ds_read_b128 v[10:13], v24 offset:1280
	s_waitcnt lgkmcnt(0)
	v_mul_f64 v[14:15], v[36:37], v[12:13]
	v_mul_f64 v[16:17], v[34:35], v[12:13]
	v_fma_f64 v[14:15], v[34:35], v[10:11], -v[14:15]
	v_fma_f64 v[16:17], v[36:37], v[10:11], v[16:17]
	v_add_f64 v[28:29], v[28:29], v[14:15]
	v_add_f64 v[26:27], v[16:17], v[26:27]
	ds_read_b128 v[14:17], v25 offset:2080
	s_waitcnt lgkmcnt(0)
	v_mul_f64 v[34:35], v[16:17], v[8:9]
	v_mul_f64 v[8:9], v[14:15], v[8:9]
	v_fma_f64 v[34:35], v[14:15], v[6:7], -v[34:35]
	v_fma_f64 v[6:7], v[16:17], v[6:7], v[8:9]
	v_mul_f64 v[8:9], v[14:15], v[12:13]
	v_add_f64 v[30:31], v[30:31], v[34:35]
	v_add_f64 v[18:19], v[6:7], v[18:19]
	v_mul_f64 v[6:7], v[16:17], v[12:13]
	v_fma_f64 v[8:9], v[16:17], v[10:11], v[8:9]
	v_fma_f64 v[6:7], v[14:15], v[10:11], -v[6:7]
	v_add_f64 v[34:35], v[8:9], v[42:43]
	;; [unrolled: 30-line block ×3, first 2 shown]
	v_add_f64 v[32:33], v[32:33], v[6:7]
	ds_read_b128 v[6:9], v25 offset:64
	ds_read_b128 v[10:13], v24 offset:2048
	s_waitcnt lgkmcnt(0)
	v_mul_f64 v[14:15], v[8:9], v[12:13]
	v_mul_f64 v[16:17], v[6:7], v[12:13]
	v_fma_f64 v[14:15], v[6:7], v[10:11], -v[14:15]
	v_fma_f64 v[16:17], v[8:9], v[10:11], v[16:17]
	v_add_f64 v[36:37], v[36:37], v[14:15]
	v_add_f64 v[20:21], v[16:17], v[20:21]
	ds_read_b128 v[14:17], v24 offset:2304
	s_waitcnt lgkmcnt(0)
	v_mul_f64 v[38:39], v[8:9], v[16:17]
	v_fma_f64 v[38:39], v[6:7], v[14:15], -v[38:39]
	v_mul_f64 v[6:7], v[6:7], v[16:17]
	v_add_f64 v[28:29], v[28:29], v[38:39]
	v_fma_f64 v[6:7], v[8:9], v[14:15], v[6:7]
	v_add_f64 v[26:27], v[6:7], v[26:27]
	ds_read_b128 v[6:9], v25 offset:2112
	s_waitcnt lgkmcnt(0)
	v_mul_f64 v[38:39], v[8:9], v[12:13]
	v_mul_f64 v[12:13], v[6:7], v[12:13]
	v_fma_f64 v[38:39], v[6:7], v[10:11], -v[38:39]
	v_fma_f64 v[10:11], v[8:9], v[10:11], v[12:13]
	v_add_f64 v[30:31], v[30:31], v[38:39]
	v_add_f64 v[18:19], v[10:11], v[18:19]
	v_mul_f64 v[10:11], v[8:9], v[16:17]
	v_fma_f64 v[10:11], v[6:7], v[14:15], -v[10:11]
	v_mul_f64 v[6:7], v[6:7], v[16:17]
	v_add_f64 v[32:33], v[32:33], v[10:11]
	v_fma_f64 v[6:7], v[8:9], v[14:15], v[6:7]
	v_add_f64 v[34:35], v[6:7], v[34:35]
	ds_read_b128 v[6:9], v25 offset:80
	ds_read_b128 v[10:13], v24 offset:2560
	s_waitcnt lgkmcnt(0)
	v_mul_f64 v[14:15], v[8:9], v[12:13]
	v_mul_f64 v[16:17], v[6:7], v[12:13]
	v_fma_f64 v[14:15], v[6:7], v[10:11], -v[14:15]
	v_fma_f64 v[16:17], v[8:9], v[10:11], v[16:17]
	v_add_f64 v[36:37], v[36:37], v[14:15]
	v_add_f64 v[20:21], v[16:17], v[20:21]
	ds_read_b128 v[14:17], v24 offset:2816
	s_waitcnt lgkmcnt(0)
	v_mul_f64 v[38:39], v[8:9], v[16:17]
	v_fma_f64 v[38:39], v[6:7], v[14:15], -v[38:39]
	v_mul_f64 v[6:7], v[6:7], v[16:17]
	v_add_f64 v[28:29], v[28:29], v[38:39]
	v_fma_f64 v[6:7], v[8:9], v[14:15], v[6:7]
	v_add_f64 v[26:27], v[6:7], v[26:27]
	ds_read_b128 v[6:9], v25 offset:2128
	s_waitcnt lgkmcnt(0)
	v_mul_f64 v[38:39], v[8:9], v[12:13]
	v_mul_f64 v[12:13], v[6:7], v[12:13]
	v_fma_f64 v[38:39], v[6:7], v[10:11], -v[38:39]
	v_fma_f64 v[10:11], v[8:9], v[10:11], v[12:13]
	v_add_f64 v[30:31], v[30:31], v[38:39]
	v_add_f64 v[18:19], v[10:11], v[18:19]
	v_mul_f64 v[10:11], v[8:9], v[16:17]
	v_fma_f64 v[10:11], v[6:7], v[14:15], -v[10:11]
	v_mul_f64 v[6:7], v[6:7], v[16:17]
	v_add_f64 v[32:33], v[32:33], v[10:11]
	v_fma_f64 v[6:7], v[8:9], v[14:15], v[6:7]
	v_add_f64 v[34:35], v[6:7], v[34:35]
	ds_read_b128 v[6:9], v25 offset:96
	ds_read_b128 v[10:13], v24 offset:3072
	s_waitcnt lgkmcnt(0)
	v_mul_f64 v[14:15], v[8:9], v[12:13]
	v_mul_f64 v[16:17], v[6:7], v[12:13]
	v_fma_f64 v[14:15], v[6:7], v[10:11], -v[14:15]
	v_fma_f64 v[16:17], v[8:9], v[10:11], v[16:17]
	v_add_f64 v[36:37], v[36:37], v[14:15]
	v_add_f64 v[20:21], v[16:17], v[20:21]
	ds_read_b128 v[14:17], v24 offset:3328
	s_waitcnt lgkmcnt(0)
	v_mul_f64 v[38:39], v[8:9], v[16:17]
	v_fma_f64 v[38:39], v[6:7], v[14:15], -v[38:39]
	v_mul_f64 v[6:7], v[6:7], v[16:17]
	v_add_f64 v[38:39], v[28:29], v[38:39]
	v_fma_f64 v[6:7], v[8:9], v[14:15], v[6:7]
	v_add_f64 v[40:41], v[6:7], v[26:27]
	ds_read_b128 v[6:9], v25 offset:2144
	s_waitcnt lgkmcnt(0)
	v_mul_f64 v[26:27], v[8:9], v[12:13]
	v_mul_f64 v[12:13], v[6:7], v[12:13]
	v_fma_f64 v[26:27], v[6:7], v[10:11], -v[26:27]
	v_fma_f64 v[10:11], v[8:9], v[10:11], v[12:13]
	v_add_f64 v[42:43], v[30:31], v[26:27]
	v_add_f64 v[18:19], v[10:11], v[18:19]
	v_mul_f64 v[10:11], v[8:9], v[16:17]
	v_fma_f64 v[10:11], v[6:7], v[14:15], -v[10:11]
	v_mul_f64 v[6:7], v[6:7], v[16:17]
	v_add_f64 v[44:45], v[32:33], v[10:11]
	v_fma_f64 v[6:7], v[8:9], v[14:15], v[6:7]
	v_add_f64 v[34:35], v[6:7], v[34:35]
	ds_read_b128 v[6:9], v25 offset:112
	ds_read_b128 v[10:13], v24 offset:3584
	;; [unrolled: 1-line block ×3, first 2 shown]
	s_waitcnt lgkmcnt(1)
	v_mul_f64 v[16:17], v[6:7], v[12:13]
	v_mul_f64 v[14:15], v[8:9], v[12:13]
	v_fma_f64 v[26:27], v[8:9], v[10:11], v[16:17]
	v_fma_f64 v[14:15], v[6:7], v[10:11], -v[14:15]
	v_add_f64 v[20:21], v[26:27], v[20:21]
	ds_read_b128 v[26:29], v24 offset:3840
	v_add_f64 v[16:17], v[36:37], v[14:15]
	s_waitcnt lgkmcnt(0)
	s_barrier
	v_mul_f64 v[14:15], v[8:9], v[28:29]
	v_fma_f64 v[14:15], v[6:7], v[26:27], -v[14:15]
	v_mul_f64 v[6:7], v[6:7], v[28:29]
	v_fma_f64 v[8:9], v[8:9], v[26:27], v[6:7]
	v_add_f64 v[6:7], v[38:39], v[14:15]
	v_mul_f64 v[14:15], v[32:33], v[12:13]
	v_mul_f64 v[12:13], v[30:31], v[12:13]
	v_add_f64 v[8:9], v[8:9], v[40:41]
	v_fma_f64 v[14:15], v[30:31], v[10:11], -v[14:15]
	v_fma_f64 v[10:11], v[32:33], v[10:11], v[12:13]
	v_mul_f64 v[12:13], v[30:31], v[28:29]
	v_add_f64 v[14:15], v[42:43], v[14:15]
	v_add_f64 v[18:19], v[10:11], v[18:19]
	v_mul_f64 v[10:11], v[32:33], v[28:29]
	v_fma_f64 v[12:13], v[32:33], v[26:27], v[12:13]
	v_fma_f64 v[10:11], v[30:31], v[26:27], -v[10:11]
	v_add_f64 v[12:13], v[12:13], v[34:35]
	v_mov_b32_e32 v27, s1
	v_mov_b32_e32 v26, s0
	v_cmp_le_u64_e32 vcc, s[12:13], v[26:27]
	v_add_f64 v[10:11], v[44:45], v[10:11]
	s_cbranch_vccz .LBB1338_2
	s_branch .LBB1338_4
.LBB1338_3:
	v_mov_b32_e32 v16, 0
	v_mov_b32_e32 v20, 0
	;; [unrolled: 1-line block ×16, first 2 shown]
.LBB1338_4:
	s_load_dwordx2 s[10:11], s[4:5], 0x70
	s_load_dword s9, s[4:5], 0x0
	s_load_dwordx4 s[0:3], s[4:5], 0x60
	v_add_u32_e32 v4, s7, v1
	v_ashrrev_i32_e32 v1, 31, v4
	s_waitcnt lgkmcnt(0)
	s_mul_i32 s5, s11, s8
	s_mul_hi_u32 s11, s10, s8
	s_mul_i32 s4, s10, s8
	s_add_i32 s5, s11, s5
	v_mul_lo_u32 v3, s2, v1
	v_mul_lo_u32 v5, s3, v4
	v_mad_u64_u32 v[1:2], s[10:11], s2, v4, 0
	s_lshl_b64 s[4:5], s[4:5], 4
	s_add_u32 s8, s0, s4
	v_add3_u32 v2, v2, v3, v5
	v_lshlrev_b64 v[1:2], 4, v[1:2]
	s_addc_u32 s7, s1, s5
	v_mov_b32_e32 v3, s7
	v_add_co_u32_e64 v5, s[0:1], s8, v1
	v_add_u32_e32 v0, s6, v0
	v_addc_co_u32_e64 v22, s[0:1], v3, v2, s[0:1]
	v_cmp_gt_i32_e32 vcc, s9, v4
	v_cmp_le_i32_e64 s[0:1], v0, v4
	s_and_b64 s[0:1], vcc, s[0:1]
	s_and_saveexec_b64 s[4:5], s[0:1]
	s_cbranch_execz .LBB1338_6
; %bb.5:
	v_mul_f64 v[2:3], s[14:15], v[20:21]
	v_mul_f64 v[20:21], s[16:17], v[20:21]
	v_ashrrev_i32_e32 v1, 31, v0
	v_lshlrev_b64 v[25:26], 4, v[0:1]
	v_fma_f64 v[2:3], s[16:17], v[16:17], v[2:3]
	v_fma_f64 v[23:24], s[14:15], v[16:17], -v[20:21]
	v_add_co_u32_e64 v16, s[0:1], v5, v25
	v_addc_co_u32_e64 v17, s[0:1], v22, v26, s[0:1]
	v_cmp_ne_u32_e64 s[0:1], v4, v0
	v_cndmask_b32_e64 v26, 0, v3, s[0:1]
	v_cndmask_b32_e64 v25, 0, v2, s[0:1]
	global_store_dwordx4 v[16:17], v[23:26], off
.LBB1338_6:
	s_or_b64 exec, exec, s[4:5]
	v_add_u32_e32 v2, 16, v0
	v_cmp_le_i32_e64 s[0:1], v2, v4
	s_and_b64 s[4:5], vcc, s[0:1]
	s_and_saveexec_b64 s[0:1], s[4:5]
	s_cbranch_execz .LBB1338_8
; %bb.7:
	v_mul_f64 v[16:17], s[14:15], v[8:9]
	v_mul_f64 v[8:9], s[16:17], v[8:9]
	v_ashrrev_i32_e32 v3, 31, v2
	v_lshlrev_b64 v[20:21], 4, v[2:3]
	v_add_co_u32_e32 v20, vcc, v5, v20
	v_addc_co_u32_e32 v21, vcc, v22, v21, vcc
	v_fma_f64 v[16:17], s[16:17], v[6:7], v[16:17]
	v_fma_f64 v[6:7], s[14:15], v[6:7], -v[8:9]
	v_cmp_ne_u32_e32 vcc, v4, v2
	v_cndmask_b32_e32 v9, 0, v17, vcc
	v_cndmask_b32_e32 v8, 0, v16, vcc
	global_store_dwordx4 v[20:21], v[6:9], off
.LBB1338_8:
	s_or_b64 exec, exec, s[0:1]
	v_add_u32_e32 v3, 16, v4
	v_ashrrev_i32_e32 v1, 31, v3
	v_mul_lo_u32 v1, s2, v1
	v_mul_lo_u32 v7, s3, v3
	v_mad_u64_u32 v[5:6], s[0:1], s2, v3, 0
	v_cmp_gt_i32_e32 vcc, s9, v3
	v_add3_u32 v6, v6, v1, v7
	v_lshlrev_b64 v[5:6], 4, v[5:6]
	v_mov_b32_e32 v1, s7
	v_add_co_u32_e64 v5, s[0:1], s8, v5
	v_addc_co_u32_e64 v6, s[0:1], v1, v6, s[0:1]
	v_cmp_le_i32_e64 s[0:1], v0, v3
	s_and_b64 s[0:1], vcc, s[0:1]
	s_and_saveexec_b64 s[2:3], s[0:1]
	s_cbranch_execz .LBB1338_10
; %bb.9:
	v_mul_f64 v[7:8], s[14:15], v[18:19]
	v_mul_f64 v[16:17], s[16:17], v[18:19]
	v_ashrrev_i32_e32 v1, 31, v0
	v_lshlrev_b64 v[18:19], 4, v[0:1]
	v_add_co_u32_e64 v18, s[0:1], v5, v18
	v_addc_co_u32_e64 v19, s[0:1], v6, v19, s[0:1]
	v_fma_f64 v[7:8], s[16:17], v[14:15], v[7:8]
	v_fma_f64 v[14:15], s[14:15], v[14:15], -v[16:17]
	v_cmp_ne_u32_e64 s[0:1], v3, v0
	v_cndmask_b32_e64 v17, 0, v8, s[0:1]
	v_cndmask_b32_e64 v16, 0, v7, s[0:1]
	global_store_dwordx4 v[18:19], v[14:17], off
.LBB1338_10:
	s_or_b64 exec, exec, s[2:3]
	v_cmp_le_i32_e64 s[0:1], v2, v3
	s_and_b64 s[0:1], vcc, s[0:1]
	s_and_saveexec_b64 s[2:3], s[0:1]
	s_cbranch_execz .LBB1338_12
; %bb.11:
	v_mul_f64 v[7:8], s[14:15], v[12:13]
	v_mul_f64 v[12:13], s[16:17], v[12:13]
	v_ashrrev_i32_e32 v3, 31, v2
	v_lshlrev_b64 v[14:15], 4, v[2:3]
	v_add_co_u32_e32 v5, vcc, v5, v14
	v_addc_co_u32_e32 v6, vcc, v6, v15, vcc
	v_fma_f64 v[7:8], s[16:17], v[10:11], v[7:8]
	v_fma_f64 v[1:2], s[14:15], v[10:11], -v[12:13]
	v_cmp_ne_u32_e32 vcc, v4, v0
	v_cndmask_b32_e32 v4, 0, v8, vcc
	v_cndmask_b32_e32 v3, 0, v7, vcc
	global_store_dwordx4 v[5:6], v[1:4], off
.LBB1338_12:
	s_endpgm
	.section	.rodata,"a",@progbits
	.p2align	6, 0x0
	.amdhsa_kernel _ZL37rocblas_syrkx_herkx_restricted_kernelIl19rocblas_complex_numIdELi16ELi32ELi8ELb1ELb1ELc84ELc85EKS1_S1_EviT_T0_PT8_S3_lS6_S3_lS4_PT9_S3_li
		.amdhsa_group_segment_fixed_size 8192
		.amdhsa_private_segment_fixed_size 0
		.amdhsa_kernarg_size 124
		.amdhsa_user_sgpr_count 6
		.amdhsa_user_sgpr_private_segment_buffer 1
		.amdhsa_user_sgpr_dispatch_ptr 0
		.amdhsa_user_sgpr_queue_ptr 0
		.amdhsa_user_sgpr_kernarg_segment_ptr 1
		.amdhsa_user_sgpr_dispatch_id 0
		.amdhsa_user_sgpr_flat_scratch_init 0
		.amdhsa_user_sgpr_private_segment_size 0
		.amdhsa_uses_dynamic_stack 0
		.amdhsa_system_sgpr_private_segment_wavefront_offset 0
		.amdhsa_system_sgpr_workgroup_id_x 1
		.amdhsa_system_sgpr_workgroup_id_y 1
		.amdhsa_system_sgpr_workgroup_id_z 1
		.amdhsa_system_sgpr_workgroup_info 0
		.amdhsa_system_vgpr_workitem_id 1
		.amdhsa_next_free_vgpr 52
		.amdhsa_next_free_sgpr 61
		.amdhsa_reserve_vcc 1
		.amdhsa_reserve_flat_scratch 0
		.amdhsa_float_round_mode_32 0
		.amdhsa_float_round_mode_16_64 0
		.amdhsa_float_denorm_mode_32 3
		.amdhsa_float_denorm_mode_16_64 3
		.amdhsa_dx10_clamp 1
		.amdhsa_ieee_mode 1
		.amdhsa_fp16_overflow 0
		.amdhsa_exception_fp_ieee_invalid_op 0
		.amdhsa_exception_fp_denorm_src 0
		.amdhsa_exception_fp_ieee_div_zero 0
		.amdhsa_exception_fp_ieee_overflow 0
		.amdhsa_exception_fp_ieee_underflow 0
		.amdhsa_exception_fp_ieee_inexact 0
		.amdhsa_exception_int_div_zero 0
	.end_amdhsa_kernel
	.section	.text._ZL37rocblas_syrkx_herkx_restricted_kernelIl19rocblas_complex_numIdELi16ELi32ELi8ELb1ELb1ELc84ELc85EKS1_S1_EviT_T0_PT8_S3_lS6_S3_lS4_PT9_S3_li,"axG",@progbits,_ZL37rocblas_syrkx_herkx_restricted_kernelIl19rocblas_complex_numIdELi16ELi32ELi8ELb1ELb1ELc84ELc85EKS1_S1_EviT_T0_PT8_S3_lS6_S3_lS4_PT9_S3_li,comdat
.Lfunc_end1338:
	.size	_ZL37rocblas_syrkx_herkx_restricted_kernelIl19rocblas_complex_numIdELi16ELi32ELi8ELb1ELb1ELc84ELc85EKS1_S1_EviT_T0_PT8_S3_lS6_S3_lS4_PT9_S3_li, .Lfunc_end1338-_ZL37rocblas_syrkx_herkx_restricted_kernelIl19rocblas_complex_numIdELi16ELi32ELi8ELb1ELb1ELc84ELc85EKS1_S1_EviT_T0_PT8_S3_lS6_S3_lS4_PT9_S3_li
                                        ; -- End function
	.set _ZL37rocblas_syrkx_herkx_restricted_kernelIl19rocblas_complex_numIdELi16ELi32ELi8ELb1ELb1ELc84ELc85EKS1_S1_EviT_T0_PT8_S3_lS6_S3_lS4_PT9_S3_li.num_vgpr, 52
	.set _ZL37rocblas_syrkx_herkx_restricted_kernelIl19rocblas_complex_numIdELi16ELi32ELi8ELb1ELb1ELc84ELc85EKS1_S1_EviT_T0_PT8_S3_lS6_S3_lS4_PT9_S3_li.num_agpr, 0
	.set _ZL37rocblas_syrkx_herkx_restricted_kernelIl19rocblas_complex_numIdELi16ELi32ELi8ELb1ELb1ELc84ELc85EKS1_S1_EviT_T0_PT8_S3_lS6_S3_lS4_PT9_S3_li.numbered_sgpr, 28
	.set _ZL37rocblas_syrkx_herkx_restricted_kernelIl19rocblas_complex_numIdELi16ELi32ELi8ELb1ELb1ELc84ELc85EKS1_S1_EviT_T0_PT8_S3_lS6_S3_lS4_PT9_S3_li.num_named_barrier, 0
	.set _ZL37rocblas_syrkx_herkx_restricted_kernelIl19rocblas_complex_numIdELi16ELi32ELi8ELb1ELb1ELc84ELc85EKS1_S1_EviT_T0_PT8_S3_lS6_S3_lS4_PT9_S3_li.private_seg_size, 0
	.set _ZL37rocblas_syrkx_herkx_restricted_kernelIl19rocblas_complex_numIdELi16ELi32ELi8ELb1ELb1ELc84ELc85EKS1_S1_EviT_T0_PT8_S3_lS6_S3_lS4_PT9_S3_li.uses_vcc, 1
	.set _ZL37rocblas_syrkx_herkx_restricted_kernelIl19rocblas_complex_numIdELi16ELi32ELi8ELb1ELb1ELc84ELc85EKS1_S1_EviT_T0_PT8_S3_lS6_S3_lS4_PT9_S3_li.uses_flat_scratch, 0
	.set _ZL37rocblas_syrkx_herkx_restricted_kernelIl19rocblas_complex_numIdELi16ELi32ELi8ELb1ELb1ELc84ELc85EKS1_S1_EviT_T0_PT8_S3_lS6_S3_lS4_PT9_S3_li.has_dyn_sized_stack, 0
	.set _ZL37rocblas_syrkx_herkx_restricted_kernelIl19rocblas_complex_numIdELi16ELi32ELi8ELb1ELb1ELc84ELc85EKS1_S1_EviT_T0_PT8_S3_lS6_S3_lS4_PT9_S3_li.has_recursion, 0
	.set _ZL37rocblas_syrkx_herkx_restricted_kernelIl19rocblas_complex_numIdELi16ELi32ELi8ELb1ELb1ELc84ELc85EKS1_S1_EviT_T0_PT8_S3_lS6_S3_lS4_PT9_S3_li.has_indirect_call, 0
	.section	.AMDGPU.csdata,"",@progbits
; Kernel info:
; codeLenInByte = 3076
; TotalNumSgprs: 32
; NumVgprs: 52
; ScratchSize: 0
; MemoryBound: 0
; FloatMode: 240
; IeeeMode: 1
; LDSByteSize: 8192 bytes/workgroup (compile time only)
; SGPRBlocks: 8
; VGPRBlocks: 12
; NumSGPRsForWavesPerEU: 65
; NumVGPRsForWavesPerEU: 52
; Occupancy: 4
; WaveLimiterHint : 1
; COMPUTE_PGM_RSRC2:SCRATCH_EN: 0
; COMPUTE_PGM_RSRC2:USER_SGPR: 6
; COMPUTE_PGM_RSRC2:TRAP_HANDLER: 0
; COMPUTE_PGM_RSRC2:TGID_X_EN: 1
; COMPUTE_PGM_RSRC2:TGID_Y_EN: 1
; COMPUTE_PGM_RSRC2:TGID_Z_EN: 1
; COMPUTE_PGM_RSRC2:TIDIG_COMP_CNT: 1
	.section	.text._ZL37rocblas_syrkx_herkx_restricted_kernelIl19rocblas_complex_numIdELi16ELi32ELi8ELb1ELb1ELc67ELc85EKS1_S1_EviT_T0_PT8_S3_lS6_S3_lS4_PT9_S3_li,"axG",@progbits,_ZL37rocblas_syrkx_herkx_restricted_kernelIl19rocblas_complex_numIdELi16ELi32ELi8ELb1ELb1ELc67ELc85EKS1_S1_EviT_T0_PT8_S3_lS6_S3_lS4_PT9_S3_li,comdat
	.globl	_ZL37rocblas_syrkx_herkx_restricted_kernelIl19rocblas_complex_numIdELi16ELi32ELi8ELb1ELb1ELc67ELc85EKS1_S1_EviT_T0_PT8_S3_lS6_S3_lS4_PT9_S3_li ; -- Begin function _ZL37rocblas_syrkx_herkx_restricted_kernelIl19rocblas_complex_numIdELi16ELi32ELi8ELb1ELb1ELc67ELc85EKS1_S1_EviT_T0_PT8_S3_lS6_S3_lS4_PT9_S3_li
	.p2align	8
	.type	_ZL37rocblas_syrkx_herkx_restricted_kernelIl19rocblas_complex_numIdELi16ELi32ELi8ELb1ELb1ELc67ELc85EKS1_S1_EviT_T0_PT8_S3_lS6_S3_lS4_PT9_S3_li,@function
_ZL37rocblas_syrkx_herkx_restricted_kernelIl19rocblas_complex_numIdELi16ELi32ELi8ELb1ELb1ELc67ELc85EKS1_S1_EviT_T0_PT8_S3_lS6_S3_lS4_PT9_S3_li: ; @_ZL37rocblas_syrkx_herkx_restricted_kernelIl19rocblas_complex_numIdELi16ELi32ELi8ELb1ELb1ELc67ELc85EKS1_S1_EviT_T0_PT8_S3_lS6_S3_lS4_PT9_S3_li
; %bb.0:
	s_load_dwordx16 s[12:27], s[4:5], 0x8
	s_lshl_b32 s6, s6, 5
	s_lshl_b32 s7, s7, 5
	s_waitcnt lgkmcnt(0)
	v_cmp_lt_i64_e64 s[0:1], s[12:13], 1
	s_and_b64 vcc, exec, s[0:1]
	s_cbranch_vccnz .LBB1339_3
; %bb.1:
	v_lshl_add_u32 v7, v1, 4, v0
	v_lshrrev_b32_e32 v8, 3, v7
	v_add_u32_e32 v4, s7, v8
	v_and_b32_e32 v2, 7, v0
	v_ashrrev_i32_e32 v5, 31, v4
	v_mov_b32_e32 v3, 0
	v_mul_lo_u32 v9, s26, v5
	v_mul_lo_u32 v10, s27, v4
	v_mad_u64_u32 v[4:5], s[0:1], s26, v4, v[2:3]
	v_lshlrev_b32_e32 v2, 4, v2
	v_and_b32_e32 v11, 31, v7
	v_lshl_or_b32 v2, v8, 7, v2
	v_add_u32_e32 v23, 0x1000, v2
	v_mov_b32_e32 v2, 0x1000
	v_add_u32_e32 v8, s6, v11
	v_lshrrev_b32_e32 v6, 5, v7
	v_mov_b32_e32 v7, v3
	v_lshlrev_b32_e32 v3, 4, v11
	v_lshl_add_u32 v25, v1, 7, v2
	v_ashrrev_i32_e32 v2, 31, v8
	v_add3_u32 v5, v10, v5, v9
	v_lshl_or_b32 v22, v6, 9, v3
	v_mul_lo_u32 v9, s20, v2
	v_mad_u64_u32 v[2:3], s[2:3], s20, v8, v[6:7]
	v_mul_lo_u32 v6, s21, v8
	s_load_dwordx2 s[0:1], s[4:5], 0x48
	s_mul_i32 s9, s23, s8
	s_mul_hi_u32 s10, s22, s8
	s_add_i32 s3, s10, s9
	s_mul_i32 s2, s22, s8
	v_add3_u32 v3, v6, v3, v9
	s_lshl_b64 s[2:3], s[2:3], 4
	v_lshlrev_b64 v[2:3], 4, v[2:3]
	s_add_u32 s2, s18, s2
	s_addc_u32 s3, s19, s3
	v_add_co_u32_e32 v2, vcc, s2, v2
	s_waitcnt lgkmcnt(0)
	s_mul_i32 s1, s1, s8
	s_mul_hi_u32 s2, s0, s8
	v_mov_b32_e32 v6, s3
	s_add_i32 s1, s2, s1
	s_mul_i32 s0, s0, s8
	v_addc_co_u32_e32 v3, vcc, v6, v3, vcc
	s_lshl_b64 s[0:1], s[0:1], 4
	v_add_co_u32_e32 v2, vcc, 8, v2
	v_lshlrev_b64 v[4:5], 4, v[4:5]
	s_add_u32 s0, s24, s0
	v_addc_co_u32_e32 v3, vcc, 0, v3, vcc
	s_addc_u32 s1, s25, s1
	v_mov_b32_e32 v6, s1
	v_add_co_u32_e32 v4, vcc, s0, v4
	v_addc_co_u32_e32 v5, vcc, v6, v5, vcc
	v_add_co_u32_e32 v4, vcc, 8, v4
	v_mov_b32_e32 v12, 0
	v_mov_b32_e32 v10, 0
	v_mov_b32_e32 v18, 0
	v_mov_b32_e32 v14, 0
	v_mov_b32_e32 v8, 0
	v_mov_b32_e32 v6, 0
	v_mov_b32_e32 v20, 0
	v_mov_b32_e32 v16, 0
	v_lshlrev_b32_e32 v24, 4, v0
	v_addc_co_u32_e32 v5, vcc, 0, v5, vcc
	v_mov_b32_e32 v13, 0
	v_mov_b32_e32 v11, 0
	;; [unrolled: 1-line block ×8, first 2 shown]
	s_mov_b64 s[0:1], 0
.LBB1339_2:                             ; =>This Inner Loop Header: Depth=1
	global_load_dwordx4 v[26:29], v[2:3], off offset:-8
	s_add_u32 s0, s0, 8
	v_add_co_u32_e32 v2, vcc, 0x80, v2
	s_addc_u32 s1, s1, 0
	v_addc_co_u32_e32 v3, vcc, 0, v3, vcc
	s_waitcnt vmcnt(0)
	v_xor_b32_e32 v29, 0x80000000, v29
	ds_write_b128 v22, v[26:29]
	global_load_dwordx4 v[26:29], v[4:5], off offset:-8
	v_add_co_u32_e32 v4, vcc, 0x80, v4
	v_addc_co_u32_e32 v5, vcc, 0, v5, vcc
	s_waitcnt vmcnt(0)
	ds_write_b128 v23, v[26:29]
	s_waitcnt lgkmcnt(0)
	s_barrier
	ds_read_b128 v[26:29], v25
	ds_read_b128 v[30:33], v25 offset:16
	ds_read_b128 v[34:37], v25 offset:32
	;; [unrolled: 1-line block ×3, first 2 shown]
	ds_read_b128 v[42:45], v24
	s_waitcnt lgkmcnt(0)
	v_mul_f64 v[46:47], v[28:29], v[44:45]
	v_mul_f64 v[48:49], v[26:27], v[44:45]
	v_fma_f64 v[46:47], v[26:27], v[42:43], -v[46:47]
	v_fma_f64 v[48:49], v[28:29], v[42:43], v[48:49]
	v_add_f64 v[16:17], v[16:17], v[46:47]
	v_add_f64 v[20:21], v[48:49], v[20:21]
	ds_read_b128 v[46:49], v24 offset:256
	s_waitcnt lgkmcnt(0)
	v_mul_f64 v[50:51], v[28:29], v[48:49]
	v_fma_f64 v[50:51], v[26:27], v[46:47], -v[50:51]
	v_mul_f64 v[26:27], v[26:27], v[48:49]
	v_fma_f64 v[26:27], v[28:29], v[46:47], v[26:27]
	v_add_f64 v[28:29], v[6:7], v[50:51]
	v_add_f64 v[26:27], v[26:27], v[8:9]
	ds_read_b128 v[6:9], v25 offset:2048
	s_waitcnt lgkmcnt(0)
	v_mul_f64 v[50:51], v[8:9], v[44:45]
	v_mul_f64 v[44:45], v[6:7], v[44:45]
	v_fma_f64 v[50:51], v[6:7], v[42:43], -v[50:51]
	v_fma_f64 v[42:43], v[8:9], v[42:43], v[44:45]
	v_add_f64 v[44:45], v[14:15], v[50:51]
	v_mul_f64 v[14:15], v[8:9], v[48:49]
	v_add_f64 v[18:19], v[42:43], v[18:19]
	v_fma_f64 v[14:15], v[6:7], v[46:47], -v[14:15]
	v_mul_f64 v[6:7], v[6:7], v[48:49]
	v_add_f64 v[42:43], v[10:11], v[14:15]
	v_fma_f64 v[6:7], v[8:9], v[46:47], v[6:7]
	v_add_f64 v[46:47], v[6:7], v[12:13]
	ds_read_b128 v[6:9], v24 offset:512
	s_waitcnt lgkmcnt(0)
	v_mul_f64 v[10:11], v[32:33], v[8:9]
	v_mul_f64 v[12:13], v[30:31], v[8:9]
	v_fma_f64 v[10:11], v[30:31], v[6:7], -v[10:11]
	v_fma_f64 v[12:13], v[32:33], v[6:7], v[12:13]
	v_add_f64 v[48:49], v[16:17], v[10:11]
	v_add_f64 v[20:21], v[12:13], v[20:21]
	ds_read_b128 v[10:13], v24 offset:768
	s_waitcnt lgkmcnt(0)
	v_mul_f64 v[14:15], v[32:33], v[12:13]
	v_mul_f64 v[16:17], v[30:31], v[12:13]
	v_fma_f64 v[14:15], v[30:31], v[10:11], -v[14:15]
	v_fma_f64 v[16:17], v[32:33], v[10:11], v[16:17]
	v_add_f64 v[28:29], v[28:29], v[14:15]
	v_add_f64 v[26:27], v[16:17], v[26:27]
	ds_read_b128 v[14:17], v25 offset:2064
	s_waitcnt lgkmcnt(0)
	v_mul_f64 v[30:31], v[16:17], v[8:9]
	v_mul_f64 v[8:9], v[14:15], v[8:9]
	v_fma_f64 v[30:31], v[14:15], v[6:7], -v[30:31]
	v_fma_f64 v[6:7], v[16:17], v[6:7], v[8:9]
	v_mul_f64 v[8:9], v[14:15], v[12:13]
	v_add_f64 v[30:31], v[44:45], v[30:31]
	v_add_f64 v[18:19], v[6:7], v[18:19]
	v_mul_f64 v[6:7], v[16:17], v[12:13]
	v_fma_f64 v[8:9], v[16:17], v[10:11], v[8:9]
	v_fma_f64 v[6:7], v[14:15], v[10:11], -v[6:7]
	v_add_f64 v[32:33], v[42:43], v[6:7]
	v_add_f64 v[42:43], v[8:9], v[46:47]
	ds_read_b128 v[6:9], v24 offset:1024
	s_waitcnt lgkmcnt(0)
	v_mul_f64 v[10:11], v[36:37], v[8:9]
	v_mul_f64 v[12:13], v[34:35], v[8:9]
	v_fma_f64 v[10:11], v[34:35], v[6:7], -v[10:11]
	v_fma_f64 v[12:13], v[36:37], v[6:7], v[12:13]
	v_add_f64 v[44:45], v[48:49], v[10:11]
	v_add_f64 v[20:21], v[12:13], v[20:21]
	ds_read_b128 v[10:13], v24 offset:1280
	s_waitcnt lgkmcnt(0)
	v_mul_f64 v[14:15], v[36:37], v[12:13]
	v_mul_f64 v[16:17], v[34:35], v[12:13]
	v_fma_f64 v[14:15], v[34:35], v[10:11], -v[14:15]
	v_fma_f64 v[16:17], v[36:37], v[10:11], v[16:17]
	v_add_f64 v[28:29], v[28:29], v[14:15]
	v_add_f64 v[26:27], v[16:17], v[26:27]
	ds_read_b128 v[14:17], v25 offset:2080
	s_waitcnt lgkmcnt(0)
	v_mul_f64 v[34:35], v[16:17], v[8:9]
	v_mul_f64 v[8:9], v[14:15], v[8:9]
	v_fma_f64 v[34:35], v[14:15], v[6:7], -v[34:35]
	v_fma_f64 v[6:7], v[16:17], v[6:7], v[8:9]
	v_mul_f64 v[8:9], v[14:15], v[12:13]
	v_add_f64 v[30:31], v[30:31], v[34:35]
	v_add_f64 v[18:19], v[6:7], v[18:19]
	v_mul_f64 v[6:7], v[16:17], v[12:13]
	v_fma_f64 v[8:9], v[16:17], v[10:11], v[8:9]
	v_fma_f64 v[6:7], v[14:15], v[10:11], -v[6:7]
	v_add_f64 v[34:35], v[8:9], v[42:43]
	;; [unrolled: 30-line block ×3, first 2 shown]
	v_add_f64 v[32:33], v[32:33], v[6:7]
	ds_read_b128 v[6:9], v25 offset:64
	ds_read_b128 v[10:13], v24 offset:2048
	s_waitcnt lgkmcnt(0)
	v_mul_f64 v[14:15], v[8:9], v[12:13]
	v_mul_f64 v[16:17], v[6:7], v[12:13]
	v_fma_f64 v[14:15], v[6:7], v[10:11], -v[14:15]
	v_fma_f64 v[16:17], v[8:9], v[10:11], v[16:17]
	v_add_f64 v[36:37], v[36:37], v[14:15]
	v_add_f64 v[20:21], v[16:17], v[20:21]
	ds_read_b128 v[14:17], v24 offset:2304
	s_waitcnt lgkmcnt(0)
	v_mul_f64 v[38:39], v[8:9], v[16:17]
	v_fma_f64 v[38:39], v[6:7], v[14:15], -v[38:39]
	v_mul_f64 v[6:7], v[6:7], v[16:17]
	v_add_f64 v[28:29], v[28:29], v[38:39]
	v_fma_f64 v[6:7], v[8:9], v[14:15], v[6:7]
	v_add_f64 v[26:27], v[6:7], v[26:27]
	ds_read_b128 v[6:9], v25 offset:2112
	s_waitcnt lgkmcnt(0)
	v_mul_f64 v[38:39], v[8:9], v[12:13]
	v_mul_f64 v[12:13], v[6:7], v[12:13]
	v_fma_f64 v[38:39], v[6:7], v[10:11], -v[38:39]
	v_fma_f64 v[10:11], v[8:9], v[10:11], v[12:13]
	v_add_f64 v[30:31], v[30:31], v[38:39]
	v_add_f64 v[18:19], v[10:11], v[18:19]
	v_mul_f64 v[10:11], v[8:9], v[16:17]
	v_fma_f64 v[10:11], v[6:7], v[14:15], -v[10:11]
	v_mul_f64 v[6:7], v[6:7], v[16:17]
	v_add_f64 v[32:33], v[32:33], v[10:11]
	v_fma_f64 v[6:7], v[8:9], v[14:15], v[6:7]
	v_add_f64 v[34:35], v[6:7], v[34:35]
	ds_read_b128 v[6:9], v25 offset:80
	ds_read_b128 v[10:13], v24 offset:2560
	s_waitcnt lgkmcnt(0)
	v_mul_f64 v[14:15], v[8:9], v[12:13]
	v_mul_f64 v[16:17], v[6:7], v[12:13]
	v_fma_f64 v[14:15], v[6:7], v[10:11], -v[14:15]
	v_fma_f64 v[16:17], v[8:9], v[10:11], v[16:17]
	v_add_f64 v[36:37], v[36:37], v[14:15]
	v_add_f64 v[20:21], v[16:17], v[20:21]
	ds_read_b128 v[14:17], v24 offset:2816
	s_waitcnt lgkmcnt(0)
	v_mul_f64 v[38:39], v[8:9], v[16:17]
	v_fma_f64 v[38:39], v[6:7], v[14:15], -v[38:39]
	v_mul_f64 v[6:7], v[6:7], v[16:17]
	v_add_f64 v[28:29], v[28:29], v[38:39]
	v_fma_f64 v[6:7], v[8:9], v[14:15], v[6:7]
	v_add_f64 v[26:27], v[6:7], v[26:27]
	ds_read_b128 v[6:9], v25 offset:2128
	s_waitcnt lgkmcnt(0)
	v_mul_f64 v[38:39], v[8:9], v[12:13]
	v_mul_f64 v[12:13], v[6:7], v[12:13]
	v_fma_f64 v[38:39], v[6:7], v[10:11], -v[38:39]
	v_fma_f64 v[10:11], v[8:9], v[10:11], v[12:13]
	v_add_f64 v[30:31], v[30:31], v[38:39]
	v_add_f64 v[18:19], v[10:11], v[18:19]
	v_mul_f64 v[10:11], v[8:9], v[16:17]
	v_fma_f64 v[10:11], v[6:7], v[14:15], -v[10:11]
	v_mul_f64 v[6:7], v[6:7], v[16:17]
	v_add_f64 v[32:33], v[32:33], v[10:11]
	v_fma_f64 v[6:7], v[8:9], v[14:15], v[6:7]
	;; [unrolled: 31-line block ×3, first 2 shown]
	v_add_f64 v[34:35], v[6:7], v[34:35]
	ds_read_b128 v[6:9], v25 offset:112
	ds_read_b128 v[10:13], v24 offset:3584
	;; [unrolled: 1-line block ×3, first 2 shown]
	s_waitcnt lgkmcnt(1)
	v_mul_f64 v[16:17], v[6:7], v[12:13]
	v_mul_f64 v[14:15], v[8:9], v[12:13]
	v_fma_f64 v[26:27], v[8:9], v[10:11], v[16:17]
	v_fma_f64 v[14:15], v[6:7], v[10:11], -v[14:15]
	v_add_f64 v[20:21], v[26:27], v[20:21]
	ds_read_b128 v[26:29], v24 offset:3840
	v_add_f64 v[16:17], v[36:37], v[14:15]
	s_waitcnt lgkmcnt(0)
	s_barrier
	v_mul_f64 v[14:15], v[8:9], v[28:29]
	v_fma_f64 v[14:15], v[6:7], v[26:27], -v[14:15]
	v_mul_f64 v[6:7], v[6:7], v[28:29]
	v_fma_f64 v[8:9], v[8:9], v[26:27], v[6:7]
	v_add_f64 v[6:7], v[38:39], v[14:15]
	v_mul_f64 v[14:15], v[32:33], v[12:13]
	v_mul_f64 v[12:13], v[30:31], v[12:13]
	v_add_f64 v[8:9], v[8:9], v[40:41]
	v_fma_f64 v[14:15], v[30:31], v[10:11], -v[14:15]
	v_fma_f64 v[10:11], v[32:33], v[10:11], v[12:13]
	v_mul_f64 v[12:13], v[30:31], v[28:29]
	v_add_f64 v[14:15], v[42:43], v[14:15]
	v_add_f64 v[18:19], v[10:11], v[18:19]
	v_mul_f64 v[10:11], v[32:33], v[28:29]
	v_fma_f64 v[12:13], v[32:33], v[26:27], v[12:13]
	v_fma_f64 v[10:11], v[30:31], v[26:27], -v[10:11]
	v_add_f64 v[12:13], v[12:13], v[34:35]
	v_mov_b32_e32 v27, s1
	v_mov_b32_e32 v26, s0
	v_cmp_le_u64_e32 vcc, s[12:13], v[26:27]
	v_add_f64 v[10:11], v[44:45], v[10:11]
	s_cbranch_vccz .LBB1339_2
	s_branch .LBB1339_4
.LBB1339_3:
	v_mov_b32_e32 v16, 0
	v_mov_b32_e32 v20, 0
	;; [unrolled: 1-line block ×16, first 2 shown]
.LBB1339_4:
	s_load_dwordx2 s[10:11], s[4:5], 0x70
	s_load_dword s9, s[4:5], 0x0
	s_load_dwordx4 s[0:3], s[4:5], 0x60
	v_add_u32_e32 v4, s7, v1
	v_ashrrev_i32_e32 v1, 31, v4
	s_waitcnt lgkmcnt(0)
	s_mul_i32 s5, s11, s8
	s_mul_hi_u32 s11, s10, s8
	s_mul_i32 s4, s10, s8
	s_add_i32 s5, s11, s5
	v_mul_lo_u32 v3, s2, v1
	v_mul_lo_u32 v5, s3, v4
	v_mad_u64_u32 v[1:2], s[10:11], s2, v4, 0
	s_lshl_b64 s[4:5], s[4:5], 4
	s_add_u32 s8, s0, s4
	v_add3_u32 v2, v2, v3, v5
	v_lshlrev_b64 v[1:2], 4, v[1:2]
	s_addc_u32 s7, s1, s5
	v_mov_b32_e32 v3, s7
	v_add_co_u32_e64 v5, s[0:1], s8, v1
	v_add_u32_e32 v0, s6, v0
	v_addc_co_u32_e64 v22, s[0:1], v3, v2, s[0:1]
	v_cmp_gt_i32_e32 vcc, s9, v4
	v_cmp_le_i32_e64 s[0:1], v0, v4
	s_and_b64 s[0:1], vcc, s[0:1]
	s_and_saveexec_b64 s[4:5], s[0:1]
	s_cbranch_execz .LBB1339_6
; %bb.5:
	v_mul_f64 v[2:3], s[14:15], v[20:21]
	v_mul_f64 v[20:21], s[16:17], v[20:21]
	v_ashrrev_i32_e32 v1, 31, v0
	v_lshlrev_b64 v[25:26], 4, v[0:1]
	v_fma_f64 v[2:3], s[16:17], v[16:17], v[2:3]
	v_fma_f64 v[23:24], s[14:15], v[16:17], -v[20:21]
	v_add_co_u32_e64 v16, s[0:1], v5, v25
	v_addc_co_u32_e64 v17, s[0:1], v22, v26, s[0:1]
	v_cmp_ne_u32_e64 s[0:1], v4, v0
	v_cndmask_b32_e64 v26, 0, v3, s[0:1]
	v_cndmask_b32_e64 v25, 0, v2, s[0:1]
	global_store_dwordx4 v[16:17], v[23:26], off
.LBB1339_6:
	s_or_b64 exec, exec, s[4:5]
	v_add_u32_e32 v2, 16, v0
	v_cmp_le_i32_e64 s[0:1], v2, v4
	s_and_b64 s[4:5], vcc, s[0:1]
	s_and_saveexec_b64 s[0:1], s[4:5]
	s_cbranch_execz .LBB1339_8
; %bb.7:
	v_mul_f64 v[16:17], s[14:15], v[8:9]
	v_mul_f64 v[8:9], s[16:17], v[8:9]
	v_ashrrev_i32_e32 v3, 31, v2
	v_lshlrev_b64 v[20:21], 4, v[2:3]
	v_add_co_u32_e32 v20, vcc, v5, v20
	v_addc_co_u32_e32 v21, vcc, v22, v21, vcc
	v_fma_f64 v[16:17], s[16:17], v[6:7], v[16:17]
	v_fma_f64 v[6:7], s[14:15], v[6:7], -v[8:9]
	v_cmp_ne_u32_e32 vcc, v4, v2
	v_cndmask_b32_e32 v9, 0, v17, vcc
	v_cndmask_b32_e32 v8, 0, v16, vcc
	global_store_dwordx4 v[20:21], v[6:9], off
.LBB1339_8:
	s_or_b64 exec, exec, s[0:1]
	v_add_u32_e32 v3, 16, v4
	v_ashrrev_i32_e32 v1, 31, v3
	v_mul_lo_u32 v1, s2, v1
	v_mul_lo_u32 v7, s3, v3
	v_mad_u64_u32 v[5:6], s[0:1], s2, v3, 0
	v_cmp_gt_i32_e32 vcc, s9, v3
	v_add3_u32 v6, v6, v1, v7
	v_lshlrev_b64 v[5:6], 4, v[5:6]
	v_mov_b32_e32 v1, s7
	v_add_co_u32_e64 v5, s[0:1], s8, v5
	v_addc_co_u32_e64 v6, s[0:1], v1, v6, s[0:1]
	v_cmp_le_i32_e64 s[0:1], v0, v3
	s_and_b64 s[0:1], vcc, s[0:1]
	s_and_saveexec_b64 s[2:3], s[0:1]
	s_cbranch_execz .LBB1339_10
; %bb.9:
	v_mul_f64 v[7:8], s[14:15], v[18:19]
	v_mul_f64 v[16:17], s[16:17], v[18:19]
	v_ashrrev_i32_e32 v1, 31, v0
	v_lshlrev_b64 v[18:19], 4, v[0:1]
	v_add_co_u32_e64 v18, s[0:1], v5, v18
	v_addc_co_u32_e64 v19, s[0:1], v6, v19, s[0:1]
	v_fma_f64 v[7:8], s[16:17], v[14:15], v[7:8]
	v_fma_f64 v[14:15], s[14:15], v[14:15], -v[16:17]
	v_cmp_ne_u32_e64 s[0:1], v3, v0
	v_cndmask_b32_e64 v17, 0, v8, s[0:1]
	v_cndmask_b32_e64 v16, 0, v7, s[0:1]
	global_store_dwordx4 v[18:19], v[14:17], off
.LBB1339_10:
	s_or_b64 exec, exec, s[2:3]
	v_cmp_le_i32_e64 s[0:1], v2, v3
	s_and_b64 s[0:1], vcc, s[0:1]
	s_and_saveexec_b64 s[2:3], s[0:1]
	s_cbranch_execz .LBB1339_12
; %bb.11:
	v_mul_f64 v[7:8], s[14:15], v[12:13]
	v_mul_f64 v[12:13], s[16:17], v[12:13]
	v_ashrrev_i32_e32 v3, 31, v2
	v_lshlrev_b64 v[14:15], 4, v[2:3]
	v_add_co_u32_e32 v5, vcc, v5, v14
	v_addc_co_u32_e32 v6, vcc, v6, v15, vcc
	v_fma_f64 v[7:8], s[16:17], v[10:11], v[7:8]
	v_fma_f64 v[1:2], s[14:15], v[10:11], -v[12:13]
	v_cmp_ne_u32_e32 vcc, v4, v0
	v_cndmask_b32_e32 v4, 0, v8, vcc
	v_cndmask_b32_e32 v3, 0, v7, vcc
	global_store_dwordx4 v[5:6], v[1:4], off
.LBB1339_12:
	s_endpgm
	.section	.rodata,"a",@progbits
	.p2align	6, 0x0
	.amdhsa_kernel _ZL37rocblas_syrkx_herkx_restricted_kernelIl19rocblas_complex_numIdELi16ELi32ELi8ELb1ELb1ELc67ELc85EKS1_S1_EviT_T0_PT8_S3_lS6_S3_lS4_PT9_S3_li
		.amdhsa_group_segment_fixed_size 8192
		.amdhsa_private_segment_fixed_size 0
		.amdhsa_kernarg_size 124
		.amdhsa_user_sgpr_count 6
		.amdhsa_user_sgpr_private_segment_buffer 1
		.amdhsa_user_sgpr_dispatch_ptr 0
		.amdhsa_user_sgpr_queue_ptr 0
		.amdhsa_user_sgpr_kernarg_segment_ptr 1
		.amdhsa_user_sgpr_dispatch_id 0
		.amdhsa_user_sgpr_flat_scratch_init 0
		.amdhsa_user_sgpr_private_segment_size 0
		.amdhsa_uses_dynamic_stack 0
		.amdhsa_system_sgpr_private_segment_wavefront_offset 0
		.amdhsa_system_sgpr_workgroup_id_x 1
		.amdhsa_system_sgpr_workgroup_id_y 1
		.amdhsa_system_sgpr_workgroup_id_z 1
		.amdhsa_system_sgpr_workgroup_info 0
		.amdhsa_system_vgpr_workitem_id 1
		.amdhsa_next_free_vgpr 52
		.amdhsa_next_free_sgpr 61
		.amdhsa_reserve_vcc 1
		.amdhsa_reserve_flat_scratch 0
		.amdhsa_float_round_mode_32 0
		.amdhsa_float_round_mode_16_64 0
		.amdhsa_float_denorm_mode_32 3
		.amdhsa_float_denorm_mode_16_64 3
		.amdhsa_dx10_clamp 1
		.amdhsa_ieee_mode 1
		.amdhsa_fp16_overflow 0
		.amdhsa_exception_fp_ieee_invalid_op 0
		.amdhsa_exception_fp_denorm_src 0
		.amdhsa_exception_fp_ieee_div_zero 0
		.amdhsa_exception_fp_ieee_overflow 0
		.amdhsa_exception_fp_ieee_underflow 0
		.amdhsa_exception_fp_ieee_inexact 0
		.amdhsa_exception_int_div_zero 0
	.end_amdhsa_kernel
	.section	.text._ZL37rocblas_syrkx_herkx_restricted_kernelIl19rocblas_complex_numIdELi16ELi32ELi8ELb1ELb1ELc67ELc85EKS1_S1_EviT_T0_PT8_S3_lS6_S3_lS4_PT9_S3_li,"axG",@progbits,_ZL37rocblas_syrkx_herkx_restricted_kernelIl19rocblas_complex_numIdELi16ELi32ELi8ELb1ELb1ELc67ELc85EKS1_S1_EviT_T0_PT8_S3_lS6_S3_lS4_PT9_S3_li,comdat
.Lfunc_end1339:
	.size	_ZL37rocblas_syrkx_herkx_restricted_kernelIl19rocblas_complex_numIdELi16ELi32ELi8ELb1ELb1ELc67ELc85EKS1_S1_EviT_T0_PT8_S3_lS6_S3_lS4_PT9_S3_li, .Lfunc_end1339-_ZL37rocblas_syrkx_herkx_restricted_kernelIl19rocblas_complex_numIdELi16ELi32ELi8ELb1ELb1ELc67ELc85EKS1_S1_EviT_T0_PT8_S3_lS6_S3_lS4_PT9_S3_li
                                        ; -- End function
	.set _ZL37rocblas_syrkx_herkx_restricted_kernelIl19rocblas_complex_numIdELi16ELi32ELi8ELb1ELb1ELc67ELc85EKS1_S1_EviT_T0_PT8_S3_lS6_S3_lS4_PT9_S3_li.num_vgpr, 52
	.set _ZL37rocblas_syrkx_herkx_restricted_kernelIl19rocblas_complex_numIdELi16ELi32ELi8ELb1ELb1ELc67ELc85EKS1_S1_EviT_T0_PT8_S3_lS6_S3_lS4_PT9_S3_li.num_agpr, 0
	.set _ZL37rocblas_syrkx_herkx_restricted_kernelIl19rocblas_complex_numIdELi16ELi32ELi8ELb1ELb1ELc67ELc85EKS1_S1_EviT_T0_PT8_S3_lS6_S3_lS4_PT9_S3_li.numbered_sgpr, 28
	.set _ZL37rocblas_syrkx_herkx_restricted_kernelIl19rocblas_complex_numIdELi16ELi32ELi8ELb1ELb1ELc67ELc85EKS1_S1_EviT_T0_PT8_S3_lS6_S3_lS4_PT9_S3_li.num_named_barrier, 0
	.set _ZL37rocblas_syrkx_herkx_restricted_kernelIl19rocblas_complex_numIdELi16ELi32ELi8ELb1ELb1ELc67ELc85EKS1_S1_EviT_T0_PT8_S3_lS6_S3_lS4_PT9_S3_li.private_seg_size, 0
	.set _ZL37rocblas_syrkx_herkx_restricted_kernelIl19rocblas_complex_numIdELi16ELi32ELi8ELb1ELb1ELc67ELc85EKS1_S1_EviT_T0_PT8_S3_lS6_S3_lS4_PT9_S3_li.uses_vcc, 1
	.set _ZL37rocblas_syrkx_herkx_restricted_kernelIl19rocblas_complex_numIdELi16ELi32ELi8ELb1ELb1ELc67ELc85EKS1_S1_EviT_T0_PT8_S3_lS6_S3_lS4_PT9_S3_li.uses_flat_scratch, 0
	.set _ZL37rocblas_syrkx_herkx_restricted_kernelIl19rocblas_complex_numIdELi16ELi32ELi8ELb1ELb1ELc67ELc85EKS1_S1_EviT_T0_PT8_S3_lS6_S3_lS4_PT9_S3_li.has_dyn_sized_stack, 0
	.set _ZL37rocblas_syrkx_herkx_restricted_kernelIl19rocblas_complex_numIdELi16ELi32ELi8ELb1ELb1ELc67ELc85EKS1_S1_EviT_T0_PT8_S3_lS6_S3_lS4_PT9_S3_li.has_recursion, 0
	.set _ZL37rocblas_syrkx_herkx_restricted_kernelIl19rocblas_complex_numIdELi16ELi32ELi8ELb1ELb1ELc67ELc85EKS1_S1_EviT_T0_PT8_S3_lS6_S3_lS4_PT9_S3_li.has_indirect_call, 0
	.section	.AMDGPU.csdata,"",@progbits
; Kernel info:
; codeLenInByte = 3084
; TotalNumSgprs: 32
; NumVgprs: 52
; ScratchSize: 0
; MemoryBound: 0
; FloatMode: 240
; IeeeMode: 1
; LDSByteSize: 8192 bytes/workgroup (compile time only)
; SGPRBlocks: 8
; VGPRBlocks: 12
; NumSGPRsForWavesPerEU: 65
; NumVGPRsForWavesPerEU: 52
; Occupancy: 4
; WaveLimiterHint : 1
; COMPUTE_PGM_RSRC2:SCRATCH_EN: 0
; COMPUTE_PGM_RSRC2:USER_SGPR: 6
; COMPUTE_PGM_RSRC2:TRAP_HANDLER: 0
; COMPUTE_PGM_RSRC2:TGID_X_EN: 1
; COMPUTE_PGM_RSRC2:TGID_Y_EN: 1
; COMPUTE_PGM_RSRC2:TGID_Z_EN: 1
; COMPUTE_PGM_RSRC2:TIDIG_COMP_CNT: 1
	.section	.text._ZL37rocblas_syrkx_herkx_restricted_kernelIl19rocblas_complex_numIdELi16ELi32ELi8ELb1ELb1ELc78ELc85EKS1_S1_EviT_T0_PT8_S3_lS6_S3_lS4_PT9_S3_li,"axG",@progbits,_ZL37rocblas_syrkx_herkx_restricted_kernelIl19rocblas_complex_numIdELi16ELi32ELi8ELb1ELb1ELc78ELc85EKS1_S1_EviT_T0_PT8_S3_lS6_S3_lS4_PT9_S3_li,comdat
	.globl	_ZL37rocblas_syrkx_herkx_restricted_kernelIl19rocblas_complex_numIdELi16ELi32ELi8ELb1ELb1ELc78ELc85EKS1_S1_EviT_T0_PT8_S3_lS6_S3_lS4_PT9_S3_li ; -- Begin function _ZL37rocblas_syrkx_herkx_restricted_kernelIl19rocblas_complex_numIdELi16ELi32ELi8ELb1ELb1ELc78ELc85EKS1_S1_EviT_T0_PT8_S3_lS6_S3_lS4_PT9_S3_li
	.p2align	8
	.type	_ZL37rocblas_syrkx_herkx_restricted_kernelIl19rocblas_complex_numIdELi16ELi32ELi8ELb1ELb1ELc78ELc85EKS1_S1_EviT_T0_PT8_S3_lS6_S3_lS4_PT9_S3_li,@function
_ZL37rocblas_syrkx_herkx_restricted_kernelIl19rocblas_complex_numIdELi16ELi32ELi8ELb1ELb1ELc78ELc85EKS1_S1_EviT_T0_PT8_S3_lS6_S3_lS4_PT9_S3_li: ; @_ZL37rocblas_syrkx_herkx_restricted_kernelIl19rocblas_complex_numIdELi16ELi32ELi8ELb1ELb1ELc78ELc85EKS1_S1_EviT_T0_PT8_S3_lS6_S3_lS4_PT9_S3_li
; %bb.0:
	s_load_dwordx16 s[12:27], s[4:5], 0x8
	s_lshl_b32 s9, s6, 5
	s_lshl_b32 s10, s7, 5
	s_waitcnt lgkmcnt(0)
	v_cmp_lt_i64_e64 s[0:1], s[12:13], 1
	s_and_b64 vcc, exec, s[0:1]
	s_cbranch_vccnz .LBB1340_3
; %bb.1:
	v_lshl_add_u32 v6, v1, 4, v0
	v_lshrrev_b32_e32 v7, 3, v6
	v_add_u32_e32 v2, s10, v7
	v_and_b32_e32 v8, 7, v0
	v_ashrrev_i32_e32 v3, 31, v2
	v_mad_u64_u32 v[4:5], s[0:1], s26, v8, v[2:3]
	v_lshrrev_b32_e32 v9, 5, v6
	s_load_dwordx2 s[2:3], s[4:5], 0x48
	v_mov_b32_e32 v2, v5
	v_mad_u64_u32 v[2:3], s[0:1], s27, v8, v[2:3]
	v_and_b32_e32 v3, 31, v6
	v_mov_b32_e32 v6, 0x1000
	v_mov_b32_e32 v5, v2
	v_lshlrev_b32_e32 v2, 4, v3
	v_lshl_or_b32 v22, v9, 9, v2
	v_lshlrev_b32_e32 v2, 4, v8
	v_lshl_or_b32 v2, v7, 7, v2
	v_add_u32_e32 v23, 0x1000, v2
	v_add_u32_e32 v2, s9, v3
	v_ashrrev_i32_e32 v3, 31, v2
	v_mad_u64_u32 v[2:3], s[0:1], s20, v9, v[2:3]
	v_lshl_add_u32 v25, v1, 7, v6
	s_mul_i32 s6, s23, s8
	v_mad_u64_u32 v[6:7], s[0:1], s21, v9, v[3:4]
	s_mul_hi_u32 s7, s22, s8
	s_add_i32 s1, s7, s6
	s_mul_i32 s0, s22, s8
	s_lshl_b64 s[0:1], s[0:1], 4
	v_mov_b32_e32 v3, v6
	v_lshlrev_b64 v[2:3], 4, v[2:3]
	s_add_u32 s0, s18, s0
	s_addc_u32 s1, s19, s1
	s_waitcnt lgkmcnt(0)
	s_mul_i32 s3, s3, s8
	s_mul_hi_u32 s6, s2, s8
	v_mov_b32_e32 v6, s1
	v_add_co_u32_e32 v2, vcc, s0, v2
	s_add_i32 s3, s6, s3
	s_mul_i32 s2, s2, s8
	v_addc_co_u32_e32 v3, vcc, v6, v3, vcc
	s_lshl_b64 s[0:1], s[20:21], 7
	s_lshl_b64 s[2:3], s[2:3], 4
	v_add_co_u32_e32 v2, vcc, 8, v2
	v_lshlrev_b64 v[4:5], 4, v[4:5]
	s_add_u32 s2, s24, s2
	v_addc_co_u32_e32 v3, vcc, 0, v3, vcc
	s_addc_u32 s3, s25, s3
	v_mov_b32_e32 v6, s3
	v_add_co_u32_e32 v4, vcc, s2, v4
	v_addc_co_u32_e32 v5, vcc, v6, v5, vcc
	v_add_co_u32_e32 v4, vcc, 8, v4
	s_lshl_b64 s[2:3], s[26:27], 7
	v_mov_b32_e32 v12, 0
	v_mov_b32_e32 v10, 0
	;; [unrolled: 1-line block ×8, first 2 shown]
	v_lshlrev_b32_e32 v24, 4, v0
	v_addc_co_u32_e32 v5, vcc, 0, v5, vcc
	v_mov_b32_e32 v13, 0
	s_mov_b64 s[6:7], 0
	v_mov_b32_e32 v26, s1
	v_mov_b32_e32 v11, 0
	;; [unrolled: 1-line block ×9, first 2 shown]
.LBB1340_2:                             ; =>This Inner Loop Header: Depth=1
	global_load_dwordx4 v[28:31], v[2:3], off offset:-8
	s_add_u32 s6, s6, 8
	v_add_co_u32_e32 v2, vcc, s0, v2
	s_addc_u32 s7, s7, 0
	v_addc_co_u32_e32 v3, vcc, v3, v26, vcc
	s_waitcnt vmcnt(0)
	ds_write_b128 v22, v[28:31]
	global_load_dwordx4 v[28:31], v[4:5], off offset:-8
	v_add_co_u32_e32 v4, vcc, s2, v4
	v_addc_co_u32_e32 v5, vcc, v5, v27, vcc
	s_waitcnt vmcnt(0)
	v_xor_b32_e32 v31, 0x80000000, v31
	ds_write_b128 v23, v[28:31]
	s_waitcnt lgkmcnt(0)
	s_barrier
	ds_read_b128 v[28:31], v25
	ds_read_b128 v[32:35], v25 offset:16
	ds_read_b128 v[36:39], v25 offset:32
	ds_read_b128 v[40:43], v25 offset:48
	ds_read_b128 v[44:47], v24
	s_waitcnt lgkmcnt(0)
	v_mul_f64 v[48:49], v[30:31], v[46:47]
	v_mul_f64 v[50:51], v[28:29], v[46:47]
	v_fma_f64 v[48:49], v[28:29], v[44:45], -v[48:49]
	v_fma_f64 v[50:51], v[30:31], v[44:45], v[50:51]
	v_add_f64 v[48:49], v[18:19], v[48:49]
	v_add_f64 v[50:51], v[50:51], v[20:21]
	ds_read_b128 v[18:21], v24 offset:256
	s_waitcnt lgkmcnt(0)
	v_mul_f64 v[52:53], v[30:31], v[20:21]
	v_fma_f64 v[52:53], v[28:29], v[18:19], -v[52:53]
	v_mul_f64 v[28:29], v[28:29], v[20:21]
	v_fma_f64 v[28:29], v[30:31], v[18:19], v[28:29]
	v_add_f64 v[30:31], v[6:7], v[52:53]
	v_add_f64 v[28:29], v[28:29], v[8:9]
	ds_read_b128 v[6:9], v25 offset:2048
	s_waitcnt lgkmcnt(0)
	v_mul_f64 v[52:53], v[8:9], v[46:47]
	v_mul_f64 v[46:47], v[6:7], v[46:47]
	v_fma_f64 v[52:53], v[6:7], v[44:45], -v[52:53]
	v_fma_f64 v[44:45], v[8:9], v[44:45], v[46:47]
	v_add_f64 v[46:47], v[14:15], v[52:53]
	v_mul_f64 v[14:15], v[8:9], v[20:21]
	v_add_f64 v[44:45], v[44:45], v[16:17]
	v_fma_f64 v[14:15], v[6:7], v[18:19], -v[14:15]
	v_mul_f64 v[6:7], v[6:7], v[20:21]
	v_fma_f64 v[6:7], v[8:9], v[18:19], v[6:7]
	v_add_f64 v[18:19], v[10:11], v[14:15]
	v_add_f64 v[20:21], v[6:7], v[12:13]
	ds_read_b128 v[6:9], v24 offset:512
	s_waitcnt lgkmcnt(0)
	v_mul_f64 v[10:11], v[34:35], v[8:9]
	v_mul_f64 v[12:13], v[32:33], v[8:9]
	v_fma_f64 v[10:11], v[32:33], v[6:7], -v[10:11]
	v_fma_f64 v[12:13], v[34:35], v[6:7], v[12:13]
	v_add_f64 v[48:49], v[48:49], v[10:11]
	v_add_f64 v[50:51], v[12:13], v[50:51]
	ds_read_b128 v[10:13], v24 offset:768
	s_waitcnt lgkmcnt(0)
	v_mul_f64 v[14:15], v[34:35], v[12:13]
	v_mul_f64 v[16:17], v[32:33], v[12:13]
	v_fma_f64 v[14:15], v[32:33], v[10:11], -v[14:15]
	;; [unrolled: 8-line block ×3, first 2 shown]
	v_fma_f64 v[6:7], v[16:17], v[6:7], v[8:9]
	v_mul_f64 v[8:9], v[14:15], v[12:13]
	v_add_f64 v[32:33], v[46:47], v[32:33]
	v_add_f64 v[34:35], v[6:7], v[44:45]
	v_mul_f64 v[6:7], v[16:17], v[12:13]
	v_fma_f64 v[8:9], v[16:17], v[10:11], v[8:9]
	v_fma_f64 v[6:7], v[14:15], v[10:11], -v[6:7]
	v_add_f64 v[20:21], v[8:9], v[20:21]
	v_add_f64 v[18:19], v[18:19], v[6:7]
	ds_read_b128 v[6:9], v24 offset:1024
	s_waitcnt lgkmcnt(0)
	v_mul_f64 v[10:11], v[38:39], v[8:9]
	v_mul_f64 v[12:13], v[36:37], v[8:9]
	v_fma_f64 v[10:11], v[36:37], v[6:7], -v[10:11]
	v_fma_f64 v[12:13], v[38:39], v[6:7], v[12:13]
	v_add_f64 v[44:45], v[48:49], v[10:11]
	v_add_f64 v[46:47], v[12:13], v[50:51]
	ds_read_b128 v[10:13], v24 offset:1280
	s_waitcnt lgkmcnt(0)
	v_mul_f64 v[14:15], v[38:39], v[12:13]
	v_mul_f64 v[16:17], v[36:37], v[12:13]
	v_fma_f64 v[14:15], v[36:37], v[10:11], -v[14:15]
	v_fma_f64 v[16:17], v[38:39], v[10:11], v[16:17]
	;; [unrolled: 8-line block ×3, first 2 shown]
	v_mul_f64 v[8:9], v[14:15], v[12:13]
	v_add_f64 v[32:33], v[32:33], v[36:37]
	v_add_f64 v[34:35], v[6:7], v[34:35]
	v_mul_f64 v[6:7], v[16:17], v[12:13]
	v_fma_f64 v[8:9], v[16:17], v[10:11], v[8:9]
	v_fma_f64 v[6:7], v[14:15], v[10:11], -v[6:7]
	v_add_f64 v[20:21], v[8:9], v[20:21]
	v_add_f64 v[18:19], v[18:19], v[6:7]
	ds_read_b128 v[6:9], v24 offset:1536
	s_waitcnt lgkmcnt(0)
	v_mul_f64 v[10:11], v[42:43], v[8:9]
	v_mul_f64 v[12:13], v[40:41], v[8:9]
	v_fma_f64 v[10:11], v[40:41], v[6:7], -v[10:11]
	v_fma_f64 v[12:13], v[42:43], v[6:7], v[12:13]
	v_add_f64 v[36:37], v[44:45], v[10:11]
	v_add_f64 v[38:39], v[12:13], v[46:47]
	ds_read_b128 v[10:13], v24 offset:1792
	s_waitcnt lgkmcnt(0)
	v_mul_f64 v[14:15], v[42:43], v[12:13]
	v_mul_f64 v[16:17], v[40:41], v[12:13]
	v_fma_f64 v[14:15], v[40:41], v[10:11], -v[14:15]
	v_fma_f64 v[16:17], v[42:43], v[10:11], v[16:17]
	;; [unrolled: 8-line block ×3, first 2 shown]
	v_mul_f64 v[8:9], v[14:15], v[12:13]
	v_add_f64 v[32:33], v[32:33], v[40:41]
	v_add_f64 v[34:35], v[6:7], v[34:35]
	v_mul_f64 v[6:7], v[16:17], v[12:13]
	v_fma_f64 v[8:9], v[16:17], v[10:11], v[8:9]
	v_fma_f64 v[6:7], v[14:15], v[10:11], -v[6:7]
	v_add_f64 v[20:21], v[8:9], v[20:21]
	v_add_f64 v[18:19], v[18:19], v[6:7]
	ds_read_b128 v[6:9], v25 offset:64
	ds_read_b128 v[10:13], v24 offset:2048
	s_waitcnt lgkmcnt(0)
	v_mul_f64 v[14:15], v[8:9], v[12:13]
	v_mul_f64 v[16:17], v[6:7], v[12:13]
	v_fma_f64 v[14:15], v[6:7], v[10:11], -v[14:15]
	v_fma_f64 v[16:17], v[8:9], v[10:11], v[16:17]
	v_add_f64 v[36:37], v[36:37], v[14:15]
	v_add_f64 v[38:39], v[16:17], v[38:39]
	ds_read_b128 v[14:17], v24 offset:2304
	s_waitcnt lgkmcnt(0)
	v_mul_f64 v[40:41], v[8:9], v[16:17]
	v_fma_f64 v[40:41], v[6:7], v[14:15], -v[40:41]
	v_mul_f64 v[6:7], v[6:7], v[16:17]
	v_add_f64 v[30:31], v[30:31], v[40:41]
	v_fma_f64 v[6:7], v[8:9], v[14:15], v[6:7]
	v_add_f64 v[28:29], v[6:7], v[28:29]
	ds_read_b128 v[6:9], v25 offset:2112
	s_waitcnt lgkmcnt(0)
	v_mul_f64 v[40:41], v[8:9], v[12:13]
	v_mul_f64 v[12:13], v[6:7], v[12:13]
	v_fma_f64 v[40:41], v[6:7], v[10:11], -v[40:41]
	v_fma_f64 v[10:11], v[8:9], v[10:11], v[12:13]
	v_add_f64 v[32:33], v[32:33], v[40:41]
	v_add_f64 v[34:35], v[10:11], v[34:35]
	v_mul_f64 v[10:11], v[8:9], v[16:17]
	v_fma_f64 v[10:11], v[6:7], v[14:15], -v[10:11]
	v_mul_f64 v[6:7], v[6:7], v[16:17]
	v_add_f64 v[18:19], v[18:19], v[10:11]
	v_fma_f64 v[6:7], v[8:9], v[14:15], v[6:7]
	v_add_f64 v[20:21], v[6:7], v[20:21]
	ds_read_b128 v[6:9], v25 offset:80
	ds_read_b128 v[10:13], v24 offset:2560
	s_waitcnt lgkmcnt(0)
	v_mul_f64 v[14:15], v[8:9], v[12:13]
	v_mul_f64 v[16:17], v[6:7], v[12:13]
	v_fma_f64 v[14:15], v[6:7], v[10:11], -v[14:15]
	v_fma_f64 v[16:17], v[8:9], v[10:11], v[16:17]
	v_add_f64 v[36:37], v[36:37], v[14:15]
	v_add_f64 v[38:39], v[16:17], v[38:39]
	ds_read_b128 v[14:17], v24 offset:2816
	s_waitcnt lgkmcnt(0)
	v_mul_f64 v[40:41], v[8:9], v[16:17]
	v_fma_f64 v[40:41], v[6:7], v[14:15], -v[40:41]
	v_mul_f64 v[6:7], v[6:7], v[16:17]
	v_add_f64 v[30:31], v[30:31], v[40:41]
	v_fma_f64 v[6:7], v[8:9], v[14:15], v[6:7]
	v_add_f64 v[28:29], v[6:7], v[28:29]
	ds_read_b128 v[6:9], v25 offset:2128
	s_waitcnt lgkmcnt(0)
	v_mul_f64 v[40:41], v[8:9], v[12:13]
	v_mul_f64 v[12:13], v[6:7], v[12:13]
	v_fma_f64 v[40:41], v[6:7], v[10:11], -v[40:41]
	v_fma_f64 v[10:11], v[8:9], v[10:11], v[12:13]
	v_add_f64 v[32:33], v[32:33], v[40:41]
	v_add_f64 v[34:35], v[10:11], v[34:35]
	v_mul_f64 v[10:11], v[8:9], v[16:17]
	v_fma_f64 v[10:11], v[6:7], v[14:15], -v[10:11]
	v_mul_f64 v[6:7], v[6:7], v[16:17]
	v_add_f64 v[18:19], v[18:19], v[10:11]
	v_fma_f64 v[6:7], v[8:9], v[14:15], v[6:7]
	;; [unrolled: 31-line block ×3, first 2 shown]
	v_add_f64 v[50:51], v[6:7], v[20:21]
	ds_read_b128 v[6:9], v25 offset:112
	ds_read_b128 v[10:13], v24 offset:3584
	;; [unrolled: 1-line block ×4, first 2 shown]
	s_waitcnt lgkmcnt(0)
	s_barrier
	v_mul_f64 v[14:15], v[8:9], v[12:13]
	v_mul_f64 v[16:17], v[6:7], v[12:13]
	v_fma_f64 v[14:15], v[6:7], v[10:11], -v[14:15]
	v_fma_f64 v[16:17], v[8:9], v[10:11], v[16:17]
	v_add_f64 v[18:19], v[36:37], v[14:15]
	v_mul_f64 v[14:15], v[8:9], v[30:31]
	v_add_f64 v[20:21], v[16:17], v[38:39]
	v_fma_f64 v[14:15], v[6:7], v[28:29], -v[14:15]
	v_mul_f64 v[6:7], v[6:7], v[30:31]
	v_fma_f64 v[8:9], v[8:9], v[28:29], v[6:7]
	v_add_f64 v[6:7], v[40:41], v[14:15]
	v_mul_f64 v[14:15], v[34:35], v[12:13]
	v_mul_f64 v[12:13], v[32:33], v[12:13]
	v_add_f64 v[8:9], v[8:9], v[42:43]
	v_fma_f64 v[14:15], v[32:33], v[10:11], -v[14:15]
	v_fma_f64 v[10:11], v[34:35], v[10:11], v[12:13]
	v_mul_f64 v[12:13], v[32:33], v[30:31]
	v_add_f64 v[14:15], v[44:45], v[14:15]
	v_add_f64 v[16:17], v[10:11], v[46:47]
	v_mul_f64 v[10:11], v[34:35], v[30:31]
	v_fma_f64 v[12:13], v[34:35], v[28:29], v[12:13]
	v_fma_f64 v[10:11], v[32:33], v[28:29], -v[10:11]
	v_add_f64 v[12:13], v[12:13], v[50:51]
	v_mov_b32_e32 v29, s7
	v_mov_b32_e32 v28, s6
	v_cmp_le_u64_e32 vcc, s[12:13], v[28:29]
	v_add_f64 v[10:11], v[48:49], v[10:11]
	s_cbranch_vccz .LBB1340_2
	s_branch .LBB1340_4
.LBB1340_3:
	v_mov_b32_e32 v18, 0
	v_mov_b32_e32 v20, 0
	;; [unrolled: 1-line block ×16, first 2 shown]
.LBB1340_4:
	s_load_dwordx2 s[12:13], s[4:5], 0x70
	s_load_dword s6, s[4:5], 0x0
	s_load_dwordx4 s[0:3], s[4:5], 0x60
	v_add_u32_e32 v4, s10, v1
	v_ashrrev_i32_e32 v1, 31, v4
	s_waitcnt lgkmcnt(0)
	s_mul_i32 s5, s13, s8
	s_mul_hi_u32 s7, s12, s8
	v_mul_lo_u32 v3, s2, v1
	v_mul_lo_u32 v5, s3, v4
	v_mad_u64_u32 v[1:2], s[10:11], s2, v4, 0
	s_mul_i32 s4, s12, s8
	s_add_i32 s5, s7, s5
	s_lshl_b64 s[4:5], s[4:5], 4
	v_add3_u32 v2, v2, v3, v5
	s_add_u32 s7, s0, s4
	v_lshlrev_b64 v[1:2], 4, v[1:2]
	s_addc_u32 s8, s1, s5
	v_mov_b32_e32 v3, s8
	v_add_co_u32_e64 v5, s[0:1], s7, v1
	v_add_u32_e32 v0, s9, v0
	v_addc_co_u32_e64 v22, s[0:1], v3, v2, s[0:1]
	v_cmp_gt_i32_e32 vcc, s6, v4
	v_cmp_le_i32_e64 s[0:1], v0, v4
	s_and_b64 s[0:1], vcc, s[0:1]
	s_and_saveexec_b64 s[4:5], s[0:1]
	s_cbranch_execz .LBB1340_6
; %bb.5:
	v_mul_f64 v[2:3], s[14:15], v[20:21]
	v_mul_f64 v[20:21], s[16:17], v[20:21]
	v_ashrrev_i32_e32 v1, 31, v0
	v_lshlrev_b64 v[23:24], 4, v[0:1]
	v_add_co_u32_e64 v23, s[0:1], v5, v23
	v_addc_co_u32_e64 v24, s[0:1], v22, v24, s[0:1]
	v_fma_f64 v[2:3], s[16:17], v[18:19], v[2:3]
	v_fma_f64 v[18:19], s[14:15], v[18:19], -v[20:21]
	v_cmp_ne_u32_e64 s[0:1], v4, v0
	v_cndmask_b32_e64 v21, 0, v3, s[0:1]
	v_cndmask_b32_e64 v20, 0, v2, s[0:1]
	global_store_dwordx4 v[23:24], v[18:21], off
.LBB1340_6:
	s_or_b64 exec, exec, s[4:5]
	v_add_u32_e32 v2, 16, v0
	v_cmp_le_i32_e64 s[0:1], v2, v4
	s_and_b64 s[4:5], vcc, s[0:1]
	s_and_saveexec_b64 s[0:1], s[4:5]
	s_cbranch_execz .LBB1340_8
; %bb.7:
	v_mul_f64 v[18:19], s[14:15], v[8:9]
	v_mul_f64 v[8:9], s[16:17], v[8:9]
	v_ashrrev_i32_e32 v3, 31, v2
	v_lshlrev_b64 v[20:21], 4, v[2:3]
	v_add_co_u32_e32 v20, vcc, v5, v20
	v_addc_co_u32_e32 v21, vcc, v22, v21, vcc
	v_fma_f64 v[18:19], s[16:17], v[6:7], v[18:19]
	v_fma_f64 v[6:7], s[14:15], v[6:7], -v[8:9]
	v_cmp_ne_u32_e32 vcc, v4, v2
	v_cndmask_b32_e32 v9, 0, v19, vcc
	v_cndmask_b32_e32 v8, 0, v18, vcc
	global_store_dwordx4 v[20:21], v[6:9], off
.LBB1340_8:
	s_or_b64 exec, exec, s[0:1]
	v_add_u32_e32 v3, 16, v4
	v_ashrrev_i32_e32 v1, 31, v3
	v_mul_lo_u32 v1, s2, v1
	v_mul_lo_u32 v7, s3, v3
	v_mad_u64_u32 v[5:6], s[0:1], s2, v3, 0
	v_cmp_gt_i32_e32 vcc, s6, v3
	v_add3_u32 v6, v6, v1, v7
	v_lshlrev_b64 v[5:6], 4, v[5:6]
	v_mov_b32_e32 v1, s8
	v_add_co_u32_e64 v5, s[0:1], s7, v5
	v_addc_co_u32_e64 v6, s[0:1], v1, v6, s[0:1]
	v_cmp_le_i32_e64 s[0:1], v0, v3
	s_and_b64 s[0:1], vcc, s[0:1]
	s_and_saveexec_b64 s[2:3], s[0:1]
	s_cbranch_execz .LBB1340_10
; %bb.9:
	v_mul_f64 v[7:8], s[14:15], v[16:17]
	v_mul_f64 v[16:17], s[16:17], v[16:17]
	v_ashrrev_i32_e32 v1, 31, v0
	v_lshlrev_b64 v[18:19], 4, v[0:1]
	v_add_co_u32_e64 v18, s[0:1], v5, v18
	v_addc_co_u32_e64 v19, s[0:1], v6, v19, s[0:1]
	v_fma_f64 v[7:8], s[16:17], v[14:15], v[7:8]
	v_fma_f64 v[14:15], s[14:15], v[14:15], -v[16:17]
	v_cmp_ne_u32_e64 s[0:1], v3, v0
	v_cndmask_b32_e64 v17, 0, v8, s[0:1]
	v_cndmask_b32_e64 v16, 0, v7, s[0:1]
	global_store_dwordx4 v[18:19], v[14:17], off
.LBB1340_10:
	s_or_b64 exec, exec, s[2:3]
	v_cmp_le_i32_e64 s[0:1], v2, v3
	s_and_b64 s[0:1], vcc, s[0:1]
	s_and_saveexec_b64 s[2:3], s[0:1]
	s_cbranch_execz .LBB1340_12
; %bb.11:
	v_mul_f64 v[7:8], s[14:15], v[12:13]
	v_mul_f64 v[12:13], s[16:17], v[12:13]
	v_ashrrev_i32_e32 v3, 31, v2
	v_lshlrev_b64 v[14:15], 4, v[2:3]
	v_add_co_u32_e32 v5, vcc, v5, v14
	v_addc_co_u32_e32 v6, vcc, v6, v15, vcc
	v_fma_f64 v[7:8], s[16:17], v[10:11], v[7:8]
	v_fma_f64 v[1:2], s[14:15], v[10:11], -v[12:13]
	v_cmp_ne_u32_e32 vcc, v4, v0
	v_cndmask_b32_e32 v4, 0, v8, vcc
	v_cndmask_b32_e32 v3, 0, v7, vcc
	global_store_dwordx4 v[5:6], v[1:4], off
.LBB1340_12:
	s_endpgm
	.section	.rodata,"a",@progbits
	.p2align	6, 0x0
	.amdhsa_kernel _ZL37rocblas_syrkx_herkx_restricted_kernelIl19rocblas_complex_numIdELi16ELi32ELi8ELb1ELb1ELc78ELc85EKS1_S1_EviT_T0_PT8_S3_lS6_S3_lS4_PT9_S3_li
		.amdhsa_group_segment_fixed_size 8192
		.amdhsa_private_segment_fixed_size 0
		.amdhsa_kernarg_size 124
		.amdhsa_user_sgpr_count 6
		.amdhsa_user_sgpr_private_segment_buffer 1
		.amdhsa_user_sgpr_dispatch_ptr 0
		.amdhsa_user_sgpr_queue_ptr 0
		.amdhsa_user_sgpr_kernarg_segment_ptr 1
		.amdhsa_user_sgpr_dispatch_id 0
		.amdhsa_user_sgpr_flat_scratch_init 0
		.amdhsa_user_sgpr_private_segment_size 0
		.amdhsa_uses_dynamic_stack 0
		.amdhsa_system_sgpr_private_segment_wavefront_offset 0
		.amdhsa_system_sgpr_workgroup_id_x 1
		.amdhsa_system_sgpr_workgroup_id_y 1
		.amdhsa_system_sgpr_workgroup_id_z 1
		.amdhsa_system_sgpr_workgroup_info 0
		.amdhsa_system_vgpr_workitem_id 1
		.amdhsa_next_free_vgpr 54
		.amdhsa_next_free_sgpr 61
		.amdhsa_reserve_vcc 1
		.amdhsa_reserve_flat_scratch 0
		.amdhsa_float_round_mode_32 0
		.amdhsa_float_round_mode_16_64 0
		.amdhsa_float_denorm_mode_32 3
		.amdhsa_float_denorm_mode_16_64 3
		.amdhsa_dx10_clamp 1
		.amdhsa_ieee_mode 1
		.amdhsa_fp16_overflow 0
		.amdhsa_exception_fp_ieee_invalid_op 0
		.amdhsa_exception_fp_denorm_src 0
		.amdhsa_exception_fp_ieee_div_zero 0
		.amdhsa_exception_fp_ieee_overflow 0
		.amdhsa_exception_fp_ieee_underflow 0
		.amdhsa_exception_fp_ieee_inexact 0
		.amdhsa_exception_int_div_zero 0
	.end_amdhsa_kernel
	.section	.text._ZL37rocblas_syrkx_herkx_restricted_kernelIl19rocblas_complex_numIdELi16ELi32ELi8ELb1ELb1ELc78ELc85EKS1_S1_EviT_T0_PT8_S3_lS6_S3_lS4_PT9_S3_li,"axG",@progbits,_ZL37rocblas_syrkx_herkx_restricted_kernelIl19rocblas_complex_numIdELi16ELi32ELi8ELb1ELb1ELc78ELc85EKS1_S1_EviT_T0_PT8_S3_lS6_S3_lS4_PT9_S3_li,comdat
.Lfunc_end1340:
	.size	_ZL37rocblas_syrkx_herkx_restricted_kernelIl19rocblas_complex_numIdELi16ELi32ELi8ELb1ELb1ELc78ELc85EKS1_S1_EviT_T0_PT8_S3_lS6_S3_lS4_PT9_S3_li, .Lfunc_end1340-_ZL37rocblas_syrkx_herkx_restricted_kernelIl19rocblas_complex_numIdELi16ELi32ELi8ELb1ELb1ELc78ELc85EKS1_S1_EviT_T0_PT8_S3_lS6_S3_lS4_PT9_S3_li
                                        ; -- End function
	.set _ZL37rocblas_syrkx_herkx_restricted_kernelIl19rocblas_complex_numIdELi16ELi32ELi8ELb1ELb1ELc78ELc85EKS1_S1_EviT_T0_PT8_S3_lS6_S3_lS4_PT9_S3_li.num_vgpr, 54
	.set _ZL37rocblas_syrkx_herkx_restricted_kernelIl19rocblas_complex_numIdELi16ELi32ELi8ELb1ELb1ELc78ELc85EKS1_S1_EviT_T0_PT8_S3_lS6_S3_lS4_PT9_S3_li.num_agpr, 0
	.set _ZL37rocblas_syrkx_herkx_restricted_kernelIl19rocblas_complex_numIdELi16ELi32ELi8ELb1ELb1ELc78ELc85EKS1_S1_EviT_T0_PT8_S3_lS6_S3_lS4_PT9_S3_li.numbered_sgpr, 28
	.set _ZL37rocblas_syrkx_herkx_restricted_kernelIl19rocblas_complex_numIdELi16ELi32ELi8ELb1ELb1ELc78ELc85EKS1_S1_EviT_T0_PT8_S3_lS6_S3_lS4_PT9_S3_li.num_named_barrier, 0
	.set _ZL37rocblas_syrkx_herkx_restricted_kernelIl19rocblas_complex_numIdELi16ELi32ELi8ELb1ELb1ELc78ELc85EKS1_S1_EviT_T0_PT8_S3_lS6_S3_lS4_PT9_S3_li.private_seg_size, 0
	.set _ZL37rocblas_syrkx_herkx_restricted_kernelIl19rocblas_complex_numIdELi16ELi32ELi8ELb1ELb1ELc78ELc85EKS1_S1_EviT_T0_PT8_S3_lS6_S3_lS4_PT9_S3_li.uses_vcc, 1
	.set _ZL37rocblas_syrkx_herkx_restricted_kernelIl19rocblas_complex_numIdELi16ELi32ELi8ELb1ELb1ELc78ELc85EKS1_S1_EviT_T0_PT8_S3_lS6_S3_lS4_PT9_S3_li.uses_flat_scratch, 0
	.set _ZL37rocblas_syrkx_herkx_restricted_kernelIl19rocblas_complex_numIdELi16ELi32ELi8ELb1ELb1ELc78ELc85EKS1_S1_EviT_T0_PT8_S3_lS6_S3_lS4_PT9_S3_li.has_dyn_sized_stack, 0
	.set _ZL37rocblas_syrkx_herkx_restricted_kernelIl19rocblas_complex_numIdELi16ELi32ELi8ELb1ELb1ELc78ELc85EKS1_S1_EviT_T0_PT8_S3_lS6_S3_lS4_PT9_S3_li.has_recursion, 0
	.set _ZL37rocblas_syrkx_herkx_restricted_kernelIl19rocblas_complex_numIdELi16ELi32ELi8ELb1ELb1ELc78ELc85EKS1_S1_EviT_T0_PT8_S3_lS6_S3_lS4_PT9_S3_li.has_indirect_call, 0
	.section	.AMDGPU.csdata,"",@progbits
; Kernel info:
; codeLenInByte = 3060
; TotalNumSgprs: 32
; NumVgprs: 54
; ScratchSize: 0
; MemoryBound: 0
; FloatMode: 240
; IeeeMode: 1
; LDSByteSize: 8192 bytes/workgroup (compile time only)
; SGPRBlocks: 8
; VGPRBlocks: 13
; NumSGPRsForWavesPerEU: 65
; NumVGPRsForWavesPerEU: 54
; Occupancy: 4
; WaveLimiterHint : 1
; COMPUTE_PGM_RSRC2:SCRATCH_EN: 0
; COMPUTE_PGM_RSRC2:USER_SGPR: 6
; COMPUTE_PGM_RSRC2:TRAP_HANDLER: 0
; COMPUTE_PGM_RSRC2:TGID_X_EN: 1
; COMPUTE_PGM_RSRC2:TGID_Y_EN: 1
; COMPUTE_PGM_RSRC2:TGID_Z_EN: 1
; COMPUTE_PGM_RSRC2:TIDIG_COMP_CNT: 1
	.section	.text._ZL37rocblas_syrkx_herkx_restricted_kernelIl19rocblas_complex_numIdELi16ELi32ELi8ELb0ELb1ELc84ELc76EKS1_S1_EviT_T0_PT8_S3_lS6_S3_lS4_PT9_S3_li,"axG",@progbits,_ZL37rocblas_syrkx_herkx_restricted_kernelIl19rocblas_complex_numIdELi16ELi32ELi8ELb0ELb1ELc84ELc76EKS1_S1_EviT_T0_PT8_S3_lS6_S3_lS4_PT9_S3_li,comdat
	.globl	_ZL37rocblas_syrkx_herkx_restricted_kernelIl19rocblas_complex_numIdELi16ELi32ELi8ELb0ELb1ELc84ELc76EKS1_S1_EviT_T0_PT8_S3_lS6_S3_lS4_PT9_S3_li ; -- Begin function _ZL37rocblas_syrkx_herkx_restricted_kernelIl19rocblas_complex_numIdELi16ELi32ELi8ELb0ELb1ELc84ELc76EKS1_S1_EviT_T0_PT8_S3_lS6_S3_lS4_PT9_S3_li
	.p2align	8
	.type	_ZL37rocblas_syrkx_herkx_restricted_kernelIl19rocblas_complex_numIdELi16ELi32ELi8ELb0ELb1ELc84ELc76EKS1_S1_EviT_T0_PT8_S3_lS6_S3_lS4_PT9_S3_li,@function
_ZL37rocblas_syrkx_herkx_restricted_kernelIl19rocblas_complex_numIdELi16ELi32ELi8ELb0ELb1ELc84ELc76EKS1_S1_EviT_T0_PT8_S3_lS6_S3_lS4_PT9_S3_li: ; @_ZL37rocblas_syrkx_herkx_restricted_kernelIl19rocblas_complex_numIdELi16ELi32ELi8ELb0ELb1ELc84ELc76EKS1_S1_EviT_T0_PT8_S3_lS6_S3_lS4_PT9_S3_li
; %bb.0:
	s_load_dwordx16 s[12:27], s[4:5], 0x8
	s_load_dwordx4 s[28:31], s[4:5], 0x68
	s_load_dwordx8 s[36:43], s[4:5], 0x48
	s_lshl_b32 s2, s6, 5
	s_lshl_b32 s3, s7, 5
	s_waitcnt lgkmcnt(0)
	v_cmp_lt_i64_e64 s[0:1], s[12:13], 1
	s_and_b64 vcc, exec, s[0:1]
	s_cbranch_vccnz .LBB1341_3
; %bb.1:
	v_lshl_add_u32 v7, v1, 4, v0
	v_lshrrev_b32_e32 v8, 3, v7
	v_add_u32_e32 v4, s3, v8
	v_and_b32_e32 v2, 7, v0
	v_ashrrev_i32_e32 v5, 31, v4
	v_mov_b32_e32 v3, 0
	v_mul_lo_u32 v9, s26, v5
	v_mul_lo_u32 v10, s27, v4
	v_mad_u64_u32 v[4:5], s[0:1], s26, v4, v[2:3]
	v_lshlrev_b32_e32 v2, 4, v2
	v_and_b32_e32 v11, 31, v7
	v_lshl_or_b32 v2, v8, 7, v2
	v_add_u32_e32 v23, 0x1000, v2
	v_mov_b32_e32 v2, 0x1000
	v_add_u32_e32 v8, s2, v11
	v_lshrrev_b32_e32 v6, 5, v7
	v_mov_b32_e32 v7, v3
	v_lshlrev_b32_e32 v3, 4, v11
	v_lshl_add_u32 v25, v1, 7, v2
	v_ashrrev_i32_e32 v2, 31, v8
	v_add3_u32 v5, v10, v5, v9
	v_lshl_or_b32 v22, v6, 9, v3
	v_mul_lo_u32 v9, s20, v2
	v_mad_u64_u32 v[2:3], s[0:1], s20, v8, v[6:7]
	v_mul_lo_u32 v6, s21, v8
	s_mul_i32 s6, s23, s8
	s_mul_hi_u32 s7, s22, s8
	s_add_i32 s1, s7, s6
	s_mul_i32 s0, s22, s8
	s_lshl_b64 s[0:1], s[0:1], 4
	v_add3_u32 v3, v6, v3, v9
	v_lshlrev_b64 v[2:3], 4, v[2:3]
	s_add_u32 s0, s18, s0
	s_addc_u32 s1, s19, s1
	v_mov_b32_e32 v6, s1
	v_add_co_u32_e32 v2, vcc, s0, v2
	s_mul_i32 s0, s37, s8
	s_mul_hi_u32 s1, s36, s8
	s_add_i32 s1, s1, s0
	s_mul_i32 s0, s36, s8
	v_addc_co_u32_e32 v3, vcc, v6, v3, vcc
	s_lshl_b64 s[0:1], s[0:1], 4
	v_add_co_u32_e32 v2, vcc, 8, v2
	v_lshlrev_b64 v[4:5], 4, v[4:5]
	s_add_u32 s0, s24, s0
	v_addc_co_u32_e32 v3, vcc, 0, v3, vcc
	s_addc_u32 s1, s25, s1
	v_mov_b32_e32 v6, s1
	v_add_co_u32_e32 v4, vcc, s0, v4
	v_addc_co_u32_e32 v5, vcc, v6, v5, vcc
	v_add_co_u32_e32 v4, vcc, 8, v4
	v_mov_b32_e32 v6, 0
	v_mov_b32_e32 v8, 0
	;; [unrolled: 1-line block ×8, first 2 shown]
	v_lshlrev_b32_e32 v24, 4, v0
	v_addc_co_u32_e32 v5, vcc, 0, v5, vcc
	v_mov_b32_e32 v7, 0
	v_mov_b32_e32 v9, 0
	;; [unrolled: 1-line block ×8, first 2 shown]
	s_mov_b64 s[0:1], 0
.LBB1341_2:                             ; =>This Inner Loop Header: Depth=1
	global_load_dwordx4 v[26:29], v[2:3], off offset:-8
	s_add_u32 s0, s0, 8
	v_add_co_u32_e32 v2, vcc, 0x80, v2
	s_addc_u32 s1, s1, 0
	v_addc_co_u32_e32 v3, vcc, 0, v3, vcc
	s_waitcnt vmcnt(0)
	ds_write_b128 v22, v[26:29]
	global_load_dwordx4 v[26:29], v[4:5], off offset:-8
	v_add_co_u32_e32 v4, vcc, 0x80, v4
	v_addc_co_u32_e32 v5, vcc, 0, v5, vcc
	s_waitcnt vmcnt(0)
	ds_write_b128 v23, v[26:29]
	s_waitcnt lgkmcnt(0)
	s_barrier
	ds_read_b128 v[26:29], v25
	ds_read_b128 v[30:33], v25 offset:16
	ds_read_b128 v[34:37], v25 offset:32
	;; [unrolled: 1-line block ×3, first 2 shown]
	ds_read_b128 v[42:45], v24
	s_waitcnt lgkmcnt(0)
	v_mul_f64 v[46:47], v[28:29], v[44:45]
	v_mul_f64 v[48:49], v[26:27], v[44:45]
	v_fma_f64 v[46:47], v[26:27], v[42:43], -v[46:47]
	v_fma_f64 v[48:49], v[28:29], v[42:43], v[48:49]
	v_add_f64 v[46:47], v[18:19], v[46:47]
	v_add_f64 v[48:49], v[48:49], v[20:21]
	ds_read_b128 v[18:21], v24 offset:256
	s_waitcnt lgkmcnt(0)
	v_mul_f64 v[50:51], v[28:29], v[20:21]
	v_fma_f64 v[50:51], v[26:27], v[18:19], -v[50:51]
	v_mul_f64 v[26:27], v[26:27], v[20:21]
	v_fma_f64 v[26:27], v[28:29], v[18:19], v[26:27]
	v_add_f64 v[28:29], v[10:11], v[50:51]
	v_add_f64 v[26:27], v[26:27], v[12:13]
	ds_read_b128 v[10:13], v25 offset:2048
	s_waitcnt lgkmcnt(0)
	v_mul_f64 v[50:51], v[12:13], v[44:45]
	v_mul_f64 v[44:45], v[10:11], v[44:45]
	v_fma_f64 v[50:51], v[10:11], v[42:43], -v[50:51]
	v_fma_f64 v[42:43], v[12:13], v[42:43], v[44:45]
	v_add_f64 v[44:45], v[14:15], v[50:51]
	v_mul_f64 v[14:15], v[12:13], v[20:21]
	v_add_f64 v[42:43], v[42:43], v[16:17]
	v_fma_f64 v[14:15], v[10:11], v[18:19], -v[14:15]
	v_mul_f64 v[10:11], v[10:11], v[20:21]
	v_fma_f64 v[10:11], v[12:13], v[18:19], v[10:11]
	v_add_f64 v[18:19], v[8:9], v[14:15]
	v_add_f64 v[20:21], v[10:11], v[6:7]
	ds_read_b128 v[6:9], v24 offset:512
	s_waitcnt lgkmcnt(0)
	v_mul_f64 v[10:11], v[32:33], v[8:9]
	v_mul_f64 v[12:13], v[30:31], v[8:9]
	v_fma_f64 v[10:11], v[30:31], v[6:7], -v[10:11]
	v_fma_f64 v[12:13], v[32:33], v[6:7], v[12:13]
	v_add_f64 v[46:47], v[46:47], v[10:11]
	v_add_f64 v[48:49], v[12:13], v[48:49]
	ds_read_b128 v[10:13], v24 offset:768
	s_waitcnt lgkmcnt(0)
	v_mul_f64 v[14:15], v[32:33], v[12:13]
	v_mul_f64 v[16:17], v[30:31], v[12:13]
	v_fma_f64 v[14:15], v[30:31], v[10:11], -v[14:15]
	;; [unrolled: 8-line block ×3, first 2 shown]
	v_fma_f64 v[6:7], v[16:17], v[6:7], v[8:9]
	v_mul_f64 v[8:9], v[14:15], v[12:13]
	v_add_f64 v[30:31], v[44:45], v[30:31]
	v_add_f64 v[32:33], v[6:7], v[42:43]
	v_mul_f64 v[6:7], v[16:17], v[12:13]
	v_fma_f64 v[8:9], v[16:17], v[10:11], v[8:9]
	v_fma_f64 v[6:7], v[14:15], v[10:11], -v[6:7]
	v_add_f64 v[20:21], v[8:9], v[20:21]
	v_add_f64 v[18:19], v[18:19], v[6:7]
	ds_read_b128 v[6:9], v24 offset:1024
	s_waitcnt lgkmcnt(0)
	v_mul_f64 v[10:11], v[36:37], v[8:9]
	v_mul_f64 v[12:13], v[34:35], v[8:9]
	v_fma_f64 v[10:11], v[34:35], v[6:7], -v[10:11]
	v_fma_f64 v[12:13], v[36:37], v[6:7], v[12:13]
	v_add_f64 v[42:43], v[46:47], v[10:11]
	v_add_f64 v[44:45], v[12:13], v[48:49]
	ds_read_b128 v[10:13], v24 offset:1280
	s_waitcnt lgkmcnt(0)
	v_mul_f64 v[14:15], v[36:37], v[12:13]
	v_mul_f64 v[16:17], v[34:35], v[12:13]
	v_fma_f64 v[14:15], v[34:35], v[10:11], -v[14:15]
	v_fma_f64 v[16:17], v[36:37], v[10:11], v[16:17]
	;; [unrolled: 8-line block ×3, first 2 shown]
	v_mul_f64 v[8:9], v[14:15], v[12:13]
	v_add_f64 v[30:31], v[30:31], v[34:35]
	v_add_f64 v[32:33], v[6:7], v[32:33]
	v_mul_f64 v[6:7], v[16:17], v[12:13]
	v_fma_f64 v[8:9], v[16:17], v[10:11], v[8:9]
	v_fma_f64 v[6:7], v[14:15], v[10:11], -v[6:7]
	v_add_f64 v[20:21], v[8:9], v[20:21]
	v_add_f64 v[18:19], v[18:19], v[6:7]
	ds_read_b128 v[6:9], v24 offset:1536
	s_waitcnt lgkmcnt(0)
	v_mul_f64 v[10:11], v[40:41], v[8:9]
	v_mul_f64 v[12:13], v[38:39], v[8:9]
	v_fma_f64 v[10:11], v[38:39], v[6:7], -v[10:11]
	v_fma_f64 v[12:13], v[40:41], v[6:7], v[12:13]
	v_add_f64 v[34:35], v[42:43], v[10:11]
	v_add_f64 v[36:37], v[12:13], v[44:45]
	ds_read_b128 v[10:13], v24 offset:1792
	s_waitcnt lgkmcnt(0)
	v_mul_f64 v[14:15], v[40:41], v[12:13]
	v_mul_f64 v[16:17], v[38:39], v[12:13]
	v_fma_f64 v[14:15], v[38:39], v[10:11], -v[14:15]
	v_fma_f64 v[16:17], v[40:41], v[10:11], v[16:17]
	;; [unrolled: 8-line block ×3, first 2 shown]
	v_mul_f64 v[8:9], v[14:15], v[12:13]
	v_add_f64 v[30:31], v[30:31], v[38:39]
	v_add_f64 v[32:33], v[6:7], v[32:33]
	v_mul_f64 v[6:7], v[16:17], v[12:13]
	v_fma_f64 v[8:9], v[16:17], v[10:11], v[8:9]
	v_fma_f64 v[6:7], v[14:15], v[10:11], -v[6:7]
	v_add_f64 v[20:21], v[8:9], v[20:21]
	v_add_f64 v[18:19], v[18:19], v[6:7]
	ds_read_b128 v[6:9], v25 offset:64
	ds_read_b128 v[10:13], v24 offset:2048
	s_waitcnt lgkmcnt(0)
	v_mul_f64 v[14:15], v[8:9], v[12:13]
	v_mul_f64 v[16:17], v[6:7], v[12:13]
	v_fma_f64 v[14:15], v[6:7], v[10:11], -v[14:15]
	v_fma_f64 v[16:17], v[8:9], v[10:11], v[16:17]
	v_add_f64 v[34:35], v[34:35], v[14:15]
	v_add_f64 v[36:37], v[16:17], v[36:37]
	ds_read_b128 v[14:17], v24 offset:2304
	s_waitcnt lgkmcnt(0)
	v_mul_f64 v[38:39], v[8:9], v[16:17]
	v_fma_f64 v[38:39], v[6:7], v[14:15], -v[38:39]
	v_mul_f64 v[6:7], v[6:7], v[16:17]
	v_add_f64 v[28:29], v[28:29], v[38:39]
	v_fma_f64 v[6:7], v[8:9], v[14:15], v[6:7]
	v_add_f64 v[26:27], v[6:7], v[26:27]
	ds_read_b128 v[6:9], v25 offset:2112
	s_waitcnt lgkmcnt(0)
	v_mul_f64 v[38:39], v[8:9], v[12:13]
	v_mul_f64 v[12:13], v[6:7], v[12:13]
	v_fma_f64 v[38:39], v[6:7], v[10:11], -v[38:39]
	v_fma_f64 v[10:11], v[8:9], v[10:11], v[12:13]
	v_add_f64 v[30:31], v[30:31], v[38:39]
	v_add_f64 v[32:33], v[10:11], v[32:33]
	v_mul_f64 v[10:11], v[8:9], v[16:17]
	v_fma_f64 v[10:11], v[6:7], v[14:15], -v[10:11]
	v_mul_f64 v[6:7], v[6:7], v[16:17]
	v_add_f64 v[18:19], v[18:19], v[10:11]
	v_fma_f64 v[6:7], v[8:9], v[14:15], v[6:7]
	v_add_f64 v[20:21], v[6:7], v[20:21]
	ds_read_b128 v[6:9], v25 offset:80
	ds_read_b128 v[10:13], v24 offset:2560
	s_waitcnt lgkmcnt(0)
	v_mul_f64 v[14:15], v[8:9], v[12:13]
	v_mul_f64 v[16:17], v[6:7], v[12:13]
	v_fma_f64 v[14:15], v[6:7], v[10:11], -v[14:15]
	v_fma_f64 v[16:17], v[8:9], v[10:11], v[16:17]
	v_add_f64 v[34:35], v[34:35], v[14:15]
	v_add_f64 v[36:37], v[16:17], v[36:37]
	ds_read_b128 v[14:17], v24 offset:2816
	s_waitcnt lgkmcnt(0)
	v_mul_f64 v[38:39], v[8:9], v[16:17]
	v_fma_f64 v[38:39], v[6:7], v[14:15], -v[38:39]
	v_mul_f64 v[6:7], v[6:7], v[16:17]
	v_add_f64 v[28:29], v[28:29], v[38:39]
	v_fma_f64 v[6:7], v[8:9], v[14:15], v[6:7]
	v_add_f64 v[26:27], v[6:7], v[26:27]
	ds_read_b128 v[6:9], v25 offset:2128
	s_waitcnt lgkmcnt(0)
	v_mul_f64 v[38:39], v[8:9], v[12:13]
	v_mul_f64 v[12:13], v[6:7], v[12:13]
	v_fma_f64 v[38:39], v[6:7], v[10:11], -v[38:39]
	v_fma_f64 v[10:11], v[8:9], v[10:11], v[12:13]
	v_add_f64 v[30:31], v[30:31], v[38:39]
	v_add_f64 v[32:33], v[10:11], v[32:33]
	v_mul_f64 v[10:11], v[8:9], v[16:17]
	v_fma_f64 v[10:11], v[6:7], v[14:15], -v[10:11]
	v_mul_f64 v[6:7], v[6:7], v[16:17]
	v_add_f64 v[18:19], v[18:19], v[10:11]
	v_fma_f64 v[6:7], v[8:9], v[14:15], v[6:7]
	;; [unrolled: 31-line block ×3, first 2 shown]
	v_add_f64 v[44:45], v[6:7], v[20:21]
	ds_read_b128 v[6:9], v25 offset:112
	ds_read_b128 v[14:17], v24 offset:3584
	;; [unrolled: 1-line block ×3, first 2 shown]
	s_waitcnt lgkmcnt(1)
	v_mul_f64 v[10:11], v[8:9], v[16:17]
	v_mul_f64 v[12:13], v[6:7], v[16:17]
	v_fma_f64 v[10:11], v[6:7], v[14:15], -v[10:11]
	v_fma_f64 v[12:13], v[8:9], v[14:15], v[12:13]
	v_add_f64 v[18:19], v[34:35], v[10:11]
	s_waitcnt lgkmcnt(0)
	v_mul_f64 v[10:11], v[8:9], v[28:29]
	v_add_f64 v[20:21], v[12:13], v[36:37]
	v_fma_f64 v[10:11], v[6:7], v[26:27], -v[10:11]
	v_mul_f64 v[6:7], v[6:7], v[28:29]
	v_add_f64 v[10:11], v[38:39], v[10:11]
	v_fma_f64 v[6:7], v[8:9], v[26:27], v[6:7]
	v_add_f64 v[12:13], v[6:7], v[40:41]
	ds_read_b128 v[6:9], v25 offset:2160
	s_waitcnt lgkmcnt(0)
	s_barrier
	v_mul_f64 v[34:35], v[8:9], v[16:17]
	v_mul_f64 v[16:17], v[6:7], v[16:17]
	v_fma_f64 v[34:35], v[6:7], v[14:15], -v[34:35]
	v_fma_f64 v[16:17], v[8:9], v[14:15], v[16:17]
	v_add_f64 v[14:15], v[30:31], v[34:35]
	v_mul_f64 v[30:31], v[8:9], v[28:29]
	v_add_f64 v[16:17], v[16:17], v[32:33]
	v_fma_f64 v[30:31], v[6:7], v[26:27], -v[30:31]
	v_mul_f64 v[6:7], v[6:7], v[28:29]
	v_fma_f64 v[6:7], v[8:9], v[26:27], v[6:7]
	v_add_f64 v[8:9], v[42:43], v[30:31]
	v_mov_b32_e32 v27, s1
	v_mov_b32_e32 v26, s0
	v_cmp_le_u64_e32 vcc, s[12:13], v[26:27]
	v_add_f64 v[6:7], v[6:7], v[44:45]
	s_cbranch_vccz .LBB1341_2
	s_branch .LBB1341_4
.LBB1341_3:
	v_mov_b32_e32 v18, 0
	v_mov_b32_e32 v20, 0
	;; [unrolled: 1-line block ×16, first 2 shown]
.LBB1341_4:
	v_add_u32_e32 v4, s3, v1
	v_ashrrev_i32_e32 v1, 31, v4
	v_mul_lo_u32 v3, s28, v1
	v_mul_lo_u32 v5, s29, v4
	v_mad_u64_u32 v[1:2], s[6:7], s28, v4, 0
	s_mul_i32 s0, s31, s8
	s_mul_hi_u32 s1, s30, s8
	s_add_i32 s1, s1, s0
	s_mul_i32 s0, s30, s8
	s_load_dword s4, s[4:5], 0x0
	s_lshl_b64 s[0:1], s[0:1], 4
	v_add3_u32 v2, v2, v3, v5
	s_add_u32 s6, s42, s0
	v_lshlrev_b64 v[1:2], 4, v[1:2]
	s_addc_u32 s7, s43, s1
	v_mov_b32_e32 v3, s7
	v_add_co_u32_e32 v5, vcc, s6, v1
	v_add_u32_e32 v0, s2, v0
	v_addc_co_u32_e32 v22, vcc, v3, v2, vcc
	v_cmp_le_i32_e64 s[0:1], v4, v0
	s_waitcnt lgkmcnt(0)
	v_cmp_gt_i32_e32 vcc, s4, v0
	s_and_b64 s[0:1], s[0:1], vcc
	s_and_saveexec_b64 s[2:3], s[0:1]
	s_cbranch_execz .LBB1341_6
; %bb.5:
	v_ashrrev_i32_e32 v1, 31, v0
	v_lshlrev_b64 v[1:2], 4, v[0:1]
	v_mul_f64 v[27:28], s[14:15], v[20:21]
	v_add_co_u32_e64 v1, s[0:1], v5, v1
	v_addc_co_u32_e64 v2, s[0:1], v22, v2, s[0:1]
	global_load_dwordx4 v[23:26], v[1:2], off
	v_mul_f64 v[20:21], s[16:17], v[20:21]
	v_cmp_ne_u32_e64 s[0:1], v4, v0
	v_fma_f64 v[27:28], s[16:17], v[18:19], v[27:28]
	v_fma_f64 v[18:19], s[14:15], v[18:19], -v[20:21]
	s_waitcnt vmcnt(0)
	v_mul_f64 v[29:30], s[38:39], v[25:26]
	v_mul_f64 v[25:26], s[40:41], v[25:26]
	v_fma_f64 v[29:30], s[40:41], v[23:24], v[29:30]
	v_fma_f64 v[20:21], s[38:39], v[23:24], -v[25:26]
	v_add_f64 v[23:24], v[27:28], v[29:30]
	v_add_f64 v[18:19], v[18:19], v[20:21]
	v_cndmask_b32_e64 v21, 0, v24, s[0:1]
	v_cndmask_b32_e64 v20, 0, v23, s[0:1]
	global_store_dwordx4 v[1:2], v[18:21], off
.LBB1341_6:
	s_or_b64 exec, exec, s[2:3]
	v_add_u32_e32 v2, 16, v0
	v_cmp_le_i32_e64 s[2:3], v4, v2
	v_cmp_gt_i32_e64 s[0:1], s4, v2
	s_and_b64 s[2:3], s[2:3], s[0:1]
	s_and_saveexec_b64 s[4:5], s[2:3]
	s_cbranch_execz .LBB1341_8
; %bb.7:
	v_ashrrev_i32_e32 v3, 31, v2
	v_lshlrev_b64 v[18:19], 4, v[2:3]
	v_mul_f64 v[25:26], s[14:15], v[12:13]
	v_add_co_u32_e64 v23, s[2:3], v5, v18
	v_addc_co_u32_e64 v24, s[2:3], v22, v19, s[2:3]
	global_load_dwordx4 v[18:21], v[23:24], off
	v_mul_f64 v[12:13], s[16:17], v[12:13]
	v_cmp_ne_u32_e64 s[2:3], v4, v2
	v_fma_f64 v[25:26], s[16:17], v[10:11], v[25:26]
	v_fma_f64 v[10:11], s[14:15], v[10:11], -v[12:13]
	s_waitcnt vmcnt(0)
	v_mul_f64 v[27:28], s[38:39], v[20:21]
	v_mul_f64 v[20:21], s[40:41], v[20:21]
	v_fma_f64 v[27:28], s[40:41], v[18:19], v[27:28]
	v_fma_f64 v[12:13], s[38:39], v[18:19], -v[20:21]
	v_add_f64 v[18:19], v[25:26], v[27:28]
	v_add_f64 v[10:11], v[10:11], v[12:13]
	v_cndmask_b32_e64 v13, 0, v19, s[2:3]
	v_cndmask_b32_e64 v12, 0, v18, s[2:3]
	global_store_dwordx4 v[23:24], v[10:13], off
.LBB1341_8:
	s_or_b64 exec, exec, s[4:5]
	v_add_u32_e32 v3, 16, v4
	v_ashrrev_i32_e32 v1, 31, v3
	v_mul_lo_u32 v5, s29, v3
	v_mad_u64_u32 v[10:11], s[2:3], s28, v3, 0
	v_mul_lo_u32 v1, s28, v1
	v_add3_u32 v11, v11, v1, v5
	v_lshlrev_b64 v[10:11], 4, v[10:11]
	v_mov_b32_e32 v1, s7
	v_add_co_u32_e64 v5, s[2:3], s6, v10
	v_addc_co_u32_e64 v10, s[2:3], v1, v11, s[2:3]
	v_cmp_le_i32_e64 s[2:3], v3, v0
	s_and_b64 s[4:5], s[2:3], vcc
	s_and_saveexec_b64 s[2:3], s[4:5]
	s_cbranch_execz .LBB1341_10
; %bb.9:
	v_ashrrev_i32_e32 v1, 31, v0
	v_lshlrev_b64 v[11:12], 4, v[0:1]
	v_add_co_u32_e32 v22, vcc, v5, v11
	v_addc_co_u32_e32 v23, vcc, v10, v12, vcc
	global_load_dwordx4 v[18:21], v[22:23], off
	v_mul_f64 v[11:12], s[14:15], v[16:17]
	v_mul_f64 v[16:17], s[16:17], v[16:17]
	v_cmp_ne_u32_e32 vcc, v3, v0
	v_fma_f64 v[11:12], s[16:17], v[14:15], v[11:12]
	v_fma_f64 v[13:14], s[14:15], v[14:15], -v[16:17]
	s_waitcnt vmcnt(0)
	v_mul_f64 v[24:25], s[38:39], v[20:21]
	v_mul_f64 v[20:21], s[40:41], v[20:21]
	v_fma_f64 v[24:25], s[40:41], v[18:19], v[24:25]
	v_fma_f64 v[15:16], s[38:39], v[18:19], -v[20:21]
	v_add_f64 v[17:18], v[11:12], v[24:25]
	v_add_f64 v[11:12], v[13:14], v[15:16]
	v_cndmask_b32_e32 v14, 0, v18, vcc
	v_cndmask_b32_e32 v13, 0, v17, vcc
	global_store_dwordx4 v[22:23], v[11:14], off
.LBB1341_10:
	s_or_b64 exec, exec, s[2:3]
	v_cmp_le_i32_e32 vcc, v3, v2
	s_and_b64 s[0:1], vcc, s[0:1]
	s_and_saveexec_b64 s[2:3], s[0:1]
	s_cbranch_execz .LBB1341_12
; %bb.11:
	v_ashrrev_i32_e32 v3, 31, v2
	v_lshlrev_b64 v[1:2], 4, v[2:3]
	v_add_co_u32_e32 v14, vcc, v5, v1
	v_addc_co_u32_e32 v15, vcc, v10, v2, vcc
	global_load_dwordx4 v[10:13], v[14:15], off
	v_mul_f64 v[1:2], s[14:15], v[6:7]
	v_mul_f64 v[5:6], s[16:17], v[6:7]
	v_cmp_ne_u32_e32 vcc, v4, v0
	v_fma_f64 v[1:2], s[16:17], v[8:9], v[1:2]
	v_fma_f64 v[5:6], s[14:15], v[8:9], -v[5:6]
	s_waitcnt vmcnt(0)
	v_mul_f64 v[16:17], s[38:39], v[12:13]
	v_mul_f64 v[12:13], s[40:41], v[12:13]
	v_fma_f64 v[16:17], s[40:41], v[10:11], v[16:17]
	v_fma_f64 v[7:8], s[38:39], v[10:11], -v[12:13]
	v_add_f64 v[9:10], v[1:2], v[16:17]
	v_add_f64 v[1:2], v[5:6], v[7:8]
	v_cndmask_b32_e32 v4, 0, v10, vcc
	v_cndmask_b32_e32 v3, 0, v9, vcc
	global_store_dwordx4 v[14:15], v[1:4], off
.LBB1341_12:
	s_endpgm
	.section	.rodata,"a",@progbits
	.p2align	6, 0x0
	.amdhsa_kernel _ZL37rocblas_syrkx_herkx_restricted_kernelIl19rocblas_complex_numIdELi16ELi32ELi8ELb0ELb1ELc84ELc76EKS1_S1_EviT_T0_PT8_S3_lS6_S3_lS4_PT9_S3_li
		.amdhsa_group_segment_fixed_size 8192
		.amdhsa_private_segment_fixed_size 0
		.amdhsa_kernarg_size 124
		.amdhsa_user_sgpr_count 6
		.amdhsa_user_sgpr_private_segment_buffer 1
		.amdhsa_user_sgpr_dispatch_ptr 0
		.amdhsa_user_sgpr_queue_ptr 0
		.amdhsa_user_sgpr_kernarg_segment_ptr 1
		.amdhsa_user_sgpr_dispatch_id 0
		.amdhsa_user_sgpr_flat_scratch_init 0
		.amdhsa_user_sgpr_private_segment_size 0
		.amdhsa_uses_dynamic_stack 0
		.amdhsa_system_sgpr_private_segment_wavefront_offset 0
		.amdhsa_system_sgpr_workgroup_id_x 1
		.amdhsa_system_sgpr_workgroup_id_y 1
		.amdhsa_system_sgpr_workgroup_id_z 1
		.amdhsa_system_sgpr_workgroup_info 0
		.amdhsa_system_vgpr_workitem_id 1
		.amdhsa_next_free_vgpr 52
		.amdhsa_next_free_sgpr 61
		.amdhsa_reserve_vcc 1
		.amdhsa_reserve_flat_scratch 0
		.amdhsa_float_round_mode_32 0
		.amdhsa_float_round_mode_16_64 0
		.amdhsa_float_denorm_mode_32 3
		.amdhsa_float_denorm_mode_16_64 3
		.amdhsa_dx10_clamp 1
		.amdhsa_ieee_mode 1
		.amdhsa_fp16_overflow 0
		.amdhsa_exception_fp_ieee_invalid_op 0
		.amdhsa_exception_fp_denorm_src 0
		.amdhsa_exception_fp_ieee_div_zero 0
		.amdhsa_exception_fp_ieee_overflow 0
		.amdhsa_exception_fp_ieee_underflow 0
		.amdhsa_exception_fp_ieee_inexact 0
		.amdhsa_exception_int_div_zero 0
	.end_amdhsa_kernel
	.section	.text._ZL37rocblas_syrkx_herkx_restricted_kernelIl19rocblas_complex_numIdELi16ELi32ELi8ELb0ELb1ELc84ELc76EKS1_S1_EviT_T0_PT8_S3_lS6_S3_lS4_PT9_S3_li,"axG",@progbits,_ZL37rocblas_syrkx_herkx_restricted_kernelIl19rocblas_complex_numIdELi16ELi32ELi8ELb0ELb1ELc84ELc76EKS1_S1_EviT_T0_PT8_S3_lS6_S3_lS4_PT9_S3_li,comdat
.Lfunc_end1341:
	.size	_ZL37rocblas_syrkx_herkx_restricted_kernelIl19rocblas_complex_numIdELi16ELi32ELi8ELb0ELb1ELc84ELc76EKS1_S1_EviT_T0_PT8_S3_lS6_S3_lS4_PT9_S3_li, .Lfunc_end1341-_ZL37rocblas_syrkx_herkx_restricted_kernelIl19rocblas_complex_numIdELi16ELi32ELi8ELb0ELb1ELc84ELc76EKS1_S1_EviT_T0_PT8_S3_lS6_S3_lS4_PT9_S3_li
                                        ; -- End function
	.set _ZL37rocblas_syrkx_herkx_restricted_kernelIl19rocblas_complex_numIdELi16ELi32ELi8ELb0ELb1ELc84ELc76EKS1_S1_EviT_T0_PT8_S3_lS6_S3_lS4_PT9_S3_li.num_vgpr, 52
	.set _ZL37rocblas_syrkx_herkx_restricted_kernelIl19rocblas_complex_numIdELi16ELi32ELi8ELb0ELb1ELc84ELc76EKS1_S1_EviT_T0_PT8_S3_lS6_S3_lS4_PT9_S3_li.num_agpr, 0
	.set _ZL37rocblas_syrkx_herkx_restricted_kernelIl19rocblas_complex_numIdELi16ELi32ELi8ELb0ELb1ELc84ELc76EKS1_S1_EviT_T0_PT8_S3_lS6_S3_lS4_PT9_S3_li.numbered_sgpr, 44
	.set _ZL37rocblas_syrkx_herkx_restricted_kernelIl19rocblas_complex_numIdELi16ELi32ELi8ELb0ELb1ELc84ELc76EKS1_S1_EviT_T0_PT8_S3_lS6_S3_lS4_PT9_S3_li.num_named_barrier, 0
	.set _ZL37rocblas_syrkx_herkx_restricted_kernelIl19rocblas_complex_numIdELi16ELi32ELi8ELb0ELb1ELc84ELc76EKS1_S1_EviT_T0_PT8_S3_lS6_S3_lS4_PT9_S3_li.private_seg_size, 0
	.set _ZL37rocblas_syrkx_herkx_restricted_kernelIl19rocblas_complex_numIdELi16ELi32ELi8ELb0ELb1ELc84ELc76EKS1_S1_EviT_T0_PT8_S3_lS6_S3_lS4_PT9_S3_li.uses_vcc, 1
	.set _ZL37rocblas_syrkx_herkx_restricted_kernelIl19rocblas_complex_numIdELi16ELi32ELi8ELb0ELb1ELc84ELc76EKS1_S1_EviT_T0_PT8_S3_lS6_S3_lS4_PT9_S3_li.uses_flat_scratch, 0
	.set _ZL37rocblas_syrkx_herkx_restricted_kernelIl19rocblas_complex_numIdELi16ELi32ELi8ELb0ELb1ELc84ELc76EKS1_S1_EviT_T0_PT8_S3_lS6_S3_lS4_PT9_S3_li.has_dyn_sized_stack, 0
	.set _ZL37rocblas_syrkx_herkx_restricted_kernelIl19rocblas_complex_numIdELi16ELi32ELi8ELb0ELb1ELc84ELc76EKS1_S1_EviT_T0_PT8_S3_lS6_S3_lS4_PT9_S3_li.has_recursion, 0
	.set _ZL37rocblas_syrkx_herkx_restricted_kernelIl19rocblas_complex_numIdELi16ELi32ELi8ELb0ELb1ELc84ELc76EKS1_S1_EviT_T0_PT8_S3_lS6_S3_lS4_PT9_S3_li.has_indirect_call, 0
	.section	.AMDGPU.csdata,"",@progbits
; Kernel info:
; codeLenInByte = 3300
; TotalNumSgprs: 48
; NumVgprs: 52
; ScratchSize: 0
; MemoryBound: 0
; FloatMode: 240
; IeeeMode: 1
; LDSByteSize: 8192 bytes/workgroup (compile time only)
; SGPRBlocks: 8
; VGPRBlocks: 12
; NumSGPRsForWavesPerEU: 65
; NumVGPRsForWavesPerEU: 52
; Occupancy: 4
; WaveLimiterHint : 0
; COMPUTE_PGM_RSRC2:SCRATCH_EN: 0
; COMPUTE_PGM_RSRC2:USER_SGPR: 6
; COMPUTE_PGM_RSRC2:TRAP_HANDLER: 0
; COMPUTE_PGM_RSRC2:TGID_X_EN: 1
; COMPUTE_PGM_RSRC2:TGID_Y_EN: 1
; COMPUTE_PGM_RSRC2:TGID_Z_EN: 1
; COMPUTE_PGM_RSRC2:TIDIG_COMP_CNT: 1
	.section	.text._ZL37rocblas_syrkx_herkx_restricted_kernelIl19rocblas_complex_numIdELi16ELi32ELi8ELb0ELb1ELc67ELc76EKS1_S1_EviT_T0_PT8_S3_lS6_S3_lS4_PT9_S3_li,"axG",@progbits,_ZL37rocblas_syrkx_herkx_restricted_kernelIl19rocblas_complex_numIdELi16ELi32ELi8ELb0ELb1ELc67ELc76EKS1_S1_EviT_T0_PT8_S3_lS6_S3_lS4_PT9_S3_li,comdat
	.globl	_ZL37rocblas_syrkx_herkx_restricted_kernelIl19rocblas_complex_numIdELi16ELi32ELi8ELb0ELb1ELc67ELc76EKS1_S1_EviT_T0_PT8_S3_lS6_S3_lS4_PT9_S3_li ; -- Begin function _ZL37rocblas_syrkx_herkx_restricted_kernelIl19rocblas_complex_numIdELi16ELi32ELi8ELb0ELb1ELc67ELc76EKS1_S1_EviT_T0_PT8_S3_lS6_S3_lS4_PT9_S3_li
	.p2align	8
	.type	_ZL37rocblas_syrkx_herkx_restricted_kernelIl19rocblas_complex_numIdELi16ELi32ELi8ELb0ELb1ELc67ELc76EKS1_S1_EviT_T0_PT8_S3_lS6_S3_lS4_PT9_S3_li,@function
_ZL37rocblas_syrkx_herkx_restricted_kernelIl19rocblas_complex_numIdELi16ELi32ELi8ELb0ELb1ELc67ELc76EKS1_S1_EviT_T0_PT8_S3_lS6_S3_lS4_PT9_S3_li: ; @_ZL37rocblas_syrkx_herkx_restricted_kernelIl19rocblas_complex_numIdELi16ELi32ELi8ELb0ELb1ELc67ELc76EKS1_S1_EviT_T0_PT8_S3_lS6_S3_lS4_PT9_S3_li
; %bb.0:
	s_load_dwordx16 s[12:27], s[4:5], 0x8
	s_load_dwordx4 s[28:31], s[4:5], 0x68
	s_load_dwordx8 s[36:43], s[4:5], 0x48
	s_lshl_b32 s2, s6, 5
	s_lshl_b32 s3, s7, 5
	s_waitcnt lgkmcnt(0)
	v_cmp_lt_i64_e64 s[0:1], s[12:13], 1
	s_and_b64 vcc, exec, s[0:1]
	s_cbranch_vccnz .LBB1342_3
; %bb.1:
	v_lshl_add_u32 v7, v1, 4, v0
	v_lshrrev_b32_e32 v8, 3, v7
	v_add_u32_e32 v4, s3, v8
	v_and_b32_e32 v2, 7, v0
	v_ashrrev_i32_e32 v5, 31, v4
	v_mov_b32_e32 v3, 0
	v_mul_lo_u32 v9, s26, v5
	v_mul_lo_u32 v10, s27, v4
	v_mad_u64_u32 v[4:5], s[0:1], s26, v4, v[2:3]
	v_lshlrev_b32_e32 v2, 4, v2
	v_and_b32_e32 v11, 31, v7
	v_lshl_or_b32 v2, v8, 7, v2
	v_add_u32_e32 v23, 0x1000, v2
	v_mov_b32_e32 v2, 0x1000
	v_add_u32_e32 v8, s2, v11
	v_lshrrev_b32_e32 v6, 5, v7
	v_mov_b32_e32 v7, v3
	v_lshlrev_b32_e32 v3, 4, v11
	v_lshl_add_u32 v25, v1, 7, v2
	v_ashrrev_i32_e32 v2, 31, v8
	v_add3_u32 v5, v10, v5, v9
	v_lshl_or_b32 v22, v6, 9, v3
	v_mul_lo_u32 v9, s20, v2
	v_mad_u64_u32 v[2:3], s[0:1], s20, v8, v[6:7]
	v_mul_lo_u32 v6, s21, v8
	s_mul_i32 s6, s23, s8
	s_mul_hi_u32 s7, s22, s8
	s_add_i32 s1, s7, s6
	s_mul_i32 s0, s22, s8
	s_lshl_b64 s[0:1], s[0:1], 4
	v_add3_u32 v3, v6, v3, v9
	v_lshlrev_b64 v[2:3], 4, v[2:3]
	s_add_u32 s0, s18, s0
	s_addc_u32 s1, s19, s1
	v_mov_b32_e32 v6, s1
	v_add_co_u32_e32 v2, vcc, s0, v2
	s_mul_i32 s0, s37, s8
	s_mul_hi_u32 s1, s36, s8
	s_add_i32 s1, s1, s0
	s_mul_i32 s0, s36, s8
	v_addc_co_u32_e32 v3, vcc, v6, v3, vcc
	s_lshl_b64 s[0:1], s[0:1], 4
	v_add_co_u32_e32 v2, vcc, 8, v2
	v_lshlrev_b64 v[4:5], 4, v[4:5]
	s_add_u32 s0, s24, s0
	v_addc_co_u32_e32 v3, vcc, 0, v3, vcc
	s_addc_u32 s1, s25, s1
	v_mov_b32_e32 v6, s1
	v_add_co_u32_e32 v4, vcc, s0, v4
	v_addc_co_u32_e32 v5, vcc, v6, v5, vcc
	v_add_co_u32_e32 v4, vcc, 8, v4
	v_mov_b32_e32 v6, 0
	v_mov_b32_e32 v8, 0
	;; [unrolled: 1-line block ×8, first 2 shown]
	v_lshlrev_b32_e32 v24, 4, v0
	v_addc_co_u32_e32 v5, vcc, 0, v5, vcc
	v_mov_b32_e32 v7, 0
	v_mov_b32_e32 v9, 0
	;; [unrolled: 1-line block ×8, first 2 shown]
	s_mov_b64 s[0:1], 0
.LBB1342_2:                             ; =>This Inner Loop Header: Depth=1
	global_load_dwordx4 v[26:29], v[2:3], off offset:-8
	s_add_u32 s0, s0, 8
	v_add_co_u32_e32 v2, vcc, 0x80, v2
	s_addc_u32 s1, s1, 0
	v_addc_co_u32_e32 v3, vcc, 0, v3, vcc
	s_waitcnt vmcnt(0)
	v_xor_b32_e32 v29, 0x80000000, v29
	ds_write_b128 v22, v[26:29]
	global_load_dwordx4 v[26:29], v[4:5], off offset:-8
	v_add_co_u32_e32 v4, vcc, 0x80, v4
	v_addc_co_u32_e32 v5, vcc, 0, v5, vcc
	s_waitcnt vmcnt(0)
	ds_write_b128 v23, v[26:29]
	s_waitcnt lgkmcnt(0)
	s_barrier
	ds_read_b128 v[26:29], v25
	ds_read_b128 v[30:33], v25 offset:16
	ds_read_b128 v[34:37], v25 offset:32
	;; [unrolled: 1-line block ×3, first 2 shown]
	ds_read_b128 v[42:45], v24
	s_waitcnt lgkmcnt(0)
	v_mul_f64 v[46:47], v[28:29], v[44:45]
	v_mul_f64 v[48:49], v[26:27], v[44:45]
	v_fma_f64 v[46:47], v[26:27], v[42:43], -v[46:47]
	v_fma_f64 v[48:49], v[28:29], v[42:43], v[48:49]
	v_add_f64 v[46:47], v[18:19], v[46:47]
	v_add_f64 v[48:49], v[48:49], v[20:21]
	ds_read_b128 v[18:21], v24 offset:256
	s_waitcnt lgkmcnt(0)
	v_mul_f64 v[50:51], v[28:29], v[20:21]
	v_fma_f64 v[50:51], v[26:27], v[18:19], -v[50:51]
	v_mul_f64 v[26:27], v[26:27], v[20:21]
	v_fma_f64 v[26:27], v[28:29], v[18:19], v[26:27]
	v_add_f64 v[28:29], v[10:11], v[50:51]
	v_add_f64 v[26:27], v[26:27], v[12:13]
	ds_read_b128 v[10:13], v25 offset:2048
	s_waitcnt lgkmcnt(0)
	v_mul_f64 v[50:51], v[12:13], v[44:45]
	v_mul_f64 v[44:45], v[10:11], v[44:45]
	v_fma_f64 v[50:51], v[10:11], v[42:43], -v[50:51]
	v_fma_f64 v[42:43], v[12:13], v[42:43], v[44:45]
	v_add_f64 v[44:45], v[14:15], v[50:51]
	v_mul_f64 v[14:15], v[12:13], v[20:21]
	v_add_f64 v[42:43], v[42:43], v[16:17]
	v_fma_f64 v[14:15], v[10:11], v[18:19], -v[14:15]
	v_mul_f64 v[10:11], v[10:11], v[20:21]
	v_fma_f64 v[10:11], v[12:13], v[18:19], v[10:11]
	v_add_f64 v[18:19], v[8:9], v[14:15]
	v_add_f64 v[20:21], v[10:11], v[6:7]
	ds_read_b128 v[6:9], v24 offset:512
	s_waitcnt lgkmcnt(0)
	v_mul_f64 v[10:11], v[32:33], v[8:9]
	v_mul_f64 v[12:13], v[30:31], v[8:9]
	v_fma_f64 v[10:11], v[30:31], v[6:7], -v[10:11]
	v_fma_f64 v[12:13], v[32:33], v[6:7], v[12:13]
	v_add_f64 v[46:47], v[46:47], v[10:11]
	v_add_f64 v[48:49], v[12:13], v[48:49]
	ds_read_b128 v[10:13], v24 offset:768
	s_waitcnt lgkmcnt(0)
	v_mul_f64 v[14:15], v[32:33], v[12:13]
	v_mul_f64 v[16:17], v[30:31], v[12:13]
	v_fma_f64 v[14:15], v[30:31], v[10:11], -v[14:15]
	;; [unrolled: 8-line block ×3, first 2 shown]
	v_fma_f64 v[6:7], v[16:17], v[6:7], v[8:9]
	v_mul_f64 v[8:9], v[14:15], v[12:13]
	v_add_f64 v[30:31], v[44:45], v[30:31]
	v_add_f64 v[32:33], v[6:7], v[42:43]
	v_mul_f64 v[6:7], v[16:17], v[12:13]
	v_fma_f64 v[8:9], v[16:17], v[10:11], v[8:9]
	v_fma_f64 v[6:7], v[14:15], v[10:11], -v[6:7]
	v_add_f64 v[20:21], v[8:9], v[20:21]
	v_add_f64 v[18:19], v[18:19], v[6:7]
	ds_read_b128 v[6:9], v24 offset:1024
	s_waitcnt lgkmcnt(0)
	v_mul_f64 v[10:11], v[36:37], v[8:9]
	v_mul_f64 v[12:13], v[34:35], v[8:9]
	v_fma_f64 v[10:11], v[34:35], v[6:7], -v[10:11]
	v_fma_f64 v[12:13], v[36:37], v[6:7], v[12:13]
	v_add_f64 v[42:43], v[46:47], v[10:11]
	v_add_f64 v[44:45], v[12:13], v[48:49]
	ds_read_b128 v[10:13], v24 offset:1280
	s_waitcnt lgkmcnt(0)
	v_mul_f64 v[14:15], v[36:37], v[12:13]
	v_mul_f64 v[16:17], v[34:35], v[12:13]
	v_fma_f64 v[14:15], v[34:35], v[10:11], -v[14:15]
	v_fma_f64 v[16:17], v[36:37], v[10:11], v[16:17]
	;; [unrolled: 8-line block ×3, first 2 shown]
	v_mul_f64 v[8:9], v[14:15], v[12:13]
	v_add_f64 v[30:31], v[30:31], v[34:35]
	v_add_f64 v[32:33], v[6:7], v[32:33]
	v_mul_f64 v[6:7], v[16:17], v[12:13]
	v_fma_f64 v[8:9], v[16:17], v[10:11], v[8:9]
	v_fma_f64 v[6:7], v[14:15], v[10:11], -v[6:7]
	v_add_f64 v[20:21], v[8:9], v[20:21]
	v_add_f64 v[18:19], v[18:19], v[6:7]
	ds_read_b128 v[6:9], v24 offset:1536
	s_waitcnt lgkmcnt(0)
	v_mul_f64 v[10:11], v[40:41], v[8:9]
	v_mul_f64 v[12:13], v[38:39], v[8:9]
	v_fma_f64 v[10:11], v[38:39], v[6:7], -v[10:11]
	v_fma_f64 v[12:13], v[40:41], v[6:7], v[12:13]
	v_add_f64 v[34:35], v[42:43], v[10:11]
	v_add_f64 v[36:37], v[12:13], v[44:45]
	ds_read_b128 v[10:13], v24 offset:1792
	s_waitcnt lgkmcnt(0)
	v_mul_f64 v[14:15], v[40:41], v[12:13]
	v_mul_f64 v[16:17], v[38:39], v[12:13]
	v_fma_f64 v[14:15], v[38:39], v[10:11], -v[14:15]
	v_fma_f64 v[16:17], v[40:41], v[10:11], v[16:17]
	;; [unrolled: 8-line block ×3, first 2 shown]
	v_mul_f64 v[8:9], v[14:15], v[12:13]
	v_add_f64 v[30:31], v[30:31], v[38:39]
	v_add_f64 v[32:33], v[6:7], v[32:33]
	v_mul_f64 v[6:7], v[16:17], v[12:13]
	v_fma_f64 v[8:9], v[16:17], v[10:11], v[8:9]
	v_fma_f64 v[6:7], v[14:15], v[10:11], -v[6:7]
	v_add_f64 v[20:21], v[8:9], v[20:21]
	v_add_f64 v[18:19], v[18:19], v[6:7]
	ds_read_b128 v[6:9], v25 offset:64
	ds_read_b128 v[10:13], v24 offset:2048
	s_waitcnt lgkmcnt(0)
	v_mul_f64 v[14:15], v[8:9], v[12:13]
	v_mul_f64 v[16:17], v[6:7], v[12:13]
	v_fma_f64 v[14:15], v[6:7], v[10:11], -v[14:15]
	v_fma_f64 v[16:17], v[8:9], v[10:11], v[16:17]
	v_add_f64 v[34:35], v[34:35], v[14:15]
	v_add_f64 v[36:37], v[16:17], v[36:37]
	ds_read_b128 v[14:17], v24 offset:2304
	s_waitcnt lgkmcnt(0)
	v_mul_f64 v[38:39], v[8:9], v[16:17]
	v_fma_f64 v[38:39], v[6:7], v[14:15], -v[38:39]
	v_mul_f64 v[6:7], v[6:7], v[16:17]
	v_add_f64 v[28:29], v[28:29], v[38:39]
	v_fma_f64 v[6:7], v[8:9], v[14:15], v[6:7]
	v_add_f64 v[26:27], v[6:7], v[26:27]
	ds_read_b128 v[6:9], v25 offset:2112
	s_waitcnt lgkmcnt(0)
	v_mul_f64 v[38:39], v[8:9], v[12:13]
	v_mul_f64 v[12:13], v[6:7], v[12:13]
	v_fma_f64 v[38:39], v[6:7], v[10:11], -v[38:39]
	v_fma_f64 v[10:11], v[8:9], v[10:11], v[12:13]
	v_add_f64 v[30:31], v[30:31], v[38:39]
	v_add_f64 v[32:33], v[10:11], v[32:33]
	v_mul_f64 v[10:11], v[8:9], v[16:17]
	v_fma_f64 v[10:11], v[6:7], v[14:15], -v[10:11]
	v_mul_f64 v[6:7], v[6:7], v[16:17]
	v_add_f64 v[18:19], v[18:19], v[10:11]
	v_fma_f64 v[6:7], v[8:9], v[14:15], v[6:7]
	v_add_f64 v[20:21], v[6:7], v[20:21]
	ds_read_b128 v[6:9], v25 offset:80
	ds_read_b128 v[10:13], v24 offset:2560
	s_waitcnt lgkmcnt(0)
	v_mul_f64 v[14:15], v[8:9], v[12:13]
	v_mul_f64 v[16:17], v[6:7], v[12:13]
	v_fma_f64 v[14:15], v[6:7], v[10:11], -v[14:15]
	v_fma_f64 v[16:17], v[8:9], v[10:11], v[16:17]
	v_add_f64 v[34:35], v[34:35], v[14:15]
	v_add_f64 v[36:37], v[16:17], v[36:37]
	ds_read_b128 v[14:17], v24 offset:2816
	s_waitcnt lgkmcnt(0)
	v_mul_f64 v[38:39], v[8:9], v[16:17]
	v_fma_f64 v[38:39], v[6:7], v[14:15], -v[38:39]
	v_mul_f64 v[6:7], v[6:7], v[16:17]
	v_add_f64 v[28:29], v[28:29], v[38:39]
	v_fma_f64 v[6:7], v[8:9], v[14:15], v[6:7]
	v_add_f64 v[26:27], v[6:7], v[26:27]
	ds_read_b128 v[6:9], v25 offset:2128
	s_waitcnt lgkmcnt(0)
	v_mul_f64 v[38:39], v[8:9], v[12:13]
	v_mul_f64 v[12:13], v[6:7], v[12:13]
	v_fma_f64 v[38:39], v[6:7], v[10:11], -v[38:39]
	v_fma_f64 v[10:11], v[8:9], v[10:11], v[12:13]
	v_add_f64 v[30:31], v[30:31], v[38:39]
	v_add_f64 v[32:33], v[10:11], v[32:33]
	v_mul_f64 v[10:11], v[8:9], v[16:17]
	v_fma_f64 v[10:11], v[6:7], v[14:15], -v[10:11]
	v_mul_f64 v[6:7], v[6:7], v[16:17]
	v_add_f64 v[18:19], v[18:19], v[10:11]
	v_fma_f64 v[6:7], v[8:9], v[14:15], v[6:7]
	;; [unrolled: 31-line block ×3, first 2 shown]
	v_add_f64 v[44:45], v[6:7], v[20:21]
	ds_read_b128 v[6:9], v25 offset:112
	ds_read_b128 v[14:17], v24 offset:3584
	;; [unrolled: 1-line block ×3, first 2 shown]
	s_waitcnt lgkmcnt(1)
	v_mul_f64 v[10:11], v[8:9], v[16:17]
	v_mul_f64 v[12:13], v[6:7], v[16:17]
	v_fma_f64 v[10:11], v[6:7], v[14:15], -v[10:11]
	v_fma_f64 v[12:13], v[8:9], v[14:15], v[12:13]
	v_add_f64 v[18:19], v[34:35], v[10:11]
	s_waitcnt lgkmcnt(0)
	v_mul_f64 v[10:11], v[8:9], v[28:29]
	v_add_f64 v[20:21], v[12:13], v[36:37]
	v_fma_f64 v[10:11], v[6:7], v[26:27], -v[10:11]
	v_mul_f64 v[6:7], v[6:7], v[28:29]
	v_add_f64 v[10:11], v[38:39], v[10:11]
	v_fma_f64 v[6:7], v[8:9], v[26:27], v[6:7]
	v_add_f64 v[12:13], v[6:7], v[40:41]
	ds_read_b128 v[6:9], v25 offset:2160
	s_waitcnt lgkmcnt(0)
	s_barrier
	v_mul_f64 v[34:35], v[8:9], v[16:17]
	v_mul_f64 v[16:17], v[6:7], v[16:17]
	v_fma_f64 v[34:35], v[6:7], v[14:15], -v[34:35]
	v_fma_f64 v[16:17], v[8:9], v[14:15], v[16:17]
	v_add_f64 v[14:15], v[30:31], v[34:35]
	v_mul_f64 v[30:31], v[8:9], v[28:29]
	v_add_f64 v[16:17], v[16:17], v[32:33]
	v_fma_f64 v[30:31], v[6:7], v[26:27], -v[30:31]
	v_mul_f64 v[6:7], v[6:7], v[28:29]
	v_fma_f64 v[6:7], v[8:9], v[26:27], v[6:7]
	v_add_f64 v[8:9], v[42:43], v[30:31]
	v_mov_b32_e32 v27, s1
	v_mov_b32_e32 v26, s0
	v_cmp_le_u64_e32 vcc, s[12:13], v[26:27]
	v_add_f64 v[6:7], v[6:7], v[44:45]
	s_cbranch_vccz .LBB1342_2
	s_branch .LBB1342_4
.LBB1342_3:
	v_mov_b32_e32 v18, 0
	v_mov_b32_e32 v20, 0
	;; [unrolled: 1-line block ×16, first 2 shown]
.LBB1342_4:
	v_add_u32_e32 v4, s3, v1
	v_ashrrev_i32_e32 v1, 31, v4
	v_mul_lo_u32 v3, s28, v1
	v_mul_lo_u32 v5, s29, v4
	v_mad_u64_u32 v[1:2], s[6:7], s28, v4, 0
	s_mul_i32 s0, s31, s8
	s_mul_hi_u32 s1, s30, s8
	s_add_i32 s1, s1, s0
	s_mul_i32 s0, s30, s8
	s_load_dword s4, s[4:5], 0x0
	s_lshl_b64 s[0:1], s[0:1], 4
	v_add3_u32 v2, v2, v3, v5
	s_add_u32 s6, s42, s0
	v_lshlrev_b64 v[1:2], 4, v[1:2]
	s_addc_u32 s7, s43, s1
	v_mov_b32_e32 v3, s7
	v_add_co_u32_e32 v5, vcc, s6, v1
	v_add_u32_e32 v0, s2, v0
	v_addc_co_u32_e32 v22, vcc, v3, v2, vcc
	v_cmp_le_i32_e64 s[0:1], v4, v0
	s_waitcnt lgkmcnt(0)
	v_cmp_gt_i32_e32 vcc, s4, v0
	s_and_b64 s[0:1], s[0:1], vcc
	s_and_saveexec_b64 s[2:3], s[0:1]
	s_cbranch_execz .LBB1342_6
; %bb.5:
	v_ashrrev_i32_e32 v1, 31, v0
	v_lshlrev_b64 v[1:2], 4, v[0:1]
	v_mul_f64 v[27:28], s[14:15], v[20:21]
	v_add_co_u32_e64 v1, s[0:1], v5, v1
	v_addc_co_u32_e64 v2, s[0:1], v22, v2, s[0:1]
	global_load_dwordx4 v[23:26], v[1:2], off
	v_mul_f64 v[20:21], s[16:17], v[20:21]
	v_cmp_ne_u32_e64 s[0:1], v4, v0
	v_fma_f64 v[27:28], s[16:17], v[18:19], v[27:28]
	v_fma_f64 v[18:19], s[14:15], v[18:19], -v[20:21]
	s_waitcnt vmcnt(0)
	v_mul_f64 v[29:30], s[38:39], v[25:26]
	v_mul_f64 v[25:26], s[40:41], v[25:26]
	v_fma_f64 v[29:30], s[40:41], v[23:24], v[29:30]
	v_fma_f64 v[20:21], s[38:39], v[23:24], -v[25:26]
	v_add_f64 v[23:24], v[27:28], v[29:30]
	v_add_f64 v[18:19], v[18:19], v[20:21]
	v_cndmask_b32_e64 v21, 0, v24, s[0:1]
	v_cndmask_b32_e64 v20, 0, v23, s[0:1]
	global_store_dwordx4 v[1:2], v[18:21], off
.LBB1342_6:
	s_or_b64 exec, exec, s[2:3]
	v_add_u32_e32 v2, 16, v0
	v_cmp_le_i32_e64 s[2:3], v4, v2
	v_cmp_gt_i32_e64 s[0:1], s4, v2
	s_and_b64 s[2:3], s[2:3], s[0:1]
	s_and_saveexec_b64 s[4:5], s[2:3]
	s_cbranch_execz .LBB1342_8
; %bb.7:
	v_ashrrev_i32_e32 v3, 31, v2
	v_lshlrev_b64 v[18:19], 4, v[2:3]
	v_mul_f64 v[25:26], s[14:15], v[12:13]
	v_add_co_u32_e64 v23, s[2:3], v5, v18
	v_addc_co_u32_e64 v24, s[2:3], v22, v19, s[2:3]
	global_load_dwordx4 v[18:21], v[23:24], off
	v_mul_f64 v[12:13], s[16:17], v[12:13]
	v_cmp_ne_u32_e64 s[2:3], v4, v2
	v_fma_f64 v[25:26], s[16:17], v[10:11], v[25:26]
	v_fma_f64 v[10:11], s[14:15], v[10:11], -v[12:13]
	s_waitcnt vmcnt(0)
	v_mul_f64 v[27:28], s[38:39], v[20:21]
	v_mul_f64 v[20:21], s[40:41], v[20:21]
	v_fma_f64 v[27:28], s[40:41], v[18:19], v[27:28]
	v_fma_f64 v[12:13], s[38:39], v[18:19], -v[20:21]
	v_add_f64 v[18:19], v[25:26], v[27:28]
	v_add_f64 v[10:11], v[10:11], v[12:13]
	v_cndmask_b32_e64 v13, 0, v19, s[2:3]
	v_cndmask_b32_e64 v12, 0, v18, s[2:3]
	global_store_dwordx4 v[23:24], v[10:13], off
.LBB1342_8:
	s_or_b64 exec, exec, s[4:5]
	v_add_u32_e32 v3, 16, v4
	v_ashrrev_i32_e32 v1, 31, v3
	v_mul_lo_u32 v5, s29, v3
	v_mad_u64_u32 v[10:11], s[2:3], s28, v3, 0
	v_mul_lo_u32 v1, s28, v1
	v_add3_u32 v11, v11, v1, v5
	v_lshlrev_b64 v[10:11], 4, v[10:11]
	v_mov_b32_e32 v1, s7
	v_add_co_u32_e64 v5, s[2:3], s6, v10
	v_addc_co_u32_e64 v10, s[2:3], v1, v11, s[2:3]
	v_cmp_le_i32_e64 s[2:3], v3, v0
	s_and_b64 s[4:5], s[2:3], vcc
	s_and_saveexec_b64 s[2:3], s[4:5]
	s_cbranch_execz .LBB1342_10
; %bb.9:
	v_ashrrev_i32_e32 v1, 31, v0
	v_lshlrev_b64 v[11:12], 4, v[0:1]
	v_add_co_u32_e32 v22, vcc, v5, v11
	v_addc_co_u32_e32 v23, vcc, v10, v12, vcc
	global_load_dwordx4 v[18:21], v[22:23], off
	v_mul_f64 v[11:12], s[14:15], v[16:17]
	v_mul_f64 v[16:17], s[16:17], v[16:17]
	v_cmp_ne_u32_e32 vcc, v3, v0
	v_fma_f64 v[11:12], s[16:17], v[14:15], v[11:12]
	v_fma_f64 v[13:14], s[14:15], v[14:15], -v[16:17]
	s_waitcnt vmcnt(0)
	v_mul_f64 v[24:25], s[38:39], v[20:21]
	v_mul_f64 v[20:21], s[40:41], v[20:21]
	v_fma_f64 v[24:25], s[40:41], v[18:19], v[24:25]
	v_fma_f64 v[15:16], s[38:39], v[18:19], -v[20:21]
	v_add_f64 v[17:18], v[11:12], v[24:25]
	v_add_f64 v[11:12], v[13:14], v[15:16]
	v_cndmask_b32_e32 v14, 0, v18, vcc
	v_cndmask_b32_e32 v13, 0, v17, vcc
	global_store_dwordx4 v[22:23], v[11:14], off
.LBB1342_10:
	s_or_b64 exec, exec, s[2:3]
	v_cmp_le_i32_e32 vcc, v3, v2
	s_and_b64 s[0:1], vcc, s[0:1]
	s_and_saveexec_b64 s[2:3], s[0:1]
	s_cbranch_execz .LBB1342_12
; %bb.11:
	v_ashrrev_i32_e32 v3, 31, v2
	v_lshlrev_b64 v[1:2], 4, v[2:3]
	v_add_co_u32_e32 v14, vcc, v5, v1
	v_addc_co_u32_e32 v15, vcc, v10, v2, vcc
	global_load_dwordx4 v[10:13], v[14:15], off
	v_mul_f64 v[1:2], s[14:15], v[6:7]
	v_mul_f64 v[5:6], s[16:17], v[6:7]
	v_cmp_ne_u32_e32 vcc, v4, v0
	v_fma_f64 v[1:2], s[16:17], v[8:9], v[1:2]
	v_fma_f64 v[5:6], s[14:15], v[8:9], -v[5:6]
	s_waitcnt vmcnt(0)
	v_mul_f64 v[16:17], s[38:39], v[12:13]
	v_mul_f64 v[12:13], s[40:41], v[12:13]
	v_fma_f64 v[16:17], s[40:41], v[10:11], v[16:17]
	v_fma_f64 v[7:8], s[38:39], v[10:11], -v[12:13]
	v_add_f64 v[9:10], v[1:2], v[16:17]
	v_add_f64 v[1:2], v[5:6], v[7:8]
	v_cndmask_b32_e32 v4, 0, v10, vcc
	v_cndmask_b32_e32 v3, 0, v9, vcc
	global_store_dwordx4 v[14:15], v[1:4], off
.LBB1342_12:
	s_endpgm
	.section	.rodata,"a",@progbits
	.p2align	6, 0x0
	.amdhsa_kernel _ZL37rocblas_syrkx_herkx_restricted_kernelIl19rocblas_complex_numIdELi16ELi32ELi8ELb0ELb1ELc67ELc76EKS1_S1_EviT_T0_PT8_S3_lS6_S3_lS4_PT9_S3_li
		.amdhsa_group_segment_fixed_size 8192
		.amdhsa_private_segment_fixed_size 0
		.amdhsa_kernarg_size 124
		.amdhsa_user_sgpr_count 6
		.amdhsa_user_sgpr_private_segment_buffer 1
		.amdhsa_user_sgpr_dispatch_ptr 0
		.amdhsa_user_sgpr_queue_ptr 0
		.amdhsa_user_sgpr_kernarg_segment_ptr 1
		.amdhsa_user_sgpr_dispatch_id 0
		.amdhsa_user_sgpr_flat_scratch_init 0
		.amdhsa_user_sgpr_private_segment_size 0
		.amdhsa_uses_dynamic_stack 0
		.amdhsa_system_sgpr_private_segment_wavefront_offset 0
		.amdhsa_system_sgpr_workgroup_id_x 1
		.amdhsa_system_sgpr_workgroup_id_y 1
		.amdhsa_system_sgpr_workgroup_id_z 1
		.amdhsa_system_sgpr_workgroup_info 0
		.amdhsa_system_vgpr_workitem_id 1
		.amdhsa_next_free_vgpr 52
		.amdhsa_next_free_sgpr 61
		.amdhsa_reserve_vcc 1
		.amdhsa_reserve_flat_scratch 0
		.amdhsa_float_round_mode_32 0
		.amdhsa_float_round_mode_16_64 0
		.amdhsa_float_denorm_mode_32 3
		.amdhsa_float_denorm_mode_16_64 3
		.amdhsa_dx10_clamp 1
		.amdhsa_ieee_mode 1
		.amdhsa_fp16_overflow 0
		.amdhsa_exception_fp_ieee_invalid_op 0
		.amdhsa_exception_fp_denorm_src 0
		.amdhsa_exception_fp_ieee_div_zero 0
		.amdhsa_exception_fp_ieee_overflow 0
		.amdhsa_exception_fp_ieee_underflow 0
		.amdhsa_exception_fp_ieee_inexact 0
		.amdhsa_exception_int_div_zero 0
	.end_amdhsa_kernel
	.section	.text._ZL37rocblas_syrkx_herkx_restricted_kernelIl19rocblas_complex_numIdELi16ELi32ELi8ELb0ELb1ELc67ELc76EKS1_S1_EviT_T0_PT8_S3_lS6_S3_lS4_PT9_S3_li,"axG",@progbits,_ZL37rocblas_syrkx_herkx_restricted_kernelIl19rocblas_complex_numIdELi16ELi32ELi8ELb0ELb1ELc67ELc76EKS1_S1_EviT_T0_PT8_S3_lS6_S3_lS4_PT9_S3_li,comdat
.Lfunc_end1342:
	.size	_ZL37rocblas_syrkx_herkx_restricted_kernelIl19rocblas_complex_numIdELi16ELi32ELi8ELb0ELb1ELc67ELc76EKS1_S1_EviT_T0_PT8_S3_lS6_S3_lS4_PT9_S3_li, .Lfunc_end1342-_ZL37rocblas_syrkx_herkx_restricted_kernelIl19rocblas_complex_numIdELi16ELi32ELi8ELb0ELb1ELc67ELc76EKS1_S1_EviT_T0_PT8_S3_lS6_S3_lS4_PT9_S3_li
                                        ; -- End function
	.set _ZL37rocblas_syrkx_herkx_restricted_kernelIl19rocblas_complex_numIdELi16ELi32ELi8ELb0ELb1ELc67ELc76EKS1_S1_EviT_T0_PT8_S3_lS6_S3_lS4_PT9_S3_li.num_vgpr, 52
	.set _ZL37rocblas_syrkx_herkx_restricted_kernelIl19rocblas_complex_numIdELi16ELi32ELi8ELb0ELb1ELc67ELc76EKS1_S1_EviT_T0_PT8_S3_lS6_S3_lS4_PT9_S3_li.num_agpr, 0
	.set _ZL37rocblas_syrkx_herkx_restricted_kernelIl19rocblas_complex_numIdELi16ELi32ELi8ELb0ELb1ELc67ELc76EKS1_S1_EviT_T0_PT8_S3_lS6_S3_lS4_PT9_S3_li.numbered_sgpr, 44
	.set _ZL37rocblas_syrkx_herkx_restricted_kernelIl19rocblas_complex_numIdELi16ELi32ELi8ELb0ELb1ELc67ELc76EKS1_S1_EviT_T0_PT8_S3_lS6_S3_lS4_PT9_S3_li.num_named_barrier, 0
	.set _ZL37rocblas_syrkx_herkx_restricted_kernelIl19rocblas_complex_numIdELi16ELi32ELi8ELb0ELb1ELc67ELc76EKS1_S1_EviT_T0_PT8_S3_lS6_S3_lS4_PT9_S3_li.private_seg_size, 0
	.set _ZL37rocblas_syrkx_herkx_restricted_kernelIl19rocblas_complex_numIdELi16ELi32ELi8ELb0ELb1ELc67ELc76EKS1_S1_EviT_T0_PT8_S3_lS6_S3_lS4_PT9_S3_li.uses_vcc, 1
	.set _ZL37rocblas_syrkx_herkx_restricted_kernelIl19rocblas_complex_numIdELi16ELi32ELi8ELb0ELb1ELc67ELc76EKS1_S1_EviT_T0_PT8_S3_lS6_S3_lS4_PT9_S3_li.uses_flat_scratch, 0
	.set _ZL37rocblas_syrkx_herkx_restricted_kernelIl19rocblas_complex_numIdELi16ELi32ELi8ELb0ELb1ELc67ELc76EKS1_S1_EviT_T0_PT8_S3_lS6_S3_lS4_PT9_S3_li.has_dyn_sized_stack, 0
	.set _ZL37rocblas_syrkx_herkx_restricted_kernelIl19rocblas_complex_numIdELi16ELi32ELi8ELb0ELb1ELc67ELc76EKS1_S1_EviT_T0_PT8_S3_lS6_S3_lS4_PT9_S3_li.has_recursion, 0
	.set _ZL37rocblas_syrkx_herkx_restricted_kernelIl19rocblas_complex_numIdELi16ELi32ELi8ELb0ELb1ELc67ELc76EKS1_S1_EviT_T0_PT8_S3_lS6_S3_lS4_PT9_S3_li.has_indirect_call, 0
	.section	.AMDGPU.csdata,"",@progbits
; Kernel info:
; codeLenInByte = 3308
; TotalNumSgprs: 48
; NumVgprs: 52
; ScratchSize: 0
; MemoryBound: 0
; FloatMode: 240
; IeeeMode: 1
; LDSByteSize: 8192 bytes/workgroup (compile time only)
; SGPRBlocks: 8
; VGPRBlocks: 12
; NumSGPRsForWavesPerEU: 65
; NumVGPRsForWavesPerEU: 52
; Occupancy: 4
; WaveLimiterHint : 0
; COMPUTE_PGM_RSRC2:SCRATCH_EN: 0
; COMPUTE_PGM_RSRC2:USER_SGPR: 6
; COMPUTE_PGM_RSRC2:TRAP_HANDLER: 0
; COMPUTE_PGM_RSRC2:TGID_X_EN: 1
; COMPUTE_PGM_RSRC2:TGID_Y_EN: 1
; COMPUTE_PGM_RSRC2:TGID_Z_EN: 1
; COMPUTE_PGM_RSRC2:TIDIG_COMP_CNT: 1
	.section	.text._ZL37rocblas_syrkx_herkx_restricted_kernelIl19rocblas_complex_numIdELi16ELi32ELi8ELb0ELb1ELc78ELc76EKS1_S1_EviT_T0_PT8_S3_lS6_S3_lS4_PT9_S3_li,"axG",@progbits,_ZL37rocblas_syrkx_herkx_restricted_kernelIl19rocblas_complex_numIdELi16ELi32ELi8ELb0ELb1ELc78ELc76EKS1_S1_EviT_T0_PT8_S3_lS6_S3_lS4_PT9_S3_li,comdat
	.globl	_ZL37rocblas_syrkx_herkx_restricted_kernelIl19rocblas_complex_numIdELi16ELi32ELi8ELb0ELb1ELc78ELc76EKS1_S1_EviT_T0_PT8_S3_lS6_S3_lS4_PT9_S3_li ; -- Begin function _ZL37rocblas_syrkx_herkx_restricted_kernelIl19rocblas_complex_numIdELi16ELi32ELi8ELb0ELb1ELc78ELc76EKS1_S1_EviT_T0_PT8_S3_lS6_S3_lS4_PT9_S3_li
	.p2align	8
	.type	_ZL37rocblas_syrkx_herkx_restricted_kernelIl19rocblas_complex_numIdELi16ELi32ELi8ELb0ELb1ELc78ELc76EKS1_S1_EviT_T0_PT8_S3_lS6_S3_lS4_PT9_S3_li,@function
_ZL37rocblas_syrkx_herkx_restricted_kernelIl19rocblas_complex_numIdELi16ELi32ELi8ELb0ELb1ELc78ELc76EKS1_S1_EviT_T0_PT8_S3_lS6_S3_lS4_PT9_S3_li: ; @_ZL37rocblas_syrkx_herkx_restricted_kernelIl19rocblas_complex_numIdELi16ELi32ELi8ELb0ELb1ELc78ELc76EKS1_S1_EviT_T0_PT8_S3_lS6_S3_lS4_PT9_S3_li
; %bb.0:
	s_load_dwordx16 s[12:27], s[4:5], 0x8
	s_load_dwordx4 s[28:31], s[4:5], 0x68
	s_load_dwordx8 s[36:43], s[4:5], 0x48
	s_lshl_b32 s9, s6, 5
	s_lshl_b32 s10, s7, 5
	s_waitcnt lgkmcnt(0)
	v_cmp_lt_i64_e64 s[0:1], s[12:13], 1
	s_and_b64 vcc, exec, s[0:1]
	s_cbranch_vccnz .LBB1343_3
; %bb.1:
	v_lshl_add_u32 v6, v1, 4, v0
	v_lshrrev_b32_e32 v7, 3, v6
	v_add_u32_e32 v2, s10, v7
	v_and_b32_e32 v8, 7, v0
	v_ashrrev_i32_e32 v3, 31, v2
	v_mad_u64_u32 v[4:5], s[0:1], s26, v8, v[2:3]
	v_lshrrev_b32_e32 v9, 5, v6
	s_mul_i32 s2, s23, s8
	v_mov_b32_e32 v2, v5
	v_mad_u64_u32 v[2:3], s[0:1], s27, v8, v[2:3]
	v_and_b32_e32 v3, 31, v6
	v_lshlrev_b32_e32 v6, 4, v3
	v_mov_b32_e32 v5, v2
	v_lshlrev_b32_e32 v2, 4, v8
	v_lshl_or_b32 v2, v7, 7, v2
	v_add_u32_e32 v23, 0x1000, v2
	v_add_u32_e32 v2, s9, v3
	v_ashrrev_i32_e32 v3, 31, v2
	v_mad_u64_u32 v[2:3], s[0:1], s20, v9, v[2:3]
	v_lshl_or_b32 v22, v9, 9, v6
	v_mov_b32_e32 v6, 0x1000
	v_lshl_add_u32 v25, v1, 7, v6
	v_mad_u64_u32 v[6:7], s[0:1], s21, v9, v[3:4]
	s_mul_hi_u32 s3, s22, s8
	s_add_i32 s1, s3, s2
	s_mul_i32 s0, s22, s8
	s_lshl_b64 s[0:1], s[0:1], 4
	v_mov_b32_e32 v3, v6
	v_lshlrev_b64 v[2:3], 4, v[2:3]
	s_add_u32 s0, s18, s0
	s_addc_u32 s1, s19, s1
	s_mul_i32 s2, s37, s8
	s_mul_hi_u32 s3, s36, s8
	v_mov_b32_e32 v6, s1
	v_add_co_u32_e32 v2, vcc, s0, v2
	s_add_i32 s3, s3, s2
	s_mul_i32 s2, s36, s8
	v_addc_co_u32_e32 v3, vcc, v6, v3, vcc
	s_lshl_b64 s[0:1], s[20:21], 7
	s_lshl_b64 s[2:3], s[2:3], 4
	v_add_co_u32_e32 v2, vcc, 8, v2
	v_lshlrev_b64 v[4:5], 4, v[4:5]
	s_add_u32 s2, s24, s2
	v_addc_co_u32_e32 v3, vcc, 0, v3, vcc
	s_addc_u32 s3, s25, s3
	v_mov_b32_e32 v6, s3
	v_add_co_u32_e32 v4, vcc, s2, v4
	v_addc_co_u32_e32 v5, vcc, v6, v5, vcc
	v_add_co_u32_e32 v4, vcc, 8, v4
	s_lshl_b64 s[2:3], s[26:27], 7
	v_mov_b32_e32 v6, 0
	v_mov_b32_e32 v8, 0
	;; [unrolled: 1-line block ×8, first 2 shown]
	v_lshlrev_b32_e32 v24, 4, v0
	v_addc_co_u32_e32 v5, vcc, 0, v5, vcc
	v_mov_b32_e32 v7, 0
	s_mov_b64 s[6:7], 0
	v_mov_b32_e32 v26, s1
	v_mov_b32_e32 v9, 0
	;; [unrolled: 1-line block ×9, first 2 shown]
.LBB1343_2:                             ; =>This Inner Loop Header: Depth=1
	global_load_dwordx4 v[28:31], v[2:3], off offset:-8
	s_add_u32 s6, s6, 8
	v_add_co_u32_e32 v2, vcc, s0, v2
	s_addc_u32 s7, s7, 0
	v_addc_co_u32_e32 v3, vcc, v3, v26, vcc
	s_waitcnt vmcnt(0)
	ds_write_b128 v22, v[28:31]
	global_load_dwordx4 v[28:31], v[4:5], off offset:-8
	v_add_co_u32_e32 v4, vcc, s2, v4
	v_addc_co_u32_e32 v5, vcc, v5, v27, vcc
	s_waitcnt vmcnt(0)
	v_xor_b32_e32 v31, 0x80000000, v31
	ds_write_b128 v23, v[28:31]
	s_waitcnt lgkmcnt(0)
	s_barrier
	ds_read_b128 v[28:31], v25
	ds_read_b128 v[32:35], v25 offset:16
	ds_read_b128 v[36:39], v25 offset:32
	;; [unrolled: 1-line block ×3, first 2 shown]
	ds_read_b128 v[44:47], v24
	s_waitcnt lgkmcnt(0)
	v_mul_f64 v[48:49], v[30:31], v[46:47]
	v_mul_f64 v[50:51], v[28:29], v[46:47]
	v_fma_f64 v[48:49], v[28:29], v[44:45], -v[48:49]
	v_fma_f64 v[50:51], v[30:31], v[44:45], v[50:51]
	v_add_f64 v[48:49], v[18:19], v[48:49]
	v_add_f64 v[50:51], v[50:51], v[20:21]
	ds_read_b128 v[18:21], v24 offset:256
	s_waitcnt lgkmcnt(0)
	v_mul_f64 v[52:53], v[30:31], v[20:21]
	v_fma_f64 v[52:53], v[28:29], v[18:19], -v[52:53]
	v_mul_f64 v[28:29], v[28:29], v[20:21]
	v_fma_f64 v[28:29], v[30:31], v[18:19], v[28:29]
	v_add_f64 v[30:31], v[10:11], v[52:53]
	v_add_f64 v[28:29], v[28:29], v[12:13]
	ds_read_b128 v[10:13], v25 offset:2048
	s_waitcnt lgkmcnt(0)
	v_mul_f64 v[52:53], v[12:13], v[46:47]
	v_mul_f64 v[46:47], v[10:11], v[46:47]
	v_fma_f64 v[52:53], v[10:11], v[44:45], -v[52:53]
	v_fma_f64 v[44:45], v[12:13], v[44:45], v[46:47]
	v_add_f64 v[46:47], v[14:15], v[52:53]
	v_mul_f64 v[14:15], v[12:13], v[20:21]
	v_add_f64 v[44:45], v[44:45], v[16:17]
	v_fma_f64 v[14:15], v[10:11], v[18:19], -v[14:15]
	v_mul_f64 v[10:11], v[10:11], v[20:21]
	v_fma_f64 v[10:11], v[12:13], v[18:19], v[10:11]
	v_add_f64 v[18:19], v[8:9], v[14:15]
	v_add_f64 v[20:21], v[10:11], v[6:7]
	ds_read_b128 v[6:9], v24 offset:512
	s_waitcnt lgkmcnt(0)
	v_mul_f64 v[10:11], v[34:35], v[8:9]
	v_mul_f64 v[12:13], v[32:33], v[8:9]
	v_fma_f64 v[10:11], v[32:33], v[6:7], -v[10:11]
	v_fma_f64 v[12:13], v[34:35], v[6:7], v[12:13]
	v_add_f64 v[48:49], v[48:49], v[10:11]
	v_add_f64 v[50:51], v[12:13], v[50:51]
	ds_read_b128 v[10:13], v24 offset:768
	s_waitcnt lgkmcnt(0)
	v_mul_f64 v[14:15], v[34:35], v[12:13]
	v_mul_f64 v[16:17], v[32:33], v[12:13]
	v_fma_f64 v[14:15], v[32:33], v[10:11], -v[14:15]
	;; [unrolled: 8-line block ×3, first 2 shown]
	v_fma_f64 v[6:7], v[16:17], v[6:7], v[8:9]
	v_mul_f64 v[8:9], v[14:15], v[12:13]
	v_add_f64 v[32:33], v[46:47], v[32:33]
	v_add_f64 v[34:35], v[6:7], v[44:45]
	v_mul_f64 v[6:7], v[16:17], v[12:13]
	v_fma_f64 v[8:9], v[16:17], v[10:11], v[8:9]
	v_fma_f64 v[6:7], v[14:15], v[10:11], -v[6:7]
	v_add_f64 v[20:21], v[8:9], v[20:21]
	v_add_f64 v[18:19], v[18:19], v[6:7]
	ds_read_b128 v[6:9], v24 offset:1024
	s_waitcnt lgkmcnt(0)
	v_mul_f64 v[10:11], v[38:39], v[8:9]
	v_mul_f64 v[12:13], v[36:37], v[8:9]
	v_fma_f64 v[10:11], v[36:37], v[6:7], -v[10:11]
	v_fma_f64 v[12:13], v[38:39], v[6:7], v[12:13]
	v_add_f64 v[44:45], v[48:49], v[10:11]
	v_add_f64 v[46:47], v[12:13], v[50:51]
	ds_read_b128 v[10:13], v24 offset:1280
	s_waitcnt lgkmcnt(0)
	v_mul_f64 v[14:15], v[38:39], v[12:13]
	v_mul_f64 v[16:17], v[36:37], v[12:13]
	v_fma_f64 v[14:15], v[36:37], v[10:11], -v[14:15]
	v_fma_f64 v[16:17], v[38:39], v[10:11], v[16:17]
	;; [unrolled: 8-line block ×3, first 2 shown]
	v_mul_f64 v[8:9], v[14:15], v[12:13]
	v_add_f64 v[32:33], v[32:33], v[36:37]
	v_add_f64 v[34:35], v[6:7], v[34:35]
	v_mul_f64 v[6:7], v[16:17], v[12:13]
	v_fma_f64 v[8:9], v[16:17], v[10:11], v[8:9]
	v_fma_f64 v[6:7], v[14:15], v[10:11], -v[6:7]
	v_add_f64 v[20:21], v[8:9], v[20:21]
	v_add_f64 v[18:19], v[18:19], v[6:7]
	ds_read_b128 v[6:9], v24 offset:1536
	s_waitcnt lgkmcnt(0)
	v_mul_f64 v[10:11], v[42:43], v[8:9]
	v_mul_f64 v[12:13], v[40:41], v[8:9]
	v_fma_f64 v[10:11], v[40:41], v[6:7], -v[10:11]
	v_fma_f64 v[12:13], v[42:43], v[6:7], v[12:13]
	v_add_f64 v[36:37], v[44:45], v[10:11]
	v_add_f64 v[38:39], v[12:13], v[46:47]
	ds_read_b128 v[10:13], v24 offset:1792
	s_waitcnt lgkmcnt(0)
	v_mul_f64 v[14:15], v[42:43], v[12:13]
	v_mul_f64 v[16:17], v[40:41], v[12:13]
	v_fma_f64 v[14:15], v[40:41], v[10:11], -v[14:15]
	v_fma_f64 v[16:17], v[42:43], v[10:11], v[16:17]
	;; [unrolled: 8-line block ×3, first 2 shown]
	v_mul_f64 v[8:9], v[14:15], v[12:13]
	v_add_f64 v[32:33], v[32:33], v[40:41]
	v_add_f64 v[34:35], v[6:7], v[34:35]
	v_mul_f64 v[6:7], v[16:17], v[12:13]
	v_fma_f64 v[8:9], v[16:17], v[10:11], v[8:9]
	v_fma_f64 v[6:7], v[14:15], v[10:11], -v[6:7]
	v_add_f64 v[20:21], v[8:9], v[20:21]
	v_add_f64 v[18:19], v[18:19], v[6:7]
	ds_read_b128 v[6:9], v25 offset:64
	ds_read_b128 v[10:13], v24 offset:2048
	s_waitcnt lgkmcnt(0)
	v_mul_f64 v[14:15], v[8:9], v[12:13]
	v_mul_f64 v[16:17], v[6:7], v[12:13]
	v_fma_f64 v[14:15], v[6:7], v[10:11], -v[14:15]
	v_fma_f64 v[16:17], v[8:9], v[10:11], v[16:17]
	v_add_f64 v[36:37], v[36:37], v[14:15]
	v_add_f64 v[38:39], v[16:17], v[38:39]
	ds_read_b128 v[14:17], v24 offset:2304
	s_waitcnt lgkmcnt(0)
	v_mul_f64 v[40:41], v[8:9], v[16:17]
	v_fma_f64 v[40:41], v[6:7], v[14:15], -v[40:41]
	v_mul_f64 v[6:7], v[6:7], v[16:17]
	v_add_f64 v[30:31], v[30:31], v[40:41]
	v_fma_f64 v[6:7], v[8:9], v[14:15], v[6:7]
	v_add_f64 v[28:29], v[6:7], v[28:29]
	ds_read_b128 v[6:9], v25 offset:2112
	s_waitcnt lgkmcnt(0)
	v_mul_f64 v[40:41], v[8:9], v[12:13]
	v_mul_f64 v[12:13], v[6:7], v[12:13]
	v_fma_f64 v[40:41], v[6:7], v[10:11], -v[40:41]
	v_fma_f64 v[10:11], v[8:9], v[10:11], v[12:13]
	v_add_f64 v[32:33], v[32:33], v[40:41]
	v_add_f64 v[34:35], v[10:11], v[34:35]
	v_mul_f64 v[10:11], v[8:9], v[16:17]
	v_fma_f64 v[10:11], v[6:7], v[14:15], -v[10:11]
	v_mul_f64 v[6:7], v[6:7], v[16:17]
	v_add_f64 v[18:19], v[18:19], v[10:11]
	v_fma_f64 v[6:7], v[8:9], v[14:15], v[6:7]
	v_add_f64 v[20:21], v[6:7], v[20:21]
	ds_read_b128 v[6:9], v25 offset:80
	ds_read_b128 v[10:13], v24 offset:2560
	s_waitcnt lgkmcnt(0)
	v_mul_f64 v[14:15], v[8:9], v[12:13]
	v_mul_f64 v[16:17], v[6:7], v[12:13]
	v_fma_f64 v[14:15], v[6:7], v[10:11], -v[14:15]
	v_fma_f64 v[16:17], v[8:9], v[10:11], v[16:17]
	v_add_f64 v[36:37], v[36:37], v[14:15]
	v_add_f64 v[38:39], v[16:17], v[38:39]
	ds_read_b128 v[14:17], v24 offset:2816
	s_waitcnt lgkmcnt(0)
	v_mul_f64 v[40:41], v[8:9], v[16:17]
	v_fma_f64 v[40:41], v[6:7], v[14:15], -v[40:41]
	v_mul_f64 v[6:7], v[6:7], v[16:17]
	v_add_f64 v[30:31], v[30:31], v[40:41]
	v_fma_f64 v[6:7], v[8:9], v[14:15], v[6:7]
	v_add_f64 v[28:29], v[6:7], v[28:29]
	ds_read_b128 v[6:9], v25 offset:2128
	s_waitcnt lgkmcnt(0)
	v_mul_f64 v[40:41], v[8:9], v[12:13]
	v_mul_f64 v[12:13], v[6:7], v[12:13]
	v_fma_f64 v[40:41], v[6:7], v[10:11], -v[40:41]
	v_fma_f64 v[10:11], v[8:9], v[10:11], v[12:13]
	v_add_f64 v[32:33], v[32:33], v[40:41]
	v_add_f64 v[34:35], v[10:11], v[34:35]
	v_mul_f64 v[10:11], v[8:9], v[16:17]
	v_fma_f64 v[10:11], v[6:7], v[14:15], -v[10:11]
	v_mul_f64 v[6:7], v[6:7], v[16:17]
	v_add_f64 v[18:19], v[18:19], v[10:11]
	v_fma_f64 v[6:7], v[8:9], v[14:15], v[6:7]
	;; [unrolled: 31-line block ×3, first 2 shown]
	v_add_f64 v[46:47], v[6:7], v[20:21]
	ds_read_b128 v[6:9], v25 offset:112
	ds_read_b128 v[14:17], v24 offset:3584
	;; [unrolled: 1-line block ×3, first 2 shown]
	s_waitcnt lgkmcnt(1)
	v_mul_f64 v[10:11], v[8:9], v[16:17]
	v_mul_f64 v[12:13], v[6:7], v[16:17]
	v_fma_f64 v[10:11], v[6:7], v[14:15], -v[10:11]
	v_fma_f64 v[12:13], v[8:9], v[14:15], v[12:13]
	v_add_f64 v[18:19], v[36:37], v[10:11]
	s_waitcnt lgkmcnt(0)
	v_mul_f64 v[10:11], v[8:9], v[30:31]
	v_add_f64 v[20:21], v[12:13], v[38:39]
	v_fma_f64 v[10:11], v[6:7], v[28:29], -v[10:11]
	v_mul_f64 v[6:7], v[6:7], v[30:31]
	v_add_f64 v[10:11], v[40:41], v[10:11]
	v_fma_f64 v[6:7], v[8:9], v[28:29], v[6:7]
	v_add_f64 v[12:13], v[6:7], v[42:43]
	ds_read_b128 v[6:9], v25 offset:2160
	s_waitcnt lgkmcnt(0)
	s_barrier
	v_mul_f64 v[36:37], v[8:9], v[16:17]
	v_mul_f64 v[16:17], v[6:7], v[16:17]
	v_fma_f64 v[36:37], v[6:7], v[14:15], -v[36:37]
	v_fma_f64 v[16:17], v[8:9], v[14:15], v[16:17]
	v_add_f64 v[14:15], v[32:33], v[36:37]
	v_mul_f64 v[32:33], v[8:9], v[30:31]
	v_add_f64 v[16:17], v[16:17], v[34:35]
	v_fma_f64 v[32:33], v[6:7], v[28:29], -v[32:33]
	v_mul_f64 v[6:7], v[6:7], v[30:31]
	v_fma_f64 v[6:7], v[8:9], v[28:29], v[6:7]
	v_add_f64 v[8:9], v[44:45], v[32:33]
	v_mov_b32_e32 v29, s7
	v_mov_b32_e32 v28, s6
	v_cmp_le_u64_e32 vcc, s[12:13], v[28:29]
	v_add_f64 v[6:7], v[6:7], v[46:47]
	s_cbranch_vccz .LBB1343_2
	s_branch .LBB1343_4
.LBB1343_3:
	v_mov_b32_e32 v18, 0
	v_mov_b32_e32 v20, 0
	;; [unrolled: 1-line block ×16, first 2 shown]
.LBB1343_4:
	v_add_u32_e32 v4, s10, v1
	v_ashrrev_i32_e32 v1, 31, v4
	v_mul_lo_u32 v3, s28, v1
	v_mul_lo_u32 v5, s29, v4
	v_mad_u64_u32 v[1:2], s[2:3], s28, v4, 0
	s_mul_i32 s0, s31, s8
	s_mul_hi_u32 s1, s30, s8
	s_add_i32 s1, s1, s0
	s_mul_i32 s0, s30, s8
	s_load_dword s4, s[4:5], 0x0
	s_lshl_b64 s[0:1], s[0:1], 4
	v_add3_u32 v2, v2, v3, v5
	s_add_u32 s6, s42, s0
	v_lshlrev_b64 v[1:2], 4, v[1:2]
	s_addc_u32 s7, s43, s1
	v_mov_b32_e32 v3, s7
	v_add_co_u32_e32 v5, vcc, s6, v1
	v_add_u32_e32 v0, s9, v0
	v_addc_co_u32_e32 v22, vcc, v3, v2, vcc
	v_cmp_le_i32_e64 s[0:1], v4, v0
	s_waitcnt lgkmcnt(0)
	v_cmp_gt_i32_e32 vcc, s4, v0
	s_and_b64 s[0:1], s[0:1], vcc
	s_and_saveexec_b64 s[2:3], s[0:1]
	s_cbranch_execz .LBB1343_6
; %bb.5:
	v_ashrrev_i32_e32 v1, 31, v0
	v_lshlrev_b64 v[1:2], 4, v[0:1]
	v_mul_f64 v[27:28], s[14:15], v[20:21]
	v_add_co_u32_e64 v1, s[0:1], v5, v1
	v_addc_co_u32_e64 v2, s[0:1], v22, v2, s[0:1]
	global_load_dwordx4 v[23:26], v[1:2], off
	v_mul_f64 v[20:21], s[16:17], v[20:21]
	v_cmp_ne_u32_e64 s[0:1], v4, v0
	v_fma_f64 v[27:28], s[16:17], v[18:19], v[27:28]
	v_fma_f64 v[18:19], s[14:15], v[18:19], -v[20:21]
	s_waitcnt vmcnt(0)
	v_mul_f64 v[29:30], s[38:39], v[25:26]
	v_mul_f64 v[25:26], s[40:41], v[25:26]
	v_fma_f64 v[29:30], s[40:41], v[23:24], v[29:30]
	v_fma_f64 v[20:21], s[38:39], v[23:24], -v[25:26]
	v_add_f64 v[23:24], v[27:28], v[29:30]
	v_add_f64 v[18:19], v[18:19], v[20:21]
	v_cndmask_b32_e64 v21, 0, v24, s[0:1]
	v_cndmask_b32_e64 v20, 0, v23, s[0:1]
	global_store_dwordx4 v[1:2], v[18:21], off
.LBB1343_6:
	s_or_b64 exec, exec, s[2:3]
	v_add_u32_e32 v2, 16, v0
	v_cmp_le_i32_e64 s[2:3], v4, v2
	v_cmp_gt_i32_e64 s[0:1], s4, v2
	s_and_b64 s[2:3], s[2:3], s[0:1]
	s_and_saveexec_b64 s[4:5], s[2:3]
	s_cbranch_execz .LBB1343_8
; %bb.7:
	v_ashrrev_i32_e32 v3, 31, v2
	v_lshlrev_b64 v[18:19], 4, v[2:3]
	v_mul_f64 v[25:26], s[14:15], v[12:13]
	v_add_co_u32_e64 v23, s[2:3], v5, v18
	v_addc_co_u32_e64 v24, s[2:3], v22, v19, s[2:3]
	global_load_dwordx4 v[18:21], v[23:24], off
	v_mul_f64 v[12:13], s[16:17], v[12:13]
	v_cmp_ne_u32_e64 s[2:3], v4, v2
	v_fma_f64 v[25:26], s[16:17], v[10:11], v[25:26]
	v_fma_f64 v[10:11], s[14:15], v[10:11], -v[12:13]
	s_waitcnt vmcnt(0)
	v_mul_f64 v[27:28], s[38:39], v[20:21]
	v_mul_f64 v[20:21], s[40:41], v[20:21]
	v_fma_f64 v[27:28], s[40:41], v[18:19], v[27:28]
	v_fma_f64 v[12:13], s[38:39], v[18:19], -v[20:21]
	v_add_f64 v[18:19], v[25:26], v[27:28]
	v_add_f64 v[10:11], v[10:11], v[12:13]
	v_cndmask_b32_e64 v13, 0, v19, s[2:3]
	v_cndmask_b32_e64 v12, 0, v18, s[2:3]
	global_store_dwordx4 v[23:24], v[10:13], off
.LBB1343_8:
	s_or_b64 exec, exec, s[4:5]
	v_add_u32_e32 v3, 16, v4
	v_ashrrev_i32_e32 v1, 31, v3
	v_mul_lo_u32 v5, s29, v3
	v_mad_u64_u32 v[10:11], s[2:3], s28, v3, 0
	v_mul_lo_u32 v1, s28, v1
	v_add3_u32 v11, v11, v1, v5
	v_lshlrev_b64 v[10:11], 4, v[10:11]
	v_mov_b32_e32 v1, s7
	v_add_co_u32_e64 v5, s[2:3], s6, v10
	v_addc_co_u32_e64 v10, s[2:3], v1, v11, s[2:3]
	v_cmp_le_i32_e64 s[2:3], v3, v0
	s_and_b64 s[4:5], s[2:3], vcc
	s_and_saveexec_b64 s[2:3], s[4:5]
	s_cbranch_execz .LBB1343_10
; %bb.9:
	v_ashrrev_i32_e32 v1, 31, v0
	v_lshlrev_b64 v[11:12], 4, v[0:1]
	v_add_co_u32_e32 v22, vcc, v5, v11
	v_addc_co_u32_e32 v23, vcc, v10, v12, vcc
	global_load_dwordx4 v[18:21], v[22:23], off
	v_mul_f64 v[11:12], s[14:15], v[16:17]
	v_mul_f64 v[16:17], s[16:17], v[16:17]
	v_cmp_ne_u32_e32 vcc, v3, v0
	v_fma_f64 v[11:12], s[16:17], v[14:15], v[11:12]
	v_fma_f64 v[13:14], s[14:15], v[14:15], -v[16:17]
	s_waitcnt vmcnt(0)
	v_mul_f64 v[24:25], s[38:39], v[20:21]
	v_mul_f64 v[20:21], s[40:41], v[20:21]
	v_fma_f64 v[24:25], s[40:41], v[18:19], v[24:25]
	v_fma_f64 v[15:16], s[38:39], v[18:19], -v[20:21]
	v_add_f64 v[17:18], v[11:12], v[24:25]
	v_add_f64 v[11:12], v[13:14], v[15:16]
	v_cndmask_b32_e32 v14, 0, v18, vcc
	v_cndmask_b32_e32 v13, 0, v17, vcc
	global_store_dwordx4 v[22:23], v[11:14], off
.LBB1343_10:
	s_or_b64 exec, exec, s[2:3]
	v_cmp_le_i32_e32 vcc, v3, v2
	s_and_b64 s[0:1], vcc, s[0:1]
	s_and_saveexec_b64 s[2:3], s[0:1]
	s_cbranch_execz .LBB1343_12
; %bb.11:
	v_ashrrev_i32_e32 v3, 31, v2
	v_lshlrev_b64 v[1:2], 4, v[2:3]
	v_add_co_u32_e32 v14, vcc, v5, v1
	v_addc_co_u32_e32 v15, vcc, v10, v2, vcc
	global_load_dwordx4 v[10:13], v[14:15], off
	v_mul_f64 v[1:2], s[14:15], v[6:7]
	v_mul_f64 v[5:6], s[16:17], v[6:7]
	v_cmp_ne_u32_e32 vcc, v4, v0
	v_fma_f64 v[1:2], s[16:17], v[8:9], v[1:2]
	v_fma_f64 v[5:6], s[14:15], v[8:9], -v[5:6]
	s_waitcnt vmcnt(0)
	v_mul_f64 v[16:17], s[38:39], v[12:13]
	v_mul_f64 v[12:13], s[40:41], v[12:13]
	v_fma_f64 v[16:17], s[40:41], v[10:11], v[16:17]
	v_fma_f64 v[7:8], s[38:39], v[10:11], -v[12:13]
	v_add_f64 v[9:10], v[1:2], v[16:17]
	v_add_f64 v[1:2], v[5:6], v[7:8]
	v_cndmask_b32_e32 v4, 0, v10, vcc
	v_cndmask_b32_e32 v3, 0, v9, vcc
	global_store_dwordx4 v[14:15], v[1:4], off
.LBB1343_12:
	s_endpgm
	.section	.rodata,"a",@progbits
	.p2align	6, 0x0
	.amdhsa_kernel _ZL37rocblas_syrkx_herkx_restricted_kernelIl19rocblas_complex_numIdELi16ELi32ELi8ELb0ELb1ELc78ELc76EKS1_S1_EviT_T0_PT8_S3_lS6_S3_lS4_PT9_S3_li
		.amdhsa_group_segment_fixed_size 8192
		.amdhsa_private_segment_fixed_size 0
		.amdhsa_kernarg_size 124
		.amdhsa_user_sgpr_count 6
		.amdhsa_user_sgpr_private_segment_buffer 1
		.amdhsa_user_sgpr_dispatch_ptr 0
		.amdhsa_user_sgpr_queue_ptr 0
		.amdhsa_user_sgpr_kernarg_segment_ptr 1
		.amdhsa_user_sgpr_dispatch_id 0
		.amdhsa_user_sgpr_flat_scratch_init 0
		.amdhsa_user_sgpr_private_segment_size 0
		.amdhsa_uses_dynamic_stack 0
		.amdhsa_system_sgpr_private_segment_wavefront_offset 0
		.amdhsa_system_sgpr_workgroup_id_x 1
		.amdhsa_system_sgpr_workgroup_id_y 1
		.amdhsa_system_sgpr_workgroup_id_z 1
		.amdhsa_system_sgpr_workgroup_info 0
		.amdhsa_system_vgpr_workitem_id 1
		.amdhsa_next_free_vgpr 54
		.amdhsa_next_free_sgpr 61
		.amdhsa_reserve_vcc 1
		.amdhsa_reserve_flat_scratch 0
		.amdhsa_float_round_mode_32 0
		.amdhsa_float_round_mode_16_64 0
		.amdhsa_float_denorm_mode_32 3
		.amdhsa_float_denorm_mode_16_64 3
		.amdhsa_dx10_clamp 1
		.amdhsa_ieee_mode 1
		.amdhsa_fp16_overflow 0
		.amdhsa_exception_fp_ieee_invalid_op 0
		.amdhsa_exception_fp_denorm_src 0
		.amdhsa_exception_fp_ieee_div_zero 0
		.amdhsa_exception_fp_ieee_overflow 0
		.amdhsa_exception_fp_ieee_underflow 0
		.amdhsa_exception_fp_ieee_inexact 0
		.amdhsa_exception_int_div_zero 0
	.end_amdhsa_kernel
	.section	.text._ZL37rocblas_syrkx_herkx_restricted_kernelIl19rocblas_complex_numIdELi16ELi32ELi8ELb0ELb1ELc78ELc76EKS1_S1_EviT_T0_PT8_S3_lS6_S3_lS4_PT9_S3_li,"axG",@progbits,_ZL37rocblas_syrkx_herkx_restricted_kernelIl19rocblas_complex_numIdELi16ELi32ELi8ELb0ELb1ELc78ELc76EKS1_S1_EviT_T0_PT8_S3_lS6_S3_lS4_PT9_S3_li,comdat
.Lfunc_end1343:
	.size	_ZL37rocblas_syrkx_herkx_restricted_kernelIl19rocblas_complex_numIdELi16ELi32ELi8ELb0ELb1ELc78ELc76EKS1_S1_EviT_T0_PT8_S3_lS6_S3_lS4_PT9_S3_li, .Lfunc_end1343-_ZL37rocblas_syrkx_herkx_restricted_kernelIl19rocblas_complex_numIdELi16ELi32ELi8ELb0ELb1ELc78ELc76EKS1_S1_EviT_T0_PT8_S3_lS6_S3_lS4_PT9_S3_li
                                        ; -- End function
	.set _ZL37rocblas_syrkx_herkx_restricted_kernelIl19rocblas_complex_numIdELi16ELi32ELi8ELb0ELb1ELc78ELc76EKS1_S1_EviT_T0_PT8_S3_lS6_S3_lS4_PT9_S3_li.num_vgpr, 54
	.set _ZL37rocblas_syrkx_herkx_restricted_kernelIl19rocblas_complex_numIdELi16ELi32ELi8ELb0ELb1ELc78ELc76EKS1_S1_EviT_T0_PT8_S3_lS6_S3_lS4_PT9_S3_li.num_agpr, 0
	.set _ZL37rocblas_syrkx_herkx_restricted_kernelIl19rocblas_complex_numIdELi16ELi32ELi8ELb0ELb1ELc78ELc76EKS1_S1_EviT_T0_PT8_S3_lS6_S3_lS4_PT9_S3_li.numbered_sgpr, 44
	.set _ZL37rocblas_syrkx_herkx_restricted_kernelIl19rocblas_complex_numIdELi16ELi32ELi8ELb0ELb1ELc78ELc76EKS1_S1_EviT_T0_PT8_S3_lS6_S3_lS4_PT9_S3_li.num_named_barrier, 0
	.set _ZL37rocblas_syrkx_herkx_restricted_kernelIl19rocblas_complex_numIdELi16ELi32ELi8ELb0ELb1ELc78ELc76EKS1_S1_EviT_T0_PT8_S3_lS6_S3_lS4_PT9_S3_li.private_seg_size, 0
	.set _ZL37rocblas_syrkx_herkx_restricted_kernelIl19rocblas_complex_numIdELi16ELi32ELi8ELb0ELb1ELc78ELc76EKS1_S1_EviT_T0_PT8_S3_lS6_S3_lS4_PT9_S3_li.uses_vcc, 1
	.set _ZL37rocblas_syrkx_herkx_restricted_kernelIl19rocblas_complex_numIdELi16ELi32ELi8ELb0ELb1ELc78ELc76EKS1_S1_EviT_T0_PT8_S3_lS6_S3_lS4_PT9_S3_li.uses_flat_scratch, 0
	.set _ZL37rocblas_syrkx_herkx_restricted_kernelIl19rocblas_complex_numIdELi16ELi32ELi8ELb0ELb1ELc78ELc76EKS1_S1_EviT_T0_PT8_S3_lS6_S3_lS4_PT9_S3_li.has_dyn_sized_stack, 0
	.set _ZL37rocblas_syrkx_herkx_restricted_kernelIl19rocblas_complex_numIdELi16ELi32ELi8ELb0ELb1ELc78ELc76EKS1_S1_EviT_T0_PT8_S3_lS6_S3_lS4_PT9_S3_li.has_recursion, 0
	.set _ZL37rocblas_syrkx_herkx_restricted_kernelIl19rocblas_complex_numIdELi16ELi32ELi8ELb0ELb1ELc78ELc76EKS1_S1_EviT_T0_PT8_S3_lS6_S3_lS4_PT9_S3_li.has_indirect_call, 0
	.section	.AMDGPU.csdata,"",@progbits
; Kernel info:
; codeLenInByte = 3288
; TotalNumSgprs: 48
; NumVgprs: 54
; ScratchSize: 0
; MemoryBound: 0
; FloatMode: 240
; IeeeMode: 1
; LDSByteSize: 8192 bytes/workgroup (compile time only)
; SGPRBlocks: 8
; VGPRBlocks: 13
; NumSGPRsForWavesPerEU: 65
; NumVGPRsForWavesPerEU: 54
; Occupancy: 4
; WaveLimiterHint : 0
; COMPUTE_PGM_RSRC2:SCRATCH_EN: 0
; COMPUTE_PGM_RSRC2:USER_SGPR: 6
; COMPUTE_PGM_RSRC2:TRAP_HANDLER: 0
; COMPUTE_PGM_RSRC2:TGID_X_EN: 1
; COMPUTE_PGM_RSRC2:TGID_Y_EN: 1
; COMPUTE_PGM_RSRC2:TGID_Z_EN: 1
; COMPUTE_PGM_RSRC2:TIDIG_COMP_CNT: 1
	.section	.text._ZL37rocblas_syrkx_herkx_restricted_kernelIl19rocblas_complex_numIdELi16ELi32ELi8ELb0ELb1ELc84ELc85EKS1_S1_EviT_T0_PT8_S3_lS6_S3_lS4_PT9_S3_li,"axG",@progbits,_ZL37rocblas_syrkx_herkx_restricted_kernelIl19rocblas_complex_numIdELi16ELi32ELi8ELb0ELb1ELc84ELc85EKS1_S1_EviT_T0_PT8_S3_lS6_S3_lS4_PT9_S3_li,comdat
	.globl	_ZL37rocblas_syrkx_herkx_restricted_kernelIl19rocblas_complex_numIdELi16ELi32ELi8ELb0ELb1ELc84ELc85EKS1_S1_EviT_T0_PT8_S3_lS6_S3_lS4_PT9_S3_li ; -- Begin function _ZL37rocblas_syrkx_herkx_restricted_kernelIl19rocblas_complex_numIdELi16ELi32ELi8ELb0ELb1ELc84ELc85EKS1_S1_EviT_T0_PT8_S3_lS6_S3_lS4_PT9_S3_li
	.p2align	8
	.type	_ZL37rocblas_syrkx_herkx_restricted_kernelIl19rocblas_complex_numIdELi16ELi32ELi8ELb0ELb1ELc84ELc85EKS1_S1_EviT_T0_PT8_S3_lS6_S3_lS4_PT9_S3_li,@function
_ZL37rocblas_syrkx_herkx_restricted_kernelIl19rocblas_complex_numIdELi16ELi32ELi8ELb0ELb1ELc84ELc85EKS1_S1_EviT_T0_PT8_S3_lS6_S3_lS4_PT9_S3_li: ; @_ZL37rocblas_syrkx_herkx_restricted_kernelIl19rocblas_complex_numIdELi16ELi32ELi8ELb0ELb1ELc84ELc85EKS1_S1_EviT_T0_PT8_S3_lS6_S3_lS4_PT9_S3_li
; %bb.0:
	s_load_dwordx16 s[12:27], s[4:5], 0x8
	s_load_dwordx4 s[28:31], s[4:5], 0x68
	s_load_dwordx8 s[36:43], s[4:5], 0x48
	s_lshl_b32 s2, s6, 5
	s_lshl_b32 s3, s7, 5
	s_waitcnt lgkmcnt(0)
	v_cmp_lt_i64_e64 s[0:1], s[12:13], 1
	s_and_b64 vcc, exec, s[0:1]
	s_cbranch_vccnz .LBB1344_3
; %bb.1:
	v_lshl_add_u32 v7, v1, 4, v0
	v_lshrrev_b32_e32 v8, 3, v7
	v_add_u32_e32 v4, s3, v8
	v_and_b32_e32 v2, 7, v0
	v_ashrrev_i32_e32 v5, 31, v4
	v_mov_b32_e32 v3, 0
	v_mul_lo_u32 v9, s26, v5
	v_mul_lo_u32 v10, s27, v4
	v_mad_u64_u32 v[4:5], s[0:1], s26, v4, v[2:3]
	v_lshlrev_b32_e32 v2, 4, v2
	v_and_b32_e32 v11, 31, v7
	v_lshl_or_b32 v2, v8, 7, v2
	v_add_u32_e32 v23, 0x1000, v2
	v_mov_b32_e32 v2, 0x1000
	v_add_u32_e32 v8, s2, v11
	v_lshrrev_b32_e32 v6, 5, v7
	v_mov_b32_e32 v7, v3
	v_lshlrev_b32_e32 v3, 4, v11
	v_lshl_add_u32 v25, v1, 7, v2
	v_ashrrev_i32_e32 v2, 31, v8
	v_add3_u32 v5, v10, v5, v9
	v_lshl_or_b32 v22, v6, 9, v3
	v_mul_lo_u32 v9, s20, v2
	v_mad_u64_u32 v[2:3], s[0:1], s20, v8, v[6:7]
	v_mul_lo_u32 v6, s21, v8
	s_mul_i32 s6, s23, s8
	s_mul_hi_u32 s7, s22, s8
	s_add_i32 s1, s7, s6
	s_mul_i32 s0, s22, s8
	s_lshl_b64 s[0:1], s[0:1], 4
	v_add3_u32 v3, v6, v3, v9
	v_lshlrev_b64 v[2:3], 4, v[2:3]
	s_add_u32 s0, s18, s0
	s_addc_u32 s1, s19, s1
	v_mov_b32_e32 v6, s1
	v_add_co_u32_e32 v2, vcc, s0, v2
	s_mul_i32 s0, s37, s8
	s_mul_hi_u32 s1, s36, s8
	s_add_i32 s1, s1, s0
	s_mul_i32 s0, s36, s8
	v_addc_co_u32_e32 v3, vcc, v6, v3, vcc
	s_lshl_b64 s[0:1], s[0:1], 4
	v_add_co_u32_e32 v2, vcc, 8, v2
	v_lshlrev_b64 v[4:5], 4, v[4:5]
	s_add_u32 s0, s24, s0
	v_addc_co_u32_e32 v3, vcc, 0, v3, vcc
	s_addc_u32 s1, s25, s1
	v_mov_b32_e32 v6, s1
	v_add_co_u32_e32 v4, vcc, s0, v4
	v_addc_co_u32_e32 v5, vcc, v6, v5, vcc
	v_add_co_u32_e32 v4, vcc, 8, v4
	v_mov_b32_e32 v6, 0
	v_mov_b32_e32 v8, 0
	;; [unrolled: 1-line block ×8, first 2 shown]
	v_lshlrev_b32_e32 v24, 4, v0
	v_addc_co_u32_e32 v5, vcc, 0, v5, vcc
	v_mov_b32_e32 v7, 0
	v_mov_b32_e32 v9, 0
	;; [unrolled: 1-line block ×8, first 2 shown]
	s_mov_b64 s[0:1], 0
.LBB1344_2:                             ; =>This Inner Loop Header: Depth=1
	global_load_dwordx4 v[26:29], v[2:3], off offset:-8
	s_add_u32 s0, s0, 8
	v_add_co_u32_e32 v2, vcc, 0x80, v2
	s_addc_u32 s1, s1, 0
	v_addc_co_u32_e32 v3, vcc, 0, v3, vcc
	s_waitcnt vmcnt(0)
	ds_write_b128 v22, v[26:29]
	global_load_dwordx4 v[26:29], v[4:5], off offset:-8
	v_add_co_u32_e32 v4, vcc, 0x80, v4
	v_addc_co_u32_e32 v5, vcc, 0, v5, vcc
	s_waitcnt vmcnt(0)
	ds_write_b128 v23, v[26:29]
	s_waitcnt lgkmcnt(0)
	s_barrier
	ds_read_b128 v[26:29], v25
	ds_read_b128 v[30:33], v25 offset:16
	ds_read_b128 v[34:37], v25 offset:32
	;; [unrolled: 1-line block ×3, first 2 shown]
	ds_read_b128 v[42:45], v24
	s_waitcnt lgkmcnt(0)
	v_mul_f64 v[46:47], v[28:29], v[44:45]
	v_mul_f64 v[48:49], v[26:27], v[44:45]
	v_fma_f64 v[46:47], v[26:27], v[42:43], -v[46:47]
	v_fma_f64 v[48:49], v[28:29], v[42:43], v[48:49]
	v_add_f64 v[46:47], v[18:19], v[46:47]
	v_add_f64 v[48:49], v[48:49], v[20:21]
	ds_read_b128 v[18:21], v24 offset:256
	s_waitcnt lgkmcnt(0)
	v_mul_f64 v[50:51], v[28:29], v[20:21]
	v_fma_f64 v[50:51], v[26:27], v[18:19], -v[50:51]
	v_mul_f64 v[26:27], v[26:27], v[20:21]
	v_fma_f64 v[26:27], v[28:29], v[18:19], v[26:27]
	v_add_f64 v[28:29], v[10:11], v[50:51]
	v_add_f64 v[26:27], v[26:27], v[12:13]
	ds_read_b128 v[10:13], v25 offset:2048
	s_waitcnt lgkmcnt(0)
	v_mul_f64 v[50:51], v[12:13], v[44:45]
	v_mul_f64 v[44:45], v[10:11], v[44:45]
	v_fma_f64 v[50:51], v[10:11], v[42:43], -v[50:51]
	v_fma_f64 v[42:43], v[12:13], v[42:43], v[44:45]
	v_add_f64 v[44:45], v[14:15], v[50:51]
	v_mul_f64 v[14:15], v[12:13], v[20:21]
	v_add_f64 v[42:43], v[42:43], v[16:17]
	v_fma_f64 v[14:15], v[10:11], v[18:19], -v[14:15]
	v_mul_f64 v[10:11], v[10:11], v[20:21]
	v_fma_f64 v[10:11], v[12:13], v[18:19], v[10:11]
	v_add_f64 v[18:19], v[8:9], v[14:15]
	v_add_f64 v[20:21], v[10:11], v[6:7]
	ds_read_b128 v[6:9], v24 offset:512
	s_waitcnt lgkmcnt(0)
	v_mul_f64 v[10:11], v[32:33], v[8:9]
	v_mul_f64 v[12:13], v[30:31], v[8:9]
	v_fma_f64 v[10:11], v[30:31], v[6:7], -v[10:11]
	v_fma_f64 v[12:13], v[32:33], v[6:7], v[12:13]
	v_add_f64 v[46:47], v[46:47], v[10:11]
	v_add_f64 v[48:49], v[12:13], v[48:49]
	ds_read_b128 v[10:13], v24 offset:768
	s_waitcnt lgkmcnt(0)
	v_mul_f64 v[14:15], v[32:33], v[12:13]
	v_mul_f64 v[16:17], v[30:31], v[12:13]
	v_fma_f64 v[14:15], v[30:31], v[10:11], -v[14:15]
	;; [unrolled: 8-line block ×3, first 2 shown]
	v_fma_f64 v[6:7], v[16:17], v[6:7], v[8:9]
	v_mul_f64 v[8:9], v[14:15], v[12:13]
	v_add_f64 v[30:31], v[44:45], v[30:31]
	v_add_f64 v[32:33], v[6:7], v[42:43]
	v_mul_f64 v[6:7], v[16:17], v[12:13]
	v_fma_f64 v[8:9], v[16:17], v[10:11], v[8:9]
	v_fma_f64 v[6:7], v[14:15], v[10:11], -v[6:7]
	v_add_f64 v[20:21], v[8:9], v[20:21]
	v_add_f64 v[18:19], v[18:19], v[6:7]
	ds_read_b128 v[6:9], v24 offset:1024
	s_waitcnt lgkmcnt(0)
	v_mul_f64 v[10:11], v[36:37], v[8:9]
	v_mul_f64 v[12:13], v[34:35], v[8:9]
	v_fma_f64 v[10:11], v[34:35], v[6:7], -v[10:11]
	v_fma_f64 v[12:13], v[36:37], v[6:7], v[12:13]
	v_add_f64 v[42:43], v[46:47], v[10:11]
	v_add_f64 v[44:45], v[12:13], v[48:49]
	ds_read_b128 v[10:13], v24 offset:1280
	s_waitcnt lgkmcnt(0)
	v_mul_f64 v[14:15], v[36:37], v[12:13]
	v_mul_f64 v[16:17], v[34:35], v[12:13]
	v_fma_f64 v[14:15], v[34:35], v[10:11], -v[14:15]
	v_fma_f64 v[16:17], v[36:37], v[10:11], v[16:17]
	;; [unrolled: 8-line block ×3, first 2 shown]
	v_mul_f64 v[8:9], v[14:15], v[12:13]
	v_add_f64 v[30:31], v[30:31], v[34:35]
	v_add_f64 v[32:33], v[6:7], v[32:33]
	v_mul_f64 v[6:7], v[16:17], v[12:13]
	v_fma_f64 v[8:9], v[16:17], v[10:11], v[8:9]
	v_fma_f64 v[6:7], v[14:15], v[10:11], -v[6:7]
	v_add_f64 v[20:21], v[8:9], v[20:21]
	v_add_f64 v[18:19], v[18:19], v[6:7]
	ds_read_b128 v[6:9], v24 offset:1536
	s_waitcnt lgkmcnt(0)
	v_mul_f64 v[10:11], v[40:41], v[8:9]
	v_mul_f64 v[12:13], v[38:39], v[8:9]
	v_fma_f64 v[10:11], v[38:39], v[6:7], -v[10:11]
	v_fma_f64 v[12:13], v[40:41], v[6:7], v[12:13]
	v_add_f64 v[34:35], v[42:43], v[10:11]
	v_add_f64 v[36:37], v[12:13], v[44:45]
	ds_read_b128 v[10:13], v24 offset:1792
	s_waitcnt lgkmcnt(0)
	v_mul_f64 v[14:15], v[40:41], v[12:13]
	v_mul_f64 v[16:17], v[38:39], v[12:13]
	v_fma_f64 v[14:15], v[38:39], v[10:11], -v[14:15]
	v_fma_f64 v[16:17], v[40:41], v[10:11], v[16:17]
	;; [unrolled: 8-line block ×3, first 2 shown]
	v_mul_f64 v[8:9], v[14:15], v[12:13]
	v_add_f64 v[30:31], v[30:31], v[38:39]
	v_add_f64 v[32:33], v[6:7], v[32:33]
	v_mul_f64 v[6:7], v[16:17], v[12:13]
	v_fma_f64 v[8:9], v[16:17], v[10:11], v[8:9]
	v_fma_f64 v[6:7], v[14:15], v[10:11], -v[6:7]
	v_add_f64 v[20:21], v[8:9], v[20:21]
	v_add_f64 v[18:19], v[18:19], v[6:7]
	ds_read_b128 v[6:9], v25 offset:64
	ds_read_b128 v[10:13], v24 offset:2048
	s_waitcnt lgkmcnt(0)
	v_mul_f64 v[14:15], v[8:9], v[12:13]
	v_mul_f64 v[16:17], v[6:7], v[12:13]
	v_fma_f64 v[14:15], v[6:7], v[10:11], -v[14:15]
	v_fma_f64 v[16:17], v[8:9], v[10:11], v[16:17]
	v_add_f64 v[34:35], v[34:35], v[14:15]
	v_add_f64 v[36:37], v[16:17], v[36:37]
	ds_read_b128 v[14:17], v24 offset:2304
	s_waitcnt lgkmcnt(0)
	v_mul_f64 v[38:39], v[8:9], v[16:17]
	v_fma_f64 v[38:39], v[6:7], v[14:15], -v[38:39]
	v_mul_f64 v[6:7], v[6:7], v[16:17]
	v_add_f64 v[28:29], v[28:29], v[38:39]
	v_fma_f64 v[6:7], v[8:9], v[14:15], v[6:7]
	v_add_f64 v[26:27], v[6:7], v[26:27]
	ds_read_b128 v[6:9], v25 offset:2112
	s_waitcnt lgkmcnt(0)
	v_mul_f64 v[38:39], v[8:9], v[12:13]
	v_mul_f64 v[12:13], v[6:7], v[12:13]
	v_fma_f64 v[38:39], v[6:7], v[10:11], -v[38:39]
	v_fma_f64 v[10:11], v[8:9], v[10:11], v[12:13]
	v_add_f64 v[30:31], v[30:31], v[38:39]
	v_add_f64 v[32:33], v[10:11], v[32:33]
	v_mul_f64 v[10:11], v[8:9], v[16:17]
	v_fma_f64 v[10:11], v[6:7], v[14:15], -v[10:11]
	v_mul_f64 v[6:7], v[6:7], v[16:17]
	v_add_f64 v[18:19], v[18:19], v[10:11]
	v_fma_f64 v[6:7], v[8:9], v[14:15], v[6:7]
	v_add_f64 v[20:21], v[6:7], v[20:21]
	ds_read_b128 v[6:9], v25 offset:80
	ds_read_b128 v[10:13], v24 offset:2560
	s_waitcnt lgkmcnt(0)
	v_mul_f64 v[14:15], v[8:9], v[12:13]
	v_mul_f64 v[16:17], v[6:7], v[12:13]
	v_fma_f64 v[14:15], v[6:7], v[10:11], -v[14:15]
	v_fma_f64 v[16:17], v[8:9], v[10:11], v[16:17]
	v_add_f64 v[34:35], v[34:35], v[14:15]
	v_add_f64 v[36:37], v[16:17], v[36:37]
	ds_read_b128 v[14:17], v24 offset:2816
	s_waitcnt lgkmcnt(0)
	v_mul_f64 v[38:39], v[8:9], v[16:17]
	v_fma_f64 v[38:39], v[6:7], v[14:15], -v[38:39]
	v_mul_f64 v[6:7], v[6:7], v[16:17]
	v_add_f64 v[28:29], v[28:29], v[38:39]
	v_fma_f64 v[6:7], v[8:9], v[14:15], v[6:7]
	v_add_f64 v[26:27], v[6:7], v[26:27]
	ds_read_b128 v[6:9], v25 offset:2128
	s_waitcnt lgkmcnt(0)
	v_mul_f64 v[38:39], v[8:9], v[12:13]
	v_mul_f64 v[12:13], v[6:7], v[12:13]
	v_fma_f64 v[38:39], v[6:7], v[10:11], -v[38:39]
	v_fma_f64 v[10:11], v[8:9], v[10:11], v[12:13]
	v_add_f64 v[30:31], v[30:31], v[38:39]
	v_add_f64 v[32:33], v[10:11], v[32:33]
	v_mul_f64 v[10:11], v[8:9], v[16:17]
	v_fma_f64 v[10:11], v[6:7], v[14:15], -v[10:11]
	v_mul_f64 v[6:7], v[6:7], v[16:17]
	v_add_f64 v[18:19], v[18:19], v[10:11]
	v_fma_f64 v[6:7], v[8:9], v[14:15], v[6:7]
	;; [unrolled: 31-line block ×3, first 2 shown]
	v_add_f64 v[44:45], v[6:7], v[20:21]
	ds_read_b128 v[6:9], v25 offset:112
	ds_read_b128 v[14:17], v24 offset:3584
	ds_read_b128 v[26:29], v24 offset:3840
	s_waitcnt lgkmcnt(1)
	v_mul_f64 v[10:11], v[8:9], v[16:17]
	v_mul_f64 v[12:13], v[6:7], v[16:17]
	v_fma_f64 v[10:11], v[6:7], v[14:15], -v[10:11]
	v_fma_f64 v[12:13], v[8:9], v[14:15], v[12:13]
	v_add_f64 v[18:19], v[34:35], v[10:11]
	s_waitcnt lgkmcnt(0)
	v_mul_f64 v[10:11], v[8:9], v[28:29]
	v_add_f64 v[20:21], v[12:13], v[36:37]
	v_fma_f64 v[10:11], v[6:7], v[26:27], -v[10:11]
	v_mul_f64 v[6:7], v[6:7], v[28:29]
	v_add_f64 v[10:11], v[38:39], v[10:11]
	v_fma_f64 v[6:7], v[8:9], v[26:27], v[6:7]
	v_add_f64 v[12:13], v[6:7], v[40:41]
	ds_read_b128 v[6:9], v25 offset:2160
	s_waitcnt lgkmcnt(0)
	s_barrier
	v_mul_f64 v[34:35], v[8:9], v[16:17]
	v_mul_f64 v[16:17], v[6:7], v[16:17]
	v_fma_f64 v[34:35], v[6:7], v[14:15], -v[34:35]
	v_fma_f64 v[16:17], v[8:9], v[14:15], v[16:17]
	v_add_f64 v[14:15], v[30:31], v[34:35]
	v_mul_f64 v[30:31], v[8:9], v[28:29]
	v_add_f64 v[16:17], v[16:17], v[32:33]
	v_fma_f64 v[30:31], v[6:7], v[26:27], -v[30:31]
	v_mul_f64 v[6:7], v[6:7], v[28:29]
	v_fma_f64 v[6:7], v[8:9], v[26:27], v[6:7]
	v_add_f64 v[8:9], v[42:43], v[30:31]
	v_mov_b32_e32 v27, s1
	v_mov_b32_e32 v26, s0
	v_cmp_le_u64_e32 vcc, s[12:13], v[26:27]
	v_add_f64 v[6:7], v[6:7], v[44:45]
	s_cbranch_vccz .LBB1344_2
	s_branch .LBB1344_4
.LBB1344_3:
	v_mov_b32_e32 v18, 0
	v_mov_b32_e32 v20, 0
	;; [unrolled: 1-line block ×16, first 2 shown]
.LBB1344_4:
	v_add_u32_e32 v4, s3, v1
	v_ashrrev_i32_e32 v1, 31, v4
	v_mul_lo_u32 v3, s28, v1
	v_mul_lo_u32 v5, s29, v4
	v_mad_u64_u32 v[1:2], s[6:7], s28, v4, 0
	s_mul_i32 s0, s31, s8
	s_mul_hi_u32 s1, s30, s8
	s_add_i32 s1, s1, s0
	s_mul_i32 s0, s30, s8
	s_load_dword s4, s[4:5], 0x0
	s_lshl_b64 s[0:1], s[0:1], 4
	v_add3_u32 v2, v2, v3, v5
	s_add_u32 s5, s42, s0
	v_lshlrev_b64 v[1:2], 4, v[1:2]
	s_addc_u32 s6, s43, s1
	v_mov_b32_e32 v3, s6
	v_add_co_u32_e64 v5, s[0:1], s5, v1
	v_add_u32_e32 v0, s2, v0
	v_addc_co_u32_e64 v22, s[0:1], v3, v2, s[0:1]
	s_waitcnt lgkmcnt(0)
	v_cmp_gt_i32_e32 vcc, s4, v4
	v_cmp_le_i32_e64 s[0:1], v0, v4
	s_and_b64 s[0:1], vcc, s[0:1]
	s_and_saveexec_b64 s[2:3], s[0:1]
	s_cbranch_execz .LBB1344_6
; %bb.5:
	v_ashrrev_i32_e32 v1, 31, v0
	v_lshlrev_b64 v[1:2], 4, v[0:1]
	v_mul_f64 v[27:28], s[14:15], v[20:21]
	v_add_co_u32_e64 v1, s[0:1], v5, v1
	v_addc_co_u32_e64 v2, s[0:1], v22, v2, s[0:1]
	global_load_dwordx4 v[23:26], v[1:2], off
	v_mul_f64 v[20:21], s[16:17], v[20:21]
	v_cmp_ne_u32_e64 s[0:1], v4, v0
	v_fma_f64 v[27:28], s[16:17], v[18:19], v[27:28]
	v_fma_f64 v[18:19], s[14:15], v[18:19], -v[20:21]
	s_waitcnt vmcnt(0)
	v_mul_f64 v[29:30], s[38:39], v[25:26]
	v_mul_f64 v[25:26], s[40:41], v[25:26]
	v_fma_f64 v[29:30], s[40:41], v[23:24], v[29:30]
	v_fma_f64 v[20:21], s[38:39], v[23:24], -v[25:26]
	v_add_f64 v[23:24], v[27:28], v[29:30]
	v_add_f64 v[18:19], v[18:19], v[20:21]
	v_cndmask_b32_e64 v21, 0, v24, s[0:1]
	v_cndmask_b32_e64 v20, 0, v23, s[0:1]
	global_store_dwordx4 v[1:2], v[18:21], off
.LBB1344_6:
	s_or_b64 exec, exec, s[2:3]
	v_add_u32_e32 v2, 16, v0
	v_cmp_le_i32_e64 s[0:1], v2, v4
	s_and_b64 s[2:3], vcc, s[0:1]
	s_and_saveexec_b64 s[0:1], s[2:3]
	s_cbranch_execz .LBB1344_8
; %bb.7:
	v_ashrrev_i32_e32 v3, 31, v2
	v_lshlrev_b64 v[18:19], 4, v[2:3]
	v_mul_f64 v[25:26], s[14:15], v[12:13]
	v_add_co_u32_e32 v23, vcc, v5, v18
	v_addc_co_u32_e32 v24, vcc, v22, v19, vcc
	global_load_dwordx4 v[18:21], v[23:24], off
	v_mul_f64 v[12:13], s[16:17], v[12:13]
	v_cmp_ne_u32_e32 vcc, v4, v2
	v_fma_f64 v[25:26], s[16:17], v[10:11], v[25:26]
	v_fma_f64 v[10:11], s[14:15], v[10:11], -v[12:13]
	s_waitcnt vmcnt(0)
	v_mul_f64 v[27:28], s[38:39], v[20:21]
	v_mul_f64 v[20:21], s[40:41], v[20:21]
	v_fma_f64 v[27:28], s[40:41], v[18:19], v[27:28]
	v_fma_f64 v[12:13], s[38:39], v[18:19], -v[20:21]
	v_add_f64 v[18:19], v[25:26], v[27:28]
	v_add_f64 v[10:11], v[10:11], v[12:13]
	v_cndmask_b32_e32 v13, 0, v19, vcc
	v_cndmask_b32_e32 v12, 0, v18, vcc
	global_store_dwordx4 v[23:24], v[10:13], off
.LBB1344_8:
	s_or_b64 exec, exec, s[0:1]
	v_add_u32_e32 v3, 16, v4
	v_ashrrev_i32_e32 v1, 31, v3
	v_mul_lo_u32 v1, s28, v1
	v_mul_lo_u32 v5, s29, v3
	v_mad_u64_u32 v[10:11], s[0:1], s28, v3, 0
	v_cmp_gt_i32_e32 vcc, s4, v3
	v_add3_u32 v11, v11, v1, v5
	v_lshlrev_b64 v[10:11], 4, v[10:11]
	v_mov_b32_e32 v1, s6
	v_add_co_u32_e64 v5, s[0:1], s5, v10
	v_addc_co_u32_e64 v10, s[0:1], v1, v11, s[0:1]
	v_cmp_le_i32_e64 s[0:1], v0, v3
	s_and_b64 s[0:1], vcc, s[0:1]
	s_and_saveexec_b64 s[2:3], s[0:1]
	s_cbranch_execz .LBB1344_10
; %bb.9:
	v_ashrrev_i32_e32 v1, 31, v0
	v_lshlrev_b64 v[11:12], 4, v[0:1]
	v_add_co_u32_e64 v22, s[0:1], v5, v11
	v_addc_co_u32_e64 v23, s[0:1], v10, v12, s[0:1]
	global_load_dwordx4 v[18:21], v[22:23], off
	v_mul_f64 v[11:12], s[14:15], v[16:17]
	v_mul_f64 v[16:17], s[16:17], v[16:17]
	v_cmp_ne_u32_e64 s[0:1], v3, v0
	v_fma_f64 v[11:12], s[16:17], v[14:15], v[11:12]
	v_fma_f64 v[13:14], s[14:15], v[14:15], -v[16:17]
	s_waitcnt vmcnt(0)
	v_mul_f64 v[24:25], s[38:39], v[20:21]
	v_mul_f64 v[20:21], s[40:41], v[20:21]
	v_fma_f64 v[24:25], s[40:41], v[18:19], v[24:25]
	v_fma_f64 v[15:16], s[38:39], v[18:19], -v[20:21]
	v_add_f64 v[17:18], v[11:12], v[24:25]
	v_add_f64 v[11:12], v[13:14], v[15:16]
	v_cndmask_b32_e64 v14, 0, v18, s[0:1]
	v_cndmask_b32_e64 v13, 0, v17, s[0:1]
	global_store_dwordx4 v[22:23], v[11:14], off
.LBB1344_10:
	s_or_b64 exec, exec, s[2:3]
	v_cmp_le_i32_e64 s[0:1], v2, v3
	s_and_b64 s[0:1], vcc, s[0:1]
	s_and_saveexec_b64 s[2:3], s[0:1]
	s_cbranch_execz .LBB1344_12
; %bb.11:
	v_ashrrev_i32_e32 v3, 31, v2
	v_lshlrev_b64 v[1:2], 4, v[2:3]
	v_add_co_u32_e32 v14, vcc, v5, v1
	v_addc_co_u32_e32 v15, vcc, v10, v2, vcc
	global_load_dwordx4 v[10:13], v[14:15], off
	v_mul_f64 v[1:2], s[14:15], v[6:7]
	v_mul_f64 v[5:6], s[16:17], v[6:7]
	v_cmp_ne_u32_e32 vcc, v4, v0
	v_fma_f64 v[1:2], s[16:17], v[8:9], v[1:2]
	v_fma_f64 v[5:6], s[14:15], v[8:9], -v[5:6]
	s_waitcnt vmcnt(0)
	v_mul_f64 v[16:17], s[38:39], v[12:13]
	v_mul_f64 v[12:13], s[40:41], v[12:13]
	v_fma_f64 v[16:17], s[40:41], v[10:11], v[16:17]
	v_fma_f64 v[7:8], s[38:39], v[10:11], -v[12:13]
	v_add_f64 v[9:10], v[1:2], v[16:17]
	v_add_f64 v[1:2], v[5:6], v[7:8]
	v_cndmask_b32_e32 v4, 0, v10, vcc
	v_cndmask_b32_e32 v3, 0, v9, vcc
	global_store_dwordx4 v[14:15], v[1:4], off
.LBB1344_12:
	s_endpgm
	.section	.rodata,"a",@progbits
	.p2align	6, 0x0
	.amdhsa_kernel _ZL37rocblas_syrkx_herkx_restricted_kernelIl19rocblas_complex_numIdELi16ELi32ELi8ELb0ELb1ELc84ELc85EKS1_S1_EviT_T0_PT8_S3_lS6_S3_lS4_PT9_S3_li
		.amdhsa_group_segment_fixed_size 8192
		.amdhsa_private_segment_fixed_size 0
		.amdhsa_kernarg_size 124
		.amdhsa_user_sgpr_count 6
		.amdhsa_user_sgpr_private_segment_buffer 1
		.amdhsa_user_sgpr_dispatch_ptr 0
		.amdhsa_user_sgpr_queue_ptr 0
		.amdhsa_user_sgpr_kernarg_segment_ptr 1
		.amdhsa_user_sgpr_dispatch_id 0
		.amdhsa_user_sgpr_flat_scratch_init 0
		.amdhsa_user_sgpr_private_segment_size 0
		.amdhsa_uses_dynamic_stack 0
		.amdhsa_system_sgpr_private_segment_wavefront_offset 0
		.amdhsa_system_sgpr_workgroup_id_x 1
		.amdhsa_system_sgpr_workgroup_id_y 1
		.amdhsa_system_sgpr_workgroup_id_z 1
		.amdhsa_system_sgpr_workgroup_info 0
		.amdhsa_system_vgpr_workitem_id 1
		.amdhsa_next_free_vgpr 52
		.amdhsa_next_free_sgpr 61
		.amdhsa_reserve_vcc 1
		.amdhsa_reserve_flat_scratch 0
		.amdhsa_float_round_mode_32 0
		.amdhsa_float_round_mode_16_64 0
		.amdhsa_float_denorm_mode_32 3
		.amdhsa_float_denorm_mode_16_64 3
		.amdhsa_dx10_clamp 1
		.amdhsa_ieee_mode 1
		.amdhsa_fp16_overflow 0
		.amdhsa_exception_fp_ieee_invalid_op 0
		.amdhsa_exception_fp_denorm_src 0
		.amdhsa_exception_fp_ieee_div_zero 0
		.amdhsa_exception_fp_ieee_overflow 0
		.amdhsa_exception_fp_ieee_underflow 0
		.amdhsa_exception_fp_ieee_inexact 0
		.amdhsa_exception_int_div_zero 0
	.end_amdhsa_kernel
	.section	.text._ZL37rocblas_syrkx_herkx_restricted_kernelIl19rocblas_complex_numIdELi16ELi32ELi8ELb0ELb1ELc84ELc85EKS1_S1_EviT_T0_PT8_S3_lS6_S3_lS4_PT9_S3_li,"axG",@progbits,_ZL37rocblas_syrkx_herkx_restricted_kernelIl19rocblas_complex_numIdELi16ELi32ELi8ELb0ELb1ELc84ELc85EKS1_S1_EviT_T0_PT8_S3_lS6_S3_lS4_PT9_S3_li,comdat
.Lfunc_end1344:
	.size	_ZL37rocblas_syrkx_herkx_restricted_kernelIl19rocblas_complex_numIdELi16ELi32ELi8ELb0ELb1ELc84ELc85EKS1_S1_EviT_T0_PT8_S3_lS6_S3_lS4_PT9_S3_li, .Lfunc_end1344-_ZL37rocblas_syrkx_herkx_restricted_kernelIl19rocblas_complex_numIdELi16ELi32ELi8ELb0ELb1ELc84ELc85EKS1_S1_EviT_T0_PT8_S3_lS6_S3_lS4_PT9_S3_li
                                        ; -- End function
	.set _ZL37rocblas_syrkx_herkx_restricted_kernelIl19rocblas_complex_numIdELi16ELi32ELi8ELb0ELb1ELc84ELc85EKS1_S1_EviT_T0_PT8_S3_lS6_S3_lS4_PT9_S3_li.num_vgpr, 52
	.set _ZL37rocblas_syrkx_herkx_restricted_kernelIl19rocblas_complex_numIdELi16ELi32ELi8ELb0ELb1ELc84ELc85EKS1_S1_EviT_T0_PT8_S3_lS6_S3_lS4_PT9_S3_li.num_agpr, 0
	.set _ZL37rocblas_syrkx_herkx_restricted_kernelIl19rocblas_complex_numIdELi16ELi32ELi8ELb0ELb1ELc84ELc85EKS1_S1_EviT_T0_PT8_S3_lS6_S3_lS4_PT9_S3_li.numbered_sgpr, 44
	.set _ZL37rocblas_syrkx_herkx_restricted_kernelIl19rocblas_complex_numIdELi16ELi32ELi8ELb0ELb1ELc84ELc85EKS1_S1_EviT_T0_PT8_S3_lS6_S3_lS4_PT9_S3_li.num_named_barrier, 0
	.set _ZL37rocblas_syrkx_herkx_restricted_kernelIl19rocblas_complex_numIdELi16ELi32ELi8ELb0ELb1ELc84ELc85EKS1_S1_EviT_T0_PT8_S3_lS6_S3_lS4_PT9_S3_li.private_seg_size, 0
	.set _ZL37rocblas_syrkx_herkx_restricted_kernelIl19rocblas_complex_numIdELi16ELi32ELi8ELb0ELb1ELc84ELc85EKS1_S1_EviT_T0_PT8_S3_lS6_S3_lS4_PT9_S3_li.uses_vcc, 1
	.set _ZL37rocblas_syrkx_herkx_restricted_kernelIl19rocblas_complex_numIdELi16ELi32ELi8ELb0ELb1ELc84ELc85EKS1_S1_EviT_T0_PT8_S3_lS6_S3_lS4_PT9_S3_li.uses_flat_scratch, 0
	.set _ZL37rocblas_syrkx_herkx_restricted_kernelIl19rocblas_complex_numIdELi16ELi32ELi8ELb0ELb1ELc84ELc85EKS1_S1_EviT_T0_PT8_S3_lS6_S3_lS4_PT9_S3_li.has_dyn_sized_stack, 0
	.set _ZL37rocblas_syrkx_herkx_restricted_kernelIl19rocblas_complex_numIdELi16ELi32ELi8ELb0ELb1ELc84ELc85EKS1_S1_EviT_T0_PT8_S3_lS6_S3_lS4_PT9_S3_li.has_recursion, 0
	.set _ZL37rocblas_syrkx_herkx_restricted_kernelIl19rocblas_complex_numIdELi16ELi32ELi8ELb0ELb1ELc84ELc85EKS1_S1_EviT_T0_PT8_S3_lS6_S3_lS4_PT9_S3_li.has_indirect_call, 0
	.section	.AMDGPU.csdata,"",@progbits
; Kernel info:
; codeLenInByte = 3308
; TotalNumSgprs: 48
; NumVgprs: 52
; ScratchSize: 0
; MemoryBound: 0
; FloatMode: 240
; IeeeMode: 1
; LDSByteSize: 8192 bytes/workgroup (compile time only)
; SGPRBlocks: 8
; VGPRBlocks: 12
; NumSGPRsForWavesPerEU: 65
; NumVGPRsForWavesPerEU: 52
; Occupancy: 4
; WaveLimiterHint : 0
; COMPUTE_PGM_RSRC2:SCRATCH_EN: 0
; COMPUTE_PGM_RSRC2:USER_SGPR: 6
; COMPUTE_PGM_RSRC2:TRAP_HANDLER: 0
; COMPUTE_PGM_RSRC2:TGID_X_EN: 1
; COMPUTE_PGM_RSRC2:TGID_Y_EN: 1
; COMPUTE_PGM_RSRC2:TGID_Z_EN: 1
; COMPUTE_PGM_RSRC2:TIDIG_COMP_CNT: 1
	.section	.text._ZL37rocblas_syrkx_herkx_restricted_kernelIl19rocblas_complex_numIdELi16ELi32ELi8ELb0ELb1ELc67ELc85EKS1_S1_EviT_T0_PT8_S3_lS6_S3_lS4_PT9_S3_li,"axG",@progbits,_ZL37rocblas_syrkx_herkx_restricted_kernelIl19rocblas_complex_numIdELi16ELi32ELi8ELb0ELb1ELc67ELc85EKS1_S1_EviT_T0_PT8_S3_lS6_S3_lS4_PT9_S3_li,comdat
	.globl	_ZL37rocblas_syrkx_herkx_restricted_kernelIl19rocblas_complex_numIdELi16ELi32ELi8ELb0ELb1ELc67ELc85EKS1_S1_EviT_T0_PT8_S3_lS6_S3_lS4_PT9_S3_li ; -- Begin function _ZL37rocblas_syrkx_herkx_restricted_kernelIl19rocblas_complex_numIdELi16ELi32ELi8ELb0ELb1ELc67ELc85EKS1_S1_EviT_T0_PT8_S3_lS6_S3_lS4_PT9_S3_li
	.p2align	8
	.type	_ZL37rocblas_syrkx_herkx_restricted_kernelIl19rocblas_complex_numIdELi16ELi32ELi8ELb0ELb1ELc67ELc85EKS1_S1_EviT_T0_PT8_S3_lS6_S3_lS4_PT9_S3_li,@function
_ZL37rocblas_syrkx_herkx_restricted_kernelIl19rocblas_complex_numIdELi16ELi32ELi8ELb0ELb1ELc67ELc85EKS1_S1_EviT_T0_PT8_S3_lS6_S3_lS4_PT9_S3_li: ; @_ZL37rocblas_syrkx_herkx_restricted_kernelIl19rocblas_complex_numIdELi16ELi32ELi8ELb0ELb1ELc67ELc85EKS1_S1_EviT_T0_PT8_S3_lS6_S3_lS4_PT9_S3_li
; %bb.0:
	s_load_dwordx16 s[12:27], s[4:5], 0x8
	s_load_dwordx4 s[28:31], s[4:5], 0x68
	s_load_dwordx8 s[36:43], s[4:5], 0x48
	s_lshl_b32 s2, s6, 5
	s_lshl_b32 s3, s7, 5
	s_waitcnt lgkmcnt(0)
	v_cmp_lt_i64_e64 s[0:1], s[12:13], 1
	s_and_b64 vcc, exec, s[0:1]
	s_cbranch_vccnz .LBB1345_3
; %bb.1:
	v_lshl_add_u32 v7, v1, 4, v0
	v_lshrrev_b32_e32 v8, 3, v7
	v_add_u32_e32 v4, s3, v8
	v_and_b32_e32 v2, 7, v0
	v_ashrrev_i32_e32 v5, 31, v4
	v_mov_b32_e32 v3, 0
	v_mul_lo_u32 v9, s26, v5
	v_mul_lo_u32 v10, s27, v4
	v_mad_u64_u32 v[4:5], s[0:1], s26, v4, v[2:3]
	v_lshlrev_b32_e32 v2, 4, v2
	v_and_b32_e32 v11, 31, v7
	v_lshl_or_b32 v2, v8, 7, v2
	v_add_u32_e32 v23, 0x1000, v2
	v_mov_b32_e32 v2, 0x1000
	v_add_u32_e32 v8, s2, v11
	v_lshrrev_b32_e32 v6, 5, v7
	v_mov_b32_e32 v7, v3
	v_lshlrev_b32_e32 v3, 4, v11
	v_lshl_add_u32 v25, v1, 7, v2
	v_ashrrev_i32_e32 v2, 31, v8
	v_add3_u32 v5, v10, v5, v9
	v_lshl_or_b32 v22, v6, 9, v3
	v_mul_lo_u32 v9, s20, v2
	v_mad_u64_u32 v[2:3], s[0:1], s20, v8, v[6:7]
	v_mul_lo_u32 v6, s21, v8
	s_mul_i32 s6, s23, s8
	s_mul_hi_u32 s7, s22, s8
	s_add_i32 s1, s7, s6
	s_mul_i32 s0, s22, s8
	s_lshl_b64 s[0:1], s[0:1], 4
	v_add3_u32 v3, v6, v3, v9
	v_lshlrev_b64 v[2:3], 4, v[2:3]
	s_add_u32 s0, s18, s0
	s_addc_u32 s1, s19, s1
	v_mov_b32_e32 v6, s1
	v_add_co_u32_e32 v2, vcc, s0, v2
	s_mul_i32 s0, s37, s8
	s_mul_hi_u32 s1, s36, s8
	s_add_i32 s1, s1, s0
	s_mul_i32 s0, s36, s8
	v_addc_co_u32_e32 v3, vcc, v6, v3, vcc
	s_lshl_b64 s[0:1], s[0:1], 4
	v_add_co_u32_e32 v2, vcc, 8, v2
	v_lshlrev_b64 v[4:5], 4, v[4:5]
	s_add_u32 s0, s24, s0
	v_addc_co_u32_e32 v3, vcc, 0, v3, vcc
	s_addc_u32 s1, s25, s1
	v_mov_b32_e32 v6, s1
	v_add_co_u32_e32 v4, vcc, s0, v4
	v_addc_co_u32_e32 v5, vcc, v6, v5, vcc
	v_add_co_u32_e32 v4, vcc, 8, v4
	v_mov_b32_e32 v6, 0
	v_mov_b32_e32 v8, 0
	;; [unrolled: 1-line block ×8, first 2 shown]
	v_lshlrev_b32_e32 v24, 4, v0
	v_addc_co_u32_e32 v5, vcc, 0, v5, vcc
	v_mov_b32_e32 v7, 0
	v_mov_b32_e32 v9, 0
	;; [unrolled: 1-line block ×8, first 2 shown]
	s_mov_b64 s[0:1], 0
.LBB1345_2:                             ; =>This Inner Loop Header: Depth=1
	global_load_dwordx4 v[26:29], v[2:3], off offset:-8
	s_add_u32 s0, s0, 8
	v_add_co_u32_e32 v2, vcc, 0x80, v2
	s_addc_u32 s1, s1, 0
	v_addc_co_u32_e32 v3, vcc, 0, v3, vcc
	s_waitcnt vmcnt(0)
	v_xor_b32_e32 v29, 0x80000000, v29
	ds_write_b128 v22, v[26:29]
	global_load_dwordx4 v[26:29], v[4:5], off offset:-8
	v_add_co_u32_e32 v4, vcc, 0x80, v4
	v_addc_co_u32_e32 v5, vcc, 0, v5, vcc
	s_waitcnt vmcnt(0)
	ds_write_b128 v23, v[26:29]
	s_waitcnt lgkmcnt(0)
	s_barrier
	ds_read_b128 v[26:29], v25
	ds_read_b128 v[30:33], v25 offset:16
	ds_read_b128 v[34:37], v25 offset:32
	;; [unrolled: 1-line block ×3, first 2 shown]
	ds_read_b128 v[42:45], v24
	s_waitcnt lgkmcnt(0)
	v_mul_f64 v[46:47], v[28:29], v[44:45]
	v_mul_f64 v[48:49], v[26:27], v[44:45]
	v_fma_f64 v[46:47], v[26:27], v[42:43], -v[46:47]
	v_fma_f64 v[48:49], v[28:29], v[42:43], v[48:49]
	v_add_f64 v[46:47], v[18:19], v[46:47]
	v_add_f64 v[48:49], v[48:49], v[20:21]
	ds_read_b128 v[18:21], v24 offset:256
	s_waitcnt lgkmcnt(0)
	v_mul_f64 v[50:51], v[28:29], v[20:21]
	v_fma_f64 v[50:51], v[26:27], v[18:19], -v[50:51]
	v_mul_f64 v[26:27], v[26:27], v[20:21]
	v_fma_f64 v[26:27], v[28:29], v[18:19], v[26:27]
	v_add_f64 v[28:29], v[10:11], v[50:51]
	v_add_f64 v[26:27], v[26:27], v[12:13]
	ds_read_b128 v[10:13], v25 offset:2048
	s_waitcnt lgkmcnt(0)
	v_mul_f64 v[50:51], v[12:13], v[44:45]
	v_mul_f64 v[44:45], v[10:11], v[44:45]
	v_fma_f64 v[50:51], v[10:11], v[42:43], -v[50:51]
	v_fma_f64 v[42:43], v[12:13], v[42:43], v[44:45]
	v_add_f64 v[44:45], v[14:15], v[50:51]
	v_mul_f64 v[14:15], v[12:13], v[20:21]
	v_add_f64 v[42:43], v[42:43], v[16:17]
	v_fma_f64 v[14:15], v[10:11], v[18:19], -v[14:15]
	v_mul_f64 v[10:11], v[10:11], v[20:21]
	v_fma_f64 v[10:11], v[12:13], v[18:19], v[10:11]
	v_add_f64 v[18:19], v[8:9], v[14:15]
	v_add_f64 v[20:21], v[10:11], v[6:7]
	ds_read_b128 v[6:9], v24 offset:512
	s_waitcnt lgkmcnt(0)
	v_mul_f64 v[10:11], v[32:33], v[8:9]
	v_mul_f64 v[12:13], v[30:31], v[8:9]
	v_fma_f64 v[10:11], v[30:31], v[6:7], -v[10:11]
	v_fma_f64 v[12:13], v[32:33], v[6:7], v[12:13]
	v_add_f64 v[46:47], v[46:47], v[10:11]
	v_add_f64 v[48:49], v[12:13], v[48:49]
	ds_read_b128 v[10:13], v24 offset:768
	s_waitcnt lgkmcnt(0)
	v_mul_f64 v[14:15], v[32:33], v[12:13]
	v_mul_f64 v[16:17], v[30:31], v[12:13]
	v_fma_f64 v[14:15], v[30:31], v[10:11], -v[14:15]
	;; [unrolled: 8-line block ×3, first 2 shown]
	v_fma_f64 v[6:7], v[16:17], v[6:7], v[8:9]
	v_mul_f64 v[8:9], v[14:15], v[12:13]
	v_add_f64 v[30:31], v[44:45], v[30:31]
	v_add_f64 v[32:33], v[6:7], v[42:43]
	v_mul_f64 v[6:7], v[16:17], v[12:13]
	v_fma_f64 v[8:9], v[16:17], v[10:11], v[8:9]
	v_fma_f64 v[6:7], v[14:15], v[10:11], -v[6:7]
	v_add_f64 v[20:21], v[8:9], v[20:21]
	v_add_f64 v[18:19], v[18:19], v[6:7]
	ds_read_b128 v[6:9], v24 offset:1024
	s_waitcnt lgkmcnt(0)
	v_mul_f64 v[10:11], v[36:37], v[8:9]
	v_mul_f64 v[12:13], v[34:35], v[8:9]
	v_fma_f64 v[10:11], v[34:35], v[6:7], -v[10:11]
	v_fma_f64 v[12:13], v[36:37], v[6:7], v[12:13]
	v_add_f64 v[42:43], v[46:47], v[10:11]
	v_add_f64 v[44:45], v[12:13], v[48:49]
	ds_read_b128 v[10:13], v24 offset:1280
	s_waitcnt lgkmcnt(0)
	v_mul_f64 v[14:15], v[36:37], v[12:13]
	v_mul_f64 v[16:17], v[34:35], v[12:13]
	v_fma_f64 v[14:15], v[34:35], v[10:11], -v[14:15]
	v_fma_f64 v[16:17], v[36:37], v[10:11], v[16:17]
	;; [unrolled: 8-line block ×3, first 2 shown]
	v_mul_f64 v[8:9], v[14:15], v[12:13]
	v_add_f64 v[30:31], v[30:31], v[34:35]
	v_add_f64 v[32:33], v[6:7], v[32:33]
	v_mul_f64 v[6:7], v[16:17], v[12:13]
	v_fma_f64 v[8:9], v[16:17], v[10:11], v[8:9]
	v_fma_f64 v[6:7], v[14:15], v[10:11], -v[6:7]
	v_add_f64 v[20:21], v[8:9], v[20:21]
	v_add_f64 v[18:19], v[18:19], v[6:7]
	ds_read_b128 v[6:9], v24 offset:1536
	s_waitcnt lgkmcnt(0)
	v_mul_f64 v[10:11], v[40:41], v[8:9]
	v_mul_f64 v[12:13], v[38:39], v[8:9]
	v_fma_f64 v[10:11], v[38:39], v[6:7], -v[10:11]
	v_fma_f64 v[12:13], v[40:41], v[6:7], v[12:13]
	v_add_f64 v[34:35], v[42:43], v[10:11]
	v_add_f64 v[36:37], v[12:13], v[44:45]
	ds_read_b128 v[10:13], v24 offset:1792
	s_waitcnt lgkmcnt(0)
	v_mul_f64 v[14:15], v[40:41], v[12:13]
	v_mul_f64 v[16:17], v[38:39], v[12:13]
	v_fma_f64 v[14:15], v[38:39], v[10:11], -v[14:15]
	v_fma_f64 v[16:17], v[40:41], v[10:11], v[16:17]
	;; [unrolled: 8-line block ×3, first 2 shown]
	v_mul_f64 v[8:9], v[14:15], v[12:13]
	v_add_f64 v[30:31], v[30:31], v[38:39]
	v_add_f64 v[32:33], v[6:7], v[32:33]
	v_mul_f64 v[6:7], v[16:17], v[12:13]
	v_fma_f64 v[8:9], v[16:17], v[10:11], v[8:9]
	v_fma_f64 v[6:7], v[14:15], v[10:11], -v[6:7]
	v_add_f64 v[20:21], v[8:9], v[20:21]
	v_add_f64 v[18:19], v[18:19], v[6:7]
	ds_read_b128 v[6:9], v25 offset:64
	ds_read_b128 v[10:13], v24 offset:2048
	s_waitcnt lgkmcnt(0)
	v_mul_f64 v[14:15], v[8:9], v[12:13]
	v_mul_f64 v[16:17], v[6:7], v[12:13]
	v_fma_f64 v[14:15], v[6:7], v[10:11], -v[14:15]
	v_fma_f64 v[16:17], v[8:9], v[10:11], v[16:17]
	v_add_f64 v[34:35], v[34:35], v[14:15]
	v_add_f64 v[36:37], v[16:17], v[36:37]
	ds_read_b128 v[14:17], v24 offset:2304
	s_waitcnt lgkmcnt(0)
	v_mul_f64 v[38:39], v[8:9], v[16:17]
	v_fma_f64 v[38:39], v[6:7], v[14:15], -v[38:39]
	v_mul_f64 v[6:7], v[6:7], v[16:17]
	v_add_f64 v[28:29], v[28:29], v[38:39]
	v_fma_f64 v[6:7], v[8:9], v[14:15], v[6:7]
	v_add_f64 v[26:27], v[6:7], v[26:27]
	ds_read_b128 v[6:9], v25 offset:2112
	s_waitcnt lgkmcnt(0)
	v_mul_f64 v[38:39], v[8:9], v[12:13]
	v_mul_f64 v[12:13], v[6:7], v[12:13]
	v_fma_f64 v[38:39], v[6:7], v[10:11], -v[38:39]
	v_fma_f64 v[10:11], v[8:9], v[10:11], v[12:13]
	v_add_f64 v[30:31], v[30:31], v[38:39]
	v_add_f64 v[32:33], v[10:11], v[32:33]
	v_mul_f64 v[10:11], v[8:9], v[16:17]
	v_fma_f64 v[10:11], v[6:7], v[14:15], -v[10:11]
	v_mul_f64 v[6:7], v[6:7], v[16:17]
	v_add_f64 v[18:19], v[18:19], v[10:11]
	v_fma_f64 v[6:7], v[8:9], v[14:15], v[6:7]
	v_add_f64 v[20:21], v[6:7], v[20:21]
	ds_read_b128 v[6:9], v25 offset:80
	ds_read_b128 v[10:13], v24 offset:2560
	s_waitcnt lgkmcnt(0)
	v_mul_f64 v[14:15], v[8:9], v[12:13]
	v_mul_f64 v[16:17], v[6:7], v[12:13]
	v_fma_f64 v[14:15], v[6:7], v[10:11], -v[14:15]
	v_fma_f64 v[16:17], v[8:9], v[10:11], v[16:17]
	v_add_f64 v[34:35], v[34:35], v[14:15]
	v_add_f64 v[36:37], v[16:17], v[36:37]
	ds_read_b128 v[14:17], v24 offset:2816
	s_waitcnt lgkmcnt(0)
	v_mul_f64 v[38:39], v[8:9], v[16:17]
	v_fma_f64 v[38:39], v[6:7], v[14:15], -v[38:39]
	v_mul_f64 v[6:7], v[6:7], v[16:17]
	v_add_f64 v[28:29], v[28:29], v[38:39]
	v_fma_f64 v[6:7], v[8:9], v[14:15], v[6:7]
	v_add_f64 v[26:27], v[6:7], v[26:27]
	ds_read_b128 v[6:9], v25 offset:2128
	s_waitcnt lgkmcnt(0)
	v_mul_f64 v[38:39], v[8:9], v[12:13]
	v_mul_f64 v[12:13], v[6:7], v[12:13]
	v_fma_f64 v[38:39], v[6:7], v[10:11], -v[38:39]
	v_fma_f64 v[10:11], v[8:9], v[10:11], v[12:13]
	v_add_f64 v[30:31], v[30:31], v[38:39]
	v_add_f64 v[32:33], v[10:11], v[32:33]
	v_mul_f64 v[10:11], v[8:9], v[16:17]
	v_fma_f64 v[10:11], v[6:7], v[14:15], -v[10:11]
	v_mul_f64 v[6:7], v[6:7], v[16:17]
	v_add_f64 v[18:19], v[18:19], v[10:11]
	v_fma_f64 v[6:7], v[8:9], v[14:15], v[6:7]
	;; [unrolled: 31-line block ×3, first 2 shown]
	v_add_f64 v[44:45], v[6:7], v[20:21]
	ds_read_b128 v[6:9], v25 offset:112
	ds_read_b128 v[14:17], v24 offset:3584
	;; [unrolled: 1-line block ×3, first 2 shown]
	s_waitcnt lgkmcnt(1)
	v_mul_f64 v[10:11], v[8:9], v[16:17]
	v_mul_f64 v[12:13], v[6:7], v[16:17]
	v_fma_f64 v[10:11], v[6:7], v[14:15], -v[10:11]
	v_fma_f64 v[12:13], v[8:9], v[14:15], v[12:13]
	v_add_f64 v[18:19], v[34:35], v[10:11]
	s_waitcnt lgkmcnt(0)
	v_mul_f64 v[10:11], v[8:9], v[28:29]
	v_add_f64 v[20:21], v[12:13], v[36:37]
	v_fma_f64 v[10:11], v[6:7], v[26:27], -v[10:11]
	v_mul_f64 v[6:7], v[6:7], v[28:29]
	v_add_f64 v[10:11], v[38:39], v[10:11]
	v_fma_f64 v[6:7], v[8:9], v[26:27], v[6:7]
	v_add_f64 v[12:13], v[6:7], v[40:41]
	ds_read_b128 v[6:9], v25 offset:2160
	s_waitcnt lgkmcnt(0)
	s_barrier
	v_mul_f64 v[34:35], v[8:9], v[16:17]
	v_mul_f64 v[16:17], v[6:7], v[16:17]
	v_fma_f64 v[34:35], v[6:7], v[14:15], -v[34:35]
	v_fma_f64 v[16:17], v[8:9], v[14:15], v[16:17]
	v_add_f64 v[14:15], v[30:31], v[34:35]
	v_mul_f64 v[30:31], v[8:9], v[28:29]
	v_add_f64 v[16:17], v[16:17], v[32:33]
	v_fma_f64 v[30:31], v[6:7], v[26:27], -v[30:31]
	v_mul_f64 v[6:7], v[6:7], v[28:29]
	v_fma_f64 v[6:7], v[8:9], v[26:27], v[6:7]
	v_add_f64 v[8:9], v[42:43], v[30:31]
	v_mov_b32_e32 v27, s1
	v_mov_b32_e32 v26, s0
	v_cmp_le_u64_e32 vcc, s[12:13], v[26:27]
	v_add_f64 v[6:7], v[6:7], v[44:45]
	s_cbranch_vccz .LBB1345_2
	s_branch .LBB1345_4
.LBB1345_3:
	v_mov_b32_e32 v18, 0
	v_mov_b32_e32 v20, 0
	;; [unrolled: 1-line block ×16, first 2 shown]
.LBB1345_4:
	v_add_u32_e32 v4, s3, v1
	v_ashrrev_i32_e32 v1, 31, v4
	v_mul_lo_u32 v3, s28, v1
	v_mul_lo_u32 v5, s29, v4
	v_mad_u64_u32 v[1:2], s[6:7], s28, v4, 0
	s_mul_i32 s0, s31, s8
	s_mul_hi_u32 s1, s30, s8
	s_add_i32 s1, s1, s0
	s_mul_i32 s0, s30, s8
	s_load_dword s4, s[4:5], 0x0
	s_lshl_b64 s[0:1], s[0:1], 4
	v_add3_u32 v2, v2, v3, v5
	s_add_u32 s5, s42, s0
	v_lshlrev_b64 v[1:2], 4, v[1:2]
	s_addc_u32 s6, s43, s1
	v_mov_b32_e32 v3, s6
	v_add_co_u32_e64 v5, s[0:1], s5, v1
	v_add_u32_e32 v0, s2, v0
	v_addc_co_u32_e64 v22, s[0:1], v3, v2, s[0:1]
	s_waitcnt lgkmcnt(0)
	v_cmp_gt_i32_e32 vcc, s4, v4
	v_cmp_le_i32_e64 s[0:1], v0, v4
	s_and_b64 s[0:1], vcc, s[0:1]
	s_and_saveexec_b64 s[2:3], s[0:1]
	s_cbranch_execz .LBB1345_6
; %bb.5:
	v_ashrrev_i32_e32 v1, 31, v0
	v_lshlrev_b64 v[1:2], 4, v[0:1]
	v_mul_f64 v[27:28], s[14:15], v[20:21]
	v_add_co_u32_e64 v1, s[0:1], v5, v1
	v_addc_co_u32_e64 v2, s[0:1], v22, v2, s[0:1]
	global_load_dwordx4 v[23:26], v[1:2], off
	v_mul_f64 v[20:21], s[16:17], v[20:21]
	v_cmp_ne_u32_e64 s[0:1], v4, v0
	v_fma_f64 v[27:28], s[16:17], v[18:19], v[27:28]
	v_fma_f64 v[18:19], s[14:15], v[18:19], -v[20:21]
	s_waitcnt vmcnt(0)
	v_mul_f64 v[29:30], s[38:39], v[25:26]
	v_mul_f64 v[25:26], s[40:41], v[25:26]
	v_fma_f64 v[29:30], s[40:41], v[23:24], v[29:30]
	v_fma_f64 v[20:21], s[38:39], v[23:24], -v[25:26]
	v_add_f64 v[23:24], v[27:28], v[29:30]
	v_add_f64 v[18:19], v[18:19], v[20:21]
	v_cndmask_b32_e64 v21, 0, v24, s[0:1]
	v_cndmask_b32_e64 v20, 0, v23, s[0:1]
	global_store_dwordx4 v[1:2], v[18:21], off
.LBB1345_6:
	s_or_b64 exec, exec, s[2:3]
	v_add_u32_e32 v2, 16, v0
	v_cmp_le_i32_e64 s[0:1], v2, v4
	s_and_b64 s[2:3], vcc, s[0:1]
	s_and_saveexec_b64 s[0:1], s[2:3]
	s_cbranch_execz .LBB1345_8
; %bb.7:
	v_ashrrev_i32_e32 v3, 31, v2
	v_lshlrev_b64 v[18:19], 4, v[2:3]
	v_mul_f64 v[25:26], s[14:15], v[12:13]
	v_add_co_u32_e32 v23, vcc, v5, v18
	v_addc_co_u32_e32 v24, vcc, v22, v19, vcc
	global_load_dwordx4 v[18:21], v[23:24], off
	v_mul_f64 v[12:13], s[16:17], v[12:13]
	v_cmp_ne_u32_e32 vcc, v4, v2
	v_fma_f64 v[25:26], s[16:17], v[10:11], v[25:26]
	v_fma_f64 v[10:11], s[14:15], v[10:11], -v[12:13]
	s_waitcnt vmcnt(0)
	v_mul_f64 v[27:28], s[38:39], v[20:21]
	v_mul_f64 v[20:21], s[40:41], v[20:21]
	v_fma_f64 v[27:28], s[40:41], v[18:19], v[27:28]
	v_fma_f64 v[12:13], s[38:39], v[18:19], -v[20:21]
	v_add_f64 v[18:19], v[25:26], v[27:28]
	v_add_f64 v[10:11], v[10:11], v[12:13]
	v_cndmask_b32_e32 v13, 0, v19, vcc
	v_cndmask_b32_e32 v12, 0, v18, vcc
	global_store_dwordx4 v[23:24], v[10:13], off
.LBB1345_8:
	s_or_b64 exec, exec, s[0:1]
	v_add_u32_e32 v3, 16, v4
	v_ashrrev_i32_e32 v1, 31, v3
	v_mul_lo_u32 v1, s28, v1
	v_mul_lo_u32 v5, s29, v3
	v_mad_u64_u32 v[10:11], s[0:1], s28, v3, 0
	v_cmp_gt_i32_e32 vcc, s4, v3
	v_add3_u32 v11, v11, v1, v5
	v_lshlrev_b64 v[10:11], 4, v[10:11]
	v_mov_b32_e32 v1, s6
	v_add_co_u32_e64 v5, s[0:1], s5, v10
	v_addc_co_u32_e64 v10, s[0:1], v1, v11, s[0:1]
	v_cmp_le_i32_e64 s[0:1], v0, v3
	s_and_b64 s[0:1], vcc, s[0:1]
	s_and_saveexec_b64 s[2:3], s[0:1]
	s_cbranch_execz .LBB1345_10
; %bb.9:
	v_ashrrev_i32_e32 v1, 31, v0
	v_lshlrev_b64 v[11:12], 4, v[0:1]
	v_add_co_u32_e64 v22, s[0:1], v5, v11
	v_addc_co_u32_e64 v23, s[0:1], v10, v12, s[0:1]
	global_load_dwordx4 v[18:21], v[22:23], off
	v_mul_f64 v[11:12], s[14:15], v[16:17]
	v_mul_f64 v[16:17], s[16:17], v[16:17]
	v_cmp_ne_u32_e64 s[0:1], v3, v0
	v_fma_f64 v[11:12], s[16:17], v[14:15], v[11:12]
	v_fma_f64 v[13:14], s[14:15], v[14:15], -v[16:17]
	s_waitcnt vmcnt(0)
	v_mul_f64 v[24:25], s[38:39], v[20:21]
	v_mul_f64 v[20:21], s[40:41], v[20:21]
	v_fma_f64 v[24:25], s[40:41], v[18:19], v[24:25]
	v_fma_f64 v[15:16], s[38:39], v[18:19], -v[20:21]
	v_add_f64 v[17:18], v[11:12], v[24:25]
	v_add_f64 v[11:12], v[13:14], v[15:16]
	v_cndmask_b32_e64 v14, 0, v18, s[0:1]
	v_cndmask_b32_e64 v13, 0, v17, s[0:1]
	global_store_dwordx4 v[22:23], v[11:14], off
.LBB1345_10:
	s_or_b64 exec, exec, s[2:3]
	v_cmp_le_i32_e64 s[0:1], v2, v3
	s_and_b64 s[0:1], vcc, s[0:1]
	s_and_saveexec_b64 s[2:3], s[0:1]
	s_cbranch_execz .LBB1345_12
; %bb.11:
	v_ashrrev_i32_e32 v3, 31, v2
	v_lshlrev_b64 v[1:2], 4, v[2:3]
	v_add_co_u32_e32 v14, vcc, v5, v1
	v_addc_co_u32_e32 v15, vcc, v10, v2, vcc
	global_load_dwordx4 v[10:13], v[14:15], off
	v_mul_f64 v[1:2], s[14:15], v[6:7]
	v_mul_f64 v[5:6], s[16:17], v[6:7]
	v_cmp_ne_u32_e32 vcc, v4, v0
	v_fma_f64 v[1:2], s[16:17], v[8:9], v[1:2]
	v_fma_f64 v[5:6], s[14:15], v[8:9], -v[5:6]
	s_waitcnt vmcnt(0)
	v_mul_f64 v[16:17], s[38:39], v[12:13]
	v_mul_f64 v[12:13], s[40:41], v[12:13]
	v_fma_f64 v[16:17], s[40:41], v[10:11], v[16:17]
	v_fma_f64 v[7:8], s[38:39], v[10:11], -v[12:13]
	v_add_f64 v[9:10], v[1:2], v[16:17]
	v_add_f64 v[1:2], v[5:6], v[7:8]
	v_cndmask_b32_e32 v4, 0, v10, vcc
	v_cndmask_b32_e32 v3, 0, v9, vcc
	global_store_dwordx4 v[14:15], v[1:4], off
.LBB1345_12:
	s_endpgm
	.section	.rodata,"a",@progbits
	.p2align	6, 0x0
	.amdhsa_kernel _ZL37rocblas_syrkx_herkx_restricted_kernelIl19rocblas_complex_numIdELi16ELi32ELi8ELb0ELb1ELc67ELc85EKS1_S1_EviT_T0_PT8_S3_lS6_S3_lS4_PT9_S3_li
		.amdhsa_group_segment_fixed_size 8192
		.amdhsa_private_segment_fixed_size 0
		.amdhsa_kernarg_size 124
		.amdhsa_user_sgpr_count 6
		.amdhsa_user_sgpr_private_segment_buffer 1
		.amdhsa_user_sgpr_dispatch_ptr 0
		.amdhsa_user_sgpr_queue_ptr 0
		.amdhsa_user_sgpr_kernarg_segment_ptr 1
		.amdhsa_user_sgpr_dispatch_id 0
		.amdhsa_user_sgpr_flat_scratch_init 0
		.amdhsa_user_sgpr_private_segment_size 0
		.amdhsa_uses_dynamic_stack 0
		.amdhsa_system_sgpr_private_segment_wavefront_offset 0
		.amdhsa_system_sgpr_workgroup_id_x 1
		.amdhsa_system_sgpr_workgroup_id_y 1
		.amdhsa_system_sgpr_workgroup_id_z 1
		.amdhsa_system_sgpr_workgroup_info 0
		.amdhsa_system_vgpr_workitem_id 1
		.amdhsa_next_free_vgpr 52
		.amdhsa_next_free_sgpr 61
		.amdhsa_reserve_vcc 1
		.amdhsa_reserve_flat_scratch 0
		.amdhsa_float_round_mode_32 0
		.amdhsa_float_round_mode_16_64 0
		.amdhsa_float_denorm_mode_32 3
		.amdhsa_float_denorm_mode_16_64 3
		.amdhsa_dx10_clamp 1
		.amdhsa_ieee_mode 1
		.amdhsa_fp16_overflow 0
		.amdhsa_exception_fp_ieee_invalid_op 0
		.amdhsa_exception_fp_denorm_src 0
		.amdhsa_exception_fp_ieee_div_zero 0
		.amdhsa_exception_fp_ieee_overflow 0
		.amdhsa_exception_fp_ieee_underflow 0
		.amdhsa_exception_fp_ieee_inexact 0
		.amdhsa_exception_int_div_zero 0
	.end_amdhsa_kernel
	.section	.text._ZL37rocblas_syrkx_herkx_restricted_kernelIl19rocblas_complex_numIdELi16ELi32ELi8ELb0ELb1ELc67ELc85EKS1_S1_EviT_T0_PT8_S3_lS6_S3_lS4_PT9_S3_li,"axG",@progbits,_ZL37rocblas_syrkx_herkx_restricted_kernelIl19rocblas_complex_numIdELi16ELi32ELi8ELb0ELb1ELc67ELc85EKS1_S1_EviT_T0_PT8_S3_lS6_S3_lS4_PT9_S3_li,comdat
.Lfunc_end1345:
	.size	_ZL37rocblas_syrkx_herkx_restricted_kernelIl19rocblas_complex_numIdELi16ELi32ELi8ELb0ELb1ELc67ELc85EKS1_S1_EviT_T0_PT8_S3_lS6_S3_lS4_PT9_S3_li, .Lfunc_end1345-_ZL37rocblas_syrkx_herkx_restricted_kernelIl19rocblas_complex_numIdELi16ELi32ELi8ELb0ELb1ELc67ELc85EKS1_S1_EviT_T0_PT8_S3_lS6_S3_lS4_PT9_S3_li
                                        ; -- End function
	.set _ZL37rocblas_syrkx_herkx_restricted_kernelIl19rocblas_complex_numIdELi16ELi32ELi8ELb0ELb1ELc67ELc85EKS1_S1_EviT_T0_PT8_S3_lS6_S3_lS4_PT9_S3_li.num_vgpr, 52
	.set _ZL37rocblas_syrkx_herkx_restricted_kernelIl19rocblas_complex_numIdELi16ELi32ELi8ELb0ELb1ELc67ELc85EKS1_S1_EviT_T0_PT8_S3_lS6_S3_lS4_PT9_S3_li.num_agpr, 0
	.set _ZL37rocblas_syrkx_herkx_restricted_kernelIl19rocblas_complex_numIdELi16ELi32ELi8ELb0ELb1ELc67ELc85EKS1_S1_EviT_T0_PT8_S3_lS6_S3_lS4_PT9_S3_li.numbered_sgpr, 44
	.set _ZL37rocblas_syrkx_herkx_restricted_kernelIl19rocblas_complex_numIdELi16ELi32ELi8ELb0ELb1ELc67ELc85EKS1_S1_EviT_T0_PT8_S3_lS6_S3_lS4_PT9_S3_li.num_named_barrier, 0
	.set _ZL37rocblas_syrkx_herkx_restricted_kernelIl19rocblas_complex_numIdELi16ELi32ELi8ELb0ELb1ELc67ELc85EKS1_S1_EviT_T0_PT8_S3_lS6_S3_lS4_PT9_S3_li.private_seg_size, 0
	.set _ZL37rocblas_syrkx_herkx_restricted_kernelIl19rocblas_complex_numIdELi16ELi32ELi8ELb0ELb1ELc67ELc85EKS1_S1_EviT_T0_PT8_S3_lS6_S3_lS4_PT9_S3_li.uses_vcc, 1
	.set _ZL37rocblas_syrkx_herkx_restricted_kernelIl19rocblas_complex_numIdELi16ELi32ELi8ELb0ELb1ELc67ELc85EKS1_S1_EviT_T0_PT8_S3_lS6_S3_lS4_PT9_S3_li.uses_flat_scratch, 0
	.set _ZL37rocblas_syrkx_herkx_restricted_kernelIl19rocblas_complex_numIdELi16ELi32ELi8ELb0ELb1ELc67ELc85EKS1_S1_EviT_T0_PT8_S3_lS6_S3_lS4_PT9_S3_li.has_dyn_sized_stack, 0
	.set _ZL37rocblas_syrkx_herkx_restricted_kernelIl19rocblas_complex_numIdELi16ELi32ELi8ELb0ELb1ELc67ELc85EKS1_S1_EviT_T0_PT8_S3_lS6_S3_lS4_PT9_S3_li.has_recursion, 0
	.set _ZL37rocblas_syrkx_herkx_restricted_kernelIl19rocblas_complex_numIdELi16ELi32ELi8ELb0ELb1ELc67ELc85EKS1_S1_EviT_T0_PT8_S3_lS6_S3_lS4_PT9_S3_li.has_indirect_call, 0
	.section	.AMDGPU.csdata,"",@progbits
; Kernel info:
; codeLenInByte = 3316
; TotalNumSgprs: 48
; NumVgprs: 52
; ScratchSize: 0
; MemoryBound: 0
; FloatMode: 240
; IeeeMode: 1
; LDSByteSize: 8192 bytes/workgroup (compile time only)
; SGPRBlocks: 8
; VGPRBlocks: 12
; NumSGPRsForWavesPerEU: 65
; NumVGPRsForWavesPerEU: 52
; Occupancy: 4
; WaveLimiterHint : 0
; COMPUTE_PGM_RSRC2:SCRATCH_EN: 0
; COMPUTE_PGM_RSRC2:USER_SGPR: 6
; COMPUTE_PGM_RSRC2:TRAP_HANDLER: 0
; COMPUTE_PGM_RSRC2:TGID_X_EN: 1
; COMPUTE_PGM_RSRC2:TGID_Y_EN: 1
; COMPUTE_PGM_RSRC2:TGID_Z_EN: 1
; COMPUTE_PGM_RSRC2:TIDIG_COMP_CNT: 1
	.section	.text._ZL37rocblas_syrkx_herkx_restricted_kernelIl19rocblas_complex_numIdELi16ELi32ELi8ELb0ELb1ELc78ELc85EKS1_S1_EviT_T0_PT8_S3_lS6_S3_lS4_PT9_S3_li,"axG",@progbits,_ZL37rocblas_syrkx_herkx_restricted_kernelIl19rocblas_complex_numIdELi16ELi32ELi8ELb0ELb1ELc78ELc85EKS1_S1_EviT_T0_PT8_S3_lS6_S3_lS4_PT9_S3_li,comdat
	.globl	_ZL37rocblas_syrkx_herkx_restricted_kernelIl19rocblas_complex_numIdELi16ELi32ELi8ELb0ELb1ELc78ELc85EKS1_S1_EviT_T0_PT8_S3_lS6_S3_lS4_PT9_S3_li ; -- Begin function _ZL37rocblas_syrkx_herkx_restricted_kernelIl19rocblas_complex_numIdELi16ELi32ELi8ELb0ELb1ELc78ELc85EKS1_S1_EviT_T0_PT8_S3_lS6_S3_lS4_PT9_S3_li
	.p2align	8
	.type	_ZL37rocblas_syrkx_herkx_restricted_kernelIl19rocblas_complex_numIdELi16ELi32ELi8ELb0ELb1ELc78ELc85EKS1_S1_EviT_T0_PT8_S3_lS6_S3_lS4_PT9_S3_li,@function
_ZL37rocblas_syrkx_herkx_restricted_kernelIl19rocblas_complex_numIdELi16ELi32ELi8ELb0ELb1ELc78ELc85EKS1_S1_EviT_T0_PT8_S3_lS6_S3_lS4_PT9_S3_li: ; @_ZL37rocblas_syrkx_herkx_restricted_kernelIl19rocblas_complex_numIdELi16ELi32ELi8ELb0ELb1ELc78ELc85EKS1_S1_EviT_T0_PT8_S3_lS6_S3_lS4_PT9_S3_li
; %bb.0:
	s_load_dwordx16 s[12:27], s[4:5], 0x8
	s_load_dwordx4 s[28:31], s[4:5], 0x68
	s_load_dwordx8 s[36:43], s[4:5], 0x48
	s_lshl_b32 s9, s6, 5
	s_lshl_b32 s10, s7, 5
	s_waitcnt lgkmcnt(0)
	v_cmp_lt_i64_e64 s[0:1], s[12:13], 1
	s_and_b64 vcc, exec, s[0:1]
	s_cbranch_vccnz .LBB1346_3
; %bb.1:
	v_lshl_add_u32 v6, v1, 4, v0
	v_lshrrev_b32_e32 v7, 3, v6
	v_add_u32_e32 v2, s10, v7
	v_and_b32_e32 v8, 7, v0
	v_ashrrev_i32_e32 v3, 31, v2
	v_mad_u64_u32 v[4:5], s[0:1], s26, v8, v[2:3]
	v_lshrrev_b32_e32 v9, 5, v6
	s_mul_i32 s2, s23, s8
	v_mov_b32_e32 v2, v5
	v_mad_u64_u32 v[2:3], s[0:1], s27, v8, v[2:3]
	v_and_b32_e32 v3, 31, v6
	v_lshlrev_b32_e32 v6, 4, v3
	v_mov_b32_e32 v5, v2
	v_lshlrev_b32_e32 v2, 4, v8
	v_lshl_or_b32 v2, v7, 7, v2
	v_add_u32_e32 v23, 0x1000, v2
	v_add_u32_e32 v2, s9, v3
	v_ashrrev_i32_e32 v3, 31, v2
	v_mad_u64_u32 v[2:3], s[0:1], s20, v9, v[2:3]
	v_lshl_or_b32 v22, v9, 9, v6
	v_mov_b32_e32 v6, 0x1000
	v_lshl_add_u32 v25, v1, 7, v6
	v_mad_u64_u32 v[6:7], s[0:1], s21, v9, v[3:4]
	s_mul_hi_u32 s3, s22, s8
	s_add_i32 s1, s3, s2
	s_mul_i32 s0, s22, s8
	s_lshl_b64 s[0:1], s[0:1], 4
	v_mov_b32_e32 v3, v6
	v_lshlrev_b64 v[2:3], 4, v[2:3]
	s_add_u32 s0, s18, s0
	s_addc_u32 s1, s19, s1
	s_mul_i32 s2, s37, s8
	s_mul_hi_u32 s3, s36, s8
	v_mov_b32_e32 v6, s1
	v_add_co_u32_e32 v2, vcc, s0, v2
	s_add_i32 s3, s3, s2
	s_mul_i32 s2, s36, s8
	v_addc_co_u32_e32 v3, vcc, v6, v3, vcc
	s_lshl_b64 s[0:1], s[20:21], 7
	s_lshl_b64 s[2:3], s[2:3], 4
	v_add_co_u32_e32 v2, vcc, 8, v2
	v_lshlrev_b64 v[4:5], 4, v[4:5]
	s_add_u32 s2, s24, s2
	v_addc_co_u32_e32 v3, vcc, 0, v3, vcc
	s_addc_u32 s3, s25, s3
	v_mov_b32_e32 v6, s3
	v_add_co_u32_e32 v4, vcc, s2, v4
	v_addc_co_u32_e32 v5, vcc, v6, v5, vcc
	v_add_co_u32_e32 v4, vcc, 8, v4
	s_lshl_b64 s[2:3], s[26:27], 7
	v_mov_b32_e32 v6, 0
	v_mov_b32_e32 v8, 0
	;; [unrolled: 1-line block ×8, first 2 shown]
	v_lshlrev_b32_e32 v24, 4, v0
	v_addc_co_u32_e32 v5, vcc, 0, v5, vcc
	v_mov_b32_e32 v7, 0
	s_mov_b64 s[6:7], 0
	v_mov_b32_e32 v26, s1
	v_mov_b32_e32 v9, 0
	;; [unrolled: 1-line block ×9, first 2 shown]
.LBB1346_2:                             ; =>This Inner Loop Header: Depth=1
	global_load_dwordx4 v[28:31], v[2:3], off offset:-8
	s_add_u32 s6, s6, 8
	v_add_co_u32_e32 v2, vcc, s0, v2
	s_addc_u32 s7, s7, 0
	v_addc_co_u32_e32 v3, vcc, v3, v26, vcc
	s_waitcnt vmcnt(0)
	ds_write_b128 v22, v[28:31]
	global_load_dwordx4 v[28:31], v[4:5], off offset:-8
	v_add_co_u32_e32 v4, vcc, s2, v4
	v_addc_co_u32_e32 v5, vcc, v5, v27, vcc
	s_waitcnt vmcnt(0)
	v_xor_b32_e32 v31, 0x80000000, v31
	ds_write_b128 v23, v[28:31]
	s_waitcnt lgkmcnt(0)
	s_barrier
	ds_read_b128 v[28:31], v25
	ds_read_b128 v[32:35], v25 offset:16
	ds_read_b128 v[36:39], v25 offset:32
	;; [unrolled: 1-line block ×3, first 2 shown]
	ds_read_b128 v[44:47], v24
	s_waitcnt lgkmcnt(0)
	v_mul_f64 v[48:49], v[30:31], v[46:47]
	v_mul_f64 v[50:51], v[28:29], v[46:47]
	v_fma_f64 v[48:49], v[28:29], v[44:45], -v[48:49]
	v_fma_f64 v[50:51], v[30:31], v[44:45], v[50:51]
	v_add_f64 v[48:49], v[18:19], v[48:49]
	v_add_f64 v[50:51], v[50:51], v[20:21]
	ds_read_b128 v[18:21], v24 offset:256
	s_waitcnt lgkmcnt(0)
	v_mul_f64 v[52:53], v[30:31], v[20:21]
	v_fma_f64 v[52:53], v[28:29], v[18:19], -v[52:53]
	v_mul_f64 v[28:29], v[28:29], v[20:21]
	v_fma_f64 v[28:29], v[30:31], v[18:19], v[28:29]
	v_add_f64 v[30:31], v[10:11], v[52:53]
	v_add_f64 v[28:29], v[28:29], v[12:13]
	ds_read_b128 v[10:13], v25 offset:2048
	s_waitcnt lgkmcnt(0)
	v_mul_f64 v[52:53], v[12:13], v[46:47]
	v_mul_f64 v[46:47], v[10:11], v[46:47]
	v_fma_f64 v[52:53], v[10:11], v[44:45], -v[52:53]
	v_fma_f64 v[44:45], v[12:13], v[44:45], v[46:47]
	v_add_f64 v[46:47], v[14:15], v[52:53]
	v_mul_f64 v[14:15], v[12:13], v[20:21]
	v_add_f64 v[44:45], v[44:45], v[16:17]
	v_fma_f64 v[14:15], v[10:11], v[18:19], -v[14:15]
	v_mul_f64 v[10:11], v[10:11], v[20:21]
	v_fma_f64 v[10:11], v[12:13], v[18:19], v[10:11]
	v_add_f64 v[18:19], v[8:9], v[14:15]
	v_add_f64 v[20:21], v[10:11], v[6:7]
	ds_read_b128 v[6:9], v24 offset:512
	s_waitcnt lgkmcnt(0)
	v_mul_f64 v[10:11], v[34:35], v[8:9]
	v_mul_f64 v[12:13], v[32:33], v[8:9]
	v_fma_f64 v[10:11], v[32:33], v[6:7], -v[10:11]
	v_fma_f64 v[12:13], v[34:35], v[6:7], v[12:13]
	v_add_f64 v[48:49], v[48:49], v[10:11]
	v_add_f64 v[50:51], v[12:13], v[50:51]
	ds_read_b128 v[10:13], v24 offset:768
	s_waitcnt lgkmcnt(0)
	v_mul_f64 v[14:15], v[34:35], v[12:13]
	v_mul_f64 v[16:17], v[32:33], v[12:13]
	v_fma_f64 v[14:15], v[32:33], v[10:11], -v[14:15]
	;; [unrolled: 8-line block ×3, first 2 shown]
	v_fma_f64 v[6:7], v[16:17], v[6:7], v[8:9]
	v_mul_f64 v[8:9], v[14:15], v[12:13]
	v_add_f64 v[32:33], v[46:47], v[32:33]
	v_add_f64 v[34:35], v[6:7], v[44:45]
	v_mul_f64 v[6:7], v[16:17], v[12:13]
	v_fma_f64 v[8:9], v[16:17], v[10:11], v[8:9]
	v_fma_f64 v[6:7], v[14:15], v[10:11], -v[6:7]
	v_add_f64 v[20:21], v[8:9], v[20:21]
	v_add_f64 v[18:19], v[18:19], v[6:7]
	ds_read_b128 v[6:9], v24 offset:1024
	s_waitcnt lgkmcnt(0)
	v_mul_f64 v[10:11], v[38:39], v[8:9]
	v_mul_f64 v[12:13], v[36:37], v[8:9]
	v_fma_f64 v[10:11], v[36:37], v[6:7], -v[10:11]
	v_fma_f64 v[12:13], v[38:39], v[6:7], v[12:13]
	v_add_f64 v[44:45], v[48:49], v[10:11]
	v_add_f64 v[46:47], v[12:13], v[50:51]
	ds_read_b128 v[10:13], v24 offset:1280
	s_waitcnt lgkmcnt(0)
	v_mul_f64 v[14:15], v[38:39], v[12:13]
	v_mul_f64 v[16:17], v[36:37], v[12:13]
	v_fma_f64 v[14:15], v[36:37], v[10:11], -v[14:15]
	v_fma_f64 v[16:17], v[38:39], v[10:11], v[16:17]
	;; [unrolled: 8-line block ×3, first 2 shown]
	v_mul_f64 v[8:9], v[14:15], v[12:13]
	v_add_f64 v[32:33], v[32:33], v[36:37]
	v_add_f64 v[34:35], v[6:7], v[34:35]
	v_mul_f64 v[6:7], v[16:17], v[12:13]
	v_fma_f64 v[8:9], v[16:17], v[10:11], v[8:9]
	v_fma_f64 v[6:7], v[14:15], v[10:11], -v[6:7]
	v_add_f64 v[20:21], v[8:9], v[20:21]
	v_add_f64 v[18:19], v[18:19], v[6:7]
	ds_read_b128 v[6:9], v24 offset:1536
	s_waitcnt lgkmcnt(0)
	v_mul_f64 v[10:11], v[42:43], v[8:9]
	v_mul_f64 v[12:13], v[40:41], v[8:9]
	v_fma_f64 v[10:11], v[40:41], v[6:7], -v[10:11]
	v_fma_f64 v[12:13], v[42:43], v[6:7], v[12:13]
	v_add_f64 v[36:37], v[44:45], v[10:11]
	v_add_f64 v[38:39], v[12:13], v[46:47]
	ds_read_b128 v[10:13], v24 offset:1792
	s_waitcnt lgkmcnt(0)
	v_mul_f64 v[14:15], v[42:43], v[12:13]
	v_mul_f64 v[16:17], v[40:41], v[12:13]
	v_fma_f64 v[14:15], v[40:41], v[10:11], -v[14:15]
	v_fma_f64 v[16:17], v[42:43], v[10:11], v[16:17]
	;; [unrolled: 8-line block ×3, first 2 shown]
	v_mul_f64 v[8:9], v[14:15], v[12:13]
	v_add_f64 v[32:33], v[32:33], v[40:41]
	v_add_f64 v[34:35], v[6:7], v[34:35]
	v_mul_f64 v[6:7], v[16:17], v[12:13]
	v_fma_f64 v[8:9], v[16:17], v[10:11], v[8:9]
	v_fma_f64 v[6:7], v[14:15], v[10:11], -v[6:7]
	v_add_f64 v[20:21], v[8:9], v[20:21]
	v_add_f64 v[18:19], v[18:19], v[6:7]
	ds_read_b128 v[6:9], v25 offset:64
	ds_read_b128 v[10:13], v24 offset:2048
	s_waitcnt lgkmcnt(0)
	v_mul_f64 v[14:15], v[8:9], v[12:13]
	v_mul_f64 v[16:17], v[6:7], v[12:13]
	v_fma_f64 v[14:15], v[6:7], v[10:11], -v[14:15]
	v_fma_f64 v[16:17], v[8:9], v[10:11], v[16:17]
	v_add_f64 v[36:37], v[36:37], v[14:15]
	v_add_f64 v[38:39], v[16:17], v[38:39]
	ds_read_b128 v[14:17], v24 offset:2304
	s_waitcnt lgkmcnt(0)
	v_mul_f64 v[40:41], v[8:9], v[16:17]
	v_fma_f64 v[40:41], v[6:7], v[14:15], -v[40:41]
	v_mul_f64 v[6:7], v[6:7], v[16:17]
	v_add_f64 v[30:31], v[30:31], v[40:41]
	v_fma_f64 v[6:7], v[8:9], v[14:15], v[6:7]
	v_add_f64 v[28:29], v[6:7], v[28:29]
	ds_read_b128 v[6:9], v25 offset:2112
	s_waitcnt lgkmcnt(0)
	v_mul_f64 v[40:41], v[8:9], v[12:13]
	v_mul_f64 v[12:13], v[6:7], v[12:13]
	v_fma_f64 v[40:41], v[6:7], v[10:11], -v[40:41]
	v_fma_f64 v[10:11], v[8:9], v[10:11], v[12:13]
	v_add_f64 v[32:33], v[32:33], v[40:41]
	v_add_f64 v[34:35], v[10:11], v[34:35]
	v_mul_f64 v[10:11], v[8:9], v[16:17]
	v_fma_f64 v[10:11], v[6:7], v[14:15], -v[10:11]
	v_mul_f64 v[6:7], v[6:7], v[16:17]
	v_add_f64 v[18:19], v[18:19], v[10:11]
	v_fma_f64 v[6:7], v[8:9], v[14:15], v[6:7]
	v_add_f64 v[20:21], v[6:7], v[20:21]
	ds_read_b128 v[6:9], v25 offset:80
	ds_read_b128 v[10:13], v24 offset:2560
	s_waitcnt lgkmcnt(0)
	v_mul_f64 v[14:15], v[8:9], v[12:13]
	v_mul_f64 v[16:17], v[6:7], v[12:13]
	v_fma_f64 v[14:15], v[6:7], v[10:11], -v[14:15]
	v_fma_f64 v[16:17], v[8:9], v[10:11], v[16:17]
	v_add_f64 v[36:37], v[36:37], v[14:15]
	v_add_f64 v[38:39], v[16:17], v[38:39]
	ds_read_b128 v[14:17], v24 offset:2816
	s_waitcnt lgkmcnt(0)
	v_mul_f64 v[40:41], v[8:9], v[16:17]
	v_fma_f64 v[40:41], v[6:7], v[14:15], -v[40:41]
	v_mul_f64 v[6:7], v[6:7], v[16:17]
	v_add_f64 v[30:31], v[30:31], v[40:41]
	v_fma_f64 v[6:7], v[8:9], v[14:15], v[6:7]
	v_add_f64 v[28:29], v[6:7], v[28:29]
	ds_read_b128 v[6:9], v25 offset:2128
	s_waitcnt lgkmcnt(0)
	v_mul_f64 v[40:41], v[8:9], v[12:13]
	v_mul_f64 v[12:13], v[6:7], v[12:13]
	v_fma_f64 v[40:41], v[6:7], v[10:11], -v[40:41]
	v_fma_f64 v[10:11], v[8:9], v[10:11], v[12:13]
	v_add_f64 v[32:33], v[32:33], v[40:41]
	v_add_f64 v[34:35], v[10:11], v[34:35]
	v_mul_f64 v[10:11], v[8:9], v[16:17]
	v_fma_f64 v[10:11], v[6:7], v[14:15], -v[10:11]
	v_mul_f64 v[6:7], v[6:7], v[16:17]
	v_add_f64 v[18:19], v[18:19], v[10:11]
	v_fma_f64 v[6:7], v[8:9], v[14:15], v[6:7]
	;; [unrolled: 31-line block ×3, first 2 shown]
	v_add_f64 v[46:47], v[6:7], v[20:21]
	ds_read_b128 v[6:9], v25 offset:112
	ds_read_b128 v[14:17], v24 offset:3584
	;; [unrolled: 1-line block ×3, first 2 shown]
	s_waitcnt lgkmcnt(1)
	v_mul_f64 v[10:11], v[8:9], v[16:17]
	v_mul_f64 v[12:13], v[6:7], v[16:17]
	v_fma_f64 v[10:11], v[6:7], v[14:15], -v[10:11]
	v_fma_f64 v[12:13], v[8:9], v[14:15], v[12:13]
	v_add_f64 v[18:19], v[36:37], v[10:11]
	s_waitcnt lgkmcnt(0)
	v_mul_f64 v[10:11], v[8:9], v[30:31]
	v_add_f64 v[20:21], v[12:13], v[38:39]
	v_fma_f64 v[10:11], v[6:7], v[28:29], -v[10:11]
	v_mul_f64 v[6:7], v[6:7], v[30:31]
	v_add_f64 v[10:11], v[40:41], v[10:11]
	v_fma_f64 v[6:7], v[8:9], v[28:29], v[6:7]
	v_add_f64 v[12:13], v[6:7], v[42:43]
	ds_read_b128 v[6:9], v25 offset:2160
	s_waitcnt lgkmcnt(0)
	s_barrier
	v_mul_f64 v[36:37], v[8:9], v[16:17]
	v_mul_f64 v[16:17], v[6:7], v[16:17]
	v_fma_f64 v[36:37], v[6:7], v[14:15], -v[36:37]
	v_fma_f64 v[16:17], v[8:9], v[14:15], v[16:17]
	v_add_f64 v[14:15], v[32:33], v[36:37]
	v_mul_f64 v[32:33], v[8:9], v[30:31]
	v_add_f64 v[16:17], v[16:17], v[34:35]
	v_fma_f64 v[32:33], v[6:7], v[28:29], -v[32:33]
	v_mul_f64 v[6:7], v[6:7], v[30:31]
	v_fma_f64 v[6:7], v[8:9], v[28:29], v[6:7]
	v_add_f64 v[8:9], v[44:45], v[32:33]
	v_mov_b32_e32 v29, s7
	v_mov_b32_e32 v28, s6
	v_cmp_le_u64_e32 vcc, s[12:13], v[28:29]
	v_add_f64 v[6:7], v[6:7], v[46:47]
	s_cbranch_vccz .LBB1346_2
	s_branch .LBB1346_4
.LBB1346_3:
	v_mov_b32_e32 v18, 0
	v_mov_b32_e32 v20, 0
	;; [unrolled: 1-line block ×16, first 2 shown]
.LBB1346_4:
	v_add_u32_e32 v4, s10, v1
	v_ashrrev_i32_e32 v1, 31, v4
	v_mul_lo_u32 v3, s28, v1
	v_mul_lo_u32 v5, s29, v4
	v_mad_u64_u32 v[1:2], s[2:3], s28, v4, 0
	s_mul_i32 s0, s31, s8
	s_mul_hi_u32 s1, s30, s8
	s_add_i32 s1, s1, s0
	s_mul_i32 s0, s30, s8
	s_load_dword s4, s[4:5], 0x0
	s_lshl_b64 s[0:1], s[0:1], 4
	v_add3_u32 v2, v2, v3, v5
	s_add_u32 s5, s42, s0
	v_lshlrev_b64 v[1:2], 4, v[1:2]
	s_addc_u32 s6, s43, s1
	v_mov_b32_e32 v3, s6
	v_add_co_u32_e64 v5, s[0:1], s5, v1
	v_add_u32_e32 v0, s9, v0
	v_addc_co_u32_e64 v22, s[0:1], v3, v2, s[0:1]
	s_waitcnt lgkmcnt(0)
	v_cmp_gt_i32_e32 vcc, s4, v4
	v_cmp_le_i32_e64 s[0:1], v0, v4
	s_and_b64 s[0:1], vcc, s[0:1]
	s_and_saveexec_b64 s[2:3], s[0:1]
	s_cbranch_execz .LBB1346_6
; %bb.5:
	v_ashrrev_i32_e32 v1, 31, v0
	v_lshlrev_b64 v[1:2], 4, v[0:1]
	v_mul_f64 v[27:28], s[14:15], v[20:21]
	v_add_co_u32_e64 v1, s[0:1], v5, v1
	v_addc_co_u32_e64 v2, s[0:1], v22, v2, s[0:1]
	global_load_dwordx4 v[23:26], v[1:2], off
	v_mul_f64 v[20:21], s[16:17], v[20:21]
	v_cmp_ne_u32_e64 s[0:1], v4, v0
	v_fma_f64 v[27:28], s[16:17], v[18:19], v[27:28]
	v_fma_f64 v[18:19], s[14:15], v[18:19], -v[20:21]
	s_waitcnt vmcnt(0)
	v_mul_f64 v[29:30], s[38:39], v[25:26]
	v_mul_f64 v[25:26], s[40:41], v[25:26]
	v_fma_f64 v[29:30], s[40:41], v[23:24], v[29:30]
	v_fma_f64 v[20:21], s[38:39], v[23:24], -v[25:26]
	v_add_f64 v[23:24], v[27:28], v[29:30]
	v_add_f64 v[18:19], v[18:19], v[20:21]
	v_cndmask_b32_e64 v21, 0, v24, s[0:1]
	v_cndmask_b32_e64 v20, 0, v23, s[0:1]
	global_store_dwordx4 v[1:2], v[18:21], off
.LBB1346_6:
	s_or_b64 exec, exec, s[2:3]
	v_add_u32_e32 v2, 16, v0
	v_cmp_le_i32_e64 s[0:1], v2, v4
	s_and_b64 s[2:3], vcc, s[0:1]
	s_and_saveexec_b64 s[0:1], s[2:3]
	s_cbranch_execz .LBB1346_8
; %bb.7:
	v_ashrrev_i32_e32 v3, 31, v2
	v_lshlrev_b64 v[18:19], 4, v[2:3]
	v_mul_f64 v[25:26], s[14:15], v[12:13]
	v_add_co_u32_e32 v23, vcc, v5, v18
	v_addc_co_u32_e32 v24, vcc, v22, v19, vcc
	global_load_dwordx4 v[18:21], v[23:24], off
	v_mul_f64 v[12:13], s[16:17], v[12:13]
	v_cmp_ne_u32_e32 vcc, v4, v2
	v_fma_f64 v[25:26], s[16:17], v[10:11], v[25:26]
	v_fma_f64 v[10:11], s[14:15], v[10:11], -v[12:13]
	s_waitcnt vmcnt(0)
	v_mul_f64 v[27:28], s[38:39], v[20:21]
	v_mul_f64 v[20:21], s[40:41], v[20:21]
	v_fma_f64 v[27:28], s[40:41], v[18:19], v[27:28]
	v_fma_f64 v[12:13], s[38:39], v[18:19], -v[20:21]
	v_add_f64 v[18:19], v[25:26], v[27:28]
	v_add_f64 v[10:11], v[10:11], v[12:13]
	v_cndmask_b32_e32 v13, 0, v19, vcc
	v_cndmask_b32_e32 v12, 0, v18, vcc
	global_store_dwordx4 v[23:24], v[10:13], off
.LBB1346_8:
	s_or_b64 exec, exec, s[0:1]
	v_add_u32_e32 v3, 16, v4
	v_ashrrev_i32_e32 v1, 31, v3
	v_mul_lo_u32 v1, s28, v1
	v_mul_lo_u32 v5, s29, v3
	v_mad_u64_u32 v[10:11], s[0:1], s28, v3, 0
	v_cmp_gt_i32_e32 vcc, s4, v3
	v_add3_u32 v11, v11, v1, v5
	v_lshlrev_b64 v[10:11], 4, v[10:11]
	v_mov_b32_e32 v1, s6
	v_add_co_u32_e64 v5, s[0:1], s5, v10
	v_addc_co_u32_e64 v10, s[0:1], v1, v11, s[0:1]
	v_cmp_le_i32_e64 s[0:1], v0, v3
	s_and_b64 s[0:1], vcc, s[0:1]
	s_and_saveexec_b64 s[2:3], s[0:1]
	s_cbranch_execz .LBB1346_10
; %bb.9:
	v_ashrrev_i32_e32 v1, 31, v0
	v_lshlrev_b64 v[11:12], 4, v[0:1]
	v_add_co_u32_e64 v22, s[0:1], v5, v11
	v_addc_co_u32_e64 v23, s[0:1], v10, v12, s[0:1]
	global_load_dwordx4 v[18:21], v[22:23], off
	v_mul_f64 v[11:12], s[14:15], v[16:17]
	v_mul_f64 v[16:17], s[16:17], v[16:17]
	v_cmp_ne_u32_e64 s[0:1], v3, v0
	v_fma_f64 v[11:12], s[16:17], v[14:15], v[11:12]
	v_fma_f64 v[13:14], s[14:15], v[14:15], -v[16:17]
	s_waitcnt vmcnt(0)
	v_mul_f64 v[24:25], s[38:39], v[20:21]
	v_mul_f64 v[20:21], s[40:41], v[20:21]
	v_fma_f64 v[24:25], s[40:41], v[18:19], v[24:25]
	v_fma_f64 v[15:16], s[38:39], v[18:19], -v[20:21]
	v_add_f64 v[17:18], v[11:12], v[24:25]
	v_add_f64 v[11:12], v[13:14], v[15:16]
	v_cndmask_b32_e64 v14, 0, v18, s[0:1]
	v_cndmask_b32_e64 v13, 0, v17, s[0:1]
	global_store_dwordx4 v[22:23], v[11:14], off
.LBB1346_10:
	s_or_b64 exec, exec, s[2:3]
	v_cmp_le_i32_e64 s[0:1], v2, v3
	s_and_b64 s[0:1], vcc, s[0:1]
	s_and_saveexec_b64 s[2:3], s[0:1]
	s_cbranch_execz .LBB1346_12
; %bb.11:
	v_ashrrev_i32_e32 v3, 31, v2
	v_lshlrev_b64 v[1:2], 4, v[2:3]
	v_add_co_u32_e32 v14, vcc, v5, v1
	v_addc_co_u32_e32 v15, vcc, v10, v2, vcc
	global_load_dwordx4 v[10:13], v[14:15], off
	v_mul_f64 v[1:2], s[14:15], v[6:7]
	v_mul_f64 v[5:6], s[16:17], v[6:7]
	v_cmp_ne_u32_e32 vcc, v4, v0
	v_fma_f64 v[1:2], s[16:17], v[8:9], v[1:2]
	v_fma_f64 v[5:6], s[14:15], v[8:9], -v[5:6]
	s_waitcnt vmcnt(0)
	v_mul_f64 v[16:17], s[38:39], v[12:13]
	v_mul_f64 v[12:13], s[40:41], v[12:13]
	v_fma_f64 v[16:17], s[40:41], v[10:11], v[16:17]
	v_fma_f64 v[7:8], s[38:39], v[10:11], -v[12:13]
	v_add_f64 v[9:10], v[1:2], v[16:17]
	v_add_f64 v[1:2], v[5:6], v[7:8]
	v_cndmask_b32_e32 v4, 0, v10, vcc
	v_cndmask_b32_e32 v3, 0, v9, vcc
	global_store_dwordx4 v[14:15], v[1:4], off
.LBB1346_12:
	s_endpgm
	.section	.rodata,"a",@progbits
	.p2align	6, 0x0
	.amdhsa_kernel _ZL37rocblas_syrkx_herkx_restricted_kernelIl19rocblas_complex_numIdELi16ELi32ELi8ELb0ELb1ELc78ELc85EKS1_S1_EviT_T0_PT8_S3_lS6_S3_lS4_PT9_S3_li
		.amdhsa_group_segment_fixed_size 8192
		.amdhsa_private_segment_fixed_size 0
		.amdhsa_kernarg_size 124
		.amdhsa_user_sgpr_count 6
		.amdhsa_user_sgpr_private_segment_buffer 1
		.amdhsa_user_sgpr_dispatch_ptr 0
		.amdhsa_user_sgpr_queue_ptr 0
		.amdhsa_user_sgpr_kernarg_segment_ptr 1
		.amdhsa_user_sgpr_dispatch_id 0
		.amdhsa_user_sgpr_flat_scratch_init 0
		.amdhsa_user_sgpr_private_segment_size 0
		.amdhsa_uses_dynamic_stack 0
		.amdhsa_system_sgpr_private_segment_wavefront_offset 0
		.amdhsa_system_sgpr_workgroup_id_x 1
		.amdhsa_system_sgpr_workgroup_id_y 1
		.amdhsa_system_sgpr_workgroup_id_z 1
		.amdhsa_system_sgpr_workgroup_info 0
		.amdhsa_system_vgpr_workitem_id 1
		.amdhsa_next_free_vgpr 54
		.amdhsa_next_free_sgpr 61
		.amdhsa_reserve_vcc 1
		.amdhsa_reserve_flat_scratch 0
		.amdhsa_float_round_mode_32 0
		.amdhsa_float_round_mode_16_64 0
		.amdhsa_float_denorm_mode_32 3
		.amdhsa_float_denorm_mode_16_64 3
		.amdhsa_dx10_clamp 1
		.amdhsa_ieee_mode 1
		.amdhsa_fp16_overflow 0
		.amdhsa_exception_fp_ieee_invalid_op 0
		.amdhsa_exception_fp_denorm_src 0
		.amdhsa_exception_fp_ieee_div_zero 0
		.amdhsa_exception_fp_ieee_overflow 0
		.amdhsa_exception_fp_ieee_underflow 0
		.amdhsa_exception_fp_ieee_inexact 0
		.amdhsa_exception_int_div_zero 0
	.end_amdhsa_kernel
	.section	.text._ZL37rocblas_syrkx_herkx_restricted_kernelIl19rocblas_complex_numIdELi16ELi32ELi8ELb0ELb1ELc78ELc85EKS1_S1_EviT_T0_PT8_S3_lS6_S3_lS4_PT9_S3_li,"axG",@progbits,_ZL37rocblas_syrkx_herkx_restricted_kernelIl19rocblas_complex_numIdELi16ELi32ELi8ELb0ELb1ELc78ELc85EKS1_S1_EviT_T0_PT8_S3_lS6_S3_lS4_PT9_S3_li,comdat
.Lfunc_end1346:
	.size	_ZL37rocblas_syrkx_herkx_restricted_kernelIl19rocblas_complex_numIdELi16ELi32ELi8ELb0ELb1ELc78ELc85EKS1_S1_EviT_T0_PT8_S3_lS6_S3_lS4_PT9_S3_li, .Lfunc_end1346-_ZL37rocblas_syrkx_herkx_restricted_kernelIl19rocblas_complex_numIdELi16ELi32ELi8ELb0ELb1ELc78ELc85EKS1_S1_EviT_T0_PT8_S3_lS6_S3_lS4_PT9_S3_li
                                        ; -- End function
	.set _ZL37rocblas_syrkx_herkx_restricted_kernelIl19rocblas_complex_numIdELi16ELi32ELi8ELb0ELb1ELc78ELc85EKS1_S1_EviT_T0_PT8_S3_lS6_S3_lS4_PT9_S3_li.num_vgpr, 54
	.set _ZL37rocblas_syrkx_herkx_restricted_kernelIl19rocblas_complex_numIdELi16ELi32ELi8ELb0ELb1ELc78ELc85EKS1_S1_EviT_T0_PT8_S3_lS6_S3_lS4_PT9_S3_li.num_agpr, 0
	.set _ZL37rocblas_syrkx_herkx_restricted_kernelIl19rocblas_complex_numIdELi16ELi32ELi8ELb0ELb1ELc78ELc85EKS1_S1_EviT_T0_PT8_S3_lS6_S3_lS4_PT9_S3_li.numbered_sgpr, 44
	.set _ZL37rocblas_syrkx_herkx_restricted_kernelIl19rocblas_complex_numIdELi16ELi32ELi8ELb0ELb1ELc78ELc85EKS1_S1_EviT_T0_PT8_S3_lS6_S3_lS4_PT9_S3_li.num_named_barrier, 0
	.set _ZL37rocblas_syrkx_herkx_restricted_kernelIl19rocblas_complex_numIdELi16ELi32ELi8ELb0ELb1ELc78ELc85EKS1_S1_EviT_T0_PT8_S3_lS6_S3_lS4_PT9_S3_li.private_seg_size, 0
	.set _ZL37rocblas_syrkx_herkx_restricted_kernelIl19rocblas_complex_numIdELi16ELi32ELi8ELb0ELb1ELc78ELc85EKS1_S1_EviT_T0_PT8_S3_lS6_S3_lS4_PT9_S3_li.uses_vcc, 1
	.set _ZL37rocblas_syrkx_herkx_restricted_kernelIl19rocblas_complex_numIdELi16ELi32ELi8ELb0ELb1ELc78ELc85EKS1_S1_EviT_T0_PT8_S3_lS6_S3_lS4_PT9_S3_li.uses_flat_scratch, 0
	.set _ZL37rocblas_syrkx_herkx_restricted_kernelIl19rocblas_complex_numIdELi16ELi32ELi8ELb0ELb1ELc78ELc85EKS1_S1_EviT_T0_PT8_S3_lS6_S3_lS4_PT9_S3_li.has_dyn_sized_stack, 0
	.set _ZL37rocblas_syrkx_herkx_restricted_kernelIl19rocblas_complex_numIdELi16ELi32ELi8ELb0ELb1ELc78ELc85EKS1_S1_EviT_T0_PT8_S3_lS6_S3_lS4_PT9_S3_li.has_recursion, 0
	.set _ZL37rocblas_syrkx_herkx_restricted_kernelIl19rocblas_complex_numIdELi16ELi32ELi8ELb0ELb1ELc78ELc85EKS1_S1_EviT_T0_PT8_S3_lS6_S3_lS4_PT9_S3_li.has_indirect_call, 0
	.section	.AMDGPU.csdata,"",@progbits
; Kernel info:
; codeLenInByte = 3296
; TotalNumSgprs: 48
; NumVgprs: 54
; ScratchSize: 0
; MemoryBound: 0
; FloatMode: 240
; IeeeMode: 1
; LDSByteSize: 8192 bytes/workgroup (compile time only)
; SGPRBlocks: 8
; VGPRBlocks: 13
; NumSGPRsForWavesPerEU: 65
; NumVGPRsForWavesPerEU: 54
; Occupancy: 4
; WaveLimiterHint : 0
; COMPUTE_PGM_RSRC2:SCRATCH_EN: 0
; COMPUTE_PGM_RSRC2:USER_SGPR: 6
; COMPUTE_PGM_RSRC2:TRAP_HANDLER: 0
; COMPUTE_PGM_RSRC2:TGID_X_EN: 1
; COMPUTE_PGM_RSRC2:TGID_Y_EN: 1
; COMPUTE_PGM_RSRC2:TGID_Z_EN: 1
; COMPUTE_PGM_RSRC2:TIDIG_COMP_CNT: 1
	.section	.text._ZL41rocblas_syrkx_herkx_small_restrict_kernelIl19rocblas_complex_numIdELi16ELb1ELb1ELc84ELc76EKS1_S1_EviT_T0_PT6_S3_lS6_S3_lS4_PT7_S3_li,"axG",@progbits,_ZL41rocblas_syrkx_herkx_small_restrict_kernelIl19rocblas_complex_numIdELi16ELb1ELb1ELc84ELc76EKS1_S1_EviT_T0_PT6_S3_lS6_S3_lS4_PT7_S3_li,comdat
	.globl	_ZL41rocblas_syrkx_herkx_small_restrict_kernelIl19rocblas_complex_numIdELi16ELb1ELb1ELc84ELc76EKS1_S1_EviT_T0_PT6_S3_lS6_S3_lS4_PT7_S3_li ; -- Begin function _ZL41rocblas_syrkx_herkx_small_restrict_kernelIl19rocblas_complex_numIdELi16ELb1ELb1ELc84ELc76EKS1_S1_EviT_T0_PT6_S3_lS6_S3_lS4_PT7_S3_li
	.p2align	8
	.type	_ZL41rocblas_syrkx_herkx_small_restrict_kernelIl19rocblas_complex_numIdELi16ELb1ELb1ELc84ELc76EKS1_S1_EviT_T0_PT6_S3_lS6_S3_lS4_PT7_S3_li,@function
_ZL41rocblas_syrkx_herkx_small_restrict_kernelIl19rocblas_complex_numIdELi16ELb1ELb1ELc84ELc76EKS1_S1_EviT_T0_PT6_S3_lS6_S3_lS4_PT7_S3_li: ; @_ZL41rocblas_syrkx_herkx_small_restrict_kernelIl19rocblas_complex_numIdELi16ELb1ELb1ELc84ELc76EKS1_S1_EviT_T0_PT6_S3_lS6_S3_lS4_PT7_S3_li
; %bb.0:
	s_load_dwordx16 s[12:27], s[4:5], 0x8
	v_lshl_add_u32 v2, s6, 4, v0
	v_lshl_add_u32 v12, s7, 4, v1
	v_ashrrev_i32_e32 v3, 31, v2
	v_ashrrev_i32_e32 v13, 31, v12
	s_waitcnt lgkmcnt(0)
	v_cmp_lt_i64_e64 s[0:1], s[12:13], 1
	s_and_b64 vcc, exec, s[0:1]
	s_cbranch_vccnz .LBB1347_6
; %bb.1:
	s_load_dwordx2 s[0:1], s[4:5], 0x48
	v_lshlrev_b32_e32 v14, 4, v0
	v_mul_lo_u32 v0, s27, v12
	v_mul_lo_u32 v7, s26, v13
	v_mad_u64_u32 v[4:5], s[2:3], s26, v12, 0
	s_waitcnt lgkmcnt(0)
	s_mul_i32 s1, s1, s8
	s_mul_hi_u32 s2, s0, s8
	v_add3_u32 v5, v5, v7, v0
	v_lshlrev_b64 v[4:5], 4, v[4:5]
	s_add_i32 s1, s2, s1
	s_mul_i32 s0, s0, s8
	v_lshlrev_b32_e32 v6, 8, v1
	s_lshl_b64 s[0:1], s[0:1], 4
	v_add_u32_e32 v15, v14, v6
	v_add_u32_e32 v16, 0x1000, v6
	v_mov_b32_e32 v0, s1
	v_add_co_u32_e32 v4, vcc, s0, v4
	v_mul_lo_u32 v8, s21, v2
	v_mul_lo_u32 v9, s20, v3
	v_mad_u64_u32 v[6:7], s[0:1], s20, v2, 0
	v_addc_co_u32_e32 v0, vcc, v5, v0, vcc
	v_add_co_u32_e32 v4, vcc, v4, v14
	v_addc_co_u32_e32 v0, vcc, 0, v0, vcc
	v_add3_u32 v7, v7, v9, v8
	s_mul_i32 s0, s23, s8
	s_mul_hi_u32 s1, s22, s8
	v_mov_b32_e32 v5, s25
	v_add_co_u32_e32 v4, vcc, s24, v4
	v_lshlrev_b64 v[6:7], 4, v[6:7]
	s_add_i32 s1, s1, s0
	s_mul_i32 s0, s22, s8
	v_addc_co_u32_e32 v5, vcc, v5, v0, vcc
	s_lshl_b64 s[0:1], s[0:1], 4
	v_mov_b32_e32 v0, s1
	v_add_co_u32_e32 v6, vcc, s0, v6
	v_addc_co_u32_e32 v0, vcc, v7, v0, vcc
	v_lshlrev_b32_e32 v1, 4, v1
	v_add_co_u32_e32 v1, vcc, v6, v1
	v_addc_co_u32_e32 v6, vcc, 0, v0, vcc
	v_mov_b32_e32 v7, s19
	v_add_co_u32_e32 v0, vcc, s18, v1
	v_addc_co_u32_e32 v1, vcc, v7, v6, vcc
	v_mov_b32_e32 v10, 0
	v_mov_b32_e32 v8, 0
	;; [unrolled: 1-line block ×3, first 2 shown]
	v_add_u32_e32 v17, v16, v14
	v_mov_b32_e32 v11, 0
	s_mov_b64 s[0:1], 0
	v_mov_b32_e32 v9, 0
	v_mov_b32_e32 v7, s13
.LBB1347_2:                             ; =>This Inner Loop Header: Depth=1
	global_load_dwordx4 v[18:21], v[0:1], off
	s_add_u32 s0, s0, 16
	s_addc_u32 s1, s1, 0
	s_waitcnt vmcnt(0)
	ds_write2_b64 v15, v[18:19], v[20:21] offset1:1
	global_load_dwordx4 v[18:21], v[4:5], off
	v_add_co_u32_e32 v4, vcc, 0x100, v4
	v_addc_co_u32_e32 v5, vcc, 0, v5, vcc
	v_add_co_u32_e32 v0, vcc, 0x100, v0
	v_addc_co_u32_e32 v1, vcc, 0, v1, vcc
	v_cmp_lt_i64_e32 vcc, s[0:1], v[6:7]
	s_and_b64 vcc, exec, vcc
	s_waitcnt vmcnt(0)
	ds_write2_b64 v17, v[18:19], v[20:21] offset1:1
	s_waitcnt lgkmcnt(0)
	s_barrier
	ds_read_b128 v[18:21], v16
	ds_read_b128 v[22:25], v16 offset:16
	ds_read_b128 v[26:29], v16 offset:32
	ds_read_b128 v[30:33], v16 offset:48
	ds_read_b128 v[34:37], v14
	s_waitcnt lgkmcnt(0)
	v_mul_f64 v[38:39], v[20:21], v[36:37]
	v_fma_f64 v[38:39], v[18:19], v[34:35], -v[38:39]
	v_mul_f64 v[18:19], v[18:19], v[36:37]
	v_fma_f64 v[18:19], v[20:21], v[34:35], v[18:19]
	v_add_f64 v[20:21], v[8:9], v[38:39]
	v_add_f64 v[18:19], v[10:11], v[18:19]
	ds_read_b128 v[8:11], v14 offset:256
	s_waitcnt lgkmcnt(0)
	v_mul_f64 v[34:35], v[24:25], v[10:11]
	v_mul_f64 v[10:11], v[22:23], v[10:11]
	v_fma_f64 v[34:35], v[22:23], v[8:9], -v[34:35]
	v_fma_f64 v[8:9], v[24:25], v[8:9], v[10:11]
	v_add_f64 v[20:21], v[20:21], v[34:35]
	v_add_f64 v[18:19], v[18:19], v[8:9]
	ds_read_b128 v[8:11], v14 offset:512
	s_waitcnt lgkmcnt(0)
	v_mul_f64 v[22:23], v[28:29], v[10:11]
	v_mul_f64 v[10:11], v[26:27], v[10:11]
	v_fma_f64 v[22:23], v[26:27], v[8:9], -v[22:23]
	;; [unrolled: 8-line block ×3, first 2 shown]
	v_fma_f64 v[8:9], v[32:33], v[8:9], v[10:11]
	v_add_f64 v[22:23], v[20:21], v[22:23]
	v_add_f64 v[24:25], v[18:19], v[8:9]
	ds_read_b128 v[8:11], v16 offset:64
	ds_read_b128 v[18:21], v14 offset:1024
	s_waitcnt lgkmcnt(0)
	v_mul_f64 v[26:27], v[10:11], v[20:21]
	v_fma_f64 v[26:27], v[8:9], v[18:19], -v[26:27]
	v_mul_f64 v[8:9], v[8:9], v[20:21]
	v_add_f64 v[22:23], v[22:23], v[26:27]
	v_fma_f64 v[8:9], v[10:11], v[18:19], v[8:9]
	v_add_f64 v[24:25], v[24:25], v[8:9]
	ds_read_b128 v[8:11], v16 offset:80
	ds_read_b128 v[18:21], v14 offset:1280
	s_waitcnt lgkmcnt(0)
	v_mul_f64 v[26:27], v[10:11], v[20:21]
	v_fma_f64 v[26:27], v[8:9], v[18:19], -v[26:27]
	v_mul_f64 v[8:9], v[8:9], v[20:21]
	v_add_f64 v[22:23], v[22:23], v[26:27]
	v_fma_f64 v[8:9], v[10:11], v[18:19], v[8:9]
	;; [unrolled: 9-line block ×11, first 2 shown]
	v_add_f64 v[24:25], v[24:25], v[8:9]
	ds_read_b128 v[8:11], v16 offset:240
	ds_read_b128 v[18:21], v14 offset:3840
	s_waitcnt lgkmcnt(0)
	s_barrier
	v_mul_f64 v[26:27], v[10:11], v[20:21]
	v_fma_f64 v[26:27], v[8:9], v[18:19], -v[26:27]
	v_mul_f64 v[8:9], v[8:9], v[20:21]
	v_fma_f64 v[10:11], v[10:11], v[18:19], v[8:9]
	v_add_f64 v[8:9], v[22:23], v[26:27]
	v_add_f64 v[10:11], v[24:25], v[10:11]
	s_cbranch_vccnz .LBB1347_2
; %bb.3:
	v_cmp_le_i32_e32 vcc, v12, v2
	s_and_saveexec_b64 s[0:1], vcc
	s_cbranch_execz .LBB1347_5
.LBB1347_4:
	s_load_dwordx2 s[6:7], s[4:5], 0x70
	s_load_dwordx4 s[0:3], s[4:5], 0x60
	v_mul_f64 v[4:5], s[14:15], v[10:11]
	v_mul_f64 v[0:1], s[16:17], v[10:11]
	s_waitcnt lgkmcnt(0)
	s_mul_i32 s5, s7, s8
	v_mul_lo_u32 v10, s3, v12
	v_mul_lo_u32 v11, s2, v13
	v_mad_u64_u32 v[6:7], s[2:3], s2, v12, 0
	s_mul_hi_u32 s7, s6, s8
	s_mul_i32 s4, s6, s8
	s_add_i32 s5, s7, s5
	s_lshl_b64 s[4:5], s[4:5], 4
	v_add3_u32 v7, v7, v11, v10
	s_add_u32 s0, s0, s4
	v_fma_f64 v[4:5], s[16:17], v[8:9], v[4:5]
	v_lshlrev_b64 v[6:7], 4, v[6:7]
	s_addc_u32 s1, s1, s5
	v_fma_f64 v[0:1], s[14:15], v[8:9], -v[0:1]
	v_mov_b32_e32 v8, s1
	v_add_co_u32_e32 v9, vcc, s0, v6
	v_addc_co_u32_e32 v8, vcc, v8, v7, vcc
	v_lshlrev_b64 v[6:7], 4, v[2:3]
	v_add_co_u32_e32 v6, vcc, v9, v6
	v_addc_co_u32_e32 v7, vcc, v8, v7, vcc
	v_cmp_ne_u32_e32 vcc, v2, v12
	v_cndmask_b32_e32 v3, 0, v5, vcc
	v_cndmask_b32_e32 v2, 0, v4, vcc
	global_store_dwordx4 v[6:7], v[0:3], off
.LBB1347_5:
	s_endpgm
.LBB1347_6:
	v_mov_b32_e32 v10, 0
	v_mov_b32_e32 v8, 0
	;; [unrolled: 1-line block ×4, first 2 shown]
	v_cmp_le_i32_e32 vcc, v12, v2
	s_and_saveexec_b64 s[0:1], vcc
	s_cbranch_execnz .LBB1347_4
	s_branch .LBB1347_5
	.section	.rodata,"a",@progbits
	.p2align	6, 0x0
	.amdhsa_kernel _ZL41rocblas_syrkx_herkx_small_restrict_kernelIl19rocblas_complex_numIdELi16ELb1ELb1ELc84ELc76EKS1_S1_EviT_T0_PT6_S3_lS6_S3_lS4_PT7_S3_li
		.amdhsa_group_segment_fixed_size 8192
		.amdhsa_private_segment_fixed_size 0
		.amdhsa_kernarg_size 124
		.amdhsa_user_sgpr_count 6
		.amdhsa_user_sgpr_private_segment_buffer 1
		.amdhsa_user_sgpr_dispatch_ptr 0
		.amdhsa_user_sgpr_queue_ptr 0
		.amdhsa_user_sgpr_kernarg_segment_ptr 1
		.amdhsa_user_sgpr_dispatch_id 0
		.amdhsa_user_sgpr_flat_scratch_init 0
		.amdhsa_user_sgpr_private_segment_size 0
		.amdhsa_uses_dynamic_stack 0
		.amdhsa_system_sgpr_private_segment_wavefront_offset 0
		.amdhsa_system_sgpr_workgroup_id_x 1
		.amdhsa_system_sgpr_workgroup_id_y 1
		.amdhsa_system_sgpr_workgroup_id_z 1
		.amdhsa_system_sgpr_workgroup_info 0
		.amdhsa_system_vgpr_workitem_id 1
		.amdhsa_next_free_vgpr 40
		.amdhsa_next_free_sgpr 61
		.amdhsa_reserve_vcc 1
		.amdhsa_reserve_flat_scratch 0
		.amdhsa_float_round_mode_32 0
		.amdhsa_float_round_mode_16_64 0
		.amdhsa_float_denorm_mode_32 3
		.amdhsa_float_denorm_mode_16_64 3
		.amdhsa_dx10_clamp 1
		.amdhsa_ieee_mode 1
		.amdhsa_fp16_overflow 0
		.amdhsa_exception_fp_ieee_invalid_op 0
		.amdhsa_exception_fp_denorm_src 0
		.amdhsa_exception_fp_ieee_div_zero 0
		.amdhsa_exception_fp_ieee_overflow 0
		.amdhsa_exception_fp_ieee_underflow 0
		.amdhsa_exception_fp_ieee_inexact 0
		.amdhsa_exception_int_div_zero 0
	.end_amdhsa_kernel
	.section	.text._ZL41rocblas_syrkx_herkx_small_restrict_kernelIl19rocblas_complex_numIdELi16ELb1ELb1ELc84ELc76EKS1_S1_EviT_T0_PT6_S3_lS6_S3_lS4_PT7_S3_li,"axG",@progbits,_ZL41rocblas_syrkx_herkx_small_restrict_kernelIl19rocblas_complex_numIdELi16ELb1ELb1ELc84ELc76EKS1_S1_EviT_T0_PT6_S3_lS6_S3_lS4_PT7_S3_li,comdat
.Lfunc_end1347:
	.size	_ZL41rocblas_syrkx_herkx_small_restrict_kernelIl19rocblas_complex_numIdELi16ELb1ELb1ELc84ELc76EKS1_S1_EviT_T0_PT6_S3_lS6_S3_lS4_PT7_S3_li, .Lfunc_end1347-_ZL41rocblas_syrkx_herkx_small_restrict_kernelIl19rocblas_complex_numIdELi16ELb1ELb1ELc84ELc76EKS1_S1_EviT_T0_PT6_S3_lS6_S3_lS4_PT7_S3_li
                                        ; -- End function
	.set _ZL41rocblas_syrkx_herkx_small_restrict_kernelIl19rocblas_complex_numIdELi16ELb1ELb1ELc84ELc76EKS1_S1_EviT_T0_PT6_S3_lS6_S3_lS4_PT7_S3_li.num_vgpr, 40
	.set _ZL41rocblas_syrkx_herkx_small_restrict_kernelIl19rocblas_complex_numIdELi16ELb1ELb1ELc84ELc76EKS1_S1_EviT_T0_PT6_S3_lS6_S3_lS4_PT7_S3_li.num_agpr, 0
	.set _ZL41rocblas_syrkx_herkx_small_restrict_kernelIl19rocblas_complex_numIdELi16ELb1ELb1ELc84ELc76EKS1_S1_EviT_T0_PT6_S3_lS6_S3_lS4_PT7_S3_li.numbered_sgpr, 28
	.set _ZL41rocblas_syrkx_herkx_small_restrict_kernelIl19rocblas_complex_numIdELi16ELb1ELb1ELc84ELc76EKS1_S1_EviT_T0_PT6_S3_lS6_S3_lS4_PT7_S3_li.num_named_barrier, 0
	.set _ZL41rocblas_syrkx_herkx_small_restrict_kernelIl19rocblas_complex_numIdELi16ELb1ELb1ELc84ELc76EKS1_S1_EviT_T0_PT6_S3_lS6_S3_lS4_PT7_S3_li.private_seg_size, 0
	.set _ZL41rocblas_syrkx_herkx_small_restrict_kernelIl19rocblas_complex_numIdELi16ELb1ELb1ELc84ELc76EKS1_S1_EviT_T0_PT6_S3_lS6_S3_lS4_PT7_S3_li.uses_vcc, 1
	.set _ZL41rocblas_syrkx_herkx_small_restrict_kernelIl19rocblas_complex_numIdELi16ELb1ELb1ELc84ELc76EKS1_S1_EviT_T0_PT6_S3_lS6_S3_lS4_PT7_S3_li.uses_flat_scratch, 0
	.set _ZL41rocblas_syrkx_herkx_small_restrict_kernelIl19rocblas_complex_numIdELi16ELb1ELb1ELc84ELc76EKS1_S1_EviT_T0_PT6_S3_lS6_S3_lS4_PT7_S3_li.has_dyn_sized_stack, 0
	.set _ZL41rocblas_syrkx_herkx_small_restrict_kernelIl19rocblas_complex_numIdELi16ELb1ELb1ELc84ELc76EKS1_S1_EviT_T0_PT6_S3_lS6_S3_lS4_PT7_S3_li.has_recursion, 0
	.set _ZL41rocblas_syrkx_herkx_small_restrict_kernelIl19rocblas_complex_numIdELi16ELb1ELb1ELc84ELc76EKS1_S1_EviT_T0_PT6_S3_lS6_S3_lS4_PT7_S3_li.has_indirect_call, 0
	.section	.AMDGPU.csdata,"",@progbits
; Kernel info:
; codeLenInByte = 1704
; TotalNumSgprs: 32
; NumVgprs: 40
; ScratchSize: 0
; MemoryBound: 0
; FloatMode: 240
; IeeeMode: 1
; LDSByteSize: 8192 bytes/workgroup (compile time only)
; SGPRBlocks: 8
; VGPRBlocks: 9
; NumSGPRsForWavesPerEU: 65
; NumVGPRsForWavesPerEU: 40
; Occupancy: 6
; WaveLimiterHint : 0
; COMPUTE_PGM_RSRC2:SCRATCH_EN: 0
; COMPUTE_PGM_RSRC2:USER_SGPR: 6
; COMPUTE_PGM_RSRC2:TRAP_HANDLER: 0
; COMPUTE_PGM_RSRC2:TGID_X_EN: 1
; COMPUTE_PGM_RSRC2:TGID_Y_EN: 1
; COMPUTE_PGM_RSRC2:TGID_Z_EN: 1
; COMPUTE_PGM_RSRC2:TIDIG_COMP_CNT: 1
	.section	.text._ZL41rocblas_syrkx_herkx_small_restrict_kernelIl19rocblas_complex_numIdELi16ELb1ELb1ELc67ELc76EKS1_S1_EviT_T0_PT6_S3_lS6_S3_lS4_PT7_S3_li,"axG",@progbits,_ZL41rocblas_syrkx_herkx_small_restrict_kernelIl19rocblas_complex_numIdELi16ELb1ELb1ELc67ELc76EKS1_S1_EviT_T0_PT6_S3_lS6_S3_lS4_PT7_S3_li,comdat
	.globl	_ZL41rocblas_syrkx_herkx_small_restrict_kernelIl19rocblas_complex_numIdELi16ELb1ELb1ELc67ELc76EKS1_S1_EviT_T0_PT6_S3_lS6_S3_lS4_PT7_S3_li ; -- Begin function _ZL41rocblas_syrkx_herkx_small_restrict_kernelIl19rocblas_complex_numIdELi16ELb1ELb1ELc67ELc76EKS1_S1_EviT_T0_PT6_S3_lS6_S3_lS4_PT7_S3_li
	.p2align	8
	.type	_ZL41rocblas_syrkx_herkx_small_restrict_kernelIl19rocblas_complex_numIdELi16ELb1ELb1ELc67ELc76EKS1_S1_EviT_T0_PT6_S3_lS6_S3_lS4_PT7_S3_li,@function
_ZL41rocblas_syrkx_herkx_small_restrict_kernelIl19rocblas_complex_numIdELi16ELb1ELb1ELc67ELc76EKS1_S1_EviT_T0_PT6_S3_lS6_S3_lS4_PT7_S3_li: ; @_ZL41rocblas_syrkx_herkx_small_restrict_kernelIl19rocblas_complex_numIdELi16ELb1ELb1ELc67ELc76EKS1_S1_EviT_T0_PT6_S3_lS6_S3_lS4_PT7_S3_li
; %bb.0:
	s_load_dwordx16 s[12:27], s[4:5], 0x8
	v_lshl_add_u32 v2, s6, 4, v0
	v_lshl_add_u32 v12, s7, 4, v1
	v_ashrrev_i32_e32 v3, 31, v2
	v_ashrrev_i32_e32 v13, 31, v12
	s_waitcnt lgkmcnt(0)
	v_cmp_lt_i64_e64 s[0:1], s[12:13], 1
	s_and_b64 vcc, exec, s[0:1]
	s_cbranch_vccnz .LBB1348_6
; %bb.1:
	s_load_dwordx2 s[0:1], s[4:5], 0x48
	v_lshlrev_b32_e32 v14, 4, v0
	v_mul_lo_u32 v0, s27, v12
	v_mul_lo_u32 v7, s26, v13
	v_mad_u64_u32 v[4:5], s[2:3], s26, v12, 0
	s_waitcnt lgkmcnt(0)
	s_mul_i32 s1, s1, s8
	s_mul_hi_u32 s2, s0, s8
	v_add3_u32 v5, v5, v7, v0
	v_lshlrev_b64 v[4:5], 4, v[4:5]
	s_add_i32 s1, s2, s1
	s_mul_i32 s0, s0, s8
	v_lshlrev_b32_e32 v6, 8, v1
	s_lshl_b64 s[0:1], s[0:1], 4
	v_add_u32_e32 v15, v14, v6
	v_add_u32_e32 v16, 0x1000, v6
	v_mov_b32_e32 v0, s1
	v_add_co_u32_e32 v4, vcc, s0, v4
	v_mul_lo_u32 v8, s21, v2
	v_mul_lo_u32 v9, s20, v3
	v_mad_u64_u32 v[6:7], s[0:1], s20, v2, 0
	v_addc_co_u32_e32 v0, vcc, v5, v0, vcc
	v_add_co_u32_e32 v4, vcc, v4, v14
	v_addc_co_u32_e32 v0, vcc, 0, v0, vcc
	v_add3_u32 v7, v7, v9, v8
	s_mul_i32 s0, s23, s8
	s_mul_hi_u32 s1, s22, s8
	v_mov_b32_e32 v5, s25
	v_add_co_u32_e32 v4, vcc, s24, v4
	v_lshlrev_b64 v[6:7], 4, v[6:7]
	s_add_i32 s1, s1, s0
	s_mul_i32 s0, s22, s8
	v_addc_co_u32_e32 v5, vcc, v5, v0, vcc
	s_lshl_b64 s[0:1], s[0:1], 4
	v_mov_b32_e32 v0, s1
	v_add_co_u32_e32 v6, vcc, s0, v6
	v_addc_co_u32_e32 v0, vcc, v7, v0, vcc
	v_lshlrev_b32_e32 v1, 4, v1
	v_add_co_u32_e32 v1, vcc, v6, v1
	v_addc_co_u32_e32 v0, vcc, 0, v0, vcc
	v_mov_b32_e32 v6, s19
	v_add_co_u32_e32 v1, vcc, s18, v1
	v_addc_co_u32_e32 v6, vcc, v6, v0, vcc
	v_add_co_u32_e32 v0, vcc, 8, v1
	v_addc_co_u32_e32 v1, vcc, 0, v6, vcc
	v_mov_b32_e32 v10, 0
	v_mov_b32_e32 v8, 0
	;; [unrolled: 1-line block ×3, first 2 shown]
	v_add_u32_e32 v17, v16, v14
	v_mov_b32_e32 v11, 0
	s_mov_b64 s[0:1], 0
	v_mov_b32_e32 v9, 0
	v_mov_b32_e32 v7, s13
.LBB1348_2:                             ; =>This Inner Loop Header: Depth=1
	global_load_dwordx4 v[18:21], v[0:1], off offset:-8
	s_add_u32 s0, s0, 16
	s_addc_u32 s1, s1, 0
	s_waitcnt vmcnt(0)
	v_xor_b32_e32 v21, 0x80000000, v21
	ds_write_b128 v15, v[18:21]
	global_load_dwordx4 v[18:21], v[4:5], off
	v_add_co_u32_e32 v4, vcc, 0x100, v4
	v_addc_co_u32_e32 v5, vcc, 0, v5, vcc
	v_add_co_u32_e32 v0, vcc, 0x100, v0
	v_addc_co_u32_e32 v1, vcc, 0, v1, vcc
	v_cmp_lt_i64_e32 vcc, s[0:1], v[6:7]
	s_and_b64 vcc, exec, vcc
	s_waitcnt vmcnt(0)
	ds_write2_b64 v17, v[18:19], v[20:21] offset1:1
	s_waitcnt lgkmcnt(0)
	s_barrier
	ds_read_b128 v[18:21], v16
	ds_read_b128 v[22:25], v16 offset:16
	ds_read_b128 v[26:29], v16 offset:32
	;; [unrolled: 1-line block ×3, first 2 shown]
	ds_read_b128 v[34:37], v14
	s_waitcnt lgkmcnt(0)
	v_mul_f64 v[38:39], v[20:21], v[36:37]
	v_fma_f64 v[38:39], v[18:19], v[34:35], -v[38:39]
	v_mul_f64 v[18:19], v[18:19], v[36:37]
	v_fma_f64 v[18:19], v[20:21], v[34:35], v[18:19]
	v_add_f64 v[20:21], v[8:9], v[38:39]
	v_add_f64 v[18:19], v[10:11], v[18:19]
	ds_read_b128 v[8:11], v14 offset:256
	s_waitcnt lgkmcnt(0)
	v_mul_f64 v[34:35], v[24:25], v[10:11]
	v_mul_f64 v[10:11], v[22:23], v[10:11]
	v_fma_f64 v[34:35], v[22:23], v[8:9], -v[34:35]
	v_fma_f64 v[8:9], v[24:25], v[8:9], v[10:11]
	v_add_f64 v[20:21], v[20:21], v[34:35]
	v_add_f64 v[18:19], v[18:19], v[8:9]
	ds_read_b128 v[8:11], v14 offset:512
	s_waitcnt lgkmcnt(0)
	v_mul_f64 v[22:23], v[28:29], v[10:11]
	v_mul_f64 v[10:11], v[26:27], v[10:11]
	v_fma_f64 v[22:23], v[26:27], v[8:9], -v[22:23]
	;; [unrolled: 8-line block ×3, first 2 shown]
	v_fma_f64 v[8:9], v[32:33], v[8:9], v[10:11]
	v_add_f64 v[22:23], v[20:21], v[22:23]
	v_add_f64 v[24:25], v[18:19], v[8:9]
	ds_read_b128 v[8:11], v16 offset:64
	ds_read_b128 v[18:21], v14 offset:1024
	s_waitcnt lgkmcnt(0)
	v_mul_f64 v[26:27], v[10:11], v[20:21]
	v_fma_f64 v[26:27], v[8:9], v[18:19], -v[26:27]
	v_mul_f64 v[8:9], v[8:9], v[20:21]
	v_add_f64 v[22:23], v[22:23], v[26:27]
	v_fma_f64 v[8:9], v[10:11], v[18:19], v[8:9]
	v_add_f64 v[24:25], v[24:25], v[8:9]
	ds_read_b128 v[8:11], v16 offset:80
	ds_read_b128 v[18:21], v14 offset:1280
	s_waitcnt lgkmcnt(0)
	v_mul_f64 v[26:27], v[10:11], v[20:21]
	v_fma_f64 v[26:27], v[8:9], v[18:19], -v[26:27]
	v_mul_f64 v[8:9], v[8:9], v[20:21]
	v_add_f64 v[22:23], v[22:23], v[26:27]
	v_fma_f64 v[8:9], v[10:11], v[18:19], v[8:9]
	;; [unrolled: 9-line block ×11, first 2 shown]
	v_add_f64 v[24:25], v[24:25], v[8:9]
	ds_read_b128 v[8:11], v16 offset:240
	ds_read_b128 v[18:21], v14 offset:3840
	s_waitcnt lgkmcnt(0)
	s_barrier
	v_mul_f64 v[26:27], v[10:11], v[20:21]
	v_fma_f64 v[26:27], v[8:9], v[18:19], -v[26:27]
	v_mul_f64 v[8:9], v[8:9], v[20:21]
	v_fma_f64 v[10:11], v[10:11], v[18:19], v[8:9]
	v_add_f64 v[8:9], v[22:23], v[26:27]
	v_add_f64 v[10:11], v[24:25], v[10:11]
	s_cbranch_vccnz .LBB1348_2
; %bb.3:
	v_cmp_le_i32_e32 vcc, v12, v2
	s_and_saveexec_b64 s[0:1], vcc
	s_cbranch_execz .LBB1348_5
.LBB1348_4:
	s_load_dwordx2 s[6:7], s[4:5], 0x70
	s_load_dwordx4 s[0:3], s[4:5], 0x60
	v_mul_f64 v[4:5], s[14:15], v[10:11]
	v_mul_f64 v[0:1], s[16:17], v[10:11]
	s_waitcnt lgkmcnt(0)
	s_mul_i32 s5, s7, s8
	v_mul_lo_u32 v10, s3, v12
	v_mul_lo_u32 v11, s2, v13
	v_mad_u64_u32 v[6:7], s[2:3], s2, v12, 0
	s_mul_hi_u32 s7, s6, s8
	s_mul_i32 s4, s6, s8
	s_add_i32 s5, s7, s5
	s_lshl_b64 s[4:5], s[4:5], 4
	v_add3_u32 v7, v7, v11, v10
	s_add_u32 s0, s0, s4
	v_fma_f64 v[4:5], s[16:17], v[8:9], v[4:5]
	v_lshlrev_b64 v[6:7], 4, v[6:7]
	s_addc_u32 s1, s1, s5
	v_fma_f64 v[0:1], s[14:15], v[8:9], -v[0:1]
	v_mov_b32_e32 v8, s1
	v_add_co_u32_e32 v9, vcc, s0, v6
	v_addc_co_u32_e32 v8, vcc, v8, v7, vcc
	v_lshlrev_b64 v[6:7], 4, v[2:3]
	v_add_co_u32_e32 v6, vcc, v9, v6
	v_addc_co_u32_e32 v7, vcc, v8, v7, vcc
	v_cmp_ne_u32_e32 vcc, v2, v12
	v_cndmask_b32_e32 v3, 0, v5, vcc
	v_cndmask_b32_e32 v2, 0, v4, vcc
	global_store_dwordx4 v[6:7], v[0:3], off
.LBB1348_5:
	s_endpgm
.LBB1348_6:
	v_mov_b32_e32 v10, 0
	v_mov_b32_e32 v8, 0
	;; [unrolled: 1-line block ×4, first 2 shown]
	v_cmp_le_i32_e32 vcc, v12, v2
	s_and_saveexec_b64 s[0:1], vcc
	s_cbranch_execnz .LBB1348_4
	s_branch .LBB1348_5
	.section	.rodata,"a",@progbits
	.p2align	6, 0x0
	.amdhsa_kernel _ZL41rocblas_syrkx_herkx_small_restrict_kernelIl19rocblas_complex_numIdELi16ELb1ELb1ELc67ELc76EKS1_S1_EviT_T0_PT6_S3_lS6_S3_lS4_PT7_S3_li
		.amdhsa_group_segment_fixed_size 8192
		.amdhsa_private_segment_fixed_size 0
		.amdhsa_kernarg_size 124
		.amdhsa_user_sgpr_count 6
		.amdhsa_user_sgpr_private_segment_buffer 1
		.amdhsa_user_sgpr_dispatch_ptr 0
		.amdhsa_user_sgpr_queue_ptr 0
		.amdhsa_user_sgpr_kernarg_segment_ptr 1
		.amdhsa_user_sgpr_dispatch_id 0
		.amdhsa_user_sgpr_flat_scratch_init 0
		.amdhsa_user_sgpr_private_segment_size 0
		.amdhsa_uses_dynamic_stack 0
		.amdhsa_system_sgpr_private_segment_wavefront_offset 0
		.amdhsa_system_sgpr_workgroup_id_x 1
		.amdhsa_system_sgpr_workgroup_id_y 1
		.amdhsa_system_sgpr_workgroup_id_z 1
		.amdhsa_system_sgpr_workgroup_info 0
		.amdhsa_system_vgpr_workitem_id 1
		.amdhsa_next_free_vgpr 40
		.amdhsa_next_free_sgpr 61
		.amdhsa_reserve_vcc 1
		.amdhsa_reserve_flat_scratch 0
		.amdhsa_float_round_mode_32 0
		.amdhsa_float_round_mode_16_64 0
		.amdhsa_float_denorm_mode_32 3
		.amdhsa_float_denorm_mode_16_64 3
		.amdhsa_dx10_clamp 1
		.amdhsa_ieee_mode 1
		.amdhsa_fp16_overflow 0
		.amdhsa_exception_fp_ieee_invalid_op 0
		.amdhsa_exception_fp_denorm_src 0
		.amdhsa_exception_fp_ieee_div_zero 0
		.amdhsa_exception_fp_ieee_overflow 0
		.amdhsa_exception_fp_ieee_underflow 0
		.amdhsa_exception_fp_ieee_inexact 0
		.amdhsa_exception_int_div_zero 0
	.end_amdhsa_kernel
	.section	.text._ZL41rocblas_syrkx_herkx_small_restrict_kernelIl19rocblas_complex_numIdELi16ELb1ELb1ELc67ELc76EKS1_S1_EviT_T0_PT6_S3_lS6_S3_lS4_PT7_S3_li,"axG",@progbits,_ZL41rocblas_syrkx_herkx_small_restrict_kernelIl19rocblas_complex_numIdELi16ELb1ELb1ELc67ELc76EKS1_S1_EviT_T0_PT6_S3_lS6_S3_lS4_PT7_S3_li,comdat
.Lfunc_end1348:
	.size	_ZL41rocblas_syrkx_herkx_small_restrict_kernelIl19rocblas_complex_numIdELi16ELb1ELb1ELc67ELc76EKS1_S1_EviT_T0_PT6_S3_lS6_S3_lS4_PT7_S3_li, .Lfunc_end1348-_ZL41rocblas_syrkx_herkx_small_restrict_kernelIl19rocblas_complex_numIdELi16ELb1ELb1ELc67ELc76EKS1_S1_EviT_T0_PT6_S3_lS6_S3_lS4_PT7_S3_li
                                        ; -- End function
	.set _ZL41rocblas_syrkx_herkx_small_restrict_kernelIl19rocblas_complex_numIdELi16ELb1ELb1ELc67ELc76EKS1_S1_EviT_T0_PT6_S3_lS6_S3_lS4_PT7_S3_li.num_vgpr, 40
	.set _ZL41rocblas_syrkx_herkx_small_restrict_kernelIl19rocblas_complex_numIdELi16ELb1ELb1ELc67ELc76EKS1_S1_EviT_T0_PT6_S3_lS6_S3_lS4_PT7_S3_li.num_agpr, 0
	.set _ZL41rocblas_syrkx_herkx_small_restrict_kernelIl19rocblas_complex_numIdELi16ELb1ELb1ELc67ELc76EKS1_S1_EviT_T0_PT6_S3_lS6_S3_lS4_PT7_S3_li.numbered_sgpr, 28
	.set _ZL41rocblas_syrkx_herkx_small_restrict_kernelIl19rocblas_complex_numIdELi16ELb1ELb1ELc67ELc76EKS1_S1_EviT_T0_PT6_S3_lS6_S3_lS4_PT7_S3_li.num_named_barrier, 0
	.set _ZL41rocblas_syrkx_herkx_small_restrict_kernelIl19rocblas_complex_numIdELi16ELb1ELb1ELc67ELc76EKS1_S1_EviT_T0_PT6_S3_lS6_S3_lS4_PT7_S3_li.private_seg_size, 0
	.set _ZL41rocblas_syrkx_herkx_small_restrict_kernelIl19rocblas_complex_numIdELi16ELb1ELb1ELc67ELc76EKS1_S1_EviT_T0_PT6_S3_lS6_S3_lS4_PT7_S3_li.uses_vcc, 1
	.set _ZL41rocblas_syrkx_herkx_small_restrict_kernelIl19rocblas_complex_numIdELi16ELb1ELb1ELc67ELc76EKS1_S1_EviT_T0_PT6_S3_lS6_S3_lS4_PT7_S3_li.uses_flat_scratch, 0
	.set _ZL41rocblas_syrkx_herkx_small_restrict_kernelIl19rocblas_complex_numIdELi16ELb1ELb1ELc67ELc76EKS1_S1_EviT_T0_PT6_S3_lS6_S3_lS4_PT7_S3_li.has_dyn_sized_stack, 0
	.set _ZL41rocblas_syrkx_herkx_small_restrict_kernelIl19rocblas_complex_numIdELi16ELb1ELb1ELc67ELc76EKS1_S1_EviT_T0_PT6_S3_lS6_S3_lS4_PT7_S3_li.has_recursion, 0
	.set _ZL41rocblas_syrkx_herkx_small_restrict_kernelIl19rocblas_complex_numIdELi16ELb1ELb1ELc67ELc76EKS1_S1_EviT_T0_PT6_S3_lS6_S3_lS4_PT7_S3_li.has_indirect_call, 0
	.section	.AMDGPU.csdata,"",@progbits
; Kernel info:
; codeLenInByte = 1720
; TotalNumSgprs: 32
; NumVgprs: 40
; ScratchSize: 0
; MemoryBound: 0
; FloatMode: 240
; IeeeMode: 1
; LDSByteSize: 8192 bytes/workgroup (compile time only)
; SGPRBlocks: 8
; VGPRBlocks: 9
; NumSGPRsForWavesPerEU: 65
; NumVGPRsForWavesPerEU: 40
; Occupancy: 6
; WaveLimiterHint : 0
; COMPUTE_PGM_RSRC2:SCRATCH_EN: 0
; COMPUTE_PGM_RSRC2:USER_SGPR: 6
; COMPUTE_PGM_RSRC2:TRAP_HANDLER: 0
; COMPUTE_PGM_RSRC2:TGID_X_EN: 1
; COMPUTE_PGM_RSRC2:TGID_Y_EN: 1
; COMPUTE_PGM_RSRC2:TGID_Z_EN: 1
; COMPUTE_PGM_RSRC2:TIDIG_COMP_CNT: 1
	.section	.text._ZL41rocblas_syrkx_herkx_small_restrict_kernelIl19rocblas_complex_numIdELi16ELb1ELb1ELc78ELc76EKS1_S1_EviT_T0_PT6_S3_lS6_S3_lS4_PT7_S3_li,"axG",@progbits,_ZL41rocblas_syrkx_herkx_small_restrict_kernelIl19rocblas_complex_numIdELi16ELb1ELb1ELc78ELc76EKS1_S1_EviT_T0_PT6_S3_lS6_S3_lS4_PT7_S3_li,comdat
	.globl	_ZL41rocblas_syrkx_herkx_small_restrict_kernelIl19rocblas_complex_numIdELi16ELb1ELb1ELc78ELc76EKS1_S1_EviT_T0_PT6_S3_lS6_S3_lS4_PT7_S3_li ; -- Begin function _ZL41rocblas_syrkx_herkx_small_restrict_kernelIl19rocblas_complex_numIdELi16ELb1ELb1ELc78ELc76EKS1_S1_EviT_T0_PT6_S3_lS6_S3_lS4_PT7_S3_li
	.p2align	8
	.type	_ZL41rocblas_syrkx_herkx_small_restrict_kernelIl19rocblas_complex_numIdELi16ELb1ELb1ELc78ELc76EKS1_S1_EviT_T0_PT6_S3_lS6_S3_lS4_PT7_S3_li,@function
_ZL41rocblas_syrkx_herkx_small_restrict_kernelIl19rocblas_complex_numIdELi16ELb1ELb1ELc78ELc76EKS1_S1_EviT_T0_PT6_S3_lS6_S3_lS4_PT7_S3_li: ; @_ZL41rocblas_syrkx_herkx_small_restrict_kernelIl19rocblas_complex_numIdELi16ELb1ELb1ELc78ELc76EKS1_S1_EviT_T0_PT6_S3_lS6_S3_lS4_PT7_S3_li
; %bb.0:
	s_load_dwordx16 s[12:27], s[4:5], 0x8
	v_lshl_add_u32 v2, s6, 4, v0
	v_lshl_add_u32 v4, s7, 4, v1
	v_ashrrev_i32_e32 v3, 31, v2
	v_ashrrev_i32_e32 v5, 31, v4
	s_waitcnt lgkmcnt(0)
	v_cmp_lt_i64_e64 s[0:1], s[12:13], 1
	s_and_b64 vcc, exec, s[0:1]
	s_cbranch_vccnz .LBB1349_6
; %bb.1:
	v_lshlrev_b32_e32 v6, 8, v1
	v_lshlrev_b32_e32 v14, 4, v0
	v_add_u32_e32 v15, v14, v6
	v_add_u32_e32 v16, 0x1000, v6
	v_mad_u64_u32 v[6:7], s[2:3], s26, v0, 0
	s_load_dwordx2 s[0:1], s[4:5], 0x48
	s_mul_hi_u32 s7, s22, s8
	v_mad_u64_u32 v[7:8], s[2:3], s27, v0, v[7:8]
	v_mov_b32_e32 v10, 0
	s_waitcnt lgkmcnt(0)
	s_mul_i32 s1, s1, s8
	s_mul_hi_u32 s6, s0, s8
	s_add_i32 s1, s6, s1
	s_mul_i32 s0, s0, s8
	v_lshlrev_b64 v[6:7], 4, v[6:7]
	s_lshl_b64 s[0:1], s[0:1], 4
	v_mov_b32_e32 v0, s1
	v_add_co_u32_e32 v8, vcc, s0, v6
	v_addc_co_u32_e32 v0, vcc, v0, v7, vcc
	v_lshlrev_b64 v[6:7], 4, v[4:5]
	s_mul_i32 s6, s23, s8
	v_add_co_u32_e32 v6, vcc, v8, v6
	v_addc_co_u32_e32 v0, vcc, v0, v7, vcc
	v_mad_u64_u32 v[8:9], s[0:1], s20, v1, 0
	v_mov_b32_e32 v7, s25
	v_add_co_u32_e32 v6, vcc, s24, v6
	v_addc_co_u32_e32 v0, vcc, v7, v0, vcc
	v_add_co_u32_e32 v6, vcc, 8, v6
	v_addc_co_u32_e32 v7, vcc, 0, v0, vcc
	v_mov_b32_e32 v0, v9
	v_mad_u64_u32 v[0:1], s[2:3], s21, v1, v[0:1]
	s_add_i32 s3, s7, s6
	s_mul_i32 s2, s22, s8
	v_mov_b32_e32 v9, v0
	v_lshlrev_b64 v[0:1], 4, v[8:9]
	s_lshl_b64 s[2:3], s[2:3], 4
	v_mov_b32_e32 v8, s3
	v_add_co_u32_e32 v9, vcc, s2, v0
	v_addc_co_u32_e32 v8, vcc, v8, v1, vcc
	v_lshlrev_b64 v[0:1], 4, v[2:3]
	s_lshl_b64 s[0:1], s[26:27], 8
	v_add_co_u32_e32 v0, vcc, v9, v0
	v_addc_co_u32_e32 v1, vcc, v8, v1, vcc
	v_mov_b32_e32 v8, s19
	v_add_co_u32_e32 v0, vcc, s18, v0
	v_addc_co_u32_e32 v1, vcc, v8, v1, vcc
	s_lshl_b64 s[2:3], s[20:21], 8
	v_mov_b32_e32 v12, 0
	v_mov_b32_e32 v8, s12
	v_add_u32_e32 v17, v16, v14
	v_mov_b32_e32 v11, 0
	s_mov_b64 s[6:7], 0
	v_mov_b32_e32 v18, s1
	v_mov_b32_e32 v19, s3
	;; [unrolled: 1-line block ×4, first 2 shown]
.LBB1349_2:                             ; =>This Inner Loop Header: Depth=1
	global_load_dwordx4 v[20:23], v[0:1], off
	s_add_u32 s6, s6, 16
	s_addc_u32 s7, s7, 0
	s_waitcnt vmcnt(0)
	ds_write2_b64 v15, v[20:21], v[22:23] offset1:1
	global_load_dwordx4 v[20:23], v[6:7], off offset:-8
	v_add_co_u32_e32 v6, vcc, s0, v6
	v_addc_co_u32_e32 v7, vcc, v7, v18, vcc
	v_add_co_u32_e32 v0, vcc, s2, v0
	v_addc_co_u32_e32 v1, vcc, v1, v19, vcc
	v_cmp_lt_i64_e32 vcc, s[6:7], v[8:9]
	s_and_b64 vcc, exec, vcc
	s_waitcnt vmcnt(0)
	v_xor_b32_e32 v23, 0x80000000, v23
	ds_write_b128 v17, v[20:23]
	s_waitcnt lgkmcnt(0)
	s_barrier
	ds_read_b128 v[20:23], v16
	ds_read_b128 v[24:27], v16 offset:16
	ds_read_b128 v[28:31], v16 offset:32
	;; [unrolled: 1-line block ×3, first 2 shown]
	ds_read_b128 v[36:39], v14
	s_waitcnt lgkmcnt(0)
	v_mul_f64 v[40:41], v[22:23], v[38:39]
	v_fma_f64 v[40:41], v[20:21], v[36:37], -v[40:41]
	v_mul_f64 v[20:21], v[20:21], v[38:39]
	v_fma_f64 v[20:21], v[22:23], v[36:37], v[20:21]
	v_add_f64 v[22:23], v[12:13], v[40:41]
	v_add_f64 v[20:21], v[10:11], v[20:21]
	ds_read_b128 v[10:13], v14 offset:256
	s_waitcnt lgkmcnt(0)
	v_mul_f64 v[36:37], v[26:27], v[12:13]
	v_mul_f64 v[12:13], v[24:25], v[12:13]
	v_fma_f64 v[36:37], v[24:25], v[10:11], -v[36:37]
	v_fma_f64 v[10:11], v[26:27], v[10:11], v[12:13]
	v_add_f64 v[22:23], v[22:23], v[36:37]
	v_add_f64 v[20:21], v[20:21], v[10:11]
	ds_read_b128 v[10:13], v14 offset:512
	s_waitcnt lgkmcnt(0)
	v_mul_f64 v[24:25], v[30:31], v[12:13]
	v_mul_f64 v[12:13], v[28:29], v[12:13]
	v_fma_f64 v[24:25], v[28:29], v[10:11], -v[24:25]
	;; [unrolled: 8-line block ×3, first 2 shown]
	v_fma_f64 v[10:11], v[34:35], v[10:11], v[12:13]
	v_add_f64 v[24:25], v[22:23], v[24:25]
	v_add_f64 v[26:27], v[20:21], v[10:11]
	ds_read_b128 v[10:13], v16 offset:64
	ds_read_b128 v[20:23], v14 offset:1024
	s_waitcnt lgkmcnt(0)
	v_mul_f64 v[28:29], v[12:13], v[22:23]
	v_fma_f64 v[28:29], v[10:11], v[20:21], -v[28:29]
	v_mul_f64 v[10:11], v[10:11], v[22:23]
	v_add_f64 v[24:25], v[24:25], v[28:29]
	v_fma_f64 v[10:11], v[12:13], v[20:21], v[10:11]
	v_add_f64 v[26:27], v[26:27], v[10:11]
	ds_read_b128 v[10:13], v16 offset:80
	ds_read_b128 v[20:23], v14 offset:1280
	s_waitcnt lgkmcnt(0)
	v_mul_f64 v[28:29], v[12:13], v[22:23]
	v_fma_f64 v[28:29], v[10:11], v[20:21], -v[28:29]
	v_mul_f64 v[10:11], v[10:11], v[22:23]
	v_add_f64 v[24:25], v[24:25], v[28:29]
	v_fma_f64 v[10:11], v[12:13], v[20:21], v[10:11]
	;; [unrolled: 9-line block ×11, first 2 shown]
	v_add_f64 v[26:27], v[26:27], v[10:11]
	ds_read_b128 v[10:13], v16 offset:240
	ds_read_b128 v[20:23], v14 offset:3840
	s_waitcnt lgkmcnt(0)
	s_barrier
	v_mul_f64 v[28:29], v[12:13], v[22:23]
	v_fma_f64 v[28:29], v[10:11], v[20:21], -v[28:29]
	v_mul_f64 v[10:11], v[10:11], v[22:23]
	v_fma_f64 v[10:11], v[12:13], v[20:21], v[10:11]
	v_add_f64 v[12:13], v[24:25], v[28:29]
	v_add_f64 v[10:11], v[26:27], v[10:11]
	s_cbranch_vccnz .LBB1349_2
; %bb.3:
	v_cmp_le_i32_e32 vcc, v4, v2
	s_and_saveexec_b64 s[0:1], vcc
	s_cbranch_execz .LBB1349_5
.LBB1349_4:
	s_load_dwordx2 s[6:7], s[4:5], 0x70
	s_load_dwordx4 s[0:3], s[4:5], 0x60
	v_mul_f64 v[6:7], s[14:15], v[10:11]
	v_mul_f64 v[0:1], s[16:17], v[10:11]
	s_waitcnt lgkmcnt(0)
	s_mul_i32 s5, s7, s8
	v_mul_lo_u32 v10, s3, v4
	v_mul_lo_u32 v11, s2, v5
	v_mad_u64_u32 v[8:9], s[2:3], s2, v4, 0
	s_mul_hi_u32 s7, s6, s8
	s_mul_i32 s4, s6, s8
	s_add_i32 s5, s7, s5
	s_lshl_b64 s[4:5], s[4:5], 4
	v_add3_u32 v9, v9, v11, v10
	s_add_u32 s0, s0, s4
	v_fma_f64 v[5:6], s[16:17], v[12:13], v[6:7]
	v_lshlrev_b64 v[7:8], 4, v[8:9]
	s_addc_u32 s1, s1, s5
	v_fma_f64 v[0:1], s[14:15], v[12:13], -v[0:1]
	v_mov_b32_e32 v9, s1
	v_add_co_u32_e32 v10, vcc, s0, v7
	v_addc_co_u32_e32 v9, vcc, v9, v8, vcc
	v_lshlrev_b64 v[7:8], 4, v[2:3]
	v_add_co_u32_e32 v7, vcc, v10, v7
	v_addc_co_u32_e32 v8, vcc, v9, v8, vcc
	v_cmp_ne_u32_e32 vcc, v2, v4
	v_cndmask_b32_e32 v3, 0, v6, vcc
	v_cndmask_b32_e32 v2, 0, v5, vcc
	global_store_dwordx4 v[7:8], v[0:3], off
.LBB1349_5:
	s_endpgm
.LBB1349_6:
	v_mov_b32_e32 v10, 0
	v_mov_b32_e32 v12, 0
	;; [unrolled: 1-line block ×4, first 2 shown]
	v_cmp_le_i32_e32 vcc, v4, v2
	s_and_saveexec_b64 s[0:1], vcc
	s_cbranch_execnz .LBB1349_4
	s_branch .LBB1349_5
	.section	.rodata,"a",@progbits
	.p2align	6, 0x0
	.amdhsa_kernel _ZL41rocblas_syrkx_herkx_small_restrict_kernelIl19rocblas_complex_numIdELi16ELb1ELb1ELc78ELc76EKS1_S1_EviT_T0_PT6_S3_lS6_S3_lS4_PT7_S3_li
		.amdhsa_group_segment_fixed_size 8192
		.amdhsa_private_segment_fixed_size 0
		.amdhsa_kernarg_size 124
		.amdhsa_user_sgpr_count 6
		.amdhsa_user_sgpr_private_segment_buffer 1
		.amdhsa_user_sgpr_dispatch_ptr 0
		.amdhsa_user_sgpr_queue_ptr 0
		.amdhsa_user_sgpr_kernarg_segment_ptr 1
		.amdhsa_user_sgpr_dispatch_id 0
		.amdhsa_user_sgpr_flat_scratch_init 0
		.amdhsa_user_sgpr_private_segment_size 0
		.amdhsa_uses_dynamic_stack 0
		.amdhsa_system_sgpr_private_segment_wavefront_offset 0
		.amdhsa_system_sgpr_workgroup_id_x 1
		.amdhsa_system_sgpr_workgroup_id_y 1
		.amdhsa_system_sgpr_workgroup_id_z 1
		.amdhsa_system_sgpr_workgroup_info 0
		.amdhsa_system_vgpr_workitem_id 1
		.amdhsa_next_free_vgpr 42
		.amdhsa_next_free_sgpr 61
		.amdhsa_reserve_vcc 1
		.amdhsa_reserve_flat_scratch 0
		.amdhsa_float_round_mode_32 0
		.amdhsa_float_round_mode_16_64 0
		.amdhsa_float_denorm_mode_32 3
		.amdhsa_float_denorm_mode_16_64 3
		.amdhsa_dx10_clamp 1
		.amdhsa_ieee_mode 1
		.amdhsa_fp16_overflow 0
		.amdhsa_exception_fp_ieee_invalid_op 0
		.amdhsa_exception_fp_denorm_src 0
		.amdhsa_exception_fp_ieee_div_zero 0
		.amdhsa_exception_fp_ieee_overflow 0
		.amdhsa_exception_fp_ieee_underflow 0
		.amdhsa_exception_fp_ieee_inexact 0
		.amdhsa_exception_int_div_zero 0
	.end_amdhsa_kernel
	.section	.text._ZL41rocblas_syrkx_herkx_small_restrict_kernelIl19rocblas_complex_numIdELi16ELb1ELb1ELc78ELc76EKS1_S1_EviT_T0_PT6_S3_lS6_S3_lS4_PT7_S3_li,"axG",@progbits,_ZL41rocblas_syrkx_herkx_small_restrict_kernelIl19rocblas_complex_numIdELi16ELb1ELb1ELc78ELc76EKS1_S1_EviT_T0_PT6_S3_lS6_S3_lS4_PT7_S3_li,comdat
.Lfunc_end1349:
	.size	_ZL41rocblas_syrkx_herkx_small_restrict_kernelIl19rocblas_complex_numIdELi16ELb1ELb1ELc78ELc76EKS1_S1_EviT_T0_PT6_S3_lS6_S3_lS4_PT7_S3_li, .Lfunc_end1349-_ZL41rocblas_syrkx_herkx_small_restrict_kernelIl19rocblas_complex_numIdELi16ELb1ELb1ELc78ELc76EKS1_S1_EviT_T0_PT6_S3_lS6_S3_lS4_PT7_S3_li
                                        ; -- End function
	.set _ZL41rocblas_syrkx_herkx_small_restrict_kernelIl19rocblas_complex_numIdELi16ELb1ELb1ELc78ELc76EKS1_S1_EviT_T0_PT6_S3_lS6_S3_lS4_PT7_S3_li.num_vgpr, 42
	.set _ZL41rocblas_syrkx_herkx_small_restrict_kernelIl19rocblas_complex_numIdELi16ELb1ELb1ELc78ELc76EKS1_S1_EviT_T0_PT6_S3_lS6_S3_lS4_PT7_S3_li.num_agpr, 0
	.set _ZL41rocblas_syrkx_herkx_small_restrict_kernelIl19rocblas_complex_numIdELi16ELb1ELb1ELc78ELc76EKS1_S1_EviT_T0_PT6_S3_lS6_S3_lS4_PT7_S3_li.numbered_sgpr, 28
	.set _ZL41rocblas_syrkx_herkx_small_restrict_kernelIl19rocblas_complex_numIdELi16ELb1ELb1ELc78ELc76EKS1_S1_EviT_T0_PT6_S3_lS6_S3_lS4_PT7_S3_li.num_named_barrier, 0
	.set _ZL41rocblas_syrkx_herkx_small_restrict_kernelIl19rocblas_complex_numIdELi16ELb1ELb1ELc78ELc76EKS1_S1_EviT_T0_PT6_S3_lS6_S3_lS4_PT7_S3_li.private_seg_size, 0
	.set _ZL41rocblas_syrkx_herkx_small_restrict_kernelIl19rocblas_complex_numIdELi16ELb1ELb1ELc78ELc76EKS1_S1_EviT_T0_PT6_S3_lS6_S3_lS4_PT7_S3_li.uses_vcc, 1
	.set _ZL41rocblas_syrkx_herkx_small_restrict_kernelIl19rocblas_complex_numIdELi16ELb1ELb1ELc78ELc76EKS1_S1_EviT_T0_PT6_S3_lS6_S3_lS4_PT7_S3_li.uses_flat_scratch, 0
	.set _ZL41rocblas_syrkx_herkx_small_restrict_kernelIl19rocblas_complex_numIdELi16ELb1ELb1ELc78ELc76EKS1_S1_EviT_T0_PT6_S3_lS6_S3_lS4_PT7_S3_li.has_dyn_sized_stack, 0
	.set _ZL41rocblas_syrkx_herkx_small_restrict_kernelIl19rocblas_complex_numIdELi16ELb1ELb1ELc78ELc76EKS1_S1_EviT_T0_PT6_S3_lS6_S3_lS4_PT7_S3_li.has_recursion, 0
	.set _ZL41rocblas_syrkx_herkx_small_restrict_kernelIl19rocblas_complex_numIdELi16ELb1ELb1ELc78ELc76EKS1_S1_EviT_T0_PT6_S3_lS6_S3_lS4_PT7_S3_li.has_indirect_call, 0
	.section	.AMDGPU.csdata,"",@progbits
; Kernel info:
; codeLenInByte = 1716
; TotalNumSgprs: 32
; NumVgprs: 42
; ScratchSize: 0
; MemoryBound: 0
; FloatMode: 240
; IeeeMode: 1
; LDSByteSize: 8192 bytes/workgroup (compile time only)
; SGPRBlocks: 8
; VGPRBlocks: 10
; NumSGPRsForWavesPerEU: 65
; NumVGPRsForWavesPerEU: 42
; Occupancy: 5
; WaveLimiterHint : 0
; COMPUTE_PGM_RSRC2:SCRATCH_EN: 0
; COMPUTE_PGM_RSRC2:USER_SGPR: 6
; COMPUTE_PGM_RSRC2:TRAP_HANDLER: 0
; COMPUTE_PGM_RSRC2:TGID_X_EN: 1
; COMPUTE_PGM_RSRC2:TGID_Y_EN: 1
; COMPUTE_PGM_RSRC2:TGID_Z_EN: 1
; COMPUTE_PGM_RSRC2:TIDIG_COMP_CNT: 1
	.section	.text._ZL41rocblas_syrkx_herkx_small_restrict_kernelIl19rocblas_complex_numIdELi16ELb1ELb1ELc84ELc85EKS1_S1_EviT_T0_PT6_S3_lS6_S3_lS4_PT7_S3_li,"axG",@progbits,_ZL41rocblas_syrkx_herkx_small_restrict_kernelIl19rocblas_complex_numIdELi16ELb1ELb1ELc84ELc85EKS1_S1_EviT_T0_PT6_S3_lS6_S3_lS4_PT7_S3_li,comdat
	.globl	_ZL41rocblas_syrkx_herkx_small_restrict_kernelIl19rocblas_complex_numIdELi16ELb1ELb1ELc84ELc85EKS1_S1_EviT_T0_PT6_S3_lS6_S3_lS4_PT7_S3_li ; -- Begin function _ZL41rocblas_syrkx_herkx_small_restrict_kernelIl19rocblas_complex_numIdELi16ELb1ELb1ELc84ELc85EKS1_S1_EviT_T0_PT6_S3_lS6_S3_lS4_PT7_S3_li
	.p2align	8
	.type	_ZL41rocblas_syrkx_herkx_small_restrict_kernelIl19rocblas_complex_numIdELi16ELb1ELb1ELc84ELc85EKS1_S1_EviT_T0_PT6_S3_lS6_S3_lS4_PT7_S3_li,@function
_ZL41rocblas_syrkx_herkx_small_restrict_kernelIl19rocblas_complex_numIdELi16ELb1ELb1ELc84ELc85EKS1_S1_EviT_T0_PT6_S3_lS6_S3_lS4_PT7_S3_li: ; @_ZL41rocblas_syrkx_herkx_small_restrict_kernelIl19rocblas_complex_numIdELi16ELb1ELb1ELc84ELc85EKS1_S1_EviT_T0_PT6_S3_lS6_S3_lS4_PT7_S3_li
; %bb.0:
	s_load_dwordx16 s[12:27], s[4:5], 0x8
	v_lshl_add_u32 v2, s6, 4, v0
	v_lshl_add_u32 v12, s7, 4, v1
	v_ashrrev_i32_e32 v3, 31, v2
	v_ashrrev_i32_e32 v13, 31, v12
	s_waitcnt lgkmcnt(0)
	v_cmp_lt_i64_e64 s[0:1], s[12:13], 1
	s_and_b64 vcc, exec, s[0:1]
	s_cbranch_vccnz .LBB1350_6
; %bb.1:
	s_load_dwordx2 s[0:1], s[4:5], 0x48
	v_lshlrev_b32_e32 v14, 4, v0
	v_mul_lo_u32 v0, s27, v12
	v_mul_lo_u32 v7, s26, v13
	v_mad_u64_u32 v[4:5], s[2:3], s26, v12, 0
	s_waitcnt lgkmcnt(0)
	s_mul_i32 s1, s1, s8
	s_mul_hi_u32 s2, s0, s8
	v_add3_u32 v5, v5, v7, v0
	v_lshlrev_b64 v[4:5], 4, v[4:5]
	s_add_i32 s1, s2, s1
	s_mul_i32 s0, s0, s8
	v_lshlrev_b32_e32 v6, 8, v1
	s_lshl_b64 s[0:1], s[0:1], 4
	v_add_u32_e32 v15, v14, v6
	v_add_u32_e32 v16, 0x1000, v6
	v_mov_b32_e32 v0, s1
	v_add_co_u32_e32 v4, vcc, s0, v4
	v_mul_lo_u32 v8, s21, v2
	v_mul_lo_u32 v9, s20, v3
	v_mad_u64_u32 v[6:7], s[0:1], s20, v2, 0
	v_addc_co_u32_e32 v0, vcc, v5, v0, vcc
	v_add_co_u32_e32 v4, vcc, v4, v14
	v_addc_co_u32_e32 v0, vcc, 0, v0, vcc
	v_add3_u32 v7, v7, v9, v8
	s_mul_i32 s0, s23, s8
	s_mul_hi_u32 s1, s22, s8
	v_mov_b32_e32 v5, s25
	v_add_co_u32_e32 v4, vcc, s24, v4
	v_lshlrev_b64 v[6:7], 4, v[6:7]
	s_add_i32 s1, s1, s0
	s_mul_i32 s0, s22, s8
	v_addc_co_u32_e32 v5, vcc, v5, v0, vcc
	s_lshl_b64 s[0:1], s[0:1], 4
	v_mov_b32_e32 v0, s1
	v_add_co_u32_e32 v6, vcc, s0, v6
	v_addc_co_u32_e32 v0, vcc, v7, v0, vcc
	v_lshlrev_b32_e32 v1, 4, v1
	v_add_co_u32_e32 v1, vcc, v6, v1
	v_addc_co_u32_e32 v6, vcc, 0, v0, vcc
	v_mov_b32_e32 v7, s19
	v_add_co_u32_e32 v0, vcc, s18, v1
	v_addc_co_u32_e32 v1, vcc, v7, v6, vcc
	v_mov_b32_e32 v10, 0
	v_mov_b32_e32 v8, 0
	;; [unrolled: 1-line block ×3, first 2 shown]
	v_add_u32_e32 v17, v16, v14
	v_mov_b32_e32 v11, 0
	s_mov_b64 s[0:1], 0
	v_mov_b32_e32 v9, 0
	v_mov_b32_e32 v7, s13
.LBB1350_2:                             ; =>This Inner Loop Header: Depth=1
	global_load_dwordx4 v[18:21], v[0:1], off
	s_add_u32 s0, s0, 16
	s_addc_u32 s1, s1, 0
	s_waitcnt vmcnt(0)
	ds_write2_b64 v15, v[18:19], v[20:21] offset1:1
	global_load_dwordx4 v[18:21], v[4:5], off
	v_add_co_u32_e32 v4, vcc, 0x100, v4
	v_addc_co_u32_e32 v5, vcc, 0, v5, vcc
	v_add_co_u32_e32 v0, vcc, 0x100, v0
	v_addc_co_u32_e32 v1, vcc, 0, v1, vcc
	v_cmp_lt_i64_e32 vcc, s[0:1], v[6:7]
	s_and_b64 vcc, exec, vcc
	s_waitcnt vmcnt(0)
	ds_write2_b64 v17, v[18:19], v[20:21] offset1:1
	s_waitcnt lgkmcnt(0)
	s_barrier
	ds_read_b128 v[18:21], v16
	ds_read_b128 v[22:25], v16 offset:16
	ds_read_b128 v[26:29], v16 offset:32
	;; [unrolled: 1-line block ×3, first 2 shown]
	ds_read_b128 v[34:37], v14
	s_waitcnt lgkmcnt(0)
	v_mul_f64 v[38:39], v[20:21], v[36:37]
	v_fma_f64 v[38:39], v[18:19], v[34:35], -v[38:39]
	v_mul_f64 v[18:19], v[18:19], v[36:37]
	v_fma_f64 v[18:19], v[20:21], v[34:35], v[18:19]
	v_add_f64 v[20:21], v[8:9], v[38:39]
	v_add_f64 v[18:19], v[10:11], v[18:19]
	ds_read_b128 v[8:11], v14 offset:256
	s_waitcnt lgkmcnt(0)
	v_mul_f64 v[34:35], v[24:25], v[10:11]
	v_mul_f64 v[10:11], v[22:23], v[10:11]
	v_fma_f64 v[34:35], v[22:23], v[8:9], -v[34:35]
	v_fma_f64 v[8:9], v[24:25], v[8:9], v[10:11]
	v_add_f64 v[20:21], v[20:21], v[34:35]
	v_add_f64 v[18:19], v[18:19], v[8:9]
	ds_read_b128 v[8:11], v14 offset:512
	s_waitcnt lgkmcnt(0)
	v_mul_f64 v[22:23], v[28:29], v[10:11]
	v_mul_f64 v[10:11], v[26:27], v[10:11]
	v_fma_f64 v[22:23], v[26:27], v[8:9], -v[22:23]
	;; [unrolled: 8-line block ×3, first 2 shown]
	v_fma_f64 v[8:9], v[32:33], v[8:9], v[10:11]
	v_add_f64 v[22:23], v[20:21], v[22:23]
	v_add_f64 v[24:25], v[18:19], v[8:9]
	ds_read_b128 v[8:11], v16 offset:64
	ds_read_b128 v[18:21], v14 offset:1024
	s_waitcnt lgkmcnt(0)
	v_mul_f64 v[26:27], v[10:11], v[20:21]
	v_fma_f64 v[26:27], v[8:9], v[18:19], -v[26:27]
	v_mul_f64 v[8:9], v[8:9], v[20:21]
	v_add_f64 v[22:23], v[22:23], v[26:27]
	v_fma_f64 v[8:9], v[10:11], v[18:19], v[8:9]
	v_add_f64 v[24:25], v[24:25], v[8:9]
	ds_read_b128 v[8:11], v16 offset:80
	ds_read_b128 v[18:21], v14 offset:1280
	s_waitcnt lgkmcnt(0)
	v_mul_f64 v[26:27], v[10:11], v[20:21]
	v_fma_f64 v[26:27], v[8:9], v[18:19], -v[26:27]
	v_mul_f64 v[8:9], v[8:9], v[20:21]
	v_add_f64 v[22:23], v[22:23], v[26:27]
	v_fma_f64 v[8:9], v[10:11], v[18:19], v[8:9]
	;; [unrolled: 9-line block ×11, first 2 shown]
	v_add_f64 v[24:25], v[24:25], v[8:9]
	ds_read_b128 v[8:11], v16 offset:240
	ds_read_b128 v[18:21], v14 offset:3840
	s_waitcnt lgkmcnt(0)
	s_barrier
	v_mul_f64 v[26:27], v[10:11], v[20:21]
	v_fma_f64 v[26:27], v[8:9], v[18:19], -v[26:27]
	v_mul_f64 v[8:9], v[8:9], v[20:21]
	v_fma_f64 v[10:11], v[10:11], v[18:19], v[8:9]
	v_add_f64 v[8:9], v[22:23], v[26:27]
	v_add_f64 v[10:11], v[24:25], v[10:11]
	s_cbranch_vccnz .LBB1350_2
; %bb.3:
	v_cmp_le_i32_e32 vcc, v2, v12
	s_and_saveexec_b64 s[0:1], vcc
	s_cbranch_execz .LBB1350_5
.LBB1350_4:
	s_load_dwordx2 s[6:7], s[4:5], 0x70
	s_load_dwordx4 s[0:3], s[4:5], 0x60
	v_mul_f64 v[4:5], s[14:15], v[10:11]
	v_mul_f64 v[0:1], s[16:17], v[10:11]
	s_waitcnt lgkmcnt(0)
	s_mul_i32 s5, s7, s8
	v_mul_lo_u32 v10, s3, v12
	v_mul_lo_u32 v11, s2, v13
	v_mad_u64_u32 v[6:7], s[2:3], s2, v12, 0
	s_mul_hi_u32 s7, s6, s8
	s_mul_i32 s4, s6, s8
	s_add_i32 s5, s7, s5
	s_lshl_b64 s[4:5], s[4:5], 4
	v_add3_u32 v7, v7, v11, v10
	s_add_u32 s0, s0, s4
	v_fma_f64 v[4:5], s[16:17], v[8:9], v[4:5]
	v_lshlrev_b64 v[6:7], 4, v[6:7]
	s_addc_u32 s1, s1, s5
	v_fma_f64 v[0:1], s[14:15], v[8:9], -v[0:1]
	v_mov_b32_e32 v8, s1
	v_add_co_u32_e32 v9, vcc, s0, v6
	v_addc_co_u32_e32 v8, vcc, v8, v7, vcc
	v_lshlrev_b64 v[6:7], 4, v[2:3]
	v_add_co_u32_e32 v6, vcc, v9, v6
	v_addc_co_u32_e32 v7, vcc, v8, v7, vcc
	v_cmp_ne_u32_e32 vcc, v2, v12
	v_cndmask_b32_e32 v3, 0, v5, vcc
	v_cndmask_b32_e32 v2, 0, v4, vcc
	global_store_dwordx4 v[6:7], v[0:3], off
.LBB1350_5:
	s_endpgm
.LBB1350_6:
	v_mov_b32_e32 v10, 0
	v_mov_b32_e32 v8, 0
	;; [unrolled: 1-line block ×4, first 2 shown]
	v_cmp_le_i32_e32 vcc, v2, v12
	s_and_saveexec_b64 s[0:1], vcc
	s_cbranch_execnz .LBB1350_4
	s_branch .LBB1350_5
	.section	.rodata,"a",@progbits
	.p2align	6, 0x0
	.amdhsa_kernel _ZL41rocblas_syrkx_herkx_small_restrict_kernelIl19rocblas_complex_numIdELi16ELb1ELb1ELc84ELc85EKS1_S1_EviT_T0_PT6_S3_lS6_S3_lS4_PT7_S3_li
		.amdhsa_group_segment_fixed_size 8192
		.amdhsa_private_segment_fixed_size 0
		.amdhsa_kernarg_size 124
		.amdhsa_user_sgpr_count 6
		.amdhsa_user_sgpr_private_segment_buffer 1
		.amdhsa_user_sgpr_dispatch_ptr 0
		.amdhsa_user_sgpr_queue_ptr 0
		.amdhsa_user_sgpr_kernarg_segment_ptr 1
		.amdhsa_user_sgpr_dispatch_id 0
		.amdhsa_user_sgpr_flat_scratch_init 0
		.amdhsa_user_sgpr_private_segment_size 0
		.amdhsa_uses_dynamic_stack 0
		.amdhsa_system_sgpr_private_segment_wavefront_offset 0
		.amdhsa_system_sgpr_workgroup_id_x 1
		.amdhsa_system_sgpr_workgroup_id_y 1
		.amdhsa_system_sgpr_workgroup_id_z 1
		.amdhsa_system_sgpr_workgroup_info 0
		.amdhsa_system_vgpr_workitem_id 1
		.amdhsa_next_free_vgpr 40
		.amdhsa_next_free_sgpr 61
		.amdhsa_reserve_vcc 1
		.amdhsa_reserve_flat_scratch 0
		.amdhsa_float_round_mode_32 0
		.amdhsa_float_round_mode_16_64 0
		.amdhsa_float_denorm_mode_32 3
		.amdhsa_float_denorm_mode_16_64 3
		.amdhsa_dx10_clamp 1
		.amdhsa_ieee_mode 1
		.amdhsa_fp16_overflow 0
		.amdhsa_exception_fp_ieee_invalid_op 0
		.amdhsa_exception_fp_denorm_src 0
		.amdhsa_exception_fp_ieee_div_zero 0
		.amdhsa_exception_fp_ieee_overflow 0
		.amdhsa_exception_fp_ieee_underflow 0
		.amdhsa_exception_fp_ieee_inexact 0
		.amdhsa_exception_int_div_zero 0
	.end_amdhsa_kernel
	.section	.text._ZL41rocblas_syrkx_herkx_small_restrict_kernelIl19rocblas_complex_numIdELi16ELb1ELb1ELc84ELc85EKS1_S1_EviT_T0_PT6_S3_lS6_S3_lS4_PT7_S3_li,"axG",@progbits,_ZL41rocblas_syrkx_herkx_small_restrict_kernelIl19rocblas_complex_numIdELi16ELb1ELb1ELc84ELc85EKS1_S1_EviT_T0_PT6_S3_lS6_S3_lS4_PT7_S3_li,comdat
.Lfunc_end1350:
	.size	_ZL41rocblas_syrkx_herkx_small_restrict_kernelIl19rocblas_complex_numIdELi16ELb1ELb1ELc84ELc85EKS1_S1_EviT_T0_PT6_S3_lS6_S3_lS4_PT7_S3_li, .Lfunc_end1350-_ZL41rocblas_syrkx_herkx_small_restrict_kernelIl19rocblas_complex_numIdELi16ELb1ELb1ELc84ELc85EKS1_S1_EviT_T0_PT6_S3_lS6_S3_lS4_PT7_S3_li
                                        ; -- End function
	.set _ZL41rocblas_syrkx_herkx_small_restrict_kernelIl19rocblas_complex_numIdELi16ELb1ELb1ELc84ELc85EKS1_S1_EviT_T0_PT6_S3_lS6_S3_lS4_PT7_S3_li.num_vgpr, 40
	.set _ZL41rocblas_syrkx_herkx_small_restrict_kernelIl19rocblas_complex_numIdELi16ELb1ELb1ELc84ELc85EKS1_S1_EviT_T0_PT6_S3_lS6_S3_lS4_PT7_S3_li.num_agpr, 0
	.set _ZL41rocblas_syrkx_herkx_small_restrict_kernelIl19rocblas_complex_numIdELi16ELb1ELb1ELc84ELc85EKS1_S1_EviT_T0_PT6_S3_lS6_S3_lS4_PT7_S3_li.numbered_sgpr, 28
	.set _ZL41rocblas_syrkx_herkx_small_restrict_kernelIl19rocblas_complex_numIdELi16ELb1ELb1ELc84ELc85EKS1_S1_EviT_T0_PT6_S3_lS6_S3_lS4_PT7_S3_li.num_named_barrier, 0
	.set _ZL41rocblas_syrkx_herkx_small_restrict_kernelIl19rocblas_complex_numIdELi16ELb1ELb1ELc84ELc85EKS1_S1_EviT_T0_PT6_S3_lS6_S3_lS4_PT7_S3_li.private_seg_size, 0
	.set _ZL41rocblas_syrkx_herkx_small_restrict_kernelIl19rocblas_complex_numIdELi16ELb1ELb1ELc84ELc85EKS1_S1_EviT_T0_PT6_S3_lS6_S3_lS4_PT7_S3_li.uses_vcc, 1
	.set _ZL41rocblas_syrkx_herkx_small_restrict_kernelIl19rocblas_complex_numIdELi16ELb1ELb1ELc84ELc85EKS1_S1_EviT_T0_PT6_S3_lS6_S3_lS4_PT7_S3_li.uses_flat_scratch, 0
	.set _ZL41rocblas_syrkx_herkx_small_restrict_kernelIl19rocblas_complex_numIdELi16ELb1ELb1ELc84ELc85EKS1_S1_EviT_T0_PT6_S3_lS6_S3_lS4_PT7_S3_li.has_dyn_sized_stack, 0
	.set _ZL41rocblas_syrkx_herkx_small_restrict_kernelIl19rocblas_complex_numIdELi16ELb1ELb1ELc84ELc85EKS1_S1_EviT_T0_PT6_S3_lS6_S3_lS4_PT7_S3_li.has_recursion, 0
	.set _ZL41rocblas_syrkx_herkx_small_restrict_kernelIl19rocblas_complex_numIdELi16ELb1ELb1ELc84ELc85EKS1_S1_EviT_T0_PT6_S3_lS6_S3_lS4_PT7_S3_li.has_indirect_call, 0
	.section	.AMDGPU.csdata,"",@progbits
; Kernel info:
; codeLenInByte = 1704
; TotalNumSgprs: 32
; NumVgprs: 40
; ScratchSize: 0
; MemoryBound: 0
; FloatMode: 240
; IeeeMode: 1
; LDSByteSize: 8192 bytes/workgroup (compile time only)
; SGPRBlocks: 8
; VGPRBlocks: 9
; NumSGPRsForWavesPerEU: 65
; NumVGPRsForWavesPerEU: 40
; Occupancy: 6
; WaveLimiterHint : 0
; COMPUTE_PGM_RSRC2:SCRATCH_EN: 0
; COMPUTE_PGM_RSRC2:USER_SGPR: 6
; COMPUTE_PGM_RSRC2:TRAP_HANDLER: 0
; COMPUTE_PGM_RSRC2:TGID_X_EN: 1
; COMPUTE_PGM_RSRC2:TGID_Y_EN: 1
; COMPUTE_PGM_RSRC2:TGID_Z_EN: 1
; COMPUTE_PGM_RSRC2:TIDIG_COMP_CNT: 1
	.section	.text._ZL41rocblas_syrkx_herkx_small_restrict_kernelIl19rocblas_complex_numIdELi16ELb1ELb1ELc67ELc85EKS1_S1_EviT_T0_PT6_S3_lS6_S3_lS4_PT7_S3_li,"axG",@progbits,_ZL41rocblas_syrkx_herkx_small_restrict_kernelIl19rocblas_complex_numIdELi16ELb1ELb1ELc67ELc85EKS1_S1_EviT_T0_PT6_S3_lS6_S3_lS4_PT7_S3_li,comdat
	.globl	_ZL41rocblas_syrkx_herkx_small_restrict_kernelIl19rocblas_complex_numIdELi16ELb1ELb1ELc67ELc85EKS1_S1_EviT_T0_PT6_S3_lS6_S3_lS4_PT7_S3_li ; -- Begin function _ZL41rocblas_syrkx_herkx_small_restrict_kernelIl19rocblas_complex_numIdELi16ELb1ELb1ELc67ELc85EKS1_S1_EviT_T0_PT6_S3_lS6_S3_lS4_PT7_S3_li
	.p2align	8
	.type	_ZL41rocblas_syrkx_herkx_small_restrict_kernelIl19rocblas_complex_numIdELi16ELb1ELb1ELc67ELc85EKS1_S1_EviT_T0_PT6_S3_lS6_S3_lS4_PT7_S3_li,@function
_ZL41rocblas_syrkx_herkx_small_restrict_kernelIl19rocblas_complex_numIdELi16ELb1ELb1ELc67ELc85EKS1_S1_EviT_T0_PT6_S3_lS6_S3_lS4_PT7_S3_li: ; @_ZL41rocblas_syrkx_herkx_small_restrict_kernelIl19rocblas_complex_numIdELi16ELb1ELb1ELc67ELc85EKS1_S1_EviT_T0_PT6_S3_lS6_S3_lS4_PT7_S3_li
; %bb.0:
	s_load_dwordx16 s[12:27], s[4:5], 0x8
	v_lshl_add_u32 v2, s6, 4, v0
	v_lshl_add_u32 v12, s7, 4, v1
	v_ashrrev_i32_e32 v3, 31, v2
	v_ashrrev_i32_e32 v13, 31, v12
	s_waitcnt lgkmcnt(0)
	v_cmp_lt_i64_e64 s[0:1], s[12:13], 1
	s_and_b64 vcc, exec, s[0:1]
	s_cbranch_vccnz .LBB1351_6
; %bb.1:
	s_load_dwordx2 s[0:1], s[4:5], 0x48
	v_lshlrev_b32_e32 v14, 4, v0
	v_mul_lo_u32 v0, s27, v12
	v_mul_lo_u32 v7, s26, v13
	v_mad_u64_u32 v[4:5], s[2:3], s26, v12, 0
	s_waitcnt lgkmcnt(0)
	s_mul_i32 s1, s1, s8
	s_mul_hi_u32 s2, s0, s8
	v_add3_u32 v5, v5, v7, v0
	v_lshlrev_b64 v[4:5], 4, v[4:5]
	s_add_i32 s1, s2, s1
	s_mul_i32 s0, s0, s8
	v_lshlrev_b32_e32 v6, 8, v1
	s_lshl_b64 s[0:1], s[0:1], 4
	v_add_u32_e32 v15, v14, v6
	v_add_u32_e32 v16, 0x1000, v6
	v_mov_b32_e32 v0, s1
	v_add_co_u32_e32 v4, vcc, s0, v4
	v_mul_lo_u32 v8, s21, v2
	v_mul_lo_u32 v9, s20, v3
	v_mad_u64_u32 v[6:7], s[0:1], s20, v2, 0
	v_addc_co_u32_e32 v0, vcc, v5, v0, vcc
	v_add_co_u32_e32 v4, vcc, v4, v14
	v_addc_co_u32_e32 v0, vcc, 0, v0, vcc
	v_add3_u32 v7, v7, v9, v8
	s_mul_i32 s0, s23, s8
	s_mul_hi_u32 s1, s22, s8
	v_mov_b32_e32 v5, s25
	v_add_co_u32_e32 v4, vcc, s24, v4
	v_lshlrev_b64 v[6:7], 4, v[6:7]
	s_add_i32 s1, s1, s0
	s_mul_i32 s0, s22, s8
	v_addc_co_u32_e32 v5, vcc, v5, v0, vcc
	s_lshl_b64 s[0:1], s[0:1], 4
	v_mov_b32_e32 v0, s1
	v_add_co_u32_e32 v6, vcc, s0, v6
	v_addc_co_u32_e32 v0, vcc, v7, v0, vcc
	v_lshlrev_b32_e32 v1, 4, v1
	v_add_co_u32_e32 v1, vcc, v6, v1
	v_addc_co_u32_e32 v0, vcc, 0, v0, vcc
	v_mov_b32_e32 v6, s19
	v_add_co_u32_e32 v1, vcc, s18, v1
	v_addc_co_u32_e32 v6, vcc, v6, v0, vcc
	v_add_co_u32_e32 v0, vcc, 8, v1
	v_addc_co_u32_e32 v1, vcc, 0, v6, vcc
	v_mov_b32_e32 v10, 0
	v_mov_b32_e32 v8, 0
	;; [unrolled: 1-line block ×3, first 2 shown]
	v_add_u32_e32 v17, v16, v14
	v_mov_b32_e32 v11, 0
	s_mov_b64 s[0:1], 0
	v_mov_b32_e32 v9, 0
	v_mov_b32_e32 v7, s13
.LBB1351_2:                             ; =>This Inner Loop Header: Depth=1
	global_load_dwordx4 v[18:21], v[0:1], off offset:-8
	s_add_u32 s0, s0, 16
	s_addc_u32 s1, s1, 0
	s_waitcnt vmcnt(0)
	v_xor_b32_e32 v21, 0x80000000, v21
	ds_write_b128 v15, v[18:21]
	global_load_dwordx4 v[18:21], v[4:5], off
	v_add_co_u32_e32 v4, vcc, 0x100, v4
	v_addc_co_u32_e32 v5, vcc, 0, v5, vcc
	v_add_co_u32_e32 v0, vcc, 0x100, v0
	v_addc_co_u32_e32 v1, vcc, 0, v1, vcc
	v_cmp_lt_i64_e32 vcc, s[0:1], v[6:7]
	s_and_b64 vcc, exec, vcc
	s_waitcnt vmcnt(0)
	ds_write2_b64 v17, v[18:19], v[20:21] offset1:1
	s_waitcnt lgkmcnt(0)
	s_barrier
	ds_read_b128 v[18:21], v16
	ds_read_b128 v[22:25], v16 offset:16
	ds_read_b128 v[26:29], v16 offset:32
	;; [unrolled: 1-line block ×3, first 2 shown]
	ds_read_b128 v[34:37], v14
	s_waitcnt lgkmcnt(0)
	v_mul_f64 v[38:39], v[20:21], v[36:37]
	v_fma_f64 v[38:39], v[18:19], v[34:35], -v[38:39]
	v_mul_f64 v[18:19], v[18:19], v[36:37]
	v_fma_f64 v[18:19], v[20:21], v[34:35], v[18:19]
	v_add_f64 v[20:21], v[8:9], v[38:39]
	v_add_f64 v[18:19], v[10:11], v[18:19]
	ds_read_b128 v[8:11], v14 offset:256
	s_waitcnt lgkmcnt(0)
	v_mul_f64 v[34:35], v[24:25], v[10:11]
	v_mul_f64 v[10:11], v[22:23], v[10:11]
	v_fma_f64 v[34:35], v[22:23], v[8:9], -v[34:35]
	v_fma_f64 v[8:9], v[24:25], v[8:9], v[10:11]
	v_add_f64 v[20:21], v[20:21], v[34:35]
	v_add_f64 v[18:19], v[18:19], v[8:9]
	ds_read_b128 v[8:11], v14 offset:512
	s_waitcnt lgkmcnt(0)
	v_mul_f64 v[22:23], v[28:29], v[10:11]
	v_mul_f64 v[10:11], v[26:27], v[10:11]
	v_fma_f64 v[22:23], v[26:27], v[8:9], -v[22:23]
	;; [unrolled: 8-line block ×3, first 2 shown]
	v_fma_f64 v[8:9], v[32:33], v[8:9], v[10:11]
	v_add_f64 v[22:23], v[20:21], v[22:23]
	v_add_f64 v[24:25], v[18:19], v[8:9]
	ds_read_b128 v[8:11], v16 offset:64
	ds_read_b128 v[18:21], v14 offset:1024
	s_waitcnt lgkmcnt(0)
	v_mul_f64 v[26:27], v[10:11], v[20:21]
	v_fma_f64 v[26:27], v[8:9], v[18:19], -v[26:27]
	v_mul_f64 v[8:9], v[8:9], v[20:21]
	v_add_f64 v[22:23], v[22:23], v[26:27]
	v_fma_f64 v[8:9], v[10:11], v[18:19], v[8:9]
	v_add_f64 v[24:25], v[24:25], v[8:9]
	ds_read_b128 v[8:11], v16 offset:80
	ds_read_b128 v[18:21], v14 offset:1280
	s_waitcnt lgkmcnt(0)
	v_mul_f64 v[26:27], v[10:11], v[20:21]
	v_fma_f64 v[26:27], v[8:9], v[18:19], -v[26:27]
	v_mul_f64 v[8:9], v[8:9], v[20:21]
	v_add_f64 v[22:23], v[22:23], v[26:27]
	v_fma_f64 v[8:9], v[10:11], v[18:19], v[8:9]
	;; [unrolled: 9-line block ×11, first 2 shown]
	v_add_f64 v[24:25], v[24:25], v[8:9]
	ds_read_b128 v[8:11], v16 offset:240
	ds_read_b128 v[18:21], v14 offset:3840
	s_waitcnt lgkmcnt(0)
	s_barrier
	v_mul_f64 v[26:27], v[10:11], v[20:21]
	v_fma_f64 v[26:27], v[8:9], v[18:19], -v[26:27]
	v_mul_f64 v[8:9], v[8:9], v[20:21]
	v_fma_f64 v[10:11], v[10:11], v[18:19], v[8:9]
	v_add_f64 v[8:9], v[22:23], v[26:27]
	v_add_f64 v[10:11], v[24:25], v[10:11]
	s_cbranch_vccnz .LBB1351_2
; %bb.3:
	v_cmp_le_i32_e32 vcc, v2, v12
	s_and_saveexec_b64 s[0:1], vcc
	s_cbranch_execz .LBB1351_5
.LBB1351_4:
	s_load_dwordx2 s[6:7], s[4:5], 0x70
	s_load_dwordx4 s[0:3], s[4:5], 0x60
	v_mul_f64 v[4:5], s[14:15], v[10:11]
	v_mul_f64 v[0:1], s[16:17], v[10:11]
	s_waitcnt lgkmcnt(0)
	s_mul_i32 s5, s7, s8
	v_mul_lo_u32 v10, s3, v12
	v_mul_lo_u32 v11, s2, v13
	v_mad_u64_u32 v[6:7], s[2:3], s2, v12, 0
	s_mul_hi_u32 s7, s6, s8
	s_mul_i32 s4, s6, s8
	s_add_i32 s5, s7, s5
	s_lshl_b64 s[4:5], s[4:5], 4
	v_add3_u32 v7, v7, v11, v10
	s_add_u32 s0, s0, s4
	v_fma_f64 v[4:5], s[16:17], v[8:9], v[4:5]
	v_lshlrev_b64 v[6:7], 4, v[6:7]
	s_addc_u32 s1, s1, s5
	v_fma_f64 v[0:1], s[14:15], v[8:9], -v[0:1]
	v_mov_b32_e32 v8, s1
	v_add_co_u32_e32 v9, vcc, s0, v6
	v_addc_co_u32_e32 v8, vcc, v8, v7, vcc
	v_lshlrev_b64 v[6:7], 4, v[2:3]
	v_add_co_u32_e32 v6, vcc, v9, v6
	v_addc_co_u32_e32 v7, vcc, v8, v7, vcc
	v_cmp_ne_u32_e32 vcc, v2, v12
	v_cndmask_b32_e32 v3, 0, v5, vcc
	v_cndmask_b32_e32 v2, 0, v4, vcc
	global_store_dwordx4 v[6:7], v[0:3], off
.LBB1351_5:
	s_endpgm
.LBB1351_6:
	v_mov_b32_e32 v10, 0
	v_mov_b32_e32 v8, 0
	;; [unrolled: 1-line block ×4, first 2 shown]
	v_cmp_le_i32_e32 vcc, v2, v12
	s_and_saveexec_b64 s[0:1], vcc
	s_cbranch_execnz .LBB1351_4
	s_branch .LBB1351_5
	.section	.rodata,"a",@progbits
	.p2align	6, 0x0
	.amdhsa_kernel _ZL41rocblas_syrkx_herkx_small_restrict_kernelIl19rocblas_complex_numIdELi16ELb1ELb1ELc67ELc85EKS1_S1_EviT_T0_PT6_S3_lS6_S3_lS4_PT7_S3_li
		.amdhsa_group_segment_fixed_size 8192
		.amdhsa_private_segment_fixed_size 0
		.amdhsa_kernarg_size 124
		.amdhsa_user_sgpr_count 6
		.amdhsa_user_sgpr_private_segment_buffer 1
		.amdhsa_user_sgpr_dispatch_ptr 0
		.amdhsa_user_sgpr_queue_ptr 0
		.amdhsa_user_sgpr_kernarg_segment_ptr 1
		.amdhsa_user_sgpr_dispatch_id 0
		.amdhsa_user_sgpr_flat_scratch_init 0
		.amdhsa_user_sgpr_private_segment_size 0
		.amdhsa_uses_dynamic_stack 0
		.amdhsa_system_sgpr_private_segment_wavefront_offset 0
		.amdhsa_system_sgpr_workgroup_id_x 1
		.amdhsa_system_sgpr_workgroup_id_y 1
		.amdhsa_system_sgpr_workgroup_id_z 1
		.amdhsa_system_sgpr_workgroup_info 0
		.amdhsa_system_vgpr_workitem_id 1
		.amdhsa_next_free_vgpr 40
		.amdhsa_next_free_sgpr 61
		.amdhsa_reserve_vcc 1
		.amdhsa_reserve_flat_scratch 0
		.amdhsa_float_round_mode_32 0
		.amdhsa_float_round_mode_16_64 0
		.amdhsa_float_denorm_mode_32 3
		.amdhsa_float_denorm_mode_16_64 3
		.amdhsa_dx10_clamp 1
		.amdhsa_ieee_mode 1
		.amdhsa_fp16_overflow 0
		.amdhsa_exception_fp_ieee_invalid_op 0
		.amdhsa_exception_fp_denorm_src 0
		.amdhsa_exception_fp_ieee_div_zero 0
		.amdhsa_exception_fp_ieee_overflow 0
		.amdhsa_exception_fp_ieee_underflow 0
		.amdhsa_exception_fp_ieee_inexact 0
		.amdhsa_exception_int_div_zero 0
	.end_amdhsa_kernel
	.section	.text._ZL41rocblas_syrkx_herkx_small_restrict_kernelIl19rocblas_complex_numIdELi16ELb1ELb1ELc67ELc85EKS1_S1_EviT_T0_PT6_S3_lS6_S3_lS4_PT7_S3_li,"axG",@progbits,_ZL41rocblas_syrkx_herkx_small_restrict_kernelIl19rocblas_complex_numIdELi16ELb1ELb1ELc67ELc85EKS1_S1_EviT_T0_PT6_S3_lS6_S3_lS4_PT7_S3_li,comdat
.Lfunc_end1351:
	.size	_ZL41rocblas_syrkx_herkx_small_restrict_kernelIl19rocblas_complex_numIdELi16ELb1ELb1ELc67ELc85EKS1_S1_EviT_T0_PT6_S3_lS6_S3_lS4_PT7_S3_li, .Lfunc_end1351-_ZL41rocblas_syrkx_herkx_small_restrict_kernelIl19rocblas_complex_numIdELi16ELb1ELb1ELc67ELc85EKS1_S1_EviT_T0_PT6_S3_lS6_S3_lS4_PT7_S3_li
                                        ; -- End function
	.set _ZL41rocblas_syrkx_herkx_small_restrict_kernelIl19rocblas_complex_numIdELi16ELb1ELb1ELc67ELc85EKS1_S1_EviT_T0_PT6_S3_lS6_S3_lS4_PT7_S3_li.num_vgpr, 40
	.set _ZL41rocblas_syrkx_herkx_small_restrict_kernelIl19rocblas_complex_numIdELi16ELb1ELb1ELc67ELc85EKS1_S1_EviT_T0_PT6_S3_lS6_S3_lS4_PT7_S3_li.num_agpr, 0
	.set _ZL41rocblas_syrkx_herkx_small_restrict_kernelIl19rocblas_complex_numIdELi16ELb1ELb1ELc67ELc85EKS1_S1_EviT_T0_PT6_S3_lS6_S3_lS4_PT7_S3_li.numbered_sgpr, 28
	.set _ZL41rocblas_syrkx_herkx_small_restrict_kernelIl19rocblas_complex_numIdELi16ELb1ELb1ELc67ELc85EKS1_S1_EviT_T0_PT6_S3_lS6_S3_lS4_PT7_S3_li.num_named_barrier, 0
	.set _ZL41rocblas_syrkx_herkx_small_restrict_kernelIl19rocblas_complex_numIdELi16ELb1ELb1ELc67ELc85EKS1_S1_EviT_T0_PT6_S3_lS6_S3_lS4_PT7_S3_li.private_seg_size, 0
	.set _ZL41rocblas_syrkx_herkx_small_restrict_kernelIl19rocblas_complex_numIdELi16ELb1ELb1ELc67ELc85EKS1_S1_EviT_T0_PT6_S3_lS6_S3_lS4_PT7_S3_li.uses_vcc, 1
	.set _ZL41rocblas_syrkx_herkx_small_restrict_kernelIl19rocblas_complex_numIdELi16ELb1ELb1ELc67ELc85EKS1_S1_EviT_T0_PT6_S3_lS6_S3_lS4_PT7_S3_li.uses_flat_scratch, 0
	.set _ZL41rocblas_syrkx_herkx_small_restrict_kernelIl19rocblas_complex_numIdELi16ELb1ELb1ELc67ELc85EKS1_S1_EviT_T0_PT6_S3_lS6_S3_lS4_PT7_S3_li.has_dyn_sized_stack, 0
	.set _ZL41rocblas_syrkx_herkx_small_restrict_kernelIl19rocblas_complex_numIdELi16ELb1ELb1ELc67ELc85EKS1_S1_EviT_T0_PT6_S3_lS6_S3_lS4_PT7_S3_li.has_recursion, 0
	.set _ZL41rocblas_syrkx_herkx_small_restrict_kernelIl19rocblas_complex_numIdELi16ELb1ELb1ELc67ELc85EKS1_S1_EviT_T0_PT6_S3_lS6_S3_lS4_PT7_S3_li.has_indirect_call, 0
	.section	.AMDGPU.csdata,"",@progbits
; Kernel info:
; codeLenInByte = 1720
; TotalNumSgprs: 32
; NumVgprs: 40
; ScratchSize: 0
; MemoryBound: 0
; FloatMode: 240
; IeeeMode: 1
; LDSByteSize: 8192 bytes/workgroup (compile time only)
; SGPRBlocks: 8
; VGPRBlocks: 9
; NumSGPRsForWavesPerEU: 65
; NumVGPRsForWavesPerEU: 40
; Occupancy: 6
; WaveLimiterHint : 0
; COMPUTE_PGM_RSRC2:SCRATCH_EN: 0
; COMPUTE_PGM_RSRC2:USER_SGPR: 6
; COMPUTE_PGM_RSRC2:TRAP_HANDLER: 0
; COMPUTE_PGM_RSRC2:TGID_X_EN: 1
; COMPUTE_PGM_RSRC2:TGID_Y_EN: 1
; COMPUTE_PGM_RSRC2:TGID_Z_EN: 1
; COMPUTE_PGM_RSRC2:TIDIG_COMP_CNT: 1
	.section	.text._ZL41rocblas_syrkx_herkx_small_restrict_kernelIl19rocblas_complex_numIdELi16ELb1ELb1ELc78ELc85EKS1_S1_EviT_T0_PT6_S3_lS6_S3_lS4_PT7_S3_li,"axG",@progbits,_ZL41rocblas_syrkx_herkx_small_restrict_kernelIl19rocblas_complex_numIdELi16ELb1ELb1ELc78ELc85EKS1_S1_EviT_T0_PT6_S3_lS6_S3_lS4_PT7_S3_li,comdat
	.globl	_ZL41rocblas_syrkx_herkx_small_restrict_kernelIl19rocblas_complex_numIdELi16ELb1ELb1ELc78ELc85EKS1_S1_EviT_T0_PT6_S3_lS6_S3_lS4_PT7_S3_li ; -- Begin function _ZL41rocblas_syrkx_herkx_small_restrict_kernelIl19rocblas_complex_numIdELi16ELb1ELb1ELc78ELc85EKS1_S1_EviT_T0_PT6_S3_lS6_S3_lS4_PT7_S3_li
	.p2align	8
	.type	_ZL41rocblas_syrkx_herkx_small_restrict_kernelIl19rocblas_complex_numIdELi16ELb1ELb1ELc78ELc85EKS1_S1_EviT_T0_PT6_S3_lS6_S3_lS4_PT7_S3_li,@function
_ZL41rocblas_syrkx_herkx_small_restrict_kernelIl19rocblas_complex_numIdELi16ELb1ELb1ELc78ELc85EKS1_S1_EviT_T0_PT6_S3_lS6_S3_lS4_PT7_S3_li: ; @_ZL41rocblas_syrkx_herkx_small_restrict_kernelIl19rocblas_complex_numIdELi16ELb1ELb1ELc78ELc85EKS1_S1_EviT_T0_PT6_S3_lS6_S3_lS4_PT7_S3_li
; %bb.0:
	s_load_dwordx16 s[12:27], s[4:5], 0x8
	v_lshl_add_u32 v2, s6, 4, v0
	v_lshl_add_u32 v4, s7, 4, v1
	v_ashrrev_i32_e32 v3, 31, v2
	v_ashrrev_i32_e32 v5, 31, v4
	s_waitcnt lgkmcnt(0)
	v_cmp_lt_i64_e64 s[0:1], s[12:13], 1
	s_and_b64 vcc, exec, s[0:1]
	s_cbranch_vccnz .LBB1352_6
; %bb.1:
	v_lshlrev_b32_e32 v6, 8, v1
	v_lshlrev_b32_e32 v14, 4, v0
	v_add_u32_e32 v15, v14, v6
	v_add_u32_e32 v16, 0x1000, v6
	v_mad_u64_u32 v[6:7], s[2:3], s26, v0, 0
	s_load_dwordx2 s[0:1], s[4:5], 0x48
	s_mul_hi_u32 s7, s22, s8
	v_mad_u64_u32 v[7:8], s[2:3], s27, v0, v[7:8]
	v_mov_b32_e32 v10, 0
	s_waitcnt lgkmcnt(0)
	s_mul_i32 s1, s1, s8
	s_mul_hi_u32 s6, s0, s8
	s_add_i32 s1, s6, s1
	s_mul_i32 s0, s0, s8
	v_lshlrev_b64 v[6:7], 4, v[6:7]
	s_lshl_b64 s[0:1], s[0:1], 4
	v_mov_b32_e32 v0, s1
	v_add_co_u32_e32 v8, vcc, s0, v6
	v_addc_co_u32_e32 v0, vcc, v0, v7, vcc
	v_lshlrev_b64 v[6:7], 4, v[4:5]
	s_mul_i32 s6, s23, s8
	v_add_co_u32_e32 v6, vcc, v8, v6
	v_addc_co_u32_e32 v0, vcc, v0, v7, vcc
	v_mad_u64_u32 v[8:9], s[0:1], s20, v1, 0
	v_mov_b32_e32 v7, s25
	v_add_co_u32_e32 v6, vcc, s24, v6
	v_addc_co_u32_e32 v0, vcc, v7, v0, vcc
	v_add_co_u32_e32 v6, vcc, 8, v6
	v_addc_co_u32_e32 v7, vcc, 0, v0, vcc
	v_mov_b32_e32 v0, v9
	v_mad_u64_u32 v[0:1], s[2:3], s21, v1, v[0:1]
	s_add_i32 s3, s7, s6
	s_mul_i32 s2, s22, s8
	v_mov_b32_e32 v9, v0
	v_lshlrev_b64 v[0:1], 4, v[8:9]
	s_lshl_b64 s[2:3], s[2:3], 4
	v_mov_b32_e32 v8, s3
	v_add_co_u32_e32 v9, vcc, s2, v0
	v_addc_co_u32_e32 v8, vcc, v8, v1, vcc
	v_lshlrev_b64 v[0:1], 4, v[2:3]
	s_lshl_b64 s[0:1], s[26:27], 8
	v_add_co_u32_e32 v0, vcc, v9, v0
	v_addc_co_u32_e32 v1, vcc, v8, v1, vcc
	v_mov_b32_e32 v8, s19
	v_add_co_u32_e32 v0, vcc, s18, v0
	v_addc_co_u32_e32 v1, vcc, v8, v1, vcc
	s_lshl_b64 s[2:3], s[20:21], 8
	v_mov_b32_e32 v12, 0
	v_mov_b32_e32 v8, s12
	v_add_u32_e32 v17, v16, v14
	v_mov_b32_e32 v11, 0
	s_mov_b64 s[6:7], 0
	v_mov_b32_e32 v18, s1
	v_mov_b32_e32 v19, s3
	;; [unrolled: 1-line block ×4, first 2 shown]
.LBB1352_2:                             ; =>This Inner Loop Header: Depth=1
	global_load_dwordx4 v[20:23], v[0:1], off
	s_add_u32 s6, s6, 16
	s_addc_u32 s7, s7, 0
	s_waitcnt vmcnt(0)
	ds_write2_b64 v15, v[20:21], v[22:23] offset1:1
	global_load_dwordx4 v[20:23], v[6:7], off offset:-8
	v_add_co_u32_e32 v6, vcc, s0, v6
	v_addc_co_u32_e32 v7, vcc, v7, v18, vcc
	v_add_co_u32_e32 v0, vcc, s2, v0
	v_addc_co_u32_e32 v1, vcc, v1, v19, vcc
	v_cmp_lt_i64_e32 vcc, s[6:7], v[8:9]
	s_and_b64 vcc, exec, vcc
	s_waitcnt vmcnt(0)
	v_xor_b32_e32 v23, 0x80000000, v23
	ds_write_b128 v17, v[20:23]
	s_waitcnt lgkmcnt(0)
	s_barrier
	ds_read_b128 v[20:23], v16
	ds_read_b128 v[24:27], v16 offset:16
	ds_read_b128 v[28:31], v16 offset:32
	;; [unrolled: 1-line block ×3, first 2 shown]
	ds_read_b128 v[36:39], v14
	s_waitcnt lgkmcnt(0)
	v_mul_f64 v[40:41], v[22:23], v[38:39]
	v_fma_f64 v[40:41], v[20:21], v[36:37], -v[40:41]
	v_mul_f64 v[20:21], v[20:21], v[38:39]
	v_fma_f64 v[20:21], v[22:23], v[36:37], v[20:21]
	v_add_f64 v[22:23], v[12:13], v[40:41]
	v_add_f64 v[20:21], v[10:11], v[20:21]
	ds_read_b128 v[10:13], v14 offset:256
	s_waitcnt lgkmcnt(0)
	v_mul_f64 v[36:37], v[26:27], v[12:13]
	v_mul_f64 v[12:13], v[24:25], v[12:13]
	v_fma_f64 v[36:37], v[24:25], v[10:11], -v[36:37]
	v_fma_f64 v[10:11], v[26:27], v[10:11], v[12:13]
	v_add_f64 v[22:23], v[22:23], v[36:37]
	v_add_f64 v[20:21], v[20:21], v[10:11]
	ds_read_b128 v[10:13], v14 offset:512
	s_waitcnt lgkmcnt(0)
	v_mul_f64 v[24:25], v[30:31], v[12:13]
	v_mul_f64 v[12:13], v[28:29], v[12:13]
	v_fma_f64 v[24:25], v[28:29], v[10:11], -v[24:25]
	v_fma_f64 v[10:11], v[30:31], v[10:11], v[12:13]
	v_add_f64 v[22:23], v[22:23], v[24:25]
	v_add_f64 v[20:21], v[20:21], v[10:11]
	ds_read_b128 v[10:13], v14 offset:768
	s_waitcnt lgkmcnt(0)
	v_mul_f64 v[24:25], v[34:35], v[12:13]
	v_mul_f64 v[12:13], v[32:33], v[12:13]
	v_fma_f64 v[24:25], v[32:33], v[10:11], -v[24:25]
	v_fma_f64 v[10:11], v[34:35], v[10:11], v[12:13]
	v_add_f64 v[24:25], v[22:23], v[24:25]
	v_add_f64 v[26:27], v[20:21], v[10:11]
	ds_read_b128 v[10:13], v16 offset:64
	ds_read_b128 v[20:23], v14 offset:1024
	s_waitcnt lgkmcnt(0)
	v_mul_f64 v[28:29], v[12:13], v[22:23]
	v_fma_f64 v[28:29], v[10:11], v[20:21], -v[28:29]
	v_mul_f64 v[10:11], v[10:11], v[22:23]
	v_add_f64 v[24:25], v[24:25], v[28:29]
	v_fma_f64 v[10:11], v[12:13], v[20:21], v[10:11]
	v_add_f64 v[26:27], v[26:27], v[10:11]
	ds_read_b128 v[10:13], v16 offset:80
	ds_read_b128 v[20:23], v14 offset:1280
	s_waitcnt lgkmcnt(0)
	v_mul_f64 v[28:29], v[12:13], v[22:23]
	v_fma_f64 v[28:29], v[10:11], v[20:21], -v[28:29]
	v_mul_f64 v[10:11], v[10:11], v[22:23]
	v_add_f64 v[24:25], v[24:25], v[28:29]
	v_fma_f64 v[10:11], v[12:13], v[20:21], v[10:11]
	;; [unrolled: 9-line block ×11, first 2 shown]
	v_add_f64 v[26:27], v[26:27], v[10:11]
	ds_read_b128 v[10:13], v16 offset:240
	ds_read_b128 v[20:23], v14 offset:3840
	s_waitcnt lgkmcnt(0)
	s_barrier
	v_mul_f64 v[28:29], v[12:13], v[22:23]
	v_fma_f64 v[28:29], v[10:11], v[20:21], -v[28:29]
	v_mul_f64 v[10:11], v[10:11], v[22:23]
	v_fma_f64 v[10:11], v[12:13], v[20:21], v[10:11]
	v_add_f64 v[12:13], v[24:25], v[28:29]
	v_add_f64 v[10:11], v[26:27], v[10:11]
	s_cbranch_vccnz .LBB1352_2
; %bb.3:
	v_cmp_le_i32_e32 vcc, v2, v4
	s_and_saveexec_b64 s[0:1], vcc
	s_cbranch_execz .LBB1352_5
.LBB1352_4:
	s_load_dwordx2 s[6:7], s[4:5], 0x70
	s_load_dwordx4 s[0:3], s[4:5], 0x60
	v_mul_f64 v[6:7], s[14:15], v[10:11]
	v_mul_f64 v[0:1], s[16:17], v[10:11]
	s_waitcnt lgkmcnt(0)
	s_mul_i32 s5, s7, s8
	v_mul_lo_u32 v10, s3, v4
	v_mul_lo_u32 v11, s2, v5
	v_mad_u64_u32 v[8:9], s[2:3], s2, v4, 0
	s_mul_hi_u32 s7, s6, s8
	s_mul_i32 s4, s6, s8
	s_add_i32 s5, s7, s5
	s_lshl_b64 s[4:5], s[4:5], 4
	v_add3_u32 v9, v9, v11, v10
	s_add_u32 s0, s0, s4
	v_fma_f64 v[5:6], s[16:17], v[12:13], v[6:7]
	v_lshlrev_b64 v[7:8], 4, v[8:9]
	s_addc_u32 s1, s1, s5
	v_fma_f64 v[0:1], s[14:15], v[12:13], -v[0:1]
	v_mov_b32_e32 v9, s1
	v_add_co_u32_e32 v10, vcc, s0, v7
	v_addc_co_u32_e32 v9, vcc, v9, v8, vcc
	v_lshlrev_b64 v[7:8], 4, v[2:3]
	v_add_co_u32_e32 v7, vcc, v10, v7
	v_addc_co_u32_e32 v8, vcc, v9, v8, vcc
	v_cmp_ne_u32_e32 vcc, v2, v4
	v_cndmask_b32_e32 v3, 0, v6, vcc
	v_cndmask_b32_e32 v2, 0, v5, vcc
	global_store_dwordx4 v[7:8], v[0:3], off
.LBB1352_5:
	s_endpgm
.LBB1352_6:
	v_mov_b32_e32 v10, 0
	v_mov_b32_e32 v12, 0
	;; [unrolled: 1-line block ×4, first 2 shown]
	v_cmp_le_i32_e32 vcc, v2, v4
	s_and_saveexec_b64 s[0:1], vcc
	s_cbranch_execnz .LBB1352_4
	s_branch .LBB1352_5
	.section	.rodata,"a",@progbits
	.p2align	6, 0x0
	.amdhsa_kernel _ZL41rocblas_syrkx_herkx_small_restrict_kernelIl19rocblas_complex_numIdELi16ELb1ELb1ELc78ELc85EKS1_S1_EviT_T0_PT6_S3_lS6_S3_lS4_PT7_S3_li
		.amdhsa_group_segment_fixed_size 8192
		.amdhsa_private_segment_fixed_size 0
		.amdhsa_kernarg_size 124
		.amdhsa_user_sgpr_count 6
		.amdhsa_user_sgpr_private_segment_buffer 1
		.amdhsa_user_sgpr_dispatch_ptr 0
		.amdhsa_user_sgpr_queue_ptr 0
		.amdhsa_user_sgpr_kernarg_segment_ptr 1
		.amdhsa_user_sgpr_dispatch_id 0
		.amdhsa_user_sgpr_flat_scratch_init 0
		.amdhsa_user_sgpr_private_segment_size 0
		.amdhsa_uses_dynamic_stack 0
		.amdhsa_system_sgpr_private_segment_wavefront_offset 0
		.amdhsa_system_sgpr_workgroup_id_x 1
		.amdhsa_system_sgpr_workgroup_id_y 1
		.amdhsa_system_sgpr_workgroup_id_z 1
		.amdhsa_system_sgpr_workgroup_info 0
		.amdhsa_system_vgpr_workitem_id 1
		.amdhsa_next_free_vgpr 42
		.amdhsa_next_free_sgpr 61
		.amdhsa_reserve_vcc 1
		.amdhsa_reserve_flat_scratch 0
		.amdhsa_float_round_mode_32 0
		.amdhsa_float_round_mode_16_64 0
		.amdhsa_float_denorm_mode_32 3
		.amdhsa_float_denorm_mode_16_64 3
		.amdhsa_dx10_clamp 1
		.amdhsa_ieee_mode 1
		.amdhsa_fp16_overflow 0
		.amdhsa_exception_fp_ieee_invalid_op 0
		.amdhsa_exception_fp_denorm_src 0
		.amdhsa_exception_fp_ieee_div_zero 0
		.amdhsa_exception_fp_ieee_overflow 0
		.amdhsa_exception_fp_ieee_underflow 0
		.amdhsa_exception_fp_ieee_inexact 0
		.amdhsa_exception_int_div_zero 0
	.end_amdhsa_kernel
	.section	.text._ZL41rocblas_syrkx_herkx_small_restrict_kernelIl19rocblas_complex_numIdELi16ELb1ELb1ELc78ELc85EKS1_S1_EviT_T0_PT6_S3_lS6_S3_lS4_PT7_S3_li,"axG",@progbits,_ZL41rocblas_syrkx_herkx_small_restrict_kernelIl19rocblas_complex_numIdELi16ELb1ELb1ELc78ELc85EKS1_S1_EviT_T0_PT6_S3_lS6_S3_lS4_PT7_S3_li,comdat
.Lfunc_end1352:
	.size	_ZL41rocblas_syrkx_herkx_small_restrict_kernelIl19rocblas_complex_numIdELi16ELb1ELb1ELc78ELc85EKS1_S1_EviT_T0_PT6_S3_lS6_S3_lS4_PT7_S3_li, .Lfunc_end1352-_ZL41rocblas_syrkx_herkx_small_restrict_kernelIl19rocblas_complex_numIdELi16ELb1ELb1ELc78ELc85EKS1_S1_EviT_T0_PT6_S3_lS6_S3_lS4_PT7_S3_li
                                        ; -- End function
	.set _ZL41rocblas_syrkx_herkx_small_restrict_kernelIl19rocblas_complex_numIdELi16ELb1ELb1ELc78ELc85EKS1_S1_EviT_T0_PT6_S3_lS6_S3_lS4_PT7_S3_li.num_vgpr, 42
	.set _ZL41rocblas_syrkx_herkx_small_restrict_kernelIl19rocblas_complex_numIdELi16ELb1ELb1ELc78ELc85EKS1_S1_EviT_T0_PT6_S3_lS6_S3_lS4_PT7_S3_li.num_agpr, 0
	.set _ZL41rocblas_syrkx_herkx_small_restrict_kernelIl19rocblas_complex_numIdELi16ELb1ELb1ELc78ELc85EKS1_S1_EviT_T0_PT6_S3_lS6_S3_lS4_PT7_S3_li.numbered_sgpr, 28
	.set _ZL41rocblas_syrkx_herkx_small_restrict_kernelIl19rocblas_complex_numIdELi16ELb1ELb1ELc78ELc85EKS1_S1_EviT_T0_PT6_S3_lS6_S3_lS4_PT7_S3_li.num_named_barrier, 0
	.set _ZL41rocblas_syrkx_herkx_small_restrict_kernelIl19rocblas_complex_numIdELi16ELb1ELb1ELc78ELc85EKS1_S1_EviT_T0_PT6_S3_lS6_S3_lS4_PT7_S3_li.private_seg_size, 0
	.set _ZL41rocblas_syrkx_herkx_small_restrict_kernelIl19rocblas_complex_numIdELi16ELb1ELb1ELc78ELc85EKS1_S1_EviT_T0_PT6_S3_lS6_S3_lS4_PT7_S3_li.uses_vcc, 1
	.set _ZL41rocblas_syrkx_herkx_small_restrict_kernelIl19rocblas_complex_numIdELi16ELb1ELb1ELc78ELc85EKS1_S1_EviT_T0_PT6_S3_lS6_S3_lS4_PT7_S3_li.uses_flat_scratch, 0
	.set _ZL41rocblas_syrkx_herkx_small_restrict_kernelIl19rocblas_complex_numIdELi16ELb1ELb1ELc78ELc85EKS1_S1_EviT_T0_PT6_S3_lS6_S3_lS4_PT7_S3_li.has_dyn_sized_stack, 0
	.set _ZL41rocblas_syrkx_herkx_small_restrict_kernelIl19rocblas_complex_numIdELi16ELb1ELb1ELc78ELc85EKS1_S1_EviT_T0_PT6_S3_lS6_S3_lS4_PT7_S3_li.has_recursion, 0
	.set _ZL41rocblas_syrkx_herkx_small_restrict_kernelIl19rocblas_complex_numIdELi16ELb1ELb1ELc78ELc85EKS1_S1_EviT_T0_PT6_S3_lS6_S3_lS4_PT7_S3_li.has_indirect_call, 0
	.section	.AMDGPU.csdata,"",@progbits
; Kernel info:
; codeLenInByte = 1716
; TotalNumSgprs: 32
; NumVgprs: 42
; ScratchSize: 0
; MemoryBound: 0
; FloatMode: 240
; IeeeMode: 1
; LDSByteSize: 8192 bytes/workgroup (compile time only)
; SGPRBlocks: 8
; VGPRBlocks: 10
; NumSGPRsForWavesPerEU: 65
; NumVGPRsForWavesPerEU: 42
; Occupancy: 5
; WaveLimiterHint : 0
; COMPUTE_PGM_RSRC2:SCRATCH_EN: 0
; COMPUTE_PGM_RSRC2:USER_SGPR: 6
; COMPUTE_PGM_RSRC2:TRAP_HANDLER: 0
; COMPUTE_PGM_RSRC2:TGID_X_EN: 1
; COMPUTE_PGM_RSRC2:TGID_Y_EN: 1
; COMPUTE_PGM_RSRC2:TGID_Z_EN: 1
; COMPUTE_PGM_RSRC2:TIDIG_COMP_CNT: 1
	.section	.text._ZL41rocblas_syrkx_herkx_small_restrict_kernelIl19rocblas_complex_numIdELi16ELb0ELb1ELc84ELc76EKS1_S1_EviT_T0_PT6_S3_lS6_S3_lS4_PT7_S3_li,"axG",@progbits,_ZL41rocblas_syrkx_herkx_small_restrict_kernelIl19rocblas_complex_numIdELi16ELb0ELb1ELc84ELc76EKS1_S1_EviT_T0_PT6_S3_lS6_S3_lS4_PT7_S3_li,comdat
	.globl	_ZL41rocblas_syrkx_herkx_small_restrict_kernelIl19rocblas_complex_numIdELi16ELb0ELb1ELc84ELc76EKS1_S1_EviT_T0_PT6_S3_lS6_S3_lS4_PT7_S3_li ; -- Begin function _ZL41rocblas_syrkx_herkx_small_restrict_kernelIl19rocblas_complex_numIdELi16ELb0ELb1ELc84ELc76EKS1_S1_EviT_T0_PT6_S3_lS6_S3_lS4_PT7_S3_li
	.p2align	8
	.type	_ZL41rocblas_syrkx_herkx_small_restrict_kernelIl19rocblas_complex_numIdELi16ELb0ELb1ELc84ELc76EKS1_S1_EviT_T0_PT6_S3_lS6_S3_lS4_PT7_S3_li,@function
_ZL41rocblas_syrkx_herkx_small_restrict_kernelIl19rocblas_complex_numIdELi16ELb0ELb1ELc84ELc76EKS1_S1_EviT_T0_PT6_S3_lS6_S3_lS4_PT7_S3_li: ; @_ZL41rocblas_syrkx_herkx_small_restrict_kernelIl19rocblas_complex_numIdELi16ELb0ELb1ELc84ELc76EKS1_S1_EviT_T0_PT6_S3_lS6_S3_lS4_PT7_S3_li
; %bb.0:
	s_load_dwordx16 s[12:27], s[4:5], 0x8
	s_load_dwordx4 s[0:3], s[4:5], 0x68
	s_load_dwordx8 s[36:43], s[4:5], 0x48
	v_lshl_add_u32 v2, s6, 4, v0
	v_lshl_add_u32 v12, s7, 4, v1
	s_waitcnt lgkmcnt(0)
	v_cmp_lt_i64_e64 s[4:5], s[12:13], 1
	v_ashrrev_i32_e32 v3, 31, v2
	s_and_b64 vcc, exec, s[4:5]
	v_ashrrev_i32_e32 v13, 31, v12
	s_cbranch_vccnz .LBB1353_6
; %bb.1:
	v_lshlrev_b32_e32 v14, 4, v0
	v_mul_lo_u32 v0, s27, v12
	v_mul_lo_u32 v7, s26, v13
	v_mad_u64_u32 v[4:5], s[4:5], s26, v12, 0
	s_mul_i32 s4, s37, s8
	s_mul_hi_u32 s5, s36, s8
	v_add3_u32 v5, v5, v7, v0
	v_lshlrev_b64 v[4:5], 4, v[4:5]
	s_add_i32 s5, s5, s4
	s_mul_i32 s4, s36, s8
	v_lshlrev_b32_e32 v6, 8, v1
	s_lshl_b64 s[4:5], s[4:5], 4
	v_add_u32_e32 v15, v14, v6
	v_add_u32_e32 v16, 0x1000, v6
	v_mov_b32_e32 v0, s5
	v_add_co_u32_e32 v4, vcc, s4, v4
	v_mul_lo_u32 v8, s21, v2
	v_mul_lo_u32 v9, s20, v3
	v_mad_u64_u32 v[6:7], s[4:5], s20, v2, 0
	v_addc_co_u32_e32 v0, vcc, v5, v0, vcc
	v_add_co_u32_e32 v4, vcc, v4, v14
	v_addc_co_u32_e32 v0, vcc, 0, v0, vcc
	v_add3_u32 v7, v7, v9, v8
	s_mul_i32 s4, s23, s8
	s_mul_hi_u32 s5, s22, s8
	v_mov_b32_e32 v5, s25
	v_add_co_u32_e32 v4, vcc, s24, v4
	v_lshlrev_b64 v[6:7], 4, v[6:7]
	s_add_i32 s5, s5, s4
	s_mul_i32 s4, s22, s8
	v_addc_co_u32_e32 v5, vcc, v5, v0, vcc
	s_lshl_b64 s[4:5], s[4:5], 4
	v_mov_b32_e32 v0, s5
	v_add_co_u32_e32 v6, vcc, s4, v6
	v_addc_co_u32_e32 v0, vcc, v7, v0, vcc
	v_lshlrev_b32_e32 v1, 4, v1
	v_add_co_u32_e32 v1, vcc, v6, v1
	v_addc_co_u32_e32 v6, vcc, 0, v0, vcc
	v_mov_b32_e32 v7, s19
	v_add_co_u32_e32 v0, vcc, s18, v1
	v_addc_co_u32_e32 v1, vcc, v7, v6, vcc
	v_mov_b32_e32 v8, 0
	v_mov_b32_e32 v10, 0
	;; [unrolled: 1-line block ×3, first 2 shown]
	v_add_u32_e32 v17, v16, v14
	v_mov_b32_e32 v9, 0
	s_mov_b64 s[4:5], 0
	v_mov_b32_e32 v11, 0
	v_mov_b32_e32 v7, s13
.LBB1353_2:                             ; =>This Inner Loop Header: Depth=1
	global_load_dwordx4 v[18:21], v[0:1], off
	s_add_u32 s4, s4, 16
	s_addc_u32 s5, s5, 0
	s_waitcnt vmcnt(0)
	ds_write2_b64 v15, v[18:19], v[20:21] offset1:1
	global_load_dwordx4 v[18:21], v[4:5], off
	v_add_co_u32_e32 v4, vcc, 0x100, v4
	v_addc_co_u32_e32 v5, vcc, 0, v5, vcc
	v_add_co_u32_e32 v0, vcc, 0x100, v0
	v_addc_co_u32_e32 v1, vcc, 0, v1, vcc
	v_cmp_lt_i64_e32 vcc, s[4:5], v[6:7]
	s_and_b64 vcc, exec, vcc
	s_waitcnt vmcnt(0)
	ds_write2_b64 v17, v[18:19], v[20:21] offset1:1
	s_waitcnt lgkmcnt(0)
	s_barrier
	ds_read_b128 v[18:21], v16
	ds_read_b128 v[22:25], v16 offset:16
	ds_read_b128 v[26:29], v16 offset:32
	;; [unrolled: 1-line block ×3, first 2 shown]
	ds_read_b128 v[34:37], v14
	s_waitcnt lgkmcnt(0)
	v_mul_f64 v[38:39], v[20:21], v[36:37]
	v_fma_f64 v[38:39], v[18:19], v[34:35], -v[38:39]
	v_mul_f64 v[18:19], v[18:19], v[36:37]
	v_fma_f64 v[18:19], v[20:21], v[34:35], v[18:19]
	v_add_f64 v[20:21], v[10:11], v[38:39]
	v_add_f64 v[18:19], v[8:9], v[18:19]
	ds_read_b128 v[8:11], v14 offset:256
	s_waitcnt lgkmcnt(0)
	v_mul_f64 v[34:35], v[24:25], v[10:11]
	v_mul_f64 v[10:11], v[22:23], v[10:11]
	v_fma_f64 v[34:35], v[22:23], v[8:9], -v[34:35]
	v_fma_f64 v[8:9], v[24:25], v[8:9], v[10:11]
	v_add_f64 v[20:21], v[20:21], v[34:35]
	v_add_f64 v[18:19], v[18:19], v[8:9]
	ds_read_b128 v[8:11], v14 offset:512
	s_waitcnt lgkmcnt(0)
	v_mul_f64 v[22:23], v[28:29], v[10:11]
	v_mul_f64 v[10:11], v[26:27], v[10:11]
	v_fma_f64 v[22:23], v[26:27], v[8:9], -v[22:23]
	;; [unrolled: 8-line block ×3, first 2 shown]
	v_fma_f64 v[8:9], v[32:33], v[8:9], v[10:11]
	v_add_f64 v[22:23], v[20:21], v[22:23]
	v_add_f64 v[24:25], v[18:19], v[8:9]
	ds_read_b128 v[8:11], v16 offset:64
	ds_read_b128 v[18:21], v14 offset:1024
	s_waitcnt lgkmcnt(0)
	v_mul_f64 v[26:27], v[10:11], v[20:21]
	v_fma_f64 v[26:27], v[8:9], v[18:19], -v[26:27]
	v_mul_f64 v[8:9], v[8:9], v[20:21]
	v_add_f64 v[22:23], v[22:23], v[26:27]
	v_fma_f64 v[8:9], v[10:11], v[18:19], v[8:9]
	v_add_f64 v[24:25], v[24:25], v[8:9]
	ds_read_b128 v[8:11], v16 offset:80
	ds_read_b128 v[18:21], v14 offset:1280
	s_waitcnt lgkmcnt(0)
	v_mul_f64 v[26:27], v[10:11], v[20:21]
	v_fma_f64 v[26:27], v[8:9], v[18:19], -v[26:27]
	v_mul_f64 v[8:9], v[8:9], v[20:21]
	v_add_f64 v[22:23], v[22:23], v[26:27]
	v_fma_f64 v[8:9], v[10:11], v[18:19], v[8:9]
	v_add_f64 v[24:25], v[24:25], v[8:9]
	ds_read_b128 v[8:11], v16 offset:96
	ds_read_b128 v[18:21], v14 offset:1536
	s_waitcnt lgkmcnt(0)
	v_mul_f64 v[26:27], v[10:11], v[20:21]
	v_fma_f64 v[26:27], v[8:9], v[18:19], -v[26:27]
	v_mul_f64 v[8:9], v[8:9], v[20:21]
	v_add_f64 v[22:23], v[22:23], v[26:27]
	v_fma_f64 v[8:9], v[10:11], v[18:19], v[8:9]
	v_add_f64 v[24:25], v[24:25], v[8:9]
	ds_read_b128 v[8:11], v16 offset:112
	ds_read_b128 v[18:21], v14 offset:1792
	s_waitcnt lgkmcnt(0)
	v_mul_f64 v[26:27], v[10:11], v[20:21]
	v_fma_f64 v[26:27], v[8:9], v[18:19], -v[26:27]
	v_mul_f64 v[8:9], v[8:9], v[20:21]
	v_add_f64 v[22:23], v[22:23], v[26:27]
	v_fma_f64 v[8:9], v[10:11], v[18:19], v[8:9]
	v_add_f64 v[24:25], v[24:25], v[8:9]
	ds_read_b128 v[8:11], v16 offset:128
	ds_read_b128 v[18:21], v14 offset:2048
	s_waitcnt lgkmcnt(0)
	v_mul_f64 v[26:27], v[10:11], v[20:21]
	v_fma_f64 v[26:27], v[8:9], v[18:19], -v[26:27]
	v_mul_f64 v[8:9], v[8:9], v[20:21]
	v_add_f64 v[22:23], v[22:23], v[26:27]
	v_fma_f64 v[8:9], v[10:11], v[18:19], v[8:9]
	v_add_f64 v[24:25], v[24:25], v[8:9]
	ds_read_b128 v[8:11], v16 offset:144
	ds_read_b128 v[18:21], v14 offset:2304
	s_waitcnt lgkmcnt(0)
	v_mul_f64 v[26:27], v[10:11], v[20:21]
	v_fma_f64 v[26:27], v[8:9], v[18:19], -v[26:27]
	v_mul_f64 v[8:9], v[8:9], v[20:21]
	v_add_f64 v[22:23], v[22:23], v[26:27]
	v_fma_f64 v[8:9], v[10:11], v[18:19], v[8:9]
	v_add_f64 v[24:25], v[24:25], v[8:9]
	ds_read_b128 v[8:11], v16 offset:160
	ds_read_b128 v[18:21], v14 offset:2560
	s_waitcnt lgkmcnt(0)
	v_mul_f64 v[26:27], v[10:11], v[20:21]
	v_fma_f64 v[26:27], v[8:9], v[18:19], -v[26:27]
	v_mul_f64 v[8:9], v[8:9], v[20:21]
	v_add_f64 v[22:23], v[22:23], v[26:27]
	v_fma_f64 v[8:9], v[10:11], v[18:19], v[8:9]
	v_add_f64 v[24:25], v[24:25], v[8:9]
	ds_read_b128 v[8:11], v16 offset:176
	ds_read_b128 v[18:21], v14 offset:2816
	s_waitcnt lgkmcnt(0)
	v_mul_f64 v[26:27], v[10:11], v[20:21]
	v_fma_f64 v[26:27], v[8:9], v[18:19], -v[26:27]
	v_mul_f64 v[8:9], v[8:9], v[20:21]
	v_add_f64 v[22:23], v[22:23], v[26:27]
	v_fma_f64 v[8:9], v[10:11], v[18:19], v[8:9]
	v_add_f64 v[24:25], v[24:25], v[8:9]
	ds_read_b128 v[8:11], v16 offset:192
	ds_read_b128 v[18:21], v14 offset:3072
	s_waitcnt lgkmcnt(0)
	v_mul_f64 v[26:27], v[10:11], v[20:21]
	v_fma_f64 v[26:27], v[8:9], v[18:19], -v[26:27]
	v_mul_f64 v[8:9], v[8:9], v[20:21]
	v_add_f64 v[22:23], v[22:23], v[26:27]
	v_fma_f64 v[8:9], v[10:11], v[18:19], v[8:9]
	v_add_f64 v[24:25], v[24:25], v[8:9]
	ds_read_b128 v[8:11], v16 offset:208
	ds_read_b128 v[18:21], v14 offset:3328
	s_waitcnt lgkmcnt(0)
	v_mul_f64 v[26:27], v[10:11], v[20:21]
	v_fma_f64 v[26:27], v[8:9], v[18:19], -v[26:27]
	v_mul_f64 v[8:9], v[8:9], v[20:21]
	v_add_f64 v[22:23], v[22:23], v[26:27]
	v_fma_f64 v[8:9], v[10:11], v[18:19], v[8:9]
	v_add_f64 v[24:25], v[24:25], v[8:9]
	ds_read_b128 v[8:11], v16 offset:224
	ds_read_b128 v[18:21], v14 offset:3584
	s_waitcnt lgkmcnt(0)
	v_mul_f64 v[26:27], v[10:11], v[20:21]
	v_fma_f64 v[26:27], v[8:9], v[18:19], -v[26:27]
	v_mul_f64 v[8:9], v[8:9], v[20:21]
	v_add_f64 v[22:23], v[22:23], v[26:27]
	v_fma_f64 v[8:9], v[10:11], v[18:19], v[8:9]
	v_add_f64 v[24:25], v[24:25], v[8:9]
	ds_read_b128 v[8:11], v16 offset:240
	ds_read_b128 v[18:21], v14 offset:3840
	s_waitcnt lgkmcnt(0)
	s_barrier
	v_mul_f64 v[26:27], v[10:11], v[20:21]
	v_fma_f64 v[26:27], v[8:9], v[18:19], -v[26:27]
	v_mul_f64 v[8:9], v[8:9], v[20:21]
	v_fma_f64 v[8:9], v[10:11], v[18:19], v[8:9]
	v_add_f64 v[10:11], v[22:23], v[26:27]
	v_add_f64 v[8:9], v[24:25], v[8:9]
	s_cbranch_vccnz .LBB1353_2
; %bb.3:
	v_cmp_le_i32_e32 vcc, v12, v2
	s_and_saveexec_b64 s[4:5], vcc
	s_cbranch_execz .LBB1353_5
.LBB1353_4:
	v_mul_lo_u32 v4, s1, v12
	v_mul_lo_u32 v5, s0, v13
	v_mad_u64_u32 v[0:1], s[0:1], s0, v12, 0
	s_mul_i32 s3, s3, s8
	s_mul_hi_u32 s4, s2, s8
	s_add_i32 s3, s4, s3
	s_mul_i32 s2, s2, s8
	s_lshl_b64 s[0:1], s[2:3], 4
	v_add3_u32 v1, v1, v5, v4
	s_add_u32 s0, s42, s0
	v_lshlrev_b64 v[0:1], 4, v[0:1]
	s_addc_u32 s1, s43, s1
	v_mov_b32_e32 v4, s1
	v_add_co_u32_e32 v5, vcc, s0, v0
	v_addc_co_u32_e32 v4, vcc, v4, v1, vcc
	v_lshlrev_b64 v[0:1], 4, v[2:3]
	v_add_co_u32_e32 v13, vcc, v5, v0
	v_addc_co_u32_e32 v14, vcc, v4, v1, vcc
	global_load_dwordx4 v[3:6], v[13:14], off
	v_mul_f64 v[0:1], s[14:15], v[8:9]
	v_mul_f64 v[7:8], s[16:17], v[8:9]
	v_cmp_ne_u32_e32 vcc, v2, v12
	v_fma_f64 v[0:1], s[16:17], v[10:11], v[0:1]
	v_fma_f64 v[7:8], s[14:15], v[10:11], -v[7:8]
	s_waitcnt vmcnt(0)
	v_mul_f64 v[15:16], s[38:39], v[5:6]
	v_mul_f64 v[5:6], s[40:41], v[5:6]
	v_fma_f64 v[15:16], s[40:41], v[3:4], v[15:16]
	v_fma_f64 v[3:4], s[38:39], v[3:4], -v[5:6]
	v_add_f64 v[5:6], v[0:1], v[15:16]
	v_add_f64 v[0:1], v[7:8], v[3:4]
	v_cndmask_b32_e32 v3, 0, v6, vcc
	v_cndmask_b32_e32 v2, 0, v5, vcc
	global_store_dwordx4 v[13:14], v[0:3], off
.LBB1353_5:
	s_endpgm
.LBB1353_6:
	v_mov_b32_e32 v8, 0
	v_mov_b32_e32 v10, 0
	;; [unrolled: 1-line block ×4, first 2 shown]
	v_cmp_le_i32_e32 vcc, v12, v2
	s_and_saveexec_b64 s[4:5], vcc
	s_cbranch_execnz .LBB1353_4
	s_branch .LBB1353_5
	.section	.rodata,"a",@progbits
	.p2align	6, 0x0
	.amdhsa_kernel _ZL41rocblas_syrkx_herkx_small_restrict_kernelIl19rocblas_complex_numIdELi16ELb0ELb1ELc84ELc76EKS1_S1_EviT_T0_PT6_S3_lS6_S3_lS4_PT7_S3_li
		.amdhsa_group_segment_fixed_size 8192
		.amdhsa_private_segment_fixed_size 0
		.amdhsa_kernarg_size 124
		.amdhsa_user_sgpr_count 6
		.amdhsa_user_sgpr_private_segment_buffer 1
		.amdhsa_user_sgpr_dispatch_ptr 0
		.amdhsa_user_sgpr_queue_ptr 0
		.amdhsa_user_sgpr_kernarg_segment_ptr 1
		.amdhsa_user_sgpr_dispatch_id 0
		.amdhsa_user_sgpr_flat_scratch_init 0
		.amdhsa_user_sgpr_private_segment_size 0
		.amdhsa_uses_dynamic_stack 0
		.amdhsa_system_sgpr_private_segment_wavefront_offset 0
		.amdhsa_system_sgpr_workgroup_id_x 1
		.amdhsa_system_sgpr_workgroup_id_y 1
		.amdhsa_system_sgpr_workgroup_id_z 1
		.amdhsa_system_sgpr_workgroup_info 0
		.amdhsa_system_vgpr_workitem_id 1
		.amdhsa_next_free_vgpr 40
		.amdhsa_next_free_sgpr 61
		.amdhsa_reserve_vcc 1
		.amdhsa_reserve_flat_scratch 0
		.amdhsa_float_round_mode_32 0
		.amdhsa_float_round_mode_16_64 0
		.amdhsa_float_denorm_mode_32 3
		.amdhsa_float_denorm_mode_16_64 3
		.amdhsa_dx10_clamp 1
		.amdhsa_ieee_mode 1
		.amdhsa_fp16_overflow 0
		.amdhsa_exception_fp_ieee_invalid_op 0
		.amdhsa_exception_fp_denorm_src 0
		.amdhsa_exception_fp_ieee_div_zero 0
		.amdhsa_exception_fp_ieee_overflow 0
		.amdhsa_exception_fp_ieee_underflow 0
		.amdhsa_exception_fp_ieee_inexact 0
		.amdhsa_exception_int_div_zero 0
	.end_amdhsa_kernel
	.section	.text._ZL41rocblas_syrkx_herkx_small_restrict_kernelIl19rocblas_complex_numIdELi16ELb0ELb1ELc84ELc76EKS1_S1_EviT_T0_PT6_S3_lS6_S3_lS4_PT7_S3_li,"axG",@progbits,_ZL41rocblas_syrkx_herkx_small_restrict_kernelIl19rocblas_complex_numIdELi16ELb0ELb1ELc84ELc76EKS1_S1_EviT_T0_PT6_S3_lS6_S3_lS4_PT7_S3_li,comdat
.Lfunc_end1353:
	.size	_ZL41rocblas_syrkx_herkx_small_restrict_kernelIl19rocblas_complex_numIdELi16ELb0ELb1ELc84ELc76EKS1_S1_EviT_T0_PT6_S3_lS6_S3_lS4_PT7_S3_li, .Lfunc_end1353-_ZL41rocblas_syrkx_herkx_small_restrict_kernelIl19rocblas_complex_numIdELi16ELb0ELb1ELc84ELc76EKS1_S1_EviT_T0_PT6_S3_lS6_S3_lS4_PT7_S3_li
                                        ; -- End function
	.set _ZL41rocblas_syrkx_herkx_small_restrict_kernelIl19rocblas_complex_numIdELi16ELb0ELb1ELc84ELc76EKS1_S1_EviT_T0_PT6_S3_lS6_S3_lS4_PT7_S3_li.num_vgpr, 40
	.set _ZL41rocblas_syrkx_herkx_small_restrict_kernelIl19rocblas_complex_numIdELi16ELb0ELb1ELc84ELc76EKS1_S1_EviT_T0_PT6_S3_lS6_S3_lS4_PT7_S3_li.num_agpr, 0
	.set _ZL41rocblas_syrkx_herkx_small_restrict_kernelIl19rocblas_complex_numIdELi16ELb0ELb1ELc84ELc76EKS1_S1_EviT_T0_PT6_S3_lS6_S3_lS4_PT7_S3_li.numbered_sgpr, 44
	.set _ZL41rocblas_syrkx_herkx_small_restrict_kernelIl19rocblas_complex_numIdELi16ELb0ELb1ELc84ELc76EKS1_S1_EviT_T0_PT6_S3_lS6_S3_lS4_PT7_S3_li.num_named_barrier, 0
	.set _ZL41rocblas_syrkx_herkx_small_restrict_kernelIl19rocblas_complex_numIdELi16ELb0ELb1ELc84ELc76EKS1_S1_EviT_T0_PT6_S3_lS6_S3_lS4_PT7_S3_li.private_seg_size, 0
	.set _ZL41rocblas_syrkx_herkx_small_restrict_kernelIl19rocblas_complex_numIdELi16ELb0ELb1ELc84ELc76EKS1_S1_EviT_T0_PT6_S3_lS6_S3_lS4_PT7_S3_li.uses_vcc, 1
	.set _ZL41rocblas_syrkx_herkx_small_restrict_kernelIl19rocblas_complex_numIdELi16ELb0ELb1ELc84ELc76EKS1_S1_EviT_T0_PT6_S3_lS6_S3_lS4_PT7_S3_li.uses_flat_scratch, 0
	.set _ZL41rocblas_syrkx_herkx_small_restrict_kernelIl19rocblas_complex_numIdELi16ELb0ELb1ELc84ELc76EKS1_S1_EviT_T0_PT6_S3_lS6_S3_lS4_PT7_S3_li.has_dyn_sized_stack, 0
	.set _ZL41rocblas_syrkx_herkx_small_restrict_kernelIl19rocblas_complex_numIdELi16ELb0ELb1ELc84ELc76EKS1_S1_EviT_T0_PT6_S3_lS6_S3_lS4_PT7_S3_li.has_recursion, 0
	.set _ZL41rocblas_syrkx_herkx_small_restrict_kernelIl19rocblas_complex_numIdELi16ELb0ELb1ELc84ELc76EKS1_S1_EviT_T0_PT6_S3_lS6_S3_lS4_PT7_S3_li.has_indirect_call, 0
	.section	.AMDGPU.csdata,"",@progbits
; Kernel info:
; codeLenInByte = 1748
; TotalNumSgprs: 48
; NumVgprs: 40
; ScratchSize: 0
; MemoryBound: 0
; FloatMode: 240
; IeeeMode: 1
; LDSByteSize: 8192 bytes/workgroup (compile time only)
; SGPRBlocks: 8
; VGPRBlocks: 9
; NumSGPRsForWavesPerEU: 65
; NumVGPRsForWavesPerEU: 40
; Occupancy: 6
; WaveLimiterHint : 0
; COMPUTE_PGM_RSRC2:SCRATCH_EN: 0
; COMPUTE_PGM_RSRC2:USER_SGPR: 6
; COMPUTE_PGM_RSRC2:TRAP_HANDLER: 0
; COMPUTE_PGM_RSRC2:TGID_X_EN: 1
; COMPUTE_PGM_RSRC2:TGID_Y_EN: 1
; COMPUTE_PGM_RSRC2:TGID_Z_EN: 1
; COMPUTE_PGM_RSRC2:TIDIG_COMP_CNT: 1
	.section	.text._ZL41rocblas_syrkx_herkx_small_restrict_kernelIl19rocblas_complex_numIdELi16ELb0ELb1ELc67ELc76EKS1_S1_EviT_T0_PT6_S3_lS6_S3_lS4_PT7_S3_li,"axG",@progbits,_ZL41rocblas_syrkx_herkx_small_restrict_kernelIl19rocblas_complex_numIdELi16ELb0ELb1ELc67ELc76EKS1_S1_EviT_T0_PT6_S3_lS6_S3_lS4_PT7_S3_li,comdat
	.globl	_ZL41rocblas_syrkx_herkx_small_restrict_kernelIl19rocblas_complex_numIdELi16ELb0ELb1ELc67ELc76EKS1_S1_EviT_T0_PT6_S3_lS6_S3_lS4_PT7_S3_li ; -- Begin function _ZL41rocblas_syrkx_herkx_small_restrict_kernelIl19rocblas_complex_numIdELi16ELb0ELb1ELc67ELc76EKS1_S1_EviT_T0_PT6_S3_lS6_S3_lS4_PT7_S3_li
	.p2align	8
	.type	_ZL41rocblas_syrkx_herkx_small_restrict_kernelIl19rocblas_complex_numIdELi16ELb0ELb1ELc67ELc76EKS1_S1_EviT_T0_PT6_S3_lS6_S3_lS4_PT7_S3_li,@function
_ZL41rocblas_syrkx_herkx_small_restrict_kernelIl19rocblas_complex_numIdELi16ELb0ELb1ELc67ELc76EKS1_S1_EviT_T0_PT6_S3_lS6_S3_lS4_PT7_S3_li: ; @_ZL41rocblas_syrkx_herkx_small_restrict_kernelIl19rocblas_complex_numIdELi16ELb0ELb1ELc67ELc76EKS1_S1_EviT_T0_PT6_S3_lS6_S3_lS4_PT7_S3_li
; %bb.0:
	s_load_dwordx16 s[12:27], s[4:5], 0x8
	s_load_dwordx4 s[0:3], s[4:5], 0x68
	s_load_dwordx8 s[36:43], s[4:5], 0x48
	v_lshl_add_u32 v2, s6, 4, v0
	v_lshl_add_u32 v12, s7, 4, v1
	s_waitcnt lgkmcnt(0)
	v_cmp_lt_i64_e64 s[4:5], s[12:13], 1
	v_ashrrev_i32_e32 v3, 31, v2
	s_and_b64 vcc, exec, s[4:5]
	v_ashrrev_i32_e32 v13, 31, v12
	s_cbranch_vccnz .LBB1354_6
; %bb.1:
	v_lshlrev_b32_e32 v14, 4, v0
	v_mul_lo_u32 v0, s27, v12
	v_mul_lo_u32 v7, s26, v13
	v_mad_u64_u32 v[4:5], s[4:5], s26, v12, 0
	s_mul_i32 s4, s37, s8
	s_mul_hi_u32 s5, s36, s8
	v_add3_u32 v5, v5, v7, v0
	v_lshlrev_b64 v[4:5], 4, v[4:5]
	s_add_i32 s5, s5, s4
	s_mul_i32 s4, s36, s8
	v_lshlrev_b32_e32 v6, 8, v1
	s_lshl_b64 s[4:5], s[4:5], 4
	v_add_u32_e32 v15, v14, v6
	v_add_u32_e32 v16, 0x1000, v6
	v_mov_b32_e32 v0, s5
	v_add_co_u32_e32 v4, vcc, s4, v4
	v_mul_lo_u32 v8, s21, v2
	v_mul_lo_u32 v9, s20, v3
	v_mad_u64_u32 v[6:7], s[4:5], s20, v2, 0
	v_addc_co_u32_e32 v0, vcc, v5, v0, vcc
	v_add_co_u32_e32 v4, vcc, v4, v14
	v_addc_co_u32_e32 v0, vcc, 0, v0, vcc
	v_add3_u32 v7, v7, v9, v8
	s_mul_i32 s4, s23, s8
	s_mul_hi_u32 s5, s22, s8
	v_mov_b32_e32 v5, s25
	v_add_co_u32_e32 v4, vcc, s24, v4
	v_lshlrev_b64 v[6:7], 4, v[6:7]
	s_add_i32 s5, s5, s4
	s_mul_i32 s4, s22, s8
	v_addc_co_u32_e32 v5, vcc, v5, v0, vcc
	s_lshl_b64 s[4:5], s[4:5], 4
	v_mov_b32_e32 v0, s5
	v_add_co_u32_e32 v6, vcc, s4, v6
	v_addc_co_u32_e32 v0, vcc, v7, v0, vcc
	v_lshlrev_b32_e32 v1, 4, v1
	v_add_co_u32_e32 v1, vcc, v6, v1
	v_addc_co_u32_e32 v0, vcc, 0, v0, vcc
	v_mov_b32_e32 v6, s19
	v_add_co_u32_e32 v1, vcc, s18, v1
	v_addc_co_u32_e32 v6, vcc, v6, v0, vcc
	v_add_co_u32_e32 v0, vcc, 8, v1
	v_addc_co_u32_e32 v1, vcc, 0, v6, vcc
	v_mov_b32_e32 v8, 0
	v_mov_b32_e32 v10, 0
	;; [unrolled: 1-line block ×3, first 2 shown]
	v_add_u32_e32 v17, v16, v14
	v_mov_b32_e32 v9, 0
	s_mov_b64 s[4:5], 0
	v_mov_b32_e32 v11, 0
	v_mov_b32_e32 v7, s13
.LBB1354_2:                             ; =>This Inner Loop Header: Depth=1
	global_load_dwordx4 v[18:21], v[0:1], off offset:-8
	s_add_u32 s4, s4, 16
	s_addc_u32 s5, s5, 0
	s_waitcnt vmcnt(0)
	v_xor_b32_e32 v21, 0x80000000, v21
	ds_write_b128 v15, v[18:21]
	global_load_dwordx4 v[18:21], v[4:5], off
	v_add_co_u32_e32 v4, vcc, 0x100, v4
	v_addc_co_u32_e32 v5, vcc, 0, v5, vcc
	v_add_co_u32_e32 v0, vcc, 0x100, v0
	v_addc_co_u32_e32 v1, vcc, 0, v1, vcc
	v_cmp_lt_i64_e32 vcc, s[4:5], v[6:7]
	s_and_b64 vcc, exec, vcc
	s_waitcnt vmcnt(0)
	ds_write2_b64 v17, v[18:19], v[20:21] offset1:1
	s_waitcnt lgkmcnt(0)
	s_barrier
	ds_read_b128 v[18:21], v16
	ds_read_b128 v[22:25], v16 offset:16
	ds_read_b128 v[26:29], v16 offset:32
	;; [unrolled: 1-line block ×3, first 2 shown]
	ds_read_b128 v[34:37], v14
	s_waitcnt lgkmcnt(0)
	v_mul_f64 v[38:39], v[20:21], v[36:37]
	v_fma_f64 v[38:39], v[18:19], v[34:35], -v[38:39]
	v_mul_f64 v[18:19], v[18:19], v[36:37]
	v_fma_f64 v[18:19], v[20:21], v[34:35], v[18:19]
	v_add_f64 v[20:21], v[10:11], v[38:39]
	v_add_f64 v[18:19], v[8:9], v[18:19]
	ds_read_b128 v[8:11], v14 offset:256
	s_waitcnt lgkmcnt(0)
	v_mul_f64 v[34:35], v[24:25], v[10:11]
	v_mul_f64 v[10:11], v[22:23], v[10:11]
	v_fma_f64 v[34:35], v[22:23], v[8:9], -v[34:35]
	v_fma_f64 v[8:9], v[24:25], v[8:9], v[10:11]
	v_add_f64 v[20:21], v[20:21], v[34:35]
	v_add_f64 v[18:19], v[18:19], v[8:9]
	ds_read_b128 v[8:11], v14 offset:512
	s_waitcnt lgkmcnt(0)
	v_mul_f64 v[22:23], v[28:29], v[10:11]
	v_mul_f64 v[10:11], v[26:27], v[10:11]
	v_fma_f64 v[22:23], v[26:27], v[8:9], -v[22:23]
	;; [unrolled: 8-line block ×3, first 2 shown]
	v_fma_f64 v[8:9], v[32:33], v[8:9], v[10:11]
	v_add_f64 v[22:23], v[20:21], v[22:23]
	v_add_f64 v[24:25], v[18:19], v[8:9]
	ds_read_b128 v[8:11], v16 offset:64
	ds_read_b128 v[18:21], v14 offset:1024
	s_waitcnt lgkmcnt(0)
	v_mul_f64 v[26:27], v[10:11], v[20:21]
	v_fma_f64 v[26:27], v[8:9], v[18:19], -v[26:27]
	v_mul_f64 v[8:9], v[8:9], v[20:21]
	v_add_f64 v[22:23], v[22:23], v[26:27]
	v_fma_f64 v[8:9], v[10:11], v[18:19], v[8:9]
	v_add_f64 v[24:25], v[24:25], v[8:9]
	ds_read_b128 v[8:11], v16 offset:80
	ds_read_b128 v[18:21], v14 offset:1280
	s_waitcnt lgkmcnt(0)
	v_mul_f64 v[26:27], v[10:11], v[20:21]
	v_fma_f64 v[26:27], v[8:9], v[18:19], -v[26:27]
	v_mul_f64 v[8:9], v[8:9], v[20:21]
	v_add_f64 v[22:23], v[22:23], v[26:27]
	v_fma_f64 v[8:9], v[10:11], v[18:19], v[8:9]
	;; [unrolled: 9-line block ×11, first 2 shown]
	v_add_f64 v[24:25], v[24:25], v[8:9]
	ds_read_b128 v[8:11], v16 offset:240
	ds_read_b128 v[18:21], v14 offset:3840
	s_waitcnt lgkmcnt(0)
	s_barrier
	v_mul_f64 v[26:27], v[10:11], v[20:21]
	v_fma_f64 v[26:27], v[8:9], v[18:19], -v[26:27]
	v_mul_f64 v[8:9], v[8:9], v[20:21]
	v_fma_f64 v[8:9], v[10:11], v[18:19], v[8:9]
	v_add_f64 v[10:11], v[22:23], v[26:27]
	v_add_f64 v[8:9], v[24:25], v[8:9]
	s_cbranch_vccnz .LBB1354_2
; %bb.3:
	v_cmp_le_i32_e32 vcc, v12, v2
	s_and_saveexec_b64 s[4:5], vcc
	s_cbranch_execz .LBB1354_5
.LBB1354_4:
	v_mul_lo_u32 v4, s1, v12
	v_mul_lo_u32 v5, s0, v13
	v_mad_u64_u32 v[0:1], s[0:1], s0, v12, 0
	s_mul_i32 s3, s3, s8
	s_mul_hi_u32 s4, s2, s8
	s_add_i32 s3, s4, s3
	s_mul_i32 s2, s2, s8
	s_lshl_b64 s[0:1], s[2:3], 4
	v_add3_u32 v1, v1, v5, v4
	s_add_u32 s0, s42, s0
	v_lshlrev_b64 v[0:1], 4, v[0:1]
	s_addc_u32 s1, s43, s1
	v_mov_b32_e32 v4, s1
	v_add_co_u32_e32 v5, vcc, s0, v0
	v_addc_co_u32_e32 v4, vcc, v4, v1, vcc
	v_lshlrev_b64 v[0:1], 4, v[2:3]
	v_add_co_u32_e32 v13, vcc, v5, v0
	v_addc_co_u32_e32 v14, vcc, v4, v1, vcc
	global_load_dwordx4 v[3:6], v[13:14], off
	v_mul_f64 v[0:1], s[14:15], v[8:9]
	v_mul_f64 v[7:8], s[16:17], v[8:9]
	v_cmp_ne_u32_e32 vcc, v2, v12
	v_fma_f64 v[0:1], s[16:17], v[10:11], v[0:1]
	v_fma_f64 v[7:8], s[14:15], v[10:11], -v[7:8]
	s_waitcnt vmcnt(0)
	v_mul_f64 v[15:16], s[38:39], v[5:6]
	v_mul_f64 v[5:6], s[40:41], v[5:6]
	v_fma_f64 v[15:16], s[40:41], v[3:4], v[15:16]
	v_fma_f64 v[3:4], s[38:39], v[3:4], -v[5:6]
	v_add_f64 v[5:6], v[0:1], v[15:16]
	v_add_f64 v[0:1], v[7:8], v[3:4]
	v_cndmask_b32_e32 v3, 0, v6, vcc
	v_cndmask_b32_e32 v2, 0, v5, vcc
	global_store_dwordx4 v[13:14], v[0:3], off
.LBB1354_5:
	s_endpgm
.LBB1354_6:
	v_mov_b32_e32 v8, 0
	v_mov_b32_e32 v10, 0
	;; [unrolled: 1-line block ×4, first 2 shown]
	v_cmp_le_i32_e32 vcc, v12, v2
	s_and_saveexec_b64 s[4:5], vcc
	s_cbranch_execnz .LBB1354_4
	s_branch .LBB1354_5
	.section	.rodata,"a",@progbits
	.p2align	6, 0x0
	.amdhsa_kernel _ZL41rocblas_syrkx_herkx_small_restrict_kernelIl19rocblas_complex_numIdELi16ELb0ELb1ELc67ELc76EKS1_S1_EviT_T0_PT6_S3_lS6_S3_lS4_PT7_S3_li
		.amdhsa_group_segment_fixed_size 8192
		.amdhsa_private_segment_fixed_size 0
		.amdhsa_kernarg_size 124
		.amdhsa_user_sgpr_count 6
		.amdhsa_user_sgpr_private_segment_buffer 1
		.amdhsa_user_sgpr_dispatch_ptr 0
		.amdhsa_user_sgpr_queue_ptr 0
		.amdhsa_user_sgpr_kernarg_segment_ptr 1
		.amdhsa_user_sgpr_dispatch_id 0
		.amdhsa_user_sgpr_flat_scratch_init 0
		.amdhsa_user_sgpr_private_segment_size 0
		.amdhsa_uses_dynamic_stack 0
		.amdhsa_system_sgpr_private_segment_wavefront_offset 0
		.amdhsa_system_sgpr_workgroup_id_x 1
		.amdhsa_system_sgpr_workgroup_id_y 1
		.amdhsa_system_sgpr_workgroup_id_z 1
		.amdhsa_system_sgpr_workgroup_info 0
		.amdhsa_system_vgpr_workitem_id 1
		.amdhsa_next_free_vgpr 40
		.amdhsa_next_free_sgpr 61
		.amdhsa_reserve_vcc 1
		.amdhsa_reserve_flat_scratch 0
		.amdhsa_float_round_mode_32 0
		.amdhsa_float_round_mode_16_64 0
		.amdhsa_float_denorm_mode_32 3
		.amdhsa_float_denorm_mode_16_64 3
		.amdhsa_dx10_clamp 1
		.amdhsa_ieee_mode 1
		.amdhsa_fp16_overflow 0
		.amdhsa_exception_fp_ieee_invalid_op 0
		.amdhsa_exception_fp_denorm_src 0
		.amdhsa_exception_fp_ieee_div_zero 0
		.amdhsa_exception_fp_ieee_overflow 0
		.amdhsa_exception_fp_ieee_underflow 0
		.amdhsa_exception_fp_ieee_inexact 0
		.amdhsa_exception_int_div_zero 0
	.end_amdhsa_kernel
	.section	.text._ZL41rocblas_syrkx_herkx_small_restrict_kernelIl19rocblas_complex_numIdELi16ELb0ELb1ELc67ELc76EKS1_S1_EviT_T0_PT6_S3_lS6_S3_lS4_PT7_S3_li,"axG",@progbits,_ZL41rocblas_syrkx_herkx_small_restrict_kernelIl19rocblas_complex_numIdELi16ELb0ELb1ELc67ELc76EKS1_S1_EviT_T0_PT6_S3_lS6_S3_lS4_PT7_S3_li,comdat
.Lfunc_end1354:
	.size	_ZL41rocblas_syrkx_herkx_small_restrict_kernelIl19rocblas_complex_numIdELi16ELb0ELb1ELc67ELc76EKS1_S1_EviT_T0_PT6_S3_lS6_S3_lS4_PT7_S3_li, .Lfunc_end1354-_ZL41rocblas_syrkx_herkx_small_restrict_kernelIl19rocblas_complex_numIdELi16ELb0ELb1ELc67ELc76EKS1_S1_EviT_T0_PT6_S3_lS6_S3_lS4_PT7_S3_li
                                        ; -- End function
	.set _ZL41rocblas_syrkx_herkx_small_restrict_kernelIl19rocblas_complex_numIdELi16ELb0ELb1ELc67ELc76EKS1_S1_EviT_T0_PT6_S3_lS6_S3_lS4_PT7_S3_li.num_vgpr, 40
	.set _ZL41rocblas_syrkx_herkx_small_restrict_kernelIl19rocblas_complex_numIdELi16ELb0ELb1ELc67ELc76EKS1_S1_EviT_T0_PT6_S3_lS6_S3_lS4_PT7_S3_li.num_agpr, 0
	.set _ZL41rocblas_syrkx_herkx_small_restrict_kernelIl19rocblas_complex_numIdELi16ELb0ELb1ELc67ELc76EKS1_S1_EviT_T0_PT6_S3_lS6_S3_lS4_PT7_S3_li.numbered_sgpr, 44
	.set _ZL41rocblas_syrkx_herkx_small_restrict_kernelIl19rocblas_complex_numIdELi16ELb0ELb1ELc67ELc76EKS1_S1_EviT_T0_PT6_S3_lS6_S3_lS4_PT7_S3_li.num_named_barrier, 0
	.set _ZL41rocblas_syrkx_herkx_small_restrict_kernelIl19rocblas_complex_numIdELi16ELb0ELb1ELc67ELc76EKS1_S1_EviT_T0_PT6_S3_lS6_S3_lS4_PT7_S3_li.private_seg_size, 0
	.set _ZL41rocblas_syrkx_herkx_small_restrict_kernelIl19rocblas_complex_numIdELi16ELb0ELb1ELc67ELc76EKS1_S1_EviT_T0_PT6_S3_lS6_S3_lS4_PT7_S3_li.uses_vcc, 1
	.set _ZL41rocblas_syrkx_herkx_small_restrict_kernelIl19rocblas_complex_numIdELi16ELb0ELb1ELc67ELc76EKS1_S1_EviT_T0_PT6_S3_lS6_S3_lS4_PT7_S3_li.uses_flat_scratch, 0
	.set _ZL41rocblas_syrkx_herkx_small_restrict_kernelIl19rocblas_complex_numIdELi16ELb0ELb1ELc67ELc76EKS1_S1_EviT_T0_PT6_S3_lS6_S3_lS4_PT7_S3_li.has_dyn_sized_stack, 0
	.set _ZL41rocblas_syrkx_herkx_small_restrict_kernelIl19rocblas_complex_numIdELi16ELb0ELb1ELc67ELc76EKS1_S1_EviT_T0_PT6_S3_lS6_S3_lS4_PT7_S3_li.has_recursion, 0
	.set _ZL41rocblas_syrkx_herkx_small_restrict_kernelIl19rocblas_complex_numIdELi16ELb0ELb1ELc67ELc76EKS1_S1_EviT_T0_PT6_S3_lS6_S3_lS4_PT7_S3_li.has_indirect_call, 0
	.section	.AMDGPU.csdata,"",@progbits
; Kernel info:
; codeLenInByte = 1764
; TotalNumSgprs: 48
; NumVgprs: 40
; ScratchSize: 0
; MemoryBound: 0
; FloatMode: 240
; IeeeMode: 1
; LDSByteSize: 8192 bytes/workgroup (compile time only)
; SGPRBlocks: 8
; VGPRBlocks: 9
; NumSGPRsForWavesPerEU: 65
; NumVGPRsForWavesPerEU: 40
; Occupancy: 6
; WaveLimiterHint : 0
; COMPUTE_PGM_RSRC2:SCRATCH_EN: 0
; COMPUTE_PGM_RSRC2:USER_SGPR: 6
; COMPUTE_PGM_RSRC2:TRAP_HANDLER: 0
; COMPUTE_PGM_RSRC2:TGID_X_EN: 1
; COMPUTE_PGM_RSRC2:TGID_Y_EN: 1
; COMPUTE_PGM_RSRC2:TGID_Z_EN: 1
; COMPUTE_PGM_RSRC2:TIDIG_COMP_CNT: 1
	.section	.text._ZL41rocblas_syrkx_herkx_small_restrict_kernelIl19rocblas_complex_numIdELi16ELb0ELb1ELc78ELc76EKS1_S1_EviT_T0_PT6_S3_lS6_S3_lS4_PT7_S3_li,"axG",@progbits,_ZL41rocblas_syrkx_herkx_small_restrict_kernelIl19rocblas_complex_numIdELi16ELb0ELb1ELc78ELc76EKS1_S1_EviT_T0_PT6_S3_lS6_S3_lS4_PT7_S3_li,comdat
	.globl	_ZL41rocblas_syrkx_herkx_small_restrict_kernelIl19rocblas_complex_numIdELi16ELb0ELb1ELc78ELc76EKS1_S1_EviT_T0_PT6_S3_lS6_S3_lS4_PT7_S3_li ; -- Begin function _ZL41rocblas_syrkx_herkx_small_restrict_kernelIl19rocblas_complex_numIdELi16ELb0ELb1ELc78ELc76EKS1_S1_EviT_T0_PT6_S3_lS6_S3_lS4_PT7_S3_li
	.p2align	8
	.type	_ZL41rocblas_syrkx_herkx_small_restrict_kernelIl19rocblas_complex_numIdELi16ELb0ELb1ELc78ELc76EKS1_S1_EviT_T0_PT6_S3_lS6_S3_lS4_PT7_S3_li,@function
_ZL41rocblas_syrkx_herkx_small_restrict_kernelIl19rocblas_complex_numIdELi16ELb0ELb1ELc78ELc76EKS1_S1_EviT_T0_PT6_S3_lS6_S3_lS4_PT7_S3_li: ; @_ZL41rocblas_syrkx_herkx_small_restrict_kernelIl19rocblas_complex_numIdELi16ELb0ELb1ELc78ELc76EKS1_S1_EviT_T0_PT6_S3_lS6_S3_lS4_PT7_S3_li
; %bb.0:
	s_load_dwordx16 s[12:27], s[4:5], 0x8
	s_load_dwordx4 s[0:3], s[4:5], 0x68
	s_load_dwordx8 s[36:43], s[4:5], 0x48
	v_lshl_add_u32 v2, s6, 4, v0
	v_lshl_add_u32 v4, s7, 4, v1
	s_waitcnt lgkmcnt(0)
	v_cmp_lt_i64_e64 s[4:5], s[12:13], 1
	v_ashrrev_i32_e32 v3, 31, v2
	s_and_b64 vcc, exec, s[4:5]
	v_ashrrev_i32_e32 v5, 31, v4
	s_cbranch_vccnz .LBB1355_6
; %bb.1:
	v_lshlrev_b32_e32 v6, 8, v1
	v_lshlrev_b32_e32 v14, 4, v0
	v_add_u32_e32 v15, v14, v6
	v_add_u32_e32 v16, 0x1000, v6
	v_mad_u64_u32 v[6:7], s[4:5], s26, v0, 0
	s_mul_i32 s6, s37, s8
	s_mul_hi_u32 s7, s36, s8
	v_mad_u64_u32 v[7:8], s[4:5], s27, v0, v[7:8]
	s_add_i32 s5, s7, s6
	s_mul_i32 s4, s36, s8
	v_lshlrev_b64 v[6:7], 4, v[6:7]
	s_lshl_b64 s[4:5], s[4:5], 4
	v_mov_b32_e32 v0, s5
	v_add_co_u32_e32 v8, vcc, s4, v6
	v_addc_co_u32_e32 v0, vcc, v0, v7, vcc
	v_lshlrev_b64 v[6:7], 4, v[4:5]
	s_mul_i32 s9, s23, s8
	v_add_co_u32_e32 v6, vcc, v8, v6
	v_addc_co_u32_e32 v0, vcc, v0, v7, vcc
	v_mad_u64_u32 v[8:9], s[4:5], s20, v1, 0
	v_mov_b32_e32 v7, s25
	v_add_co_u32_e32 v6, vcc, s24, v6
	v_addc_co_u32_e32 v0, vcc, v7, v0, vcc
	v_add_co_u32_e32 v6, vcc, 8, v6
	v_addc_co_u32_e32 v7, vcc, 0, v0, vcc
	v_mov_b32_e32 v0, v9
	v_mad_u64_u32 v[0:1], s[6:7], s21, v1, v[0:1]
	s_mul_hi_u32 s10, s22, s8
	s_add_i32 s7, s10, s9
	v_mov_b32_e32 v9, v0
	s_mul_i32 s6, s22, s8
	v_lshlrev_b64 v[0:1], 4, v[8:9]
	s_lshl_b64 s[6:7], s[6:7], 4
	v_mov_b32_e32 v8, s7
	v_add_co_u32_e32 v9, vcc, s6, v0
	v_addc_co_u32_e32 v8, vcc, v8, v1, vcc
	v_lshlrev_b64 v[0:1], 4, v[2:3]
	s_lshl_b64 s[4:5], s[26:27], 8
	v_add_co_u32_e32 v0, vcc, v9, v0
	v_addc_co_u32_e32 v1, vcc, v8, v1, vcc
	v_mov_b32_e32 v8, s19
	v_add_co_u32_e32 v0, vcc, s18, v0
	v_addc_co_u32_e32 v1, vcc, v8, v1, vcc
	s_lshl_b64 s[6:7], s[20:21], 8
	v_mov_b32_e32 v10, 0
	v_mov_b32_e32 v12, 0
	;; [unrolled: 1-line block ×3, first 2 shown]
	v_add_u32_e32 v17, v16, v14
	v_mov_b32_e32 v11, 0
	s_mov_b64 s[10:11], 0
	v_mov_b32_e32 v18, s5
	v_mov_b32_e32 v19, s7
	;; [unrolled: 1-line block ×4, first 2 shown]
.LBB1355_2:                             ; =>This Inner Loop Header: Depth=1
	global_load_dwordx4 v[20:23], v[0:1], off
	s_add_u32 s10, s10, 16
	s_addc_u32 s11, s11, 0
	s_waitcnt vmcnt(0)
	ds_write2_b64 v15, v[20:21], v[22:23] offset1:1
	global_load_dwordx4 v[20:23], v[6:7], off offset:-8
	v_add_co_u32_e32 v6, vcc, s4, v6
	v_addc_co_u32_e32 v7, vcc, v7, v18, vcc
	v_add_co_u32_e32 v0, vcc, s6, v0
	v_addc_co_u32_e32 v1, vcc, v1, v19, vcc
	v_cmp_lt_i64_e32 vcc, s[10:11], v[8:9]
	s_and_b64 vcc, exec, vcc
	s_waitcnt vmcnt(0)
	v_xor_b32_e32 v23, 0x80000000, v23
	ds_write_b128 v17, v[20:23]
	s_waitcnt lgkmcnt(0)
	s_barrier
	ds_read_b128 v[20:23], v16
	ds_read_b128 v[24:27], v16 offset:16
	ds_read_b128 v[28:31], v16 offset:32
	;; [unrolled: 1-line block ×3, first 2 shown]
	ds_read_b128 v[36:39], v14
	s_waitcnt lgkmcnt(0)
	v_mul_f64 v[40:41], v[22:23], v[38:39]
	v_fma_f64 v[40:41], v[20:21], v[36:37], -v[40:41]
	v_mul_f64 v[20:21], v[20:21], v[38:39]
	v_fma_f64 v[20:21], v[22:23], v[36:37], v[20:21]
	v_add_f64 v[22:23], v[12:13], v[40:41]
	v_add_f64 v[20:21], v[10:11], v[20:21]
	ds_read_b128 v[10:13], v14 offset:256
	s_waitcnt lgkmcnt(0)
	v_mul_f64 v[36:37], v[26:27], v[12:13]
	v_mul_f64 v[12:13], v[24:25], v[12:13]
	v_fma_f64 v[36:37], v[24:25], v[10:11], -v[36:37]
	v_fma_f64 v[10:11], v[26:27], v[10:11], v[12:13]
	v_add_f64 v[22:23], v[22:23], v[36:37]
	v_add_f64 v[20:21], v[20:21], v[10:11]
	ds_read_b128 v[10:13], v14 offset:512
	s_waitcnt lgkmcnt(0)
	v_mul_f64 v[24:25], v[30:31], v[12:13]
	v_mul_f64 v[12:13], v[28:29], v[12:13]
	v_fma_f64 v[24:25], v[28:29], v[10:11], -v[24:25]
	;; [unrolled: 8-line block ×3, first 2 shown]
	v_fma_f64 v[10:11], v[34:35], v[10:11], v[12:13]
	v_add_f64 v[24:25], v[22:23], v[24:25]
	v_add_f64 v[26:27], v[20:21], v[10:11]
	ds_read_b128 v[10:13], v16 offset:64
	ds_read_b128 v[20:23], v14 offset:1024
	s_waitcnt lgkmcnt(0)
	v_mul_f64 v[28:29], v[12:13], v[22:23]
	v_fma_f64 v[28:29], v[10:11], v[20:21], -v[28:29]
	v_mul_f64 v[10:11], v[10:11], v[22:23]
	v_add_f64 v[24:25], v[24:25], v[28:29]
	v_fma_f64 v[10:11], v[12:13], v[20:21], v[10:11]
	v_add_f64 v[26:27], v[26:27], v[10:11]
	ds_read_b128 v[10:13], v16 offset:80
	ds_read_b128 v[20:23], v14 offset:1280
	s_waitcnt lgkmcnt(0)
	v_mul_f64 v[28:29], v[12:13], v[22:23]
	v_fma_f64 v[28:29], v[10:11], v[20:21], -v[28:29]
	v_mul_f64 v[10:11], v[10:11], v[22:23]
	v_add_f64 v[24:25], v[24:25], v[28:29]
	v_fma_f64 v[10:11], v[12:13], v[20:21], v[10:11]
	;; [unrolled: 9-line block ×11, first 2 shown]
	v_add_f64 v[26:27], v[26:27], v[10:11]
	ds_read_b128 v[10:13], v16 offset:240
	ds_read_b128 v[20:23], v14 offset:3840
	s_waitcnt lgkmcnt(0)
	s_barrier
	v_mul_f64 v[28:29], v[12:13], v[22:23]
	v_fma_f64 v[28:29], v[10:11], v[20:21], -v[28:29]
	v_mul_f64 v[10:11], v[10:11], v[22:23]
	v_fma_f64 v[10:11], v[12:13], v[20:21], v[10:11]
	v_add_f64 v[12:13], v[24:25], v[28:29]
	v_add_f64 v[10:11], v[26:27], v[10:11]
	s_cbranch_vccnz .LBB1355_2
; %bb.3:
	v_cmp_le_i32_e32 vcc, v4, v2
	s_and_saveexec_b64 s[4:5], vcc
	s_cbranch_execz .LBB1355_5
.LBB1355_4:
	v_mul_lo_u32 v6, s1, v4
	v_mul_lo_u32 v5, s0, v5
	v_mad_u64_u32 v[0:1], s[0:1], s0, v4, 0
	s_mul_i32 s3, s3, s8
	s_mul_hi_u32 s4, s2, s8
	s_add_i32 s3, s4, s3
	s_mul_i32 s2, s2, s8
	s_lshl_b64 s[0:1], s[2:3], 4
	v_add3_u32 v1, v1, v5, v6
	s_add_u32 s0, s42, s0
	v_lshlrev_b64 v[0:1], 4, v[0:1]
	s_addc_u32 s1, s43, s1
	v_mov_b32_e32 v5, s1
	v_add_co_u32_e32 v6, vcc, s0, v0
	v_addc_co_u32_e32 v5, vcc, v5, v1, vcc
	v_lshlrev_b64 v[0:1], 4, v[2:3]
	v_add_co_u32_e32 v14, vcc, v6, v0
	v_addc_co_u32_e32 v15, vcc, v5, v1, vcc
	global_load_dwordx4 v[5:8], v[14:15], off
	v_mul_f64 v[0:1], s[14:15], v[10:11]
	v_mul_f64 v[9:10], s[16:17], v[10:11]
	v_cmp_ne_u32_e32 vcc, v2, v4
	v_fma_f64 v[0:1], s[16:17], v[12:13], v[0:1]
	v_fma_f64 v[9:10], s[14:15], v[12:13], -v[9:10]
	s_waitcnt vmcnt(0)
	v_mul_f64 v[16:17], s[38:39], v[7:8]
	v_mul_f64 v[7:8], s[40:41], v[7:8]
	v_fma_f64 v[16:17], s[40:41], v[5:6], v[16:17]
	v_fma_f64 v[5:6], s[38:39], v[5:6], -v[7:8]
	v_add_f64 v[7:8], v[0:1], v[16:17]
	v_add_f64 v[0:1], v[9:10], v[5:6]
	v_cndmask_b32_e32 v3, 0, v8, vcc
	v_cndmask_b32_e32 v2, 0, v7, vcc
	global_store_dwordx4 v[14:15], v[0:3], off
.LBB1355_5:
	s_endpgm
.LBB1355_6:
	v_mov_b32_e32 v10, 0
	v_mov_b32_e32 v12, 0
	;; [unrolled: 1-line block ×4, first 2 shown]
	v_cmp_le_i32_e32 vcc, v4, v2
	s_and_saveexec_b64 s[4:5], vcc
	s_cbranch_execnz .LBB1355_4
	s_branch .LBB1355_5
	.section	.rodata,"a",@progbits
	.p2align	6, 0x0
	.amdhsa_kernel _ZL41rocblas_syrkx_herkx_small_restrict_kernelIl19rocblas_complex_numIdELi16ELb0ELb1ELc78ELc76EKS1_S1_EviT_T0_PT6_S3_lS6_S3_lS4_PT7_S3_li
		.amdhsa_group_segment_fixed_size 8192
		.amdhsa_private_segment_fixed_size 0
		.amdhsa_kernarg_size 124
		.amdhsa_user_sgpr_count 6
		.amdhsa_user_sgpr_private_segment_buffer 1
		.amdhsa_user_sgpr_dispatch_ptr 0
		.amdhsa_user_sgpr_queue_ptr 0
		.amdhsa_user_sgpr_kernarg_segment_ptr 1
		.amdhsa_user_sgpr_dispatch_id 0
		.amdhsa_user_sgpr_flat_scratch_init 0
		.amdhsa_user_sgpr_private_segment_size 0
		.amdhsa_uses_dynamic_stack 0
		.amdhsa_system_sgpr_private_segment_wavefront_offset 0
		.amdhsa_system_sgpr_workgroup_id_x 1
		.amdhsa_system_sgpr_workgroup_id_y 1
		.amdhsa_system_sgpr_workgroup_id_z 1
		.amdhsa_system_sgpr_workgroup_info 0
		.amdhsa_system_vgpr_workitem_id 1
		.amdhsa_next_free_vgpr 42
		.amdhsa_next_free_sgpr 61
		.amdhsa_reserve_vcc 1
		.amdhsa_reserve_flat_scratch 0
		.amdhsa_float_round_mode_32 0
		.amdhsa_float_round_mode_16_64 0
		.amdhsa_float_denorm_mode_32 3
		.amdhsa_float_denorm_mode_16_64 3
		.amdhsa_dx10_clamp 1
		.amdhsa_ieee_mode 1
		.amdhsa_fp16_overflow 0
		.amdhsa_exception_fp_ieee_invalid_op 0
		.amdhsa_exception_fp_denorm_src 0
		.amdhsa_exception_fp_ieee_div_zero 0
		.amdhsa_exception_fp_ieee_overflow 0
		.amdhsa_exception_fp_ieee_underflow 0
		.amdhsa_exception_fp_ieee_inexact 0
		.amdhsa_exception_int_div_zero 0
	.end_amdhsa_kernel
	.section	.text._ZL41rocblas_syrkx_herkx_small_restrict_kernelIl19rocblas_complex_numIdELi16ELb0ELb1ELc78ELc76EKS1_S1_EviT_T0_PT6_S3_lS6_S3_lS4_PT7_S3_li,"axG",@progbits,_ZL41rocblas_syrkx_herkx_small_restrict_kernelIl19rocblas_complex_numIdELi16ELb0ELb1ELc78ELc76EKS1_S1_EviT_T0_PT6_S3_lS6_S3_lS4_PT7_S3_li,comdat
.Lfunc_end1355:
	.size	_ZL41rocblas_syrkx_herkx_small_restrict_kernelIl19rocblas_complex_numIdELi16ELb0ELb1ELc78ELc76EKS1_S1_EviT_T0_PT6_S3_lS6_S3_lS4_PT7_S3_li, .Lfunc_end1355-_ZL41rocblas_syrkx_herkx_small_restrict_kernelIl19rocblas_complex_numIdELi16ELb0ELb1ELc78ELc76EKS1_S1_EviT_T0_PT6_S3_lS6_S3_lS4_PT7_S3_li
                                        ; -- End function
	.set _ZL41rocblas_syrkx_herkx_small_restrict_kernelIl19rocblas_complex_numIdELi16ELb0ELb1ELc78ELc76EKS1_S1_EviT_T0_PT6_S3_lS6_S3_lS4_PT7_S3_li.num_vgpr, 42
	.set _ZL41rocblas_syrkx_herkx_small_restrict_kernelIl19rocblas_complex_numIdELi16ELb0ELb1ELc78ELc76EKS1_S1_EviT_T0_PT6_S3_lS6_S3_lS4_PT7_S3_li.num_agpr, 0
	.set _ZL41rocblas_syrkx_herkx_small_restrict_kernelIl19rocblas_complex_numIdELi16ELb0ELb1ELc78ELc76EKS1_S1_EviT_T0_PT6_S3_lS6_S3_lS4_PT7_S3_li.numbered_sgpr, 44
	.set _ZL41rocblas_syrkx_herkx_small_restrict_kernelIl19rocblas_complex_numIdELi16ELb0ELb1ELc78ELc76EKS1_S1_EviT_T0_PT6_S3_lS6_S3_lS4_PT7_S3_li.num_named_barrier, 0
	.set _ZL41rocblas_syrkx_herkx_small_restrict_kernelIl19rocblas_complex_numIdELi16ELb0ELb1ELc78ELc76EKS1_S1_EviT_T0_PT6_S3_lS6_S3_lS4_PT7_S3_li.private_seg_size, 0
	.set _ZL41rocblas_syrkx_herkx_small_restrict_kernelIl19rocblas_complex_numIdELi16ELb0ELb1ELc78ELc76EKS1_S1_EviT_T0_PT6_S3_lS6_S3_lS4_PT7_S3_li.uses_vcc, 1
	.set _ZL41rocblas_syrkx_herkx_small_restrict_kernelIl19rocblas_complex_numIdELi16ELb0ELb1ELc78ELc76EKS1_S1_EviT_T0_PT6_S3_lS6_S3_lS4_PT7_S3_li.uses_flat_scratch, 0
	.set _ZL41rocblas_syrkx_herkx_small_restrict_kernelIl19rocblas_complex_numIdELi16ELb0ELb1ELc78ELc76EKS1_S1_EviT_T0_PT6_S3_lS6_S3_lS4_PT7_S3_li.has_dyn_sized_stack, 0
	.set _ZL41rocblas_syrkx_herkx_small_restrict_kernelIl19rocblas_complex_numIdELi16ELb0ELb1ELc78ELc76EKS1_S1_EviT_T0_PT6_S3_lS6_S3_lS4_PT7_S3_li.has_recursion, 0
	.set _ZL41rocblas_syrkx_herkx_small_restrict_kernelIl19rocblas_complex_numIdELi16ELb0ELb1ELc78ELc76EKS1_S1_EviT_T0_PT6_S3_lS6_S3_lS4_PT7_S3_li.has_indirect_call, 0
	.section	.AMDGPU.csdata,"",@progbits
; Kernel info:
; codeLenInByte = 1760
; TotalNumSgprs: 48
; NumVgprs: 42
; ScratchSize: 0
; MemoryBound: 0
; FloatMode: 240
; IeeeMode: 1
; LDSByteSize: 8192 bytes/workgroup (compile time only)
; SGPRBlocks: 8
; VGPRBlocks: 10
; NumSGPRsForWavesPerEU: 65
; NumVGPRsForWavesPerEU: 42
; Occupancy: 5
; WaveLimiterHint : 0
; COMPUTE_PGM_RSRC2:SCRATCH_EN: 0
; COMPUTE_PGM_RSRC2:USER_SGPR: 6
; COMPUTE_PGM_RSRC2:TRAP_HANDLER: 0
; COMPUTE_PGM_RSRC2:TGID_X_EN: 1
; COMPUTE_PGM_RSRC2:TGID_Y_EN: 1
; COMPUTE_PGM_RSRC2:TGID_Z_EN: 1
; COMPUTE_PGM_RSRC2:TIDIG_COMP_CNT: 1
	.section	.text._ZL41rocblas_syrkx_herkx_small_restrict_kernelIl19rocblas_complex_numIdELi16ELb0ELb1ELc84ELc85EKS1_S1_EviT_T0_PT6_S3_lS6_S3_lS4_PT7_S3_li,"axG",@progbits,_ZL41rocblas_syrkx_herkx_small_restrict_kernelIl19rocblas_complex_numIdELi16ELb0ELb1ELc84ELc85EKS1_S1_EviT_T0_PT6_S3_lS6_S3_lS4_PT7_S3_li,comdat
	.globl	_ZL41rocblas_syrkx_herkx_small_restrict_kernelIl19rocblas_complex_numIdELi16ELb0ELb1ELc84ELc85EKS1_S1_EviT_T0_PT6_S3_lS6_S3_lS4_PT7_S3_li ; -- Begin function _ZL41rocblas_syrkx_herkx_small_restrict_kernelIl19rocblas_complex_numIdELi16ELb0ELb1ELc84ELc85EKS1_S1_EviT_T0_PT6_S3_lS6_S3_lS4_PT7_S3_li
	.p2align	8
	.type	_ZL41rocblas_syrkx_herkx_small_restrict_kernelIl19rocblas_complex_numIdELi16ELb0ELb1ELc84ELc85EKS1_S1_EviT_T0_PT6_S3_lS6_S3_lS4_PT7_S3_li,@function
_ZL41rocblas_syrkx_herkx_small_restrict_kernelIl19rocblas_complex_numIdELi16ELb0ELb1ELc84ELc85EKS1_S1_EviT_T0_PT6_S3_lS6_S3_lS4_PT7_S3_li: ; @_ZL41rocblas_syrkx_herkx_small_restrict_kernelIl19rocblas_complex_numIdELi16ELb0ELb1ELc84ELc85EKS1_S1_EviT_T0_PT6_S3_lS6_S3_lS4_PT7_S3_li
; %bb.0:
	s_load_dwordx16 s[12:27], s[4:5], 0x8
	s_load_dwordx4 s[0:3], s[4:5], 0x68
	s_load_dwordx8 s[36:43], s[4:5], 0x48
	v_lshl_add_u32 v2, s6, 4, v0
	v_lshl_add_u32 v12, s7, 4, v1
	s_waitcnt lgkmcnt(0)
	v_cmp_lt_i64_e64 s[4:5], s[12:13], 1
	v_ashrrev_i32_e32 v3, 31, v2
	s_and_b64 vcc, exec, s[4:5]
	v_ashrrev_i32_e32 v13, 31, v12
	s_cbranch_vccnz .LBB1356_6
; %bb.1:
	v_lshlrev_b32_e32 v14, 4, v0
	v_mul_lo_u32 v0, s27, v12
	v_mul_lo_u32 v7, s26, v13
	v_mad_u64_u32 v[4:5], s[4:5], s26, v12, 0
	s_mul_i32 s4, s37, s8
	s_mul_hi_u32 s5, s36, s8
	v_add3_u32 v5, v5, v7, v0
	v_lshlrev_b64 v[4:5], 4, v[4:5]
	s_add_i32 s5, s5, s4
	s_mul_i32 s4, s36, s8
	v_lshlrev_b32_e32 v6, 8, v1
	s_lshl_b64 s[4:5], s[4:5], 4
	v_add_u32_e32 v15, v14, v6
	v_add_u32_e32 v16, 0x1000, v6
	v_mov_b32_e32 v0, s5
	v_add_co_u32_e32 v4, vcc, s4, v4
	v_mul_lo_u32 v8, s21, v2
	v_mul_lo_u32 v9, s20, v3
	v_mad_u64_u32 v[6:7], s[4:5], s20, v2, 0
	v_addc_co_u32_e32 v0, vcc, v5, v0, vcc
	v_add_co_u32_e32 v4, vcc, v4, v14
	v_addc_co_u32_e32 v0, vcc, 0, v0, vcc
	v_add3_u32 v7, v7, v9, v8
	s_mul_i32 s4, s23, s8
	s_mul_hi_u32 s5, s22, s8
	v_mov_b32_e32 v5, s25
	v_add_co_u32_e32 v4, vcc, s24, v4
	v_lshlrev_b64 v[6:7], 4, v[6:7]
	s_add_i32 s5, s5, s4
	s_mul_i32 s4, s22, s8
	v_addc_co_u32_e32 v5, vcc, v5, v0, vcc
	s_lshl_b64 s[4:5], s[4:5], 4
	v_mov_b32_e32 v0, s5
	v_add_co_u32_e32 v6, vcc, s4, v6
	v_addc_co_u32_e32 v0, vcc, v7, v0, vcc
	v_lshlrev_b32_e32 v1, 4, v1
	v_add_co_u32_e32 v1, vcc, v6, v1
	v_addc_co_u32_e32 v6, vcc, 0, v0, vcc
	v_mov_b32_e32 v7, s19
	v_add_co_u32_e32 v0, vcc, s18, v1
	v_addc_co_u32_e32 v1, vcc, v7, v6, vcc
	v_mov_b32_e32 v8, 0
	v_mov_b32_e32 v10, 0
	;; [unrolled: 1-line block ×3, first 2 shown]
	v_add_u32_e32 v17, v16, v14
	v_mov_b32_e32 v9, 0
	s_mov_b64 s[4:5], 0
	v_mov_b32_e32 v11, 0
	v_mov_b32_e32 v7, s13
.LBB1356_2:                             ; =>This Inner Loop Header: Depth=1
	global_load_dwordx4 v[18:21], v[0:1], off
	s_add_u32 s4, s4, 16
	s_addc_u32 s5, s5, 0
	s_waitcnt vmcnt(0)
	ds_write2_b64 v15, v[18:19], v[20:21] offset1:1
	global_load_dwordx4 v[18:21], v[4:5], off
	v_add_co_u32_e32 v4, vcc, 0x100, v4
	v_addc_co_u32_e32 v5, vcc, 0, v5, vcc
	v_add_co_u32_e32 v0, vcc, 0x100, v0
	v_addc_co_u32_e32 v1, vcc, 0, v1, vcc
	v_cmp_lt_i64_e32 vcc, s[4:5], v[6:7]
	s_and_b64 vcc, exec, vcc
	s_waitcnt vmcnt(0)
	ds_write2_b64 v17, v[18:19], v[20:21] offset1:1
	s_waitcnt lgkmcnt(0)
	s_barrier
	ds_read_b128 v[18:21], v16
	ds_read_b128 v[22:25], v16 offset:16
	ds_read_b128 v[26:29], v16 offset:32
	;; [unrolled: 1-line block ×3, first 2 shown]
	ds_read_b128 v[34:37], v14
	s_waitcnt lgkmcnt(0)
	v_mul_f64 v[38:39], v[20:21], v[36:37]
	v_fma_f64 v[38:39], v[18:19], v[34:35], -v[38:39]
	v_mul_f64 v[18:19], v[18:19], v[36:37]
	v_fma_f64 v[18:19], v[20:21], v[34:35], v[18:19]
	v_add_f64 v[20:21], v[10:11], v[38:39]
	v_add_f64 v[18:19], v[8:9], v[18:19]
	ds_read_b128 v[8:11], v14 offset:256
	s_waitcnt lgkmcnt(0)
	v_mul_f64 v[34:35], v[24:25], v[10:11]
	v_mul_f64 v[10:11], v[22:23], v[10:11]
	v_fma_f64 v[34:35], v[22:23], v[8:9], -v[34:35]
	v_fma_f64 v[8:9], v[24:25], v[8:9], v[10:11]
	v_add_f64 v[20:21], v[20:21], v[34:35]
	v_add_f64 v[18:19], v[18:19], v[8:9]
	ds_read_b128 v[8:11], v14 offset:512
	s_waitcnt lgkmcnt(0)
	v_mul_f64 v[22:23], v[28:29], v[10:11]
	v_mul_f64 v[10:11], v[26:27], v[10:11]
	v_fma_f64 v[22:23], v[26:27], v[8:9], -v[22:23]
	;; [unrolled: 8-line block ×3, first 2 shown]
	v_fma_f64 v[8:9], v[32:33], v[8:9], v[10:11]
	v_add_f64 v[22:23], v[20:21], v[22:23]
	v_add_f64 v[24:25], v[18:19], v[8:9]
	ds_read_b128 v[8:11], v16 offset:64
	ds_read_b128 v[18:21], v14 offset:1024
	s_waitcnt lgkmcnt(0)
	v_mul_f64 v[26:27], v[10:11], v[20:21]
	v_fma_f64 v[26:27], v[8:9], v[18:19], -v[26:27]
	v_mul_f64 v[8:9], v[8:9], v[20:21]
	v_add_f64 v[22:23], v[22:23], v[26:27]
	v_fma_f64 v[8:9], v[10:11], v[18:19], v[8:9]
	v_add_f64 v[24:25], v[24:25], v[8:9]
	ds_read_b128 v[8:11], v16 offset:80
	ds_read_b128 v[18:21], v14 offset:1280
	s_waitcnt lgkmcnt(0)
	v_mul_f64 v[26:27], v[10:11], v[20:21]
	v_fma_f64 v[26:27], v[8:9], v[18:19], -v[26:27]
	v_mul_f64 v[8:9], v[8:9], v[20:21]
	v_add_f64 v[22:23], v[22:23], v[26:27]
	v_fma_f64 v[8:9], v[10:11], v[18:19], v[8:9]
	;; [unrolled: 9-line block ×11, first 2 shown]
	v_add_f64 v[24:25], v[24:25], v[8:9]
	ds_read_b128 v[8:11], v16 offset:240
	ds_read_b128 v[18:21], v14 offset:3840
	s_waitcnt lgkmcnt(0)
	s_barrier
	v_mul_f64 v[26:27], v[10:11], v[20:21]
	v_fma_f64 v[26:27], v[8:9], v[18:19], -v[26:27]
	v_mul_f64 v[8:9], v[8:9], v[20:21]
	v_fma_f64 v[8:9], v[10:11], v[18:19], v[8:9]
	v_add_f64 v[10:11], v[22:23], v[26:27]
	v_add_f64 v[8:9], v[24:25], v[8:9]
	s_cbranch_vccnz .LBB1356_2
; %bb.3:
	v_cmp_le_i32_e32 vcc, v2, v12
	s_and_saveexec_b64 s[4:5], vcc
	s_cbranch_execz .LBB1356_5
.LBB1356_4:
	v_mul_lo_u32 v4, s1, v12
	v_mul_lo_u32 v5, s0, v13
	v_mad_u64_u32 v[0:1], s[0:1], s0, v12, 0
	s_mul_i32 s3, s3, s8
	s_mul_hi_u32 s4, s2, s8
	s_add_i32 s3, s4, s3
	s_mul_i32 s2, s2, s8
	s_lshl_b64 s[0:1], s[2:3], 4
	v_add3_u32 v1, v1, v5, v4
	s_add_u32 s0, s42, s0
	v_lshlrev_b64 v[0:1], 4, v[0:1]
	s_addc_u32 s1, s43, s1
	v_mov_b32_e32 v4, s1
	v_add_co_u32_e32 v5, vcc, s0, v0
	v_addc_co_u32_e32 v4, vcc, v4, v1, vcc
	v_lshlrev_b64 v[0:1], 4, v[2:3]
	v_add_co_u32_e32 v13, vcc, v5, v0
	v_addc_co_u32_e32 v14, vcc, v4, v1, vcc
	global_load_dwordx4 v[3:6], v[13:14], off
	v_mul_f64 v[0:1], s[14:15], v[8:9]
	v_mul_f64 v[7:8], s[16:17], v[8:9]
	v_cmp_ne_u32_e32 vcc, v2, v12
	v_fma_f64 v[0:1], s[16:17], v[10:11], v[0:1]
	v_fma_f64 v[7:8], s[14:15], v[10:11], -v[7:8]
	s_waitcnt vmcnt(0)
	v_mul_f64 v[15:16], s[38:39], v[5:6]
	v_mul_f64 v[5:6], s[40:41], v[5:6]
	v_fma_f64 v[15:16], s[40:41], v[3:4], v[15:16]
	v_fma_f64 v[3:4], s[38:39], v[3:4], -v[5:6]
	v_add_f64 v[5:6], v[0:1], v[15:16]
	v_add_f64 v[0:1], v[7:8], v[3:4]
	v_cndmask_b32_e32 v3, 0, v6, vcc
	v_cndmask_b32_e32 v2, 0, v5, vcc
	global_store_dwordx4 v[13:14], v[0:3], off
.LBB1356_5:
	s_endpgm
.LBB1356_6:
	v_mov_b32_e32 v8, 0
	v_mov_b32_e32 v10, 0
	;; [unrolled: 1-line block ×4, first 2 shown]
	v_cmp_le_i32_e32 vcc, v2, v12
	s_and_saveexec_b64 s[4:5], vcc
	s_cbranch_execnz .LBB1356_4
	s_branch .LBB1356_5
	.section	.rodata,"a",@progbits
	.p2align	6, 0x0
	.amdhsa_kernel _ZL41rocblas_syrkx_herkx_small_restrict_kernelIl19rocblas_complex_numIdELi16ELb0ELb1ELc84ELc85EKS1_S1_EviT_T0_PT6_S3_lS6_S3_lS4_PT7_S3_li
		.amdhsa_group_segment_fixed_size 8192
		.amdhsa_private_segment_fixed_size 0
		.amdhsa_kernarg_size 124
		.amdhsa_user_sgpr_count 6
		.amdhsa_user_sgpr_private_segment_buffer 1
		.amdhsa_user_sgpr_dispatch_ptr 0
		.amdhsa_user_sgpr_queue_ptr 0
		.amdhsa_user_sgpr_kernarg_segment_ptr 1
		.amdhsa_user_sgpr_dispatch_id 0
		.amdhsa_user_sgpr_flat_scratch_init 0
		.amdhsa_user_sgpr_private_segment_size 0
		.amdhsa_uses_dynamic_stack 0
		.amdhsa_system_sgpr_private_segment_wavefront_offset 0
		.amdhsa_system_sgpr_workgroup_id_x 1
		.amdhsa_system_sgpr_workgroup_id_y 1
		.amdhsa_system_sgpr_workgroup_id_z 1
		.amdhsa_system_sgpr_workgroup_info 0
		.amdhsa_system_vgpr_workitem_id 1
		.amdhsa_next_free_vgpr 40
		.amdhsa_next_free_sgpr 61
		.amdhsa_reserve_vcc 1
		.amdhsa_reserve_flat_scratch 0
		.amdhsa_float_round_mode_32 0
		.amdhsa_float_round_mode_16_64 0
		.amdhsa_float_denorm_mode_32 3
		.amdhsa_float_denorm_mode_16_64 3
		.amdhsa_dx10_clamp 1
		.amdhsa_ieee_mode 1
		.amdhsa_fp16_overflow 0
		.amdhsa_exception_fp_ieee_invalid_op 0
		.amdhsa_exception_fp_denorm_src 0
		.amdhsa_exception_fp_ieee_div_zero 0
		.amdhsa_exception_fp_ieee_overflow 0
		.amdhsa_exception_fp_ieee_underflow 0
		.amdhsa_exception_fp_ieee_inexact 0
		.amdhsa_exception_int_div_zero 0
	.end_amdhsa_kernel
	.section	.text._ZL41rocblas_syrkx_herkx_small_restrict_kernelIl19rocblas_complex_numIdELi16ELb0ELb1ELc84ELc85EKS1_S1_EviT_T0_PT6_S3_lS6_S3_lS4_PT7_S3_li,"axG",@progbits,_ZL41rocblas_syrkx_herkx_small_restrict_kernelIl19rocblas_complex_numIdELi16ELb0ELb1ELc84ELc85EKS1_S1_EviT_T0_PT6_S3_lS6_S3_lS4_PT7_S3_li,comdat
.Lfunc_end1356:
	.size	_ZL41rocblas_syrkx_herkx_small_restrict_kernelIl19rocblas_complex_numIdELi16ELb0ELb1ELc84ELc85EKS1_S1_EviT_T0_PT6_S3_lS6_S3_lS4_PT7_S3_li, .Lfunc_end1356-_ZL41rocblas_syrkx_herkx_small_restrict_kernelIl19rocblas_complex_numIdELi16ELb0ELb1ELc84ELc85EKS1_S1_EviT_T0_PT6_S3_lS6_S3_lS4_PT7_S3_li
                                        ; -- End function
	.set _ZL41rocblas_syrkx_herkx_small_restrict_kernelIl19rocblas_complex_numIdELi16ELb0ELb1ELc84ELc85EKS1_S1_EviT_T0_PT6_S3_lS6_S3_lS4_PT7_S3_li.num_vgpr, 40
	.set _ZL41rocblas_syrkx_herkx_small_restrict_kernelIl19rocblas_complex_numIdELi16ELb0ELb1ELc84ELc85EKS1_S1_EviT_T0_PT6_S3_lS6_S3_lS4_PT7_S3_li.num_agpr, 0
	.set _ZL41rocblas_syrkx_herkx_small_restrict_kernelIl19rocblas_complex_numIdELi16ELb0ELb1ELc84ELc85EKS1_S1_EviT_T0_PT6_S3_lS6_S3_lS4_PT7_S3_li.numbered_sgpr, 44
	.set _ZL41rocblas_syrkx_herkx_small_restrict_kernelIl19rocblas_complex_numIdELi16ELb0ELb1ELc84ELc85EKS1_S1_EviT_T0_PT6_S3_lS6_S3_lS4_PT7_S3_li.num_named_barrier, 0
	.set _ZL41rocblas_syrkx_herkx_small_restrict_kernelIl19rocblas_complex_numIdELi16ELb0ELb1ELc84ELc85EKS1_S1_EviT_T0_PT6_S3_lS6_S3_lS4_PT7_S3_li.private_seg_size, 0
	.set _ZL41rocblas_syrkx_herkx_small_restrict_kernelIl19rocblas_complex_numIdELi16ELb0ELb1ELc84ELc85EKS1_S1_EviT_T0_PT6_S3_lS6_S3_lS4_PT7_S3_li.uses_vcc, 1
	.set _ZL41rocblas_syrkx_herkx_small_restrict_kernelIl19rocblas_complex_numIdELi16ELb0ELb1ELc84ELc85EKS1_S1_EviT_T0_PT6_S3_lS6_S3_lS4_PT7_S3_li.uses_flat_scratch, 0
	.set _ZL41rocblas_syrkx_herkx_small_restrict_kernelIl19rocblas_complex_numIdELi16ELb0ELb1ELc84ELc85EKS1_S1_EviT_T0_PT6_S3_lS6_S3_lS4_PT7_S3_li.has_dyn_sized_stack, 0
	.set _ZL41rocblas_syrkx_herkx_small_restrict_kernelIl19rocblas_complex_numIdELi16ELb0ELb1ELc84ELc85EKS1_S1_EviT_T0_PT6_S3_lS6_S3_lS4_PT7_S3_li.has_recursion, 0
	.set _ZL41rocblas_syrkx_herkx_small_restrict_kernelIl19rocblas_complex_numIdELi16ELb0ELb1ELc84ELc85EKS1_S1_EviT_T0_PT6_S3_lS6_S3_lS4_PT7_S3_li.has_indirect_call, 0
	.section	.AMDGPU.csdata,"",@progbits
; Kernel info:
; codeLenInByte = 1748
; TotalNumSgprs: 48
; NumVgprs: 40
; ScratchSize: 0
; MemoryBound: 0
; FloatMode: 240
; IeeeMode: 1
; LDSByteSize: 8192 bytes/workgroup (compile time only)
; SGPRBlocks: 8
; VGPRBlocks: 9
; NumSGPRsForWavesPerEU: 65
; NumVGPRsForWavesPerEU: 40
; Occupancy: 6
; WaveLimiterHint : 0
; COMPUTE_PGM_RSRC2:SCRATCH_EN: 0
; COMPUTE_PGM_RSRC2:USER_SGPR: 6
; COMPUTE_PGM_RSRC2:TRAP_HANDLER: 0
; COMPUTE_PGM_RSRC2:TGID_X_EN: 1
; COMPUTE_PGM_RSRC2:TGID_Y_EN: 1
; COMPUTE_PGM_RSRC2:TGID_Z_EN: 1
; COMPUTE_PGM_RSRC2:TIDIG_COMP_CNT: 1
	.section	.text._ZL41rocblas_syrkx_herkx_small_restrict_kernelIl19rocblas_complex_numIdELi16ELb0ELb1ELc67ELc85EKS1_S1_EviT_T0_PT6_S3_lS6_S3_lS4_PT7_S3_li,"axG",@progbits,_ZL41rocblas_syrkx_herkx_small_restrict_kernelIl19rocblas_complex_numIdELi16ELb0ELb1ELc67ELc85EKS1_S1_EviT_T0_PT6_S3_lS6_S3_lS4_PT7_S3_li,comdat
	.globl	_ZL41rocblas_syrkx_herkx_small_restrict_kernelIl19rocblas_complex_numIdELi16ELb0ELb1ELc67ELc85EKS1_S1_EviT_T0_PT6_S3_lS6_S3_lS4_PT7_S3_li ; -- Begin function _ZL41rocblas_syrkx_herkx_small_restrict_kernelIl19rocblas_complex_numIdELi16ELb0ELb1ELc67ELc85EKS1_S1_EviT_T0_PT6_S3_lS6_S3_lS4_PT7_S3_li
	.p2align	8
	.type	_ZL41rocblas_syrkx_herkx_small_restrict_kernelIl19rocblas_complex_numIdELi16ELb0ELb1ELc67ELc85EKS1_S1_EviT_T0_PT6_S3_lS6_S3_lS4_PT7_S3_li,@function
_ZL41rocblas_syrkx_herkx_small_restrict_kernelIl19rocblas_complex_numIdELi16ELb0ELb1ELc67ELc85EKS1_S1_EviT_T0_PT6_S3_lS6_S3_lS4_PT7_S3_li: ; @_ZL41rocblas_syrkx_herkx_small_restrict_kernelIl19rocblas_complex_numIdELi16ELb0ELb1ELc67ELc85EKS1_S1_EviT_T0_PT6_S3_lS6_S3_lS4_PT7_S3_li
; %bb.0:
	s_load_dwordx16 s[12:27], s[4:5], 0x8
	s_load_dwordx4 s[0:3], s[4:5], 0x68
	s_load_dwordx8 s[36:43], s[4:5], 0x48
	v_lshl_add_u32 v2, s6, 4, v0
	v_lshl_add_u32 v12, s7, 4, v1
	s_waitcnt lgkmcnt(0)
	v_cmp_lt_i64_e64 s[4:5], s[12:13], 1
	v_ashrrev_i32_e32 v3, 31, v2
	s_and_b64 vcc, exec, s[4:5]
	v_ashrrev_i32_e32 v13, 31, v12
	s_cbranch_vccnz .LBB1357_6
; %bb.1:
	v_lshlrev_b32_e32 v14, 4, v0
	v_mul_lo_u32 v0, s27, v12
	v_mul_lo_u32 v7, s26, v13
	v_mad_u64_u32 v[4:5], s[4:5], s26, v12, 0
	s_mul_i32 s4, s37, s8
	s_mul_hi_u32 s5, s36, s8
	v_add3_u32 v5, v5, v7, v0
	v_lshlrev_b64 v[4:5], 4, v[4:5]
	s_add_i32 s5, s5, s4
	s_mul_i32 s4, s36, s8
	v_lshlrev_b32_e32 v6, 8, v1
	s_lshl_b64 s[4:5], s[4:5], 4
	v_add_u32_e32 v15, v14, v6
	v_add_u32_e32 v16, 0x1000, v6
	v_mov_b32_e32 v0, s5
	v_add_co_u32_e32 v4, vcc, s4, v4
	v_mul_lo_u32 v8, s21, v2
	v_mul_lo_u32 v9, s20, v3
	v_mad_u64_u32 v[6:7], s[4:5], s20, v2, 0
	v_addc_co_u32_e32 v0, vcc, v5, v0, vcc
	v_add_co_u32_e32 v4, vcc, v4, v14
	v_addc_co_u32_e32 v0, vcc, 0, v0, vcc
	v_add3_u32 v7, v7, v9, v8
	s_mul_i32 s4, s23, s8
	s_mul_hi_u32 s5, s22, s8
	v_mov_b32_e32 v5, s25
	v_add_co_u32_e32 v4, vcc, s24, v4
	v_lshlrev_b64 v[6:7], 4, v[6:7]
	s_add_i32 s5, s5, s4
	s_mul_i32 s4, s22, s8
	v_addc_co_u32_e32 v5, vcc, v5, v0, vcc
	s_lshl_b64 s[4:5], s[4:5], 4
	v_mov_b32_e32 v0, s5
	v_add_co_u32_e32 v6, vcc, s4, v6
	v_addc_co_u32_e32 v0, vcc, v7, v0, vcc
	v_lshlrev_b32_e32 v1, 4, v1
	v_add_co_u32_e32 v1, vcc, v6, v1
	v_addc_co_u32_e32 v0, vcc, 0, v0, vcc
	v_mov_b32_e32 v6, s19
	v_add_co_u32_e32 v1, vcc, s18, v1
	v_addc_co_u32_e32 v6, vcc, v6, v0, vcc
	v_add_co_u32_e32 v0, vcc, 8, v1
	v_addc_co_u32_e32 v1, vcc, 0, v6, vcc
	v_mov_b32_e32 v8, 0
	v_mov_b32_e32 v10, 0
	;; [unrolled: 1-line block ×3, first 2 shown]
	v_add_u32_e32 v17, v16, v14
	v_mov_b32_e32 v9, 0
	s_mov_b64 s[4:5], 0
	v_mov_b32_e32 v11, 0
	v_mov_b32_e32 v7, s13
.LBB1357_2:                             ; =>This Inner Loop Header: Depth=1
	global_load_dwordx4 v[18:21], v[0:1], off offset:-8
	s_add_u32 s4, s4, 16
	s_addc_u32 s5, s5, 0
	s_waitcnt vmcnt(0)
	v_xor_b32_e32 v21, 0x80000000, v21
	ds_write_b128 v15, v[18:21]
	global_load_dwordx4 v[18:21], v[4:5], off
	v_add_co_u32_e32 v4, vcc, 0x100, v4
	v_addc_co_u32_e32 v5, vcc, 0, v5, vcc
	v_add_co_u32_e32 v0, vcc, 0x100, v0
	v_addc_co_u32_e32 v1, vcc, 0, v1, vcc
	v_cmp_lt_i64_e32 vcc, s[4:5], v[6:7]
	s_and_b64 vcc, exec, vcc
	s_waitcnt vmcnt(0)
	ds_write2_b64 v17, v[18:19], v[20:21] offset1:1
	s_waitcnt lgkmcnt(0)
	s_barrier
	ds_read_b128 v[18:21], v16
	ds_read_b128 v[22:25], v16 offset:16
	ds_read_b128 v[26:29], v16 offset:32
	;; [unrolled: 1-line block ×3, first 2 shown]
	ds_read_b128 v[34:37], v14
	s_waitcnt lgkmcnt(0)
	v_mul_f64 v[38:39], v[20:21], v[36:37]
	v_fma_f64 v[38:39], v[18:19], v[34:35], -v[38:39]
	v_mul_f64 v[18:19], v[18:19], v[36:37]
	v_fma_f64 v[18:19], v[20:21], v[34:35], v[18:19]
	v_add_f64 v[20:21], v[10:11], v[38:39]
	v_add_f64 v[18:19], v[8:9], v[18:19]
	ds_read_b128 v[8:11], v14 offset:256
	s_waitcnt lgkmcnt(0)
	v_mul_f64 v[34:35], v[24:25], v[10:11]
	v_mul_f64 v[10:11], v[22:23], v[10:11]
	v_fma_f64 v[34:35], v[22:23], v[8:9], -v[34:35]
	v_fma_f64 v[8:9], v[24:25], v[8:9], v[10:11]
	v_add_f64 v[20:21], v[20:21], v[34:35]
	v_add_f64 v[18:19], v[18:19], v[8:9]
	ds_read_b128 v[8:11], v14 offset:512
	s_waitcnt lgkmcnt(0)
	v_mul_f64 v[22:23], v[28:29], v[10:11]
	v_mul_f64 v[10:11], v[26:27], v[10:11]
	v_fma_f64 v[22:23], v[26:27], v[8:9], -v[22:23]
	;; [unrolled: 8-line block ×3, first 2 shown]
	v_fma_f64 v[8:9], v[32:33], v[8:9], v[10:11]
	v_add_f64 v[22:23], v[20:21], v[22:23]
	v_add_f64 v[24:25], v[18:19], v[8:9]
	ds_read_b128 v[8:11], v16 offset:64
	ds_read_b128 v[18:21], v14 offset:1024
	s_waitcnt lgkmcnt(0)
	v_mul_f64 v[26:27], v[10:11], v[20:21]
	v_fma_f64 v[26:27], v[8:9], v[18:19], -v[26:27]
	v_mul_f64 v[8:9], v[8:9], v[20:21]
	v_add_f64 v[22:23], v[22:23], v[26:27]
	v_fma_f64 v[8:9], v[10:11], v[18:19], v[8:9]
	v_add_f64 v[24:25], v[24:25], v[8:9]
	ds_read_b128 v[8:11], v16 offset:80
	ds_read_b128 v[18:21], v14 offset:1280
	s_waitcnt lgkmcnt(0)
	v_mul_f64 v[26:27], v[10:11], v[20:21]
	v_fma_f64 v[26:27], v[8:9], v[18:19], -v[26:27]
	v_mul_f64 v[8:9], v[8:9], v[20:21]
	v_add_f64 v[22:23], v[22:23], v[26:27]
	v_fma_f64 v[8:9], v[10:11], v[18:19], v[8:9]
	;; [unrolled: 9-line block ×11, first 2 shown]
	v_add_f64 v[24:25], v[24:25], v[8:9]
	ds_read_b128 v[8:11], v16 offset:240
	ds_read_b128 v[18:21], v14 offset:3840
	s_waitcnt lgkmcnt(0)
	s_barrier
	v_mul_f64 v[26:27], v[10:11], v[20:21]
	v_fma_f64 v[26:27], v[8:9], v[18:19], -v[26:27]
	v_mul_f64 v[8:9], v[8:9], v[20:21]
	v_fma_f64 v[8:9], v[10:11], v[18:19], v[8:9]
	v_add_f64 v[10:11], v[22:23], v[26:27]
	v_add_f64 v[8:9], v[24:25], v[8:9]
	s_cbranch_vccnz .LBB1357_2
; %bb.3:
	v_cmp_le_i32_e32 vcc, v2, v12
	s_and_saveexec_b64 s[4:5], vcc
	s_cbranch_execz .LBB1357_5
.LBB1357_4:
	v_mul_lo_u32 v4, s1, v12
	v_mul_lo_u32 v5, s0, v13
	v_mad_u64_u32 v[0:1], s[0:1], s0, v12, 0
	s_mul_i32 s3, s3, s8
	s_mul_hi_u32 s4, s2, s8
	s_add_i32 s3, s4, s3
	s_mul_i32 s2, s2, s8
	s_lshl_b64 s[0:1], s[2:3], 4
	v_add3_u32 v1, v1, v5, v4
	s_add_u32 s0, s42, s0
	v_lshlrev_b64 v[0:1], 4, v[0:1]
	s_addc_u32 s1, s43, s1
	v_mov_b32_e32 v4, s1
	v_add_co_u32_e32 v5, vcc, s0, v0
	v_addc_co_u32_e32 v4, vcc, v4, v1, vcc
	v_lshlrev_b64 v[0:1], 4, v[2:3]
	v_add_co_u32_e32 v13, vcc, v5, v0
	v_addc_co_u32_e32 v14, vcc, v4, v1, vcc
	global_load_dwordx4 v[3:6], v[13:14], off
	v_mul_f64 v[0:1], s[14:15], v[8:9]
	v_mul_f64 v[7:8], s[16:17], v[8:9]
	v_cmp_ne_u32_e32 vcc, v2, v12
	v_fma_f64 v[0:1], s[16:17], v[10:11], v[0:1]
	v_fma_f64 v[7:8], s[14:15], v[10:11], -v[7:8]
	s_waitcnt vmcnt(0)
	v_mul_f64 v[15:16], s[38:39], v[5:6]
	v_mul_f64 v[5:6], s[40:41], v[5:6]
	v_fma_f64 v[15:16], s[40:41], v[3:4], v[15:16]
	v_fma_f64 v[3:4], s[38:39], v[3:4], -v[5:6]
	v_add_f64 v[5:6], v[0:1], v[15:16]
	v_add_f64 v[0:1], v[7:8], v[3:4]
	v_cndmask_b32_e32 v3, 0, v6, vcc
	v_cndmask_b32_e32 v2, 0, v5, vcc
	global_store_dwordx4 v[13:14], v[0:3], off
.LBB1357_5:
	s_endpgm
.LBB1357_6:
	v_mov_b32_e32 v8, 0
	v_mov_b32_e32 v10, 0
	;; [unrolled: 1-line block ×4, first 2 shown]
	v_cmp_le_i32_e32 vcc, v2, v12
	s_and_saveexec_b64 s[4:5], vcc
	s_cbranch_execnz .LBB1357_4
	s_branch .LBB1357_5
	.section	.rodata,"a",@progbits
	.p2align	6, 0x0
	.amdhsa_kernel _ZL41rocblas_syrkx_herkx_small_restrict_kernelIl19rocblas_complex_numIdELi16ELb0ELb1ELc67ELc85EKS1_S1_EviT_T0_PT6_S3_lS6_S3_lS4_PT7_S3_li
		.amdhsa_group_segment_fixed_size 8192
		.amdhsa_private_segment_fixed_size 0
		.amdhsa_kernarg_size 124
		.amdhsa_user_sgpr_count 6
		.amdhsa_user_sgpr_private_segment_buffer 1
		.amdhsa_user_sgpr_dispatch_ptr 0
		.amdhsa_user_sgpr_queue_ptr 0
		.amdhsa_user_sgpr_kernarg_segment_ptr 1
		.amdhsa_user_sgpr_dispatch_id 0
		.amdhsa_user_sgpr_flat_scratch_init 0
		.amdhsa_user_sgpr_private_segment_size 0
		.amdhsa_uses_dynamic_stack 0
		.amdhsa_system_sgpr_private_segment_wavefront_offset 0
		.amdhsa_system_sgpr_workgroup_id_x 1
		.amdhsa_system_sgpr_workgroup_id_y 1
		.amdhsa_system_sgpr_workgroup_id_z 1
		.amdhsa_system_sgpr_workgroup_info 0
		.amdhsa_system_vgpr_workitem_id 1
		.amdhsa_next_free_vgpr 40
		.amdhsa_next_free_sgpr 61
		.amdhsa_reserve_vcc 1
		.amdhsa_reserve_flat_scratch 0
		.amdhsa_float_round_mode_32 0
		.amdhsa_float_round_mode_16_64 0
		.amdhsa_float_denorm_mode_32 3
		.amdhsa_float_denorm_mode_16_64 3
		.amdhsa_dx10_clamp 1
		.amdhsa_ieee_mode 1
		.amdhsa_fp16_overflow 0
		.amdhsa_exception_fp_ieee_invalid_op 0
		.amdhsa_exception_fp_denorm_src 0
		.amdhsa_exception_fp_ieee_div_zero 0
		.amdhsa_exception_fp_ieee_overflow 0
		.amdhsa_exception_fp_ieee_underflow 0
		.amdhsa_exception_fp_ieee_inexact 0
		.amdhsa_exception_int_div_zero 0
	.end_amdhsa_kernel
	.section	.text._ZL41rocblas_syrkx_herkx_small_restrict_kernelIl19rocblas_complex_numIdELi16ELb0ELb1ELc67ELc85EKS1_S1_EviT_T0_PT6_S3_lS6_S3_lS4_PT7_S3_li,"axG",@progbits,_ZL41rocblas_syrkx_herkx_small_restrict_kernelIl19rocblas_complex_numIdELi16ELb0ELb1ELc67ELc85EKS1_S1_EviT_T0_PT6_S3_lS6_S3_lS4_PT7_S3_li,comdat
.Lfunc_end1357:
	.size	_ZL41rocblas_syrkx_herkx_small_restrict_kernelIl19rocblas_complex_numIdELi16ELb0ELb1ELc67ELc85EKS1_S1_EviT_T0_PT6_S3_lS6_S3_lS4_PT7_S3_li, .Lfunc_end1357-_ZL41rocblas_syrkx_herkx_small_restrict_kernelIl19rocblas_complex_numIdELi16ELb0ELb1ELc67ELc85EKS1_S1_EviT_T0_PT6_S3_lS6_S3_lS4_PT7_S3_li
                                        ; -- End function
	.set _ZL41rocblas_syrkx_herkx_small_restrict_kernelIl19rocblas_complex_numIdELi16ELb0ELb1ELc67ELc85EKS1_S1_EviT_T0_PT6_S3_lS6_S3_lS4_PT7_S3_li.num_vgpr, 40
	.set _ZL41rocblas_syrkx_herkx_small_restrict_kernelIl19rocblas_complex_numIdELi16ELb0ELb1ELc67ELc85EKS1_S1_EviT_T0_PT6_S3_lS6_S3_lS4_PT7_S3_li.num_agpr, 0
	.set _ZL41rocblas_syrkx_herkx_small_restrict_kernelIl19rocblas_complex_numIdELi16ELb0ELb1ELc67ELc85EKS1_S1_EviT_T0_PT6_S3_lS6_S3_lS4_PT7_S3_li.numbered_sgpr, 44
	.set _ZL41rocblas_syrkx_herkx_small_restrict_kernelIl19rocblas_complex_numIdELi16ELb0ELb1ELc67ELc85EKS1_S1_EviT_T0_PT6_S3_lS6_S3_lS4_PT7_S3_li.num_named_barrier, 0
	.set _ZL41rocblas_syrkx_herkx_small_restrict_kernelIl19rocblas_complex_numIdELi16ELb0ELb1ELc67ELc85EKS1_S1_EviT_T0_PT6_S3_lS6_S3_lS4_PT7_S3_li.private_seg_size, 0
	.set _ZL41rocblas_syrkx_herkx_small_restrict_kernelIl19rocblas_complex_numIdELi16ELb0ELb1ELc67ELc85EKS1_S1_EviT_T0_PT6_S3_lS6_S3_lS4_PT7_S3_li.uses_vcc, 1
	.set _ZL41rocblas_syrkx_herkx_small_restrict_kernelIl19rocblas_complex_numIdELi16ELb0ELb1ELc67ELc85EKS1_S1_EviT_T0_PT6_S3_lS6_S3_lS4_PT7_S3_li.uses_flat_scratch, 0
	.set _ZL41rocblas_syrkx_herkx_small_restrict_kernelIl19rocblas_complex_numIdELi16ELb0ELb1ELc67ELc85EKS1_S1_EviT_T0_PT6_S3_lS6_S3_lS4_PT7_S3_li.has_dyn_sized_stack, 0
	.set _ZL41rocblas_syrkx_herkx_small_restrict_kernelIl19rocblas_complex_numIdELi16ELb0ELb1ELc67ELc85EKS1_S1_EviT_T0_PT6_S3_lS6_S3_lS4_PT7_S3_li.has_recursion, 0
	.set _ZL41rocblas_syrkx_herkx_small_restrict_kernelIl19rocblas_complex_numIdELi16ELb0ELb1ELc67ELc85EKS1_S1_EviT_T0_PT6_S3_lS6_S3_lS4_PT7_S3_li.has_indirect_call, 0
	.section	.AMDGPU.csdata,"",@progbits
; Kernel info:
; codeLenInByte = 1764
; TotalNumSgprs: 48
; NumVgprs: 40
; ScratchSize: 0
; MemoryBound: 0
; FloatMode: 240
; IeeeMode: 1
; LDSByteSize: 8192 bytes/workgroup (compile time only)
; SGPRBlocks: 8
; VGPRBlocks: 9
; NumSGPRsForWavesPerEU: 65
; NumVGPRsForWavesPerEU: 40
; Occupancy: 6
; WaveLimiterHint : 0
; COMPUTE_PGM_RSRC2:SCRATCH_EN: 0
; COMPUTE_PGM_RSRC2:USER_SGPR: 6
; COMPUTE_PGM_RSRC2:TRAP_HANDLER: 0
; COMPUTE_PGM_RSRC2:TGID_X_EN: 1
; COMPUTE_PGM_RSRC2:TGID_Y_EN: 1
; COMPUTE_PGM_RSRC2:TGID_Z_EN: 1
; COMPUTE_PGM_RSRC2:TIDIG_COMP_CNT: 1
	.section	.text._ZL41rocblas_syrkx_herkx_small_restrict_kernelIl19rocblas_complex_numIdELi16ELb0ELb1ELc78ELc85EKS1_S1_EviT_T0_PT6_S3_lS6_S3_lS4_PT7_S3_li,"axG",@progbits,_ZL41rocblas_syrkx_herkx_small_restrict_kernelIl19rocblas_complex_numIdELi16ELb0ELb1ELc78ELc85EKS1_S1_EviT_T0_PT6_S3_lS6_S3_lS4_PT7_S3_li,comdat
	.globl	_ZL41rocblas_syrkx_herkx_small_restrict_kernelIl19rocblas_complex_numIdELi16ELb0ELb1ELc78ELc85EKS1_S1_EviT_T0_PT6_S3_lS6_S3_lS4_PT7_S3_li ; -- Begin function _ZL41rocblas_syrkx_herkx_small_restrict_kernelIl19rocblas_complex_numIdELi16ELb0ELb1ELc78ELc85EKS1_S1_EviT_T0_PT6_S3_lS6_S3_lS4_PT7_S3_li
	.p2align	8
	.type	_ZL41rocblas_syrkx_herkx_small_restrict_kernelIl19rocblas_complex_numIdELi16ELb0ELb1ELc78ELc85EKS1_S1_EviT_T0_PT6_S3_lS6_S3_lS4_PT7_S3_li,@function
_ZL41rocblas_syrkx_herkx_small_restrict_kernelIl19rocblas_complex_numIdELi16ELb0ELb1ELc78ELc85EKS1_S1_EviT_T0_PT6_S3_lS6_S3_lS4_PT7_S3_li: ; @_ZL41rocblas_syrkx_herkx_small_restrict_kernelIl19rocblas_complex_numIdELi16ELb0ELb1ELc78ELc85EKS1_S1_EviT_T0_PT6_S3_lS6_S3_lS4_PT7_S3_li
; %bb.0:
	s_load_dwordx16 s[12:27], s[4:5], 0x8
	s_load_dwordx4 s[0:3], s[4:5], 0x68
	s_load_dwordx8 s[36:43], s[4:5], 0x48
	v_lshl_add_u32 v2, s6, 4, v0
	v_lshl_add_u32 v4, s7, 4, v1
	s_waitcnt lgkmcnt(0)
	v_cmp_lt_i64_e64 s[4:5], s[12:13], 1
	v_ashrrev_i32_e32 v3, 31, v2
	s_and_b64 vcc, exec, s[4:5]
	v_ashrrev_i32_e32 v5, 31, v4
	s_cbranch_vccnz .LBB1358_6
; %bb.1:
	v_lshlrev_b32_e32 v6, 8, v1
	v_lshlrev_b32_e32 v14, 4, v0
	v_add_u32_e32 v15, v14, v6
	v_add_u32_e32 v16, 0x1000, v6
	v_mad_u64_u32 v[6:7], s[4:5], s26, v0, 0
	s_mul_i32 s6, s37, s8
	s_mul_hi_u32 s7, s36, s8
	v_mad_u64_u32 v[7:8], s[4:5], s27, v0, v[7:8]
	s_add_i32 s5, s7, s6
	s_mul_i32 s4, s36, s8
	v_lshlrev_b64 v[6:7], 4, v[6:7]
	s_lshl_b64 s[4:5], s[4:5], 4
	v_mov_b32_e32 v0, s5
	v_add_co_u32_e32 v8, vcc, s4, v6
	v_addc_co_u32_e32 v0, vcc, v0, v7, vcc
	v_lshlrev_b64 v[6:7], 4, v[4:5]
	s_mul_i32 s9, s23, s8
	v_add_co_u32_e32 v6, vcc, v8, v6
	v_addc_co_u32_e32 v0, vcc, v0, v7, vcc
	v_mad_u64_u32 v[8:9], s[4:5], s20, v1, 0
	v_mov_b32_e32 v7, s25
	v_add_co_u32_e32 v6, vcc, s24, v6
	v_addc_co_u32_e32 v0, vcc, v7, v0, vcc
	v_add_co_u32_e32 v6, vcc, 8, v6
	v_addc_co_u32_e32 v7, vcc, 0, v0, vcc
	v_mov_b32_e32 v0, v9
	v_mad_u64_u32 v[0:1], s[6:7], s21, v1, v[0:1]
	s_mul_hi_u32 s10, s22, s8
	s_add_i32 s7, s10, s9
	v_mov_b32_e32 v9, v0
	s_mul_i32 s6, s22, s8
	v_lshlrev_b64 v[0:1], 4, v[8:9]
	s_lshl_b64 s[6:7], s[6:7], 4
	v_mov_b32_e32 v8, s7
	v_add_co_u32_e32 v9, vcc, s6, v0
	v_addc_co_u32_e32 v8, vcc, v8, v1, vcc
	v_lshlrev_b64 v[0:1], 4, v[2:3]
	s_lshl_b64 s[4:5], s[26:27], 8
	v_add_co_u32_e32 v0, vcc, v9, v0
	v_addc_co_u32_e32 v1, vcc, v8, v1, vcc
	v_mov_b32_e32 v8, s19
	v_add_co_u32_e32 v0, vcc, s18, v0
	v_addc_co_u32_e32 v1, vcc, v8, v1, vcc
	s_lshl_b64 s[6:7], s[20:21], 8
	v_mov_b32_e32 v10, 0
	v_mov_b32_e32 v12, 0
	;; [unrolled: 1-line block ×3, first 2 shown]
	v_add_u32_e32 v17, v16, v14
	v_mov_b32_e32 v11, 0
	s_mov_b64 s[10:11], 0
	v_mov_b32_e32 v18, s5
	v_mov_b32_e32 v19, s7
	;; [unrolled: 1-line block ×4, first 2 shown]
.LBB1358_2:                             ; =>This Inner Loop Header: Depth=1
	global_load_dwordx4 v[20:23], v[0:1], off
	s_add_u32 s10, s10, 16
	s_addc_u32 s11, s11, 0
	s_waitcnt vmcnt(0)
	ds_write2_b64 v15, v[20:21], v[22:23] offset1:1
	global_load_dwordx4 v[20:23], v[6:7], off offset:-8
	v_add_co_u32_e32 v6, vcc, s4, v6
	v_addc_co_u32_e32 v7, vcc, v7, v18, vcc
	v_add_co_u32_e32 v0, vcc, s6, v0
	v_addc_co_u32_e32 v1, vcc, v1, v19, vcc
	v_cmp_lt_i64_e32 vcc, s[10:11], v[8:9]
	s_and_b64 vcc, exec, vcc
	s_waitcnt vmcnt(0)
	v_xor_b32_e32 v23, 0x80000000, v23
	ds_write_b128 v17, v[20:23]
	s_waitcnt lgkmcnt(0)
	s_barrier
	ds_read_b128 v[20:23], v16
	ds_read_b128 v[24:27], v16 offset:16
	ds_read_b128 v[28:31], v16 offset:32
	;; [unrolled: 1-line block ×3, first 2 shown]
	ds_read_b128 v[36:39], v14
	s_waitcnt lgkmcnt(0)
	v_mul_f64 v[40:41], v[22:23], v[38:39]
	v_fma_f64 v[40:41], v[20:21], v[36:37], -v[40:41]
	v_mul_f64 v[20:21], v[20:21], v[38:39]
	v_fma_f64 v[20:21], v[22:23], v[36:37], v[20:21]
	v_add_f64 v[22:23], v[12:13], v[40:41]
	v_add_f64 v[20:21], v[10:11], v[20:21]
	ds_read_b128 v[10:13], v14 offset:256
	s_waitcnt lgkmcnt(0)
	v_mul_f64 v[36:37], v[26:27], v[12:13]
	v_mul_f64 v[12:13], v[24:25], v[12:13]
	v_fma_f64 v[36:37], v[24:25], v[10:11], -v[36:37]
	v_fma_f64 v[10:11], v[26:27], v[10:11], v[12:13]
	v_add_f64 v[22:23], v[22:23], v[36:37]
	v_add_f64 v[20:21], v[20:21], v[10:11]
	ds_read_b128 v[10:13], v14 offset:512
	s_waitcnt lgkmcnt(0)
	v_mul_f64 v[24:25], v[30:31], v[12:13]
	v_mul_f64 v[12:13], v[28:29], v[12:13]
	v_fma_f64 v[24:25], v[28:29], v[10:11], -v[24:25]
	;; [unrolled: 8-line block ×3, first 2 shown]
	v_fma_f64 v[10:11], v[34:35], v[10:11], v[12:13]
	v_add_f64 v[24:25], v[22:23], v[24:25]
	v_add_f64 v[26:27], v[20:21], v[10:11]
	ds_read_b128 v[10:13], v16 offset:64
	ds_read_b128 v[20:23], v14 offset:1024
	s_waitcnt lgkmcnt(0)
	v_mul_f64 v[28:29], v[12:13], v[22:23]
	v_fma_f64 v[28:29], v[10:11], v[20:21], -v[28:29]
	v_mul_f64 v[10:11], v[10:11], v[22:23]
	v_add_f64 v[24:25], v[24:25], v[28:29]
	v_fma_f64 v[10:11], v[12:13], v[20:21], v[10:11]
	v_add_f64 v[26:27], v[26:27], v[10:11]
	ds_read_b128 v[10:13], v16 offset:80
	ds_read_b128 v[20:23], v14 offset:1280
	s_waitcnt lgkmcnt(0)
	v_mul_f64 v[28:29], v[12:13], v[22:23]
	v_fma_f64 v[28:29], v[10:11], v[20:21], -v[28:29]
	v_mul_f64 v[10:11], v[10:11], v[22:23]
	v_add_f64 v[24:25], v[24:25], v[28:29]
	v_fma_f64 v[10:11], v[12:13], v[20:21], v[10:11]
	;; [unrolled: 9-line block ×11, first 2 shown]
	v_add_f64 v[26:27], v[26:27], v[10:11]
	ds_read_b128 v[10:13], v16 offset:240
	ds_read_b128 v[20:23], v14 offset:3840
	s_waitcnt lgkmcnt(0)
	s_barrier
	v_mul_f64 v[28:29], v[12:13], v[22:23]
	v_fma_f64 v[28:29], v[10:11], v[20:21], -v[28:29]
	v_mul_f64 v[10:11], v[10:11], v[22:23]
	v_fma_f64 v[10:11], v[12:13], v[20:21], v[10:11]
	v_add_f64 v[12:13], v[24:25], v[28:29]
	v_add_f64 v[10:11], v[26:27], v[10:11]
	s_cbranch_vccnz .LBB1358_2
; %bb.3:
	v_cmp_le_i32_e32 vcc, v2, v4
	s_and_saveexec_b64 s[4:5], vcc
	s_cbranch_execz .LBB1358_5
.LBB1358_4:
	v_mul_lo_u32 v6, s1, v4
	v_mul_lo_u32 v5, s0, v5
	v_mad_u64_u32 v[0:1], s[0:1], s0, v4, 0
	s_mul_i32 s3, s3, s8
	s_mul_hi_u32 s4, s2, s8
	s_add_i32 s3, s4, s3
	s_mul_i32 s2, s2, s8
	s_lshl_b64 s[0:1], s[2:3], 4
	v_add3_u32 v1, v1, v5, v6
	s_add_u32 s0, s42, s0
	v_lshlrev_b64 v[0:1], 4, v[0:1]
	s_addc_u32 s1, s43, s1
	v_mov_b32_e32 v5, s1
	v_add_co_u32_e32 v6, vcc, s0, v0
	v_addc_co_u32_e32 v5, vcc, v5, v1, vcc
	v_lshlrev_b64 v[0:1], 4, v[2:3]
	v_add_co_u32_e32 v14, vcc, v6, v0
	v_addc_co_u32_e32 v15, vcc, v5, v1, vcc
	global_load_dwordx4 v[5:8], v[14:15], off
	v_mul_f64 v[0:1], s[14:15], v[10:11]
	v_mul_f64 v[9:10], s[16:17], v[10:11]
	v_cmp_ne_u32_e32 vcc, v2, v4
	v_fma_f64 v[0:1], s[16:17], v[12:13], v[0:1]
	v_fma_f64 v[9:10], s[14:15], v[12:13], -v[9:10]
	s_waitcnt vmcnt(0)
	v_mul_f64 v[16:17], s[38:39], v[7:8]
	v_mul_f64 v[7:8], s[40:41], v[7:8]
	v_fma_f64 v[16:17], s[40:41], v[5:6], v[16:17]
	v_fma_f64 v[5:6], s[38:39], v[5:6], -v[7:8]
	v_add_f64 v[7:8], v[0:1], v[16:17]
	v_add_f64 v[0:1], v[9:10], v[5:6]
	v_cndmask_b32_e32 v3, 0, v8, vcc
	v_cndmask_b32_e32 v2, 0, v7, vcc
	global_store_dwordx4 v[14:15], v[0:3], off
.LBB1358_5:
	s_endpgm
.LBB1358_6:
	v_mov_b32_e32 v10, 0
	v_mov_b32_e32 v12, 0
	;; [unrolled: 1-line block ×4, first 2 shown]
	v_cmp_le_i32_e32 vcc, v2, v4
	s_and_saveexec_b64 s[4:5], vcc
	s_cbranch_execnz .LBB1358_4
	s_branch .LBB1358_5
	.section	.rodata,"a",@progbits
	.p2align	6, 0x0
	.amdhsa_kernel _ZL41rocblas_syrkx_herkx_small_restrict_kernelIl19rocblas_complex_numIdELi16ELb0ELb1ELc78ELc85EKS1_S1_EviT_T0_PT6_S3_lS6_S3_lS4_PT7_S3_li
		.amdhsa_group_segment_fixed_size 8192
		.amdhsa_private_segment_fixed_size 0
		.amdhsa_kernarg_size 124
		.amdhsa_user_sgpr_count 6
		.amdhsa_user_sgpr_private_segment_buffer 1
		.amdhsa_user_sgpr_dispatch_ptr 0
		.amdhsa_user_sgpr_queue_ptr 0
		.amdhsa_user_sgpr_kernarg_segment_ptr 1
		.amdhsa_user_sgpr_dispatch_id 0
		.amdhsa_user_sgpr_flat_scratch_init 0
		.amdhsa_user_sgpr_private_segment_size 0
		.amdhsa_uses_dynamic_stack 0
		.amdhsa_system_sgpr_private_segment_wavefront_offset 0
		.amdhsa_system_sgpr_workgroup_id_x 1
		.amdhsa_system_sgpr_workgroup_id_y 1
		.amdhsa_system_sgpr_workgroup_id_z 1
		.amdhsa_system_sgpr_workgroup_info 0
		.amdhsa_system_vgpr_workitem_id 1
		.amdhsa_next_free_vgpr 42
		.amdhsa_next_free_sgpr 61
		.amdhsa_reserve_vcc 1
		.amdhsa_reserve_flat_scratch 0
		.amdhsa_float_round_mode_32 0
		.amdhsa_float_round_mode_16_64 0
		.amdhsa_float_denorm_mode_32 3
		.amdhsa_float_denorm_mode_16_64 3
		.amdhsa_dx10_clamp 1
		.amdhsa_ieee_mode 1
		.amdhsa_fp16_overflow 0
		.amdhsa_exception_fp_ieee_invalid_op 0
		.amdhsa_exception_fp_denorm_src 0
		.amdhsa_exception_fp_ieee_div_zero 0
		.amdhsa_exception_fp_ieee_overflow 0
		.amdhsa_exception_fp_ieee_underflow 0
		.amdhsa_exception_fp_ieee_inexact 0
		.amdhsa_exception_int_div_zero 0
	.end_amdhsa_kernel
	.section	.text._ZL41rocblas_syrkx_herkx_small_restrict_kernelIl19rocblas_complex_numIdELi16ELb0ELb1ELc78ELc85EKS1_S1_EviT_T0_PT6_S3_lS6_S3_lS4_PT7_S3_li,"axG",@progbits,_ZL41rocblas_syrkx_herkx_small_restrict_kernelIl19rocblas_complex_numIdELi16ELb0ELb1ELc78ELc85EKS1_S1_EviT_T0_PT6_S3_lS6_S3_lS4_PT7_S3_li,comdat
.Lfunc_end1358:
	.size	_ZL41rocblas_syrkx_herkx_small_restrict_kernelIl19rocblas_complex_numIdELi16ELb0ELb1ELc78ELc85EKS1_S1_EviT_T0_PT6_S3_lS6_S3_lS4_PT7_S3_li, .Lfunc_end1358-_ZL41rocblas_syrkx_herkx_small_restrict_kernelIl19rocblas_complex_numIdELi16ELb0ELb1ELc78ELc85EKS1_S1_EviT_T0_PT6_S3_lS6_S3_lS4_PT7_S3_li
                                        ; -- End function
	.set _ZL41rocblas_syrkx_herkx_small_restrict_kernelIl19rocblas_complex_numIdELi16ELb0ELb1ELc78ELc85EKS1_S1_EviT_T0_PT6_S3_lS6_S3_lS4_PT7_S3_li.num_vgpr, 42
	.set _ZL41rocblas_syrkx_herkx_small_restrict_kernelIl19rocblas_complex_numIdELi16ELb0ELb1ELc78ELc85EKS1_S1_EviT_T0_PT6_S3_lS6_S3_lS4_PT7_S3_li.num_agpr, 0
	.set _ZL41rocblas_syrkx_herkx_small_restrict_kernelIl19rocblas_complex_numIdELi16ELb0ELb1ELc78ELc85EKS1_S1_EviT_T0_PT6_S3_lS6_S3_lS4_PT7_S3_li.numbered_sgpr, 44
	.set _ZL41rocblas_syrkx_herkx_small_restrict_kernelIl19rocblas_complex_numIdELi16ELb0ELb1ELc78ELc85EKS1_S1_EviT_T0_PT6_S3_lS6_S3_lS4_PT7_S3_li.num_named_barrier, 0
	.set _ZL41rocblas_syrkx_herkx_small_restrict_kernelIl19rocblas_complex_numIdELi16ELb0ELb1ELc78ELc85EKS1_S1_EviT_T0_PT6_S3_lS6_S3_lS4_PT7_S3_li.private_seg_size, 0
	.set _ZL41rocblas_syrkx_herkx_small_restrict_kernelIl19rocblas_complex_numIdELi16ELb0ELb1ELc78ELc85EKS1_S1_EviT_T0_PT6_S3_lS6_S3_lS4_PT7_S3_li.uses_vcc, 1
	.set _ZL41rocblas_syrkx_herkx_small_restrict_kernelIl19rocblas_complex_numIdELi16ELb0ELb1ELc78ELc85EKS1_S1_EviT_T0_PT6_S3_lS6_S3_lS4_PT7_S3_li.uses_flat_scratch, 0
	.set _ZL41rocblas_syrkx_herkx_small_restrict_kernelIl19rocblas_complex_numIdELi16ELb0ELb1ELc78ELc85EKS1_S1_EviT_T0_PT6_S3_lS6_S3_lS4_PT7_S3_li.has_dyn_sized_stack, 0
	.set _ZL41rocblas_syrkx_herkx_small_restrict_kernelIl19rocblas_complex_numIdELi16ELb0ELb1ELc78ELc85EKS1_S1_EviT_T0_PT6_S3_lS6_S3_lS4_PT7_S3_li.has_recursion, 0
	.set _ZL41rocblas_syrkx_herkx_small_restrict_kernelIl19rocblas_complex_numIdELi16ELb0ELb1ELc78ELc85EKS1_S1_EviT_T0_PT6_S3_lS6_S3_lS4_PT7_S3_li.has_indirect_call, 0
	.section	.AMDGPU.csdata,"",@progbits
; Kernel info:
; codeLenInByte = 1760
; TotalNumSgprs: 48
; NumVgprs: 42
; ScratchSize: 0
; MemoryBound: 0
; FloatMode: 240
; IeeeMode: 1
; LDSByteSize: 8192 bytes/workgroup (compile time only)
; SGPRBlocks: 8
; VGPRBlocks: 10
; NumSGPRsForWavesPerEU: 65
; NumVGPRsForWavesPerEU: 42
; Occupancy: 5
; WaveLimiterHint : 0
; COMPUTE_PGM_RSRC2:SCRATCH_EN: 0
; COMPUTE_PGM_RSRC2:USER_SGPR: 6
; COMPUTE_PGM_RSRC2:TRAP_HANDLER: 0
; COMPUTE_PGM_RSRC2:TGID_X_EN: 1
; COMPUTE_PGM_RSRC2:TGID_Y_EN: 1
; COMPUTE_PGM_RSRC2:TGID_Z_EN: 1
; COMPUTE_PGM_RSRC2:TIDIG_COMP_CNT: 1
	.section	.text._ZL32rocblas_syrkx_herkx_small_kernelIl19rocblas_complex_numIdELi16ELb1ELb1ELc84ELc76EKS1_S1_EviT_T0_PT6_S3_lS6_S3_lS4_PT7_S3_li,"axG",@progbits,_ZL32rocblas_syrkx_herkx_small_kernelIl19rocblas_complex_numIdELi16ELb1ELb1ELc84ELc76EKS1_S1_EviT_T0_PT6_S3_lS6_S3_lS4_PT7_S3_li,comdat
	.globl	_ZL32rocblas_syrkx_herkx_small_kernelIl19rocblas_complex_numIdELi16ELb1ELb1ELc84ELc76EKS1_S1_EviT_T0_PT6_S3_lS6_S3_lS4_PT7_S3_li ; -- Begin function _ZL32rocblas_syrkx_herkx_small_kernelIl19rocblas_complex_numIdELi16ELb1ELb1ELc84ELc76EKS1_S1_EviT_T0_PT6_S3_lS6_S3_lS4_PT7_S3_li
	.p2align	8
	.type	_ZL32rocblas_syrkx_herkx_small_kernelIl19rocblas_complex_numIdELi16ELb1ELb1ELc84ELc76EKS1_S1_EviT_T0_PT6_S3_lS6_S3_lS4_PT7_S3_li,@function
_ZL32rocblas_syrkx_herkx_small_kernelIl19rocblas_complex_numIdELi16ELb1ELb1ELc84ELc76EKS1_S1_EviT_T0_PT6_S3_lS6_S3_lS4_PT7_S3_li: ; @_ZL32rocblas_syrkx_herkx_small_kernelIl19rocblas_complex_numIdELi16ELb1ELb1ELc84ELc76EKS1_S1_EviT_T0_PT6_S3_lS6_S3_lS4_PT7_S3_li
; %bb.0:
	s_load_dwordx16 s[12:27], s[4:5], 0x8
	s_load_dword s9, s[4:5], 0x0
	v_lshl_add_u32 v6, s6, 4, v0
	v_lshl_add_u32 v18, s7, 4, v1
	v_ashrrev_i32_e32 v7, 31, v6
	s_waitcnt lgkmcnt(0)
	v_cmp_lt_i64_e64 s[0:1], s[12:13], 1
	v_ashrrev_i32_e32 v19, 31, v18
	s_and_b64 vcc, exec, s[0:1]
	v_cmp_gt_i32_e64 s[0:1], s9, v6
	s_cbranch_vccnz .LBB1359_11
; %bb.1:
	s_load_dwordx2 s[2:3], s[4:5], 0x48
	v_mul_lo_u32 v8, s27, v18
	v_mul_lo_u32 v9, s26, v19
	v_mad_u64_u32 v[3:4], s[6:7], s26, v18, 0
	s_waitcnt lgkmcnt(0)
	s_mul_i32 s3, s3, s8
	s_mul_hi_u32 s6, s2, s8
	v_add3_u32 v4, v4, v9, v8
	v_lshlrev_b64 v[3:4], 4, v[3:4]
	s_add_i32 s3, s6, s3
	s_mul_i32 s2, s2, s8
	v_lshlrev_b32_e32 v5, 8, v1
	v_lshlrev_b32_e32 v20, 4, v0
	s_lshl_b64 s[2:3], s[2:3], 4
	v_add_u32_e32 v21, v20, v5
	v_add_u32_e32 v22, 0x1000, v5
	v_mov_b32_e32 v5, s3
	v_add_co_u32_e64 v3, s[2:3], s2, v3
	v_addc_co_u32_e64 v4, s[2:3], v4, v5, s[2:3]
	v_add_co_u32_e64 v5, s[2:3], v3, v20
	v_addc_co_u32_e64 v9, s[2:3], 0, v4, s[2:3]
	v_mul_lo_u32 v11, s21, v6
	v_mul_lo_u32 v12, s20, v7
	v_mad_u64_u32 v[3:4], s[2:3], s20, v6, 0
	v_mov_b32_e32 v10, s25
	v_add_co_u32_e64 v8, s[2:3], s24, v5
	v_addc_co_u32_e64 v9, s[2:3], v10, v9, s[2:3]
	v_add3_u32 v4, v4, v12, v11
	s_mul_i32 s2, s23, s8
	s_mul_hi_u32 s3, s22, s8
	v_lshlrev_b64 v[3:4], 4, v[3:4]
	s_add_i32 s3, s3, s2
	s_mul_i32 s2, s22, s8
	s_lshl_b64 s[2:3], s[2:3], 4
	v_mov_b32_e32 v5, s3
	v_add_co_u32_e64 v3, s[2:3], s2, v3
	v_addc_co_u32_e64 v4, s[2:3], v4, v5, s[2:3]
	v_lshlrev_b32_e32 v5, 4, v1
	v_add_co_u32_e64 v3, s[2:3], v3, v5
	v_addc_co_u32_e64 v4, s[2:3], 0, v4, s[2:3]
	v_mov_b32_e32 v5, s19
	v_add_co_u32_e64 v10, s[2:3], s18, v3
	v_cmp_gt_i32_e32 vcc, s9, v18
	v_addc_co_u32_e64 v11, s[2:3], v5, v4, s[2:3]
	v_mov_b32_e32 v14, 0
	v_mov_b32_e32 v16, 0
	v_mov_b32_e32 v12, s12
	v_mov_b32_e32 v2, 0
	v_add_u32_e32 v23, v22, v20
	v_mov_b32_e32 v15, 0
	s_mov_b64 s[2:3], 0
	s_xor_b64 s[0:1], s[0:1], -1
	s_xor_b64 s[6:7], vcc, -1
	v_mov_b32_e32 v17, 0
	v_mov_b32_e32 v13, s13
	s_branch .LBB1359_3
.LBB1359_2:                             ;   in Loop: Header=BB1359_3 Depth=1
	s_or_b64 exec, exec, s[10:11]
	s_waitcnt lgkmcnt(0)
	s_barrier
	ds_read_b128 v[24:27], v22
	ds_read_b128 v[28:31], v22 offset:16
	ds_read_b128 v[32:35], v22 offset:32
	ds_read_b128 v[36:39], v22 offset:48
	ds_read_b128 v[40:43], v20
	v_add_co_u32_e32 v8, vcc, 0x100, v8
	v_addc_co_u32_e32 v9, vcc, 0, v9, vcc
	s_waitcnt lgkmcnt(0)
	v_mul_f64 v[3:4], v[26:27], v[42:43]
	s_add_u32 s2, s2, 16
	v_add_co_u32_e32 v10, vcc, 0x100, v10
	s_addc_u32 s3, s3, 0
	v_addc_co_u32_e32 v11, vcc, 0, v11, vcc
	v_cmp_ge_i64_e32 vcc, s[2:3], v[12:13]
	v_fma_f64 v[3:4], v[24:25], v[40:41], -v[3:4]
	v_mul_f64 v[24:25], v[24:25], v[42:43]
	s_and_b64 vcc, exec, vcc
	v_add_f64 v[3:4], v[16:17], v[3:4]
	v_fma_f64 v[24:25], v[26:27], v[40:41], v[24:25]
	v_add_f64 v[24:25], v[14:15], v[24:25]
	ds_read_b128 v[14:17], v20 offset:256
	s_waitcnt lgkmcnt(0)
	v_mul_f64 v[26:27], v[30:31], v[16:17]
	v_mul_f64 v[16:17], v[28:29], v[16:17]
	v_fma_f64 v[26:27], v[28:29], v[14:15], -v[26:27]
	v_fma_f64 v[14:15], v[30:31], v[14:15], v[16:17]
	v_add_f64 v[3:4], v[3:4], v[26:27]
	v_add_f64 v[24:25], v[24:25], v[14:15]
	ds_read_b128 v[14:17], v20 offset:512
	s_waitcnt lgkmcnt(0)
	v_mul_f64 v[26:27], v[34:35], v[16:17]
	v_mul_f64 v[16:17], v[32:33], v[16:17]
	v_fma_f64 v[26:27], v[32:33], v[14:15], -v[26:27]
	v_fma_f64 v[14:15], v[34:35], v[14:15], v[16:17]
	v_add_f64 v[3:4], v[3:4], v[26:27]
	;; [unrolled: 8-line block ×3, first 2 shown]
	v_add_f64 v[28:29], v[24:25], v[14:15]
	ds_read_b128 v[14:17], v22 offset:64
	ds_read_b128 v[24:27], v20 offset:1024
	s_waitcnt lgkmcnt(0)
	v_mul_f64 v[30:31], v[16:17], v[26:27]
	v_fma_f64 v[30:31], v[14:15], v[24:25], -v[30:31]
	v_mul_f64 v[14:15], v[14:15], v[26:27]
	v_add_f64 v[3:4], v[3:4], v[30:31]
	v_fma_f64 v[14:15], v[16:17], v[24:25], v[14:15]
	v_add_f64 v[28:29], v[28:29], v[14:15]
	ds_read_b128 v[14:17], v22 offset:80
	ds_read_b128 v[24:27], v20 offset:1280
	s_waitcnt lgkmcnt(0)
	v_mul_f64 v[30:31], v[16:17], v[26:27]
	v_fma_f64 v[30:31], v[14:15], v[24:25], -v[30:31]
	v_mul_f64 v[14:15], v[14:15], v[26:27]
	v_add_f64 v[3:4], v[3:4], v[30:31]
	v_fma_f64 v[14:15], v[16:17], v[24:25], v[14:15]
	;; [unrolled: 9-line block ×11, first 2 shown]
	v_add_f64 v[28:29], v[28:29], v[14:15]
	ds_read_b128 v[14:17], v22 offset:240
	ds_read_b128 v[24:27], v20 offset:3840
	s_waitcnt lgkmcnt(0)
	s_barrier
	v_mul_f64 v[30:31], v[16:17], v[26:27]
	v_fma_f64 v[30:31], v[14:15], v[24:25], -v[30:31]
	v_mul_f64 v[14:15], v[14:15], v[26:27]
	v_fma_f64 v[14:15], v[16:17], v[24:25], v[14:15]
	v_add_f64 v[16:17], v[3:4], v[30:31]
	v_add_f64 v[14:15], v[28:29], v[14:15]
	s_cbranch_vccnz .LBB1359_12
.LBB1359_3:                             ; =>This Inner Loop Header: Depth=1
	v_mov_b32_e32 v4, s3
	v_add_co_u32_e32 v3, vcc, s2, v1
	v_addc_co_u32_e32 v4, vcc, 0, v4, vcc
	v_cmp_le_i64_e32 vcc, s[12:13], v[3:4]
	s_or_b64 s[10:11], s[0:1], vcc
	s_and_saveexec_b64 s[18:19], s[10:11]
	s_xor_b64 s[10:11], exec, s[18:19]
; %bb.4:                                ;   in Loop: Header=BB1359_3 Depth=1
	v_mov_b32_e32 v3, v2
	v_mov_b32_e32 v4, v2
	v_mov_b32_e32 v5, v2
	ds_write_b128 v21, v[2:5]
; %bb.5:                                ;   in Loop: Header=BB1359_3 Depth=1
	s_andn2_saveexec_b64 s[10:11], s[10:11]
	s_cbranch_execz .LBB1359_7
; %bb.6:                                ;   in Loop: Header=BB1359_3 Depth=1
	global_load_dwordx4 v[24:27], v[10:11], off
	s_waitcnt vmcnt(0)
	ds_write2_b64 v21, v[24:25], v[26:27] offset1:1
.LBB1359_7:                             ;   in Loop: Header=BB1359_3 Depth=1
	s_or_b64 exec, exec, s[10:11]
	v_mov_b32_e32 v4, s3
	v_add_co_u32_e32 v3, vcc, s2, v0
	v_addc_co_u32_e32 v4, vcc, 0, v4, vcc
	v_cmp_le_i64_e32 vcc, s[12:13], v[3:4]
	s_or_b64 s[10:11], s[6:7], vcc
	s_and_saveexec_b64 s[18:19], s[10:11]
	s_xor_b64 s[10:11], exec, s[18:19]
; %bb.8:                                ;   in Loop: Header=BB1359_3 Depth=1
	v_mov_b32_e32 v3, v2
	v_mov_b32_e32 v4, v2
	;; [unrolled: 1-line block ×3, first 2 shown]
	ds_write_b128 v23, v[2:5]
; %bb.9:                                ;   in Loop: Header=BB1359_3 Depth=1
	s_andn2_saveexec_b64 s[10:11], s[10:11]
	s_cbranch_execz .LBB1359_2
; %bb.10:                               ;   in Loop: Header=BB1359_3 Depth=1
	global_load_dwordx4 v[24:27], v[8:9], off
	s_waitcnt vmcnt(0)
	ds_write2_b64 v23, v[24:25], v[26:27] offset1:1
	s_branch .LBB1359_2
.LBB1359_11:
	v_mov_b32_e32 v14, 0
	v_mov_b32_e32 v16, 0
	;; [unrolled: 1-line block ×4, first 2 shown]
.LBB1359_12:
	v_cmp_le_i32_e32 vcc, v18, v6
	v_cmp_gt_i32_e64 s[0:1], s9, v6
	s_and_b64 s[0:1], vcc, s[0:1]
	s_and_saveexec_b64 s[2:3], s[0:1]
	s_cbranch_execz .LBB1359_14
; %bb.13:
	s_load_dwordx2 s[6:7], s[4:5], 0x70
	s_load_dwordx4 s[0:3], s[4:5], 0x60
	v_mul_f64 v[2:3], s[14:15], v[14:15]
	v_mul_f64 v[0:1], s[16:17], v[14:15]
	s_waitcnt lgkmcnt(0)
	s_mul_i32 s5, s7, s8
	v_mul_lo_u32 v8, s3, v18
	v_mul_lo_u32 v9, s2, v19
	v_mad_u64_u32 v[4:5], s[2:3], s2, v18, 0
	s_mul_hi_u32 s7, s6, s8
	s_mul_i32 s4, s6, s8
	s_add_i32 s5, s7, s5
	s_lshl_b64 s[4:5], s[4:5], 4
	v_add3_u32 v5, v5, v9, v8
	s_add_u32 s0, s0, s4
	v_fma_f64 v[2:3], s[16:17], v[16:17], v[2:3]
	v_lshlrev_b64 v[4:5], 4, v[4:5]
	s_addc_u32 s1, s1, s5
	v_fma_f64 v[0:1], s[14:15], v[16:17], -v[0:1]
	v_mov_b32_e32 v8, s1
	v_add_co_u32_e32 v9, vcc, s0, v4
	v_addc_co_u32_e32 v8, vcc, v8, v5, vcc
	v_lshlrev_b64 v[4:5], 4, v[6:7]
	v_add_co_u32_e32 v4, vcc, v9, v4
	v_addc_co_u32_e32 v5, vcc, v8, v5, vcc
	v_cmp_ne_u32_e32 vcc, v6, v18
	v_cndmask_b32_e32 v3, 0, v3, vcc
	v_cndmask_b32_e32 v2, 0, v2, vcc
	global_store_dwordx4 v[4:5], v[0:3], off
.LBB1359_14:
	s_endpgm
	.section	.rodata,"a",@progbits
	.p2align	6, 0x0
	.amdhsa_kernel _ZL32rocblas_syrkx_herkx_small_kernelIl19rocblas_complex_numIdELi16ELb1ELb1ELc84ELc76EKS1_S1_EviT_T0_PT6_S3_lS6_S3_lS4_PT7_S3_li
		.amdhsa_group_segment_fixed_size 8192
		.amdhsa_private_segment_fixed_size 0
		.amdhsa_kernarg_size 124
		.amdhsa_user_sgpr_count 6
		.amdhsa_user_sgpr_private_segment_buffer 1
		.amdhsa_user_sgpr_dispatch_ptr 0
		.amdhsa_user_sgpr_queue_ptr 0
		.amdhsa_user_sgpr_kernarg_segment_ptr 1
		.amdhsa_user_sgpr_dispatch_id 0
		.amdhsa_user_sgpr_flat_scratch_init 0
		.amdhsa_user_sgpr_private_segment_size 0
		.amdhsa_uses_dynamic_stack 0
		.amdhsa_system_sgpr_private_segment_wavefront_offset 0
		.amdhsa_system_sgpr_workgroup_id_x 1
		.amdhsa_system_sgpr_workgroup_id_y 1
		.amdhsa_system_sgpr_workgroup_id_z 1
		.amdhsa_system_sgpr_workgroup_info 0
		.amdhsa_system_vgpr_workitem_id 1
		.amdhsa_next_free_vgpr 44
		.amdhsa_next_free_sgpr 61
		.amdhsa_reserve_vcc 1
		.amdhsa_reserve_flat_scratch 0
		.amdhsa_float_round_mode_32 0
		.amdhsa_float_round_mode_16_64 0
		.amdhsa_float_denorm_mode_32 3
		.amdhsa_float_denorm_mode_16_64 3
		.amdhsa_dx10_clamp 1
		.amdhsa_ieee_mode 1
		.amdhsa_fp16_overflow 0
		.amdhsa_exception_fp_ieee_invalid_op 0
		.amdhsa_exception_fp_denorm_src 0
		.amdhsa_exception_fp_ieee_div_zero 0
		.amdhsa_exception_fp_ieee_overflow 0
		.amdhsa_exception_fp_ieee_underflow 0
		.amdhsa_exception_fp_ieee_inexact 0
		.amdhsa_exception_int_div_zero 0
	.end_amdhsa_kernel
	.section	.text._ZL32rocblas_syrkx_herkx_small_kernelIl19rocblas_complex_numIdELi16ELb1ELb1ELc84ELc76EKS1_S1_EviT_T0_PT6_S3_lS6_S3_lS4_PT7_S3_li,"axG",@progbits,_ZL32rocblas_syrkx_herkx_small_kernelIl19rocblas_complex_numIdELi16ELb1ELb1ELc84ELc76EKS1_S1_EviT_T0_PT6_S3_lS6_S3_lS4_PT7_S3_li,comdat
.Lfunc_end1359:
	.size	_ZL32rocblas_syrkx_herkx_small_kernelIl19rocblas_complex_numIdELi16ELb1ELb1ELc84ELc76EKS1_S1_EviT_T0_PT6_S3_lS6_S3_lS4_PT7_S3_li, .Lfunc_end1359-_ZL32rocblas_syrkx_herkx_small_kernelIl19rocblas_complex_numIdELi16ELb1ELb1ELc84ELc76EKS1_S1_EviT_T0_PT6_S3_lS6_S3_lS4_PT7_S3_li
                                        ; -- End function
	.set _ZL32rocblas_syrkx_herkx_small_kernelIl19rocblas_complex_numIdELi16ELb1ELb1ELc84ELc76EKS1_S1_EviT_T0_PT6_S3_lS6_S3_lS4_PT7_S3_li.num_vgpr, 44
	.set _ZL32rocblas_syrkx_herkx_small_kernelIl19rocblas_complex_numIdELi16ELb1ELb1ELc84ELc76EKS1_S1_EviT_T0_PT6_S3_lS6_S3_lS4_PT7_S3_li.num_agpr, 0
	.set _ZL32rocblas_syrkx_herkx_small_kernelIl19rocblas_complex_numIdELi16ELb1ELb1ELc84ELc76EKS1_S1_EviT_T0_PT6_S3_lS6_S3_lS4_PT7_S3_li.numbered_sgpr, 28
	.set _ZL32rocblas_syrkx_herkx_small_kernelIl19rocblas_complex_numIdELi16ELb1ELb1ELc84ELc76EKS1_S1_EviT_T0_PT6_S3_lS6_S3_lS4_PT7_S3_li.num_named_barrier, 0
	.set _ZL32rocblas_syrkx_herkx_small_kernelIl19rocblas_complex_numIdELi16ELb1ELb1ELc84ELc76EKS1_S1_EviT_T0_PT6_S3_lS6_S3_lS4_PT7_S3_li.private_seg_size, 0
	.set _ZL32rocblas_syrkx_herkx_small_kernelIl19rocblas_complex_numIdELi16ELb1ELb1ELc84ELc76EKS1_S1_EviT_T0_PT6_S3_lS6_S3_lS4_PT7_S3_li.uses_vcc, 1
	.set _ZL32rocblas_syrkx_herkx_small_kernelIl19rocblas_complex_numIdELi16ELb1ELb1ELc84ELc76EKS1_S1_EviT_T0_PT6_S3_lS6_S3_lS4_PT7_S3_li.uses_flat_scratch, 0
	.set _ZL32rocblas_syrkx_herkx_small_kernelIl19rocblas_complex_numIdELi16ELb1ELb1ELc84ELc76EKS1_S1_EviT_T0_PT6_S3_lS6_S3_lS4_PT7_S3_li.has_dyn_sized_stack, 0
	.set _ZL32rocblas_syrkx_herkx_small_kernelIl19rocblas_complex_numIdELi16ELb1ELb1ELc84ELc76EKS1_S1_EviT_T0_PT6_S3_lS6_S3_lS4_PT7_S3_li.has_recursion, 0
	.set _ZL32rocblas_syrkx_herkx_small_kernelIl19rocblas_complex_numIdELi16ELb1ELb1ELc84ELc76EKS1_S1_EviT_T0_PT6_S3_lS6_S3_lS4_PT7_S3_li.has_indirect_call, 0
	.section	.AMDGPU.csdata,"",@progbits
; Kernel info:
; codeLenInByte = 1908
; TotalNumSgprs: 32
; NumVgprs: 44
; ScratchSize: 0
; MemoryBound: 0
; FloatMode: 240
; IeeeMode: 1
; LDSByteSize: 8192 bytes/workgroup (compile time only)
; SGPRBlocks: 8
; VGPRBlocks: 10
; NumSGPRsForWavesPerEU: 65
; NumVGPRsForWavesPerEU: 44
; Occupancy: 5
; WaveLimiterHint : 0
; COMPUTE_PGM_RSRC2:SCRATCH_EN: 0
; COMPUTE_PGM_RSRC2:USER_SGPR: 6
; COMPUTE_PGM_RSRC2:TRAP_HANDLER: 0
; COMPUTE_PGM_RSRC2:TGID_X_EN: 1
; COMPUTE_PGM_RSRC2:TGID_Y_EN: 1
; COMPUTE_PGM_RSRC2:TGID_Z_EN: 1
; COMPUTE_PGM_RSRC2:TIDIG_COMP_CNT: 1
	.section	.text._ZL32rocblas_syrkx_herkx_small_kernelIl19rocblas_complex_numIdELi16ELb1ELb1ELc67ELc76EKS1_S1_EviT_T0_PT6_S3_lS6_S3_lS4_PT7_S3_li,"axG",@progbits,_ZL32rocblas_syrkx_herkx_small_kernelIl19rocblas_complex_numIdELi16ELb1ELb1ELc67ELc76EKS1_S1_EviT_T0_PT6_S3_lS6_S3_lS4_PT7_S3_li,comdat
	.globl	_ZL32rocblas_syrkx_herkx_small_kernelIl19rocblas_complex_numIdELi16ELb1ELb1ELc67ELc76EKS1_S1_EviT_T0_PT6_S3_lS6_S3_lS4_PT7_S3_li ; -- Begin function _ZL32rocblas_syrkx_herkx_small_kernelIl19rocblas_complex_numIdELi16ELb1ELb1ELc67ELc76EKS1_S1_EviT_T0_PT6_S3_lS6_S3_lS4_PT7_S3_li
	.p2align	8
	.type	_ZL32rocblas_syrkx_herkx_small_kernelIl19rocblas_complex_numIdELi16ELb1ELb1ELc67ELc76EKS1_S1_EviT_T0_PT6_S3_lS6_S3_lS4_PT7_S3_li,@function
_ZL32rocblas_syrkx_herkx_small_kernelIl19rocblas_complex_numIdELi16ELb1ELb1ELc67ELc76EKS1_S1_EviT_T0_PT6_S3_lS6_S3_lS4_PT7_S3_li: ; @_ZL32rocblas_syrkx_herkx_small_kernelIl19rocblas_complex_numIdELi16ELb1ELb1ELc67ELc76EKS1_S1_EviT_T0_PT6_S3_lS6_S3_lS4_PT7_S3_li
; %bb.0:
	s_load_dwordx16 s[12:27], s[4:5], 0x8
	s_load_dword s9, s[4:5], 0x0
	v_lshl_add_u32 v7, s6, 4, v0
	v_lshl_add_u32 v19, s7, 4, v1
	v_ashrrev_i32_e32 v8, 31, v7
	s_waitcnt lgkmcnt(0)
	v_cmp_lt_i64_e64 s[0:1], s[12:13], 1
	v_ashrrev_i32_e32 v20, 31, v19
	s_and_b64 vcc, exec, s[0:1]
	v_cmp_gt_i32_e64 s[0:1], s9, v7
	s_cbranch_vccnz .LBB1360_9
; %bb.1:
	s_load_dwordx2 s[2:3], s[4:5], 0x48
	v_mul_lo_u32 v6, s27, v19
	v_mul_lo_u32 v9, s26, v20
	v_mad_u64_u32 v[3:4], s[6:7], s26, v19, 0
	s_waitcnt lgkmcnt(0)
	s_mul_i32 s3, s3, s8
	s_mul_hi_u32 s6, s2, s8
	v_add3_u32 v4, v4, v9, v6
	v_lshlrev_b64 v[3:4], 4, v[3:4]
	s_add_i32 s3, s6, s3
	s_mul_i32 s2, s2, s8
	v_lshlrev_b32_e32 v5, 8, v1
	v_lshlrev_b32_e32 v21, 4, v0
	s_lshl_b64 s[2:3], s[2:3], 4
	v_add_u32_e32 v22, v21, v5
	v_add_u32_e32 v23, 0x1000, v5
	v_mov_b32_e32 v5, s3
	v_add_co_u32_e64 v3, s[2:3], s2, v3
	v_addc_co_u32_e64 v4, s[2:3], v4, v5, s[2:3]
	v_add_co_u32_e64 v5, s[2:3], v3, v21
	v_addc_co_u32_e64 v6, s[2:3], 0, v4, s[2:3]
	v_mul_lo_u32 v11, s21, v7
	v_mul_lo_u32 v12, s20, v8
	v_mad_u64_u32 v[3:4], s[2:3], s20, v7, 0
	v_mov_b32_e32 v10, s25
	v_add_co_u32_e64 v9, s[2:3], s24, v5
	v_addc_co_u32_e64 v10, s[2:3], v10, v6, s[2:3]
	v_add3_u32 v4, v4, v12, v11
	s_mul_i32 s2, s23, s8
	s_mul_hi_u32 s3, s22, s8
	v_lshlrev_b64 v[3:4], 4, v[3:4]
	s_add_i32 s3, s3, s2
	s_mul_i32 s2, s22, s8
	s_lshl_b64 s[2:3], s[2:3], 4
	v_mov_b32_e32 v5, s3
	v_add_co_u32_e64 v3, s[2:3], s2, v3
	v_addc_co_u32_e64 v4, s[2:3], v4, v5, s[2:3]
	v_lshlrev_b32_e32 v5, 4, v1
	v_add_co_u32_e64 v3, s[2:3], v3, v5
	v_addc_co_u32_e64 v4, s[2:3], 0, v4, s[2:3]
	v_mov_b32_e32 v5, s19
	v_add_co_u32_e64 v3, s[2:3], s18, v3
	v_addc_co_u32_e64 v4, s[2:3], v5, v4, s[2:3]
	v_cmp_gt_i32_e32 vcc, s9, v19
	v_add_co_u32_e64 v11, s[2:3], 8, v3
	v_mov_b32_e32 v15, 0
	v_mov_b32_e32 v17, 0
	;; [unrolled: 1-line block ×4, first 2 shown]
	v_add_u32_e32 v24, v23, v21
	v_addc_co_u32_e64 v12, s[2:3], 0, v4, s[2:3]
	v_mov_b32_e32 v16, 0
	s_mov_b64 s[6:7], 0
	s_xor_b64 s[10:11], vcc, -1
	v_mov_b32_e32 v18, 0
	v_mov_b32_e32 v13, s12
	s_branch .LBB1360_3
.LBB1360_2:                             ;   in Loop: Header=BB1360_3 Depth=1
	s_or_b64 exec, exec, s[2:3]
	s_waitcnt lgkmcnt(0)
	s_barrier
	ds_read_b128 v[3:6], v21
	ds_read_b128 v[25:28], v23
	ds_read_b128 v[29:32], v23 offset:16
	ds_read_b128 v[33:36], v21 offset:256
	s_add_u32 s6, s6, 16
	v_add_co_u32_e32 v9, vcc, 0x100, v9
	s_waitcnt lgkmcnt(2)
	v_mul_f64 v[39:40], v[27:28], v[5:6]
	v_mul_f64 v[5:6], v[25:26], v[5:6]
	s_waitcnt lgkmcnt(0)
	v_mul_f64 v[43:44], v[31:32], v[35:36]
	v_mul_f64 v[45:46], v[29:30], v[35:36]
	ds_read_b128 v[35:38], v21 offset:512
	s_addc_u32 s7, s7, 0
	v_addc_co_u32_e32 v10, vcc, 0, v10, vcc
	v_fma_f64 v[47:48], v[25:26], v[3:4], -v[39:40]
	v_fma_f64 v[49:50], v[27:28], v[3:4], v[5:6]
	ds_read_b128 v[3:6], v23 offset:32
	ds_read_b128 v[25:28], v23 offset:48
	;; [unrolled: 1-line block ×3, first 2 shown]
	v_fma_f64 v[29:30], v[29:30], v[33:34], -v[43:44]
	v_fma_f64 v[31:32], v[31:32], v[33:34], v[45:46]
	s_waitcnt lgkmcnt(2)
	v_mul_f64 v[33:34], v[5:6], v[37:38]
	v_mul_f64 v[37:38], v[3:4], v[37:38]
	v_add_co_u32_e32 v11, vcc, 0x100, v11
	v_add_f64 v[43:44], v[17:18], v[47:48]
	v_add_f64 v[45:46], v[15:16], v[49:50]
	s_waitcnt lgkmcnt(0)
	v_mul_f64 v[47:48], v[27:28], v[41:42]
	v_mul_f64 v[41:42], v[25:26], v[41:42]
	v_fma_f64 v[49:50], v[3:4], v[35:36], -v[33:34]
	v_fma_f64 v[37:38], v[5:6], v[35:36], v[37:38]
	ds_read_b128 v[15:18], v21 offset:1024
	v_cmp_ge_i64_e64 s[2:3], s[6:7], v[13:14]
	v_add_f64 v[43:44], v[43:44], v[29:30]
	v_add_f64 v[45:46], v[45:46], v[31:32]
	ds_read_b128 v[3:6], v23 offset:64
	ds_read_b128 v[29:32], v23 offset:80
	;; [unrolled: 1-line block ×3, first 2 shown]
	v_fma_f64 v[47:48], v[25:26], v[39:40], -v[47:48]
	v_fma_f64 v[39:40], v[27:28], v[39:40], v[41:42]
	s_waitcnt lgkmcnt(2)
	v_mul_f64 v[41:42], v[5:6], v[17:18]
	v_mul_f64 v[17:18], v[3:4], v[17:18]
	ds_read_b128 v[25:28], v21 offset:1536
	v_add_f64 v[43:44], v[43:44], v[49:50]
	v_add_f64 v[37:38], v[45:46], v[37:38]
	s_waitcnt lgkmcnt(1)
	v_mul_f64 v[45:46], v[31:32], v[35:36]
	v_mul_f64 v[49:50], v[29:30], v[35:36]
	v_addc_co_u32_e32 v12, vcc, 0, v12, vcc
	v_fma_f64 v[41:42], v[3:4], v[15:16], -v[41:42]
	v_fma_f64 v[51:52], v[5:6], v[15:16], v[17:18]
	v_add_f64 v[43:44], v[43:44], v[47:48]
	v_add_f64 v[39:40], v[37:38], v[39:40]
	ds_read_b128 v[3:6], v23 offset:96
	ds_read_b128 v[15:18], v23 offset:112
	;; [unrolled: 1-line block ×3, first 2 shown]
	v_fma_f64 v[45:46], v[29:30], v[33:34], -v[45:46]
	v_fma_f64 v[31:32], v[31:32], v[33:34], v[49:50]
	s_waitcnt lgkmcnt(2)
	v_mul_f64 v[33:34], v[5:6], v[27:28]
	v_mul_f64 v[47:48], v[3:4], v[27:28]
	s_waitcnt lgkmcnt(0)
	v_mul_f64 v[49:50], v[15:16], v[37:38]
	v_add_f64 v[41:42], v[43:44], v[41:42]
	v_add_f64 v[39:40], v[39:40], v[51:52]
	v_mul_f64 v[43:44], v[17:18], v[37:38]
	ds_read_b128 v[27:30], v21 offset:2048
	s_and_b64 vcc, exec, s[2:3]
	v_fma_f64 v[51:52], v[3:4], v[25:26], -v[33:34]
	v_fma_f64 v[25:26], v[5:6], v[25:26], v[47:48]
	v_add_f64 v[41:42], v[41:42], v[45:46]
	v_add_f64 v[45:46], v[39:40], v[31:32]
	ds_read_b128 v[3:6], v23 offset:128
	ds_read_b128 v[31:34], v23 offset:144
	;; [unrolled: 1-line block ×3, first 2 shown]
	v_fma_f64 v[43:44], v[15:16], v[35:36], -v[43:44]
	v_fma_f64 v[35:36], v[17:18], v[35:36], v[49:50]
	s_waitcnt lgkmcnt(2)
	v_mul_f64 v[47:48], v[5:6], v[29:30]
	v_mul_f64 v[29:30], v[3:4], v[29:30]
	s_waitcnt lgkmcnt(0)
	v_mul_f64 v[49:50], v[31:32], v[39:40]
	v_add_f64 v[41:42], v[41:42], v[51:52]
	v_add_f64 v[25:26], v[45:46], v[25:26]
	v_mul_f64 v[45:46], v[33:34], v[39:40]
	ds_read_b128 v[15:18], v21 offset:2560
	v_fma_f64 v[47:48], v[3:4], v[27:28], -v[47:48]
	v_fma_f64 v[29:30], v[5:6], v[27:28], v[29:30]
	v_fma_f64 v[33:34], v[33:34], v[37:38], v[49:50]
	v_add_f64 v[43:44], v[41:42], v[43:44]
	v_add_f64 v[35:36], v[25:26], v[35:36]
	ds_read_b128 v[3:6], v23 offset:160
	ds_read_b128 v[25:28], v23 offset:176
	ds_read_b128 v[39:42], v21 offset:2816
	v_fma_f64 v[45:46], v[31:32], v[37:38], -v[45:46]
	s_waitcnt lgkmcnt(2)
	v_mul_f64 v[37:38], v[5:6], v[17:18]
	v_mul_f64 v[17:18], v[3:4], v[17:18]
	v_add_f64 v[43:44], v[43:44], v[47:48]
	v_add_f64 v[35:36], v[35:36], v[29:30]
	s_waitcnt lgkmcnt(0)
	v_mul_f64 v[47:48], v[27:28], v[41:42]
	v_mul_f64 v[41:42], v[25:26], v[41:42]
	ds_read_b128 v[29:32], v21 offset:3072
	v_fma_f64 v[37:38], v[3:4], v[15:16], -v[37:38]
	v_fma_f64 v[49:50], v[5:6], v[15:16], v[17:18]
	v_add_f64 v[43:44], v[43:44], v[45:46]
	v_add_f64 v[45:46], v[35:36], v[33:34]
	ds_read_b128 v[3:6], v23 offset:192
	ds_read_b128 v[15:18], v23 offset:208
	;; [unrolled: 1-line block ×3, first 2 shown]
	v_fma_f64 v[47:48], v[25:26], v[39:40], -v[47:48]
	v_fma_f64 v[39:40], v[27:28], v[39:40], v[41:42]
	s_waitcnt lgkmcnt(2)
	v_mul_f64 v[41:42], v[5:6], v[31:32]
	v_mul_f64 v[31:32], v[3:4], v[31:32]
	ds_read_b128 v[25:28], v21 offset:3584
	v_add_f64 v[37:38], v[43:44], v[37:38]
	v_add_f64 v[43:44], v[45:46], v[49:50]
	s_waitcnt lgkmcnt(1)
	v_mul_f64 v[45:46], v[17:18], v[35:36]
	v_mul_f64 v[49:50], v[15:16], v[35:36]
	v_fma_f64 v[41:42], v[3:4], v[29:30], -v[41:42]
	v_fma_f64 v[51:52], v[5:6], v[29:30], v[31:32]
	v_add_f64 v[47:48], v[37:38], v[47:48]
	v_add_f64 v[39:40], v[43:44], v[39:40]
	ds_read_b128 v[3:6], v23 offset:224
	ds_read_b128 v[29:32], v23 offset:240
	;; [unrolled: 1-line block ×3, first 2 shown]
	v_fma_f64 v[15:16], v[15:16], v[33:34], -v[45:46]
	v_fma_f64 v[17:18], v[17:18], v[33:34], v[49:50]
	s_waitcnt lgkmcnt(2)
	v_mul_f64 v[33:34], v[5:6], v[27:28]
	v_mul_f64 v[27:28], v[3:4], v[27:28]
	s_waitcnt lgkmcnt(0)
	v_mul_f64 v[43:44], v[31:32], v[37:38]
	v_add_f64 v[41:42], v[47:48], v[41:42]
	v_add_f64 v[39:40], v[39:40], v[51:52]
	v_mul_f64 v[37:38], v[29:30], v[37:38]
	s_barrier
	v_fma_f64 v[3:4], v[3:4], v[25:26], -v[33:34]
	v_fma_f64 v[5:6], v[5:6], v[25:26], v[27:28]
	v_fma_f64 v[25:26], v[29:30], v[35:36], -v[43:44]
	v_add_f64 v[15:16], v[41:42], v[15:16]
	v_add_f64 v[17:18], v[39:40], v[17:18]
	v_fma_f64 v[27:28], v[31:32], v[35:36], v[37:38]
	v_add_f64 v[3:4], v[15:16], v[3:4]
	v_add_f64 v[5:6], v[17:18], v[5:6]
	;; [unrolled: 1-line block ×4, first 2 shown]
	s_cbranch_vccnz .LBB1360_10
.LBB1360_3:                             ; =>This Inner Loop Header: Depth=1
	v_mov_b32_e32 v4, s7
	v_add_co_u32_e32 v3, vcc, s6, v1
	v_addc_co_u32_e32 v4, vcc, 0, v4, vcc
	v_cmp_gt_i64_e32 vcc, s[12:13], v[3:4]
	v_mov_b32_e32 v3, 0
	v_mov_b32_e32 v5, 0
	;; [unrolled: 1-line block ×4, first 2 shown]
	s_and_b64 s[18:19], s[0:1], vcc
	s_and_saveexec_b64 s[2:3], s[18:19]
	s_cbranch_execz .LBB1360_5
; %bb.4:                                ;   in Loop: Header=BB1360_3 Depth=1
	global_load_dwordx4 v[3:6], v[11:12], off offset:-8
	s_waitcnt vmcnt(0)
	v_xor_b32_e32 v6, 0x80000000, v6
.LBB1360_5:                             ;   in Loop: Header=BB1360_3 Depth=1
	s_or_b64 exec, exec, s[2:3]
	v_mov_b32_e32 v26, s7
	v_add_co_u32_e32 v25, vcc, s6, v0
	v_addc_co_u32_e32 v26, vcc, 0, v26, vcc
	v_cmp_le_i64_e32 vcc, s[12:13], v[25:26]
	ds_write_b128 v22, v[3:6]
	s_or_b64 s[2:3], s[10:11], vcc
	s_and_saveexec_b64 s[18:19], s[2:3]
	s_xor_b64 s[2:3], exec, s[18:19]
; %bb.6:                                ;   in Loop: Header=BB1360_3 Depth=1
	v_mov_b32_e32 v3, v2
	v_mov_b32_e32 v4, v2
	;; [unrolled: 1-line block ×3, first 2 shown]
	ds_write_b128 v24, v[2:5]
; %bb.7:                                ;   in Loop: Header=BB1360_3 Depth=1
	s_andn2_saveexec_b64 s[2:3], s[2:3]
	s_cbranch_execz .LBB1360_2
; %bb.8:                                ;   in Loop: Header=BB1360_3 Depth=1
	global_load_dwordx4 v[3:6], v[9:10], off
	s_waitcnt vmcnt(0)
	ds_write2_b64 v24, v[3:4], v[5:6] offset1:1
	s_branch .LBB1360_2
.LBB1360_9:
	v_mov_b32_e32 v15, 0
	v_mov_b32_e32 v17, 0
	;; [unrolled: 1-line block ×4, first 2 shown]
.LBB1360_10:
	v_cmp_le_i32_e32 vcc, v19, v7
	v_cmp_gt_i32_e64 s[0:1], s9, v7
	s_and_b64 s[0:1], vcc, s[0:1]
	s_and_saveexec_b64 s[2:3], s[0:1]
	s_cbranch_execz .LBB1360_12
; %bb.11:
	s_load_dwordx2 s[6:7], s[4:5], 0x70
	s_load_dwordx4 s[0:3], s[4:5], 0x60
	v_mul_f64 v[2:3], s[14:15], v[15:16]
	v_mul_f64 v[0:1], s[16:17], v[15:16]
	s_waitcnt lgkmcnt(0)
	s_mul_i32 s5, s7, s8
	v_mul_lo_u32 v6, s3, v19
	v_mul_lo_u32 v9, s2, v20
	v_mad_u64_u32 v[4:5], s[2:3], s2, v19, 0
	s_mul_hi_u32 s7, s6, s8
	s_mul_i32 s4, s6, s8
	s_add_i32 s5, s7, s5
	s_lshl_b64 s[4:5], s[4:5], 4
	v_add3_u32 v5, v5, v9, v6
	s_add_u32 s0, s0, s4
	v_fma_f64 v[2:3], s[16:17], v[17:18], v[2:3]
	v_lshlrev_b64 v[4:5], 4, v[4:5]
	s_addc_u32 s1, s1, s5
	v_fma_f64 v[0:1], s[14:15], v[17:18], -v[0:1]
	v_mov_b32_e32 v6, s1
	v_add_co_u32_e32 v9, vcc, s0, v4
	v_addc_co_u32_e32 v6, vcc, v6, v5, vcc
	v_lshlrev_b64 v[4:5], 4, v[7:8]
	v_add_co_u32_e32 v4, vcc, v9, v4
	v_addc_co_u32_e32 v5, vcc, v6, v5, vcc
	v_cmp_ne_u32_e32 vcc, v7, v19
	v_cndmask_b32_e32 v3, 0, v3, vcc
	v_cndmask_b32_e32 v2, 0, v2, vcc
	global_store_dwordx4 v[4:5], v[0:3], off
.LBB1360_12:
	s_endpgm
	.section	.rodata,"a",@progbits
	.p2align	6, 0x0
	.amdhsa_kernel _ZL32rocblas_syrkx_herkx_small_kernelIl19rocblas_complex_numIdELi16ELb1ELb1ELc67ELc76EKS1_S1_EviT_T0_PT6_S3_lS6_S3_lS4_PT7_S3_li
		.amdhsa_group_segment_fixed_size 8192
		.amdhsa_private_segment_fixed_size 0
		.amdhsa_kernarg_size 124
		.amdhsa_user_sgpr_count 6
		.amdhsa_user_sgpr_private_segment_buffer 1
		.amdhsa_user_sgpr_dispatch_ptr 0
		.amdhsa_user_sgpr_queue_ptr 0
		.amdhsa_user_sgpr_kernarg_segment_ptr 1
		.amdhsa_user_sgpr_dispatch_id 0
		.amdhsa_user_sgpr_flat_scratch_init 0
		.amdhsa_user_sgpr_private_segment_size 0
		.amdhsa_uses_dynamic_stack 0
		.amdhsa_system_sgpr_private_segment_wavefront_offset 0
		.amdhsa_system_sgpr_workgroup_id_x 1
		.amdhsa_system_sgpr_workgroup_id_y 1
		.amdhsa_system_sgpr_workgroup_id_z 1
		.amdhsa_system_sgpr_workgroup_info 0
		.amdhsa_system_vgpr_workitem_id 1
		.amdhsa_next_free_vgpr 53
		.amdhsa_next_free_sgpr 61
		.amdhsa_reserve_vcc 1
		.amdhsa_reserve_flat_scratch 0
		.amdhsa_float_round_mode_32 0
		.amdhsa_float_round_mode_16_64 0
		.amdhsa_float_denorm_mode_32 3
		.amdhsa_float_denorm_mode_16_64 3
		.amdhsa_dx10_clamp 1
		.amdhsa_ieee_mode 1
		.amdhsa_fp16_overflow 0
		.amdhsa_exception_fp_ieee_invalid_op 0
		.amdhsa_exception_fp_denorm_src 0
		.amdhsa_exception_fp_ieee_div_zero 0
		.amdhsa_exception_fp_ieee_overflow 0
		.amdhsa_exception_fp_ieee_underflow 0
		.amdhsa_exception_fp_ieee_inexact 0
		.amdhsa_exception_int_div_zero 0
	.end_amdhsa_kernel
	.section	.text._ZL32rocblas_syrkx_herkx_small_kernelIl19rocblas_complex_numIdELi16ELb1ELb1ELc67ELc76EKS1_S1_EviT_T0_PT6_S3_lS6_S3_lS4_PT7_S3_li,"axG",@progbits,_ZL32rocblas_syrkx_herkx_small_kernelIl19rocblas_complex_numIdELi16ELb1ELb1ELc67ELc76EKS1_S1_EviT_T0_PT6_S3_lS6_S3_lS4_PT7_S3_li,comdat
.Lfunc_end1360:
	.size	_ZL32rocblas_syrkx_herkx_small_kernelIl19rocblas_complex_numIdELi16ELb1ELb1ELc67ELc76EKS1_S1_EviT_T0_PT6_S3_lS6_S3_lS4_PT7_S3_li, .Lfunc_end1360-_ZL32rocblas_syrkx_herkx_small_kernelIl19rocblas_complex_numIdELi16ELb1ELb1ELc67ELc76EKS1_S1_EviT_T0_PT6_S3_lS6_S3_lS4_PT7_S3_li
                                        ; -- End function
	.set _ZL32rocblas_syrkx_herkx_small_kernelIl19rocblas_complex_numIdELi16ELb1ELb1ELc67ELc76EKS1_S1_EviT_T0_PT6_S3_lS6_S3_lS4_PT7_S3_li.num_vgpr, 53
	.set _ZL32rocblas_syrkx_herkx_small_kernelIl19rocblas_complex_numIdELi16ELb1ELb1ELc67ELc76EKS1_S1_EviT_T0_PT6_S3_lS6_S3_lS4_PT7_S3_li.num_agpr, 0
	.set _ZL32rocblas_syrkx_herkx_small_kernelIl19rocblas_complex_numIdELi16ELb1ELb1ELc67ELc76EKS1_S1_EviT_T0_PT6_S3_lS6_S3_lS4_PT7_S3_li.numbered_sgpr, 28
	.set _ZL32rocblas_syrkx_herkx_small_kernelIl19rocblas_complex_numIdELi16ELb1ELb1ELc67ELc76EKS1_S1_EviT_T0_PT6_S3_lS6_S3_lS4_PT7_S3_li.num_named_barrier, 0
	.set _ZL32rocblas_syrkx_herkx_small_kernelIl19rocblas_complex_numIdELi16ELb1ELb1ELc67ELc76EKS1_S1_EviT_T0_PT6_S3_lS6_S3_lS4_PT7_S3_li.private_seg_size, 0
	.set _ZL32rocblas_syrkx_herkx_small_kernelIl19rocblas_complex_numIdELi16ELb1ELb1ELc67ELc76EKS1_S1_EviT_T0_PT6_S3_lS6_S3_lS4_PT7_S3_li.uses_vcc, 1
	.set _ZL32rocblas_syrkx_herkx_small_kernelIl19rocblas_complex_numIdELi16ELb1ELb1ELc67ELc76EKS1_S1_EviT_T0_PT6_S3_lS6_S3_lS4_PT7_S3_li.uses_flat_scratch, 0
	.set _ZL32rocblas_syrkx_herkx_small_kernelIl19rocblas_complex_numIdELi16ELb1ELb1ELc67ELc76EKS1_S1_EviT_T0_PT6_S3_lS6_S3_lS4_PT7_S3_li.has_dyn_sized_stack, 0
	.set _ZL32rocblas_syrkx_herkx_small_kernelIl19rocblas_complex_numIdELi16ELb1ELb1ELc67ELc76EKS1_S1_EviT_T0_PT6_S3_lS6_S3_lS4_PT7_S3_li.has_recursion, 0
	.set _ZL32rocblas_syrkx_herkx_small_kernelIl19rocblas_complex_numIdELi16ELb1ELb1ELc67ELc76EKS1_S1_EviT_T0_PT6_S3_lS6_S3_lS4_PT7_S3_li.has_indirect_call, 0
	.section	.AMDGPU.csdata,"",@progbits
; Kernel info:
; codeLenInByte = 1920
; TotalNumSgprs: 32
; NumVgprs: 53
; ScratchSize: 0
; MemoryBound: 1
; FloatMode: 240
; IeeeMode: 1
; LDSByteSize: 8192 bytes/workgroup (compile time only)
; SGPRBlocks: 8
; VGPRBlocks: 13
; NumSGPRsForWavesPerEU: 65
; NumVGPRsForWavesPerEU: 53
; Occupancy: 4
; WaveLimiterHint : 0
; COMPUTE_PGM_RSRC2:SCRATCH_EN: 0
; COMPUTE_PGM_RSRC2:USER_SGPR: 6
; COMPUTE_PGM_RSRC2:TRAP_HANDLER: 0
; COMPUTE_PGM_RSRC2:TGID_X_EN: 1
; COMPUTE_PGM_RSRC2:TGID_Y_EN: 1
; COMPUTE_PGM_RSRC2:TGID_Z_EN: 1
; COMPUTE_PGM_RSRC2:TIDIG_COMP_CNT: 1
	.section	.text._ZL32rocblas_syrkx_herkx_small_kernelIl19rocblas_complex_numIdELi16ELb1ELb1ELc78ELc76EKS1_S1_EviT_T0_PT6_S3_lS6_S3_lS4_PT7_S3_li,"axG",@progbits,_ZL32rocblas_syrkx_herkx_small_kernelIl19rocblas_complex_numIdELi16ELb1ELb1ELc78ELc76EKS1_S1_EviT_T0_PT6_S3_lS6_S3_lS4_PT7_S3_li,comdat
	.globl	_ZL32rocblas_syrkx_herkx_small_kernelIl19rocblas_complex_numIdELi16ELb1ELb1ELc78ELc76EKS1_S1_EviT_T0_PT6_S3_lS6_S3_lS4_PT7_S3_li ; -- Begin function _ZL32rocblas_syrkx_herkx_small_kernelIl19rocblas_complex_numIdELi16ELb1ELb1ELc78ELc76EKS1_S1_EviT_T0_PT6_S3_lS6_S3_lS4_PT7_S3_li
	.p2align	8
	.type	_ZL32rocblas_syrkx_herkx_small_kernelIl19rocblas_complex_numIdELi16ELb1ELb1ELc78ELc76EKS1_S1_EviT_T0_PT6_S3_lS6_S3_lS4_PT7_S3_li,@function
_ZL32rocblas_syrkx_herkx_small_kernelIl19rocblas_complex_numIdELi16ELb1ELb1ELc78ELc76EKS1_S1_EviT_T0_PT6_S3_lS6_S3_lS4_PT7_S3_li: ; @_ZL32rocblas_syrkx_herkx_small_kernelIl19rocblas_complex_numIdELi16ELb1ELb1ELc78ELc76EKS1_S1_EviT_T0_PT6_S3_lS6_S3_lS4_PT7_S3_li
; %bb.0:
	s_load_dwordx16 s[12:27], s[4:5], 0x8
	s_load_dword s9, s[4:5], 0x0
	v_lshl_add_u32 v7, s6, 4, v0
	v_lshl_add_u32 v9, s7, 4, v1
	v_ashrrev_i32_e32 v8, 31, v7
	s_waitcnt lgkmcnt(0)
	v_cmp_lt_i64_e64 s[0:1], s[12:13], 1
	v_cmp_gt_i32_e64 s[2:3], s9, v7
	s_and_b64 vcc, exec, s[0:1]
	v_ashrrev_i32_e32 v10, 31, v9
	s_cbranch_vccnz .LBB1361_9
; %bb.1:
	v_lshlrev_b32_e32 v3, 8, v1
	v_lshlrev_b32_e32 v21, 4, v0
	v_add_u32_e32 v22, v21, v3
	v_add_u32_e32 v23, 0x1000, v3
	v_mad_u64_u32 v[3:4], s[10:11], s26, v0, 0
	s_load_dwordx2 s[6:7], s[4:5], 0x48
	s_mul_i32 s23, s23, s8
	v_mad_u64_u32 v[4:5], s[10:11], s27, v0, v[4:5]
	v_mov_b32_e32 v17, 0
	s_waitcnt lgkmcnt(0)
	s_mul_i32 s7, s7, s8
	s_mul_hi_u32 s28, s6, s8
	s_add_i32 s7, s28, s7
	s_mul_i32 s6, s6, s8
	v_lshlrev_b64 v[3:4], 4, v[3:4]
	s_lshl_b64 s[6:7], s[6:7], 4
	v_mov_b32_e32 v5, s7
	v_add_co_u32_e32 v6, vcc, s6, v3
	v_addc_co_u32_e32 v5, vcc, v5, v4, vcc
	v_lshlrev_b64 v[3:4], 4, v[9:10]
	v_mov_b32_e32 v19, 0
	v_add_co_u32_e32 v3, vcc, v6, v3
	v_addc_co_u32_e32 v4, vcc, v5, v4, vcc
	v_mov_b32_e32 v5, s25
	v_add_co_u32_e32 v3, vcc, s24, v3
	v_addc_co_u32_e32 v4, vcc, v5, v4, vcc
	v_add_co_u32_e32 v11, vcc, 8, v3
	v_addc_co_u32_e32 v12, vcc, 0, v4, vcc
	v_mad_u64_u32 v[3:4], s[6:7], s20, v1, 0
	s_mul_hi_u32 s24, s22, s8
	s_lshl_b64 s[6:7], s[26:27], 8
	v_mad_u64_u32 v[4:5], s[10:11], s21, v1, v[4:5]
	s_add_i32 s11, s24, s23
	s_mul_i32 s10, s22, s8
	v_lshlrev_b64 v[3:4], 4, v[3:4]
	s_lshl_b64 s[10:11], s[10:11], 4
	v_mov_b32_e32 v5, s11
	v_add_co_u32_e32 v6, vcc, s10, v3
	v_addc_co_u32_e32 v5, vcc, v5, v4, vcc
	v_lshlrev_b64 v[3:4], 4, v[7:8]
	s_lshl_b64 s[10:11], s[20:21], 8
	v_add_co_u32_e32 v3, vcc, v6, v3
	v_addc_co_u32_e32 v4, vcc, v5, v4, vcc
	v_mov_b32_e32 v5, s19
	v_add_co_u32_e32 v13, vcc, s18, v3
	v_mov_b32_e32 v16, s13
	v_mov_b32_e32 v2, 0
	v_cmp_gt_i32_e64 s[0:1], s9, v9
	v_add_u32_e32 v24, v23, v21
	v_addc_co_u32_e32 v14, vcc, v5, v4, vcc
	v_mov_b32_e32 v18, 0
	s_mov_b64 s[18:19], 0
	s_xor_b64 s[20:21], s[2:3], -1
	v_mov_b32_e32 v25, s7
	v_mov_b32_e32 v26, s11
	;; [unrolled: 1-line block ×4, first 2 shown]
	s_branch .LBB1361_3
.LBB1361_2:                             ;   in Loop: Header=BB1361_3 Depth=1
	s_or_b64 exec, exec, s[2:3]
	ds_write_b128 v24, v[3:6]
	s_waitcnt lgkmcnt(0)
	s_barrier
	ds_read_b128 v[3:6], v21
	ds_read_b128 v[27:30], v23
	ds_read_b128 v[31:34], v23 offset:16
	ds_read_b128 v[35:38], v21 offset:256
	s_add_u32 s18, s18, 16
	v_add_co_u32_e32 v11, vcc, s6, v11
	s_waitcnt lgkmcnt(2)
	v_mul_f64 v[39:40], v[29:30], v[5:6]
	v_mul_f64 v[5:6], v[27:28], v[5:6]
	s_waitcnt lgkmcnt(0)
	v_mul_f64 v[41:42], v[33:34], v[37:38]
	v_mul_f64 v[43:44], v[31:32], v[37:38]
	v_addc_co_u32_e32 v12, vcc, v12, v25, vcc
	s_addc_u32 s19, s19, 0
	v_cmp_ge_i64_e32 vcc, s[18:19], v[15:16]
	v_fma_f64 v[45:46], v[27:28], v[3:4], -v[39:40]
	v_fma_f64 v[47:48], v[29:30], v[3:4], v[5:6]
	ds_read_b128 v[3:6], v21 offset:512
	ds_read_b128 v[27:30], v23 offset:32
	;; [unrolled: 1-line block ×3, first 2 shown]
	v_fma_f64 v[41:42], v[31:32], v[35:36], -v[41:42]
	v_fma_f64 v[35:36], v[33:34], v[35:36], v[43:44]
	ds_read_b128 v[31:34], v21 offset:768
	s_waitcnt lgkmcnt(2)
	v_mul_f64 v[43:44], v[29:30], v[5:6]
	v_mul_f64 v[5:6], v[27:28], v[5:6]
	v_add_f64 v[19:20], v[19:20], v[45:46]
	v_add_f64 v[17:18], v[17:18], v[47:48]
	s_waitcnt lgkmcnt(0)
	v_mul_f64 v[45:46], v[39:40], v[33:34]
	v_mul_f64 v[33:34], v[37:38], v[33:34]
	v_add_co_u32_e64 v13, s[2:3], s10, v13
	v_fma_f64 v[43:44], v[27:28], v[3:4], -v[43:44]
	v_fma_f64 v[47:48], v[29:30], v[3:4], v[5:6]
	v_add_f64 v[41:42], v[19:20], v[41:42]
	v_add_f64 v[35:36], v[17:18], v[35:36]
	ds_read_b128 v[3:6], v23 offset:64
	ds_read_b128 v[17:20], v21 offset:1024
	v_fma_f64 v[37:38], v[37:38], v[31:32], -v[45:46]
	v_fma_f64 v[39:40], v[39:40], v[31:32], v[33:34]
	ds_read_b128 v[27:30], v23 offset:80
	ds_read_b128 v[31:34], v21 offset:1280
	v_addc_co_u32_e64 v14, s[2:3], v14, v26, s[2:3]
	s_waitcnt lgkmcnt(2)
	v_mul_f64 v[45:46], v[5:6], v[19:20]
	v_mul_f64 v[19:20], v[3:4], v[19:20]
	v_add_f64 v[41:42], v[41:42], v[43:44]
	v_add_f64 v[35:36], v[35:36], v[47:48]
	s_waitcnt lgkmcnt(0)
	v_mul_f64 v[43:44], v[29:30], v[33:34]
	v_mul_f64 v[33:34], v[27:28], v[33:34]
	s_and_b64 vcc, exec, vcc
	v_fma_f64 v[45:46], v[3:4], v[17:18], -v[45:46]
	v_fma_f64 v[47:48], v[5:6], v[17:18], v[19:20]
	v_add_f64 v[37:38], v[41:42], v[37:38]
	v_add_f64 v[35:36], v[35:36], v[39:40]
	ds_read_b128 v[3:6], v23 offset:96
	ds_read_b128 v[17:20], v21 offset:1536
	v_fma_f64 v[39:40], v[27:28], v[31:32], -v[43:44]
	v_fma_f64 v[41:42], v[29:30], v[31:32], v[33:34]
	ds_read_b128 v[27:30], v23 offset:112
	ds_read_b128 v[31:34], v21 offset:1792
	s_waitcnt lgkmcnt(2)
	v_mul_f64 v[43:44], v[5:6], v[19:20]
	v_mul_f64 v[19:20], v[3:4], v[19:20]
	v_add_f64 v[37:38], v[37:38], v[45:46]
	v_add_f64 v[35:36], v[35:36], v[47:48]
	s_waitcnt lgkmcnt(0)
	v_mul_f64 v[45:46], v[29:30], v[33:34]
	v_mul_f64 v[33:34], v[27:28], v[33:34]
	v_fma_f64 v[43:44], v[3:4], v[17:18], -v[43:44]
	v_fma_f64 v[47:48], v[5:6], v[17:18], v[19:20]
	v_add_f64 v[37:38], v[37:38], v[39:40]
	v_add_f64 v[35:36], v[35:36], v[41:42]
	ds_read_b128 v[3:6], v23 offset:128
	ds_read_b128 v[17:20], v21 offset:2048
	v_fma_f64 v[39:40], v[27:28], v[31:32], -v[45:46]
	v_fma_f64 v[41:42], v[29:30], v[31:32], v[33:34]
	ds_read_b128 v[27:30], v23 offset:144
	ds_read_b128 v[31:34], v21 offset:2304
	s_waitcnt lgkmcnt(2)
	v_mul_f64 v[45:46], v[5:6], v[19:20]
	v_mul_f64 v[19:20], v[3:4], v[19:20]
	v_add_f64 v[37:38], v[37:38], v[43:44]
	v_add_f64 v[35:36], v[35:36], v[47:48]
	s_waitcnt lgkmcnt(0)
	v_mul_f64 v[43:44], v[29:30], v[33:34]
	v_mul_f64 v[33:34], v[27:28], v[33:34]
	;; [unrolled: 18-line block ×4, first 2 shown]
	v_fma_f64 v[45:46], v[3:4], v[17:18], -v[45:46]
	v_fma_f64 v[47:48], v[5:6], v[17:18], v[19:20]
	v_add_f64 v[37:38], v[37:38], v[39:40]
	v_add_f64 v[35:36], v[35:36], v[41:42]
	ds_read_b128 v[3:6], v23 offset:224
	ds_read_b128 v[17:20], v21 offset:3584
	v_fma_f64 v[39:40], v[27:28], v[31:32], -v[43:44]
	v_fma_f64 v[41:42], v[29:30], v[31:32], v[33:34]
	ds_read_b128 v[27:30], v23 offset:240
	ds_read_b128 v[31:34], v21 offset:3840
	s_waitcnt lgkmcnt(0)
	v_mul_f64 v[43:44], v[5:6], v[19:20]
	v_mul_f64 v[19:20], v[3:4], v[19:20]
	v_add_f64 v[37:38], v[37:38], v[45:46]
	v_add_f64 v[35:36], v[35:36], v[47:48]
	v_mul_f64 v[45:46], v[29:30], v[33:34]
	v_mul_f64 v[33:34], v[27:28], v[33:34]
	s_barrier
	v_fma_f64 v[3:4], v[3:4], v[17:18], -v[43:44]
	v_fma_f64 v[5:6], v[5:6], v[17:18], v[19:20]
	v_add_f64 v[17:18], v[37:38], v[39:40]
	v_add_f64 v[19:20], v[35:36], v[41:42]
	v_fma_f64 v[27:28], v[27:28], v[31:32], -v[45:46]
	v_fma_f64 v[29:30], v[29:30], v[31:32], v[33:34]
	v_add_f64 v[3:4], v[17:18], v[3:4]
	v_add_f64 v[5:6], v[19:20], v[5:6]
	;; [unrolled: 1-line block ×4, first 2 shown]
	s_cbranch_vccnz .LBB1361_10
.LBB1361_3:                             ; =>This Inner Loop Header: Depth=1
	v_mov_b32_e32 v4, s19
	v_add_co_u32_e32 v3, vcc, s18, v1
	v_addc_co_u32_e32 v4, vcc, 0, v4, vcc
	v_cmp_le_i64_e32 vcc, s[12:13], v[3:4]
	s_or_b64 s[2:3], s[20:21], vcc
	s_and_saveexec_b64 s[22:23], s[2:3]
	s_xor_b64 s[2:3], exec, s[22:23]
; %bb.4:                                ;   in Loop: Header=BB1361_3 Depth=1
	v_mov_b32_e32 v3, v2
	v_mov_b32_e32 v4, v2
	;; [unrolled: 1-line block ×3, first 2 shown]
	ds_write_b128 v22, v[2:5]
; %bb.5:                                ;   in Loop: Header=BB1361_3 Depth=1
	s_andn2_saveexec_b64 s[2:3], s[2:3]
	s_cbranch_execz .LBB1361_7
; %bb.6:                                ;   in Loop: Header=BB1361_3 Depth=1
	global_load_dwordx4 v[3:6], v[13:14], off
	s_waitcnt vmcnt(0)
	ds_write2_b64 v22, v[3:4], v[5:6] offset1:1
.LBB1361_7:                             ;   in Loop: Header=BB1361_3 Depth=1
	s_or_b64 exec, exec, s[2:3]
	v_mov_b32_e32 v4, s19
	v_add_co_u32_e32 v3, vcc, s18, v0
	v_addc_co_u32_e32 v4, vcc, 0, v4, vcc
	v_cmp_gt_i64_e32 vcc, s[12:13], v[3:4]
	v_mov_b32_e32 v3, 0
	v_mov_b32_e32 v5, 0
	;; [unrolled: 1-line block ×4, first 2 shown]
	s_and_b64 s[22:23], s[0:1], vcc
	s_and_saveexec_b64 s[2:3], s[22:23]
	s_cbranch_execz .LBB1361_2
; %bb.8:                                ;   in Loop: Header=BB1361_3 Depth=1
	global_load_dwordx4 v[3:6], v[11:12], off offset:-8
	s_waitcnt vmcnt(0)
	v_xor_b32_e32 v6, 0x80000000, v6
	s_branch .LBB1361_2
.LBB1361_9:
	v_mov_b32_e32 v17, 0
	v_mov_b32_e32 v19, 0
	;; [unrolled: 1-line block ×4, first 2 shown]
.LBB1361_10:
	v_cmp_le_i32_e32 vcc, v9, v7
	v_cmp_gt_i32_e64 s[0:1], s9, v7
	s_and_b64 s[0:1], vcc, s[0:1]
	s_and_saveexec_b64 s[2:3], s[0:1]
	s_cbranch_execz .LBB1361_12
; %bb.11:
	s_load_dwordx2 s[6:7], s[4:5], 0x70
	s_load_dwordx4 s[0:3], s[4:5], 0x60
	v_mul_f64 v[2:3], s[14:15], v[17:18]
	v_mul_f64 v[0:1], s[16:17], v[17:18]
	s_waitcnt lgkmcnt(0)
	s_mul_i32 s5, s7, s8
	v_mul_lo_u32 v6, s3, v9
	v_mul_lo_u32 v10, s2, v10
	v_mad_u64_u32 v[4:5], s[2:3], s2, v9, 0
	s_mul_hi_u32 s7, s6, s8
	s_mul_i32 s4, s6, s8
	s_add_i32 s5, s7, s5
	s_lshl_b64 s[4:5], s[4:5], 4
	v_add3_u32 v5, v5, v10, v6
	s_add_u32 s0, s0, s4
	v_fma_f64 v[2:3], s[16:17], v[19:20], v[2:3]
	v_lshlrev_b64 v[4:5], 4, v[4:5]
	s_addc_u32 s1, s1, s5
	v_fma_f64 v[0:1], s[14:15], v[19:20], -v[0:1]
	v_mov_b32_e32 v6, s1
	v_add_co_u32_e32 v10, vcc, s0, v4
	v_addc_co_u32_e32 v6, vcc, v6, v5, vcc
	v_lshlrev_b64 v[4:5], 4, v[7:8]
	v_add_co_u32_e32 v4, vcc, v10, v4
	v_addc_co_u32_e32 v5, vcc, v6, v5, vcc
	v_cmp_ne_u32_e32 vcc, v7, v9
	v_cndmask_b32_e32 v3, 0, v3, vcc
	v_cndmask_b32_e32 v2, 0, v2, vcc
	global_store_dwordx4 v[4:5], v[0:3], off
.LBB1361_12:
	s_endpgm
	.section	.rodata,"a",@progbits
	.p2align	6, 0x0
	.amdhsa_kernel _ZL32rocblas_syrkx_herkx_small_kernelIl19rocblas_complex_numIdELi16ELb1ELb1ELc78ELc76EKS1_S1_EviT_T0_PT6_S3_lS6_S3_lS4_PT7_S3_li
		.amdhsa_group_segment_fixed_size 8192
		.amdhsa_private_segment_fixed_size 0
		.amdhsa_kernarg_size 124
		.amdhsa_user_sgpr_count 6
		.amdhsa_user_sgpr_private_segment_buffer 1
		.amdhsa_user_sgpr_dispatch_ptr 0
		.amdhsa_user_sgpr_queue_ptr 0
		.amdhsa_user_sgpr_kernarg_segment_ptr 1
		.amdhsa_user_sgpr_dispatch_id 0
		.amdhsa_user_sgpr_flat_scratch_init 0
		.amdhsa_user_sgpr_private_segment_size 0
		.amdhsa_uses_dynamic_stack 0
		.amdhsa_system_sgpr_private_segment_wavefront_offset 0
		.amdhsa_system_sgpr_workgroup_id_x 1
		.amdhsa_system_sgpr_workgroup_id_y 1
		.amdhsa_system_sgpr_workgroup_id_z 1
		.amdhsa_system_sgpr_workgroup_info 0
		.amdhsa_system_vgpr_workitem_id 1
		.amdhsa_next_free_vgpr 49
		.amdhsa_next_free_sgpr 61
		.amdhsa_reserve_vcc 1
		.amdhsa_reserve_flat_scratch 0
		.amdhsa_float_round_mode_32 0
		.amdhsa_float_round_mode_16_64 0
		.amdhsa_float_denorm_mode_32 3
		.amdhsa_float_denorm_mode_16_64 3
		.amdhsa_dx10_clamp 1
		.amdhsa_ieee_mode 1
		.amdhsa_fp16_overflow 0
		.amdhsa_exception_fp_ieee_invalid_op 0
		.amdhsa_exception_fp_denorm_src 0
		.amdhsa_exception_fp_ieee_div_zero 0
		.amdhsa_exception_fp_ieee_overflow 0
		.amdhsa_exception_fp_ieee_underflow 0
		.amdhsa_exception_fp_ieee_inexact 0
		.amdhsa_exception_int_div_zero 0
	.end_amdhsa_kernel
	.section	.text._ZL32rocblas_syrkx_herkx_small_kernelIl19rocblas_complex_numIdELi16ELb1ELb1ELc78ELc76EKS1_S1_EviT_T0_PT6_S3_lS6_S3_lS4_PT7_S3_li,"axG",@progbits,_ZL32rocblas_syrkx_herkx_small_kernelIl19rocblas_complex_numIdELi16ELb1ELb1ELc78ELc76EKS1_S1_EviT_T0_PT6_S3_lS6_S3_lS4_PT7_S3_li,comdat
.Lfunc_end1361:
	.size	_ZL32rocblas_syrkx_herkx_small_kernelIl19rocblas_complex_numIdELi16ELb1ELb1ELc78ELc76EKS1_S1_EviT_T0_PT6_S3_lS6_S3_lS4_PT7_S3_li, .Lfunc_end1361-_ZL32rocblas_syrkx_herkx_small_kernelIl19rocblas_complex_numIdELi16ELb1ELb1ELc78ELc76EKS1_S1_EviT_T0_PT6_S3_lS6_S3_lS4_PT7_S3_li
                                        ; -- End function
	.set _ZL32rocblas_syrkx_herkx_small_kernelIl19rocblas_complex_numIdELi16ELb1ELb1ELc78ELc76EKS1_S1_EviT_T0_PT6_S3_lS6_S3_lS4_PT7_S3_li.num_vgpr, 49
	.set _ZL32rocblas_syrkx_herkx_small_kernelIl19rocblas_complex_numIdELi16ELb1ELb1ELc78ELc76EKS1_S1_EviT_T0_PT6_S3_lS6_S3_lS4_PT7_S3_li.num_agpr, 0
	.set _ZL32rocblas_syrkx_herkx_small_kernelIl19rocblas_complex_numIdELi16ELb1ELb1ELc78ELc76EKS1_S1_EviT_T0_PT6_S3_lS6_S3_lS4_PT7_S3_li.numbered_sgpr, 29
	.set _ZL32rocblas_syrkx_herkx_small_kernelIl19rocblas_complex_numIdELi16ELb1ELb1ELc78ELc76EKS1_S1_EviT_T0_PT6_S3_lS6_S3_lS4_PT7_S3_li.num_named_barrier, 0
	.set _ZL32rocblas_syrkx_herkx_small_kernelIl19rocblas_complex_numIdELi16ELb1ELb1ELc78ELc76EKS1_S1_EviT_T0_PT6_S3_lS6_S3_lS4_PT7_S3_li.private_seg_size, 0
	.set _ZL32rocblas_syrkx_herkx_small_kernelIl19rocblas_complex_numIdELi16ELb1ELb1ELc78ELc76EKS1_S1_EviT_T0_PT6_S3_lS6_S3_lS4_PT7_S3_li.uses_vcc, 1
	.set _ZL32rocblas_syrkx_herkx_small_kernelIl19rocblas_complex_numIdELi16ELb1ELb1ELc78ELc76EKS1_S1_EviT_T0_PT6_S3_lS6_S3_lS4_PT7_S3_li.uses_flat_scratch, 0
	.set _ZL32rocblas_syrkx_herkx_small_kernelIl19rocblas_complex_numIdELi16ELb1ELb1ELc78ELc76EKS1_S1_EviT_T0_PT6_S3_lS6_S3_lS4_PT7_S3_li.has_dyn_sized_stack, 0
	.set _ZL32rocblas_syrkx_herkx_small_kernelIl19rocblas_complex_numIdELi16ELb1ELb1ELc78ELc76EKS1_S1_EviT_T0_PT6_S3_lS6_S3_lS4_PT7_S3_li.has_recursion, 0
	.set _ZL32rocblas_syrkx_herkx_small_kernelIl19rocblas_complex_numIdELi16ELb1ELb1ELc78ELc76EKS1_S1_EviT_T0_PT6_S3_lS6_S3_lS4_PT7_S3_li.has_indirect_call, 0
	.section	.AMDGPU.csdata,"",@progbits
; Kernel info:
; codeLenInByte = 1856
; TotalNumSgprs: 33
; NumVgprs: 49
; ScratchSize: 0
; MemoryBound: 1
; FloatMode: 240
; IeeeMode: 1
; LDSByteSize: 8192 bytes/workgroup (compile time only)
; SGPRBlocks: 8
; VGPRBlocks: 12
; NumSGPRsForWavesPerEU: 65
; NumVGPRsForWavesPerEU: 49
; Occupancy: 4
; WaveLimiterHint : 0
; COMPUTE_PGM_RSRC2:SCRATCH_EN: 0
; COMPUTE_PGM_RSRC2:USER_SGPR: 6
; COMPUTE_PGM_RSRC2:TRAP_HANDLER: 0
; COMPUTE_PGM_RSRC2:TGID_X_EN: 1
; COMPUTE_PGM_RSRC2:TGID_Y_EN: 1
; COMPUTE_PGM_RSRC2:TGID_Z_EN: 1
; COMPUTE_PGM_RSRC2:TIDIG_COMP_CNT: 1
	.section	.text._ZL32rocblas_syrkx_herkx_small_kernelIl19rocblas_complex_numIdELi16ELb1ELb1ELc84ELc85EKS1_S1_EviT_T0_PT6_S3_lS6_S3_lS4_PT7_S3_li,"axG",@progbits,_ZL32rocblas_syrkx_herkx_small_kernelIl19rocblas_complex_numIdELi16ELb1ELb1ELc84ELc85EKS1_S1_EviT_T0_PT6_S3_lS6_S3_lS4_PT7_S3_li,comdat
	.globl	_ZL32rocblas_syrkx_herkx_small_kernelIl19rocblas_complex_numIdELi16ELb1ELb1ELc84ELc85EKS1_S1_EviT_T0_PT6_S3_lS6_S3_lS4_PT7_S3_li ; -- Begin function _ZL32rocblas_syrkx_herkx_small_kernelIl19rocblas_complex_numIdELi16ELb1ELb1ELc84ELc85EKS1_S1_EviT_T0_PT6_S3_lS6_S3_lS4_PT7_S3_li
	.p2align	8
	.type	_ZL32rocblas_syrkx_herkx_small_kernelIl19rocblas_complex_numIdELi16ELb1ELb1ELc84ELc85EKS1_S1_EviT_T0_PT6_S3_lS6_S3_lS4_PT7_S3_li,@function
_ZL32rocblas_syrkx_herkx_small_kernelIl19rocblas_complex_numIdELi16ELb1ELb1ELc84ELc85EKS1_S1_EviT_T0_PT6_S3_lS6_S3_lS4_PT7_S3_li: ; @_ZL32rocblas_syrkx_herkx_small_kernelIl19rocblas_complex_numIdELi16ELb1ELb1ELc84ELc85EKS1_S1_EviT_T0_PT6_S3_lS6_S3_lS4_PT7_S3_li
; %bb.0:
	s_load_dwordx16 s[12:27], s[4:5], 0x8
	s_load_dword s9, s[4:5], 0x0
	v_lshl_add_u32 v6, s6, 4, v0
	v_lshl_add_u32 v18, s7, 4, v1
	v_ashrrev_i32_e32 v7, 31, v6
	s_waitcnt lgkmcnt(0)
	v_cmp_lt_i64_e64 s[0:1], s[12:13], 1
	v_ashrrev_i32_e32 v19, 31, v18
	s_and_b64 vcc, exec, s[0:1]
	v_cmp_gt_i32_e64 s[0:1], s9, v18
	s_cbranch_vccnz .LBB1362_11
; %bb.1:
	s_load_dwordx2 s[2:3], s[4:5], 0x48
	v_mul_lo_u32 v8, s27, v18
	v_mul_lo_u32 v9, s26, v19
	v_mad_u64_u32 v[3:4], s[6:7], s26, v18, 0
	s_waitcnt lgkmcnt(0)
	s_mul_i32 s3, s3, s8
	s_mul_hi_u32 s6, s2, s8
	v_add3_u32 v4, v4, v9, v8
	v_lshlrev_b64 v[3:4], 4, v[3:4]
	s_add_i32 s3, s6, s3
	s_mul_i32 s2, s2, s8
	v_lshlrev_b32_e32 v5, 8, v1
	v_lshlrev_b32_e32 v20, 4, v0
	s_lshl_b64 s[2:3], s[2:3], 4
	v_add_u32_e32 v21, v20, v5
	v_add_u32_e32 v22, 0x1000, v5
	v_mov_b32_e32 v5, s3
	v_add_co_u32_e64 v3, s[2:3], s2, v3
	v_addc_co_u32_e64 v4, s[2:3], v4, v5, s[2:3]
	v_add_co_u32_e64 v5, s[2:3], v3, v20
	v_addc_co_u32_e64 v9, s[2:3], 0, v4, s[2:3]
	v_mul_lo_u32 v11, s21, v6
	v_mul_lo_u32 v12, s20, v7
	v_mad_u64_u32 v[3:4], s[2:3], s20, v6, 0
	v_mov_b32_e32 v10, s25
	v_add_co_u32_e64 v8, s[2:3], s24, v5
	v_addc_co_u32_e64 v9, s[2:3], v10, v9, s[2:3]
	v_add3_u32 v4, v4, v12, v11
	s_mul_i32 s2, s23, s8
	s_mul_hi_u32 s3, s22, s8
	v_lshlrev_b64 v[3:4], 4, v[3:4]
	s_add_i32 s3, s3, s2
	s_mul_i32 s2, s22, s8
	s_lshl_b64 s[2:3], s[2:3], 4
	v_mov_b32_e32 v5, s3
	v_add_co_u32_e64 v3, s[2:3], s2, v3
	v_addc_co_u32_e64 v4, s[2:3], v4, v5, s[2:3]
	v_lshlrev_b32_e32 v5, 4, v1
	v_add_co_u32_e64 v3, s[2:3], v3, v5
	v_addc_co_u32_e64 v4, s[2:3], 0, v4, s[2:3]
	v_mov_b32_e32 v5, s19
	v_add_co_u32_e64 v10, s[2:3], s18, v3
	v_cmp_gt_i32_e32 vcc, s9, v6
	v_addc_co_u32_e64 v11, s[2:3], v5, v4, s[2:3]
	v_mov_b32_e32 v14, 0
	v_mov_b32_e32 v16, 0
	;; [unrolled: 1-line block ×4, first 2 shown]
	v_add_u32_e32 v23, v22, v20
	v_mov_b32_e32 v15, 0
	s_mov_b64 s[2:3], 0
	s_xor_b64 s[6:7], vcc, -1
	s_xor_b64 s[0:1], s[0:1], -1
	v_mov_b32_e32 v17, 0
	v_mov_b32_e32 v13, s13
	s_branch .LBB1362_3
.LBB1362_2:                             ;   in Loop: Header=BB1362_3 Depth=1
	s_or_b64 exec, exec, s[10:11]
	s_waitcnt lgkmcnt(0)
	s_barrier
	ds_read_b128 v[24:27], v22
	ds_read_b128 v[28:31], v22 offset:16
	ds_read_b128 v[32:35], v22 offset:32
	;; [unrolled: 1-line block ×3, first 2 shown]
	ds_read_b128 v[40:43], v20
	v_add_co_u32_e32 v8, vcc, 0x100, v8
	v_addc_co_u32_e32 v9, vcc, 0, v9, vcc
	s_waitcnt lgkmcnt(0)
	v_mul_f64 v[3:4], v[26:27], v[42:43]
	s_add_u32 s2, s2, 16
	v_add_co_u32_e32 v10, vcc, 0x100, v10
	s_addc_u32 s3, s3, 0
	v_addc_co_u32_e32 v11, vcc, 0, v11, vcc
	v_cmp_ge_i64_e32 vcc, s[2:3], v[12:13]
	v_fma_f64 v[3:4], v[24:25], v[40:41], -v[3:4]
	v_mul_f64 v[24:25], v[24:25], v[42:43]
	s_and_b64 vcc, exec, vcc
	v_add_f64 v[3:4], v[16:17], v[3:4]
	v_fma_f64 v[24:25], v[26:27], v[40:41], v[24:25]
	v_add_f64 v[24:25], v[14:15], v[24:25]
	ds_read_b128 v[14:17], v20 offset:256
	s_waitcnt lgkmcnt(0)
	v_mul_f64 v[26:27], v[30:31], v[16:17]
	v_mul_f64 v[16:17], v[28:29], v[16:17]
	v_fma_f64 v[26:27], v[28:29], v[14:15], -v[26:27]
	v_fma_f64 v[14:15], v[30:31], v[14:15], v[16:17]
	v_add_f64 v[3:4], v[3:4], v[26:27]
	v_add_f64 v[24:25], v[24:25], v[14:15]
	ds_read_b128 v[14:17], v20 offset:512
	s_waitcnt lgkmcnt(0)
	v_mul_f64 v[26:27], v[34:35], v[16:17]
	v_mul_f64 v[16:17], v[32:33], v[16:17]
	v_fma_f64 v[26:27], v[32:33], v[14:15], -v[26:27]
	v_fma_f64 v[14:15], v[34:35], v[14:15], v[16:17]
	v_add_f64 v[3:4], v[3:4], v[26:27]
	;; [unrolled: 8-line block ×3, first 2 shown]
	v_add_f64 v[28:29], v[24:25], v[14:15]
	ds_read_b128 v[14:17], v22 offset:64
	ds_read_b128 v[24:27], v20 offset:1024
	s_waitcnt lgkmcnt(0)
	v_mul_f64 v[30:31], v[16:17], v[26:27]
	v_fma_f64 v[30:31], v[14:15], v[24:25], -v[30:31]
	v_mul_f64 v[14:15], v[14:15], v[26:27]
	v_add_f64 v[3:4], v[3:4], v[30:31]
	v_fma_f64 v[14:15], v[16:17], v[24:25], v[14:15]
	v_add_f64 v[28:29], v[28:29], v[14:15]
	ds_read_b128 v[14:17], v22 offset:80
	ds_read_b128 v[24:27], v20 offset:1280
	s_waitcnt lgkmcnt(0)
	v_mul_f64 v[30:31], v[16:17], v[26:27]
	v_fma_f64 v[30:31], v[14:15], v[24:25], -v[30:31]
	v_mul_f64 v[14:15], v[14:15], v[26:27]
	v_add_f64 v[3:4], v[3:4], v[30:31]
	v_fma_f64 v[14:15], v[16:17], v[24:25], v[14:15]
	;; [unrolled: 9-line block ×11, first 2 shown]
	v_add_f64 v[28:29], v[28:29], v[14:15]
	ds_read_b128 v[14:17], v22 offset:240
	ds_read_b128 v[24:27], v20 offset:3840
	s_waitcnt lgkmcnt(0)
	s_barrier
	v_mul_f64 v[30:31], v[16:17], v[26:27]
	v_fma_f64 v[30:31], v[14:15], v[24:25], -v[30:31]
	v_mul_f64 v[14:15], v[14:15], v[26:27]
	v_fma_f64 v[14:15], v[16:17], v[24:25], v[14:15]
	v_add_f64 v[16:17], v[3:4], v[30:31]
	v_add_f64 v[14:15], v[28:29], v[14:15]
	s_cbranch_vccnz .LBB1362_12
.LBB1362_3:                             ; =>This Inner Loop Header: Depth=1
	v_mov_b32_e32 v4, s3
	v_add_co_u32_e32 v3, vcc, s2, v1
	v_addc_co_u32_e32 v4, vcc, 0, v4, vcc
	v_cmp_le_i64_e32 vcc, s[12:13], v[3:4]
	s_or_b64 s[10:11], s[6:7], vcc
	s_and_saveexec_b64 s[18:19], s[10:11]
	s_xor_b64 s[10:11], exec, s[18:19]
; %bb.4:                                ;   in Loop: Header=BB1362_3 Depth=1
	v_mov_b32_e32 v3, v2
	v_mov_b32_e32 v4, v2
	;; [unrolled: 1-line block ×3, first 2 shown]
	ds_write_b128 v21, v[2:5]
; %bb.5:                                ;   in Loop: Header=BB1362_3 Depth=1
	s_andn2_saveexec_b64 s[10:11], s[10:11]
	s_cbranch_execz .LBB1362_7
; %bb.6:                                ;   in Loop: Header=BB1362_3 Depth=1
	global_load_dwordx4 v[24:27], v[10:11], off
	s_waitcnt vmcnt(0)
	ds_write2_b64 v21, v[24:25], v[26:27] offset1:1
.LBB1362_7:                             ;   in Loop: Header=BB1362_3 Depth=1
	s_or_b64 exec, exec, s[10:11]
	v_mov_b32_e32 v4, s3
	v_add_co_u32_e32 v3, vcc, s2, v0
	v_addc_co_u32_e32 v4, vcc, 0, v4, vcc
	v_cmp_le_i64_e32 vcc, s[12:13], v[3:4]
	s_or_b64 s[10:11], s[0:1], vcc
	s_and_saveexec_b64 s[18:19], s[10:11]
	s_xor_b64 s[10:11], exec, s[18:19]
; %bb.8:                                ;   in Loop: Header=BB1362_3 Depth=1
	v_mov_b32_e32 v3, v2
	v_mov_b32_e32 v4, v2
	;; [unrolled: 1-line block ×3, first 2 shown]
	ds_write_b128 v23, v[2:5]
; %bb.9:                                ;   in Loop: Header=BB1362_3 Depth=1
	s_andn2_saveexec_b64 s[10:11], s[10:11]
	s_cbranch_execz .LBB1362_2
; %bb.10:                               ;   in Loop: Header=BB1362_3 Depth=1
	global_load_dwordx4 v[24:27], v[8:9], off
	s_waitcnt vmcnt(0)
	ds_write2_b64 v23, v[24:25], v[26:27] offset1:1
	s_branch .LBB1362_2
.LBB1362_11:
	v_mov_b32_e32 v14, 0
	v_mov_b32_e32 v16, 0
	;; [unrolled: 1-line block ×4, first 2 shown]
.LBB1362_12:
	v_cmp_le_i32_e32 vcc, v6, v18
	v_cmp_gt_i32_e64 s[0:1], s9, v18
	s_and_b64 s[0:1], vcc, s[0:1]
	s_and_saveexec_b64 s[2:3], s[0:1]
	s_cbranch_execz .LBB1362_14
; %bb.13:
	s_load_dwordx2 s[6:7], s[4:5], 0x70
	s_load_dwordx4 s[0:3], s[4:5], 0x60
	v_mul_f64 v[2:3], s[14:15], v[14:15]
	v_mul_f64 v[0:1], s[16:17], v[14:15]
	s_waitcnt lgkmcnt(0)
	s_mul_i32 s5, s7, s8
	v_mul_lo_u32 v8, s3, v18
	v_mul_lo_u32 v9, s2, v19
	v_mad_u64_u32 v[4:5], s[2:3], s2, v18, 0
	s_mul_hi_u32 s7, s6, s8
	s_mul_i32 s4, s6, s8
	s_add_i32 s5, s7, s5
	s_lshl_b64 s[4:5], s[4:5], 4
	v_add3_u32 v5, v5, v9, v8
	s_add_u32 s0, s0, s4
	v_fma_f64 v[2:3], s[16:17], v[16:17], v[2:3]
	v_lshlrev_b64 v[4:5], 4, v[4:5]
	s_addc_u32 s1, s1, s5
	v_fma_f64 v[0:1], s[14:15], v[16:17], -v[0:1]
	v_mov_b32_e32 v8, s1
	v_add_co_u32_e32 v9, vcc, s0, v4
	v_addc_co_u32_e32 v8, vcc, v8, v5, vcc
	v_lshlrev_b64 v[4:5], 4, v[6:7]
	v_add_co_u32_e32 v4, vcc, v9, v4
	v_addc_co_u32_e32 v5, vcc, v8, v5, vcc
	v_cmp_ne_u32_e32 vcc, v6, v18
	v_cndmask_b32_e32 v3, 0, v3, vcc
	v_cndmask_b32_e32 v2, 0, v2, vcc
	global_store_dwordx4 v[4:5], v[0:3], off
.LBB1362_14:
	s_endpgm
	.section	.rodata,"a",@progbits
	.p2align	6, 0x0
	.amdhsa_kernel _ZL32rocblas_syrkx_herkx_small_kernelIl19rocblas_complex_numIdELi16ELb1ELb1ELc84ELc85EKS1_S1_EviT_T0_PT6_S3_lS6_S3_lS4_PT7_S3_li
		.amdhsa_group_segment_fixed_size 8192
		.amdhsa_private_segment_fixed_size 0
		.amdhsa_kernarg_size 124
		.amdhsa_user_sgpr_count 6
		.amdhsa_user_sgpr_private_segment_buffer 1
		.amdhsa_user_sgpr_dispatch_ptr 0
		.amdhsa_user_sgpr_queue_ptr 0
		.amdhsa_user_sgpr_kernarg_segment_ptr 1
		.amdhsa_user_sgpr_dispatch_id 0
		.amdhsa_user_sgpr_flat_scratch_init 0
		.amdhsa_user_sgpr_private_segment_size 0
		.amdhsa_uses_dynamic_stack 0
		.amdhsa_system_sgpr_private_segment_wavefront_offset 0
		.amdhsa_system_sgpr_workgroup_id_x 1
		.amdhsa_system_sgpr_workgroup_id_y 1
		.amdhsa_system_sgpr_workgroup_id_z 1
		.amdhsa_system_sgpr_workgroup_info 0
		.amdhsa_system_vgpr_workitem_id 1
		.amdhsa_next_free_vgpr 44
		.amdhsa_next_free_sgpr 61
		.amdhsa_reserve_vcc 1
		.amdhsa_reserve_flat_scratch 0
		.amdhsa_float_round_mode_32 0
		.amdhsa_float_round_mode_16_64 0
		.amdhsa_float_denorm_mode_32 3
		.amdhsa_float_denorm_mode_16_64 3
		.amdhsa_dx10_clamp 1
		.amdhsa_ieee_mode 1
		.amdhsa_fp16_overflow 0
		.amdhsa_exception_fp_ieee_invalid_op 0
		.amdhsa_exception_fp_denorm_src 0
		.amdhsa_exception_fp_ieee_div_zero 0
		.amdhsa_exception_fp_ieee_overflow 0
		.amdhsa_exception_fp_ieee_underflow 0
		.amdhsa_exception_fp_ieee_inexact 0
		.amdhsa_exception_int_div_zero 0
	.end_amdhsa_kernel
	.section	.text._ZL32rocblas_syrkx_herkx_small_kernelIl19rocblas_complex_numIdELi16ELb1ELb1ELc84ELc85EKS1_S1_EviT_T0_PT6_S3_lS6_S3_lS4_PT7_S3_li,"axG",@progbits,_ZL32rocblas_syrkx_herkx_small_kernelIl19rocblas_complex_numIdELi16ELb1ELb1ELc84ELc85EKS1_S1_EviT_T0_PT6_S3_lS6_S3_lS4_PT7_S3_li,comdat
.Lfunc_end1362:
	.size	_ZL32rocblas_syrkx_herkx_small_kernelIl19rocblas_complex_numIdELi16ELb1ELb1ELc84ELc85EKS1_S1_EviT_T0_PT6_S3_lS6_S3_lS4_PT7_S3_li, .Lfunc_end1362-_ZL32rocblas_syrkx_herkx_small_kernelIl19rocblas_complex_numIdELi16ELb1ELb1ELc84ELc85EKS1_S1_EviT_T0_PT6_S3_lS6_S3_lS4_PT7_S3_li
                                        ; -- End function
	.set _ZL32rocblas_syrkx_herkx_small_kernelIl19rocblas_complex_numIdELi16ELb1ELb1ELc84ELc85EKS1_S1_EviT_T0_PT6_S3_lS6_S3_lS4_PT7_S3_li.num_vgpr, 44
	.set _ZL32rocblas_syrkx_herkx_small_kernelIl19rocblas_complex_numIdELi16ELb1ELb1ELc84ELc85EKS1_S1_EviT_T0_PT6_S3_lS6_S3_lS4_PT7_S3_li.num_agpr, 0
	.set _ZL32rocblas_syrkx_herkx_small_kernelIl19rocblas_complex_numIdELi16ELb1ELb1ELc84ELc85EKS1_S1_EviT_T0_PT6_S3_lS6_S3_lS4_PT7_S3_li.numbered_sgpr, 28
	.set _ZL32rocblas_syrkx_herkx_small_kernelIl19rocblas_complex_numIdELi16ELb1ELb1ELc84ELc85EKS1_S1_EviT_T0_PT6_S3_lS6_S3_lS4_PT7_S3_li.num_named_barrier, 0
	.set _ZL32rocblas_syrkx_herkx_small_kernelIl19rocblas_complex_numIdELi16ELb1ELb1ELc84ELc85EKS1_S1_EviT_T0_PT6_S3_lS6_S3_lS4_PT7_S3_li.private_seg_size, 0
	.set _ZL32rocblas_syrkx_herkx_small_kernelIl19rocblas_complex_numIdELi16ELb1ELb1ELc84ELc85EKS1_S1_EviT_T0_PT6_S3_lS6_S3_lS4_PT7_S3_li.uses_vcc, 1
	.set _ZL32rocblas_syrkx_herkx_small_kernelIl19rocblas_complex_numIdELi16ELb1ELb1ELc84ELc85EKS1_S1_EviT_T0_PT6_S3_lS6_S3_lS4_PT7_S3_li.uses_flat_scratch, 0
	.set _ZL32rocblas_syrkx_herkx_small_kernelIl19rocblas_complex_numIdELi16ELb1ELb1ELc84ELc85EKS1_S1_EviT_T0_PT6_S3_lS6_S3_lS4_PT7_S3_li.has_dyn_sized_stack, 0
	.set _ZL32rocblas_syrkx_herkx_small_kernelIl19rocblas_complex_numIdELi16ELb1ELb1ELc84ELc85EKS1_S1_EviT_T0_PT6_S3_lS6_S3_lS4_PT7_S3_li.has_recursion, 0
	.set _ZL32rocblas_syrkx_herkx_small_kernelIl19rocblas_complex_numIdELi16ELb1ELb1ELc84ELc85EKS1_S1_EviT_T0_PT6_S3_lS6_S3_lS4_PT7_S3_li.has_indirect_call, 0
	.section	.AMDGPU.csdata,"",@progbits
; Kernel info:
; codeLenInByte = 1908
; TotalNumSgprs: 32
; NumVgprs: 44
; ScratchSize: 0
; MemoryBound: 0
; FloatMode: 240
; IeeeMode: 1
; LDSByteSize: 8192 bytes/workgroup (compile time only)
; SGPRBlocks: 8
; VGPRBlocks: 10
; NumSGPRsForWavesPerEU: 65
; NumVGPRsForWavesPerEU: 44
; Occupancy: 5
; WaveLimiterHint : 0
; COMPUTE_PGM_RSRC2:SCRATCH_EN: 0
; COMPUTE_PGM_RSRC2:USER_SGPR: 6
; COMPUTE_PGM_RSRC2:TRAP_HANDLER: 0
; COMPUTE_PGM_RSRC2:TGID_X_EN: 1
; COMPUTE_PGM_RSRC2:TGID_Y_EN: 1
; COMPUTE_PGM_RSRC2:TGID_Z_EN: 1
; COMPUTE_PGM_RSRC2:TIDIG_COMP_CNT: 1
	.section	.text._ZL32rocblas_syrkx_herkx_small_kernelIl19rocblas_complex_numIdELi16ELb1ELb1ELc67ELc85EKS1_S1_EviT_T0_PT6_S3_lS6_S3_lS4_PT7_S3_li,"axG",@progbits,_ZL32rocblas_syrkx_herkx_small_kernelIl19rocblas_complex_numIdELi16ELb1ELb1ELc67ELc85EKS1_S1_EviT_T0_PT6_S3_lS6_S3_lS4_PT7_S3_li,comdat
	.globl	_ZL32rocblas_syrkx_herkx_small_kernelIl19rocblas_complex_numIdELi16ELb1ELb1ELc67ELc85EKS1_S1_EviT_T0_PT6_S3_lS6_S3_lS4_PT7_S3_li ; -- Begin function _ZL32rocblas_syrkx_herkx_small_kernelIl19rocblas_complex_numIdELi16ELb1ELb1ELc67ELc85EKS1_S1_EviT_T0_PT6_S3_lS6_S3_lS4_PT7_S3_li
	.p2align	8
	.type	_ZL32rocblas_syrkx_herkx_small_kernelIl19rocblas_complex_numIdELi16ELb1ELb1ELc67ELc85EKS1_S1_EviT_T0_PT6_S3_lS6_S3_lS4_PT7_S3_li,@function
_ZL32rocblas_syrkx_herkx_small_kernelIl19rocblas_complex_numIdELi16ELb1ELb1ELc67ELc85EKS1_S1_EviT_T0_PT6_S3_lS6_S3_lS4_PT7_S3_li: ; @_ZL32rocblas_syrkx_herkx_small_kernelIl19rocblas_complex_numIdELi16ELb1ELb1ELc67ELc85EKS1_S1_EviT_T0_PT6_S3_lS6_S3_lS4_PT7_S3_li
; %bb.0:
	s_load_dwordx16 s[12:27], s[4:5], 0x8
	s_load_dword s9, s[4:5], 0x0
	v_lshl_add_u32 v7, s6, 4, v0
	v_lshl_add_u32 v19, s7, 4, v1
	v_ashrrev_i32_e32 v8, 31, v7
	s_waitcnt lgkmcnt(0)
	v_cmp_lt_i64_e64 s[0:1], s[12:13], 1
	v_cmp_gt_i32_e64 s[2:3], s9, v19
	s_and_b64 vcc, exec, s[0:1]
	v_ashrrev_i32_e32 v20, 31, v19
	s_cbranch_vccnz .LBB1363_9
; %bb.1:
	s_load_dwordx2 s[6:7], s[4:5], 0x48
	v_mul_lo_u32 v6, s27, v19
	v_mul_lo_u32 v9, s26, v20
	v_mad_u64_u32 v[3:4], s[10:11], s26, v19, 0
	s_waitcnt lgkmcnt(0)
	s_mul_i32 s7, s7, s8
	s_mul_hi_u32 s10, s6, s8
	v_add3_u32 v4, v4, v9, v6
	v_lshlrev_b64 v[3:4], 4, v[3:4]
	s_add_i32 s7, s10, s7
	s_mul_i32 s6, s6, s8
	v_lshlrev_b32_e32 v5, 8, v1
	v_lshlrev_b32_e32 v21, 4, v0
	s_lshl_b64 s[6:7], s[6:7], 4
	v_add_u32_e32 v22, v21, v5
	v_add_u32_e32 v23, 0x1000, v5
	v_mov_b32_e32 v5, s7
	v_add_co_u32_e32 v3, vcc, s6, v3
	v_addc_co_u32_e32 v4, vcc, v4, v5, vcc
	v_add_co_u32_e32 v5, vcc, v3, v21
	v_addc_co_u32_e32 v6, vcc, 0, v4, vcc
	v_mul_lo_u32 v11, s21, v7
	v_mul_lo_u32 v12, s20, v8
	v_mad_u64_u32 v[3:4], s[6:7], s20, v7, 0
	s_mul_i32 s6, s23, s8
	s_mul_hi_u32 s7, s22, s8
	v_add3_u32 v4, v4, v12, v11
	v_mov_b32_e32 v10, s25
	v_add_co_u32_e32 v9, vcc, s24, v5
	v_lshlrev_b64 v[3:4], 4, v[3:4]
	s_add_i32 s7, s7, s6
	s_mul_i32 s6, s22, s8
	v_addc_co_u32_e32 v10, vcc, v10, v6, vcc
	s_lshl_b64 s[6:7], s[6:7], 4
	v_mov_b32_e32 v5, s7
	v_add_co_u32_e32 v3, vcc, s6, v3
	v_addc_co_u32_e32 v4, vcc, v4, v5, vcc
	v_lshlrev_b32_e32 v5, 4, v1
	v_add_co_u32_e32 v3, vcc, v3, v5
	v_addc_co_u32_e32 v4, vcc, 0, v4, vcc
	v_mov_b32_e32 v5, s19
	v_add_co_u32_e32 v3, vcc, s18, v3
	v_addc_co_u32_e32 v4, vcc, v5, v4, vcc
	v_add_co_u32_e32 v11, vcc, 8, v3
	v_mov_b32_e32 v15, 0
	v_mov_b32_e32 v17, 0
	;; [unrolled: 1-line block ×4, first 2 shown]
	v_cmp_gt_i32_e64 s[0:1], s9, v7
	v_add_u32_e32 v24, v23, v21
	v_addc_co_u32_e32 v12, vcc, 0, v4, vcc
	v_mov_b32_e32 v16, 0
	s_mov_b64 s[6:7], 0
	s_xor_b64 s[10:11], s[2:3], -1
	v_mov_b32_e32 v18, 0
	v_mov_b32_e32 v13, s12
	s_branch .LBB1363_3
.LBB1363_2:                             ;   in Loop: Header=BB1363_3 Depth=1
	s_or_b64 exec, exec, s[2:3]
	s_waitcnt lgkmcnt(0)
	s_barrier
	ds_read_b128 v[3:6], v21
	ds_read_b128 v[25:28], v23
	ds_read_b128 v[29:32], v23 offset:16
	ds_read_b128 v[33:36], v21 offset:256
	s_add_u32 s6, s6, 16
	v_add_co_u32_e32 v9, vcc, 0x100, v9
	s_waitcnt lgkmcnt(2)
	v_mul_f64 v[39:40], v[27:28], v[5:6]
	v_mul_f64 v[5:6], v[25:26], v[5:6]
	s_waitcnt lgkmcnt(0)
	v_mul_f64 v[43:44], v[31:32], v[35:36]
	v_mul_f64 v[45:46], v[29:30], v[35:36]
	ds_read_b128 v[35:38], v21 offset:512
	s_addc_u32 s7, s7, 0
	v_addc_co_u32_e32 v10, vcc, 0, v10, vcc
	v_fma_f64 v[47:48], v[25:26], v[3:4], -v[39:40]
	v_fma_f64 v[49:50], v[27:28], v[3:4], v[5:6]
	ds_read_b128 v[3:6], v23 offset:32
	ds_read_b128 v[25:28], v23 offset:48
	;; [unrolled: 1-line block ×3, first 2 shown]
	v_fma_f64 v[29:30], v[29:30], v[33:34], -v[43:44]
	v_fma_f64 v[31:32], v[31:32], v[33:34], v[45:46]
	s_waitcnt lgkmcnt(2)
	v_mul_f64 v[33:34], v[5:6], v[37:38]
	v_mul_f64 v[37:38], v[3:4], v[37:38]
	v_add_co_u32_e32 v11, vcc, 0x100, v11
	v_add_f64 v[43:44], v[17:18], v[47:48]
	v_add_f64 v[45:46], v[15:16], v[49:50]
	s_waitcnt lgkmcnt(0)
	v_mul_f64 v[47:48], v[27:28], v[41:42]
	v_mul_f64 v[41:42], v[25:26], v[41:42]
	v_fma_f64 v[49:50], v[3:4], v[35:36], -v[33:34]
	v_fma_f64 v[37:38], v[5:6], v[35:36], v[37:38]
	ds_read_b128 v[15:18], v21 offset:1024
	v_cmp_ge_i64_e64 s[2:3], s[6:7], v[13:14]
	v_add_f64 v[43:44], v[43:44], v[29:30]
	v_add_f64 v[45:46], v[45:46], v[31:32]
	ds_read_b128 v[3:6], v23 offset:64
	ds_read_b128 v[29:32], v23 offset:80
	;; [unrolled: 1-line block ×3, first 2 shown]
	v_fma_f64 v[47:48], v[25:26], v[39:40], -v[47:48]
	v_fma_f64 v[39:40], v[27:28], v[39:40], v[41:42]
	s_waitcnt lgkmcnt(2)
	v_mul_f64 v[41:42], v[5:6], v[17:18]
	v_mul_f64 v[17:18], v[3:4], v[17:18]
	ds_read_b128 v[25:28], v21 offset:1536
	v_add_f64 v[43:44], v[43:44], v[49:50]
	v_add_f64 v[37:38], v[45:46], v[37:38]
	s_waitcnt lgkmcnt(1)
	v_mul_f64 v[45:46], v[31:32], v[35:36]
	v_mul_f64 v[49:50], v[29:30], v[35:36]
	v_addc_co_u32_e32 v12, vcc, 0, v12, vcc
	v_fma_f64 v[41:42], v[3:4], v[15:16], -v[41:42]
	v_fma_f64 v[51:52], v[5:6], v[15:16], v[17:18]
	v_add_f64 v[43:44], v[43:44], v[47:48]
	v_add_f64 v[39:40], v[37:38], v[39:40]
	ds_read_b128 v[3:6], v23 offset:96
	ds_read_b128 v[15:18], v23 offset:112
	;; [unrolled: 1-line block ×3, first 2 shown]
	v_fma_f64 v[45:46], v[29:30], v[33:34], -v[45:46]
	v_fma_f64 v[31:32], v[31:32], v[33:34], v[49:50]
	s_waitcnt lgkmcnt(2)
	v_mul_f64 v[33:34], v[5:6], v[27:28]
	v_mul_f64 v[47:48], v[3:4], v[27:28]
	s_waitcnt lgkmcnt(0)
	v_mul_f64 v[49:50], v[15:16], v[37:38]
	v_add_f64 v[41:42], v[43:44], v[41:42]
	v_add_f64 v[39:40], v[39:40], v[51:52]
	v_mul_f64 v[43:44], v[17:18], v[37:38]
	ds_read_b128 v[27:30], v21 offset:2048
	s_and_b64 vcc, exec, s[2:3]
	v_fma_f64 v[51:52], v[3:4], v[25:26], -v[33:34]
	v_fma_f64 v[25:26], v[5:6], v[25:26], v[47:48]
	v_add_f64 v[41:42], v[41:42], v[45:46]
	v_add_f64 v[45:46], v[39:40], v[31:32]
	ds_read_b128 v[3:6], v23 offset:128
	ds_read_b128 v[31:34], v23 offset:144
	;; [unrolled: 1-line block ×3, first 2 shown]
	v_fma_f64 v[43:44], v[15:16], v[35:36], -v[43:44]
	v_fma_f64 v[35:36], v[17:18], v[35:36], v[49:50]
	s_waitcnt lgkmcnt(2)
	v_mul_f64 v[47:48], v[5:6], v[29:30]
	v_mul_f64 v[29:30], v[3:4], v[29:30]
	s_waitcnt lgkmcnt(0)
	v_mul_f64 v[49:50], v[31:32], v[39:40]
	v_add_f64 v[41:42], v[41:42], v[51:52]
	v_add_f64 v[25:26], v[45:46], v[25:26]
	v_mul_f64 v[45:46], v[33:34], v[39:40]
	ds_read_b128 v[15:18], v21 offset:2560
	v_fma_f64 v[47:48], v[3:4], v[27:28], -v[47:48]
	v_fma_f64 v[29:30], v[5:6], v[27:28], v[29:30]
	v_fma_f64 v[33:34], v[33:34], v[37:38], v[49:50]
	v_add_f64 v[43:44], v[41:42], v[43:44]
	v_add_f64 v[35:36], v[25:26], v[35:36]
	ds_read_b128 v[3:6], v23 offset:160
	ds_read_b128 v[25:28], v23 offset:176
	;; [unrolled: 1-line block ×3, first 2 shown]
	v_fma_f64 v[45:46], v[31:32], v[37:38], -v[45:46]
	s_waitcnt lgkmcnt(2)
	v_mul_f64 v[37:38], v[5:6], v[17:18]
	v_mul_f64 v[17:18], v[3:4], v[17:18]
	v_add_f64 v[43:44], v[43:44], v[47:48]
	v_add_f64 v[35:36], v[35:36], v[29:30]
	s_waitcnt lgkmcnt(0)
	v_mul_f64 v[47:48], v[27:28], v[41:42]
	v_mul_f64 v[41:42], v[25:26], v[41:42]
	ds_read_b128 v[29:32], v21 offset:3072
	v_fma_f64 v[37:38], v[3:4], v[15:16], -v[37:38]
	v_fma_f64 v[49:50], v[5:6], v[15:16], v[17:18]
	v_add_f64 v[43:44], v[43:44], v[45:46]
	v_add_f64 v[45:46], v[35:36], v[33:34]
	ds_read_b128 v[3:6], v23 offset:192
	ds_read_b128 v[15:18], v23 offset:208
	;; [unrolled: 1-line block ×3, first 2 shown]
	v_fma_f64 v[47:48], v[25:26], v[39:40], -v[47:48]
	v_fma_f64 v[39:40], v[27:28], v[39:40], v[41:42]
	s_waitcnt lgkmcnt(2)
	v_mul_f64 v[41:42], v[5:6], v[31:32]
	v_mul_f64 v[31:32], v[3:4], v[31:32]
	ds_read_b128 v[25:28], v21 offset:3584
	v_add_f64 v[37:38], v[43:44], v[37:38]
	v_add_f64 v[43:44], v[45:46], v[49:50]
	s_waitcnt lgkmcnt(1)
	v_mul_f64 v[45:46], v[17:18], v[35:36]
	v_mul_f64 v[49:50], v[15:16], v[35:36]
	v_fma_f64 v[41:42], v[3:4], v[29:30], -v[41:42]
	v_fma_f64 v[51:52], v[5:6], v[29:30], v[31:32]
	v_add_f64 v[47:48], v[37:38], v[47:48]
	v_add_f64 v[39:40], v[43:44], v[39:40]
	ds_read_b128 v[3:6], v23 offset:224
	ds_read_b128 v[29:32], v23 offset:240
	;; [unrolled: 1-line block ×3, first 2 shown]
	v_fma_f64 v[15:16], v[15:16], v[33:34], -v[45:46]
	v_fma_f64 v[17:18], v[17:18], v[33:34], v[49:50]
	s_waitcnt lgkmcnt(2)
	v_mul_f64 v[33:34], v[5:6], v[27:28]
	v_mul_f64 v[27:28], v[3:4], v[27:28]
	s_waitcnt lgkmcnt(0)
	v_mul_f64 v[43:44], v[31:32], v[37:38]
	v_add_f64 v[41:42], v[47:48], v[41:42]
	v_add_f64 v[39:40], v[39:40], v[51:52]
	v_mul_f64 v[37:38], v[29:30], v[37:38]
	s_barrier
	v_fma_f64 v[3:4], v[3:4], v[25:26], -v[33:34]
	v_fma_f64 v[5:6], v[5:6], v[25:26], v[27:28]
	v_fma_f64 v[25:26], v[29:30], v[35:36], -v[43:44]
	v_add_f64 v[15:16], v[41:42], v[15:16]
	v_add_f64 v[17:18], v[39:40], v[17:18]
	v_fma_f64 v[27:28], v[31:32], v[35:36], v[37:38]
	v_add_f64 v[3:4], v[15:16], v[3:4]
	v_add_f64 v[5:6], v[17:18], v[5:6]
	;; [unrolled: 1-line block ×4, first 2 shown]
	s_cbranch_vccnz .LBB1363_10
.LBB1363_3:                             ; =>This Inner Loop Header: Depth=1
	v_mov_b32_e32 v4, s7
	v_add_co_u32_e32 v3, vcc, s6, v1
	v_addc_co_u32_e32 v4, vcc, 0, v4, vcc
	v_cmp_gt_i64_e32 vcc, s[12:13], v[3:4]
	v_mov_b32_e32 v3, 0
	v_mov_b32_e32 v5, 0
	;; [unrolled: 1-line block ×4, first 2 shown]
	s_and_b64 s[18:19], s[0:1], vcc
	s_and_saveexec_b64 s[2:3], s[18:19]
	s_cbranch_execz .LBB1363_5
; %bb.4:                                ;   in Loop: Header=BB1363_3 Depth=1
	global_load_dwordx4 v[3:6], v[11:12], off offset:-8
	s_waitcnt vmcnt(0)
	v_xor_b32_e32 v6, 0x80000000, v6
.LBB1363_5:                             ;   in Loop: Header=BB1363_3 Depth=1
	s_or_b64 exec, exec, s[2:3]
	v_mov_b32_e32 v26, s7
	v_add_co_u32_e32 v25, vcc, s6, v0
	v_addc_co_u32_e32 v26, vcc, 0, v26, vcc
	v_cmp_le_i64_e32 vcc, s[12:13], v[25:26]
	ds_write_b128 v22, v[3:6]
	s_or_b64 s[2:3], s[10:11], vcc
	s_and_saveexec_b64 s[18:19], s[2:3]
	s_xor_b64 s[2:3], exec, s[18:19]
; %bb.6:                                ;   in Loop: Header=BB1363_3 Depth=1
	v_mov_b32_e32 v3, v2
	v_mov_b32_e32 v4, v2
	v_mov_b32_e32 v5, v2
	ds_write_b128 v24, v[2:5]
; %bb.7:                                ;   in Loop: Header=BB1363_3 Depth=1
	s_andn2_saveexec_b64 s[2:3], s[2:3]
	s_cbranch_execz .LBB1363_2
; %bb.8:                                ;   in Loop: Header=BB1363_3 Depth=1
	global_load_dwordx4 v[3:6], v[9:10], off
	s_waitcnt vmcnt(0)
	ds_write2_b64 v24, v[3:4], v[5:6] offset1:1
	s_branch .LBB1363_2
.LBB1363_9:
	v_mov_b32_e32 v15, 0
	v_mov_b32_e32 v17, 0
	;; [unrolled: 1-line block ×4, first 2 shown]
.LBB1363_10:
	v_cmp_le_i32_e32 vcc, v7, v19
	v_cmp_gt_i32_e64 s[0:1], s9, v19
	s_and_b64 s[0:1], vcc, s[0:1]
	s_and_saveexec_b64 s[2:3], s[0:1]
	s_cbranch_execz .LBB1363_12
; %bb.11:
	s_load_dwordx2 s[6:7], s[4:5], 0x70
	s_load_dwordx4 s[0:3], s[4:5], 0x60
	v_mul_f64 v[2:3], s[14:15], v[15:16]
	v_mul_f64 v[0:1], s[16:17], v[15:16]
	s_waitcnt lgkmcnt(0)
	s_mul_i32 s5, s7, s8
	v_mul_lo_u32 v6, s3, v19
	v_mul_lo_u32 v9, s2, v20
	v_mad_u64_u32 v[4:5], s[2:3], s2, v19, 0
	s_mul_hi_u32 s7, s6, s8
	s_mul_i32 s4, s6, s8
	s_add_i32 s5, s7, s5
	s_lshl_b64 s[4:5], s[4:5], 4
	v_add3_u32 v5, v5, v9, v6
	s_add_u32 s0, s0, s4
	v_fma_f64 v[2:3], s[16:17], v[17:18], v[2:3]
	v_lshlrev_b64 v[4:5], 4, v[4:5]
	s_addc_u32 s1, s1, s5
	v_fma_f64 v[0:1], s[14:15], v[17:18], -v[0:1]
	v_mov_b32_e32 v6, s1
	v_add_co_u32_e32 v9, vcc, s0, v4
	v_addc_co_u32_e32 v6, vcc, v6, v5, vcc
	v_lshlrev_b64 v[4:5], 4, v[7:8]
	v_add_co_u32_e32 v4, vcc, v9, v4
	v_addc_co_u32_e32 v5, vcc, v6, v5, vcc
	v_cmp_ne_u32_e32 vcc, v7, v19
	v_cndmask_b32_e32 v3, 0, v3, vcc
	v_cndmask_b32_e32 v2, 0, v2, vcc
	global_store_dwordx4 v[4:5], v[0:3], off
.LBB1363_12:
	s_endpgm
	.section	.rodata,"a",@progbits
	.p2align	6, 0x0
	.amdhsa_kernel _ZL32rocblas_syrkx_herkx_small_kernelIl19rocblas_complex_numIdELi16ELb1ELb1ELc67ELc85EKS1_S1_EviT_T0_PT6_S3_lS6_S3_lS4_PT7_S3_li
		.amdhsa_group_segment_fixed_size 8192
		.amdhsa_private_segment_fixed_size 0
		.amdhsa_kernarg_size 124
		.amdhsa_user_sgpr_count 6
		.amdhsa_user_sgpr_private_segment_buffer 1
		.amdhsa_user_sgpr_dispatch_ptr 0
		.amdhsa_user_sgpr_queue_ptr 0
		.amdhsa_user_sgpr_kernarg_segment_ptr 1
		.amdhsa_user_sgpr_dispatch_id 0
		.amdhsa_user_sgpr_flat_scratch_init 0
		.amdhsa_user_sgpr_private_segment_size 0
		.amdhsa_uses_dynamic_stack 0
		.amdhsa_system_sgpr_private_segment_wavefront_offset 0
		.amdhsa_system_sgpr_workgroup_id_x 1
		.amdhsa_system_sgpr_workgroup_id_y 1
		.amdhsa_system_sgpr_workgroup_id_z 1
		.amdhsa_system_sgpr_workgroup_info 0
		.amdhsa_system_vgpr_workitem_id 1
		.amdhsa_next_free_vgpr 53
		.amdhsa_next_free_sgpr 61
		.amdhsa_reserve_vcc 1
		.amdhsa_reserve_flat_scratch 0
		.amdhsa_float_round_mode_32 0
		.amdhsa_float_round_mode_16_64 0
		.amdhsa_float_denorm_mode_32 3
		.amdhsa_float_denorm_mode_16_64 3
		.amdhsa_dx10_clamp 1
		.amdhsa_ieee_mode 1
		.amdhsa_fp16_overflow 0
		.amdhsa_exception_fp_ieee_invalid_op 0
		.amdhsa_exception_fp_denorm_src 0
		.amdhsa_exception_fp_ieee_div_zero 0
		.amdhsa_exception_fp_ieee_overflow 0
		.amdhsa_exception_fp_ieee_underflow 0
		.amdhsa_exception_fp_ieee_inexact 0
		.amdhsa_exception_int_div_zero 0
	.end_amdhsa_kernel
	.section	.text._ZL32rocblas_syrkx_herkx_small_kernelIl19rocblas_complex_numIdELi16ELb1ELb1ELc67ELc85EKS1_S1_EviT_T0_PT6_S3_lS6_S3_lS4_PT7_S3_li,"axG",@progbits,_ZL32rocblas_syrkx_herkx_small_kernelIl19rocblas_complex_numIdELi16ELb1ELb1ELc67ELc85EKS1_S1_EviT_T0_PT6_S3_lS6_S3_lS4_PT7_S3_li,comdat
.Lfunc_end1363:
	.size	_ZL32rocblas_syrkx_herkx_small_kernelIl19rocblas_complex_numIdELi16ELb1ELb1ELc67ELc85EKS1_S1_EviT_T0_PT6_S3_lS6_S3_lS4_PT7_S3_li, .Lfunc_end1363-_ZL32rocblas_syrkx_herkx_small_kernelIl19rocblas_complex_numIdELi16ELb1ELb1ELc67ELc85EKS1_S1_EviT_T0_PT6_S3_lS6_S3_lS4_PT7_S3_li
                                        ; -- End function
	.set _ZL32rocblas_syrkx_herkx_small_kernelIl19rocblas_complex_numIdELi16ELb1ELb1ELc67ELc85EKS1_S1_EviT_T0_PT6_S3_lS6_S3_lS4_PT7_S3_li.num_vgpr, 53
	.set _ZL32rocblas_syrkx_herkx_small_kernelIl19rocblas_complex_numIdELi16ELb1ELb1ELc67ELc85EKS1_S1_EviT_T0_PT6_S3_lS6_S3_lS4_PT7_S3_li.num_agpr, 0
	.set _ZL32rocblas_syrkx_herkx_small_kernelIl19rocblas_complex_numIdELi16ELb1ELb1ELc67ELc85EKS1_S1_EviT_T0_PT6_S3_lS6_S3_lS4_PT7_S3_li.numbered_sgpr, 28
	.set _ZL32rocblas_syrkx_herkx_small_kernelIl19rocblas_complex_numIdELi16ELb1ELb1ELc67ELc85EKS1_S1_EviT_T0_PT6_S3_lS6_S3_lS4_PT7_S3_li.num_named_barrier, 0
	.set _ZL32rocblas_syrkx_herkx_small_kernelIl19rocblas_complex_numIdELi16ELb1ELb1ELc67ELc85EKS1_S1_EviT_T0_PT6_S3_lS6_S3_lS4_PT7_S3_li.private_seg_size, 0
	.set _ZL32rocblas_syrkx_herkx_small_kernelIl19rocblas_complex_numIdELi16ELb1ELb1ELc67ELc85EKS1_S1_EviT_T0_PT6_S3_lS6_S3_lS4_PT7_S3_li.uses_vcc, 1
	.set _ZL32rocblas_syrkx_herkx_small_kernelIl19rocblas_complex_numIdELi16ELb1ELb1ELc67ELc85EKS1_S1_EviT_T0_PT6_S3_lS6_S3_lS4_PT7_S3_li.uses_flat_scratch, 0
	.set _ZL32rocblas_syrkx_herkx_small_kernelIl19rocblas_complex_numIdELi16ELb1ELb1ELc67ELc85EKS1_S1_EviT_T0_PT6_S3_lS6_S3_lS4_PT7_S3_li.has_dyn_sized_stack, 0
	.set _ZL32rocblas_syrkx_herkx_small_kernelIl19rocblas_complex_numIdELi16ELb1ELb1ELc67ELc85EKS1_S1_EviT_T0_PT6_S3_lS6_S3_lS4_PT7_S3_li.has_recursion, 0
	.set _ZL32rocblas_syrkx_herkx_small_kernelIl19rocblas_complex_numIdELi16ELb1ELb1ELc67ELc85EKS1_S1_EviT_T0_PT6_S3_lS6_S3_lS4_PT7_S3_li.has_indirect_call, 0
	.section	.AMDGPU.csdata,"",@progbits
; Kernel info:
; codeLenInByte = 1868
; TotalNumSgprs: 32
; NumVgprs: 53
; ScratchSize: 0
; MemoryBound: 1
; FloatMode: 240
; IeeeMode: 1
; LDSByteSize: 8192 bytes/workgroup (compile time only)
; SGPRBlocks: 8
; VGPRBlocks: 13
; NumSGPRsForWavesPerEU: 65
; NumVGPRsForWavesPerEU: 53
; Occupancy: 4
; WaveLimiterHint : 0
; COMPUTE_PGM_RSRC2:SCRATCH_EN: 0
; COMPUTE_PGM_RSRC2:USER_SGPR: 6
; COMPUTE_PGM_RSRC2:TRAP_HANDLER: 0
; COMPUTE_PGM_RSRC2:TGID_X_EN: 1
; COMPUTE_PGM_RSRC2:TGID_Y_EN: 1
; COMPUTE_PGM_RSRC2:TGID_Z_EN: 1
; COMPUTE_PGM_RSRC2:TIDIG_COMP_CNT: 1
	.section	.text._ZL32rocblas_syrkx_herkx_small_kernelIl19rocblas_complex_numIdELi16ELb1ELb1ELc78ELc85EKS1_S1_EviT_T0_PT6_S3_lS6_S3_lS4_PT7_S3_li,"axG",@progbits,_ZL32rocblas_syrkx_herkx_small_kernelIl19rocblas_complex_numIdELi16ELb1ELb1ELc78ELc85EKS1_S1_EviT_T0_PT6_S3_lS6_S3_lS4_PT7_S3_li,comdat
	.globl	_ZL32rocblas_syrkx_herkx_small_kernelIl19rocblas_complex_numIdELi16ELb1ELb1ELc78ELc85EKS1_S1_EviT_T0_PT6_S3_lS6_S3_lS4_PT7_S3_li ; -- Begin function _ZL32rocblas_syrkx_herkx_small_kernelIl19rocblas_complex_numIdELi16ELb1ELb1ELc78ELc85EKS1_S1_EviT_T0_PT6_S3_lS6_S3_lS4_PT7_S3_li
	.p2align	8
	.type	_ZL32rocblas_syrkx_herkx_small_kernelIl19rocblas_complex_numIdELi16ELb1ELb1ELc78ELc85EKS1_S1_EviT_T0_PT6_S3_lS6_S3_lS4_PT7_S3_li,@function
_ZL32rocblas_syrkx_herkx_small_kernelIl19rocblas_complex_numIdELi16ELb1ELb1ELc78ELc85EKS1_S1_EviT_T0_PT6_S3_lS6_S3_lS4_PT7_S3_li: ; @_ZL32rocblas_syrkx_herkx_small_kernelIl19rocblas_complex_numIdELi16ELb1ELb1ELc78ELc85EKS1_S1_EviT_T0_PT6_S3_lS6_S3_lS4_PT7_S3_li
; %bb.0:
	s_load_dwordx16 s[12:27], s[4:5], 0x8
	s_load_dword s9, s[4:5], 0x0
	v_lshl_add_u32 v7, s6, 4, v0
	v_lshl_add_u32 v9, s7, 4, v1
	v_ashrrev_i32_e32 v8, 31, v7
	s_waitcnt lgkmcnt(0)
	v_cmp_lt_i64_e64 s[0:1], s[12:13], 1
	v_ashrrev_i32_e32 v10, 31, v9
	s_and_b64 vcc, exec, s[0:1]
	v_cmp_gt_i32_e64 s[0:1], s9, v9
	s_cbranch_vccnz .LBB1364_9
; %bb.1:
	v_lshlrev_b32_e32 v3, 8, v1
	v_lshlrev_b32_e32 v21, 4, v0
	v_add_u32_e32 v22, v21, v3
	v_add_u32_e32 v23, 0x1000, v3
	v_mad_u64_u32 v[3:4], s[6:7], s26, v0, 0
	s_load_dwordx2 s[2:3], s[4:5], 0x48
	s_mul_hi_u32 s11, s22, s8
	v_mad_u64_u32 v[4:5], s[6:7], s27, v0, v[4:5]
	v_cmp_gt_i32_e32 vcc, s9, v7
	s_waitcnt lgkmcnt(0)
	s_mul_i32 s3, s3, s8
	s_mul_hi_u32 s10, s2, s8
	s_add_i32 s3, s10, s3
	s_mul_i32 s2, s2, s8
	v_lshlrev_b64 v[3:4], 4, v[3:4]
	s_lshl_b64 s[2:3], s[2:3], 4
	v_mov_b32_e32 v5, s3
	v_add_co_u32_e64 v6, s[2:3], s2, v3
	v_addc_co_u32_e64 v5, s[2:3], v5, v4, s[2:3]
	v_lshlrev_b64 v[3:4], 4, v[9:10]
	s_mul_i32 s10, s23, s8
	v_add_co_u32_e64 v3, s[2:3], v6, v3
	v_addc_co_u32_e64 v4, s[2:3], v5, v4, s[2:3]
	v_mov_b32_e32 v5, s25
	v_add_co_u32_e64 v3, s[2:3], s24, v3
	v_addc_co_u32_e64 v4, s[2:3], v5, v4, s[2:3]
	v_add_co_u32_e64 v11, s[2:3], 8, v3
	v_addc_co_u32_e64 v12, s[2:3], 0, v4, s[2:3]
	v_mad_u64_u32 v[3:4], s[2:3], s20, v1, 0
	s_lshl_b64 s[6:7], s[26:27], 8
	v_mov_b32_e32 v17, 0
	v_mad_u64_u32 v[4:5], s[2:3], s21, v1, v[4:5]
	s_add_i32 s3, s11, s10
	s_mul_i32 s2, s22, s8
	v_lshlrev_b64 v[3:4], 4, v[3:4]
	s_lshl_b64 s[2:3], s[2:3], 4
	v_mov_b32_e32 v5, s3
	v_add_co_u32_e64 v6, s[2:3], s2, v3
	v_addc_co_u32_e64 v5, s[2:3], v5, v4, s[2:3]
	v_lshlrev_b64 v[3:4], 4, v[7:8]
	s_lshl_b64 s[10:11], s[20:21], 8
	v_add_co_u32_e64 v3, s[2:3], v6, v3
	v_addc_co_u32_e64 v4, s[2:3], v5, v4, s[2:3]
	v_mov_b32_e32 v5, s19
	v_add_co_u32_e64 v13, s[2:3], s18, v3
	v_mov_b32_e32 v19, 0
	v_mov_b32_e32 v16, s13
	v_mov_b32_e32 v2, 0
	v_add_u32_e32 v24, v23, v21
	v_addc_co_u32_e64 v14, s[2:3], v5, v4, s[2:3]
	v_mov_b32_e32 v18, 0
	s_mov_b64 s[18:19], 0
	s_xor_b64 s[20:21], vcc, -1
	v_mov_b32_e32 v25, s7
	v_mov_b32_e32 v26, s11
	;; [unrolled: 1-line block ×4, first 2 shown]
	s_branch .LBB1364_3
.LBB1364_2:                             ;   in Loop: Header=BB1364_3 Depth=1
	s_or_b64 exec, exec, s[2:3]
	ds_write_b128 v24, v[3:6]
	s_waitcnt lgkmcnt(0)
	s_barrier
	ds_read_b128 v[3:6], v21
	ds_read_b128 v[27:30], v23
	ds_read_b128 v[31:34], v23 offset:16
	ds_read_b128 v[35:38], v21 offset:256
	s_add_u32 s18, s18, 16
	v_add_co_u32_e32 v11, vcc, s6, v11
	s_waitcnt lgkmcnt(2)
	v_mul_f64 v[39:40], v[29:30], v[5:6]
	v_mul_f64 v[5:6], v[27:28], v[5:6]
	s_waitcnt lgkmcnt(0)
	v_mul_f64 v[41:42], v[33:34], v[37:38]
	v_mul_f64 v[43:44], v[31:32], v[37:38]
	v_addc_co_u32_e32 v12, vcc, v12, v25, vcc
	s_addc_u32 s19, s19, 0
	v_cmp_ge_i64_e32 vcc, s[18:19], v[15:16]
	v_fma_f64 v[45:46], v[27:28], v[3:4], -v[39:40]
	v_fma_f64 v[47:48], v[29:30], v[3:4], v[5:6]
	ds_read_b128 v[3:6], v21 offset:512
	ds_read_b128 v[27:30], v23 offset:32
	;; [unrolled: 1-line block ×3, first 2 shown]
	v_fma_f64 v[41:42], v[31:32], v[35:36], -v[41:42]
	v_fma_f64 v[35:36], v[33:34], v[35:36], v[43:44]
	ds_read_b128 v[31:34], v21 offset:768
	s_waitcnt lgkmcnt(2)
	v_mul_f64 v[43:44], v[29:30], v[5:6]
	v_mul_f64 v[5:6], v[27:28], v[5:6]
	v_add_f64 v[19:20], v[19:20], v[45:46]
	v_add_f64 v[17:18], v[17:18], v[47:48]
	s_waitcnt lgkmcnt(0)
	v_mul_f64 v[45:46], v[39:40], v[33:34]
	v_mul_f64 v[33:34], v[37:38], v[33:34]
	v_add_co_u32_e64 v13, s[2:3], s10, v13
	v_fma_f64 v[43:44], v[27:28], v[3:4], -v[43:44]
	v_fma_f64 v[47:48], v[29:30], v[3:4], v[5:6]
	v_add_f64 v[41:42], v[19:20], v[41:42]
	v_add_f64 v[35:36], v[17:18], v[35:36]
	ds_read_b128 v[3:6], v23 offset:64
	ds_read_b128 v[17:20], v21 offset:1024
	v_fma_f64 v[37:38], v[37:38], v[31:32], -v[45:46]
	v_fma_f64 v[39:40], v[39:40], v[31:32], v[33:34]
	ds_read_b128 v[27:30], v23 offset:80
	ds_read_b128 v[31:34], v21 offset:1280
	v_addc_co_u32_e64 v14, s[2:3], v14, v26, s[2:3]
	s_waitcnt lgkmcnt(2)
	v_mul_f64 v[45:46], v[5:6], v[19:20]
	v_mul_f64 v[19:20], v[3:4], v[19:20]
	v_add_f64 v[41:42], v[41:42], v[43:44]
	v_add_f64 v[35:36], v[35:36], v[47:48]
	s_waitcnt lgkmcnt(0)
	v_mul_f64 v[43:44], v[29:30], v[33:34]
	v_mul_f64 v[33:34], v[27:28], v[33:34]
	s_and_b64 vcc, exec, vcc
	v_fma_f64 v[45:46], v[3:4], v[17:18], -v[45:46]
	v_fma_f64 v[47:48], v[5:6], v[17:18], v[19:20]
	v_add_f64 v[37:38], v[41:42], v[37:38]
	v_add_f64 v[35:36], v[35:36], v[39:40]
	ds_read_b128 v[3:6], v23 offset:96
	ds_read_b128 v[17:20], v21 offset:1536
	v_fma_f64 v[39:40], v[27:28], v[31:32], -v[43:44]
	v_fma_f64 v[41:42], v[29:30], v[31:32], v[33:34]
	ds_read_b128 v[27:30], v23 offset:112
	ds_read_b128 v[31:34], v21 offset:1792
	s_waitcnt lgkmcnt(2)
	v_mul_f64 v[43:44], v[5:6], v[19:20]
	v_mul_f64 v[19:20], v[3:4], v[19:20]
	v_add_f64 v[37:38], v[37:38], v[45:46]
	v_add_f64 v[35:36], v[35:36], v[47:48]
	s_waitcnt lgkmcnt(0)
	v_mul_f64 v[45:46], v[29:30], v[33:34]
	v_mul_f64 v[33:34], v[27:28], v[33:34]
	v_fma_f64 v[43:44], v[3:4], v[17:18], -v[43:44]
	v_fma_f64 v[47:48], v[5:6], v[17:18], v[19:20]
	v_add_f64 v[37:38], v[37:38], v[39:40]
	v_add_f64 v[35:36], v[35:36], v[41:42]
	ds_read_b128 v[3:6], v23 offset:128
	ds_read_b128 v[17:20], v21 offset:2048
	v_fma_f64 v[39:40], v[27:28], v[31:32], -v[45:46]
	v_fma_f64 v[41:42], v[29:30], v[31:32], v[33:34]
	ds_read_b128 v[27:30], v23 offset:144
	ds_read_b128 v[31:34], v21 offset:2304
	s_waitcnt lgkmcnt(2)
	v_mul_f64 v[45:46], v[5:6], v[19:20]
	v_mul_f64 v[19:20], v[3:4], v[19:20]
	v_add_f64 v[37:38], v[37:38], v[43:44]
	v_add_f64 v[35:36], v[35:36], v[47:48]
	s_waitcnt lgkmcnt(0)
	v_mul_f64 v[43:44], v[29:30], v[33:34]
	v_mul_f64 v[33:34], v[27:28], v[33:34]
	;; [unrolled: 18-line block ×4, first 2 shown]
	v_fma_f64 v[45:46], v[3:4], v[17:18], -v[45:46]
	v_fma_f64 v[47:48], v[5:6], v[17:18], v[19:20]
	v_add_f64 v[37:38], v[37:38], v[39:40]
	v_add_f64 v[35:36], v[35:36], v[41:42]
	ds_read_b128 v[3:6], v23 offset:224
	ds_read_b128 v[17:20], v21 offset:3584
	v_fma_f64 v[39:40], v[27:28], v[31:32], -v[43:44]
	v_fma_f64 v[41:42], v[29:30], v[31:32], v[33:34]
	ds_read_b128 v[27:30], v23 offset:240
	ds_read_b128 v[31:34], v21 offset:3840
	s_waitcnt lgkmcnt(0)
	v_mul_f64 v[43:44], v[5:6], v[19:20]
	v_mul_f64 v[19:20], v[3:4], v[19:20]
	v_add_f64 v[37:38], v[37:38], v[45:46]
	v_add_f64 v[35:36], v[35:36], v[47:48]
	v_mul_f64 v[45:46], v[29:30], v[33:34]
	v_mul_f64 v[33:34], v[27:28], v[33:34]
	s_barrier
	v_fma_f64 v[3:4], v[3:4], v[17:18], -v[43:44]
	v_fma_f64 v[5:6], v[5:6], v[17:18], v[19:20]
	v_add_f64 v[17:18], v[37:38], v[39:40]
	v_add_f64 v[19:20], v[35:36], v[41:42]
	v_fma_f64 v[27:28], v[27:28], v[31:32], -v[45:46]
	v_fma_f64 v[29:30], v[29:30], v[31:32], v[33:34]
	v_add_f64 v[3:4], v[17:18], v[3:4]
	v_add_f64 v[5:6], v[19:20], v[5:6]
	;; [unrolled: 1-line block ×4, first 2 shown]
	s_cbranch_vccnz .LBB1364_10
.LBB1364_3:                             ; =>This Inner Loop Header: Depth=1
	v_mov_b32_e32 v4, s19
	v_add_co_u32_e32 v3, vcc, s18, v1
	v_addc_co_u32_e32 v4, vcc, 0, v4, vcc
	v_cmp_le_i64_e32 vcc, s[12:13], v[3:4]
	s_or_b64 s[2:3], s[20:21], vcc
	s_and_saveexec_b64 s[22:23], s[2:3]
	s_xor_b64 s[2:3], exec, s[22:23]
; %bb.4:                                ;   in Loop: Header=BB1364_3 Depth=1
	v_mov_b32_e32 v3, v2
	v_mov_b32_e32 v4, v2
	;; [unrolled: 1-line block ×3, first 2 shown]
	ds_write_b128 v22, v[2:5]
; %bb.5:                                ;   in Loop: Header=BB1364_3 Depth=1
	s_andn2_saveexec_b64 s[2:3], s[2:3]
	s_cbranch_execz .LBB1364_7
; %bb.6:                                ;   in Loop: Header=BB1364_3 Depth=1
	global_load_dwordx4 v[3:6], v[13:14], off
	s_waitcnt vmcnt(0)
	ds_write2_b64 v22, v[3:4], v[5:6] offset1:1
.LBB1364_7:                             ;   in Loop: Header=BB1364_3 Depth=1
	s_or_b64 exec, exec, s[2:3]
	v_mov_b32_e32 v4, s19
	v_add_co_u32_e32 v3, vcc, s18, v0
	v_addc_co_u32_e32 v4, vcc, 0, v4, vcc
	v_cmp_gt_i64_e32 vcc, s[12:13], v[3:4]
	v_mov_b32_e32 v3, 0
	v_mov_b32_e32 v5, 0
	;; [unrolled: 1-line block ×4, first 2 shown]
	s_and_b64 s[22:23], s[0:1], vcc
	s_and_saveexec_b64 s[2:3], s[22:23]
	s_cbranch_execz .LBB1364_2
; %bb.8:                                ;   in Loop: Header=BB1364_3 Depth=1
	global_load_dwordx4 v[3:6], v[11:12], off offset:-8
	s_waitcnt vmcnt(0)
	v_xor_b32_e32 v6, 0x80000000, v6
	s_branch .LBB1364_2
.LBB1364_9:
	v_mov_b32_e32 v17, 0
	v_mov_b32_e32 v19, 0
	;; [unrolled: 1-line block ×4, first 2 shown]
.LBB1364_10:
	v_cmp_le_i32_e32 vcc, v7, v9
	v_cmp_gt_i32_e64 s[0:1], s9, v9
	s_and_b64 s[0:1], vcc, s[0:1]
	s_and_saveexec_b64 s[2:3], s[0:1]
	s_cbranch_execz .LBB1364_12
; %bb.11:
	s_load_dwordx2 s[6:7], s[4:5], 0x70
	s_load_dwordx4 s[0:3], s[4:5], 0x60
	v_mul_f64 v[2:3], s[14:15], v[17:18]
	v_mul_f64 v[0:1], s[16:17], v[17:18]
	s_waitcnt lgkmcnt(0)
	s_mul_i32 s5, s7, s8
	v_mul_lo_u32 v6, s3, v9
	v_mul_lo_u32 v10, s2, v10
	v_mad_u64_u32 v[4:5], s[2:3], s2, v9, 0
	s_mul_hi_u32 s7, s6, s8
	s_mul_i32 s4, s6, s8
	s_add_i32 s5, s7, s5
	s_lshl_b64 s[4:5], s[4:5], 4
	v_add3_u32 v5, v5, v10, v6
	s_add_u32 s0, s0, s4
	v_fma_f64 v[2:3], s[16:17], v[19:20], v[2:3]
	v_lshlrev_b64 v[4:5], 4, v[4:5]
	s_addc_u32 s1, s1, s5
	v_fma_f64 v[0:1], s[14:15], v[19:20], -v[0:1]
	v_mov_b32_e32 v6, s1
	v_add_co_u32_e32 v10, vcc, s0, v4
	v_addc_co_u32_e32 v6, vcc, v6, v5, vcc
	v_lshlrev_b64 v[4:5], 4, v[7:8]
	v_add_co_u32_e32 v4, vcc, v10, v4
	v_addc_co_u32_e32 v5, vcc, v6, v5, vcc
	v_cmp_ne_u32_e32 vcc, v7, v9
	v_cndmask_b32_e32 v3, 0, v3, vcc
	v_cndmask_b32_e32 v2, 0, v2, vcc
	global_store_dwordx4 v[4:5], v[0:3], off
.LBB1364_12:
	s_endpgm
	.section	.rodata,"a",@progbits
	.p2align	6, 0x0
	.amdhsa_kernel _ZL32rocblas_syrkx_herkx_small_kernelIl19rocblas_complex_numIdELi16ELb1ELb1ELc78ELc85EKS1_S1_EviT_T0_PT6_S3_lS6_S3_lS4_PT7_S3_li
		.amdhsa_group_segment_fixed_size 8192
		.amdhsa_private_segment_fixed_size 0
		.amdhsa_kernarg_size 124
		.amdhsa_user_sgpr_count 6
		.amdhsa_user_sgpr_private_segment_buffer 1
		.amdhsa_user_sgpr_dispatch_ptr 0
		.amdhsa_user_sgpr_queue_ptr 0
		.amdhsa_user_sgpr_kernarg_segment_ptr 1
		.amdhsa_user_sgpr_dispatch_id 0
		.amdhsa_user_sgpr_flat_scratch_init 0
		.amdhsa_user_sgpr_private_segment_size 0
		.amdhsa_uses_dynamic_stack 0
		.amdhsa_system_sgpr_private_segment_wavefront_offset 0
		.amdhsa_system_sgpr_workgroup_id_x 1
		.amdhsa_system_sgpr_workgroup_id_y 1
		.amdhsa_system_sgpr_workgroup_id_z 1
		.amdhsa_system_sgpr_workgroup_info 0
		.amdhsa_system_vgpr_workitem_id 1
		.amdhsa_next_free_vgpr 49
		.amdhsa_next_free_sgpr 61
		.amdhsa_reserve_vcc 1
		.amdhsa_reserve_flat_scratch 0
		.amdhsa_float_round_mode_32 0
		.amdhsa_float_round_mode_16_64 0
		.amdhsa_float_denorm_mode_32 3
		.amdhsa_float_denorm_mode_16_64 3
		.amdhsa_dx10_clamp 1
		.amdhsa_ieee_mode 1
		.amdhsa_fp16_overflow 0
		.amdhsa_exception_fp_ieee_invalid_op 0
		.amdhsa_exception_fp_denorm_src 0
		.amdhsa_exception_fp_ieee_div_zero 0
		.amdhsa_exception_fp_ieee_overflow 0
		.amdhsa_exception_fp_ieee_underflow 0
		.amdhsa_exception_fp_ieee_inexact 0
		.amdhsa_exception_int_div_zero 0
	.end_amdhsa_kernel
	.section	.text._ZL32rocblas_syrkx_herkx_small_kernelIl19rocblas_complex_numIdELi16ELb1ELb1ELc78ELc85EKS1_S1_EviT_T0_PT6_S3_lS6_S3_lS4_PT7_S3_li,"axG",@progbits,_ZL32rocblas_syrkx_herkx_small_kernelIl19rocblas_complex_numIdELi16ELb1ELb1ELc78ELc85EKS1_S1_EviT_T0_PT6_S3_lS6_S3_lS4_PT7_S3_li,comdat
.Lfunc_end1364:
	.size	_ZL32rocblas_syrkx_herkx_small_kernelIl19rocblas_complex_numIdELi16ELb1ELb1ELc78ELc85EKS1_S1_EviT_T0_PT6_S3_lS6_S3_lS4_PT7_S3_li, .Lfunc_end1364-_ZL32rocblas_syrkx_herkx_small_kernelIl19rocblas_complex_numIdELi16ELb1ELb1ELc78ELc85EKS1_S1_EviT_T0_PT6_S3_lS6_S3_lS4_PT7_S3_li
                                        ; -- End function
	.set _ZL32rocblas_syrkx_herkx_small_kernelIl19rocblas_complex_numIdELi16ELb1ELb1ELc78ELc85EKS1_S1_EviT_T0_PT6_S3_lS6_S3_lS4_PT7_S3_li.num_vgpr, 49
	.set _ZL32rocblas_syrkx_herkx_small_kernelIl19rocblas_complex_numIdELi16ELb1ELb1ELc78ELc85EKS1_S1_EviT_T0_PT6_S3_lS6_S3_lS4_PT7_S3_li.num_agpr, 0
	.set _ZL32rocblas_syrkx_herkx_small_kernelIl19rocblas_complex_numIdELi16ELb1ELb1ELc78ELc85EKS1_S1_EviT_T0_PT6_S3_lS6_S3_lS4_PT7_S3_li.numbered_sgpr, 28
	.set _ZL32rocblas_syrkx_herkx_small_kernelIl19rocblas_complex_numIdELi16ELb1ELb1ELc78ELc85EKS1_S1_EviT_T0_PT6_S3_lS6_S3_lS4_PT7_S3_li.num_named_barrier, 0
	.set _ZL32rocblas_syrkx_herkx_small_kernelIl19rocblas_complex_numIdELi16ELb1ELb1ELc78ELc85EKS1_S1_EviT_T0_PT6_S3_lS6_S3_lS4_PT7_S3_li.private_seg_size, 0
	.set _ZL32rocblas_syrkx_herkx_small_kernelIl19rocblas_complex_numIdELi16ELb1ELb1ELc78ELc85EKS1_S1_EviT_T0_PT6_S3_lS6_S3_lS4_PT7_S3_li.uses_vcc, 1
	.set _ZL32rocblas_syrkx_herkx_small_kernelIl19rocblas_complex_numIdELi16ELb1ELb1ELc78ELc85EKS1_S1_EviT_T0_PT6_S3_lS6_S3_lS4_PT7_S3_li.uses_flat_scratch, 0
	.set _ZL32rocblas_syrkx_herkx_small_kernelIl19rocblas_complex_numIdELi16ELb1ELb1ELc78ELc85EKS1_S1_EviT_T0_PT6_S3_lS6_S3_lS4_PT7_S3_li.has_dyn_sized_stack, 0
	.set _ZL32rocblas_syrkx_herkx_small_kernelIl19rocblas_complex_numIdELi16ELb1ELb1ELc78ELc85EKS1_S1_EviT_T0_PT6_S3_lS6_S3_lS4_PT7_S3_li.has_recursion, 0
	.set _ZL32rocblas_syrkx_herkx_small_kernelIl19rocblas_complex_numIdELi16ELb1ELb1ELc78ELc85EKS1_S1_EviT_T0_PT6_S3_lS6_S3_lS4_PT7_S3_li.has_indirect_call, 0
	.section	.AMDGPU.csdata,"",@progbits
; Kernel info:
; codeLenInByte = 1908
; TotalNumSgprs: 32
; NumVgprs: 49
; ScratchSize: 0
; MemoryBound: 1
; FloatMode: 240
; IeeeMode: 1
; LDSByteSize: 8192 bytes/workgroup (compile time only)
; SGPRBlocks: 8
; VGPRBlocks: 12
; NumSGPRsForWavesPerEU: 65
; NumVGPRsForWavesPerEU: 49
; Occupancy: 4
; WaveLimiterHint : 0
; COMPUTE_PGM_RSRC2:SCRATCH_EN: 0
; COMPUTE_PGM_RSRC2:USER_SGPR: 6
; COMPUTE_PGM_RSRC2:TRAP_HANDLER: 0
; COMPUTE_PGM_RSRC2:TGID_X_EN: 1
; COMPUTE_PGM_RSRC2:TGID_Y_EN: 1
; COMPUTE_PGM_RSRC2:TGID_Z_EN: 1
; COMPUTE_PGM_RSRC2:TIDIG_COMP_CNT: 1
	.section	.text._ZL32rocblas_syrkx_herkx_small_kernelIl19rocblas_complex_numIdELi16ELb0ELb1ELc84ELc76EKS1_S1_EviT_T0_PT6_S3_lS6_S3_lS4_PT7_S3_li,"axG",@progbits,_ZL32rocblas_syrkx_herkx_small_kernelIl19rocblas_complex_numIdELi16ELb0ELb1ELc84ELc76EKS1_S1_EviT_T0_PT6_S3_lS6_S3_lS4_PT7_S3_li,comdat
	.globl	_ZL32rocblas_syrkx_herkx_small_kernelIl19rocblas_complex_numIdELi16ELb0ELb1ELc84ELc76EKS1_S1_EviT_T0_PT6_S3_lS6_S3_lS4_PT7_S3_li ; -- Begin function _ZL32rocblas_syrkx_herkx_small_kernelIl19rocblas_complex_numIdELi16ELb0ELb1ELc84ELc76EKS1_S1_EviT_T0_PT6_S3_lS6_S3_lS4_PT7_S3_li
	.p2align	8
	.type	_ZL32rocblas_syrkx_herkx_small_kernelIl19rocblas_complex_numIdELi16ELb0ELb1ELc84ELc76EKS1_S1_EviT_T0_PT6_S3_lS6_S3_lS4_PT7_S3_li,@function
_ZL32rocblas_syrkx_herkx_small_kernelIl19rocblas_complex_numIdELi16ELb0ELb1ELc84ELc76EKS1_S1_EviT_T0_PT6_S3_lS6_S3_lS4_PT7_S3_li: ; @_ZL32rocblas_syrkx_herkx_small_kernelIl19rocblas_complex_numIdELi16ELb0ELb1ELc84ELc76EKS1_S1_EviT_T0_PT6_S3_lS6_S3_lS4_PT7_S3_li
; %bb.0:
	s_load_dwordx16 s[12:27], s[4:5], 0x8
	s_load_dword s9, s[4:5], 0x0
	s_load_dwordx4 s[28:31], s[4:5], 0x68
	s_load_dwordx8 s[36:43], s[4:5], 0x48
	v_lshl_add_u32 v6, s6, 4, v0
	s_waitcnt lgkmcnt(0)
	v_cmp_lt_i64_e64 s[0:1], s[12:13], 1
	v_lshl_add_u32 v18, s7, 4, v1
	s_and_b64 vcc, exec, s[0:1]
	v_cmp_gt_i32_e64 s[0:1], s9, v6
	v_ashrrev_i32_e32 v7, 31, v6
	v_ashrrev_i32_e32 v19, 31, v18
	s_cbranch_vccnz .LBB1365_11
; %bb.1:
	v_mul_lo_u32 v8, s27, v18
	v_mul_lo_u32 v9, s26, v19
	v_mad_u64_u32 v[3:4], s[2:3], s26, v18, 0
	s_mul_i32 s2, s37, s8
	s_mul_hi_u32 s3, s36, s8
	v_add3_u32 v4, v4, v9, v8
	v_lshlrev_b64 v[3:4], 4, v[3:4]
	s_add_i32 s3, s3, s2
	s_mul_i32 s2, s36, s8
	v_lshlrev_b32_e32 v5, 8, v1
	v_lshlrev_b32_e32 v20, 4, v0
	s_lshl_b64 s[2:3], s[2:3], 4
	v_add_u32_e32 v21, v20, v5
	v_add_u32_e32 v22, 0x1000, v5
	v_mov_b32_e32 v5, s3
	v_add_co_u32_e64 v3, s[2:3], s2, v3
	v_addc_co_u32_e64 v4, s[2:3], v4, v5, s[2:3]
	v_add_co_u32_e64 v5, s[2:3], v3, v20
	v_addc_co_u32_e64 v9, s[2:3], 0, v4, s[2:3]
	v_mul_lo_u32 v11, s21, v6
	v_mul_lo_u32 v12, s20, v7
	v_mad_u64_u32 v[3:4], s[2:3], s20, v6, 0
	v_mov_b32_e32 v10, s25
	v_add_co_u32_e64 v8, s[2:3], s24, v5
	v_addc_co_u32_e64 v9, s[2:3], v10, v9, s[2:3]
	v_add3_u32 v4, v4, v12, v11
	s_mul_i32 s2, s23, s8
	s_mul_hi_u32 s3, s22, s8
	v_lshlrev_b64 v[3:4], 4, v[3:4]
	s_add_i32 s3, s3, s2
	s_mul_i32 s2, s22, s8
	s_lshl_b64 s[2:3], s[2:3], 4
	v_mov_b32_e32 v5, s3
	v_add_co_u32_e64 v3, s[2:3], s2, v3
	v_addc_co_u32_e64 v4, s[2:3], v4, v5, s[2:3]
	v_lshlrev_b32_e32 v5, 4, v1
	v_add_co_u32_e64 v3, s[2:3], v3, v5
	v_addc_co_u32_e64 v4, s[2:3], 0, v4, s[2:3]
	v_mov_b32_e32 v5, s19
	v_add_co_u32_e64 v10, s[2:3], s18, v3
	v_cmp_gt_i32_e32 vcc, s9, v18
	v_addc_co_u32_e64 v11, s[2:3], v5, v4, s[2:3]
	v_mov_b32_e32 v14, 0
	v_mov_b32_e32 v16, 0
	;; [unrolled: 1-line block ×4, first 2 shown]
	v_add_u32_e32 v23, v22, v20
	v_mov_b32_e32 v15, 0
	s_mov_b64 s[2:3], 0
	s_xor_b64 s[0:1], s[0:1], -1
	s_xor_b64 s[4:5], vcc, -1
	v_mov_b32_e32 v17, 0
	v_mov_b32_e32 v13, s13
	s_branch .LBB1365_3
.LBB1365_2:                             ;   in Loop: Header=BB1365_3 Depth=1
	s_or_b64 exec, exec, s[6:7]
	s_waitcnt lgkmcnt(0)
	s_barrier
	ds_read_b128 v[24:27], v22
	ds_read_b128 v[28:31], v22 offset:16
	ds_read_b128 v[32:35], v22 offset:32
	ds_read_b128 v[36:39], v22 offset:48
	ds_read_b128 v[40:43], v20
	v_add_co_u32_e32 v8, vcc, 0x100, v8
	v_addc_co_u32_e32 v9, vcc, 0, v9, vcc
	s_waitcnt lgkmcnt(0)
	v_mul_f64 v[3:4], v[26:27], v[42:43]
	s_add_u32 s2, s2, 16
	v_add_co_u32_e32 v10, vcc, 0x100, v10
	s_addc_u32 s3, s3, 0
	v_addc_co_u32_e32 v11, vcc, 0, v11, vcc
	v_cmp_ge_i64_e32 vcc, s[2:3], v[12:13]
	v_fma_f64 v[3:4], v[24:25], v[40:41], -v[3:4]
	v_mul_f64 v[24:25], v[24:25], v[42:43]
	s_and_b64 vcc, exec, vcc
	v_add_f64 v[3:4], v[16:17], v[3:4]
	v_fma_f64 v[24:25], v[26:27], v[40:41], v[24:25]
	v_add_f64 v[24:25], v[14:15], v[24:25]
	ds_read_b128 v[14:17], v20 offset:256
	s_waitcnt lgkmcnt(0)
	v_mul_f64 v[26:27], v[30:31], v[16:17]
	v_mul_f64 v[16:17], v[28:29], v[16:17]
	v_fma_f64 v[26:27], v[28:29], v[14:15], -v[26:27]
	v_fma_f64 v[14:15], v[30:31], v[14:15], v[16:17]
	v_add_f64 v[3:4], v[3:4], v[26:27]
	v_add_f64 v[24:25], v[24:25], v[14:15]
	ds_read_b128 v[14:17], v20 offset:512
	s_waitcnt lgkmcnt(0)
	v_mul_f64 v[26:27], v[34:35], v[16:17]
	v_mul_f64 v[16:17], v[32:33], v[16:17]
	v_fma_f64 v[26:27], v[32:33], v[14:15], -v[26:27]
	v_fma_f64 v[14:15], v[34:35], v[14:15], v[16:17]
	v_add_f64 v[3:4], v[3:4], v[26:27]
	;; [unrolled: 8-line block ×3, first 2 shown]
	v_add_f64 v[28:29], v[24:25], v[14:15]
	ds_read_b128 v[14:17], v22 offset:64
	ds_read_b128 v[24:27], v20 offset:1024
	s_waitcnt lgkmcnt(0)
	v_mul_f64 v[30:31], v[16:17], v[26:27]
	v_fma_f64 v[30:31], v[14:15], v[24:25], -v[30:31]
	v_mul_f64 v[14:15], v[14:15], v[26:27]
	v_add_f64 v[3:4], v[3:4], v[30:31]
	v_fma_f64 v[14:15], v[16:17], v[24:25], v[14:15]
	v_add_f64 v[28:29], v[28:29], v[14:15]
	ds_read_b128 v[14:17], v22 offset:80
	ds_read_b128 v[24:27], v20 offset:1280
	s_waitcnt lgkmcnt(0)
	v_mul_f64 v[30:31], v[16:17], v[26:27]
	v_fma_f64 v[30:31], v[14:15], v[24:25], -v[30:31]
	v_mul_f64 v[14:15], v[14:15], v[26:27]
	v_add_f64 v[3:4], v[3:4], v[30:31]
	v_fma_f64 v[14:15], v[16:17], v[24:25], v[14:15]
	;; [unrolled: 9-line block ×11, first 2 shown]
	v_add_f64 v[28:29], v[28:29], v[14:15]
	ds_read_b128 v[14:17], v22 offset:240
	ds_read_b128 v[24:27], v20 offset:3840
	s_waitcnt lgkmcnt(0)
	s_barrier
	v_mul_f64 v[30:31], v[16:17], v[26:27]
	v_fma_f64 v[30:31], v[14:15], v[24:25], -v[30:31]
	v_mul_f64 v[14:15], v[14:15], v[26:27]
	v_fma_f64 v[14:15], v[16:17], v[24:25], v[14:15]
	v_add_f64 v[16:17], v[3:4], v[30:31]
	v_add_f64 v[14:15], v[28:29], v[14:15]
	s_cbranch_vccnz .LBB1365_12
.LBB1365_3:                             ; =>This Inner Loop Header: Depth=1
	v_mov_b32_e32 v4, s3
	v_add_co_u32_e32 v3, vcc, s2, v1
	v_addc_co_u32_e32 v4, vcc, 0, v4, vcc
	v_cmp_le_i64_e32 vcc, s[12:13], v[3:4]
	s_or_b64 s[6:7], s[0:1], vcc
	s_and_saveexec_b64 s[10:11], s[6:7]
	s_xor_b64 s[6:7], exec, s[10:11]
; %bb.4:                                ;   in Loop: Header=BB1365_3 Depth=1
	v_mov_b32_e32 v3, v2
	v_mov_b32_e32 v4, v2
	;; [unrolled: 1-line block ×3, first 2 shown]
	ds_write_b128 v21, v[2:5]
; %bb.5:                                ;   in Loop: Header=BB1365_3 Depth=1
	s_andn2_saveexec_b64 s[6:7], s[6:7]
	s_cbranch_execz .LBB1365_7
; %bb.6:                                ;   in Loop: Header=BB1365_3 Depth=1
	global_load_dwordx4 v[24:27], v[10:11], off
	s_waitcnt vmcnt(0)
	ds_write2_b64 v21, v[24:25], v[26:27] offset1:1
.LBB1365_7:                             ;   in Loop: Header=BB1365_3 Depth=1
	s_or_b64 exec, exec, s[6:7]
	v_mov_b32_e32 v4, s3
	v_add_co_u32_e32 v3, vcc, s2, v0
	v_addc_co_u32_e32 v4, vcc, 0, v4, vcc
	v_cmp_le_i64_e32 vcc, s[12:13], v[3:4]
	s_or_b64 s[6:7], s[4:5], vcc
	s_and_saveexec_b64 s[10:11], s[6:7]
	s_xor_b64 s[6:7], exec, s[10:11]
; %bb.8:                                ;   in Loop: Header=BB1365_3 Depth=1
	v_mov_b32_e32 v3, v2
	v_mov_b32_e32 v4, v2
	;; [unrolled: 1-line block ×3, first 2 shown]
	ds_write_b128 v23, v[2:5]
; %bb.9:                                ;   in Loop: Header=BB1365_3 Depth=1
	s_andn2_saveexec_b64 s[6:7], s[6:7]
	s_cbranch_execz .LBB1365_2
; %bb.10:                               ;   in Loop: Header=BB1365_3 Depth=1
	global_load_dwordx4 v[24:27], v[8:9], off
	s_waitcnt vmcnt(0)
	ds_write2_b64 v23, v[24:25], v[26:27] offset1:1
	s_branch .LBB1365_2
.LBB1365_11:
	v_mov_b32_e32 v14, 0
	v_mov_b32_e32 v16, 0
	;; [unrolled: 1-line block ×4, first 2 shown]
.LBB1365_12:
	v_cmp_le_i32_e32 vcc, v18, v6
	v_cmp_gt_i32_e64 s[0:1], s9, v6
	s_and_b64 s[0:1], vcc, s[0:1]
	s_and_saveexec_b64 s[2:3], s[0:1]
	s_cbranch_execz .LBB1365_14
; %bb.13:
	v_mul_lo_u32 v2, s29, v18
	v_mul_lo_u32 v3, s28, v19
	v_mad_u64_u32 v[0:1], s[2:3], s28, v18, 0
	s_mul_i32 s0, s31, s8
	s_mul_hi_u32 s1, s30, s8
	s_add_i32 s1, s1, s0
	s_mul_i32 s0, s30, s8
	s_lshl_b64 s[0:1], s[0:1], 4
	v_add3_u32 v1, v1, v3, v2
	s_add_u32 s0, s42, s0
	v_lshlrev_b64 v[0:1], 4, v[0:1]
	s_addc_u32 s1, s43, s1
	v_mov_b32_e32 v2, s1
	v_add_co_u32_e32 v3, vcc, s0, v0
	v_addc_co_u32_e32 v2, vcc, v2, v1, vcc
	v_lshlrev_b64 v[0:1], 4, v[6:7]
	v_mul_f64 v[7:8], s[14:15], v[14:15]
	v_add_co_u32_e32 v4, vcc, v3, v0
	v_addc_co_u32_e32 v5, vcc, v2, v1, vcc
	global_load_dwordx4 v[0:3], v[4:5], off
	v_mul_f64 v[11:12], s[16:17], v[14:15]
	v_cmp_ne_u32_e32 vcc, v6, v18
	v_fma_f64 v[7:8], s[16:17], v[16:17], v[7:8]
	v_fma_f64 v[11:12], s[14:15], v[16:17], -v[11:12]
	s_waitcnt vmcnt(0)
	v_mul_f64 v[9:10], s[38:39], v[2:3]
	v_mul_f64 v[2:3], s[40:41], v[2:3]
	v_fma_f64 v[9:10], s[40:41], v[0:1], v[9:10]
	v_fma_f64 v[0:1], s[38:39], v[0:1], -v[2:3]
	v_add_f64 v[2:3], v[7:8], v[9:10]
	v_add_f64 v[0:1], v[11:12], v[0:1]
	v_cndmask_b32_e32 v3, 0, v3, vcc
	v_cndmask_b32_e32 v2, 0, v2, vcc
	global_store_dwordx4 v[4:5], v[0:3], off
.LBB1365_14:
	s_endpgm
	.section	.rodata,"a",@progbits
	.p2align	6, 0x0
	.amdhsa_kernel _ZL32rocblas_syrkx_herkx_small_kernelIl19rocblas_complex_numIdELi16ELb0ELb1ELc84ELc76EKS1_S1_EviT_T0_PT6_S3_lS6_S3_lS4_PT7_S3_li
		.amdhsa_group_segment_fixed_size 8192
		.amdhsa_private_segment_fixed_size 0
		.amdhsa_kernarg_size 124
		.amdhsa_user_sgpr_count 6
		.amdhsa_user_sgpr_private_segment_buffer 1
		.amdhsa_user_sgpr_dispatch_ptr 0
		.amdhsa_user_sgpr_queue_ptr 0
		.amdhsa_user_sgpr_kernarg_segment_ptr 1
		.amdhsa_user_sgpr_dispatch_id 0
		.amdhsa_user_sgpr_flat_scratch_init 0
		.amdhsa_user_sgpr_private_segment_size 0
		.amdhsa_uses_dynamic_stack 0
		.amdhsa_system_sgpr_private_segment_wavefront_offset 0
		.amdhsa_system_sgpr_workgroup_id_x 1
		.amdhsa_system_sgpr_workgroup_id_y 1
		.amdhsa_system_sgpr_workgroup_id_z 1
		.amdhsa_system_sgpr_workgroup_info 0
		.amdhsa_system_vgpr_workitem_id 1
		.amdhsa_next_free_vgpr 44
		.amdhsa_next_free_sgpr 61
		.amdhsa_reserve_vcc 1
		.amdhsa_reserve_flat_scratch 0
		.amdhsa_float_round_mode_32 0
		.amdhsa_float_round_mode_16_64 0
		.amdhsa_float_denorm_mode_32 3
		.amdhsa_float_denorm_mode_16_64 3
		.amdhsa_dx10_clamp 1
		.amdhsa_ieee_mode 1
		.amdhsa_fp16_overflow 0
		.amdhsa_exception_fp_ieee_invalid_op 0
		.amdhsa_exception_fp_denorm_src 0
		.amdhsa_exception_fp_ieee_div_zero 0
		.amdhsa_exception_fp_ieee_overflow 0
		.amdhsa_exception_fp_ieee_underflow 0
		.amdhsa_exception_fp_ieee_inexact 0
		.amdhsa_exception_int_div_zero 0
	.end_amdhsa_kernel
	.section	.text._ZL32rocblas_syrkx_herkx_small_kernelIl19rocblas_complex_numIdELi16ELb0ELb1ELc84ELc76EKS1_S1_EviT_T0_PT6_S3_lS6_S3_lS4_PT7_S3_li,"axG",@progbits,_ZL32rocblas_syrkx_herkx_small_kernelIl19rocblas_complex_numIdELi16ELb0ELb1ELc84ELc76EKS1_S1_EviT_T0_PT6_S3_lS6_S3_lS4_PT7_S3_li,comdat
.Lfunc_end1365:
	.size	_ZL32rocblas_syrkx_herkx_small_kernelIl19rocblas_complex_numIdELi16ELb0ELb1ELc84ELc76EKS1_S1_EviT_T0_PT6_S3_lS6_S3_lS4_PT7_S3_li, .Lfunc_end1365-_ZL32rocblas_syrkx_herkx_small_kernelIl19rocblas_complex_numIdELi16ELb0ELb1ELc84ELc76EKS1_S1_EviT_T0_PT6_S3_lS6_S3_lS4_PT7_S3_li
                                        ; -- End function
	.set _ZL32rocblas_syrkx_herkx_small_kernelIl19rocblas_complex_numIdELi16ELb0ELb1ELc84ELc76EKS1_S1_EviT_T0_PT6_S3_lS6_S3_lS4_PT7_S3_li.num_vgpr, 44
	.set _ZL32rocblas_syrkx_herkx_small_kernelIl19rocblas_complex_numIdELi16ELb0ELb1ELc84ELc76EKS1_S1_EviT_T0_PT6_S3_lS6_S3_lS4_PT7_S3_li.num_agpr, 0
	.set _ZL32rocblas_syrkx_herkx_small_kernelIl19rocblas_complex_numIdELi16ELb0ELb1ELc84ELc76EKS1_S1_EviT_T0_PT6_S3_lS6_S3_lS4_PT7_S3_li.numbered_sgpr, 44
	.set _ZL32rocblas_syrkx_herkx_small_kernelIl19rocblas_complex_numIdELi16ELb0ELb1ELc84ELc76EKS1_S1_EviT_T0_PT6_S3_lS6_S3_lS4_PT7_S3_li.num_named_barrier, 0
	.set _ZL32rocblas_syrkx_herkx_small_kernelIl19rocblas_complex_numIdELi16ELb0ELb1ELc84ELc76EKS1_S1_EviT_T0_PT6_S3_lS6_S3_lS4_PT7_S3_li.private_seg_size, 0
	.set _ZL32rocblas_syrkx_herkx_small_kernelIl19rocblas_complex_numIdELi16ELb0ELb1ELc84ELc76EKS1_S1_EviT_T0_PT6_S3_lS6_S3_lS4_PT7_S3_li.uses_vcc, 1
	.set _ZL32rocblas_syrkx_herkx_small_kernelIl19rocblas_complex_numIdELi16ELb0ELb1ELc84ELc76EKS1_S1_EviT_T0_PT6_S3_lS6_S3_lS4_PT7_S3_li.uses_flat_scratch, 0
	.set _ZL32rocblas_syrkx_herkx_small_kernelIl19rocblas_complex_numIdELi16ELb0ELb1ELc84ELc76EKS1_S1_EviT_T0_PT6_S3_lS6_S3_lS4_PT7_S3_li.has_dyn_sized_stack, 0
	.set _ZL32rocblas_syrkx_herkx_small_kernelIl19rocblas_complex_numIdELi16ELb0ELb1ELc84ELc76EKS1_S1_EviT_T0_PT6_S3_lS6_S3_lS4_PT7_S3_li.has_recursion, 0
	.set _ZL32rocblas_syrkx_herkx_small_kernelIl19rocblas_complex_numIdELi16ELb0ELb1ELc84ELc76EKS1_S1_EviT_T0_PT6_S3_lS6_S3_lS4_PT7_S3_li.has_indirect_call, 0
	.section	.AMDGPU.csdata,"",@progbits
; Kernel info:
; codeLenInByte = 1952
; TotalNumSgprs: 48
; NumVgprs: 44
; ScratchSize: 0
; MemoryBound: 0
; FloatMode: 240
; IeeeMode: 1
; LDSByteSize: 8192 bytes/workgroup (compile time only)
; SGPRBlocks: 8
; VGPRBlocks: 10
; NumSGPRsForWavesPerEU: 65
; NumVGPRsForWavesPerEU: 44
; Occupancy: 5
; WaveLimiterHint : 0
; COMPUTE_PGM_RSRC2:SCRATCH_EN: 0
; COMPUTE_PGM_RSRC2:USER_SGPR: 6
; COMPUTE_PGM_RSRC2:TRAP_HANDLER: 0
; COMPUTE_PGM_RSRC2:TGID_X_EN: 1
; COMPUTE_PGM_RSRC2:TGID_Y_EN: 1
; COMPUTE_PGM_RSRC2:TGID_Z_EN: 1
; COMPUTE_PGM_RSRC2:TIDIG_COMP_CNT: 1
	.section	.text._ZL32rocblas_syrkx_herkx_small_kernelIl19rocblas_complex_numIdELi16ELb0ELb1ELc67ELc76EKS1_S1_EviT_T0_PT6_S3_lS6_S3_lS4_PT7_S3_li,"axG",@progbits,_ZL32rocblas_syrkx_herkx_small_kernelIl19rocblas_complex_numIdELi16ELb0ELb1ELc67ELc76EKS1_S1_EviT_T0_PT6_S3_lS6_S3_lS4_PT7_S3_li,comdat
	.globl	_ZL32rocblas_syrkx_herkx_small_kernelIl19rocblas_complex_numIdELi16ELb0ELb1ELc67ELc76EKS1_S1_EviT_T0_PT6_S3_lS6_S3_lS4_PT7_S3_li ; -- Begin function _ZL32rocblas_syrkx_herkx_small_kernelIl19rocblas_complex_numIdELi16ELb0ELb1ELc67ELc76EKS1_S1_EviT_T0_PT6_S3_lS6_S3_lS4_PT7_S3_li
	.p2align	8
	.type	_ZL32rocblas_syrkx_herkx_small_kernelIl19rocblas_complex_numIdELi16ELb0ELb1ELc67ELc76EKS1_S1_EviT_T0_PT6_S3_lS6_S3_lS4_PT7_S3_li,@function
_ZL32rocblas_syrkx_herkx_small_kernelIl19rocblas_complex_numIdELi16ELb0ELb1ELc67ELc76EKS1_S1_EviT_T0_PT6_S3_lS6_S3_lS4_PT7_S3_li: ; @_ZL32rocblas_syrkx_herkx_small_kernelIl19rocblas_complex_numIdELi16ELb0ELb1ELc67ELc76EKS1_S1_EviT_T0_PT6_S3_lS6_S3_lS4_PT7_S3_li
; %bb.0:
	s_load_dwordx16 s[12:27], s[4:5], 0x8
	s_load_dword s9, s[4:5], 0x0
	s_load_dwordx4 s[28:31], s[4:5], 0x68
	s_load_dwordx8 s[36:43], s[4:5], 0x48
	v_lshl_add_u32 v7, s6, 4, v0
	s_waitcnt lgkmcnt(0)
	v_cmp_lt_i64_e64 s[0:1], s[12:13], 1
	v_lshl_add_u32 v19, s7, 4, v1
	s_and_b64 vcc, exec, s[0:1]
	v_cmp_gt_i32_e64 s[0:1], s9, v7
	v_ashrrev_i32_e32 v8, 31, v7
	v_ashrrev_i32_e32 v20, 31, v19
	s_cbranch_vccnz .LBB1366_9
; %bb.1:
	v_mul_lo_u32 v6, s27, v19
	v_mul_lo_u32 v9, s26, v20
	v_mad_u64_u32 v[3:4], s[2:3], s26, v19, 0
	s_mul_i32 s2, s37, s8
	s_mul_hi_u32 s3, s36, s8
	v_add3_u32 v4, v4, v9, v6
	v_lshlrev_b64 v[3:4], 4, v[3:4]
	s_add_i32 s3, s3, s2
	s_mul_i32 s2, s36, s8
	v_lshlrev_b32_e32 v5, 8, v1
	v_lshlrev_b32_e32 v21, 4, v0
	s_lshl_b64 s[2:3], s[2:3], 4
	v_add_u32_e32 v22, v21, v5
	v_add_u32_e32 v23, 0x1000, v5
	v_mov_b32_e32 v5, s3
	v_add_co_u32_e64 v3, s[2:3], s2, v3
	v_addc_co_u32_e64 v4, s[2:3], v4, v5, s[2:3]
	v_add_co_u32_e64 v5, s[2:3], v3, v21
	v_addc_co_u32_e64 v6, s[2:3], 0, v4, s[2:3]
	v_mul_lo_u32 v11, s21, v7
	v_mul_lo_u32 v12, s20, v8
	v_mad_u64_u32 v[3:4], s[2:3], s20, v7, 0
	v_mov_b32_e32 v10, s25
	v_add_co_u32_e64 v9, s[2:3], s24, v5
	v_addc_co_u32_e64 v10, s[2:3], v10, v6, s[2:3]
	v_add3_u32 v4, v4, v12, v11
	s_mul_i32 s2, s23, s8
	s_mul_hi_u32 s3, s22, s8
	v_lshlrev_b64 v[3:4], 4, v[3:4]
	s_add_i32 s3, s3, s2
	s_mul_i32 s2, s22, s8
	s_lshl_b64 s[2:3], s[2:3], 4
	v_mov_b32_e32 v5, s3
	v_add_co_u32_e64 v3, s[2:3], s2, v3
	v_addc_co_u32_e64 v4, s[2:3], v4, v5, s[2:3]
	v_lshlrev_b32_e32 v5, 4, v1
	v_add_co_u32_e64 v3, s[2:3], v3, v5
	v_addc_co_u32_e64 v4, s[2:3], 0, v4, s[2:3]
	v_mov_b32_e32 v5, s19
	v_add_co_u32_e64 v3, s[2:3], s18, v3
	v_addc_co_u32_e64 v4, s[2:3], v5, v4, s[2:3]
	v_cmp_gt_i32_e32 vcc, s9, v19
	v_add_co_u32_e64 v11, s[2:3], 8, v3
	v_mov_b32_e32 v15, 0
	v_mov_b32_e32 v17, 0
	v_mov_b32_e32 v14, s13
	v_mov_b32_e32 v2, 0
	v_add_u32_e32 v24, v23, v21
	v_addc_co_u32_e64 v12, s[2:3], 0, v4, s[2:3]
	v_mov_b32_e32 v16, 0
	s_mov_b64 s[4:5], 0
	s_xor_b64 s[6:7], vcc, -1
	v_mov_b32_e32 v18, 0
	v_mov_b32_e32 v13, s12
	s_branch .LBB1366_3
.LBB1366_2:                             ;   in Loop: Header=BB1366_3 Depth=1
	s_or_b64 exec, exec, s[2:3]
	s_waitcnt lgkmcnt(0)
	s_barrier
	ds_read_b128 v[3:6], v21
	ds_read_b128 v[25:28], v23
	ds_read_b128 v[29:32], v23 offset:16
	ds_read_b128 v[33:36], v21 offset:256
	s_add_u32 s4, s4, 16
	v_add_co_u32_e32 v9, vcc, 0x100, v9
	s_waitcnt lgkmcnt(2)
	v_mul_f64 v[39:40], v[27:28], v[5:6]
	v_mul_f64 v[5:6], v[25:26], v[5:6]
	s_waitcnt lgkmcnt(0)
	v_mul_f64 v[43:44], v[31:32], v[35:36]
	v_mul_f64 v[45:46], v[29:30], v[35:36]
	ds_read_b128 v[35:38], v21 offset:512
	s_addc_u32 s5, s5, 0
	v_addc_co_u32_e32 v10, vcc, 0, v10, vcc
	v_fma_f64 v[47:48], v[25:26], v[3:4], -v[39:40]
	v_fma_f64 v[49:50], v[27:28], v[3:4], v[5:6]
	ds_read_b128 v[3:6], v23 offset:32
	ds_read_b128 v[25:28], v23 offset:48
	;; [unrolled: 1-line block ×3, first 2 shown]
	v_fma_f64 v[29:30], v[29:30], v[33:34], -v[43:44]
	v_fma_f64 v[31:32], v[31:32], v[33:34], v[45:46]
	s_waitcnt lgkmcnt(2)
	v_mul_f64 v[33:34], v[5:6], v[37:38]
	v_mul_f64 v[37:38], v[3:4], v[37:38]
	v_add_co_u32_e32 v11, vcc, 0x100, v11
	v_add_f64 v[43:44], v[17:18], v[47:48]
	v_add_f64 v[45:46], v[15:16], v[49:50]
	s_waitcnt lgkmcnt(0)
	v_mul_f64 v[47:48], v[27:28], v[41:42]
	v_mul_f64 v[41:42], v[25:26], v[41:42]
	v_fma_f64 v[49:50], v[3:4], v[35:36], -v[33:34]
	v_fma_f64 v[37:38], v[5:6], v[35:36], v[37:38]
	ds_read_b128 v[15:18], v21 offset:1024
	v_cmp_ge_i64_e64 s[2:3], s[4:5], v[13:14]
	v_add_f64 v[43:44], v[43:44], v[29:30]
	v_add_f64 v[45:46], v[45:46], v[31:32]
	ds_read_b128 v[3:6], v23 offset:64
	ds_read_b128 v[29:32], v23 offset:80
	;; [unrolled: 1-line block ×3, first 2 shown]
	v_fma_f64 v[47:48], v[25:26], v[39:40], -v[47:48]
	v_fma_f64 v[39:40], v[27:28], v[39:40], v[41:42]
	s_waitcnt lgkmcnt(2)
	v_mul_f64 v[41:42], v[5:6], v[17:18]
	v_mul_f64 v[17:18], v[3:4], v[17:18]
	ds_read_b128 v[25:28], v21 offset:1536
	v_add_f64 v[43:44], v[43:44], v[49:50]
	v_add_f64 v[37:38], v[45:46], v[37:38]
	s_waitcnt lgkmcnt(1)
	v_mul_f64 v[45:46], v[31:32], v[35:36]
	v_mul_f64 v[49:50], v[29:30], v[35:36]
	v_addc_co_u32_e32 v12, vcc, 0, v12, vcc
	v_fma_f64 v[41:42], v[3:4], v[15:16], -v[41:42]
	v_fma_f64 v[51:52], v[5:6], v[15:16], v[17:18]
	v_add_f64 v[43:44], v[43:44], v[47:48]
	v_add_f64 v[39:40], v[37:38], v[39:40]
	ds_read_b128 v[3:6], v23 offset:96
	ds_read_b128 v[15:18], v23 offset:112
	;; [unrolled: 1-line block ×3, first 2 shown]
	v_fma_f64 v[45:46], v[29:30], v[33:34], -v[45:46]
	v_fma_f64 v[31:32], v[31:32], v[33:34], v[49:50]
	s_waitcnt lgkmcnt(2)
	v_mul_f64 v[33:34], v[5:6], v[27:28]
	v_mul_f64 v[47:48], v[3:4], v[27:28]
	s_waitcnt lgkmcnt(0)
	v_mul_f64 v[49:50], v[15:16], v[37:38]
	v_add_f64 v[41:42], v[43:44], v[41:42]
	v_add_f64 v[39:40], v[39:40], v[51:52]
	v_mul_f64 v[43:44], v[17:18], v[37:38]
	ds_read_b128 v[27:30], v21 offset:2048
	s_and_b64 vcc, exec, s[2:3]
	v_fma_f64 v[51:52], v[3:4], v[25:26], -v[33:34]
	v_fma_f64 v[25:26], v[5:6], v[25:26], v[47:48]
	v_add_f64 v[41:42], v[41:42], v[45:46]
	v_add_f64 v[45:46], v[39:40], v[31:32]
	ds_read_b128 v[3:6], v23 offset:128
	ds_read_b128 v[31:34], v23 offset:144
	;; [unrolled: 1-line block ×3, first 2 shown]
	v_fma_f64 v[43:44], v[15:16], v[35:36], -v[43:44]
	v_fma_f64 v[35:36], v[17:18], v[35:36], v[49:50]
	s_waitcnt lgkmcnt(2)
	v_mul_f64 v[47:48], v[5:6], v[29:30]
	v_mul_f64 v[29:30], v[3:4], v[29:30]
	s_waitcnt lgkmcnt(0)
	v_mul_f64 v[49:50], v[31:32], v[39:40]
	v_add_f64 v[41:42], v[41:42], v[51:52]
	v_add_f64 v[25:26], v[45:46], v[25:26]
	v_mul_f64 v[45:46], v[33:34], v[39:40]
	ds_read_b128 v[15:18], v21 offset:2560
	v_fma_f64 v[47:48], v[3:4], v[27:28], -v[47:48]
	v_fma_f64 v[29:30], v[5:6], v[27:28], v[29:30]
	v_fma_f64 v[33:34], v[33:34], v[37:38], v[49:50]
	v_add_f64 v[43:44], v[41:42], v[43:44]
	v_add_f64 v[35:36], v[25:26], v[35:36]
	ds_read_b128 v[3:6], v23 offset:160
	ds_read_b128 v[25:28], v23 offset:176
	;; [unrolled: 1-line block ×3, first 2 shown]
	v_fma_f64 v[45:46], v[31:32], v[37:38], -v[45:46]
	s_waitcnt lgkmcnt(2)
	v_mul_f64 v[37:38], v[5:6], v[17:18]
	v_mul_f64 v[17:18], v[3:4], v[17:18]
	v_add_f64 v[43:44], v[43:44], v[47:48]
	v_add_f64 v[35:36], v[35:36], v[29:30]
	s_waitcnt lgkmcnt(0)
	v_mul_f64 v[47:48], v[27:28], v[41:42]
	v_mul_f64 v[41:42], v[25:26], v[41:42]
	ds_read_b128 v[29:32], v21 offset:3072
	v_fma_f64 v[37:38], v[3:4], v[15:16], -v[37:38]
	v_fma_f64 v[49:50], v[5:6], v[15:16], v[17:18]
	v_add_f64 v[43:44], v[43:44], v[45:46]
	v_add_f64 v[45:46], v[35:36], v[33:34]
	ds_read_b128 v[3:6], v23 offset:192
	ds_read_b128 v[15:18], v23 offset:208
	;; [unrolled: 1-line block ×3, first 2 shown]
	v_fma_f64 v[47:48], v[25:26], v[39:40], -v[47:48]
	v_fma_f64 v[39:40], v[27:28], v[39:40], v[41:42]
	s_waitcnt lgkmcnt(2)
	v_mul_f64 v[41:42], v[5:6], v[31:32]
	v_mul_f64 v[31:32], v[3:4], v[31:32]
	ds_read_b128 v[25:28], v21 offset:3584
	v_add_f64 v[37:38], v[43:44], v[37:38]
	v_add_f64 v[43:44], v[45:46], v[49:50]
	s_waitcnt lgkmcnt(1)
	v_mul_f64 v[45:46], v[17:18], v[35:36]
	v_mul_f64 v[49:50], v[15:16], v[35:36]
	v_fma_f64 v[41:42], v[3:4], v[29:30], -v[41:42]
	v_fma_f64 v[51:52], v[5:6], v[29:30], v[31:32]
	v_add_f64 v[47:48], v[37:38], v[47:48]
	v_add_f64 v[39:40], v[43:44], v[39:40]
	ds_read_b128 v[3:6], v23 offset:224
	ds_read_b128 v[29:32], v23 offset:240
	;; [unrolled: 1-line block ×3, first 2 shown]
	v_fma_f64 v[15:16], v[15:16], v[33:34], -v[45:46]
	v_fma_f64 v[17:18], v[17:18], v[33:34], v[49:50]
	s_waitcnt lgkmcnt(2)
	v_mul_f64 v[33:34], v[5:6], v[27:28]
	v_mul_f64 v[27:28], v[3:4], v[27:28]
	s_waitcnt lgkmcnt(0)
	v_mul_f64 v[43:44], v[31:32], v[37:38]
	v_add_f64 v[41:42], v[47:48], v[41:42]
	v_add_f64 v[39:40], v[39:40], v[51:52]
	v_mul_f64 v[37:38], v[29:30], v[37:38]
	s_barrier
	v_fma_f64 v[3:4], v[3:4], v[25:26], -v[33:34]
	v_fma_f64 v[5:6], v[5:6], v[25:26], v[27:28]
	v_fma_f64 v[25:26], v[29:30], v[35:36], -v[43:44]
	v_add_f64 v[15:16], v[41:42], v[15:16]
	v_add_f64 v[17:18], v[39:40], v[17:18]
	v_fma_f64 v[27:28], v[31:32], v[35:36], v[37:38]
	v_add_f64 v[3:4], v[15:16], v[3:4]
	v_add_f64 v[5:6], v[17:18], v[5:6]
	;; [unrolled: 1-line block ×4, first 2 shown]
	s_cbranch_vccnz .LBB1366_10
.LBB1366_3:                             ; =>This Inner Loop Header: Depth=1
	v_mov_b32_e32 v4, s5
	v_add_co_u32_e32 v3, vcc, s4, v1
	v_addc_co_u32_e32 v4, vcc, 0, v4, vcc
	v_cmp_gt_i64_e32 vcc, s[12:13], v[3:4]
	v_mov_b32_e32 v3, 0
	v_mov_b32_e32 v5, 0
	;; [unrolled: 1-line block ×4, first 2 shown]
	s_and_b64 s[10:11], s[0:1], vcc
	s_and_saveexec_b64 s[2:3], s[10:11]
	s_cbranch_execz .LBB1366_5
; %bb.4:                                ;   in Loop: Header=BB1366_3 Depth=1
	global_load_dwordx4 v[3:6], v[11:12], off offset:-8
	s_waitcnt vmcnt(0)
	v_xor_b32_e32 v6, 0x80000000, v6
.LBB1366_5:                             ;   in Loop: Header=BB1366_3 Depth=1
	s_or_b64 exec, exec, s[2:3]
	v_mov_b32_e32 v26, s5
	v_add_co_u32_e32 v25, vcc, s4, v0
	v_addc_co_u32_e32 v26, vcc, 0, v26, vcc
	v_cmp_le_i64_e32 vcc, s[12:13], v[25:26]
	ds_write_b128 v22, v[3:6]
	s_or_b64 s[2:3], s[6:7], vcc
	s_and_saveexec_b64 s[10:11], s[2:3]
	s_xor_b64 s[2:3], exec, s[10:11]
; %bb.6:                                ;   in Loop: Header=BB1366_3 Depth=1
	v_mov_b32_e32 v3, v2
	v_mov_b32_e32 v4, v2
	;; [unrolled: 1-line block ×3, first 2 shown]
	ds_write_b128 v24, v[2:5]
; %bb.7:                                ;   in Loop: Header=BB1366_3 Depth=1
	s_andn2_saveexec_b64 s[2:3], s[2:3]
	s_cbranch_execz .LBB1366_2
; %bb.8:                                ;   in Loop: Header=BB1366_3 Depth=1
	global_load_dwordx4 v[3:6], v[9:10], off
	s_waitcnt vmcnt(0)
	ds_write2_b64 v24, v[3:4], v[5:6] offset1:1
	s_branch .LBB1366_2
.LBB1366_9:
	v_mov_b32_e32 v15, 0
	v_mov_b32_e32 v17, 0
	;; [unrolled: 1-line block ×4, first 2 shown]
.LBB1366_10:
	v_cmp_le_i32_e32 vcc, v19, v7
	v_cmp_gt_i32_e64 s[0:1], s9, v7
	s_and_b64 s[0:1], vcc, s[0:1]
	s_and_saveexec_b64 s[2:3], s[0:1]
	s_cbranch_execz .LBB1366_12
; %bb.11:
	v_mul_lo_u32 v2, s29, v19
	v_mul_lo_u32 v3, s28, v20
	v_mad_u64_u32 v[0:1], s[2:3], s28, v19, 0
	s_mul_i32 s0, s31, s8
	s_mul_hi_u32 s1, s30, s8
	s_add_i32 s1, s1, s0
	s_mul_i32 s0, s30, s8
	s_lshl_b64 s[0:1], s[0:1], 4
	v_add3_u32 v1, v1, v3, v2
	s_add_u32 s0, s42, s0
	v_lshlrev_b64 v[0:1], 4, v[0:1]
	s_addc_u32 s1, s43, s1
	v_mov_b32_e32 v2, s1
	v_add_co_u32_e32 v3, vcc, s0, v0
	v_addc_co_u32_e32 v2, vcc, v2, v1, vcc
	v_lshlrev_b64 v[0:1], 4, v[7:8]
	v_mul_f64 v[8:9], s[14:15], v[15:16]
	v_add_co_u32_e32 v4, vcc, v3, v0
	v_addc_co_u32_e32 v5, vcc, v2, v1, vcc
	global_load_dwordx4 v[0:3], v[4:5], off
	v_mul_f64 v[12:13], s[16:17], v[15:16]
	v_cmp_ne_u32_e32 vcc, v7, v19
	v_fma_f64 v[8:9], s[16:17], v[17:18], v[8:9]
	v_fma_f64 v[12:13], s[14:15], v[17:18], -v[12:13]
	s_waitcnt vmcnt(0)
	v_mul_f64 v[10:11], s[38:39], v[2:3]
	v_mul_f64 v[2:3], s[40:41], v[2:3]
	v_fma_f64 v[10:11], s[40:41], v[0:1], v[10:11]
	v_fma_f64 v[0:1], s[38:39], v[0:1], -v[2:3]
	v_add_f64 v[2:3], v[8:9], v[10:11]
	v_add_f64 v[0:1], v[12:13], v[0:1]
	v_cndmask_b32_e32 v3, 0, v3, vcc
	v_cndmask_b32_e32 v2, 0, v2, vcc
	global_store_dwordx4 v[4:5], v[0:3], off
.LBB1366_12:
	s_endpgm
	.section	.rodata,"a",@progbits
	.p2align	6, 0x0
	.amdhsa_kernel _ZL32rocblas_syrkx_herkx_small_kernelIl19rocblas_complex_numIdELi16ELb0ELb1ELc67ELc76EKS1_S1_EviT_T0_PT6_S3_lS6_S3_lS4_PT7_S3_li
		.amdhsa_group_segment_fixed_size 8192
		.amdhsa_private_segment_fixed_size 0
		.amdhsa_kernarg_size 124
		.amdhsa_user_sgpr_count 6
		.amdhsa_user_sgpr_private_segment_buffer 1
		.amdhsa_user_sgpr_dispatch_ptr 0
		.amdhsa_user_sgpr_queue_ptr 0
		.amdhsa_user_sgpr_kernarg_segment_ptr 1
		.amdhsa_user_sgpr_dispatch_id 0
		.amdhsa_user_sgpr_flat_scratch_init 0
		.amdhsa_user_sgpr_private_segment_size 0
		.amdhsa_uses_dynamic_stack 0
		.amdhsa_system_sgpr_private_segment_wavefront_offset 0
		.amdhsa_system_sgpr_workgroup_id_x 1
		.amdhsa_system_sgpr_workgroup_id_y 1
		.amdhsa_system_sgpr_workgroup_id_z 1
		.amdhsa_system_sgpr_workgroup_info 0
		.amdhsa_system_vgpr_workitem_id 1
		.amdhsa_next_free_vgpr 53
		.amdhsa_next_free_sgpr 61
		.amdhsa_reserve_vcc 1
		.amdhsa_reserve_flat_scratch 0
		.amdhsa_float_round_mode_32 0
		.amdhsa_float_round_mode_16_64 0
		.amdhsa_float_denorm_mode_32 3
		.amdhsa_float_denorm_mode_16_64 3
		.amdhsa_dx10_clamp 1
		.amdhsa_ieee_mode 1
		.amdhsa_fp16_overflow 0
		.amdhsa_exception_fp_ieee_invalid_op 0
		.amdhsa_exception_fp_denorm_src 0
		.amdhsa_exception_fp_ieee_div_zero 0
		.amdhsa_exception_fp_ieee_overflow 0
		.amdhsa_exception_fp_ieee_underflow 0
		.amdhsa_exception_fp_ieee_inexact 0
		.amdhsa_exception_int_div_zero 0
	.end_amdhsa_kernel
	.section	.text._ZL32rocblas_syrkx_herkx_small_kernelIl19rocblas_complex_numIdELi16ELb0ELb1ELc67ELc76EKS1_S1_EviT_T0_PT6_S3_lS6_S3_lS4_PT7_S3_li,"axG",@progbits,_ZL32rocblas_syrkx_herkx_small_kernelIl19rocblas_complex_numIdELi16ELb0ELb1ELc67ELc76EKS1_S1_EviT_T0_PT6_S3_lS6_S3_lS4_PT7_S3_li,comdat
.Lfunc_end1366:
	.size	_ZL32rocblas_syrkx_herkx_small_kernelIl19rocblas_complex_numIdELi16ELb0ELb1ELc67ELc76EKS1_S1_EviT_T0_PT6_S3_lS6_S3_lS4_PT7_S3_li, .Lfunc_end1366-_ZL32rocblas_syrkx_herkx_small_kernelIl19rocblas_complex_numIdELi16ELb0ELb1ELc67ELc76EKS1_S1_EviT_T0_PT6_S3_lS6_S3_lS4_PT7_S3_li
                                        ; -- End function
	.set _ZL32rocblas_syrkx_herkx_small_kernelIl19rocblas_complex_numIdELi16ELb0ELb1ELc67ELc76EKS1_S1_EviT_T0_PT6_S3_lS6_S3_lS4_PT7_S3_li.num_vgpr, 53
	.set _ZL32rocblas_syrkx_herkx_small_kernelIl19rocblas_complex_numIdELi16ELb0ELb1ELc67ELc76EKS1_S1_EviT_T0_PT6_S3_lS6_S3_lS4_PT7_S3_li.num_agpr, 0
	.set _ZL32rocblas_syrkx_herkx_small_kernelIl19rocblas_complex_numIdELi16ELb0ELb1ELc67ELc76EKS1_S1_EviT_T0_PT6_S3_lS6_S3_lS4_PT7_S3_li.numbered_sgpr, 44
	.set _ZL32rocblas_syrkx_herkx_small_kernelIl19rocblas_complex_numIdELi16ELb0ELb1ELc67ELc76EKS1_S1_EviT_T0_PT6_S3_lS6_S3_lS4_PT7_S3_li.num_named_barrier, 0
	.set _ZL32rocblas_syrkx_herkx_small_kernelIl19rocblas_complex_numIdELi16ELb0ELb1ELc67ELc76EKS1_S1_EviT_T0_PT6_S3_lS6_S3_lS4_PT7_S3_li.private_seg_size, 0
	.set _ZL32rocblas_syrkx_herkx_small_kernelIl19rocblas_complex_numIdELi16ELb0ELb1ELc67ELc76EKS1_S1_EviT_T0_PT6_S3_lS6_S3_lS4_PT7_S3_li.uses_vcc, 1
	.set _ZL32rocblas_syrkx_herkx_small_kernelIl19rocblas_complex_numIdELi16ELb0ELb1ELc67ELc76EKS1_S1_EviT_T0_PT6_S3_lS6_S3_lS4_PT7_S3_li.uses_flat_scratch, 0
	.set _ZL32rocblas_syrkx_herkx_small_kernelIl19rocblas_complex_numIdELi16ELb0ELb1ELc67ELc76EKS1_S1_EviT_T0_PT6_S3_lS6_S3_lS4_PT7_S3_li.has_dyn_sized_stack, 0
	.set _ZL32rocblas_syrkx_herkx_small_kernelIl19rocblas_complex_numIdELi16ELb0ELb1ELc67ELc76EKS1_S1_EviT_T0_PT6_S3_lS6_S3_lS4_PT7_S3_li.has_recursion, 0
	.set _ZL32rocblas_syrkx_herkx_small_kernelIl19rocblas_complex_numIdELi16ELb0ELb1ELc67ELc76EKS1_S1_EviT_T0_PT6_S3_lS6_S3_lS4_PT7_S3_li.has_indirect_call, 0
	.section	.AMDGPU.csdata,"",@progbits
; Kernel info:
; codeLenInByte = 1964
; TotalNumSgprs: 48
; NumVgprs: 53
; ScratchSize: 0
; MemoryBound: 1
; FloatMode: 240
; IeeeMode: 1
; LDSByteSize: 8192 bytes/workgroup (compile time only)
; SGPRBlocks: 8
; VGPRBlocks: 13
; NumSGPRsForWavesPerEU: 65
; NumVGPRsForWavesPerEU: 53
; Occupancy: 4
; WaveLimiterHint : 0
; COMPUTE_PGM_RSRC2:SCRATCH_EN: 0
; COMPUTE_PGM_RSRC2:USER_SGPR: 6
; COMPUTE_PGM_RSRC2:TRAP_HANDLER: 0
; COMPUTE_PGM_RSRC2:TGID_X_EN: 1
; COMPUTE_PGM_RSRC2:TGID_Y_EN: 1
; COMPUTE_PGM_RSRC2:TGID_Z_EN: 1
; COMPUTE_PGM_RSRC2:TIDIG_COMP_CNT: 1
	.section	.text._ZL32rocblas_syrkx_herkx_small_kernelIl19rocblas_complex_numIdELi16ELb0ELb1ELc78ELc76EKS1_S1_EviT_T0_PT6_S3_lS6_S3_lS4_PT7_S3_li,"axG",@progbits,_ZL32rocblas_syrkx_herkx_small_kernelIl19rocblas_complex_numIdELi16ELb0ELb1ELc78ELc76EKS1_S1_EviT_T0_PT6_S3_lS6_S3_lS4_PT7_S3_li,comdat
	.globl	_ZL32rocblas_syrkx_herkx_small_kernelIl19rocblas_complex_numIdELi16ELb0ELb1ELc78ELc76EKS1_S1_EviT_T0_PT6_S3_lS6_S3_lS4_PT7_S3_li ; -- Begin function _ZL32rocblas_syrkx_herkx_small_kernelIl19rocblas_complex_numIdELi16ELb0ELb1ELc78ELc76EKS1_S1_EviT_T0_PT6_S3_lS6_S3_lS4_PT7_S3_li
	.p2align	8
	.type	_ZL32rocblas_syrkx_herkx_small_kernelIl19rocblas_complex_numIdELi16ELb0ELb1ELc78ELc76EKS1_S1_EviT_T0_PT6_S3_lS6_S3_lS4_PT7_S3_li,@function
_ZL32rocblas_syrkx_herkx_small_kernelIl19rocblas_complex_numIdELi16ELb0ELb1ELc78ELc76EKS1_S1_EviT_T0_PT6_S3_lS6_S3_lS4_PT7_S3_li: ; @_ZL32rocblas_syrkx_herkx_small_kernelIl19rocblas_complex_numIdELi16ELb0ELb1ELc78ELc76EKS1_S1_EviT_T0_PT6_S3_lS6_S3_lS4_PT7_S3_li
; %bb.0:
	s_load_dwordx16 s[12:27], s[4:5], 0x8
	s_load_dword s9, s[4:5], 0x0
	s_load_dwordx4 s[28:31], s[4:5], 0x68
	s_load_dwordx8 s[36:43], s[4:5], 0x48
	v_lshl_add_u32 v7, s6, 4, v0
	s_waitcnt lgkmcnt(0)
	v_cmp_lt_i64_e64 s[0:1], s[12:13], 1
	v_lshl_add_u32 v9, s7, 4, v1
	s_and_b64 vcc, exec, s[0:1]
	v_cmp_gt_i32_e64 s[2:3], s9, v7
	v_ashrrev_i32_e32 v8, 31, v7
	v_ashrrev_i32_e32 v10, 31, v9
	s_cbranch_vccnz .LBB1367_9
; %bb.1:
	v_lshlrev_b32_e32 v3, 8, v1
	v_lshlrev_b32_e32 v21, 4, v0
	v_add_u32_e32 v22, v21, v3
	v_add_u32_e32 v23, 0x1000, v3
	v_mad_u64_u32 v[3:4], s[4:5], s26, v0, 0
	s_mul_i32 s6, s37, s8
	s_mul_hi_u32 s7, s36, s8
	v_mad_u64_u32 v[4:5], s[4:5], s27, v0, v[4:5]
	s_add_i32 s5, s7, s6
	s_mul_i32 s4, s36, s8
	v_lshlrev_b64 v[3:4], 4, v[3:4]
	s_lshl_b64 s[4:5], s[4:5], 4
	v_mov_b32_e32 v5, s5
	v_add_co_u32_e32 v6, vcc, s4, v3
	v_addc_co_u32_e32 v5, vcc, v5, v4, vcc
	v_lshlrev_b64 v[3:4], 4, v[9:10]
	s_mul_i32 s10, s23, s8
	v_add_co_u32_e32 v3, vcc, v6, v3
	v_addc_co_u32_e32 v4, vcc, v5, v4, vcc
	v_mov_b32_e32 v5, s25
	v_add_co_u32_e32 v3, vcc, s24, v3
	v_addc_co_u32_e32 v4, vcc, v5, v4, vcc
	v_add_co_u32_e32 v11, vcc, 8, v3
	v_addc_co_u32_e32 v12, vcc, 0, v4, vcc
	v_mad_u64_u32 v[3:4], s[4:5], s20, v1, 0
	s_mul_hi_u32 s11, s22, s8
	s_lshl_b64 s[4:5], s[26:27], 8
	v_mad_u64_u32 v[4:5], s[6:7], s21, v1, v[4:5]
	s_add_i32 s7, s11, s10
	s_mul_i32 s6, s22, s8
	v_lshlrev_b64 v[3:4], 4, v[3:4]
	s_lshl_b64 s[6:7], s[6:7], 4
	v_mov_b32_e32 v5, s7
	v_add_co_u32_e32 v6, vcc, s6, v3
	v_addc_co_u32_e32 v5, vcc, v5, v4, vcc
	v_lshlrev_b64 v[3:4], 4, v[7:8]
	s_lshl_b64 s[6:7], s[20:21], 8
	v_add_co_u32_e32 v3, vcc, v6, v3
	v_addc_co_u32_e32 v4, vcc, v5, v4, vcc
	v_mov_b32_e32 v5, s19
	v_add_co_u32_e32 v13, vcc, s18, v3
	v_mov_b32_e32 v17, 0
	v_mov_b32_e32 v19, 0
	;; [unrolled: 1-line block ×4, first 2 shown]
	v_cmp_gt_i32_e64 s[0:1], s9, v9
	v_add_u32_e32 v24, v23, v21
	v_addc_co_u32_e32 v14, vcc, v5, v4, vcc
	v_mov_b32_e32 v18, 0
	s_mov_b64 s[10:11], 0
	s_xor_b64 s[18:19], s[2:3], -1
	v_mov_b32_e32 v25, s5
	v_mov_b32_e32 v26, s7
	v_mov_b32_e32 v20, 0
	v_mov_b32_e32 v15, s12
	s_branch .LBB1367_3
.LBB1367_2:                             ;   in Loop: Header=BB1367_3 Depth=1
	s_or_b64 exec, exec, s[2:3]
	ds_write_b128 v24, v[3:6]
	s_waitcnt lgkmcnt(0)
	s_barrier
	ds_read_b128 v[3:6], v21
	ds_read_b128 v[27:30], v23
	ds_read_b128 v[31:34], v23 offset:16
	ds_read_b128 v[35:38], v21 offset:256
	s_add_u32 s10, s10, 16
	v_add_co_u32_e32 v11, vcc, s4, v11
	s_waitcnt lgkmcnt(2)
	v_mul_f64 v[39:40], v[29:30], v[5:6]
	v_mul_f64 v[5:6], v[27:28], v[5:6]
	s_waitcnt lgkmcnt(0)
	v_mul_f64 v[41:42], v[33:34], v[37:38]
	v_mul_f64 v[43:44], v[31:32], v[37:38]
	v_addc_co_u32_e32 v12, vcc, v12, v25, vcc
	s_addc_u32 s11, s11, 0
	v_cmp_ge_i64_e32 vcc, s[10:11], v[15:16]
	v_fma_f64 v[45:46], v[27:28], v[3:4], -v[39:40]
	v_fma_f64 v[47:48], v[29:30], v[3:4], v[5:6]
	ds_read_b128 v[3:6], v21 offset:512
	ds_read_b128 v[27:30], v23 offset:32
	;; [unrolled: 1-line block ×3, first 2 shown]
	v_fma_f64 v[41:42], v[31:32], v[35:36], -v[41:42]
	v_fma_f64 v[35:36], v[33:34], v[35:36], v[43:44]
	ds_read_b128 v[31:34], v21 offset:768
	s_waitcnt lgkmcnt(2)
	v_mul_f64 v[43:44], v[29:30], v[5:6]
	v_mul_f64 v[5:6], v[27:28], v[5:6]
	v_add_f64 v[19:20], v[19:20], v[45:46]
	v_add_f64 v[17:18], v[17:18], v[47:48]
	s_waitcnt lgkmcnt(0)
	v_mul_f64 v[45:46], v[39:40], v[33:34]
	v_mul_f64 v[33:34], v[37:38], v[33:34]
	v_add_co_u32_e64 v13, s[2:3], s6, v13
	v_fma_f64 v[43:44], v[27:28], v[3:4], -v[43:44]
	v_fma_f64 v[47:48], v[29:30], v[3:4], v[5:6]
	v_add_f64 v[41:42], v[19:20], v[41:42]
	v_add_f64 v[35:36], v[17:18], v[35:36]
	ds_read_b128 v[3:6], v23 offset:64
	ds_read_b128 v[17:20], v21 offset:1024
	v_fma_f64 v[37:38], v[37:38], v[31:32], -v[45:46]
	v_fma_f64 v[39:40], v[39:40], v[31:32], v[33:34]
	ds_read_b128 v[27:30], v23 offset:80
	ds_read_b128 v[31:34], v21 offset:1280
	v_addc_co_u32_e64 v14, s[2:3], v14, v26, s[2:3]
	s_waitcnt lgkmcnt(2)
	v_mul_f64 v[45:46], v[5:6], v[19:20]
	v_mul_f64 v[19:20], v[3:4], v[19:20]
	v_add_f64 v[41:42], v[41:42], v[43:44]
	v_add_f64 v[35:36], v[35:36], v[47:48]
	s_waitcnt lgkmcnt(0)
	v_mul_f64 v[43:44], v[29:30], v[33:34]
	v_mul_f64 v[33:34], v[27:28], v[33:34]
	s_and_b64 vcc, exec, vcc
	v_fma_f64 v[45:46], v[3:4], v[17:18], -v[45:46]
	v_fma_f64 v[47:48], v[5:6], v[17:18], v[19:20]
	v_add_f64 v[37:38], v[41:42], v[37:38]
	v_add_f64 v[35:36], v[35:36], v[39:40]
	ds_read_b128 v[3:6], v23 offset:96
	ds_read_b128 v[17:20], v21 offset:1536
	v_fma_f64 v[39:40], v[27:28], v[31:32], -v[43:44]
	v_fma_f64 v[41:42], v[29:30], v[31:32], v[33:34]
	ds_read_b128 v[27:30], v23 offset:112
	ds_read_b128 v[31:34], v21 offset:1792
	s_waitcnt lgkmcnt(2)
	v_mul_f64 v[43:44], v[5:6], v[19:20]
	v_mul_f64 v[19:20], v[3:4], v[19:20]
	v_add_f64 v[37:38], v[37:38], v[45:46]
	v_add_f64 v[35:36], v[35:36], v[47:48]
	s_waitcnt lgkmcnt(0)
	v_mul_f64 v[45:46], v[29:30], v[33:34]
	v_mul_f64 v[33:34], v[27:28], v[33:34]
	v_fma_f64 v[43:44], v[3:4], v[17:18], -v[43:44]
	v_fma_f64 v[47:48], v[5:6], v[17:18], v[19:20]
	v_add_f64 v[37:38], v[37:38], v[39:40]
	v_add_f64 v[35:36], v[35:36], v[41:42]
	ds_read_b128 v[3:6], v23 offset:128
	ds_read_b128 v[17:20], v21 offset:2048
	v_fma_f64 v[39:40], v[27:28], v[31:32], -v[45:46]
	v_fma_f64 v[41:42], v[29:30], v[31:32], v[33:34]
	ds_read_b128 v[27:30], v23 offset:144
	ds_read_b128 v[31:34], v21 offset:2304
	s_waitcnt lgkmcnt(2)
	v_mul_f64 v[45:46], v[5:6], v[19:20]
	v_mul_f64 v[19:20], v[3:4], v[19:20]
	v_add_f64 v[37:38], v[37:38], v[43:44]
	v_add_f64 v[35:36], v[35:36], v[47:48]
	s_waitcnt lgkmcnt(0)
	v_mul_f64 v[43:44], v[29:30], v[33:34]
	v_mul_f64 v[33:34], v[27:28], v[33:34]
	;; [unrolled: 18-line block ×4, first 2 shown]
	v_fma_f64 v[45:46], v[3:4], v[17:18], -v[45:46]
	v_fma_f64 v[47:48], v[5:6], v[17:18], v[19:20]
	v_add_f64 v[37:38], v[37:38], v[39:40]
	v_add_f64 v[35:36], v[35:36], v[41:42]
	ds_read_b128 v[3:6], v23 offset:224
	ds_read_b128 v[17:20], v21 offset:3584
	v_fma_f64 v[39:40], v[27:28], v[31:32], -v[43:44]
	v_fma_f64 v[41:42], v[29:30], v[31:32], v[33:34]
	ds_read_b128 v[27:30], v23 offset:240
	ds_read_b128 v[31:34], v21 offset:3840
	s_waitcnt lgkmcnt(0)
	v_mul_f64 v[43:44], v[5:6], v[19:20]
	v_mul_f64 v[19:20], v[3:4], v[19:20]
	v_add_f64 v[37:38], v[37:38], v[45:46]
	v_add_f64 v[35:36], v[35:36], v[47:48]
	v_mul_f64 v[45:46], v[29:30], v[33:34]
	v_mul_f64 v[33:34], v[27:28], v[33:34]
	s_barrier
	v_fma_f64 v[3:4], v[3:4], v[17:18], -v[43:44]
	v_fma_f64 v[5:6], v[5:6], v[17:18], v[19:20]
	v_add_f64 v[17:18], v[37:38], v[39:40]
	v_add_f64 v[19:20], v[35:36], v[41:42]
	v_fma_f64 v[27:28], v[27:28], v[31:32], -v[45:46]
	v_fma_f64 v[29:30], v[29:30], v[31:32], v[33:34]
	v_add_f64 v[3:4], v[17:18], v[3:4]
	v_add_f64 v[5:6], v[19:20], v[5:6]
	;; [unrolled: 1-line block ×4, first 2 shown]
	s_cbranch_vccnz .LBB1367_10
.LBB1367_3:                             ; =>This Inner Loop Header: Depth=1
	v_mov_b32_e32 v4, s11
	v_add_co_u32_e32 v3, vcc, s10, v1
	v_addc_co_u32_e32 v4, vcc, 0, v4, vcc
	v_cmp_le_i64_e32 vcc, s[12:13], v[3:4]
	s_or_b64 s[2:3], s[18:19], vcc
	s_and_saveexec_b64 s[20:21], s[2:3]
	s_xor_b64 s[2:3], exec, s[20:21]
; %bb.4:                                ;   in Loop: Header=BB1367_3 Depth=1
	v_mov_b32_e32 v3, v2
	v_mov_b32_e32 v4, v2
	;; [unrolled: 1-line block ×3, first 2 shown]
	ds_write_b128 v22, v[2:5]
; %bb.5:                                ;   in Loop: Header=BB1367_3 Depth=1
	s_andn2_saveexec_b64 s[2:3], s[2:3]
	s_cbranch_execz .LBB1367_7
; %bb.6:                                ;   in Loop: Header=BB1367_3 Depth=1
	global_load_dwordx4 v[3:6], v[13:14], off
	s_waitcnt vmcnt(0)
	ds_write2_b64 v22, v[3:4], v[5:6] offset1:1
.LBB1367_7:                             ;   in Loop: Header=BB1367_3 Depth=1
	s_or_b64 exec, exec, s[2:3]
	v_mov_b32_e32 v4, s11
	v_add_co_u32_e32 v3, vcc, s10, v0
	v_addc_co_u32_e32 v4, vcc, 0, v4, vcc
	v_cmp_gt_i64_e32 vcc, s[12:13], v[3:4]
	v_mov_b32_e32 v3, 0
	v_mov_b32_e32 v5, 0
	;; [unrolled: 1-line block ×4, first 2 shown]
	s_and_b64 s[20:21], s[0:1], vcc
	s_and_saveexec_b64 s[2:3], s[20:21]
	s_cbranch_execz .LBB1367_2
; %bb.8:                                ;   in Loop: Header=BB1367_3 Depth=1
	global_load_dwordx4 v[3:6], v[11:12], off offset:-8
	s_waitcnt vmcnt(0)
	v_xor_b32_e32 v6, 0x80000000, v6
	s_branch .LBB1367_2
.LBB1367_9:
	v_mov_b32_e32 v17, 0
	v_mov_b32_e32 v19, 0
	;; [unrolled: 1-line block ×4, first 2 shown]
.LBB1367_10:
	v_cmp_le_i32_e32 vcc, v9, v7
	v_cmp_gt_i32_e64 s[0:1], s9, v7
	s_and_b64 s[0:1], vcc, s[0:1]
	s_and_saveexec_b64 s[2:3], s[0:1]
	s_cbranch_execz .LBB1367_12
; %bb.11:
	v_mul_lo_u32 v2, s29, v9
	v_mul_lo_u32 v3, s28, v10
	v_mad_u64_u32 v[0:1], s[2:3], s28, v9, 0
	s_mul_i32 s0, s31, s8
	s_mul_hi_u32 s1, s30, s8
	s_add_i32 s1, s1, s0
	s_mul_i32 s0, s30, s8
	s_lshl_b64 s[0:1], s[0:1], 4
	v_add3_u32 v1, v1, v3, v2
	s_add_u32 s0, s42, s0
	v_lshlrev_b64 v[0:1], 4, v[0:1]
	s_addc_u32 s1, s43, s1
	v_mov_b32_e32 v2, s1
	v_add_co_u32_e32 v3, vcc, s0, v0
	v_addc_co_u32_e32 v2, vcc, v2, v1, vcc
	v_lshlrev_b64 v[0:1], 4, v[7:8]
	v_mul_f64 v[10:11], s[14:15], v[17:18]
	v_add_co_u32_e32 v4, vcc, v3, v0
	v_addc_co_u32_e32 v5, vcc, v2, v1, vcc
	global_load_dwordx4 v[0:3], v[4:5], off
	v_mul_f64 v[14:15], s[16:17], v[17:18]
	v_cmp_ne_u32_e32 vcc, v7, v9
	v_fma_f64 v[10:11], s[16:17], v[19:20], v[10:11]
	v_fma_f64 v[14:15], s[14:15], v[19:20], -v[14:15]
	s_waitcnt vmcnt(0)
	v_mul_f64 v[12:13], s[38:39], v[2:3]
	v_mul_f64 v[2:3], s[40:41], v[2:3]
	v_fma_f64 v[12:13], s[40:41], v[0:1], v[12:13]
	v_fma_f64 v[0:1], s[38:39], v[0:1], -v[2:3]
	v_add_f64 v[2:3], v[10:11], v[12:13]
	v_add_f64 v[0:1], v[14:15], v[0:1]
	v_cndmask_b32_e32 v3, 0, v3, vcc
	v_cndmask_b32_e32 v2, 0, v2, vcc
	global_store_dwordx4 v[4:5], v[0:3], off
.LBB1367_12:
	s_endpgm
	.section	.rodata,"a",@progbits
	.p2align	6, 0x0
	.amdhsa_kernel _ZL32rocblas_syrkx_herkx_small_kernelIl19rocblas_complex_numIdELi16ELb0ELb1ELc78ELc76EKS1_S1_EviT_T0_PT6_S3_lS6_S3_lS4_PT7_S3_li
		.amdhsa_group_segment_fixed_size 8192
		.amdhsa_private_segment_fixed_size 0
		.amdhsa_kernarg_size 124
		.amdhsa_user_sgpr_count 6
		.amdhsa_user_sgpr_private_segment_buffer 1
		.amdhsa_user_sgpr_dispatch_ptr 0
		.amdhsa_user_sgpr_queue_ptr 0
		.amdhsa_user_sgpr_kernarg_segment_ptr 1
		.amdhsa_user_sgpr_dispatch_id 0
		.amdhsa_user_sgpr_flat_scratch_init 0
		.amdhsa_user_sgpr_private_segment_size 0
		.amdhsa_uses_dynamic_stack 0
		.amdhsa_system_sgpr_private_segment_wavefront_offset 0
		.amdhsa_system_sgpr_workgroup_id_x 1
		.amdhsa_system_sgpr_workgroup_id_y 1
		.amdhsa_system_sgpr_workgroup_id_z 1
		.amdhsa_system_sgpr_workgroup_info 0
		.amdhsa_system_vgpr_workitem_id 1
		.amdhsa_next_free_vgpr 49
		.amdhsa_next_free_sgpr 61
		.amdhsa_reserve_vcc 1
		.amdhsa_reserve_flat_scratch 0
		.amdhsa_float_round_mode_32 0
		.amdhsa_float_round_mode_16_64 0
		.amdhsa_float_denorm_mode_32 3
		.amdhsa_float_denorm_mode_16_64 3
		.amdhsa_dx10_clamp 1
		.amdhsa_ieee_mode 1
		.amdhsa_fp16_overflow 0
		.amdhsa_exception_fp_ieee_invalid_op 0
		.amdhsa_exception_fp_denorm_src 0
		.amdhsa_exception_fp_ieee_div_zero 0
		.amdhsa_exception_fp_ieee_overflow 0
		.amdhsa_exception_fp_ieee_underflow 0
		.amdhsa_exception_fp_ieee_inexact 0
		.amdhsa_exception_int_div_zero 0
	.end_amdhsa_kernel
	.section	.text._ZL32rocblas_syrkx_herkx_small_kernelIl19rocblas_complex_numIdELi16ELb0ELb1ELc78ELc76EKS1_S1_EviT_T0_PT6_S3_lS6_S3_lS4_PT7_S3_li,"axG",@progbits,_ZL32rocblas_syrkx_herkx_small_kernelIl19rocblas_complex_numIdELi16ELb0ELb1ELc78ELc76EKS1_S1_EviT_T0_PT6_S3_lS6_S3_lS4_PT7_S3_li,comdat
.Lfunc_end1367:
	.size	_ZL32rocblas_syrkx_herkx_small_kernelIl19rocblas_complex_numIdELi16ELb0ELb1ELc78ELc76EKS1_S1_EviT_T0_PT6_S3_lS6_S3_lS4_PT7_S3_li, .Lfunc_end1367-_ZL32rocblas_syrkx_herkx_small_kernelIl19rocblas_complex_numIdELi16ELb0ELb1ELc78ELc76EKS1_S1_EviT_T0_PT6_S3_lS6_S3_lS4_PT7_S3_li
                                        ; -- End function
	.set _ZL32rocblas_syrkx_herkx_small_kernelIl19rocblas_complex_numIdELi16ELb0ELb1ELc78ELc76EKS1_S1_EviT_T0_PT6_S3_lS6_S3_lS4_PT7_S3_li.num_vgpr, 49
	.set _ZL32rocblas_syrkx_herkx_small_kernelIl19rocblas_complex_numIdELi16ELb0ELb1ELc78ELc76EKS1_S1_EviT_T0_PT6_S3_lS6_S3_lS4_PT7_S3_li.num_agpr, 0
	.set _ZL32rocblas_syrkx_herkx_small_kernelIl19rocblas_complex_numIdELi16ELb0ELb1ELc78ELc76EKS1_S1_EviT_T0_PT6_S3_lS6_S3_lS4_PT7_S3_li.numbered_sgpr, 44
	.set _ZL32rocblas_syrkx_herkx_small_kernelIl19rocblas_complex_numIdELi16ELb0ELb1ELc78ELc76EKS1_S1_EviT_T0_PT6_S3_lS6_S3_lS4_PT7_S3_li.num_named_barrier, 0
	.set _ZL32rocblas_syrkx_herkx_small_kernelIl19rocblas_complex_numIdELi16ELb0ELb1ELc78ELc76EKS1_S1_EviT_T0_PT6_S3_lS6_S3_lS4_PT7_S3_li.private_seg_size, 0
	.set _ZL32rocblas_syrkx_herkx_small_kernelIl19rocblas_complex_numIdELi16ELb0ELb1ELc78ELc76EKS1_S1_EviT_T0_PT6_S3_lS6_S3_lS4_PT7_S3_li.uses_vcc, 1
	.set _ZL32rocblas_syrkx_herkx_small_kernelIl19rocblas_complex_numIdELi16ELb0ELb1ELc78ELc76EKS1_S1_EviT_T0_PT6_S3_lS6_S3_lS4_PT7_S3_li.uses_flat_scratch, 0
	.set _ZL32rocblas_syrkx_herkx_small_kernelIl19rocblas_complex_numIdELi16ELb0ELb1ELc78ELc76EKS1_S1_EviT_T0_PT6_S3_lS6_S3_lS4_PT7_S3_li.has_dyn_sized_stack, 0
	.set _ZL32rocblas_syrkx_herkx_small_kernelIl19rocblas_complex_numIdELi16ELb0ELb1ELc78ELc76EKS1_S1_EviT_T0_PT6_S3_lS6_S3_lS4_PT7_S3_li.has_recursion, 0
	.set _ZL32rocblas_syrkx_herkx_small_kernelIl19rocblas_complex_numIdELi16ELb0ELb1ELc78ELc76EKS1_S1_EviT_T0_PT6_S3_lS6_S3_lS4_PT7_S3_li.has_indirect_call, 0
	.section	.AMDGPU.csdata,"",@progbits
; Kernel info:
; codeLenInByte = 1900
; TotalNumSgprs: 48
; NumVgprs: 49
; ScratchSize: 0
; MemoryBound: 1
; FloatMode: 240
; IeeeMode: 1
; LDSByteSize: 8192 bytes/workgroup (compile time only)
; SGPRBlocks: 8
; VGPRBlocks: 12
; NumSGPRsForWavesPerEU: 65
; NumVGPRsForWavesPerEU: 49
; Occupancy: 4
; WaveLimiterHint : 0
; COMPUTE_PGM_RSRC2:SCRATCH_EN: 0
; COMPUTE_PGM_RSRC2:USER_SGPR: 6
; COMPUTE_PGM_RSRC2:TRAP_HANDLER: 0
; COMPUTE_PGM_RSRC2:TGID_X_EN: 1
; COMPUTE_PGM_RSRC2:TGID_Y_EN: 1
; COMPUTE_PGM_RSRC2:TGID_Z_EN: 1
; COMPUTE_PGM_RSRC2:TIDIG_COMP_CNT: 1
	.section	.text._ZL32rocblas_syrkx_herkx_small_kernelIl19rocblas_complex_numIdELi16ELb0ELb1ELc84ELc85EKS1_S1_EviT_T0_PT6_S3_lS6_S3_lS4_PT7_S3_li,"axG",@progbits,_ZL32rocblas_syrkx_herkx_small_kernelIl19rocblas_complex_numIdELi16ELb0ELb1ELc84ELc85EKS1_S1_EviT_T0_PT6_S3_lS6_S3_lS4_PT7_S3_li,comdat
	.globl	_ZL32rocblas_syrkx_herkx_small_kernelIl19rocblas_complex_numIdELi16ELb0ELb1ELc84ELc85EKS1_S1_EviT_T0_PT6_S3_lS6_S3_lS4_PT7_S3_li ; -- Begin function _ZL32rocblas_syrkx_herkx_small_kernelIl19rocblas_complex_numIdELi16ELb0ELb1ELc84ELc85EKS1_S1_EviT_T0_PT6_S3_lS6_S3_lS4_PT7_S3_li
	.p2align	8
	.type	_ZL32rocblas_syrkx_herkx_small_kernelIl19rocblas_complex_numIdELi16ELb0ELb1ELc84ELc85EKS1_S1_EviT_T0_PT6_S3_lS6_S3_lS4_PT7_S3_li,@function
_ZL32rocblas_syrkx_herkx_small_kernelIl19rocblas_complex_numIdELi16ELb0ELb1ELc84ELc85EKS1_S1_EviT_T0_PT6_S3_lS6_S3_lS4_PT7_S3_li: ; @_ZL32rocblas_syrkx_herkx_small_kernelIl19rocblas_complex_numIdELi16ELb0ELb1ELc84ELc85EKS1_S1_EviT_T0_PT6_S3_lS6_S3_lS4_PT7_S3_li
; %bb.0:
	s_load_dwordx16 s[12:27], s[4:5], 0x8
	s_load_dword s9, s[4:5], 0x0
	s_load_dwordx4 s[28:31], s[4:5], 0x68
	s_load_dwordx8 s[36:43], s[4:5], 0x48
	v_lshl_add_u32 v6, s6, 4, v0
	s_waitcnt lgkmcnt(0)
	v_cmp_lt_i64_e64 s[0:1], s[12:13], 1
	v_lshl_add_u32 v18, s7, 4, v1
	s_and_b64 vcc, exec, s[0:1]
	v_ashrrev_i32_e32 v7, 31, v6
	v_cmp_gt_i32_e64 s[0:1], s9, v18
	v_ashrrev_i32_e32 v19, 31, v18
	s_cbranch_vccnz .LBB1368_11
; %bb.1:
	v_mul_lo_u32 v8, s27, v18
	v_mul_lo_u32 v9, s26, v19
	v_mad_u64_u32 v[3:4], s[2:3], s26, v18, 0
	s_mul_i32 s2, s37, s8
	s_mul_hi_u32 s3, s36, s8
	v_add3_u32 v4, v4, v9, v8
	v_lshlrev_b64 v[3:4], 4, v[3:4]
	s_add_i32 s3, s3, s2
	s_mul_i32 s2, s36, s8
	v_lshlrev_b32_e32 v5, 8, v1
	v_lshlrev_b32_e32 v20, 4, v0
	s_lshl_b64 s[2:3], s[2:3], 4
	v_add_u32_e32 v21, v20, v5
	v_add_u32_e32 v22, 0x1000, v5
	v_mov_b32_e32 v5, s3
	v_add_co_u32_e64 v3, s[2:3], s2, v3
	v_addc_co_u32_e64 v4, s[2:3], v4, v5, s[2:3]
	v_add_co_u32_e64 v5, s[2:3], v3, v20
	v_addc_co_u32_e64 v9, s[2:3], 0, v4, s[2:3]
	v_mul_lo_u32 v11, s21, v6
	v_mul_lo_u32 v12, s20, v7
	v_mad_u64_u32 v[3:4], s[2:3], s20, v6, 0
	v_mov_b32_e32 v10, s25
	v_add_co_u32_e64 v8, s[2:3], s24, v5
	v_addc_co_u32_e64 v9, s[2:3], v10, v9, s[2:3]
	v_add3_u32 v4, v4, v12, v11
	s_mul_i32 s2, s23, s8
	s_mul_hi_u32 s3, s22, s8
	v_lshlrev_b64 v[3:4], 4, v[3:4]
	s_add_i32 s3, s3, s2
	s_mul_i32 s2, s22, s8
	s_lshl_b64 s[2:3], s[2:3], 4
	v_mov_b32_e32 v5, s3
	v_add_co_u32_e64 v3, s[2:3], s2, v3
	v_addc_co_u32_e64 v4, s[2:3], v4, v5, s[2:3]
	v_lshlrev_b32_e32 v5, 4, v1
	v_add_co_u32_e64 v3, s[2:3], v3, v5
	v_addc_co_u32_e64 v4, s[2:3], 0, v4, s[2:3]
	v_mov_b32_e32 v5, s19
	v_add_co_u32_e64 v10, s[2:3], s18, v3
	v_cmp_gt_i32_e32 vcc, s9, v6
	v_addc_co_u32_e64 v11, s[2:3], v5, v4, s[2:3]
	v_mov_b32_e32 v14, 0
	v_mov_b32_e32 v16, 0
	;; [unrolled: 1-line block ×4, first 2 shown]
	v_add_u32_e32 v23, v22, v20
	v_mov_b32_e32 v15, 0
	s_mov_b64 s[2:3], 0
	s_xor_b64 s[4:5], vcc, -1
	s_xor_b64 s[0:1], s[0:1], -1
	v_mov_b32_e32 v17, 0
	v_mov_b32_e32 v13, s13
	s_branch .LBB1368_3
.LBB1368_2:                             ;   in Loop: Header=BB1368_3 Depth=1
	s_or_b64 exec, exec, s[6:7]
	s_waitcnt lgkmcnt(0)
	s_barrier
	ds_read_b128 v[24:27], v22
	ds_read_b128 v[28:31], v22 offset:16
	ds_read_b128 v[32:35], v22 offset:32
	;; [unrolled: 1-line block ×3, first 2 shown]
	ds_read_b128 v[40:43], v20
	v_add_co_u32_e32 v8, vcc, 0x100, v8
	v_addc_co_u32_e32 v9, vcc, 0, v9, vcc
	s_waitcnt lgkmcnt(0)
	v_mul_f64 v[3:4], v[26:27], v[42:43]
	s_add_u32 s2, s2, 16
	v_add_co_u32_e32 v10, vcc, 0x100, v10
	s_addc_u32 s3, s3, 0
	v_addc_co_u32_e32 v11, vcc, 0, v11, vcc
	v_cmp_ge_i64_e32 vcc, s[2:3], v[12:13]
	v_fma_f64 v[3:4], v[24:25], v[40:41], -v[3:4]
	v_mul_f64 v[24:25], v[24:25], v[42:43]
	s_and_b64 vcc, exec, vcc
	v_add_f64 v[3:4], v[16:17], v[3:4]
	v_fma_f64 v[24:25], v[26:27], v[40:41], v[24:25]
	v_add_f64 v[24:25], v[14:15], v[24:25]
	ds_read_b128 v[14:17], v20 offset:256
	s_waitcnt lgkmcnt(0)
	v_mul_f64 v[26:27], v[30:31], v[16:17]
	v_mul_f64 v[16:17], v[28:29], v[16:17]
	v_fma_f64 v[26:27], v[28:29], v[14:15], -v[26:27]
	v_fma_f64 v[14:15], v[30:31], v[14:15], v[16:17]
	v_add_f64 v[3:4], v[3:4], v[26:27]
	v_add_f64 v[24:25], v[24:25], v[14:15]
	ds_read_b128 v[14:17], v20 offset:512
	s_waitcnt lgkmcnt(0)
	v_mul_f64 v[26:27], v[34:35], v[16:17]
	v_mul_f64 v[16:17], v[32:33], v[16:17]
	v_fma_f64 v[26:27], v[32:33], v[14:15], -v[26:27]
	v_fma_f64 v[14:15], v[34:35], v[14:15], v[16:17]
	v_add_f64 v[3:4], v[3:4], v[26:27]
	;; [unrolled: 8-line block ×3, first 2 shown]
	v_add_f64 v[28:29], v[24:25], v[14:15]
	ds_read_b128 v[14:17], v22 offset:64
	ds_read_b128 v[24:27], v20 offset:1024
	s_waitcnt lgkmcnt(0)
	v_mul_f64 v[30:31], v[16:17], v[26:27]
	v_fma_f64 v[30:31], v[14:15], v[24:25], -v[30:31]
	v_mul_f64 v[14:15], v[14:15], v[26:27]
	v_add_f64 v[3:4], v[3:4], v[30:31]
	v_fma_f64 v[14:15], v[16:17], v[24:25], v[14:15]
	v_add_f64 v[28:29], v[28:29], v[14:15]
	ds_read_b128 v[14:17], v22 offset:80
	ds_read_b128 v[24:27], v20 offset:1280
	s_waitcnt lgkmcnt(0)
	v_mul_f64 v[30:31], v[16:17], v[26:27]
	v_fma_f64 v[30:31], v[14:15], v[24:25], -v[30:31]
	v_mul_f64 v[14:15], v[14:15], v[26:27]
	v_add_f64 v[3:4], v[3:4], v[30:31]
	v_fma_f64 v[14:15], v[16:17], v[24:25], v[14:15]
	;; [unrolled: 9-line block ×11, first 2 shown]
	v_add_f64 v[28:29], v[28:29], v[14:15]
	ds_read_b128 v[14:17], v22 offset:240
	ds_read_b128 v[24:27], v20 offset:3840
	s_waitcnt lgkmcnt(0)
	s_barrier
	v_mul_f64 v[30:31], v[16:17], v[26:27]
	v_fma_f64 v[30:31], v[14:15], v[24:25], -v[30:31]
	v_mul_f64 v[14:15], v[14:15], v[26:27]
	v_fma_f64 v[14:15], v[16:17], v[24:25], v[14:15]
	v_add_f64 v[16:17], v[3:4], v[30:31]
	v_add_f64 v[14:15], v[28:29], v[14:15]
	s_cbranch_vccnz .LBB1368_12
.LBB1368_3:                             ; =>This Inner Loop Header: Depth=1
	v_mov_b32_e32 v4, s3
	v_add_co_u32_e32 v3, vcc, s2, v1
	v_addc_co_u32_e32 v4, vcc, 0, v4, vcc
	v_cmp_le_i64_e32 vcc, s[12:13], v[3:4]
	s_or_b64 s[6:7], s[4:5], vcc
	s_and_saveexec_b64 s[10:11], s[6:7]
	s_xor_b64 s[6:7], exec, s[10:11]
; %bb.4:                                ;   in Loop: Header=BB1368_3 Depth=1
	v_mov_b32_e32 v3, v2
	v_mov_b32_e32 v4, v2
	;; [unrolled: 1-line block ×3, first 2 shown]
	ds_write_b128 v21, v[2:5]
; %bb.5:                                ;   in Loop: Header=BB1368_3 Depth=1
	s_andn2_saveexec_b64 s[6:7], s[6:7]
	s_cbranch_execz .LBB1368_7
; %bb.6:                                ;   in Loop: Header=BB1368_3 Depth=1
	global_load_dwordx4 v[24:27], v[10:11], off
	s_waitcnt vmcnt(0)
	ds_write2_b64 v21, v[24:25], v[26:27] offset1:1
.LBB1368_7:                             ;   in Loop: Header=BB1368_3 Depth=1
	s_or_b64 exec, exec, s[6:7]
	v_mov_b32_e32 v4, s3
	v_add_co_u32_e32 v3, vcc, s2, v0
	v_addc_co_u32_e32 v4, vcc, 0, v4, vcc
	v_cmp_le_i64_e32 vcc, s[12:13], v[3:4]
	s_or_b64 s[6:7], s[0:1], vcc
	s_and_saveexec_b64 s[10:11], s[6:7]
	s_xor_b64 s[6:7], exec, s[10:11]
; %bb.8:                                ;   in Loop: Header=BB1368_3 Depth=1
	v_mov_b32_e32 v3, v2
	v_mov_b32_e32 v4, v2
	;; [unrolled: 1-line block ×3, first 2 shown]
	ds_write_b128 v23, v[2:5]
; %bb.9:                                ;   in Loop: Header=BB1368_3 Depth=1
	s_andn2_saveexec_b64 s[6:7], s[6:7]
	s_cbranch_execz .LBB1368_2
; %bb.10:                               ;   in Loop: Header=BB1368_3 Depth=1
	global_load_dwordx4 v[24:27], v[8:9], off
	s_waitcnt vmcnt(0)
	ds_write2_b64 v23, v[24:25], v[26:27] offset1:1
	s_branch .LBB1368_2
.LBB1368_11:
	v_mov_b32_e32 v14, 0
	v_mov_b32_e32 v16, 0
	;; [unrolled: 1-line block ×4, first 2 shown]
.LBB1368_12:
	v_cmp_le_i32_e32 vcc, v6, v18
	v_cmp_gt_i32_e64 s[0:1], s9, v18
	s_and_b64 s[0:1], vcc, s[0:1]
	s_and_saveexec_b64 s[2:3], s[0:1]
	s_cbranch_execz .LBB1368_14
; %bb.13:
	v_mul_lo_u32 v2, s29, v18
	v_mul_lo_u32 v3, s28, v19
	v_mad_u64_u32 v[0:1], s[2:3], s28, v18, 0
	s_mul_i32 s0, s31, s8
	s_mul_hi_u32 s1, s30, s8
	s_add_i32 s1, s1, s0
	s_mul_i32 s0, s30, s8
	s_lshl_b64 s[0:1], s[0:1], 4
	v_add3_u32 v1, v1, v3, v2
	s_add_u32 s0, s42, s0
	v_lshlrev_b64 v[0:1], 4, v[0:1]
	s_addc_u32 s1, s43, s1
	v_mov_b32_e32 v2, s1
	v_add_co_u32_e32 v3, vcc, s0, v0
	v_addc_co_u32_e32 v2, vcc, v2, v1, vcc
	v_lshlrev_b64 v[0:1], 4, v[6:7]
	v_mul_f64 v[7:8], s[14:15], v[14:15]
	v_add_co_u32_e32 v4, vcc, v3, v0
	v_addc_co_u32_e32 v5, vcc, v2, v1, vcc
	global_load_dwordx4 v[0:3], v[4:5], off
	v_mul_f64 v[11:12], s[16:17], v[14:15]
	v_cmp_ne_u32_e32 vcc, v6, v18
	v_fma_f64 v[7:8], s[16:17], v[16:17], v[7:8]
	v_fma_f64 v[11:12], s[14:15], v[16:17], -v[11:12]
	s_waitcnt vmcnt(0)
	v_mul_f64 v[9:10], s[38:39], v[2:3]
	v_mul_f64 v[2:3], s[40:41], v[2:3]
	v_fma_f64 v[9:10], s[40:41], v[0:1], v[9:10]
	v_fma_f64 v[0:1], s[38:39], v[0:1], -v[2:3]
	v_add_f64 v[2:3], v[7:8], v[9:10]
	v_add_f64 v[0:1], v[11:12], v[0:1]
	v_cndmask_b32_e32 v3, 0, v3, vcc
	v_cndmask_b32_e32 v2, 0, v2, vcc
	global_store_dwordx4 v[4:5], v[0:3], off
.LBB1368_14:
	s_endpgm
	.section	.rodata,"a",@progbits
	.p2align	6, 0x0
	.amdhsa_kernel _ZL32rocblas_syrkx_herkx_small_kernelIl19rocblas_complex_numIdELi16ELb0ELb1ELc84ELc85EKS1_S1_EviT_T0_PT6_S3_lS6_S3_lS4_PT7_S3_li
		.amdhsa_group_segment_fixed_size 8192
		.amdhsa_private_segment_fixed_size 0
		.amdhsa_kernarg_size 124
		.amdhsa_user_sgpr_count 6
		.amdhsa_user_sgpr_private_segment_buffer 1
		.amdhsa_user_sgpr_dispatch_ptr 0
		.amdhsa_user_sgpr_queue_ptr 0
		.amdhsa_user_sgpr_kernarg_segment_ptr 1
		.amdhsa_user_sgpr_dispatch_id 0
		.amdhsa_user_sgpr_flat_scratch_init 0
		.amdhsa_user_sgpr_private_segment_size 0
		.amdhsa_uses_dynamic_stack 0
		.amdhsa_system_sgpr_private_segment_wavefront_offset 0
		.amdhsa_system_sgpr_workgroup_id_x 1
		.amdhsa_system_sgpr_workgroup_id_y 1
		.amdhsa_system_sgpr_workgroup_id_z 1
		.amdhsa_system_sgpr_workgroup_info 0
		.amdhsa_system_vgpr_workitem_id 1
		.amdhsa_next_free_vgpr 44
		.amdhsa_next_free_sgpr 61
		.amdhsa_reserve_vcc 1
		.amdhsa_reserve_flat_scratch 0
		.amdhsa_float_round_mode_32 0
		.amdhsa_float_round_mode_16_64 0
		.amdhsa_float_denorm_mode_32 3
		.amdhsa_float_denorm_mode_16_64 3
		.amdhsa_dx10_clamp 1
		.amdhsa_ieee_mode 1
		.amdhsa_fp16_overflow 0
		.amdhsa_exception_fp_ieee_invalid_op 0
		.amdhsa_exception_fp_denorm_src 0
		.amdhsa_exception_fp_ieee_div_zero 0
		.amdhsa_exception_fp_ieee_overflow 0
		.amdhsa_exception_fp_ieee_underflow 0
		.amdhsa_exception_fp_ieee_inexact 0
		.amdhsa_exception_int_div_zero 0
	.end_amdhsa_kernel
	.section	.text._ZL32rocblas_syrkx_herkx_small_kernelIl19rocblas_complex_numIdELi16ELb0ELb1ELc84ELc85EKS1_S1_EviT_T0_PT6_S3_lS6_S3_lS4_PT7_S3_li,"axG",@progbits,_ZL32rocblas_syrkx_herkx_small_kernelIl19rocblas_complex_numIdELi16ELb0ELb1ELc84ELc85EKS1_S1_EviT_T0_PT6_S3_lS6_S3_lS4_PT7_S3_li,comdat
.Lfunc_end1368:
	.size	_ZL32rocblas_syrkx_herkx_small_kernelIl19rocblas_complex_numIdELi16ELb0ELb1ELc84ELc85EKS1_S1_EviT_T0_PT6_S3_lS6_S3_lS4_PT7_S3_li, .Lfunc_end1368-_ZL32rocblas_syrkx_herkx_small_kernelIl19rocblas_complex_numIdELi16ELb0ELb1ELc84ELc85EKS1_S1_EviT_T0_PT6_S3_lS6_S3_lS4_PT7_S3_li
                                        ; -- End function
	.set _ZL32rocblas_syrkx_herkx_small_kernelIl19rocblas_complex_numIdELi16ELb0ELb1ELc84ELc85EKS1_S1_EviT_T0_PT6_S3_lS6_S3_lS4_PT7_S3_li.num_vgpr, 44
	.set _ZL32rocblas_syrkx_herkx_small_kernelIl19rocblas_complex_numIdELi16ELb0ELb1ELc84ELc85EKS1_S1_EviT_T0_PT6_S3_lS6_S3_lS4_PT7_S3_li.num_agpr, 0
	.set _ZL32rocblas_syrkx_herkx_small_kernelIl19rocblas_complex_numIdELi16ELb0ELb1ELc84ELc85EKS1_S1_EviT_T0_PT6_S3_lS6_S3_lS4_PT7_S3_li.numbered_sgpr, 44
	.set _ZL32rocblas_syrkx_herkx_small_kernelIl19rocblas_complex_numIdELi16ELb0ELb1ELc84ELc85EKS1_S1_EviT_T0_PT6_S3_lS6_S3_lS4_PT7_S3_li.num_named_barrier, 0
	.set _ZL32rocblas_syrkx_herkx_small_kernelIl19rocblas_complex_numIdELi16ELb0ELb1ELc84ELc85EKS1_S1_EviT_T0_PT6_S3_lS6_S3_lS4_PT7_S3_li.private_seg_size, 0
	.set _ZL32rocblas_syrkx_herkx_small_kernelIl19rocblas_complex_numIdELi16ELb0ELb1ELc84ELc85EKS1_S1_EviT_T0_PT6_S3_lS6_S3_lS4_PT7_S3_li.uses_vcc, 1
	.set _ZL32rocblas_syrkx_herkx_small_kernelIl19rocblas_complex_numIdELi16ELb0ELb1ELc84ELc85EKS1_S1_EviT_T0_PT6_S3_lS6_S3_lS4_PT7_S3_li.uses_flat_scratch, 0
	.set _ZL32rocblas_syrkx_herkx_small_kernelIl19rocblas_complex_numIdELi16ELb0ELb1ELc84ELc85EKS1_S1_EviT_T0_PT6_S3_lS6_S3_lS4_PT7_S3_li.has_dyn_sized_stack, 0
	.set _ZL32rocblas_syrkx_herkx_small_kernelIl19rocblas_complex_numIdELi16ELb0ELb1ELc84ELc85EKS1_S1_EviT_T0_PT6_S3_lS6_S3_lS4_PT7_S3_li.has_recursion, 0
	.set _ZL32rocblas_syrkx_herkx_small_kernelIl19rocblas_complex_numIdELi16ELb0ELb1ELc84ELc85EKS1_S1_EviT_T0_PT6_S3_lS6_S3_lS4_PT7_S3_li.has_indirect_call, 0
	.section	.AMDGPU.csdata,"",@progbits
; Kernel info:
; codeLenInByte = 1952
; TotalNumSgprs: 48
; NumVgprs: 44
; ScratchSize: 0
; MemoryBound: 0
; FloatMode: 240
; IeeeMode: 1
; LDSByteSize: 8192 bytes/workgroup (compile time only)
; SGPRBlocks: 8
; VGPRBlocks: 10
; NumSGPRsForWavesPerEU: 65
; NumVGPRsForWavesPerEU: 44
; Occupancy: 5
; WaveLimiterHint : 0
; COMPUTE_PGM_RSRC2:SCRATCH_EN: 0
; COMPUTE_PGM_RSRC2:USER_SGPR: 6
; COMPUTE_PGM_RSRC2:TRAP_HANDLER: 0
; COMPUTE_PGM_RSRC2:TGID_X_EN: 1
; COMPUTE_PGM_RSRC2:TGID_Y_EN: 1
; COMPUTE_PGM_RSRC2:TGID_Z_EN: 1
; COMPUTE_PGM_RSRC2:TIDIG_COMP_CNT: 1
	.section	.text._ZL32rocblas_syrkx_herkx_small_kernelIl19rocblas_complex_numIdELi16ELb0ELb1ELc67ELc85EKS1_S1_EviT_T0_PT6_S3_lS6_S3_lS4_PT7_S3_li,"axG",@progbits,_ZL32rocblas_syrkx_herkx_small_kernelIl19rocblas_complex_numIdELi16ELb0ELb1ELc67ELc85EKS1_S1_EviT_T0_PT6_S3_lS6_S3_lS4_PT7_S3_li,comdat
	.globl	_ZL32rocblas_syrkx_herkx_small_kernelIl19rocblas_complex_numIdELi16ELb0ELb1ELc67ELc85EKS1_S1_EviT_T0_PT6_S3_lS6_S3_lS4_PT7_S3_li ; -- Begin function _ZL32rocblas_syrkx_herkx_small_kernelIl19rocblas_complex_numIdELi16ELb0ELb1ELc67ELc85EKS1_S1_EviT_T0_PT6_S3_lS6_S3_lS4_PT7_S3_li
	.p2align	8
	.type	_ZL32rocblas_syrkx_herkx_small_kernelIl19rocblas_complex_numIdELi16ELb0ELb1ELc67ELc85EKS1_S1_EviT_T0_PT6_S3_lS6_S3_lS4_PT7_S3_li,@function
_ZL32rocblas_syrkx_herkx_small_kernelIl19rocblas_complex_numIdELi16ELb0ELb1ELc67ELc85EKS1_S1_EviT_T0_PT6_S3_lS6_S3_lS4_PT7_S3_li: ; @_ZL32rocblas_syrkx_herkx_small_kernelIl19rocblas_complex_numIdELi16ELb0ELb1ELc67ELc85EKS1_S1_EviT_T0_PT6_S3_lS6_S3_lS4_PT7_S3_li
; %bb.0:
	s_load_dwordx16 s[12:27], s[4:5], 0x8
	s_load_dword s9, s[4:5], 0x0
	s_load_dwordx4 s[28:31], s[4:5], 0x68
	s_load_dwordx8 s[36:43], s[4:5], 0x48
	v_lshl_add_u32 v7, s6, 4, v0
	s_waitcnt lgkmcnt(0)
	v_cmp_lt_i64_e64 s[0:1], s[12:13], 1
	v_lshl_add_u32 v19, s7, 4, v1
	s_and_b64 vcc, exec, s[0:1]
	v_ashrrev_i32_e32 v8, 31, v7
	v_cmp_gt_i32_e64 s[2:3], s9, v19
	v_ashrrev_i32_e32 v20, 31, v19
	s_cbranch_vccnz .LBB1369_9
; %bb.1:
	v_mul_lo_u32 v6, s27, v19
	v_mul_lo_u32 v9, s26, v20
	v_mad_u64_u32 v[3:4], s[4:5], s26, v19, 0
	s_mul_i32 s4, s37, s8
	s_mul_hi_u32 s5, s36, s8
	v_add3_u32 v4, v4, v9, v6
	v_lshlrev_b64 v[3:4], 4, v[3:4]
	s_add_i32 s5, s5, s4
	s_mul_i32 s4, s36, s8
	v_lshlrev_b32_e32 v5, 8, v1
	v_lshlrev_b32_e32 v21, 4, v0
	s_lshl_b64 s[4:5], s[4:5], 4
	v_add_u32_e32 v22, v21, v5
	v_add_u32_e32 v23, 0x1000, v5
	v_mov_b32_e32 v5, s5
	v_add_co_u32_e32 v3, vcc, s4, v3
	v_addc_co_u32_e32 v4, vcc, v4, v5, vcc
	v_add_co_u32_e32 v5, vcc, v3, v21
	v_addc_co_u32_e32 v6, vcc, 0, v4, vcc
	v_mul_lo_u32 v11, s21, v7
	v_mul_lo_u32 v12, s20, v8
	v_mad_u64_u32 v[3:4], s[4:5], s20, v7, 0
	s_mul_i32 s4, s23, s8
	s_mul_hi_u32 s5, s22, s8
	v_add3_u32 v4, v4, v12, v11
	v_mov_b32_e32 v10, s25
	v_add_co_u32_e32 v9, vcc, s24, v5
	v_lshlrev_b64 v[3:4], 4, v[3:4]
	s_add_i32 s5, s5, s4
	s_mul_i32 s4, s22, s8
	v_addc_co_u32_e32 v10, vcc, v10, v6, vcc
	s_lshl_b64 s[4:5], s[4:5], 4
	v_mov_b32_e32 v5, s5
	v_add_co_u32_e32 v3, vcc, s4, v3
	v_addc_co_u32_e32 v4, vcc, v4, v5, vcc
	v_lshlrev_b32_e32 v5, 4, v1
	v_add_co_u32_e32 v3, vcc, v3, v5
	v_addc_co_u32_e32 v4, vcc, 0, v4, vcc
	v_mov_b32_e32 v5, s19
	v_add_co_u32_e32 v3, vcc, s18, v3
	v_addc_co_u32_e32 v4, vcc, v5, v4, vcc
	v_add_co_u32_e32 v11, vcc, 8, v3
	v_mov_b32_e32 v15, 0
	v_mov_b32_e32 v17, 0
	v_mov_b32_e32 v14, s13
	v_mov_b32_e32 v2, 0
	v_cmp_gt_i32_e64 s[0:1], s9, v7
	v_add_u32_e32 v24, v23, v21
	v_addc_co_u32_e32 v12, vcc, 0, v4, vcc
	v_mov_b32_e32 v16, 0
	s_mov_b64 s[4:5], 0
	s_xor_b64 s[6:7], s[2:3], -1
	v_mov_b32_e32 v18, 0
	v_mov_b32_e32 v13, s12
	s_branch .LBB1369_3
.LBB1369_2:                             ;   in Loop: Header=BB1369_3 Depth=1
	s_or_b64 exec, exec, s[2:3]
	s_waitcnt lgkmcnt(0)
	s_barrier
	ds_read_b128 v[3:6], v21
	ds_read_b128 v[25:28], v23
	ds_read_b128 v[29:32], v23 offset:16
	ds_read_b128 v[33:36], v21 offset:256
	s_add_u32 s4, s4, 16
	v_add_co_u32_e32 v9, vcc, 0x100, v9
	s_waitcnt lgkmcnt(2)
	v_mul_f64 v[39:40], v[27:28], v[5:6]
	v_mul_f64 v[5:6], v[25:26], v[5:6]
	s_waitcnt lgkmcnt(0)
	v_mul_f64 v[43:44], v[31:32], v[35:36]
	v_mul_f64 v[45:46], v[29:30], v[35:36]
	ds_read_b128 v[35:38], v21 offset:512
	s_addc_u32 s5, s5, 0
	v_addc_co_u32_e32 v10, vcc, 0, v10, vcc
	v_fma_f64 v[47:48], v[25:26], v[3:4], -v[39:40]
	v_fma_f64 v[49:50], v[27:28], v[3:4], v[5:6]
	ds_read_b128 v[3:6], v23 offset:32
	ds_read_b128 v[25:28], v23 offset:48
	;; [unrolled: 1-line block ×3, first 2 shown]
	v_fma_f64 v[29:30], v[29:30], v[33:34], -v[43:44]
	v_fma_f64 v[31:32], v[31:32], v[33:34], v[45:46]
	s_waitcnt lgkmcnt(2)
	v_mul_f64 v[33:34], v[5:6], v[37:38]
	v_mul_f64 v[37:38], v[3:4], v[37:38]
	v_add_co_u32_e32 v11, vcc, 0x100, v11
	v_add_f64 v[43:44], v[17:18], v[47:48]
	v_add_f64 v[45:46], v[15:16], v[49:50]
	s_waitcnt lgkmcnt(0)
	v_mul_f64 v[47:48], v[27:28], v[41:42]
	v_mul_f64 v[41:42], v[25:26], v[41:42]
	v_fma_f64 v[49:50], v[3:4], v[35:36], -v[33:34]
	v_fma_f64 v[37:38], v[5:6], v[35:36], v[37:38]
	ds_read_b128 v[15:18], v21 offset:1024
	v_cmp_ge_i64_e64 s[2:3], s[4:5], v[13:14]
	v_add_f64 v[43:44], v[43:44], v[29:30]
	v_add_f64 v[45:46], v[45:46], v[31:32]
	ds_read_b128 v[3:6], v23 offset:64
	ds_read_b128 v[29:32], v23 offset:80
	;; [unrolled: 1-line block ×3, first 2 shown]
	v_fma_f64 v[47:48], v[25:26], v[39:40], -v[47:48]
	v_fma_f64 v[39:40], v[27:28], v[39:40], v[41:42]
	s_waitcnt lgkmcnt(2)
	v_mul_f64 v[41:42], v[5:6], v[17:18]
	v_mul_f64 v[17:18], v[3:4], v[17:18]
	ds_read_b128 v[25:28], v21 offset:1536
	v_add_f64 v[43:44], v[43:44], v[49:50]
	v_add_f64 v[37:38], v[45:46], v[37:38]
	s_waitcnt lgkmcnt(1)
	v_mul_f64 v[45:46], v[31:32], v[35:36]
	v_mul_f64 v[49:50], v[29:30], v[35:36]
	v_addc_co_u32_e32 v12, vcc, 0, v12, vcc
	v_fma_f64 v[41:42], v[3:4], v[15:16], -v[41:42]
	v_fma_f64 v[51:52], v[5:6], v[15:16], v[17:18]
	v_add_f64 v[43:44], v[43:44], v[47:48]
	v_add_f64 v[39:40], v[37:38], v[39:40]
	ds_read_b128 v[3:6], v23 offset:96
	ds_read_b128 v[15:18], v23 offset:112
	;; [unrolled: 1-line block ×3, first 2 shown]
	v_fma_f64 v[45:46], v[29:30], v[33:34], -v[45:46]
	v_fma_f64 v[31:32], v[31:32], v[33:34], v[49:50]
	s_waitcnt lgkmcnt(2)
	v_mul_f64 v[33:34], v[5:6], v[27:28]
	v_mul_f64 v[47:48], v[3:4], v[27:28]
	s_waitcnt lgkmcnt(0)
	v_mul_f64 v[49:50], v[15:16], v[37:38]
	v_add_f64 v[41:42], v[43:44], v[41:42]
	v_add_f64 v[39:40], v[39:40], v[51:52]
	v_mul_f64 v[43:44], v[17:18], v[37:38]
	ds_read_b128 v[27:30], v21 offset:2048
	s_and_b64 vcc, exec, s[2:3]
	v_fma_f64 v[51:52], v[3:4], v[25:26], -v[33:34]
	v_fma_f64 v[25:26], v[5:6], v[25:26], v[47:48]
	v_add_f64 v[41:42], v[41:42], v[45:46]
	v_add_f64 v[45:46], v[39:40], v[31:32]
	ds_read_b128 v[3:6], v23 offset:128
	ds_read_b128 v[31:34], v23 offset:144
	;; [unrolled: 1-line block ×3, first 2 shown]
	v_fma_f64 v[43:44], v[15:16], v[35:36], -v[43:44]
	v_fma_f64 v[35:36], v[17:18], v[35:36], v[49:50]
	s_waitcnt lgkmcnt(2)
	v_mul_f64 v[47:48], v[5:6], v[29:30]
	v_mul_f64 v[29:30], v[3:4], v[29:30]
	s_waitcnt lgkmcnt(0)
	v_mul_f64 v[49:50], v[31:32], v[39:40]
	v_add_f64 v[41:42], v[41:42], v[51:52]
	v_add_f64 v[25:26], v[45:46], v[25:26]
	v_mul_f64 v[45:46], v[33:34], v[39:40]
	ds_read_b128 v[15:18], v21 offset:2560
	v_fma_f64 v[47:48], v[3:4], v[27:28], -v[47:48]
	v_fma_f64 v[29:30], v[5:6], v[27:28], v[29:30]
	v_fma_f64 v[33:34], v[33:34], v[37:38], v[49:50]
	v_add_f64 v[43:44], v[41:42], v[43:44]
	v_add_f64 v[35:36], v[25:26], v[35:36]
	ds_read_b128 v[3:6], v23 offset:160
	ds_read_b128 v[25:28], v23 offset:176
	;; [unrolled: 1-line block ×3, first 2 shown]
	v_fma_f64 v[45:46], v[31:32], v[37:38], -v[45:46]
	s_waitcnt lgkmcnt(2)
	v_mul_f64 v[37:38], v[5:6], v[17:18]
	v_mul_f64 v[17:18], v[3:4], v[17:18]
	v_add_f64 v[43:44], v[43:44], v[47:48]
	v_add_f64 v[35:36], v[35:36], v[29:30]
	s_waitcnt lgkmcnt(0)
	v_mul_f64 v[47:48], v[27:28], v[41:42]
	v_mul_f64 v[41:42], v[25:26], v[41:42]
	ds_read_b128 v[29:32], v21 offset:3072
	v_fma_f64 v[37:38], v[3:4], v[15:16], -v[37:38]
	v_fma_f64 v[49:50], v[5:6], v[15:16], v[17:18]
	v_add_f64 v[43:44], v[43:44], v[45:46]
	v_add_f64 v[45:46], v[35:36], v[33:34]
	ds_read_b128 v[3:6], v23 offset:192
	ds_read_b128 v[15:18], v23 offset:208
	;; [unrolled: 1-line block ×3, first 2 shown]
	v_fma_f64 v[47:48], v[25:26], v[39:40], -v[47:48]
	v_fma_f64 v[39:40], v[27:28], v[39:40], v[41:42]
	s_waitcnt lgkmcnt(2)
	v_mul_f64 v[41:42], v[5:6], v[31:32]
	v_mul_f64 v[31:32], v[3:4], v[31:32]
	ds_read_b128 v[25:28], v21 offset:3584
	v_add_f64 v[37:38], v[43:44], v[37:38]
	v_add_f64 v[43:44], v[45:46], v[49:50]
	s_waitcnt lgkmcnt(1)
	v_mul_f64 v[45:46], v[17:18], v[35:36]
	v_mul_f64 v[49:50], v[15:16], v[35:36]
	v_fma_f64 v[41:42], v[3:4], v[29:30], -v[41:42]
	v_fma_f64 v[51:52], v[5:6], v[29:30], v[31:32]
	v_add_f64 v[47:48], v[37:38], v[47:48]
	v_add_f64 v[39:40], v[43:44], v[39:40]
	ds_read_b128 v[3:6], v23 offset:224
	ds_read_b128 v[29:32], v23 offset:240
	ds_read_b128 v[35:38], v21 offset:3840
	v_fma_f64 v[15:16], v[15:16], v[33:34], -v[45:46]
	v_fma_f64 v[17:18], v[17:18], v[33:34], v[49:50]
	s_waitcnt lgkmcnt(2)
	v_mul_f64 v[33:34], v[5:6], v[27:28]
	v_mul_f64 v[27:28], v[3:4], v[27:28]
	s_waitcnt lgkmcnt(0)
	v_mul_f64 v[43:44], v[31:32], v[37:38]
	v_add_f64 v[41:42], v[47:48], v[41:42]
	v_add_f64 v[39:40], v[39:40], v[51:52]
	v_mul_f64 v[37:38], v[29:30], v[37:38]
	s_barrier
	v_fma_f64 v[3:4], v[3:4], v[25:26], -v[33:34]
	v_fma_f64 v[5:6], v[5:6], v[25:26], v[27:28]
	v_fma_f64 v[25:26], v[29:30], v[35:36], -v[43:44]
	v_add_f64 v[15:16], v[41:42], v[15:16]
	v_add_f64 v[17:18], v[39:40], v[17:18]
	v_fma_f64 v[27:28], v[31:32], v[35:36], v[37:38]
	v_add_f64 v[3:4], v[15:16], v[3:4]
	v_add_f64 v[5:6], v[17:18], v[5:6]
	;; [unrolled: 1-line block ×4, first 2 shown]
	s_cbranch_vccnz .LBB1369_10
.LBB1369_3:                             ; =>This Inner Loop Header: Depth=1
	v_mov_b32_e32 v4, s5
	v_add_co_u32_e32 v3, vcc, s4, v1
	v_addc_co_u32_e32 v4, vcc, 0, v4, vcc
	v_cmp_gt_i64_e32 vcc, s[12:13], v[3:4]
	v_mov_b32_e32 v3, 0
	v_mov_b32_e32 v5, 0
	;; [unrolled: 1-line block ×4, first 2 shown]
	s_and_b64 s[10:11], s[0:1], vcc
	s_and_saveexec_b64 s[2:3], s[10:11]
	s_cbranch_execz .LBB1369_5
; %bb.4:                                ;   in Loop: Header=BB1369_3 Depth=1
	global_load_dwordx4 v[3:6], v[11:12], off offset:-8
	s_waitcnt vmcnt(0)
	v_xor_b32_e32 v6, 0x80000000, v6
.LBB1369_5:                             ;   in Loop: Header=BB1369_3 Depth=1
	s_or_b64 exec, exec, s[2:3]
	v_mov_b32_e32 v26, s5
	v_add_co_u32_e32 v25, vcc, s4, v0
	v_addc_co_u32_e32 v26, vcc, 0, v26, vcc
	v_cmp_le_i64_e32 vcc, s[12:13], v[25:26]
	ds_write_b128 v22, v[3:6]
	s_or_b64 s[2:3], s[6:7], vcc
	s_and_saveexec_b64 s[10:11], s[2:3]
	s_xor_b64 s[2:3], exec, s[10:11]
; %bb.6:                                ;   in Loop: Header=BB1369_3 Depth=1
	v_mov_b32_e32 v3, v2
	v_mov_b32_e32 v4, v2
	;; [unrolled: 1-line block ×3, first 2 shown]
	ds_write_b128 v24, v[2:5]
; %bb.7:                                ;   in Loop: Header=BB1369_3 Depth=1
	s_andn2_saveexec_b64 s[2:3], s[2:3]
	s_cbranch_execz .LBB1369_2
; %bb.8:                                ;   in Loop: Header=BB1369_3 Depth=1
	global_load_dwordx4 v[3:6], v[9:10], off
	s_waitcnt vmcnt(0)
	ds_write2_b64 v24, v[3:4], v[5:6] offset1:1
	s_branch .LBB1369_2
.LBB1369_9:
	v_mov_b32_e32 v15, 0
	v_mov_b32_e32 v17, 0
	;; [unrolled: 1-line block ×4, first 2 shown]
.LBB1369_10:
	v_cmp_le_i32_e32 vcc, v7, v19
	v_cmp_gt_i32_e64 s[0:1], s9, v19
	s_and_b64 s[0:1], vcc, s[0:1]
	s_and_saveexec_b64 s[2:3], s[0:1]
	s_cbranch_execz .LBB1369_12
; %bb.11:
	v_mul_lo_u32 v2, s29, v19
	v_mul_lo_u32 v3, s28, v20
	v_mad_u64_u32 v[0:1], s[2:3], s28, v19, 0
	s_mul_i32 s0, s31, s8
	s_mul_hi_u32 s1, s30, s8
	s_add_i32 s1, s1, s0
	s_mul_i32 s0, s30, s8
	s_lshl_b64 s[0:1], s[0:1], 4
	v_add3_u32 v1, v1, v3, v2
	s_add_u32 s0, s42, s0
	v_lshlrev_b64 v[0:1], 4, v[0:1]
	s_addc_u32 s1, s43, s1
	v_mov_b32_e32 v2, s1
	v_add_co_u32_e32 v3, vcc, s0, v0
	v_addc_co_u32_e32 v2, vcc, v2, v1, vcc
	v_lshlrev_b64 v[0:1], 4, v[7:8]
	v_mul_f64 v[8:9], s[14:15], v[15:16]
	v_add_co_u32_e32 v4, vcc, v3, v0
	v_addc_co_u32_e32 v5, vcc, v2, v1, vcc
	global_load_dwordx4 v[0:3], v[4:5], off
	v_mul_f64 v[12:13], s[16:17], v[15:16]
	v_cmp_ne_u32_e32 vcc, v7, v19
	v_fma_f64 v[8:9], s[16:17], v[17:18], v[8:9]
	v_fma_f64 v[12:13], s[14:15], v[17:18], -v[12:13]
	s_waitcnt vmcnt(0)
	v_mul_f64 v[10:11], s[38:39], v[2:3]
	v_mul_f64 v[2:3], s[40:41], v[2:3]
	v_fma_f64 v[10:11], s[40:41], v[0:1], v[10:11]
	v_fma_f64 v[0:1], s[38:39], v[0:1], -v[2:3]
	v_add_f64 v[2:3], v[8:9], v[10:11]
	v_add_f64 v[0:1], v[12:13], v[0:1]
	v_cndmask_b32_e32 v3, 0, v3, vcc
	v_cndmask_b32_e32 v2, 0, v2, vcc
	global_store_dwordx4 v[4:5], v[0:3], off
.LBB1369_12:
	s_endpgm
	.section	.rodata,"a",@progbits
	.p2align	6, 0x0
	.amdhsa_kernel _ZL32rocblas_syrkx_herkx_small_kernelIl19rocblas_complex_numIdELi16ELb0ELb1ELc67ELc85EKS1_S1_EviT_T0_PT6_S3_lS6_S3_lS4_PT7_S3_li
		.amdhsa_group_segment_fixed_size 8192
		.amdhsa_private_segment_fixed_size 0
		.amdhsa_kernarg_size 124
		.amdhsa_user_sgpr_count 6
		.amdhsa_user_sgpr_private_segment_buffer 1
		.amdhsa_user_sgpr_dispatch_ptr 0
		.amdhsa_user_sgpr_queue_ptr 0
		.amdhsa_user_sgpr_kernarg_segment_ptr 1
		.amdhsa_user_sgpr_dispatch_id 0
		.amdhsa_user_sgpr_flat_scratch_init 0
		.amdhsa_user_sgpr_private_segment_size 0
		.amdhsa_uses_dynamic_stack 0
		.amdhsa_system_sgpr_private_segment_wavefront_offset 0
		.amdhsa_system_sgpr_workgroup_id_x 1
		.amdhsa_system_sgpr_workgroup_id_y 1
		.amdhsa_system_sgpr_workgroup_id_z 1
		.amdhsa_system_sgpr_workgroup_info 0
		.amdhsa_system_vgpr_workitem_id 1
		.amdhsa_next_free_vgpr 53
		.amdhsa_next_free_sgpr 61
		.amdhsa_reserve_vcc 1
		.amdhsa_reserve_flat_scratch 0
		.amdhsa_float_round_mode_32 0
		.amdhsa_float_round_mode_16_64 0
		.amdhsa_float_denorm_mode_32 3
		.amdhsa_float_denorm_mode_16_64 3
		.amdhsa_dx10_clamp 1
		.amdhsa_ieee_mode 1
		.amdhsa_fp16_overflow 0
		.amdhsa_exception_fp_ieee_invalid_op 0
		.amdhsa_exception_fp_denorm_src 0
		.amdhsa_exception_fp_ieee_div_zero 0
		.amdhsa_exception_fp_ieee_overflow 0
		.amdhsa_exception_fp_ieee_underflow 0
		.amdhsa_exception_fp_ieee_inexact 0
		.amdhsa_exception_int_div_zero 0
	.end_amdhsa_kernel
	.section	.text._ZL32rocblas_syrkx_herkx_small_kernelIl19rocblas_complex_numIdELi16ELb0ELb1ELc67ELc85EKS1_S1_EviT_T0_PT6_S3_lS6_S3_lS4_PT7_S3_li,"axG",@progbits,_ZL32rocblas_syrkx_herkx_small_kernelIl19rocblas_complex_numIdELi16ELb0ELb1ELc67ELc85EKS1_S1_EviT_T0_PT6_S3_lS6_S3_lS4_PT7_S3_li,comdat
.Lfunc_end1369:
	.size	_ZL32rocblas_syrkx_herkx_small_kernelIl19rocblas_complex_numIdELi16ELb0ELb1ELc67ELc85EKS1_S1_EviT_T0_PT6_S3_lS6_S3_lS4_PT7_S3_li, .Lfunc_end1369-_ZL32rocblas_syrkx_herkx_small_kernelIl19rocblas_complex_numIdELi16ELb0ELb1ELc67ELc85EKS1_S1_EviT_T0_PT6_S3_lS6_S3_lS4_PT7_S3_li
                                        ; -- End function
	.set _ZL32rocblas_syrkx_herkx_small_kernelIl19rocblas_complex_numIdELi16ELb0ELb1ELc67ELc85EKS1_S1_EviT_T0_PT6_S3_lS6_S3_lS4_PT7_S3_li.num_vgpr, 53
	.set _ZL32rocblas_syrkx_herkx_small_kernelIl19rocblas_complex_numIdELi16ELb0ELb1ELc67ELc85EKS1_S1_EviT_T0_PT6_S3_lS6_S3_lS4_PT7_S3_li.num_agpr, 0
	.set _ZL32rocblas_syrkx_herkx_small_kernelIl19rocblas_complex_numIdELi16ELb0ELb1ELc67ELc85EKS1_S1_EviT_T0_PT6_S3_lS6_S3_lS4_PT7_S3_li.numbered_sgpr, 44
	.set _ZL32rocblas_syrkx_herkx_small_kernelIl19rocblas_complex_numIdELi16ELb0ELb1ELc67ELc85EKS1_S1_EviT_T0_PT6_S3_lS6_S3_lS4_PT7_S3_li.num_named_barrier, 0
	.set _ZL32rocblas_syrkx_herkx_small_kernelIl19rocblas_complex_numIdELi16ELb0ELb1ELc67ELc85EKS1_S1_EviT_T0_PT6_S3_lS6_S3_lS4_PT7_S3_li.private_seg_size, 0
	.set _ZL32rocblas_syrkx_herkx_small_kernelIl19rocblas_complex_numIdELi16ELb0ELb1ELc67ELc85EKS1_S1_EviT_T0_PT6_S3_lS6_S3_lS4_PT7_S3_li.uses_vcc, 1
	.set _ZL32rocblas_syrkx_herkx_small_kernelIl19rocblas_complex_numIdELi16ELb0ELb1ELc67ELc85EKS1_S1_EviT_T0_PT6_S3_lS6_S3_lS4_PT7_S3_li.uses_flat_scratch, 0
	.set _ZL32rocblas_syrkx_herkx_small_kernelIl19rocblas_complex_numIdELi16ELb0ELb1ELc67ELc85EKS1_S1_EviT_T0_PT6_S3_lS6_S3_lS4_PT7_S3_li.has_dyn_sized_stack, 0
	.set _ZL32rocblas_syrkx_herkx_small_kernelIl19rocblas_complex_numIdELi16ELb0ELb1ELc67ELc85EKS1_S1_EviT_T0_PT6_S3_lS6_S3_lS4_PT7_S3_li.has_recursion, 0
	.set _ZL32rocblas_syrkx_herkx_small_kernelIl19rocblas_complex_numIdELi16ELb0ELb1ELc67ELc85EKS1_S1_EviT_T0_PT6_S3_lS6_S3_lS4_PT7_S3_li.has_indirect_call, 0
	.section	.AMDGPU.csdata,"",@progbits
; Kernel info:
; codeLenInByte = 1912
; TotalNumSgprs: 48
; NumVgprs: 53
; ScratchSize: 0
; MemoryBound: 1
; FloatMode: 240
; IeeeMode: 1
; LDSByteSize: 8192 bytes/workgroup (compile time only)
; SGPRBlocks: 8
; VGPRBlocks: 13
; NumSGPRsForWavesPerEU: 65
; NumVGPRsForWavesPerEU: 53
; Occupancy: 4
; WaveLimiterHint : 0
; COMPUTE_PGM_RSRC2:SCRATCH_EN: 0
; COMPUTE_PGM_RSRC2:USER_SGPR: 6
; COMPUTE_PGM_RSRC2:TRAP_HANDLER: 0
; COMPUTE_PGM_RSRC2:TGID_X_EN: 1
; COMPUTE_PGM_RSRC2:TGID_Y_EN: 1
; COMPUTE_PGM_RSRC2:TGID_Z_EN: 1
; COMPUTE_PGM_RSRC2:TIDIG_COMP_CNT: 1
	.section	.text._ZL32rocblas_syrkx_herkx_small_kernelIl19rocblas_complex_numIdELi16ELb0ELb1ELc78ELc85EKS1_S1_EviT_T0_PT6_S3_lS6_S3_lS4_PT7_S3_li,"axG",@progbits,_ZL32rocblas_syrkx_herkx_small_kernelIl19rocblas_complex_numIdELi16ELb0ELb1ELc78ELc85EKS1_S1_EviT_T0_PT6_S3_lS6_S3_lS4_PT7_S3_li,comdat
	.globl	_ZL32rocblas_syrkx_herkx_small_kernelIl19rocblas_complex_numIdELi16ELb0ELb1ELc78ELc85EKS1_S1_EviT_T0_PT6_S3_lS6_S3_lS4_PT7_S3_li ; -- Begin function _ZL32rocblas_syrkx_herkx_small_kernelIl19rocblas_complex_numIdELi16ELb0ELb1ELc78ELc85EKS1_S1_EviT_T0_PT6_S3_lS6_S3_lS4_PT7_S3_li
	.p2align	8
	.type	_ZL32rocblas_syrkx_herkx_small_kernelIl19rocblas_complex_numIdELi16ELb0ELb1ELc78ELc85EKS1_S1_EviT_T0_PT6_S3_lS6_S3_lS4_PT7_S3_li,@function
_ZL32rocblas_syrkx_herkx_small_kernelIl19rocblas_complex_numIdELi16ELb0ELb1ELc78ELc85EKS1_S1_EviT_T0_PT6_S3_lS6_S3_lS4_PT7_S3_li: ; @_ZL32rocblas_syrkx_herkx_small_kernelIl19rocblas_complex_numIdELi16ELb0ELb1ELc78ELc85EKS1_S1_EviT_T0_PT6_S3_lS6_S3_lS4_PT7_S3_li
; %bb.0:
	s_load_dwordx16 s[12:27], s[4:5], 0x8
	s_load_dword s9, s[4:5], 0x0
	s_load_dwordx4 s[28:31], s[4:5], 0x68
	s_load_dwordx8 s[36:43], s[4:5], 0x48
	v_lshl_add_u32 v7, s6, 4, v0
	s_waitcnt lgkmcnt(0)
	v_cmp_lt_i64_e64 s[0:1], s[12:13], 1
	v_lshl_add_u32 v9, s7, 4, v1
	s_and_b64 vcc, exec, s[0:1]
	v_ashrrev_i32_e32 v8, 31, v7
	v_cmp_gt_i32_e64 s[0:1], s9, v9
	v_ashrrev_i32_e32 v10, 31, v9
	s_cbranch_vccnz .LBB1370_9
; %bb.1:
	v_lshlrev_b32_e32 v3, 8, v1
	v_lshlrev_b32_e32 v21, 4, v0
	v_add_u32_e32 v22, v21, v3
	v_add_u32_e32 v23, 0x1000, v3
	v_mad_u64_u32 v[3:4], s[2:3], s26, v0, 0
	s_mul_i32 s4, s37, s8
	s_mul_hi_u32 s5, s36, s8
	v_mad_u64_u32 v[4:5], s[2:3], s27, v0, v[4:5]
	s_add_i32 s3, s5, s4
	s_mul_i32 s2, s36, s8
	v_lshlrev_b64 v[3:4], 4, v[3:4]
	s_lshl_b64 s[2:3], s[2:3], 4
	v_mov_b32_e32 v5, s3
	v_add_co_u32_e64 v6, s[2:3], s2, v3
	v_addc_co_u32_e64 v5, s[2:3], v5, v4, s[2:3]
	v_lshlrev_b64 v[3:4], 4, v[9:10]
	s_mul_i32 s6, s23, s8
	v_add_co_u32_e64 v3, s[2:3], v6, v3
	v_addc_co_u32_e64 v4, s[2:3], v5, v4, s[2:3]
	v_mov_b32_e32 v5, s25
	v_add_co_u32_e64 v3, s[2:3], s24, v3
	v_addc_co_u32_e64 v4, s[2:3], v5, v4, s[2:3]
	v_add_co_u32_e64 v11, s[2:3], 8, v3
	v_addc_co_u32_e64 v12, s[2:3], 0, v4, s[2:3]
	v_mad_u64_u32 v[3:4], s[2:3], s20, v1, 0
	s_mul_hi_u32 s7, s22, s8
	v_cmp_gt_i32_e32 vcc, s9, v7
	v_mad_u64_u32 v[4:5], s[2:3], s21, v1, v[4:5]
	s_add_i32 s3, s7, s6
	s_mul_i32 s2, s22, s8
	v_lshlrev_b64 v[3:4], 4, v[3:4]
	s_lshl_b64 s[2:3], s[2:3], 4
	v_mov_b32_e32 v5, s3
	v_add_co_u32_e64 v6, s[2:3], s2, v3
	v_addc_co_u32_e64 v5, s[2:3], v5, v4, s[2:3]
	v_lshlrev_b64 v[3:4], 4, v[7:8]
	s_lshl_b64 s[4:5], s[26:27], 8
	v_add_co_u32_e64 v3, s[2:3], v6, v3
	v_addc_co_u32_e64 v4, s[2:3], v5, v4, s[2:3]
	v_mov_b32_e32 v5, s19
	v_add_co_u32_e64 v13, s[2:3], s18, v3
	s_lshl_b64 s[6:7], s[20:21], 8
	v_mov_b32_e32 v17, 0
	v_mov_b32_e32 v19, 0
	v_mov_b32_e32 v16, s13
	v_mov_b32_e32 v2, 0
	v_add_u32_e32 v24, v23, v21
	v_addc_co_u32_e64 v14, s[2:3], v5, v4, s[2:3]
	v_mov_b32_e32 v18, 0
	s_mov_b64 s[10:11], 0
	s_xor_b64 s[18:19], vcc, -1
	v_mov_b32_e32 v25, s5
	v_mov_b32_e32 v26, s7
	;; [unrolled: 1-line block ×4, first 2 shown]
	s_branch .LBB1370_3
.LBB1370_2:                             ;   in Loop: Header=BB1370_3 Depth=1
	s_or_b64 exec, exec, s[2:3]
	ds_write_b128 v24, v[3:6]
	s_waitcnt lgkmcnt(0)
	s_barrier
	ds_read_b128 v[3:6], v21
	ds_read_b128 v[27:30], v23
	ds_read_b128 v[31:34], v23 offset:16
	ds_read_b128 v[35:38], v21 offset:256
	s_add_u32 s10, s10, 16
	v_add_co_u32_e32 v11, vcc, s4, v11
	s_waitcnt lgkmcnt(2)
	v_mul_f64 v[39:40], v[29:30], v[5:6]
	v_mul_f64 v[5:6], v[27:28], v[5:6]
	s_waitcnt lgkmcnt(0)
	v_mul_f64 v[41:42], v[33:34], v[37:38]
	v_mul_f64 v[43:44], v[31:32], v[37:38]
	v_addc_co_u32_e32 v12, vcc, v12, v25, vcc
	s_addc_u32 s11, s11, 0
	v_cmp_ge_i64_e32 vcc, s[10:11], v[15:16]
	v_fma_f64 v[45:46], v[27:28], v[3:4], -v[39:40]
	v_fma_f64 v[47:48], v[29:30], v[3:4], v[5:6]
	ds_read_b128 v[3:6], v21 offset:512
	ds_read_b128 v[27:30], v23 offset:32
	;; [unrolled: 1-line block ×3, first 2 shown]
	v_fma_f64 v[41:42], v[31:32], v[35:36], -v[41:42]
	v_fma_f64 v[35:36], v[33:34], v[35:36], v[43:44]
	ds_read_b128 v[31:34], v21 offset:768
	s_waitcnt lgkmcnt(2)
	v_mul_f64 v[43:44], v[29:30], v[5:6]
	v_mul_f64 v[5:6], v[27:28], v[5:6]
	v_add_f64 v[19:20], v[19:20], v[45:46]
	v_add_f64 v[17:18], v[17:18], v[47:48]
	s_waitcnt lgkmcnt(0)
	v_mul_f64 v[45:46], v[39:40], v[33:34]
	v_mul_f64 v[33:34], v[37:38], v[33:34]
	v_add_co_u32_e64 v13, s[2:3], s6, v13
	v_fma_f64 v[43:44], v[27:28], v[3:4], -v[43:44]
	v_fma_f64 v[47:48], v[29:30], v[3:4], v[5:6]
	v_add_f64 v[41:42], v[19:20], v[41:42]
	v_add_f64 v[35:36], v[17:18], v[35:36]
	ds_read_b128 v[3:6], v23 offset:64
	ds_read_b128 v[17:20], v21 offset:1024
	v_fma_f64 v[37:38], v[37:38], v[31:32], -v[45:46]
	v_fma_f64 v[39:40], v[39:40], v[31:32], v[33:34]
	ds_read_b128 v[27:30], v23 offset:80
	ds_read_b128 v[31:34], v21 offset:1280
	v_addc_co_u32_e64 v14, s[2:3], v14, v26, s[2:3]
	s_waitcnt lgkmcnt(2)
	v_mul_f64 v[45:46], v[5:6], v[19:20]
	v_mul_f64 v[19:20], v[3:4], v[19:20]
	v_add_f64 v[41:42], v[41:42], v[43:44]
	v_add_f64 v[35:36], v[35:36], v[47:48]
	s_waitcnt lgkmcnt(0)
	v_mul_f64 v[43:44], v[29:30], v[33:34]
	v_mul_f64 v[33:34], v[27:28], v[33:34]
	s_and_b64 vcc, exec, vcc
	v_fma_f64 v[45:46], v[3:4], v[17:18], -v[45:46]
	v_fma_f64 v[47:48], v[5:6], v[17:18], v[19:20]
	v_add_f64 v[37:38], v[41:42], v[37:38]
	v_add_f64 v[35:36], v[35:36], v[39:40]
	ds_read_b128 v[3:6], v23 offset:96
	ds_read_b128 v[17:20], v21 offset:1536
	v_fma_f64 v[39:40], v[27:28], v[31:32], -v[43:44]
	v_fma_f64 v[41:42], v[29:30], v[31:32], v[33:34]
	ds_read_b128 v[27:30], v23 offset:112
	ds_read_b128 v[31:34], v21 offset:1792
	s_waitcnt lgkmcnt(2)
	v_mul_f64 v[43:44], v[5:6], v[19:20]
	v_mul_f64 v[19:20], v[3:4], v[19:20]
	v_add_f64 v[37:38], v[37:38], v[45:46]
	v_add_f64 v[35:36], v[35:36], v[47:48]
	s_waitcnt lgkmcnt(0)
	v_mul_f64 v[45:46], v[29:30], v[33:34]
	v_mul_f64 v[33:34], v[27:28], v[33:34]
	v_fma_f64 v[43:44], v[3:4], v[17:18], -v[43:44]
	v_fma_f64 v[47:48], v[5:6], v[17:18], v[19:20]
	v_add_f64 v[37:38], v[37:38], v[39:40]
	v_add_f64 v[35:36], v[35:36], v[41:42]
	ds_read_b128 v[3:6], v23 offset:128
	ds_read_b128 v[17:20], v21 offset:2048
	v_fma_f64 v[39:40], v[27:28], v[31:32], -v[45:46]
	v_fma_f64 v[41:42], v[29:30], v[31:32], v[33:34]
	ds_read_b128 v[27:30], v23 offset:144
	ds_read_b128 v[31:34], v21 offset:2304
	s_waitcnt lgkmcnt(2)
	v_mul_f64 v[45:46], v[5:6], v[19:20]
	v_mul_f64 v[19:20], v[3:4], v[19:20]
	v_add_f64 v[37:38], v[37:38], v[43:44]
	v_add_f64 v[35:36], v[35:36], v[47:48]
	s_waitcnt lgkmcnt(0)
	v_mul_f64 v[43:44], v[29:30], v[33:34]
	v_mul_f64 v[33:34], v[27:28], v[33:34]
	;; [unrolled: 18-line block ×4, first 2 shown]
	v_fma_f64 v[45:46], v[3:4], v[17:18], -v[45:46]
	v_fma_f64 v[47:48], v[5:6], v[17:18], v[19:20]
	v_add_f64 v[37:38], v[37:38], v[39:40]
	v_add_f64 v[35:36], v[35:36], v[41:42]
	ds_read_b128 v[3:6], v23 offset:224
	ds_read_b128 v[17:20], v21 offset:3584
	v_fma_f64 v[39:40], v[27:28], v[31:32], -v[43:44]
	v_fma_f64 v[41:42], v[29:30], v[31:32], v[33:34]
	ds_read_b128 v[27:30], v23 offset:240
	ds_read_b128 v[31:34], v21 offset:3840
	s_waitcnt lgkmcnt(0)
	v_mul_f64 v[43:44], v[5:6], v[19:20]
	v_mul_f64 v[19:20], v[3:4], v[19:20]
	v_add_f64 v[37:38], v[37:38], v[45:46]
	v_add_f64 v[35:36], v[35:36], v[47:48]
	v_mul_f64 v[45:46], v[29:30], v[33:34]
	v_mul_f64 v[33:34], v[27:28], v[33:34]
	s_barrier
	v_fma_f64 v[3:4], v[3:4], v[17:18], -v[43:44]
	v_fma_f64 v[5:6], v[5:6], v[17:18], v[19:20]
	v_add_f64 v[17:18], v[37:38], v[39:40]
	v_add_f64 v[19:20], v[35:36], v[41:42]
	v_fma_f64 v[27:28], v[27:28], v[31:32], -v[45:46]
	v_fma_f64 v[29:30], v[29:30], v[31:32], v[33:34]
	v_add_f64 v[3:4], v[17:18], v[3:4]
	v_add_f64 v[5:6], v[19:20], v[5:6]
	;; [unrolled: 1-line block ×4, first 2 shown]
	s_cbranch_vccnz .LBB1370_10
.LBB1370_3:                             ; =>This Inner Loop Header: Depth=1
	v_mov_b32_e32 v4, s11
	v_add_co_u32_e32 v3, vcc, s10, v1
	v_addc_co_u32_e32 v4, vcc, 0, v4, vcc
	v_cmp_le_i64_e32 vcc, s[12:13], v[3:4]
	s_or_b64 s[2:3], s[18:19], vcc
	s_and_saveexec_b64 s[20:21], s[2:3]
	s_xor_b64 s[2:3], exec, s[20:21]
; %bb.4:                                ;   in Loop: Header=BB1370_3 Depth=1
	v_mov_b32_e32 v3, v2
	v_mov_b32_e32 v4, v2
	;; [unrolled: 1-line block ×3, first 2 shown]
	ds_write_b128 v22, v[2:5]
; %bb.5:                                ;   in Loop: Header=BB1370_3 Depth=1
	s_andn2_saveexec_b64 s[2:3], s[2:3]
	s_cbranch_execz .LBB1370_7
; %bb.6:                                ;   in Loop: Header=BB1370_3 Depth=1
	global_load_dwordx4 v[3:6], v[13:14], off
	s_waitcnt vmcnt(0)
	ds_write2_b64 v22, v[3:4], v[5:6] offset1:1
.LBB1370_7:                             ;   in Loop: Header=BB1370_3 Depth=1
	s_or_b64 exec, exec, s[2:3]
	v_mov_b32_e32 v4, s11
	v_add_co_u32_e32 v3, vcc, s10, v0
	v_addc_co_u32_e32 v4, vcc, 0, v4, vcc
	v_cmp_gt_i64_e32 vcc, s[12:13], v[3:4]
	v_mov_b32_e32 v3, 0
	v_mov_b32_e32 v5, 0
	;; [unrolled: 1-line block ×4, first 2 shown]
	s_and_b64 s[20:21], s[0:1], vcc
	s_and_saveexec_b64 s[2:3], s[20:21]
	s_cbranch_execz .LBB1370_2
; %bb.8:                                ;   in Loop: Header=BB1370_3 Depth=1
	global_load_dwordx4 v[3:6], v[11:12], off offset:-8
	s_waitcnt vmcnt(0)
	v_xor_b32_e32 v6, 0x80000000, v6
	s_branch .LBB1370_2
.LBB1370_9:
	v_mov_b32_e32 v17, 0
	v_mov_b32_e32 v19, 0
	v_mov_b32_e32 v18, 0
	v_mov_b32_e32 v20, 0
.LBB1370_10:
	v_cmp_le_i32_e32 vcc, v7, v9
	v_cmp_gt_i32_e64 s[0:1], s9, v9
	s_and_b64 s[0:1], vcc, s[0:1]
	s_and_saveexec_b64 s[2:3], s[0:1]
	s_cbranch_execz .LBB1370_12
; %bb.11:
	v_mul_lo_u32 v2, s29, v9
	v_mul_lo_u32 v3, s28, v10
	v_mad_u64_u32 v[0:1], s[2:3], s28, v9, 0
	s_mul_i32 s0, s31, s8
	s_mul_hi_u32 s1, s30, s8
	s_add_i32 s1, s1, s0
	s_mul_i32 s0, s30, s8
	s_lshl_b64 s[0:1], s[0:1], 4
	v_add3_u32 v1, v1, v3, v2
	s_add_u32 s0, s42, s0
	v_lshlrev_b64 v[0:1], 4, v[0:1]
	s_addc_u32 s1, s43, s1
	v_mov_b32_e32 v2, s1
	v_add_co_u32_e32 v3, vcc, s0, v0
	v_addc_co_u32_e32 v2, vcc, v2, v1, vcc
	v_lshlrev_b64 v[0:1], 4, v[7:8]
	v_mul_f64 v[10:11], s[14:15], v[17:18]
	v_add_co_u32_e32 v4, vcc, v3, v0
	v_addc_co_u32_e32 v5, vcc, v2, v1, vcc
	global_load_dwordx4 v[0:3], v[4:5], off
	v_mul_f64 v[14:15], s[16:17], v[17:18]
	v_cmp_ne_u32_e32 vcc, v7, v9
	v_fma_f64 v[10:11], s[16:17], v[19:20], v[10:11]
	v_fma_f64 v[14:15], s[14:15], v[19:20], -v[14:15]
	s_waitcnt vmcnt(0)
	v_mul_f64 v[12:13], s[38:39], v[2:3]
	v_mul_f64 v[2:3], s[40:41], v[2:3]
	v_fma_f64 v[12:13], s[40:41], v[0:1], v[12:13]
	v_fma_f64 v[0:1], s[38:39], v[0:1], -v[2:3]
	v_add_f64 v[2:3], v[10:11], v[12:13]
	v_add_f64 v[0:1], v[14:15], v[0:1]
	v_cndmask_b32_e32 v3, 0, v3, vcc
	v_cndmask_b32_e32 v2, 0, v2, vcc
	global_store_dwordx4 v[4:5], v[0:3], off
.LBB1370_12:
	s_endpgm
	.section	.rodata,"a",@progbits
	.p2align	6, 0x0
	.amdhsa_kernel _ZL32rocblas_syrkx_herkx_small_kernelIl19rocblas_complex_numIdELi16ELb0ELb1ELc78ELc85EKS1_S1_EviT_T0_PT6_S3_lS6_S3_lS4_PT7_S3_li
		.amdhsa_group_segment_fixed_size 8192
		.amdhsa_private_segment_fixed_size 0
		.amdhsa_kernarg_size 124
		.amdhsa_user_sgpr_count 6
		.amdhsa_user_sgpr_private_segment_buffer 1
		.amdhsa_user_sgpr_dispatch_ptr 0
		.amdhsa_user_sgpr_queue_ptr 0
		.amdhsa_user_sgpr_kernarg_segment_ptr 1
		.amdhsa_user_sgpr_dispatch_id 0
		.amdhsa_user_sgpr_flat_scratch_init 0
		.amdhsa_user_sgpr_private_segment_size 0
		.amdhsa_uses_dynamic_stack 0
		.amdhsa_system_sgpr_private_segment_wavefront_offset 0
		.amdhsa_system_sgpr_workgroup_id_x 1
		.amdhsa_system_sgpr_workgroup_id_y 1
		.amdhsa_system_sgpr_workgroup_id_z 1
		.amdhsa_system_sgpr_workgroup_info 0
		.amdhsa_system_vgpr_workitem_id 1
		.amdhsa_next_free_vgpr 49
		.amdhsa_next_free_sgpr 61
		.amdhsa_reserve_vcc 1
		.amdhsa_reserve_flat_scratch 0
		.amdhsa_float_round_mode_32 0
		.amdhsa_float_round_mode_16_64 0
		.amdhsa_float_denorm_mode_32 3
		.amdhsa_float_denorm_mode_16_64 3
		.amdhsa_dx10_clamp 1
		.amdhsa_ieee_mode 1
		.amdhsa_fp16_overflow 0
		.amdhsa_exception_fp_ieee_invalid_op 0
		.amdhsa_exception_fp_denorm_src 0
		.amdhsa_exception_fp_ieee_div_zero 0
		.amdhsa_exception_fp_ieee_overflow 0
		.amdhsa_exception_fp_ieee_underflow 0
		.amdhsa_exception_fp_ieee_inexact 0
		.amdhsa_exception_int_div_zero 0
	.end_amdhsa_kernel
	.section	.text._ZL32rocblas_syrkx_herkx_small_kernelIl19rocblas_complex_numIdELi16ELb0ELb1ELc78ELc85EKS1_S1_EviT_T0_PT6_S3_lS6_S3_lS4_PT7_S3_li,"axG",@progbits,_ZL32rocblas_syrkx_herkx_small_kernelIl19rocblas_complex_numIdELi16ELb0ELb1ELc78ELc85EKS1_S1_EviT_T0_PT6_S3_lS6_S3_lS4_PT7_S3_li,comdat
.Lfunc_end1370:
	.size	_ZL32rocblas_syrkx_herkx_small_kernelIl19rocblas_complex_numIdELi16ELb0ELb1ELc78ELc85EKS1_S1_EviT_T0_PT6_S3_lS6_S3_lS4_PT7_S3_li, .Lfunc_end1370-_ZL32rocblas_syrkx_herkx_small_kernelIl19rocblas_complex_numIdELi16ELb0ELb1ELc78ELc85EKS1_S1_EviT_T0_PT6_S3_lS6_S3_lS4_PT7_S3_li
                                        ; -- End function
	.set _ZL32rocblas_syrkx_herkx_small_kernelIl19rocblas_complex_numIdELi16ELb0ELb1ELc78ELc85EKS1_S1_EviT_T0_PT6_S3_lS6_S3_lS4_PT7_S3_li.num_vgpr, 49
	.set _ZL32rocblas_syrkx_herkx_small_kernelIl19rocblas_complex_numIdELi16ELb0ELb1ELc78ELc85EKS1_S1_EviT_T0_PT6_S3_lS6_S3_lS4_PT7_S3_li.num_agpr, 0
	.set _ZL32rocblas_syrkx_herkx_small_kernelIl19rocblas_complex_numIdELi16ELb0ELb1ELc78ELc85EKS1_S1_EviT_T0_PT6_S3_lS6_S3_lS4_PT7_S3_li.numbered_sgpr, 44
	.set _ZL32rocblas_syrkx_herkx_small_kernelIl19rocblas_complex_numIdELi16ELb0ELb1ELc78ELc85EKS1_S1_EviT_T0_PT6_S3_lS6_S3_lS4_PT7_S3_li.num_named_barrier, 0
	.set _ZL32rocblas_syrkx_herkx_small_kernelIl19rocblas_complex_numIdELi16ELb0ELb1ELc78ELc85EKS1_S1_EviT_T0_PT6_S3_lS6_S3_lS4_PT7_S3_li.private_seg_size, 0
	.set _ZL32rocblas_syrkx_herkx_small_kernelIl19rocblas_complex_numIdELi16ELb0ELb1ELc78ELc85EKS1_S1_EviT_T0_PT6_S3_lS6_S3_lS4_PT7_S3_li.uses_vcc, 1
	.set _ZL32rocblas_syrkx_herkx_small_kernelIl19rocblas_complex_numIdELi16ELb0ELb1ELc78ELc85EKS1_S1_EviT_T0_PT6_S3_lS6_S3_lS4_PT7_S3_li.uses_flat_scratch, 0
	.set _ZL32rocblas_syrkx_herkx_small_kernelIl19rocblas_complex_numIdELi16ELb0ELb1ELc78ELc85EKS1_S1_EviT_T0_PT6_S3_lS6_S3_lS4_PT7_S3_li.has_dyn_sized_stack, 0
	.set _ZL32rocblas_syrkx_herkx_small_kernelIl19rocblas_complex_numIdELi16ELb0ELb1ELc78ELc85EKS1_S1_EviT_T0_PT6_S3_lS6_S3_lS4_PT7_S3_li.has_recursion, 0
	.set _ZL32rocblas_syrkx_herkx_small_kernelIl19rocblas_complex_numIdELi16ELb0ELb1ELc78ELc85EKS1_S1_EviT_T0_PT6_S3_lS6_S3_lS4_PT7_S3_li.has_indirect_call, 0
	.section	.AMDGPU.csdata,"",@progbits
; Kernel info:
; codeLenInByte = 1952
; TotalNumSgprs: 48
; NumVgprs: 49
; ScratchSize: 0
; MemoryBound: 1
; FloatMode: 240
; IeeeMode: 1
; LDSByteSize: 8192 bytes/workgroup (compile time only)
; SGPRBlocks: 8
; VGPRBlocks: 12
; NumSGPRsForWavesPerEU: 65
; NumVGPRsForWavesPerEU: 49
; Occupancy: 4
; WaveLimiterHint : 0
; COMPUTE_PGM_RSRC2:SCRATCH_EN: 0
; COMPUTE_PGM_RSRC2:USER_SGPR: 6
; COMPUTE_PGM_RSRC2:TRAP_HANDLER: 0
; COMPUTE_PGM_RSRC2:TGID_X_EN: 1
; COMPUTE_PGM_RSRC2:TGID_Y_EN: 1
; COMPUTE_PGM_RSRC2:TGID_Z_EN: 1
; COMPUTE_PGM_RSRC2:TIDIG_COMP_CNT: 1
	.section	.text._ZL34rocblas_syrkx_herkx_general_kernelIl19rocblas_complex_numIdELi16ELi32ELi8ELb1ELb1ELc84ELc76EKS1_S1_EviT_T0_PT8_S3_lS6_S3_lS4_PT9_S3_li,"axG",@progbits,_ZL34rocblas_syrkx_herkx_general_kernelIl19rocblas_complex_numIdELi16ELi32ELi8ELb1ELb1ELc84ELc76EKS1_S1_EviT_T0_PT8_S3_lS6_S3_lS4_PT9_S3_li,comdat
	.globl	_ZL34rocblas_syrkx_herkx_general_kernelIl19rocblas_complex_numIdELi16ELi32ELi8ELb1ELb1ELc84ELc76EKS1_S1_EviT_T0_PT8_S3_lS6_S3_lS4_PT9_S3_li ; -- Begin function _ZL34rocblas_syrkx_herkx_general_kernelIl19rocblas_complex_numIdELi16ELi32ELi8ELb1ELb1ELc84ELc76EKS1_S1_EviT_T0_PT8_S3_lS6_S3_lS4_PT9_S3_li
	.p2align	8
	.type	_ZL34rocblas_syrkx_herkx_general_kernelIl19rocblas_complex_numIdELi16ELi32ELi8ELb1ELb1ELc84ELc76EKS1_S1_EviT_T0_PT8_S3_lS6_S3_lS4_PT9_S3_li,@function
_ZL34rocblas_syrkx_herkx_general_kernelIl19rocblas_complex_numIdELi16ELi32ELi8ELb1ELb1ELc84ELc76EKS1_S1_EviT_T0_PT8_S3_lS6_S3_lS4_PT9_S3_li: ; @_ZL34rocblas_syrkx_herkx_general_kernelIl19rocblas_complex_numIdELi16ELi32ELi8ELb1ELb1ELc84ELc76EKS1_S1_EviT_T0_PT8_S3_lS6_S3_lS4_PT9_S3_li
; %bb.0:
	s_load_dwordx16 s[12:27], s[4:5], 0x8
	s_load_dword s9, s[4:5], 0x0
	s_lshl_b32 s28, s6, 5
	s_lshl_b32 s29, s7, 5
	s_waitcnt lgkmcnt(0)
	v_cmp_lt_i64_e64 s[0:1], s[12:13], 1
	s_and_b64 vcc, exec, s[0:1]
	s_cbranch_vccnz .LBB1371_11
; %bb.1:
	v_lshl_add_u32 v2, v1, 4, v0
	v_and_b32_e32 v5, 31, v2
	v_and_b32_e32 v29, 7, v0
	v_lshrrev_b32_e32 v3, 3, v2
	v_lshrrev_b32_e32 v28, 5, v2
	v_lshlrev_b32_e32 v2, 4, v5
	v_lshlrev_b32_e32 v8, 4, v29
	v_lshl_or_b32 v30, v28, 9, v2
	v_lshl_or_b32 v2, v3, 7, v8
	v_add_u32_e32 v31, 0x1000, v2
	v_add_u32_e32 v2, s28, v5
	;; [unrolled: 1-line block ×3, first 2 shown]
	v_ashrrev_i32_e32 v3, 31, v2
	v_or_b32_e32 v6, s28, v5
	v_mul_lo_u32 v5, s20, v3
	v_mul_lo_u32 v7, s21, v2
	v_mad_u64_u32 v[2:3], s[2:3], s20, v2, 0
	s_mul_i32 s2, s23, s8
	s_mul_hi_u32 s3, s22, s8
	v_add3_u32 v3, v3, v5, v7
	v_lshlrev_b64 v[2:3], 4, v[2:3]
	s_add_i32 s3, s3, s2
	s_mul_i32 s2, s22, s8
	s_lshl_b64 s[2:3], s[2:3], 4
	v_mov_b32_e32 v5, s3
	v_add_co_u32_e64 v2, s[2:3], s2, v2
	v_addc_co_u32_e64 v3, s[2:3], v3, v5, s[2:3]
	v_lshlrev_b32_e32 v5, 4, v28
	s_load_dwordx2 s[6:7], s[4:5], 0x48
	v_cmp_gt_i32_e32 vcc, s9, v6
	v_ashrrev_i32_e32 v6, 31, v4
	v_add_co_u32_e64 v5, s[2:3], v2, v5
	v_addc_co_u32_e64 v7, s[2:3], 0, v3, s[2:3]
	v_mul_lo_u32 v10, s26, v6
	v_mul_lo_u32 v11, s27, v4
	v_mad_u64_u32 v[2:3], s[2:3], s26, v4, 0
	v_mov_b32_e32 v9, 0x1000
	v_lshl_add_u32 v33, v1, 7, v9
	v_mov_b32_e32 v9, s19
	v_add_co_u32_e64 v6, s[2:3], s18, v5
	v_addc_co_u32_e64 v7, s[2:3], v9, v7, s[2:3]
	v_add3_u32 v3, v3, v10, v11
	s_waitcnt lgkmcnt(0)
	s_mul_i32 s2, s7, s8
	s_mul_hi_u32 s3, s6, s8
	v_lshlrev_b64 v[2:3], 4, v[2:3]
	s_add_i32 s3, s3, s2
	s_mul_i32 s2, s6, s8
	s_lshl_b64 s[2:3], s[2:3], 4
	v_cmp_gt_i32_e64 s[0:1], s9, v4
	v_mov_b32_e32 v4, s3
	v_add_co_u32_e64 v2, s[2:3], s2, v2
	v_addc_co_u32_e64 v3, s[2:3], v3, v4, s[2:3]
	v_add_co_u32_e64 v2, s[2:3], v2, v8
	v_addc_co_u32_e64 v3, s[2:3], 0, v3, s[2:3]
	v_mov_b32_e32 v4, s25
	v_add_co_u32_e64 v8, s[2:3], s24, v2
	v_addc_co_u32_e64 v9, s[2:3], v4, v3, s[2:3]
	v_mov_b32_e32 v26, 0
	v_mov_b32_e32 v10, s12
	;; [unrolled: 1-line block ×9, first 2 shown]
	v_lshlrev_b32_e32 v32, 4, v0
	s_mov_b64 s[2:3], 0
	v_mov_b32_e32 v27, 0
	s_xor_b64 s[6:7], vcc, -1
	s_xor_b64 s[0:1], s[0:1], -1
	v_mov_b32_e32 v11, s13
	v_mov_b32_e32 v25, 0
	;; [unrolled: 1-line block ×9, first 2 shown]
	s_branch .LBB1371_3
.LBB1371_2:                             ;   in Loop: Header=BB1371_3 Depth=1
	s_or_b64 exec, exec, s[10:11]
	s_waitcnt lgkmcnt(0)
	s_barrier
	ds_read_b128 v[34:37], v33
	ds_read_b128 v[38:41], v33 offset:16
	ds_read_b128 v[42:45], v33 offset:32
	;; [unrolled: 1-line block ×3, first 2 shown]
	ds_read_b128 v[50:53], v32
	v_add_co_u32_e32 v6, vcc, 0x80, v6
	v_addc_co_u32_e32 v7, vcc, 0, v7, vcc
	s_waitcnt lgkmcnt(0)
	v_mul_f64 v[3:4], v[36:37], v[52:53]
	v_mul_f64 v[54:55], v[34:35], v[52:53]
	s_add_u32 s2, s2, 8
	v_add_co_u32_e32 v8, vcc, 0x80, v8
	s_addc_u32 s3, s3, 0
	v_addc_co_u32_e32 v9, vcc, 0, v9, vcc
	v_fma_f64 v[3:4], v[34:35], v[50:51], -v[3:4]
	v_fma_f64 v[54:55], v[36:37], v[50:51], v[54:55]
	v_cmp_ge_i64_e32 vcc, s[2:3], v[10:11]
	s_and_b64 vcc, exec, vcc
	v_add_f64 v[3:4], v[20:21], v[3:4]
	v_add_f64 v[54:55], v[54:55], v[22:23]
	ds_read_b128 v[20:23], v32 offset:256
	s_waitcnt lgkmcnt(0)
	v_mul_f64 v[56:57], v[36:37], v[22:23]
	v_fma_f64 v[56:57], v[34:35], v[20:21], -v[56:57]
	v_mul_f64 v[34:35], v[34:35], v[22:23]
	v_fma_f64 v[34:35], v[36:37], v[20:21], v[34:35]
	v_add_f64 v[36:37], v[12:13], v[56:57]
	v_add_f64 v[34:35], v[34:35], v[14:15]
	ds_read_b128 v[12:15], v33 offset:2048
	s_waitcnt lgkmcnt(0)
	v_mul_f64 v[56:57], v[14:15], v[52:53]
	v_mul_f64 v[52:53], v[12:13], v[52:53]
	v_fma_f64 v[56:57], v[12:13], v[50:51], -v[56:57]
	v_fma_f64 v[50:51], v[14:15], v[50:51], v[52:53]
	v_add_f64 v[52:53], v[16:17], v[56:57]
	v_mul_f64 v[16:17], v[14:15], v[22:23]
	v_add_f64 v[50:51], v[50:51], v[18:19]
	v_fma_f64 v[16:17], v[12:13], v[20:21], -v[16:17]
	v_mul_f64 v[12:13], v[12:13], v[22:23]
	v_add_f64 v[24:25], v[24:25], v[16:17]
	v_fma_f64 v[12:13], v[14:15], v[20:21], v[12:13]
	v_add_f64 v[26:27], v[12:13], v[26:27]
	ds_read_b128 v[12:15], v32 offset:512
	s_waitcnt lgkmcnt(0)
	v_mul_f64 v[16:17], v[40:41], v[14:15]
	v_mul_f64 v[18:19], v[38:39], v[14:15]
	v_fma_f64 v[16:17], v[38:39], v[12:13], -v[16:17]
	v_fma_f64 v[18:19], v[40:41], v[12:13], v[18:19]
	v_add_f64 v[3:4], v[3:4], v[16:17]
	v_add_f64 v[54:55], v[18:19], v[54:55]
	ds_read_b128 v[16:19], v32 offset:768
	s_waitcnt lgkmcnt(0)
	v_mul_f64 v[20:21], v[40:41], v[18:19]
	v_mul_f64 v[22:23], v[38:39], v[18:19]
	v_fma_f64 v[20:21], v[38:39], v[16:17], -v[20:21]
	v_fma_f64 v[22:23], v[40:41], v[16:17], v[22:23]
	v_add_f64 v[36:37], v[36:37], v[20:21]
	v_add_f64 v[34:35], v[22:23], v[34:35]
	ds_read_b128 v[20:23], v33 offset:2064
	s_waitcnt lgkmcnt(0)
	v_mul_f64 v[38:39], v[22:23], v[14:15]
	v_mul_f64 v[14:15], v[20:21], v[14:15]
	v_fma_f64 v[38:39], v[20:21], v[12:13], -v[38:39]
	v_fma_f64 v[12:13], v[22:23], v[12:13], v[14:15]
	v_mul_f64 v[14:15], v[20:21], v[18:19]
	v_add_f64 v[38:39], v[52:53], v[38:39]
	v_add_f64 v[40:41], v[12:13], v[50:51]
	v_mul_f64 v[12:13], v[22:23], v[18:19]
	v_fma_f64 v[14:15], v[22:23], v[16:17], v[14:15]
	v_fma_f64 v[12:13], v[20:21], v[16:17], -v[12:13]
	v_add_f64 v[26:27], v[14:15], v[26:27]
	v_add_f64 v[24:25], v[24:25], v[12:13]
	ds_read_b128 v[12:15], v32 offset:1024
	s_waitcnt lgkmcnt(0)
	v_mul_f64 v[16:17], v[44:45], v[14:15]
	v_mul_f64 v[18:19], v[42:43], v[14:15]
	v_fma_f64 v[16:17], v[42:43], v[12:13], -v[16:17]
	v_fma_f64 v[18:19], v[44:45], v[12:13], v[18:19]
	v_add_f64 v[3:4], v[3:4], v[16:17]
	v_add_f64 v[50:51], v[18:19], v[54:55]
	ds_read_b128 v[16:19], v32 offset:1280
	s_waitcnt lgkmcnt(0)
	v_mul_f64 v[20:21], v[44:45], v[18:19]
	v_mul_f64 v[22:23], v[42:43], v[18:19]
	v_fma_f64 v[20:21], v[42:43], v[16:17], -v[20:21]
	v_fma_f64 v[22:23], v[44:45], v[16:17], v[22:23]
	v_add_f64 v[36:37], v[36:37], v[20:21]
	v_add_f64 v[34:35], v[22:23], v[34:35]
	ds_read_b128 v[20:23], v33 offset:2080
	s_waitcnt lgkmcnt(0)
	v_mul_f64 v[42:43], v[22:23], v[14:15]
	v_mul_f64 v[14:15], v[20:21], v[14:15]
	v_fma_f64 v[42:43], v[20:21], v[12:13], -v[42:43]
	v_fma_f64 v[12:13], v[22:23], v[12:13], v[14:15]
	v_mul_f64 v[14:15], v[20:21], v[18:19]
	v_add_f64 v[38:39], v[38:39], v[42:43]
	v_add_f64 v[40:41], v[12:13], v[40:41]
	v_mul_f64 v[12:13], v[22:23], v[18:19]
	v_fma_f64 v[14:15], v[22:23], v[16:17], v[14:15]
	v_fma_f64 v[12:13], v[20:21], v[16:17], -v[12:13]
	v_add_f64 v[26:27], v[14:15], v[26:27]
	;; [unrolled: 30-line block ×3, first 2 shown]
	v_add_f64 v[24:25], v[24:25], v[12:13]
	ds_read_b128 v[12:15], v33 offset:64
	ds_read_b128 v[16:19], v32 offset:2048
	s_waitcnt lgkmcnt(0)
	v_mul_f64 v[20:21], v[14:15], v[18:19]
	v_mul_f64 v[22:23], v[12:13], v[18:19]
	v_fma_f64 v[20:21], v[12:13], v[16:17], -v[20:21]
	v_fma_f64 v[22:23], v[14:15], v[16:17], v[22:23]
	v_add_f64 v[3:4], v[3:4], v[20:21]
	v_add_f64 v[42:43], v[22:23], v[42:43]
	ds_read_b128 v[20:23], v32 offset:2304
	s_waitcnt lgkmcnt(0)
	v_mul_f64 v[44:45], v[14:15], v[22:23]
	v_fma_f64 v[44:45], v[12:13], v[20:21], -v[44:45]
	v_mul_f64 v[12:13], v[12:13], v[22:23]
	v_add_f64 v[36:37], v[36:37], v[44:45]
	v_fma_f64 v[12:13], v[14:15], v[20:21], v[12:13]
	v_add_f64 v[34:35], v[12:13], v[34:35]
	ds_read_b128 v[12:15], v33 offset:2112
	s_waitcnt lgkmcnt(0)
	v_mul_f64 v[44:45], v[14:15], v[18:19]
	v_mul_f64 v[18:19], v[12:13], v[18:19]
	v_fma_f64 v[44:45], v[12:13], v[16:17], -v[44:45]
	v_fma_f64 v[16:17], v[14:15], v[16:17], v[18:19]
	v_add_f64 v[38:39], v[38:39], v[44:45]
	v_add_f64 v[40:41], v[16:17], v[40:41]
	v_mul_f64 v[16:17], v[14:15], v[22:23]
	v_fma_f64 v[16:17], v[12:13], v[20:21], -v[16:17]
	v_mul_f64 v[12:13], v[12:13], v[22:23]
	v_add_f64 v[24:25], v[24:25], v[16:17]
	v_fma_f64 v[12:13], v[14:15], v[20:21], v[12:13]
	v_add_f64 v[26:27], v[12:13], v[26:27]
	ds_read_b128 v[12:15], v33 offset:80
	ds_read_b128 v[16:19], v32 offset:2560
	s_waitcnt lgkmcnt(0)
	v_mul_f64 v[20:21], v[14:15], v[18:19]
	v_mul_f64 v[22:23], v[12:13], v[18:19]
	v_fma_f64 v[20:21], v[12:13], v[16:17], -v[20:21]
	v_fma_f64 v[22:23], v[14:15], v[16:17], v[22:23]
	v_add_f64 v[3:4], v[3:4], v[20:21]
	v_add_f64 v[42:43], v[22:23], v[42:43]
	ds_read_b128 v[20:23], v32 offset:2816
	s_waitcnt lgkmcnt(0)
	v_mul_f64 v[44:45], v[14:15], v[22:23]
	v_fma_f64 v[44:45], v[12:13], v[20:21], -v[44:45]
	v_mul_f64 v[12:13], v[12:13], v[22:23]
	v_add_f64 v[36:37], v[36:37], v[44:45]
	v_fma_f64 v[12:13], v[14:15], v[20:21], v[12:13]
	v_add_f64 v[34:35], v[12:13], v[34:35]
	ds_read_b128 v[12:15], v33 offset:2128
	s_waitcnt lgkmcnt(0)
	v_mul_f64 v[44:45], v[14:15], v[18:19]
	v_mul_f64 v[18:19], v[12:13], v[18:19]
	v_fma_f64 v[44:45], v[12:13], v[16:17], -v[44:45]
	v_fma_f64 v[16:17], v[14:15], v[16:17], v[18:19]
	v_add_f64 v[38:39], v[38:39], v[44:45]
	v_add_f64 v[40:41], v[16:17], v[40:41]
	v_mul_f64 v[16:17], v[14:15], v[22:23]
	v_fma_f64 v[16:17], v[12:13], v[20:21], -v[16:17]
	v_mul_f64 v[12:13], v[12:13], v[22:23]
	v_add_f64 v[24:25], v[24:25], v[16:17]
	v_fma_f64 v[12:13], v[14:15], v[20:21], v[12:13]
	v_add_f64 v[26:27], v[12:13], v[26:27]
	ds_read_b128 v[12:15], v33 offset:96
	ds_read_b128 v[16:19], v32 offset:3072
	s_waitcnt lgkmcnt(0)
	v_mul_f64 v[20:21], v[14:15], v[18:19]
	v_mul_f64 v[22:23], v[12:13], v[18:19]
	v_fma_f64 v[20:21], v[12:13], v[16:17], -v[20:21]
	v_fma_f64 v[22:23], v[14:15], v[16:17], v[22:23]
	v_add_f64 v[3:4], v[3:4], v[20:21]
	v_add_f64 v[42:43], v[22:23], v[42:43]
	ds_read_b128 v[20:23], v32 offset:3328
	s_waitcnt lgkmcnt(0)
	v_mul_f64 v[44:45], v[14:15], v[22:23]
	v_fma_f64 v[44:45], v[12:13], v[20:21], -v[44:45]
	v_mul_f64 v[12:13], v[12:13], v[22:23]
	v_add_f64 v[36:37], v[36:37], v[44:45]
	v_fma_f64 v[12:13], v[14:15], v[20:21], v[12:13]
	v_add_f64 v[34:35], v[12:13], v[34:35]
	ds_read_b128 v[12:15], v33 offset:2144
	s_waitcnt lgkmcnt(0)
	v_mul_f64 v[44:45], v[14:15], v[18:19]
	v_mul_f64 v[18:19], v[12:13], v[18:19]
	v_fma_f64 v[44:45], v[12:13], v[16:17], -v[44:45]
	v_fma_f64 v[16:17], v[14:15], v[16:17], v[18:19]
	v_add_f64 v[38:39], v[38:39], v[44:45]
	v_add_f64 v[40:41], v[16:17], v[40:41]
	v_mul_f64 v[16:17], v[14:15], v[22:23]
	v_fma_f64 v[16:17], v[12:13], v[20:21], -v[16:17]
	v_mul_f64 v[12:13], v[12:13], v[22:23]
	v_add_f64 v[44:45], v[24:25], v[16:17]
	v_fma_f64 v[12:13], v[14:15], v[20:21], v[12:13]
	v_add_f64 v[46:47], v[12:13], v[26:27]
	ds_read_b128 v[12:15], v33 offset:112
	ds_read_b128 v[16:19], v32 offset:3584
	;; [unrolled: 1-line block ×3, first 2 shown]
	s_waitcnt lgkmcnt(1)
	v_mul_f64 v[20:21], v[14:15], v[18:19]
	v_mul_f64 v[22:23], v[12:13], v[18:19]
	v_fma_f64 v[20:21], v[12:13], v[16:17], -v[20:21]
	v_fma_f64 v[22:23], v[14:15], v[16:17], v[22:23]
	v_add_f64 v[20:21], v[3:4], v[20:21]
	s_waitcnt lgkmcnt(0)
	v_mul_f64 v[3:4], v[14:15], v[26:27]
	v_add_f64 v[22:23], v[22:23], v[42:43]
	v_fma_f64 v[3:4], v[12:13], v[24:25], -v[3:4]
	v_mul_f64 v[12:13], v[12:13], v[26:27]
	v_fma_f64 v[14:15], v[14:15], v[24:25], v[12:13]
	v_add_f64 v[12:13], v[36:37], v[3:4]
	v_add_f64 v[14:15], v[14:15], v[34:35]
	ds_read_b128 v[34:37], v33 offset:2160
	s_waitcnt lgkmcnt(0)
	s_barrier
	v_mul_f64 v[3:4], v[36:37], v[18:19]
	v_mul_f64 v[18:19], v[34:35], v[18:19]
	v_fma_f64 v[3:4], v[34:35], v[16:17], -v[3:4]
	v_fma_f64 v[18:19], v[36:37], v[16:17], v[18:19]
	v_add_f64 v[16:17], v[38:39], v[3:4]
	v_mul_f64 v[3:4], v[36:37], v[26:27]
	v_mul_f64 v[26:27], v[34:35], v[26:27]
	v_add_f64 v[18:19], v[18:19], v[40:41]
	v_fma_f64 v[3:4], v[34:35], v[24:25], -v[3:4]
	v_fma_f64 v[26:27], v[36:37], v[24:25], v[26:27]
	v_add_f64 v[24:25], v[44:45], v[3:4]
	v_add_f64 v[26:27], v[26:27], v[46:47]
	s_cbranch_vccnz .LBB1371_12
.LBB1371_3:                             ; =>This Inner Loop Header: Depth=1
	v_mov_b32_e32 v4, s3
	v_add_co_u32_e32 v3, vcc, s2, v28
	v_addc_co_u32_e32 v4, vcc, 0, v4, vcc
	v_cmp_le_i64_e32 vcc, s[12:13], v[3:4]
	s_or_b64 s[10:11], s[6:7], vcc
	s_and_saveexec_b64 s[18:19], s[10:11]
	s_xor_b64 s[10:11], exec, s[18:19]
; %bb.4:                                ;   in Loop: Header=BB1371_3 Depth=1
	v_mov_b32_e32 v3, v2
	v_mov_b32_e32 v4, v2
	;; [unrolled: 1-line block ×3, first 2 shown]
	ds_write_b128 v30, v[2:5]
; %bb.5:                                ;   in Loop: Header=BB1371_3 Depth=1
	s_andn2_saveexec_b64 s[10:11], s[10:11]
	s_cbranch_execz .LBB1371_7
; %bb.6:                                ;   in Loop: Header=BB1371_3 Depth=1
	global_load_dwordx4 v[34:37], v[6:7], off
	s_waitcnt vmcnt(0)
	ds_write2_b64 v30, v[34:35], v[36:37] offset1:1
.LBB1371_7:                             ;   in Loop: Header=BB1371_3 Depth=1
	s_or_b64 exec, exec, s[10:11]
	v_mov_b32_e32 v4, s3
	v_add_co_u32_e32 v3, vcc, s2, v29
	v_addc_co_u32_e32 v4, vcc, 0, v4, vcc
	v_cmp_le_i64_e32 vcc, s[12:13], v[3:4]
	s_or_b64 s[10:11], vcc, s[0:1]
	s_and_saveexec_b64 s[18:19], s[10:11]
	s_xor_b64 s[10:11], exec, s[18:19]
; %bb.8:                                ;   in Loop: Header=BB1371_3 Depth=1
	v_mov_b32_e32 v3, v2
	v_mov_b32_e32 v4, v2
	;; [unrolled: 1-line block ×3, first 2 shown]
	ds_write_b128 v31, v[2:5]
; %bb.9:                                ;   in Loop: Header=BB1371_3 Depth=1
	s_andn2_saveexec_b64 s[10:11], s[10:11]
	s_cbranch_execz .LBB1371_2
; %bb.10:                               ;   in Loop: Header=BB1371_3 Depth=1
	global_load_dwordx4 v[34:37], v[8:9], off
	s_waitcnt vmcnt(0)
	ds_write2_b64 v31, v[34:35], v[36:37] offset1:1
	s_branch .LBB1371_2
.LBB1371_11:
	v_mov_b32_e32 v20, 0
	v_mov_b32_e32 v22, 0
	v_mov_b32_e32 v12, 0
	v_mov_b32_e32 v14, 0
	v_mov_b32_e32 v16, 0
	v_mov_b32_e32 v18, 0
	v_mov_b32_e32 v24, 0
	v_mov_b32_e32 v26, 0
	v_mov_b32_e32 v21, 0
	v_mov_b32_e32 v23, 0
	v_mov_b32_e32 v13, 0
	v_mov_b32_e32 v15, 0
	v_mov_b32_e32 v17, 0
	v_mov_b32_e32 v19, 0
	v_mov_b32_e32 v25, 0
	v_mov_b32_e32 v27, 0
.LBB1371_12:
	s_load_dwordx2 s[0:1], s[4:5], 0x70
	s_load_dwordx4 s[20:23], s[4:5], 0x60
	v_add_u32_e32 v4, s29, v1
	v_ashrrev_i32_e32 v1, 31, v4
	v_add_u32_e32 v0, s28, v0
	s_waitcnt lgkmcnt(0)
	s_mul_i32 s1, s1, s8
	s_mul_hi_u32 s2, s0, s8
	s_add_i32 s1, s2, s1
	v_mul_lo_u32 v3, s22, v1
	v_mul_lo_u32 v5, s23, v4
	v_mad_u64_u32 v[1:2], s[2:3], s22, v4, 0
	s_mul_i32 s0, s0, s8
	s_lshl_b64 s[0:1], s[0:1], 4
	v_add3_u32 v2, v2, v3, v5
	s_add_u32 s6, s20, s0
	v_lshlrev_b64 v[1:2], 4, v[1:2]
	s_addc_u32 s7, s21, s1
	v_mov_b32_e32 v3, s7
	v_add_co_u32_e32 v5, vcc, s6, v1
	v_addc_co_u32_e32 v6, vcc, v3, v2, vcc
	v_cmp_le_i32_e64 s[0:1], v4, v0
	v_cmp_gt_i32_e32 vcc, s9, v0
	s_and_b64 s[0:1], s[0:1], vcc
	s_and_saveexec_b64 s[2:3], s[0:1]
	s_cbranch_execz .LBB1371_14
; %bb.13:
	v_mul_f64 v[2:3], s[14:15], v[22:23]
	v_mul_f64 v[7:8], s[16:17], v[22:23]
	v_ashrrev_i32_e32 v1, 31, v0
	v_lshlrev_b64 v[9:10], 4, v[0:1]
	v_fma_f64 v[2:3], s[16:17], v[20:21], v[2:3]
	v_fma_f64 v[7:8], s[14:15], v[20:21], -v[7:8]
	v_add_co_u32_e64 v20, s[0:1], v5, v9
	v_addc_co_u32_e64 v21, s[0:1], v6, v10, s[0:1]
	v_cmp_ne_u32_e64 s[0:1], v4, v0
	v_cndmask_b32_e64 v10, 0, v3, s[0:1]
	v_cndmask_b32_e64 v9, 0, v2, s[0:1]
	global_store_dwordx4 v[20:21], v[7:10], off
.LBB1371_14:
	s_or_b64 exec, exec, s[2:3]
	v_add_u32_e32 v2, 16, v0
	v_cmp_le_i32_e64 s[2:3], v4, v2
	v_cmp_gt_i32_e64 s[0:1], s9, v2
	s_and_b64 s[2:3], s[2:3], s[0:1]
	s_and_saveexec_b64 s[4:5], s[2:3]
	s_cbranch_execz .LBB1371_16
; %bb.15:
	v_mul_f64 v[7:8], s[14:15], v[14:15]
	v_mul_f64 v[9:10], s[16:17], v[14:15]
	v_ashrrev_i32_e32 v3, 31, v2
	v_lshlrev_b64 v[20:21], 4, v[2:3]
	v_add_co_u32_e64 v5, s[2:3], v5, v20
	v_addc_co_u32_e64 v6, s[2:3], v6, v21, s[2:3]
	v_fma_f64 v[14:15], s[16:17], v[12:13], v[7:8]
	v_fma_f64 v[7:8], s[14:15], v[12:13], -v[9:10]
	v_cmp_ne_u32_e64 s[2:3], v4, v2
	v_cndmask_b32_e64 v10, 0, v15, s[2:3]
	v_cndmask_b32_e64 v9, 0, v14, s[2:3]
	global_store_dwordx4 v[5:6], v[7:10], off
.LBB1371_16:
	s_or_b64 exec, exec, s[4:5]
	v_add_u32_e32 v3, 16, v4
	v_ashrrev_i32_e32 v1, 31, v3
	v_mul_lo_u32 v7, s23, v3
	v_mad_u64_u32 v[5:6], s[2:3], s22, v3, 0
	v_mul_lo_u32 v1, s22, v1
	v_add3_u32 v6, v6, v1, v7
	v_lshlrev_b64 v[5:6], 4, v[5:6]
	v_mov_b32_e32 v1, s7
	v_add_co_u32_e64 v5, s[2:3], s6, v5
	v_addc_co_u32_e64 v6, s[2:3], v1, v6, s[2:3]
	v_cmp_le_i32_e64 s[2:3], v3, v0
	s_and_b64 s[4:5], s[2:3], vcc
	s_and_saveexec_b64 s[2:3], s[4:5]
	s_cbranch_execz .LBB1371_18
; %bb.17:
	v_mul_f64 v[7:8], s[14:15], v[18:19]
	v_mul_f64 v[9:10], s[16:17], v[18:19]
	v_ashrrev_i32_e32 v1, 31, v0
	v_lshlrev_b64 v[13:14], 4, v[0:1]
	v_add_co_u32_e32 v13, vcc, v5, v13
	v_addc_co_u32_e32 v14, vcc, v6, v14, vcc
	v_fma_f64 v[11:12], s[16:17], v[16:17], v[7:8]
	v_fma_f64 v[7:8], s[14:15], v[16:17], -v[9:10]
	v_cmp_ne_u32_e32 vcc, v3, v0
	v_cndmask_b32_e32 v10, 0, v12, vcc
	v_cndmask_b32_e32 v9, 0, v11, vcc
	global_store_dwordx4 v[13:14], v[7:10], off
.LBB1371_18:
	s_or_b64 exec, exec, s[2:3]
	v_cmp_le_i32_e32 vcc, v3, v2
	s_and_b64 s[0:1], vcc, s[0:1]
	s_and_saveexec_b64 s[2:3], s[0:1]
	s_cbranch_execz .LBB1371_20
; %bb.19:
	v_mul_f64 v[7:8], s[14:15], v[26:27]
	v_mul_f64 v[9:10], s[16:17], v[26:27]
	v_ashrrev_i32_e32 v3, 31, v2
	v_lshlrev_b64 v[11:12], 4, v[2:3]
	v_add_co_u32_e32 v5, vcc, v5, v11
	v_addc_co_u32_e32 v6, vcc, v6, v12, vcc
	v_fma_f64 v[7:8], s[16:17], v[24:25], v[7:8]
	v_fma_f64 v[1:2], s[14:15], v[24:25], -v[9:10]
	v_cmp_ne_u32_e32 vcc, v4, v0
	v_cndmask_b32_e32 v4, 0, v8, vcc
	v_cndmask_b32_e32 v3, 0, v7, vcc
	global_store_dwordx4 v[5:6], v[1:4], off
.LBB1371_20:
	s_endpgm
	.section	.rodata,"a",@progbits
	.p2align	6, 0x0
	.amdhsa_kernel _ZL34rocblas_syrkx_herkx_general_kernelIl19rocblas_complex_numIdELi16ELi32ELi8ELb1ELb1ELc84ELc76EKS1_S1_EviT_T0_PT8_S3_lS6_S3_lS4_PT9_S3_li
		.amdhsa_group_segment_fixed_size 8192
		.amdhsa_private_segment_fixed_size 0
		.amdhsa_kernarg_size 124
		.amdhsa_user_sgpr_count 6
		.amdhsa_user_sgpr_private_segment_buffer 1
		.amdhsa_user_sgpr_dispatch_ptr 0
		.amdhsa_user_sgpr_queue_ptr 0
		.amdhsa_user_sgpr_kernarg_segment_ptr 1
		.amdhsa_user_sgpr_dispatch_id 0
		.amdhsa_user_sgpr_flat_scratch_init 0
		.amdhsa_user_sgpr_private_segment_size 0
		.amdhsa_uses_dynamic_stack 0
		.amdhsa_system_sgpr_private_segment_wavefront_offset 0
		.amdhsa_system_sgpr_workgroup_id_x 1
		.amdhsa_system_sgpr_workgroup_id_y 1
		.amdhsa_system_sgpr_workgroup_id_z 1
		.amdhsa_system_sgpr_workgroup_info 0
		.amdhsa_system_vgpr_workitem_id 1
		.amdhsa_next_free_vgpr 58
		.amdhsa_next_free_sgpr 61
		.amdhsa_reserve_vcc 1
		.amdhsa_reserve_flat_scratch 0
		.amdhsa_float_round_mode_32 0
		.amdhsa_float_round_mode_16_64 0
		.amdhsa_float_denorm_mode_32 3
		.amdhsa_float_denorm_mode_16_64 3
		.amdhsa_dx10_clamp 1
		.amdhsa_ieee_mode 1
		.amdhsa_fp16_overflow 0
		.amdhsa_exception_fp_ieee_invalid_op 0
		.amdhsa_exception_fp_denorm_src 0
		.amdhsa_exception_fp_ieee_div_zero 0
		.amdhsa_exception_fp_ieee_overflow 0
		.amdhsa_exception_fp_ieee_underflow 0
		.amdhsa_exception_fp_ieee_inexact 0
		.amdhsa_exception_int_div_zero 0
	.end_amdhsa_kernel
	.section	.text._ZL34rocblas_syrkx_herkx_general_kernelIl19rocblas_complex_numIdELi16ELi32ELi8ELb1ELb1ELc84ELc76EKS1_S1_EviT_T0_PT8_S3_lS6_S3_lS4_PT9_S3_li,"axG",@progbits,_ZL34rocblas_syrkx_herkx_general_kernelIl19rocblas_complex_numIdELi16ELi32ELi8ELb1ELb1ELc84ELc76EKS1_S1_EviT_T0_PT8_S3_lS6_S3_lS4_PT9_S3_li,comdat
.Lfunc_end1371:
	.size	_ZL34rocblas_syrkx_herkx_general_kernelIl19rocblas_complex_numIdELi16ELi32ELi8ELb1ELb1ELc84ELc76EKS1_S1_EviT_T0_PT8_S3_lS6_S3_lS4_PT9_S3_li, .Lfunc_end1371-_ZL34rocblas_syrkx_herkx_general_kernelIl19rocblas_complex_numIdELi16ELi32ELi8ELb1ELb1ELc84ELc76EKS1_S1_EviT_T0_PT8_S3_lS6_S3_lS4_PT9_S3_li
                                        ; -- End function
	.set _ZL34rocblas_syrkx_herkx_general_kernelIl19rocblas_complex_numIdELi16ELi32ELi8ELb1ELb1ELc84ELc76EKS1_S1_EviT_T0_PT8_S3_lS6_S3_lS4_PT9_S3_li.num_vgpr, 58
	.set _ZL34rocblas_syrkx_herkx_general_kernelIl19rocblas_complex_numIdELi16ELi32ELi8ELb1ELb1ELc84ELc76EKS1_S1_EviT_T0_PT8_S3_lS6_S3_lS4_PT9_S3_li.num_agpr, 0
	.set _ZL34rocblas_syrkx_herkx_general_kernelIl19rocblas_complex_numIdELi16ELi32ELi8ELb1ELb1ELc84ELc76EKS1_S1_EviT_T0_PT8_S3_lS6_S3_lS4_PT9_S3_li.numbered_sgpr, 30
	.set _ZL34rocblas_syrkx_herkx_general_kernelIl19rocblas_complex_numIdELi16ELi32ELi8ELb1ELb1ELc84ELc76EKS1_S1_EviT_T0_PT8_S3_lS6_S3_lS4_PT9_S3_li.num_named_barrier, 0
	.set _ZL34rocblas_syrkx_herkx_general_kernelIl19rocblas_complex_numIdELi16ELi32ELi8ELb1ELb1ELc84ELc76EKS1_S1_EviT_T0_PT8_S3_lS6_S3_lS4_PT9_S3_li.private_seg_size, 0
	.set _ZL34rocblas_syrkx_herkx_general_kernelIl19rocblas_complex_numIdELi16ELi32ELi8ELb1ELb1ELc84ELc76EKS1_S1_EviT_T0_PT8_S3_lS6_S3_lS4_PT9_S3_li.uses_vcc, 1
	.set _ZL34rocblas_syrkx_herkx_general_kernelIl19rocblas_complex_numIdELi16ELi32ELi8ELb1ELb1ELc84ELc76EKS1_S1_EviT_T0_PT8_S3_lS6_S3_lS4_PT9_S3_li.uses_flat_scratch, 0
	.set _ZL34rocblas_syrkx_herkx_general_kernelIl19rocblas_complex_numIdELi16ELi32ELi8ELb1ELb1ELc84ELc76EKS1_S1_EviT_T0_PT8_S3_lS6_S3_lS4_PT9_S3_li.has_dyn_sized_stack, 0
	.set _ZL34rocblas_syrkx_herkx_general_kernelIl19rocblas_complex_numIdELi16ELi32ELi8ELb1ELb1ELc84ELc76EKS1_S1_EviT_T0_PT8_S3_lS6_S3_lS4_PT9_S3_li.has_recursion, 0
	.set _ZL34rocblas_syrkx_herkx_general_kernelIl19rocblas_complex_numIdELi16ELi32ELi8ELb1ELb1ELc84ELc76EKS1_S1_EviT_T0_PT8_S3_lS6_S3_lS4_PT9_S3_li.has_indirect_call, 0
	.section	.AMDGPU.csdata,"",@progbits
; Kernel info:
; codeLenInByte = 3280
; TotalNumSgprs: 34
; NumVgprs: 58
; ScratchSize: 0
; MemoryBound: 0
; FloatMode: 240
; IeeeMode: 1
; LDSByteSize: 8192 bytes/workgroup (compile time only)
; SGPRBlocks: 8
; VGPRBlocks: 14
; NumSGPRsForWavesPerEU: 65
; NumVGPRsForWavesPerEU: 58
; Occupancy: 4
; WaveLimiterHint : 0
; COMPUTE_PGM_RSRC2:SCRATCH_EN: 0
; COMPUTE_PGM_RSRC2:USER_SGPR: 6
; COMPUTE_PGM_RSRC2:TRAP_HANDLER: 0
; COMPUTE_PGM_RSRC2:TGID_X_EN: 1
; COMPUTE_PGM_RSRC2:TGID_Y_EN: 1
; COMPUTE_PGM_RSRC2:TGID_Z_EN: 1
; COMPUTE_PGM_RSRC2:TIDIG_COMP_CNT: 1
	.section	.text._ZL34rocblas_syrkx_herkx_general_kernelIl19rocblas_complex_numIdELi16ELi32ELi8ELb1ELb1ELc67ELc76EKS1_S1_EviT_T0_PT8_S3_lS6_S3_lS4_PT9_S3_li,"axG",@progbits,_ZL34rocblas_syrkx_herkx_general_kernelIl19rocblas_complex_numIdELi16ELi32ELi8ELb1ELb1ELc67ELc76EKS1_S1_EviT_T0_PT8_S3_lS6_S3_lS4_PT9_S3_li,comdat
	.globl	_ZL34rocblas_syrkx_herkx_general_kernelIl19rocblas_complex_numIdELi16ELi32ELi8ELb1ELb1ELc67ELc76EKS1_S1_EviT_T0_PT8_S3_lS6_S3_lS4_PT9_S3_li ; -- Begin function _ZL34rocblas_syrkx_herkx_general_kernelIl19rocblas_complex_numIdELi16ELi32ELi8ELb1ELb1ELc67ELc76EKS1_S1_EviT_T0_PT8_S3_lS6_S3_lS4_PT9_S3_li
	.p2align	8
	.type	_ZL34rocblas_syrkx_herkx_general_kernelIl19rocblas_complex_numIdELi16ELi32ELi8ELb1ELb1ELc67ELc76EKS1_S1_EviT_T0_PT8_S3_lS6_S3_lS4_PT9_S3_li,@function
_ZL34rocblas_syrkx_herkx_general_kernelIl19rocblas_complex_numIdELi16ELi32ELi8ELb1ELb1ELc67ELc76EKS1_S1_EviT_T0_PT8_S3_lS6_S3_lS4_PT9_S3_li: ; @_ZL34rocblas_syrkx_herkx_general_kernelIl19rocblas_complex_numIdELi16ELi32ELi8ELb1ELb1ELc67ELc76EKS1_S1_EviT_T0_PT8_S3_lS6_S3_lS4_PT9_S3_li
; %bb.0:
	s_load_dwordx16 s[12:27], s[4:5], 0x8
	s_load_dword s9, s[4:5], 0x0
	s_lshl_b32 s28, s6, 5
	s_lshl_b32 s29, s7, 5
	s_waitcnt lgkmcnt(0)
	v_cmp_lt_i64_e64 s[0:1], s[12:13], 1
	s_and_b64 vcc, exec, s[0:1]
	s_cbranch_vccnz .LBB1372_9
; %bb.1:
	v_lshl_add_u32 v2, v1, 4, v0
	v_and_b32_e32 v5, 31, v2
	v_or_b32_e32 v6, s28, v5
	v_and_b32_e32 v30, 7, v0
	v_lshrrev_b32_e32 v3, 3, v2
	v_lshrrev_b32_e32 v29, 5, v2
	v_cmp_gt_i32_e64 s[0:1], s9, v6
	v_lshlrev_b32_e32 v2, 4, v5
	v_lshlrev_b32_e32 v6, 4, v30
	v_lshl_or_b32 v31, v29, 9, v2
	v_lshl_or_b32 v2, v3, 7, v6
	v_add_u32_e32 v32, 0x1000, v2
	v_add_u32_e32 v2, s28, v5
	v_add_u32_e32 v4, s29, v3
	v_ashrrev_i32_e32 v3, 31, v2
	v_mul_lo_u32 v5, s20, v3
	v_mul_lo_u32 v8, s21, v2
	v_mad_u64_u32 v[2:3], s[2:3], s20, v2, 0
	s_mul_i32 s2, s23, s8
	s_mul_hi_u32 s3, s22, s8
	v_add3_u32 v3, v3, v5, v8
	v_lshlrev_b64 v[2:3], 4, v[2:3]
	s_add_i32 s3, s3, s2
	s_mul_i32 s2, s22, s8
	s_lshl_b64 s[2:3], s[2:3], 4
	v_mov_b32_e32 v5, s3
	v_add_co_u32_e64 v2, s[2:3], s2, v2
	v_addc_co_u32_e64 v3, s[2:3], v3, v5, s[2:3]
	v_lshlrev_b32_e32 v5, 4, v29
	v_add_co_u32_e64 v2, s[2:3], v2, v5
	v_addc_co_u32_e64 v3, s[2:3], 0, v3, s[2:3]
	s_load_dwordx2 s[6:7], s[4:5], 0x48
	v_ashrrev_i32_e32 v7, 31, v4
	v_mov_b32_e32 v9, 0x1000
	v_mov_b32_e32 v5, s19
	v_add_co_u32_e64 v8, s[2:3], s18, v2
	v_lshl_add_u32 v34, v1, 7, v9
	v_addc_co_u32_e64 v5, s[2:3], v5, v3, s[2:3]
	v_mul_lo_u32 v9, s26, v7
	v_mul_lo_u32 v10, s27, v4
	v_mad_u64_u32 v[2:3], s[2:3], s26, v4, 0
	v_add_co_u32_e64 v7, s[2:3], 8, v8
	v_addc_co_u32_e64 v8, s[2:3], 0, v5, s[2:3]
	v_add3_u32 v3, v3, v9, v10
	s_waitcnt lgkmcnt(0)
	s_mul_i32 s2, s7, s8
	s_mul_hi_u32 s3, s6, s8
	v_lshlrev_b64 v[2:3], 4, v[2:3]
	s_add_i32 s3, s3, s2
	s_mul_i32 s2, s6, s8
	s_lshl_b64 s[2:3], s[2:3], 4
	v_cmp_gt_i32_e32 vcc, s9, v4
	v_mov_b32_e32 v4, s3
	v_add_co_u32_e64 v2, s[2:3], s2, v2
	v_addc_co_u32_e64 v3, s[2:3], v3, v4, s[2:3]
	v_add_co_u32_e64 v2, s[2:3], v2, v6
	v_addc_co_u32_e64 v3, s[2:3], 0, v3, s[2:3]
	v_mov_b32_e32 v4, s25
	v_add_co_u32_e64 v9, s[2:3], s24, v2
	v_addc_co_u32_e64 v10, s[2:3], v4, v3, s[2:3]
	v_mov_b32_e32 v27, 0
	v_mov_b32_e32 v11, s12
	;; [unrolled: 1-line block ×9, first 2 shown]
	v_lshlrev_b32_e32 v33, 4, v0
	s_mov_b64 s[2:3], 0
	v_mov_b32_e32 v28, 0
	s_xor_b64 s[6:7], vcc, -1
	v_mov_b32_e32 v12, s13
	v_mov_b32_e32 v26, 0
	;; [unrolled: 1-line block ×9, first 2 shown]
	s_branch .LBB1372_3
.LBB1372_2:                             ;   in Loop: Header=BB1372_3 Depth=1
	s_or_b64 exec, exec, s[10:11]
	s_waitcnt lgkmcnt(0)
	s_barrier
	ds_read_b128 v[3:6], v34
	ds_read_b128 v[35:38], v34 offset:16
	ds_read_b128 v[39:42], v34 offset:32
	;; [unrolled: 1-line block ×3, first 2 shown]
	ds_read_b128 v[47:50], v33
	v_add_co_u32_e32 v7, vcc, 0x80, v7
	v_addc_co_u32_e32 v8, vcc, 0, v8, vcc
	s_waitcnt lgkmcnt(0)
	v_mul_f64 v[51:52], v[5:6], v[49:50]
	v_mul_f64 v[53:54], v[3:4], v[49:50]
	s_add_u32 s2, s2, 8
	v_add_co_u32_e32 v9, vcc, 0x80, v9
	s_addc_u32 s3, s3, 0
	v_addc_co_u32_e32 v10, vcc, 0, v10, vcc
	v_fma_f64 v[51:52], v[3:4], v[47:48], -v[51:52]
	v_fma_f64 v[53:54], v[5:6], v[47:48], v[53:54]
	v_cmp_ge_i64_e32 vcc, s[2:3], v[11:12]
	s_and_b64 vcc, exec, vcc
	v_add_f64 v[51:52], v[21:22], v[51:52]
	v_add_f64 v[53:54], v[53:54], v[23:24]
	ds_read_b128 v[21:24], v33 offset:256
	s_waitcnt lgkmcnt(0)
	v_mul_f64 v[55:56], v[5:6], v[23:24]
	v_fma_f64 v[55:56], v[3:4], v[21:22], -v[55:56]
	v_mul_f64 v[3:4], v[3:4], v[23:24]
	v_add_f64 v[55:56], v[13:14], v[55:56]
	v_fma_f64 v[3:4], v[5:6], v[21:22], v[3:4]
	v_add_f64 v[57:58], v[3:4], v[15:16]
	ds_read_b128 v[3:6], v34 offset:2048
	s_waitcnt lgkmcnt(0)
	v_mul_f64 v[13:14], v[5:6], v[49:50]
	v_mul_f64 v[15:16], v[3:4], v[49:50]
	v_fma_f64 v[13:14], v[3:4], v[47:48], -v[13:14]
	v_fma_f64 v[15:16], v[5:6], v[47:48], v[15:16]
	v_add_f64 v[47:48], v[17:18], v[13:14]
	v_mul_f64 v[13:14], v[5:6], v[23:24]
	v_add_f64 v[49:50], v[15:16], v[19:20]
	v_fma_f64 v[13:14], v[3:4], v[21:22], -v[13:14]
	v_mul_f64 v[3:4], v[3:4], v[23:24]
	v_fma_f64 v[3:4], v[5:6], v[21:22], v[3:4]
	v_add_f64 v[21:22], v[25:26], v[13:14]
	v_add_f64 v[23:24], v[3:4], v[27:28]
	ds_read_b128 v[3:6], v33 offset:512
	s_waitcnt lgkmcnt(0)
	v_mul_f64 v[13:14], v[37:38], v[5:6]
	v_mul_f64 v[15:16], v[35:36], v[5:6]
	v_fma_f64 v[13:14], v[35:36], v[3:4], -v[13:14]
	v_fma_f64 v[15:16], v[37:38], v[3:4], v[15:16]
	v_add_f64 v[25:26], v[51:52], v[13:14]
	v_add_f64 v[27:28], v[15:16], v[53:54]
	ds_read_b128 v[13:16], v33 offset:768
	s_waitcnt lgkmcnt(0)
	v_mul_f64 v[17:18], v[37:38], v[15:16]
	v_mul_f64 v[19:20], v[35:36], v[15:16]
	v_fma_f64 v[17:18], v[35:36], v[13:14], -v[17:18]
	;; [unrolled: 8-line block ×3, first 2 shown]
	v_fma_f64 v[3:4], v[19:20], v[3:4], v[5:6]
	v_mul_f64 v[5:6], v[17:18], v[15:16]
	v_add_f64 v[47:48], v[47:48], v[51:52]
	v_add_f64 v[49:50], v[3:4], v[49:50]
	v_mul_f64 v[3:4], v[19:20], v[15:16]
	v_fma_f64 v[5:6], v[19:20], v[13:14], v[5:6]
	v_fma_f64 v[3:4], v[17:18], v[13:14], -v[3:4]
	v_add_f64 v[23:24], v[5:6], v[23:24]
	v_add_f64 v[21:22], v[21:22], v[3:4]
	ds_read_b128 v[3:6], v33 offset:1024
	s_waitcnt lgkmcnt(0)
	v_mul_f64 v[13:14], v[41:42], v[5:6]
	v_mul_f64 v[15:16], v[39:40], v[5:6]
	v_fma_f64 v[13:14], v[39:40], v[3:4], -v[13:14]
	v_fma_f64 v[15:16], v[41:42], v[3:4], v[15:16]
	v_add_f64 v[25:26], v[25:26], v[13:14]
	v_add_f64 v[27:28], v[15:16], v[27:28]
	ds_read_b128 v[13:16], v33 offset:1280
	s_waitcnt lgkmcnt(0)
	v_mul_f64 v[17:18], v[41:42], v[15:16]
	v_mul_f64 v[19:20], v[39:40], v[15:16]
	v_fma_f64 v[17:18], v[39:40], v[13:14], -v[17:18]
	v_fma_f64 v[19:20], v[41:42], v[13:14], v[19:20]
	;; [unrolled: 8-line block ×3, first 2 shown]
	v_mul_f64 v[5:6], v[17:18], v[15:16]
	v_add_f64 v[39:40], v[47:48], v[39:40]
	v_add_f64 v[41:42], v[3:4], v[49:50]
	v_mul_f64 v[3:4], v[19:20], v[15:16]
	v_fma_f64 v[5:6], v[19:20], v[13:14], v[5:6]
	v_fma_f64 v[3:4], v[17:18], v[13:14], -v[3:4]
	v_add_f64 v[23:24], v[5:6], v[23:24]
	v_add_f64 v[21:22], v[21:22], v[3:4]
	ds_read_b128 v[3:6], v33 offset:1536
	s_waitcnt lgkmcnt(0)
	v_mul_f64 v[13:14], v[45:46], v[5:6]
	v_mul_f64 v[15:16], v[43:44], v[5:6]
	v_fma_f64 v[13:14], v[43:44], v[3:4], -v[13:14]
	v_fma_f64 v[15:16], v[45:46], v[3:4], v[15:16]
	v_add_f64 v[25:26], v[25:26], v[13:14]
	v_add_f64 v[27:28], v[15:16], v[27:28]
	ds_read_b128 v[13:16], v33 offset:1792
	s_waitcnt lgkmcnt(0)
	v_mul_f64 v[17:18], v[45:46], v[15:16]
	v_mul_f64 v[19:20], v[43:44], v[15:16]
	v_fma_f64 v[17:18], v[43:44], v[13:14], -v[17:18]
	v_fma_f64 v[19:20], v[45:46], v[13:14], v[19:20]
	;; [unrolled: 8-line block ×3, first 2 shown]
	v_mul_f64 v[5:6], v[17:18], v[15:16]
	v_add_f64 v[39:40], v[39:40], v[43:44]
	v_add_f64 v[41:42], v[3:4], v[41:42]
	v_mul_f64 v[3:4], v[19:20], v[15:16]
	v_fma_f64 v[5:6], v[19:20], v[13:14], v[5:6]
	v_fma_f64 v[3:4], v[17:18], v[13:14], -v[3:4]
	v_add_f64 v[23:24], v[5:6], v[23:24]
	v_add_f64 v[21:22], v[21:22], v[3:4]
	ds_read_b128 v[3:6], v34 offset:64
	ds_read_b128 v[13:16], v33 offset:2048
	s_waitcnt lgkmcnt(0)
	v_mul_f64 v[17:18], v[5:6], v[15:16]
	v_mul_f64 v[19:20], v[3:4], v[15:16]
	v_fma_f64 v[17:18], v[3:4], v[13:14], -v[17:18]
	v_fma_f64 v[19:20], v[5:6], v[13:14], v[19:20]
	v_add_f64 v[25:26], v[25:26], v[17:18]
	v_add_f64 v[27:28], v[19:20], v[27:28]
	ds_read_b128 v[17:20], v33 offset:2304
	s_waitcnt lgkmcnt(0)
	v_mul_f64 v[43:44], v[5:6], v[19:20]
	v_fma_f64 v[43:44], v[3:4], v[17:18], -v[43:44]
	v_mul_f64 v[3:4], v[3:4], v[19:20]
	v_add_f64 v[35:36], v[35:36], v[43:44]
	v_fma_f64 v[3:4], v[5:6], v[17:18], v[3:4]
	v_add_f64 v[37:38], v[3:4], v[37:38]
	ds_read_b128 v[3:6], v34 offset:2112
	s_waitcnt lgkmcnt(0)
	v_mul_f64 v[43:44], v[5:6], v[15:16]
	v_mul_f64 v[15:16], v[3:4], v[15:16]
	v_fma_f64 v[43:44], v[3:4], v[13:14], -v[43:44]
	v_fma_f64 v[13:14], v[5:6], v[13:14], v[15:16]
	v_add_f64 v[39:40], v[39:40], v[43:44]
	v_add_f64 v[41:42], v[13:14], v[41:42]
	v_mul_f64 v[13:14], v[5:6], v[19:20]
	v_fma_f64 v[13:14], v[3:4], v[17:18], -v[13:14]
	v_mul_f64 v[3:4], v[3:4], v[19:20]
	v_add_f64 v[21:22], v[21:22], v[13:14]
	v_fma_f64 v[3:4], v[5:6], v[17:18], v[3:4]
	v_add_f64 v[23:24], v[3:4], v[23:24]
	ds_read_b128 v[3:6], v34 offset:80
	ds_read_b128 v[13:16], v33 offset:2560
	s_waitcnt lgkmcnt(0)
	v_mul_f64 v[17:18], v[5:6], v[15:16]
	v_mul_f64 v[19:20], v[3:4], v[15:16]
	v_fma_f64 v[17:18], v[3:4], v[13:14], -v[17:18]
	v_fma_f64 v[19:20], v[5:6], v[13:14], v[19:20]
	v_add_f64 v[25:26], v[25:26], v[17:18]
	v_add_f64 v[27:28], v[19:20], v[27:28]
	ds_read_b128 v[17:20], v33 offset:2816
	s_waitcnt lgkmcnt(0)
	v_mul_f64 v[43:44], v[5:6], v[19:20]
	v_fma_f64 v[43:44], v[3:4], v[17:18], -v[43:44]
	v_mul_f64 v[3:4], v[3:4], v[19:20]
	v_add_f64 v[35:36], v[35:36], v[43:44]
	v_fma_f64 v[3:4], v[5:6], v[17:18], v[3:4]
	v_add_f64 v[37:38], v[3:4], v[37:38]
	ds_read_b128 v[3:6], v34 offset:2128
	s_waitcnt lgkmcnt(0)
	v_mul_f64 v[43:44], v[5:6], v[15:16]
	v_mul_f64 v[15:16], v[3:4], v[15:16]
	v_fma_f64 v[43:44], v[3:4], v[13:14], -v[43:44]
	v_fma_f64 v[13:14], v[5:6], v[13:14], v[15:16]
	v_add_f64 v[39:40], v[39:40], v[43:44]
	v_add_f64 v[41:42], v[13:14], v[41:42]
	v_mul_f64 v[13:14], v[5:6], v[19:20]
	v_fma_f64 v[13:14], v[3:4], v[17:18], -v[13:14]
	v_mul_f64 v[3:4], v[3:4], v[19:20]
	v_add_f64 v[21:22], v[21:22], v[13:14]
	v_fma_f64 v[3:4], v[5:6], v[17:18], v[3:4]
	;; [unrolled: 31-line block ×3, first 2 shown]
	v_add_f64 v[45:46], v[3:4], v[23:24]
	ds_read_b128 v[3:6], v34 offset:112
	ds_read_b128 v[17:20], v33 offset:3584
	s_waitcnt lgkmcnt(0)
	v_mul_f64 v[13:14], v[5:6], v[19:20]
	v_mul_f64 v[15:16], v[3:4], v[19:20]
	v_fma_f64 v[13:14], v[3:4], v[17:18], -v[13:14]
	v_fma_f64 v[15:16], v[5:6], v[17:18], v[15:16]
	v_add_f64 v[21:22], v[25:26], v[13:14]
	v_add_f64 v[23:24], v[15:16], v[27:28]
	ds_read_b128 v[25:28], v33 offset:3840
	s_waitcnt lgkmcnt(0)
	v_mul_f64 v[13:14], v[5:6], v[27:28]
	v_fma_f64 v[13:14], v[3:4], v[25:26], -v[13:14]
	v_mul_f64 v[3:4], v[3:4], v[27:28]
	v_add_f64 v[13:14], v[35:36], v[13:14]
	v_fma_f64 v[3:4], v[5:6], v[25:26], v[3:4]
	v_add_f64 v[15:16], v[3:4], v[37:38]
	ds_read_b128 v[3:6], v34 offset:2160
	s_waitcnt lgkmcnt(0)
	s_barrier
	v_mul_f64 v[35:36], v[5:6], v[19:20]
	v_mul_f64 v[19:20], v[3:4], v[19:20]
	v_fma_f64 v[35:36], v[3:4], v[17:18], -v[35:36]
	v_fma_f64 v[19:20], v[5:6], v[17:18], v[19:20]
	v_add_f64 v[17:18], v[39:40], v[35:36]
	v_mul_f64 v[35:36], v[5:6], v[27:28]
	v_add_f64 v[19:20], v[19:20], v[41:42]
	v_fma_f64 v[35:36], v[3:4], v[25:26], -v[35:36]
	v_mul_f64 v[3:4], v[3:4], v[27:28]
	v_fma_f64 v[3:4], v[5:6], v[25:26], v[3:4]
	v_add_f64 v[25:26], v[43:44], v[35:36]
	v_add_f64 v[27:28], v[3:4], v[45:46]
	s_cbranch_vccnz .LBB1372_10
.LBB1372_3:                             ; =>This Inner Loop Header: Depth=1
	v_mov_b32_e32 v4, s3
	v_add_co_u32_e32 v3, vcc, s2, v29
	v_addc_co_u32_e32 v4, vcc, 0, v4, vcc
	v_cmp_gt_i64_e32 vcc, s[12:13], v[3:4]
	v_mov_b32_e32 v3, 0
	v_mov_b32_e32 v5, 0
	;; [unrolled: 1-line block ×4, first 2 shown]
	s_and_b64 s[18:19], s[0:1], vcc
	s_and_saveexec_b64 s[10:11], s[18:19]
	s_cbranch_execz .LBB1372_5
; %bb.4:                                ;   in Loop: Header=BB1372_3 Depth=1
	global_load_dwordx4 v[3:6], v[7:8], off offset:-8
	s_waitcnt vmcnt(0)
	v_xor_b32_e32 v6, 0x80000000, v6
.LBB1372_5:                             ;   in Loop: Header=BB1372_3 Depth=1
	s_or_b64 exec, exec, s[10:11]
	v_mov_b32_e32 v36, s3
	v_add_co_u32_e32 v35, vcc, s2, v30
	v_addc_co_u32_e32 v36, vcc, 0, v36, vcc
	v_cmp_le_i64_e32 vcc, s[12:13], v[35:36]
	ds_write_b128 v31, v[3:6]
	s_or_b64 s[10:11], vcc, s[6:7]
	s_and_saveexec_b64 s[18:19], s[10:11]
	s_xor_b64 s[10:11], exec, s[18:19]
; %bb.6:                                ;   in Loop: Header=BB1372_3 Depth=1
	v_mov_b32_e32 v3, v2
	v_mov_b32_e32 v4, v2
	;; [unrolled: 1-line block ×3, first 2 shown]
	ds_write_b128 v32, v[2:5]
; %bb.7:                                ;   in Loop: Header=BB1372_3 Depth=1
	s_andn2_saveexec_b64 s[10:11], s[10:11]
	s_cbranch_execz .LBB1372_2
; %bb.8:                                ;   in Loop: Header=BB1372_3 Depth=1
	global_load_dwordx4 v[3:6], v[9:10], off
	s_waitcnt vmcnt(0)
	ds_write2_b64 v32, v[3:4], v[5:6] offset1:1
	s_branch .LBB1372_2
.LBB1372_9:
	v_mov_b32_e32 v21, 0
	v_mov_b32_e32 v23, 0
	;; [unrolled: 1-line block ×16, first 2 shown]
.LBB1372_10:
	s_load_dwordx2 s[0:1], s[4:5], 0x70
	s_load_dwordx4 s[20:23], s[4:5], 0x60
	v_add_u32_e32 v4, s29, v1
	v_ashrrev_i32_e32 v1, 31, v4
	v_add_u32_e32 v0, s28, v0
	s_waitcnt lgkmcnt(0)
	s_mul_i32 s1, s1, s8
	s_mul_hi_u32 s2, s0, s8
	s_add_i32 s1, s2, s1
	v_mul_lo_u32 v3, s22, v1
	v_mul_lo_u32 v5, s23, v4
	v_mad_u64_u32 v[1:2], s[2:3], s22, v4, 0
	s_mul_i32 s0, s0, s8
	s_lshl_b64 s[0:1], s[0:1], 4
	v_add3_u32 v2, v2, v3, v5
	s_add_u32 s6, s20, s0
	v_lshlrev_b64 v[1:2], 4, v[1:2]
	s_addc_u32 s7, s21, s1
	v_mov_b32_e32 v3, s7
	v_add_co_u32_e32 v5, vcc, s6, v1
	v_addc_co_u32_e32 v6, vcc, v3, v2, vcc
	v_cmp_le_i32_e64 s[0:1], v4, v0
	v_cmp_gt_i32_e32 vcc, s9, v0
	s_and_b64 s[0:1], s[0:1], vcc
	s_and_saveexec_b64 s[2:3], s[0:1]
	s_cbranch_execz .LBB1372_12
; %bb.11:
	v_mul_f64 v[2:3], s[14:15], v[23:24]
	v_mul_f64 v[7:8], s[16:17], v[23:24]
	v_ashrrev_i32_e32 v1, 31, v0
	v_lshlrev_b64 v[9:10], 4, v[0:1]
	v_add_co_u32_e64 v11, s[0:1], v5, v9
	v_addc_co_u32_e64 v12, s[0:1], v6, v10, s[0:1]
	v_fma_f64 v[2:3], s[16:17], v[21:22], v[2:3]
	v_fma_f64 v[7:8], s[14:15], v[21:22], -v[7:8]
	v_cmp_ne_u32_e64 s[0:1], v4, v0
	v_cndmask_b32_e64 v10, 0, v3, s[0:1]
	v_cndmask_b32_e64 v9, 0, v2, s[0:1]
	global_store_dwordx4 v[11:12], v[7:10], off
.LBB1372_12:
	s_or_b64 exec, exec, s[2:3]
	v_add_u32_e32 v2, 16, v0
	v_cmp_le_i32_e64 s[2:3], v4, v2
	v_cmp_gt_i32_e64 s[0:1], s9, v2
	s_and_b64 s[2:3], s[2:3], s[0:1]
	s_and_saveexec_b64 s[4:5], s[2:3]
	s_cbranch_execz .LBB1372_14
; %bb.13:
	v_mul_f64 v[7:8], s[14:15], v[15:16]
	v_mul_f64 v[9:10], s[16:17], v[15:16]
	v_ashrrev_i32_e32 v3, 31, v2
	v_lshlrev_b64 v[15:16], 4, v[2:3]
	v_add_co_u32_e64 v5, s[2:3], v5, v15
	v_addc_co_u32_e64 v6, s[2:3], v6, v16, s[2:3]
	v_fma_f64 v[11:12], s[16:17], v[13:14], v[7:8]
	v_fma_f64 v[7:8], s[14:15], v[13:14], -v[9:10]
	v_cmp_ne_u32_e64 s[2:3], v4, v2
	v_cndmask_b32_e64 v10, 0, v12, s[2:3]
	v_cndmask_b32_e64 v9, 0, v11, s[2:3]
	global_store_dwordx4 v[5:6], v[7:10], off
.LBB1372_14:
	s_or_b64 exec, exec, s[4:5]
	v_add_u32_e32 v3, 16, v4
	v_ashrrev_i32_e32 v1, 31, v3
	v_mul_lo_u32 v7, s23, v3
	v_mad_u64_u32 v[5:6], s[2:3], s22, v3, 0
	v_mul_lo_u32 v1, s22, v1
	v_add3_u32 v6, v6, v1, v7
	v_lshlrev_b64 v[5:6], 4, v[5:6]
	v_mov_b32_e32 v1, s7
	v_add_co_u32_e64 v5, s[2:3], s6, v5
	v_addc_co_u32_e64 v6, s[2:3], v1, v6, s[2:3]
	v_cmp_le_i32_e64 s[2:3], v3, v0
	s_and_b64 s[4:5], s[2:3], vcc
	s_and_saveexec_b64 s[2:3], s[4:5]
	s_cbranch_execz .LBB1372_16
; %bb.15:
	v_mul_f64 v[7:8], s[14:15], v[19:20]
	v_mul_f64 v[9:10], s[16:17], v[19:20]
	v_ashrrev_i32_e32 v1, 31, v0
	v_lshlrev_b64 v[13:14], 4, v[0:1]
	v_add_co_u32_e32 v13, vcc, v5, v13
	v_addc_co_u32_e32 v14, vcc, v6, v14, vcc
	v_fma_f64 v[11:12], s[16:17], v[17:18], v[7:8]
	v_fma_f64 v[7:8], s[14:15], v[17:18], -v[9:10]
	v_cmp_ne_u32_e32 vcc, v3, v0
	v_cndmask_b32_e32 v10, 0, v12, vcc
	v_cndmask_b32_e32 v9, 0, v11, vcc
	global_store_dwordx4 v[13:14], v[7:10], off
.LBB1372_16:
	s_or_b64 exec, exec, s[2:3]
	v_cmp_le_i32_e32 vcc, v3, v2
	s_and_b64 s[0:1], vcc, s[0:1]
	s_and_saveexec_b64 s[2:3], s[0:1]
	s_cbranch_execz .LBB1372_18
; %bb.17:
	v_mul_f64 v[7:8], s[14:15], v[27:28]
	v_mul_f64 v[9:10], s[16:17], v[27:28]
	v_ashrrev_i32_e32 v3, 31, v2
	v_lshlrev_b64 v[11:12], 4, v[2:3]
	v_add_co_u32_e32 v5, vcc, v5, v11
	v_addc_co_u32_e32 v6, vcc, v6, v12, vcc
	v_fma_f64 v[7:8], s[16:17], v[25:26], v[7:8]
	v_fma_f64 v[1:2], s[14:15], v[25:26], -v[9:10]
	v_cmp_ne_u32_e32 vcc, v4, v0
	v_cndmask_b32_e32 v4, 0, v8, vcc
	v_cndmask_b32_e32 v3, 0, v7, vcc
	global_store_dwordx4 v[5:6], v[1:4], off
.LBB1372_18:
	s_endpgm
	.section	.rodata,"a",@progbits
	.p2align	6, 0x0
	.amdhsa_kernel _ZL34rocblas_syrkx_herkx_general_kernelIl19rocblas_complex_numIdELi16ELi32ELi8ELb1ELb1ELc67ELc76EKS1_S1_EviT_T0_PT8_S3_lS6_S3_lS4_PT9_S3_li
		.amdhsa_group_segment_fixed_size 8192
		.amdhsa_private_segment_fixed_size 0
		.amdhsa_kernarg_size 124
		.amdhsa_user_sgpr_count 6
		.amdhsa_user_sgpr_private_segment_buffer 1
		.amdhsa_user_sgpr_dispatch_ptr 0
		.amdhsa_user_sgpr_queue_ptr 0
		.amdhsa_user_sgpr_kernarg_segment_ptr 1
		.amdhsa_user_sgpr_dispatch_id 0
		.amdhsa_user_sgpr_flat_scratch_init 0
		.amdhsa_user_sgpr_private_segment_size 0
		.amdhsa_uses_dynamic_stack 0
		.amdhsa_system_sgpr_private_segment_wavefront_offset 0
		.amdhsa_system_sgpr_workgroup_id_x 1
		.amdhsa_system_sgpr_workgroup_id_y 1
		.amdhsa_system_sgpr_workgroup_id_z 1
		.amdhsa_system_sgpr_workgroup_info 0
		.amdhsa_system_vgpr_workitem_id 1
		.amdhsa_next_free_vgpr 59
		.amdhsa_next_free_sgpr 61
		.amdhsa_reserve_vcc 1
		.amdhsa_reserve_flat_scratch 0
		.amdhsa_float_round_mode_32 0
		.amdhsa_float_round_mode_16_64 0
		.amdhsa_float_denorm_mode_32 3
		.amdhsa_float_denorm_mode_16_64 3
		.amdhsa_dx10_clamp 1
		.amdhsa_ieee_mode 1
		.amdhsa_fp16_overflow 0
		.amdhsa_exception_fp_ieee_invalid_op 0
		.amdhsa_exception_fp_denorm_src 0
		.amdhsa_exception_fp_ieee_div_zero 0
		.amdhsa_exception_fp_ieee_overflow 0
		.amdhsa_exception_fp_ieee_underflow 0
		.amdhsa_exception_fp_ieee_inexact 0
		.amdhsa_exception_int_div_zero 0
	.end_amdhsa_kernel
	.section	.text._ZL34rocblas_syrkx_herkx_general_kernelIl19rocblas_complex_numIdELi16ELi32ELi8ELb1ELb1ELc67ELc76EKS1_S1_EviT_T0_PT8_S3_lS6_S3_lS4_PT9_S3_li,"axG",@progbits,_ZL34rocblas_syrkx_herkx_general_kernelIl19rocblas_complex_numIdELi16ELi32ELi8ELb1ELb1ELc67ELc76EKS1_S1_EviT_T0_PT8_S3_lS6_S3_lS4_PT9_S3_li,comdat
.Lfunc_end1372:
	.size	_ZL34rocblas_syrkx_herkx_general_kernelIl19rocblas_complex_numIdELi16ELi32ELi8ELb1ELb1ELc67ELc76EKS1_S1_EviT_T0_PT8_S3_lS6_S3_lS4_PT9_S3_li, .Lfunc_end1372-_ZL34rocblas_syrkx_herkx_general_kernelIl19rocblas_complex_numIdELi16ELi32ELi8ELb1ELb1ELc67ELc76EKS1_S1_EviT_T0_PT8_S3_lS6_S3_lS4_PT9_S3_li
                                        ; -- End function
	.set _ZL34rocblas_syrkx_herkx_general_kernelIl19rocblas_complex_numIdELi16ELi32ELi8ELb1ELb1ELc67ELc76EKS1_S1_EviT_T0_PT8_S3_lS6_S3_lS4_PT9_S3_li.num_vgpr, 59
	.set _ZL34rocblas_syrkx_herkx_general_kernelIl19rocblas_complex_numIdELi16ELi32ELi8ELb1ELb1ELc67ELc76EKS1_S1_EviT_T0_PT8_S3_lS6_S3_lS4_PT9_S3_li.num_agpr, 0
	.set _ZL34rocblas_syrkx_herkx_general_kernelIl19rocblas_complex_numIdELi16ELi32ELi8ELb1ELb1ELc67ELc76EKS1_S1_EviT_T0_PT8_S3_lS6_S3_lS4_PT9_S3_li.numbered_sgpr, 30
	.set _ZL34rocblas_syrkx_herkx_general_kernelIl19rocblas_complex_numIdELi16ELi32ELi8ELb1ELb1ELc67ELc76EKS1_S1_EviT_T0_PT8_S3_lS6_S3_lS4_PT9_S3_li.num_named_barrier, 0
	.set _ZL34rocblas_syrkx_herkx_general_kernelIl19rocblas_complex_numIdELi16ELi32ELi8ELb1ELb1ELc67ELc76EKS1_S1_EviT_T0_PT8_S3_lS6_S3_lS4_PT9_S3_li.private_seg_size, 0
	.set _ZL34rocblas_syrkx_herkx_general_kernelIl19rocblas_complex_numIdELi16ELi32ELi8ELb1ELb1ELc67ELc76EKS1_S1_EviT_T0_PT8_S3_lS6_S3_lS4_PT9_S3_li.uses_vcc, 1
	.set _ZL34rocblas_syrkx_herkx_general_kernelIl19rocblas_complex_numIdELi16ELi32ELi8ELb1ELb1ELc67ELc76EKS1_S1_EviT_T0_PT8_S3_lS6_S3_lS4_PT9_S3_li.uses_flat_scratch, 0
	.set _ZL34rocblas_syrkx_herkx_general_kernelIl19rocblas_complex_numIdELi16ELi32ELi8ELb1ELb1ELc67ELc76EKS1_S1_EviT_T0_PT8_S3_lS6_S3_lS4_PT9_S3_li.has_dyn_sized_stack, 0
	.set _ZL34rocblas_syrkx_herkx_general_kernelIl19rocblas_complex_numIdELi16ELi32ELi8ELb1ELb1ELc67ELc76EKS1_S1_EviT_T0_PT8_S3_lS6_S3_lS4_PT9_S3_li.has_recursion, 0
	.set _ZL34rocblas_syrkx_herkx_general_kernelIl19rocblas_complex_numIdELi16ELi32ELi8ELb1ELb1ELc67ELc76EKS1_S1_EviT_T0_PT8_S3_lS6_S3_lS4_PT9_S3_li.has_indirect_call, 0
	.section	.AMDGPU.csdata,"",@progbits
; Kernel info:
; codeLenInByte = 3288
; TotalNumSgprs: 34
; NumVgprs: 59
; ScratchSize: 0
; MemoryBound: 1
; FloatMode: 240
; IeeeMode: 1
; LDSByteSize: 8192 bytes/workgroup (compile time only)
; SGPRBlocks: 8
; VGPRBlocks: 14
; NumSGPRsForWavesPerEU: 65
; NumVGPRsForWavesPerEU: 59
; Occupancy: 4
; WaveLimiterHint : 0
; COMPUTE_PGM_RSRC2:SCRATCH_EN: 0
; COMPUTE_PGM_RSRC2:USER_SGPR: 6
; COMPUTE_PGM_RSRC2:TRAP_HANDLER: 0
; COMPUTE_PGM_RSRC2:TGID_X_EN: 1
; COMPUTE_PGM_RSRC2:TGID_Y_EN: 1
; COMPUTE_PGM_RSRC2:TGID_Z_EN: 1
; COMPUTE_PGM_RSRC2:TIDIG_COMP_CNT: 1
	.section	.text._ZL34rocblas_syrkx_herkx_general_kernelIl19rocblas_complex_numIdELi16ELi32ELi8ELb1ELb1ELc78ELc76EKS1_S1_EviT_T0_PT8_S3_lS6_S3_lS4_PT9_S3_li,"axG",@progbits,_ZL34rocblas_syrkx_herkx_general_kernelIl19rocblas_complex_numIdELi16ELi32ELi8ELb1ELb1ELc78ELc76EKS1_S1_EviT_T0_PT8_S3_lS6_S3_lS4_PT9_S3_li,comdat
	.globl	_ZL34rocblas_syrkx_herkx_general_kernelIl19rocblas_complex_numIdELi16ELi32ELi8ELb1ELb1ELc78ELc76EKS1_S1_EviT_T0_PT8_S3_lS6_S3_lS4_PT9_S3_li ; -- Begin function _ZL34rocblas_syrkx_herkx_general_kernelIl19rocblas_complex_numIdELi16ELi32ELi8ELb1ELb1ELc78ELc76EKS1_S1_EviT_T0_PT8_S3_lS6_S3_lS4_PT9_S3_li
	.p2align	8
	.type	_ZL34rocblas_syrkx_herkx_general_kernelIl19rocblas_complex_numIdELi16ELi32ELi8ELb1ELb1ELc78ELc76EKS1_S1_EviT_T0_PT8_S3_lS6_S3_lS4_PT9_S3_li,@function
_ZL34rocblas_syrkx_herkx_general_kernelIl19rocblas_complex_numIdELi16ELi32ELi8ELb1ELb1ELc78ELc76EKS1_S1_EviT_T0_PT8_S3_lS6_S3_lS4_PT9_S3_li: ; @_ZL34rocblas_syrkx_herkx_general_kernelIl19rocblas_complex_numIdELi16ELi32ELi8ELb1ELb1ELc78ELc76EKS1_S1_EviT_T0_PT8_S3_lS6_S3_lS4_PT9_S3_li
; %bb.0:
	s_load_dwordx16 s[12:27], s[4:5], 0x8
	s_load_dword s9, s[4:5], 0x0
	s_lshl_b32 s28, s6, 5
	s_lshl_b32 s29, s7, 5
	s_waitcnt lgkmcnt(0)
	v_cmp_lt_i64_e64 s[0:1], s[12:13], 1
	s_and_b64 vcc, exec, s[0:1]
	s_cbranch_vccnz .LBB1373_9
; %bb.1:
	v_lshl_add_u32 v3, v1, 4, v0
	v_and_b32_e32 v7, 31, v3
	v_or_b32_e32 v4, s28, v7
	v_lshrrev_b32_e32 v29, 5, v3
	v_cmp_gt_i32_e32 vcc, s9, v4
	v_mad_u64_u32 v[4:5], s[2:3], s20, v29, 0
	v_lshrrev_b32_e32 v6, 3, v3
	v_and_b32_e32 v30, 7, v0
	v_lshlrev_b32_e32 v3, 4, v7
	v_lshl_or_b32 v31, v29, 9, v3
	v_lshlrev_b32_e32 v3, 4, v30
	v_add_u32_e32 v2, s29, v6
	v_lshl_or_b32 v3, v6, 7, v3
	v_mad_u64_u32 v[5:6], s[2:3], s21, v29, v[5:6]
	s_mul_i32 s2, s23, s8
	s_mul_hi_u32 s3, s22, s8
	v_lshlrev_b64 v[4:5], 4, v[4:5]
	s_add_i32 s3, s3, s2
	s_mul_i32 s2, s22, s8
	v_mov_b32_e32 v6, 0x1000
	s_lshl_b64 s[2:3], s[2:3], 4
	v_lshl_add_u32 v34, v1, 7, v6
	v_mov_b32_e32 v6, s3
	v_add_co_u32_e64 v8, s[2:3], s2, v4
	v_add_u32_e32 v4, s28, v7
	v_addc_co_u32_e64 v6, s[2:3], v5, v6, s[2:3]
	v_ashrrev_i32_e32 v5, 31, v4
	v_lshlrev_b64 v[4:5], 4, v[4:5]
	s_load_dwordx2 s[10:11], s[4:5], 0x48
	v_add_co_u32_e64 v4, s[2:3], v8, v4
	v_addc_co_u32_e64 v5, s[2:3], v6, v5, s[2:3]
	v_mov_b32_e32 v6, s19
	v_add_co_u32_e64 v7, s[2:3], s18, v4
	v_addc_co_u32_e64 v8, s[2:3], v6, v5, s[2:3]
	v_mad_u64_u32 v[4:5], s[2:3], s26, v30, 0
	s_waitcnt lgkmcnt(0)
	s_mul_i32 s11, s11, s8
	s_mul_hi_u32 s18, s10, s8
	v_mad_u64_u32 v[5:6], s[2:3], s27, v30, v[5:6]
	s_add_i32 s3, s18, s11
	s_mul_i32 s2, s10, s8
	v_lshlrev_b64 v[4:5], 4, v[4:5]
	v_add_u32_e32 v32, 0x1000, v3
	v_ashrrev_i32_e32 v3, 31, v2
	s_lshl_b64 s[2:3], s[2:3], 4
	v_cmp_gt_i32_e64 s[0:1], s9, v2
	v_mov_b32_e32 v6, s3
	v_add_co_u32_e64 v4, s[2:3], s2, v4
	v_lshlrev_b64 v[2:3], 4, v[2:3]
	v_addc_co_u32_e64 v5, s[2:3], v6, v5, s[2:3]
	v_add_co_u32_e64 v2, s[2:3], v4, v2
	v_addc_co_u32_e64 v3, s[2:3], v5, v3, s[2:3]
	v_mov_b32_e32 v4, s25
	v_add_co_u32_e64 v2, s[2:3], s24, v2
	v_addc_co_u32_e64 v3, s[2:3], v4, v3, s[2:3]
	v_add_co_u32_e64 v9, s[2:3], 8, v2
	v_addc_co_u32_e64 v10, s[2:3], 0, v3, s[2:3]
	s_lshl_b64 s[6:7], s[20:21], 7
	s_lshl_b64 s[2:3], s[26:27], 7
	v_mov_b32_e32 v27, 0
	v_mov_b32_e32 v11, s12
	;; [unrolled: 1-line block ×9, first 2 shown]
	v_lshlrev_b32_e32 v33, 4, v0
	s_mov_b64 s[10:11], 0
	v_mov_b32_e32 v28, 0
	s_xor_b64 s[18:19], vcc, -1
	v_mov_b32_e32 v35, s7
	v_mov_b32_e32 v36, s3
	;; [unrolled: 1-line block ×11, first 2 shown]
	s_branch .LBB1373_3
.LBB1373_2:                             ;   in Loop: Header=BB1373_3 Depth=1
	s_or_b64 exec, exec, s[20:21]
	ds_write_b128 v32, v[3:6]
	s_waitcnt lgkmcnt(0)
	s_barrier
	ds_read_b128 v[3:6], v34
	ds_read_b128 v[37:40], v34 offset:16
	ds_read_b128 v[41:44], v34 offset:32
	ds_read_b128 v[45:48], v34 offset:48
	ds_read_b128 v[49:52], v33
	v_add_co_u32_e32 v7, vcc, s6, v7
	v_addc_co_u32_e32 v8, vcc, v8, v35, vcc
	s_waitcnt lgkmcnt(0)
	v_mul_f64 v[53:54], v[5:6], v[51:52]
	v_mul_f64 v[55:56], v[3:4], v[51:52]
	s_add_u32 s10, s10, 8
	v_add_co_u32_e32 v9, vcc, s2, v9
	s_addc_u32 s11, s11, 0
	v_addc_co_u32_e32 v10, vcc, v10, v36, vcc
	v_fma_f64 v[53:54], v[3:4], v[49:50], -v[53:54]
	v_fma_f64 v[55:56], v[5:6], v[49:50], v[55:56]
	v_cmp_ge_i64_e32 vcc, s[10:11], v[11:12]
	s_and_b64 vcc, exec, vcc
	v_add_f64 v[53:54], v[21:22], v[53:54]
	v_add_f64 v[55:56], v[55:56], v[23:24]
	ds_read_b128 v[21:24], v33 offset:256
	s_waitcnt lgkmcnt(0)
	v_mul_f64 v[57:58], v[5:6], v[23:24]
	v_fma_f64 v[57:58], v[3:4], v[21:22], -v[57:58]
	v_mul_f64 v[3:4], v[3:4], v[23:24]
	v_add_f64 v[57:58], v[13:14], v[57:58]
	v_fma_f64 v[3:4], v[5:6], v[21:22], v[3:4]
	v_add_f64 v[59:60], v[3:4], v[15:16]
	ds_read_b128 v[3:6], v34 offset:2048
	s_waitcnt lgkmcnt(0)
	v_mul_f64 v[13:14], v[5:6], v[51:52]
	v_mul_f64 v[15:16], v[3:4], v[51:52]
	v_fma_f64 v[13:14], v[3:4], v[49:50], -v[13:14]
	v_fma_f64 v[15:16], v[5:6], v[49:50], v[15:16]
	v_add_f64 v[49:50], v[17:18], v[13:14]
	v_mul_f64 v[13:14], v[5:6], v[23:24]
	v_add_f64 v[51:52], v[15:16], v[19:20]
	v_fma_f64 v[13:14], v[3:4], v[21:22], -v[13:14]
	v_mul_f64 v[3:4], v[3:4], v[23:24]
	v_fma_f64 v[3:4], v[5:6], v[21:22], v[3:4]
	v_add_f64 v[21:22], v[25:26], v[13:14]
	v_add_f64 v[23:24], v[3:4], v[27:28]
	ds_read_b128 v[3:6], v33 offset:512
	s_waitcnt lgkmcnt(0)
	v_mul_f64 v[13:14], v[39:40], v[5:6]
	v_mul_f64 v[15:16], v[37:38], v[5:6]
	v_fma_f64 v[13:14], v[37:38], v[3:4], -v[13:14]
	v_fma_f64 v[15:16], v[39:40], v[3:4], v[15:16]
	v_add_f64 v[25:26], v[53:54], v[13:14]
	v_add_f64 v[27:28], v[15:16], v[55:56]
	ds_read_b128 v[13:16], v33 offset:768
	s_waitcnt lgkmcnt(0)
	v_mul_f64 v[17:18], v[39:40], v[15:16]
	v_mul_f64 v[19:20], v[37:38], v[15:16]
	v_fma_f64 v[17:18], v[37:38], v[13:14], -v[17:18]
	;; [unrolled: 8-line block ×3, first 2 shown]
	v_fma_f64 v[3:4], v[19:20], v[3:4], v[5:6]
	v_mul_f64 v[5:6], v[17:18], v[15:16]
	v_add_f64 v[49:50], v[49:50], v[53:54]
	v_add_f64 v[51:52], v[3:4], v[51:52]
	v_mul_f64 v[3:4], v[19:20], v[15:16]
	v_fma_f64 v[5:6], v[19:20], v[13:14], v[5:6]
	v_fma_f64 v[3:4], v[17:18], v[13:14], -v[3:4]
	v_add_f64 v[23:24], v[5:6], v[23:24]
	v_add_f64 v[21:22], v[21:22], v[3:4]
	ds_read_b128 v[3:6], v33 offset:1024
	s_waitcnt lgkmcnt(0)
	v_mul_f64 v[13:14], v[43:44], v[5:6]
	v_mul_f64 v[15:16], v[41:42], v[5:6]
	v_fma_f64 v[13:14], v[41:42], v[3:4], -v[13:14]
	v_fma_f64 v[15:16], v[43:44], v[3:4], v[15:16]
	v_add_f64 v[25:26], v[25:26], v[13:14]
	v_add_f64 v[27:28], v[15:16], v[27:28]
	ds_read_b128 v[13:16], v33 offset:1280
	s_waitcnt lgkmcnt(0)
	v_mul_f64 v[17:18], v[43:44], v[15:16]
	v_mul_f64 v[19:20], v[41:42], v[15:16]
	v_fma_f64 v[17:18], v[41:42], v[13:14], -v[17:18]
	v_fma_f64 v[19:20], v[43:44], v[13:14], v[19:20]
	;; [unrolled: 8-line block ×3, first 2 shown]
	v_mul_f64 v[5:6], v[17:18], v[15:16]
	v_add_f64 v[41:42], v[49:50], v[41:42]
	v_add_f64 v[43:44], v[3:4], v[51:52]
	v_mul_f64 v[3:4], v[19:20], v[15:16]
	v_fma_f64 v[5:6], v[19:20], v[13:14], v[5:6]
	v_fma_f64 v[3:4], v[17:18], v[13:14], -v[3:4]
	v_add_f64 v[23:24], v[5:6], v[23:24]
	v_add_f64 v[21:22], v[21:22], v[3:4]
	ds_read_b128 v[3:6], v33 offset:1536
	s_waitcnt lgkmcnt(0)
	v_mul_f64 v[13:14], v[47:48], v[5:6]
	v_mul_f64 v[15:16], v[45:46], v[5:6]
	v_fma_f64 v[13:14], v[45:46], v[3:4], -v[13:14]
	v_fma_f64 v[15:16], v[47:48], v[3:4], v[15:16]
	v_add_f64 v[25:26], v[25:26], v[13:14]
	v_add_f64 v[27:28], v[15:16], v[27:28]
	ds_read_b128 v[13:16], v33 offset:1792
	s_waitcnt lgkmcnt(0)
	v_mul_f64 v[17:18], v[47:48], v[15:16]
	v_mul_f64 v[19:20], v[45:46], v[15:16]
	v_fma_f64 v[17:18], v[45:46], v[13:14], -v[17:18]
	v_fma_f64 v[19:20], v[47:48], v[13:14], v[19:20]
	;; [unrolled: 8-line block ×3, first 2 shown]
	v_mul_f64 v[5:6], v[17:18], v[15:16]
	v_add_f64 v[41:42], v[41:42], v[45:46]
	v_add_f64 v[43:44], v[3:4], v[43:44]
	v_mul_f64 v[3:4], v[19:20], v[15:16]
	v_fma_f64 v[5:6], v[19:20], v[13:14], v[5:6]
	v_fma_f64 v[3:4], v[17:18], v[13:14], -v[3:4]
	v_add_f64 v[23:24], v[5:6], v[23:24]
	v_add_f64 v[21:22], v[21:22], v[3:4]
	ds_read_b128 v[3:6], v34 offset:64
	ds_read_b128 v[13:16], v33 offset:2048
	s_waitcnt lgkmcnt(0)
	v_mul_f64 v[17:18], v[5:6], v[15:16]
	v_mul_f64 v[19:20], v[3:4], v[15:16]
	v_fma_f64 v[17:18], v[3:4], v[13:14], -v[17:18]
	v_fma_f64 v[19:20], v[5:6], v[13:14], v[19:20]
	v_add_f64 v[25:26], v[25:26], v[17:18]
	v_add_f64 v[27:28], v[19:20], v[27:28]
	ds_read_b128 v[17:20], v33 offset:2304
	s_waitcnt lgkmcnt(0)
	v_mul_f64 v[45:46], v[5:6], v[19:20]
	v_fma_f64 v[45:46], v[3:4], v[17:18], -v[45:46]
	v_mul_f64 v[3:4], v[3:4], v[19:20]
	v_add_f64 v[37:38], v[37:38], v[45:46]
	v_fma_f64 v[3:4], v[5:6], v[17:18], v[3:4]
	v_add_f64 v[39:40], v[3:4], v[39:40]
	ds_read_b128 v[3:6], v34 offset:2112
	s_waitcnt lgkmcnt(0)
	v_mul_f64 v[45:46], v[5:6], v[15:16]
	v_mul_f64 v[15:16], v[3:4], v[15:16]
	v_fma_f64 v[45:46], v[3:4], v[13:14], -v[45:46]
	v_fma_f64 v[13:14], v[5:6], v[13:14], v[15:16]
	v_add_f64 v[41:42], v[41:42], v[45:46]
	v_add_f64 v[43:44], v[13:14], v[43:44]
	v_mul_f64 v[13:14], v[5:6], v[19:20]
	v_fma_f64 v[13:14], v[3:4], v[17:18], -v[13:14]
	v_mul_f64 v[3:4], v[3:4], v[19:20]
	v_add_f64 v[21:22], v[21:22], v[13:14]
	v_fma_f64 v[3:4], v[5:6], v[17:18], v[3:4]
	v_add_f64 v[23:24], v[3:4], v[23:24]
	ds_read_b128 v[3:6], v34 offset:80
	ds_read_b128 v[13:16], v33 offset:2560
	s_waitcnt lgkmcnt(0)
	v_mul_f64 v[17:18], v[5:6], v[15:16]
	v_mul_f64 v[19:20], v[3:4], v[15:16]
	v_fma_f64 v[17:18], v[3:4], v[13:14], -v[17:18]
	v_fma_f64 v[19:20], v[5:6], v[13:14], v[19:20]
	v_add_f64 v[25:26], v[25:26], v[17:18]
	v_add_f64 v[27:28], v[19:20], v[27:28]
	ds_read_b128 v[17:20], v33 offset:2816
	s_waitcnt lgkmcnt(0)
	v_mul_f64 v[45:46], v[5:6], v[19:20]
	v_fma_f64 v[45:46], v[3:4], v[17:18], -v[45:46]
	v_mul_f64 v[3:4], v[3:4], v[19:20]
	v_add_f64 v[37:38], v[37:38], v[45:46]
	v_fma_f64 v[3:4], v[5:6], v[17:18], v[3:4]
	v_add_f64 v[39:40], v[3:4], v[39:40]
	ds_read_b128 v[3:6], v34 offset:2128
	s_waitcnt lgkmcnt(0)
	v_mul_f64 v[45:46], v[5:6], v[15:16]
	v_mul_f64 v[15:16], v[3:4], v[15:16]
	v_fma_f64 v[45:46], v[3:4], v[13:14], -v[45:46]
	v_fma_f64 v[13:14], v[5:6], v[13:14], v[15:16]
	v_add_f64 v[41:42], v[41:42], v[45:46]
	v_add_f64 v[43:44], v[13:14], v[43:44]
	v_mul_f64 v[13:14], v[5:6], v[19:20]
	v_fma_f64 v[13:14], v[3:4], v[17:18], -v[13:14]
	v_mul_f64 v[3:4], v[3:4], v[19:20]
	v_add_f64 v[21:22], v[21:22], v[13:14]
	v_fma_f64 v[3:4], v[5:6], v[17:18], v[3:4]
	;; [unrolled: 31-line block ×3, first 2 shown]
	v_add_f64 v[47:48], v[3:4], v[23:24]
	ds_read_b128 v[3:6], v34 offset:112
	ds_read_b128 v[17:20], v33 offset:3584
	s_waitcnt lgkmcnt(0)
	v_mul_f64 v[13:14], v[5:6], v[19:20]
	v_mul_f64 v[15:16], v[3:4], v[19:20]
	v_fma_f64 v[13:14], v[3:4], v[17:18], -v[13:14]
	v_fma_f64 v[15:16], v[5:6], v[17:18], v[15:16]
	v_add_f64 v[21:22], v[25:26], v[13:14]
	v_add_f64 v[23:24], v[15:16], v[27:28]
	ds_read_b128 v[25:28], v33 offset:3840
	s_waitcnt lgkmcnt(0)
	v_mul_f64 v[13:14], v[5:6], v[27:28]
	v_fma_f64 v[13:14], v[3:4], v[25:26], -v[13:14]
	v_mul_f64 v[3:4], v[3:4], v[27:28]
	v_add_f64 v[13:14], v[37:38], v[13:14]
	v_fma_f64 v[3:4], v[5:6], v[25:26], v[3:4]
	v_add_f64 v[15:16], v[3:4], v[39:40]
	ds_read_b128 v[3:6], v34 offset:2160
	s_waitcnt lgkmcnt(0)
	s_barrier
	v_mul_f64 v[37:38], v[5:6], v[19:20]
	v_mul_f64 v[19:20], v[3:4], v[19:20]
	v_fma_f64 v[37:38], v[3:4], v[17:18], -v[37:38]
	v_fma_f64 v[19:20], v[5:6], v[17:18], v[19:20]
	v_add_f64 v[17:18], v[41:42], v[37:38]
	v_mul_f64 v[37:38], v[5:6], v[27:28]
	v_add_f64 v[19:20], v[19:20], v[43:44]
	v_fma_f64 v[37:38], v[3:4], v[25:26], -v[37:38]
	v_mul_f64 v[3:4], v[3:4], v[27:28]
	v_fma_f64 v[3:4], v[5:6], v[25:26], v[3:4]
	v_add_f64 v[25:26], v[45:46], v[37:38]
	v_add_f64 v[27:28], v[3:4], v[47:48]
	s_cbranch_vccnz .LBB1373_10
.LBB1373_3:                             ; =>This Inner Loop Header: Depth=1
	v_mov_b32_e32 v4, s11
	v_add_co_u32_e32 v3, vcc, s10, v29
	v_addc_co_u32_e32 v4, vcc, 0, v4, vcc
	v_cmp_le_i64_e32 vcc, s[12:13], v[3:4]
	s_or_b64 s[20:21], s[18:19], vcc
	s_and_saveexec_b64 s[22:23], s[20:21]
	s_xor_b64 s[20:21], exec, s[22:23]
; %bb.4:                                ;   in Loop: Header=BB1373_3 Depth=1
	v_mov_b32_e32 v3, v2
	v_mov_b32_e32 v4, v2
	;; [unrolled: 1-line block ×3, first 2 shown]
	ds_write_b128 v31, v[2:5]
; %bb.5:                                ;   in Loop: Header=BB1373_3 Depth=1
	s_andn2_saveexec_b64 s[20:21], s[20:21]
	s_cbranch_execz .LBB1373_7
; %bb.6:                                ;   in Loop: Header=BB1373_3 Depth=1
	global_load_dwordx4 v[3:6], v[7:8], off
	s_waitcnt vmcnt(0)
	ds_write2_b64 v31, v[3:4], v[5:6] offset1:1
.LBB1373_7:                             ;   in Loop: Header=BB1373_3 Depth=1
	s_or_b64 exec, exec, s[20:21]
	v_mov_b32_e32 v4, s11
	v_add_co_u32_e32 v3, vcc, s10, v30
	v_addc_co_u32_e32 v4, vcc, 0, v4, vcc
	v_cmp_gt_i64_e32 vcc, s[12:13], v[3:4]
	v_mov_b32_e32 v3, 0
	v_mov_b32_e32 v5, 0
	;; [unrolled: 1-line block ×4, first 2 shown]
	s_and_b64 s[22:23], vcc, s[0:1]
	s_and_saveexec_b64 s[20:21], s[22:23]
	s_cbranch_execz .LBB1373_2
; %bb.8:                                ;   in Loop: Header=BB1373_3 Depth=1
	global_load_dwordx4 v[3:6], v[9:10], off offset:-8
	s_waitcnt vmcnt(0)
	v_xor_b32_e32 v6, 0x80000000, v6
	s_branch .LBB1373_2
.LBB1373_9:
	v_mov_b32_e32 v21, 0
	v_mov_b32_e32 v23, 0
	;; [unrolled: 1-line block ×16, first 2 shown]
.LBB1373_10:
	s_load_dwordx2 s[0:1], s[4:5], 0x70
	s_load_dwordx4 s[20:23], s[4:5], 0x60
	v_add_u32_e32 v4, s29, v1
	v_ashrrev_i32_e32 v1, 31, v4
	v_add_u32_e32 v0, s28, v0
	s_waitcnt lgkmcnt(0)
	s_mul_i32 s1, s1, s8
	s_mul_hi_u32 s2, s0, s8
	s_add_i32 s1, s2, s1
	v_mul_lo_u32 v3, s22, v1
	v_mul_lo_u32 v5, s23, v4
	v_mad_u64_u32 v[1:2], s[2:3], s22, v4, 0
	s_mul_i32 s0, s0, s8
	s_lshl_b64 s[0:1], s[0:1], 4
	v_add3_u32 v2, v2, v3, v5
	s_add_u32 s6, s20, s0
	v_lshlrev_b64 v[1:2], 4, v[1:2]
	s_addc_u32 s7, s21, s1
	v_mov_b32_e32 v3, s7
	v_add_co_u32_e32 v5, vcc, s6, v1
	v_addc_co_u32_e32 v6, vcc, v3, v2, vcc
	v_cmp_le_i32_e64 s[0:1], v4, v0
	v_cmp_gt_i32_e32 vcc, s9, v0
	s_and_b64 s[0:1], s[0:1], vcc
	s_and_saveexec_b64 s[2:3], s[0:1]
	s_cbranch_execz .LBB1373_12
; %bb.11:
	v_mul_f64 v[2:3], s[14:15], v[23:24]
	v_mul_f64 v[7:8], s[16:17], v[23:24]
	v_ashrrev_i32_e32 v1, 31, v0
	v_lshlrev_b64 v[9:10], 4, v[0:1]
	v_add_co_u32_e64 v11, s[0:1], v5, v9
	v_addc_co_u32_e64 v12, s[0:1], v6, v10, s[0:1]
	v_fma_f64 v[2:3], s[16:17], v[21:22], v[2:3]
	v_fma_f64 v[7:8], s[14:15], v[21:22], -v[7:8]
	v_cmp_ne_u32_e64 s[0:1], v4, v0
	v_cndmask_b32_e64 v10, 0, v3, s[0:1]
	v_cndmask_b32_e64 v9, 0, v2, s[0:1]
	global_store_dwordx4 v[11:12], v[7:10], off
.LBB1373_12:
	s_or_b64 exec, exec, s[2:3]
	v_add_u32_e32 v2, 16, v0
	v_cmp_le_i32_e64 s[2:3], v4, v2
	v_cmp_gt_i32_e64 s[0:1], s9, v2
	s_and_b64 s[2:3], s[2:3], s[0:1]
	s_and_saveexec_b64 s[4:5], s[2:3]
	s_cbranch_execz .LBB1373_14
; %bb.13:
	v_mul_f64 v[7:8], s[14:15], v[15:16]
	v_mul_f64 v[9:10], s[16:17], v[15:16]
	v_ashrrev_i32_e32 v3, 31, v2
	v_lshlrev_b64 v[15:16], 4, v[2:3]
	v_add_co_u32_e64 v5, s[2:3], v5, v15
	v_addc_co_u32_e64 v6, s[2:3], v6, v16, s[2:3]
	v_fma_f64 v[11:12], s[16:17], v[13:14], v[7:8]
	v_fma_f64 v[7:8], s[14:15], v[13:14], -v[9:10]
	v_cmp_ne_u32_e64 s[2:3], v4, v2
	v_cndmask_b32_e64 v10, 0, v12, s[2:3]
	v_cndmask_b32_e64 v9, 0, v11, s[2:3]
	global_store_dwordx4 v[5:6], v[7:10], off
.LBB1373_14:
	s_or_b64 exec, exec, s[4:5]
	v_add_u32_e32 v3, 16, v4
	v_ashrrev_i32_e32 v1, 31, v3
	v_mul_lo_u32 v7, s23, v3
	v_mad_u64_u32 v[5:6], s[2:3], s22, v3, 0
	v_mul_lo_u32 v1, s22, v1
	v_add3_u32 v6, v6, v1, v7
	v_lshlrev_b64 v[5:6], 4, v[5:6]
	v_mov_b32_e32 v1, s7
	v_add_co_u32_e64 v5, s[2:3], s6, v5
	v_addc_co_u32_e64 v6, s[2:3], v1, v6, s[2:3]
	v_cmp_le_i32_e64 s[2:3], v3, v0
	s_and_b64 s[4:5], s[2:3], vcc
	s_and_saveexec_b64 s[2:3], s[4:5]
	s_cbranch_execz .LBB1373_16
; %bb.15:
	v_mul_f64 v[7:8], s[14:15], v[19:20]
	v_mul_f64 v[9:10], s[16:17], v[19:20]
	v_ashrrev_i32_e32 v1, 31, v0
	v_lshlrev_b64 v[13:14], 4, v[0:1]
	v_add_co_u32_e32 v13, vcc, v5, v13
	v_addc_co_u32_e32 v14, vcc, v6, v14, vcc
	v_fma_f64 v[11:12], s[16:17], v[17:18], v[7:8]
	v_fma_f64 v[7:8], s[14:15], v[17:18], -v[9:10]
	v_cmp_ne_u32_e32 vcc, v3, v0
	v_cndmask_b32_e32 v10, 0, v12, vcc
	v_cndmask_b32_e32 v9, 0, v11, vcc
	global_store_dwordx4 v[13:14], v[7:10], off
.LBB1373_16:
	s_or_b64 exec, exec, s[2:3]
	v_cmp_le_i32_e32 vcc, v3, v2
	s_and_b64 s[0:1], vcc, s[0:1]
	s_and_saveexec_b64 s[2:3], s[0:1]
	s_cbranch_execz .LBB1373_18
; %bb.17:
	v_mul_f64 v[7:8], s[14:15], v[27:28]
	v_mul_f64 v[9:10], s[16:17], v[27:28]
	v_ashrrev_i32_e32 v3, 31, v2
	v_lshlrev_b64 v[11:12], 4, v[2:3]
	v_add_co_u32_e32 v5, vcc, v5, v11
	v_addc_co_u32_e32 v6, vcc, v6, v12, vcc
	v_fma_f64 v[7:8], s[16:17], v[25:26], v[7:8]
	v_fma_f64 v[1:2], s[14:15], v[25:26], -v[9:10]
	v_cmp_ne_u32_e32 vcc, v4, v0
	v_cndmask_b32_e32 v4, 0, v8, vcc
	v_cndmask_b32_e32 v3, 0, v7, vcc
	global_store_dwordx4 v[5:6], v[1:4], off
.LBB1373_18:
	s_endpgm
	.section	.rodata,"a",@progbits
	.p2align	6, 0x0
	.amdhsa_kernel _ZL34rocblas_syrkx_herkx_general_kernelIl19rocblas_complex_numIdELi16ELi32ELi8ELb1ELb1ELc78ELc76EKS1_S1_EviT_T0_PT8_S3_lS6_S3_lS4_PT9_S3_li
		.amdhsa_group_segment_fixed_size 8192
		.amdhsa_private_segment_fixed_size 0
		.amdhsa_kernarg_size 124
		.amdhsa_user_sgpr_count 6
		.amdhsa_user_sgpr_private_segment_buffer 1
		.amdhsa_user_sgpr_dispatch_ptr 0
		.amdhsa_user_sgpr_queue_ptr 0
		.amdhsa_user_sgpr_kernarg_segment_ptr 1
		.amdhsa_user_sgpr_dispatch_id 0
		.amdhsa_user_sgpr_flat_scratch_init 0
		.amdhsa_user_sgpr_private_segment_size 0
		.amdhsa_uses_dynamic_stack 0
		.amdhsa_system_sgpr_private_segment_wavefront_offset 0
		.amdhsa_system_sgpr_workgroup_id_x 1
		.amdhsa_system_sgpr_workgroup_id_y 1
		.amdhsa_system_sgpr_workgroup_id_z 1
		.amdhsa_system_sgpr_workgroup_info 0
		.amdhsa_system_vgpr_workitem_id 1
		.amdhsa_next_free_vgpr 61
		.amdhsa_next_free_sgpr 61
		.amdhsa_reserve_vcc 1
		.amdhsa_reserve_flat_scratch 0
		.amdhsa_float_round_mode_32 0
		.amdhsa_float_round_mode_16_64 0
		.amdhsa_float_denorm_mode_32 3
		.amdhsa_float_denorm_mode_16_64 3
		.amdhsa_dx10_clamp 1
		.amdhsa_ieee_mode 1
		.amdhsa_fp16_overflow 0
		.amdhsa_exception_fp_ieee_invalid_op 0
		.amdhsa_exception_fp_denorm_src 0
		.amdhsa_exception_fp_ieee_div_zero 0
		.amdhsa_exception_fp_ieee_overflow 0
		.amdhsa_exception_fp_ieee_underflow 0
		.amdhsa_exception_fp_ieee_inexact 0
		.amdhsa_exception_int_div_zero 0
	.end_amdhsa_kernel
	.section	.text._ZL34rocblas_syrkx_herkx_general_kernelIl19rocblas_complex_numIdELi16ELi32ELi8ELb1ELb1ELc78ELc76EKS1_S1_EviT_T0_PT8_S3_lS6_S3_lS4_PT9_S3_li,"axG",@progbits,_ZL34rocblas_syrkx_herkx_general_kernelIl19rocblas_complex_numIdELi16ELi32ELi8ELb1ELb1ELc78ELc76EKS1_S1_EviT_T0_PT8_S3_lS6_S3_lS4_PT9_S3_li,comdat
.Lfunc_end1373:
	.size	_ZL34rocblas_syrkx_herkx_general_kernelIl19rocblas_complex_numIdELi16ELi32ELi8ELb1ELb1ELc78ELc76EKS1_S1_EviT_T0_PT8_S3_lS6_S3_lS4_PT9_S3_li, .Lfunc_end1373-_ZL34rocblas_syrkx_herkx_general_kernelIl19rocblas_complex_numIdELi16ELi32ELi8ELb1ELb1ELc78ELc76EKS1_S1_EviT_T0_PT8_S3_lS6_S3_lS4_PT9_S3_li
                                        ; -- End function
	.set _ZL34rocblas_syrkx_herkx_general_kernelIl19rocblas_complex_numIdELi16ELi32ELi8ELb1ELb1ELc78ELc76EKS1_S1_EviT_T0_PT8_S3_lS6_S3_lS4_PT9_S3_li.num_vgpr, 61
	.set _ZL34rocblas_syrkx_herkx_general_kernelIl19rocblas_complex_numIdELi16ELi32ELi8ELb1ELb1ELc78ELc76EKS1_S1_EviT_T0_PT8_S3_lS6_S3_lS4_PT9_S3_li.num_agpr, 0
	.set _ZL34rocblas_syrkx_herkx_general_kernelIl19rocblas_complex_numIdELi16ELi32ELi8ELb1ELb1ELc78ELc76EKS1_S1_EviT_T0_PT8_S3_lS6_S3_lS4_PT9_S3_li.numbered_sgpr, 30
	.set _ZL34rocblas_syrkx_herkx_general_kernelIl19rocblas_complex_numIdELi16ELi32ELi8ELb1ELb1ELc78ELc76EKS1_S1_EviT_T0_PT8_S3_lS6_S3_lS4_PT9_S3_li.num_named_barrier, 0
	.set _ZL34rocblas_syrkx_herkx_general_kernelIl19rocblas_complex_numIdELi16ELi32ELi8ELb1ELb1ELc78ELc76EKS1_S1_EviT_T0_PT8_S3_lS6_S3_lS4_PT9_S3_li.private_seg_size, 0
	.set _ZL34rocblas_syrkx_herkx_general_kernelIl19rocblas_complex_numIdELi16ELi32ELi8ELb1ELb1ELc78ELc76EKS1_S1_EviT_T0_PT8_S3_lS6_S3_lS4_PT9_S3_li.uses_vcc, 1
	.set _ZL34rocblas_syrkx_herkx_general_kernelIl19rocblas_complex_numIdELi16ELi32ELi8ELb1ELb1ELc78ELc76EKS1_S1_EviT_T0_PT8_S3_lS6_S3_lS4_PT9_S3_li.uses_flat_scratch, 0
	.set _ZL34rocblas_syrkx_herkx_general_kernelIl19rocblas_complex_numIdELi16ELi32ELi8ELb1ELb1ELc78ELc76EKS1_S1_EviT_T0_PT8_S3_lS6_S3_lS4_PT9_S3_li.has_dyn_sized_stack, 0
	.set _ZL34rocblas_syrkx_herkx_general_kernelIl19rocblas_complex_numIdELi16ELi32ELi8ELb1ELb1ELc78ELc76EKS1_S1_EviT_T0_PT8_S3_lS6_S3_lS4_PT9_S3_li.has_recursion, 0
	.set _ZL34rocblas_syrkx_herkx_general_kernelIl19rocblas_complex_numIdELi16ELi32ELi8ELb1ELb1ELc78ELc76EKS1_S1_EviT_T0_PT8_S3_lS6_S3_lS4_PT9_S3_li.has_indirect_call, 0
	.section	.AMDGPU.csdata,"",@progbits
; Kernel info:
; codeLenInByte = 3276
; TotalNumSgprs: 34
; NumVgprs: 61
; ScratchSize: 0
; MemoryBound: 1
; FloatMode: 240
; IeeeMode: 1
; LDSByteSize: 8192 bytes/workgroup (compile time only)
; SGPRBlocks: 8
; VGPRBlocks: 15
; NumSGPRsForWavesPerEU: 65
; NumVGPRsForWavesPerEU: 61
; Occupancy: 4
; WaveLimiterHint : 0
; COMPUTE_PGM_RSRC2:SCRATCH_EN: 0
; COMPUTE_PGM_RSRC2:USER_SGPR: 6
; COMPUTE_PGM_RSRC2:TRAP_HANDLER: 0
; COMPUTE_PGM_RSRC2:TGID_X_EN: 1
; COMPUTE_PGM_RSRC2:TGID_Y_EN: 1
; COMPUTE_PGM_RSRC2:TGID_Z_EN: 1
; COMPUTE_PGM_RSRC2:TIDIG_COMP_CNT: 1
	.section	.text._ZL34rocblas_syrkx_herkx_general_kernelIl19rocblas_complex_numIdELi16ELi32ELi8ELb1ELb1ELc84ELc85EKS1_S1_EviT_T0_PT8_S3_lS6_S3_lS4_PT9_S3_li,"axG",@progbits,_ZL34rocblas_syrkx_herkx_general_kernelIl19rocblas_complex_numIdELi16ELi32ELi8ELb1ELb1ELc84ELc85EKS1_S1_EviT_T0_PT8_S3_lS6_S3_lS4_PT9_S3_li,comdat
	.globl	_ZL34rocblas_syrkx_herkx_general_kernelIl19rocblas_complex_numIdELi16ELi32ELi8ELb1ELb1ELc84ELc85EKS1_S1_EviT_T0_PT8_S3_lS6_S3_lS4_PT9_S3_li ; -- Begin function _ZL34rocblas_syrkx_herkx_general_kernelIl19rocblas_complex_numIdELi16ELi32ELi8ELb1ELb1ELc84ELc85EKS1_S1_EviT_T0_PT8_S3_lS6_S3_lS4_PT9_S3_li
	.p2align	8
	.type	_ZL34rocblas_syrkx_herkx_general_kernelIl19rocblas_complex_numIdELi16ELi32ELi8ELb1ELb1ELc84ELc85EKS1_S1_EviT_T0_PT8_S3_lS6_S3_lS4_PT9_S3_li,@function
_ZL34rocblas_syrkx_herkx_general_kernelIl19rocblas_complex_numIdELi16ELi32ELi8ELb1ELb1ELc84ELc85EKS1_S1_EviT_T0_PT8_S3_lS6_S3_lS4_PT9_S3_li: ; @_ZL34rocblas_syrkx_herkx_general_kernelIl19rocblas_complex_numIdELi16ELi32ELi8ELb1ELb1ELc84ELc85EKS1_S1_EviT_T0_PT8_S3_lS6_S3_lS4_PT9_S3_li
; %bb.0:
	s_load_dwordx16 s[12:27], s[4:5], 0x8
	s_load_dword s9, s[4:5], 0x0
	s_lshl_b32 s28, s6, 5
	s_lshl_b32 s29, s7, 5
	s_waitcnt lgkmcnt(0)
	v_cmp_lt_i64_e64 s[0:1], s[12:13], 1
	s_and_b64 vcc, exec, s[0:1]
	s_cbranch_vccnz .LBB1374_11
; %bb.1:
	v_lshl_add_u32 v2, v1, 4, v0
	v_and_b32_e32 v5, 31, v2
	v_and_b32_e32 v29, 7, v0
	v_lshrrev_b32_e32 v3, 3, v2
	v_lshrrev_b32_e32 v28, 5, v2
	v_lshlrev_b32_e32 v2, 4, v5
	v_lshlrev_b32_e32 v8, 4, v29
	v_lshl_or_b32 v30, v28, 9, v2
	v_lshl_or_b32 v2, v3, 7, v8
	v_add_u32_e32 v31, 0x1000, v2
	v_add_u32_e32 v2, s28, v5
	;; [unrolled: 1-line block ×3, first 2 shown]
	v_ashrrev_i32_e32 v3, 31, v2
	v_or_b32_e32 v6, s28, v5
	v_mul_lo_u32 v5, s20, v3
	v_mul_lo_u32 v7, s21, v2
	v_mad_u64_u32 v[2:3], s[2:3], s20, v2, 0
	s_mul_i32 s2, s23, s8
	s_mul_hi_u32 s3, s22, s8
	v_add3_u32 v3, v3, v5, v7
	v_lshlrev_b64 v[2:3], 4, v[2:3]
	s_add_i32 s3, s3, s2
	s_mul_i32 s2, s22, s8
	s_lshl_b64 s[2:3], s[2:3], 4
	v_mov_b32_e32 v5, s3
	v_add_co_u32_e64 v2, s[2:3], s2, v2
	v_addc_co_u32_e64 v3, s[2:3], v3, v5, s[2:3]
	v_lshlrev_b32_e32 v5, 4, v28
	s_load_dwordx2 s[6:7], s[4:5], 0x48
	v_cmp_gt_i32_e32 vcc, s9, v6
	v_ashrrev_i32_e32 v6, 31, v4
	v_add_co_u32_e64 v5, s[2:3], v2, v5
	v_addc_co_u32_e64 v7, s[2:3], 0, v3, s[2:3]
	v_mul_lo_u32 v10, s26, v6
	v_mul_lo_u32 v11, s27, v4
	v_mad_u64_u32 v[2:3], s[2:3], s26, v4, 0
	v_mov_b32_e32 v9, 0x1000
	v_lshl_add_u32 v33, v1, 7, v9
	v_mov_b32_e32 v9, s19
	v_add_co_u32_e64 v6, s[2:3], s18, v5
	v_addc_co_u32_e64 v7, s[2:3], v9, v7, s[2:3]
	v_add3_u32 v3, v3, v10, v11
	s_waitcnt lgkmcnt(0)
	s_mul_i32 s2, s7, s8
	s_mul_hi_u32 s3, s6, s8
	v_lshlrev_b64 v[2:3], 4, v[2:3]
	s_add_i32 s3, s3, s2
	s_mul_i32 s2, s6, s8
	s_lshl_b64 s[2:3], s[2:3], 4
	v_cmp_gt_i32_e64 s[0:1], s9, v4
	v_mov_b32_e32 v4, s3
	v_add_co_u32_e64 v2, s[2:3], s2, v2
	v_addc_co_u32_e64 v3, s[2:3], v3, v4, s[2:3]
	v_add_co_u32_e64 v2, s[2:3], v2, v8
	v_addc_co_u32_e64 v3, s[2:3], 0, v3, s[2:3]
	v_mov_b32_e32 v4, s25
	v_add_co_u32_e64 v8, s[2:3], s24, v2
	v_addc_co_u32_e64 v9, s[2:3], v4, v3, s[2:3]
	v_mov_b32_e32 v26, 0
	v_mov_b32_e32 v10, s12
	;; [unrolled: 1-line block ×9, first 2 shown]
	v_lshlrev_b32_e32 v32, 4, v0
	s_mov_b64 s[2:3], 0
	v_mov_b32_e32 v27, 0
	s_xor_b64 s[6:7], vcc, -1
	s_xor_b64 s[0:1], s[0:1], -1
	v_mov_b32_e32 v11, s13
	v_mov_b32_e32 v25, 0
	;; [unrolled: 1-line block ×9, first 2 shown]
	s_branch .LBB1374_3
.LBB1374_2:                             ;   in Loop: Header=BB1374_3 Depth=1
	s_or_b64 exec, exec, s[10:11]
	s_waitcnt lgkmcnt(0)
	s_barrier
	ds_read_b128 v[34:37], v33
	ds_read_b128 v[38:41], v33 offset:16
	ds_read_b128 v[42:45], v33 offset:32
	;; [unrolled: 1-line block ×3, first 2 shown]
	ds_read_b128 v[50:53], v32
	v_add_co_u32_e32 v6, vcc, 0x80, v6
	v_addc_co_u32_e32 v7, vcc, 0, v7, vcc
	s_waitcnt lgkmcnt(0)
	v_mul_f64 v[3:4], v[36:37], v[52:53]
	v_mul_f64 v[54:55], v[34:35], v[52:53]
	s_add_u32 s2, s2, 8
	v_add_co_u32_e32 v8, vcc, 0x80, v8
	s_addc_u32 s3, s3, 0
	v_addc_co_u32_e32 v9, vcc, 0, v9, vcc
	v_fma_f64 v[3:4], v[34:35], v[50:51], -v[3:4]
	v_fma_f64 v[54:55], v[36:37], v[50:51], v[54:55]
	v_cmp_ge_i64_e32 vcc, s[2:3], v[10:11]
	s_and_b64 vcc, exec, vcc
	v_add_f64 v[3:4], v[20:21], v[3:4]
	v_add_f64 v[54:55], v[54:55], v[22:23]
	ds_read_b128 v[20:23], v32 offset:256
	s_waitcnt lgkmcnt(0)
	v_mul_f64 v[56:57], v[36:37], v[22:23]
	v_fma_f64 v[56:57], v[34:35], v[20:21], -v[56:57]
	v_mul_f64 v[34:35], v[34:35], v[22:23]
	v_fma_f64 v[34:35], v[36:37], v[20:21], v[34:35]
	v_add_f64 v[36:37], v[12:13], v[56:57]
	v_add_f64 v[34:35], v[34:35], v[14:15]
	ds_read_b128 v[12:15], v33 offset:2048
	s_waitcnt lgkmcnt(0)
	v_mul_f64 v[56:57], v[14:15], v[52:53]
	v_mul_f64 v[52:53], v[12:13], v[52:53]
	v_fma_f64 v[56:57], v[12:13], v[50:51], -v[56:57]
	v_fma_f64 v[50:51], v[14:15], v[50:51], v[52:53]
	v_add_f64 v[52:53], v[16:17], v[56:57]
	v_mul_f64 v[16:17], v[14:15], v[22:23]
	v_add_f64 v[50:51], v[50:51], v[18:19]
	v_fma_f64 v[16:17], v[12:13], v[20:21], -v[16:17]
	v_mul_f64 v[12:13], v[12:13], v[22:23]
	v_add_f64 v[24:25], v[24:25], v[16:17]
	v_fma_f64 v[12:13], v[14:15], v[20:21], v[12:13]
	v_add_f64 v[26:27], v[12:13], v[26:27]
	ds_read_b128 v[12:15], v32 offset:512
	s_waitcnt lgkmcnt(0)
	v_mul_f64 v[16:17], v[40:41], v[14:15]
	v_mul_f64 v[18:19], v[38:39], v[14:15]
	v_fma_f64 v[16:17], v[38:39], v[12:13], -v[16:17]
	v_fma_f64 v[18:19], v[40:41], v[12:13], v[18:19]
	v_add_f64 v[3:4], v[3:4], v[16:17]
	v_add_f64 v[54:55], v[18:19], v[54:55]
	ds_read_b128 v[16:19], v32 offset:768
	s_waitcnt lgkmcnt(0)
	v_mul_f64 v[20:21], v[40:41], v[18:19]
	v_mul_f64 v[22:23], v[38:39], v[18:19]
	v_fma_f64 v[20:21], v[38:39], v[16:17], -v[20:21]
	v_fma_f64 v[22:23], v[40:41], v[16:17], v[22:23]
	v_add_f64 v[36:37], v[36:37], v[20:21]
	v_add_f64 v[34:35], v[22:23], v[34:35]
	ds_read_b128 v[20:23], v33 offset:2064
	s_waitcnt lgkmcnt(0)
	v_mul_f64 v[38:39], v[22:23], v[14:15]
	v_mul_f64 v[14:15], v[20:21], v[14:15]
	v_fma_f64 v[38:39], v[20:21], v[12:13], -v[38:39]
	v_fma_f64 v[12:13], v[22:23], v[12:13], v[14:15]
	v_mul_f64 v[14:15], v[20:21], v[18:19]
	v_add_f64 v[38:39], v[52:53], v[38:39]
	v_add_f64 v[40:41], v[12:13], v[50:51]
	v_mul_f64 v[12:13], v[22:23], v[18:19]
	v_fma_f64 v[14:15], v[22:23], v[16:17], v[14:15]
	v_fma_f64 v[12:13], v[20:21], v[16:17], -v[12:13]
	v_add_f64 v[26:27], v[14:15], v[26:27]
	v_add_f64 v[24:25], v[24:25], v[12:13]
	ds_read_b128 v[12:15], v32 offset:1024
	s_waitcnt lgkmcnt(0)
	v_mul_f64 v[16:17], v[44:45], v[14:15]
	v_mul_f64 v[18:19], v[42:43], v[14:15]
	v_fma_f64 v[16:17], v[42:43], v[12:13], -v[16:17]
	v_fma_f64 v[18:19], v[44:45], v[12:13], v[18:19]
	v_add_f64 v[3:4], v[3:4], v[16:17]
	v_add_f64 v[50:51], v[18:19], v[54:55]
	ds_read_b128 v[16:19], v32 offset:1280
	s_waitcnt lgkmcnt(0)
	v_mul_f64 v[20:21], v[44:45], v[18:19]
	v_mul_f64 v[22:23], v[42:43], v[18:19]
	v_fma_f64 v[20:21], v[42:43], v[16:17], -v[20:21]
	v_fma_f64 v[22:23], v[44:45], v[16:17], v[22:23]
	v_add_f64 v[36:37], v[36:37], v[20:21]
	v_add_f64 v[34:35], v[22:23], v[34:35]
	ds_read_b128 v[20:23], v33 offset:2080
	s_waitcnt lgkmcnt(0)
	v_mul_f64 v[42:43], v[22:23], v[14:15]
	v_mul_f64 v[14:15], v[20:21], v[14:15]
	v_fma_f64 v[42:43], v[20:21], v[12:13], -v[42:43]
	v_fma_f64 v[12:13], v[22:23], v[12:13], v[14:15]
	v_mul_f64 v[14:15], v[20:21], v[18:19]
	v_add_f64 v[38:39], v[38:39], v[42:43]
	v_add_f64 v[40:41], v[12:13], v[40:41]
	v_mul_f64 v[12:13], v[22:23], v[18:19]
	v_fma_f64 v[14:15], v[22:23], v[16:17], v[14:15]
	v_fma_f64 v[12:13], v[20:21], v[16:17], -v[12:13]
	v_add_f64 v[26:27], v[14:15], v[26:27]
	;; [unrolled: 30-line block ×3, first 2 shown]
	v_add_f64 v[24:25], v[24:25], v[12:13]
	ds_read_b128 v[12:15], v33 offset:64
	ds_read_b128 v[16:19], v32 offset:2048
	s_waitcnt lgkmcnt(0)
	v_mul_f64 v[20:21], v[14:15], v[18:19]
	v_mul_f64 v[22:23], v[12:13], v[18:19]
	v_fma_f64 v[20:21], v[12:13], v[16:17], -v[20:21]
	v_fma_f64 v[22:23], v[14:15], v[16:17], v[22:23]
	v_add_f64 v[3:4], v[3:4], v[20:21]
	v_add_f64 v[42:43], v[22:23], v[42:43]
	ds_read_b128 v[20:23], v32 offset:2304
	s_waitcnt lgkmcnt(0)
	v_mul_f64 v[44:45], v[14:15], v[22:23]
	v_fma_f64 v[44:45], v[12:13], v[20:21], -v[44:45]
	v_mul_f64 v[12:13], v[12:13], v[22:23]
	v_add_f64 v[36:37], v[36:37], v[44:45]
	v_fma_f64 v[12:13], v[14:15], v[20:21], v[12:13]
	v_add_f64 v[34:35], v[12:13], v[34:35]
	ds_read_b128 v[12:15], v33 offset:2112
	s_waitcnt lgkmcnt(0)
	v_mul_f64 v[44:45], v[14:15], v[18:19]
	v_mul_f64 v[18:19], v[12:13], v[18:19]
	v_fma_f64 v[44:45], v[12:13], v[16:17], -v[44:45]
	v_fma_f64 v[16:17], v[14:15], v[16:17], v[18:19]
	v_add_f64 v[38:39], v[38:39], v[44:45]
	v_add_f64 v[40:41], v[16:17], v[40:41]
	v_mul_f64 v[16:17], v[14:15], v[22:23]
	v_fma_f64 v[16:17], v[12:13], v[20:21], -v[16:17]
	v_mul_f64 v[12:13], v[12:13], v[22:23]
	v_add_f64 v[24:25], v[24:25], v[16:17]
	v_fma_f64 v[12:13], v[14:15], v[20:21], v[12:13]
	v_add_f64 v[26:27], v[12:13], v[26:27]
	ds_read_b128 v[12:15], v33 offset:80
	ds_read_b128 v[16:19], v32 offset:2560
	s_waitcnt lgkmcnt(0)
	v_mul_f64 v[20:21], v[14:15], v[18:19]
	v_mul_f64 v[22:23], v[12:13], v[18:19]
	v_fma_f64 v[20:21], v[12:13], v[16:17], -v[20:21]
	v_fma_f64 v[22:23], v[14:15], v[16:17], v[22:23]
	v_add_f64 v[3:4], v[3:4], v[20:21]
	v_add_f64 v[42:43], v[22:23], v[42:43]
	ds_read_b128 v[20:23], v32 offset:2816
	s_waitcnt lgkmcnt(0)
	v_mul_f64 v[44:45], v[14:15], v[22:23]
	v_fma_f64 v[44:45], v[12:13], v[20:21], -v[44:45]
	v_mul_f64 v[12:13], v[12:13], v[22:23]
	v_add_f64 v[36:37], v[36:37], v[44:45]
	v_fma_f64 v[12:13], v[14:15], v[20:21], v[12:13]
	v_add_f64 v[34:35], v[12:13], v[34:35]
	ds_read_b128 v[12:15], v33 offset:2128
	s_waitcnt lgkmcnt(0)
	v_mul_f64 v[44:45], v[14:15], v[18:19]
	v_mul_f64 v[18:19], v[12:13], v[18:19]
	v_fma_f64 v[44:45], v[12:13], v[16:17], -v[44:45]
	v_fma_f64 v[16:17], v[14:15], v[16:17], v[18:19]
	v_add_f64 v[38:39], v[38:39], v[44:45]
	v_add_f64 v[40:41], v[16:17], v[40:41]
	v_mul_f64 v[16:17], v[14:15], v[22:23]
	v_fma_f64 v[16:17], v[12:13], v[20:21], -v[16:17]
	v_mul_f64 v[12:13], v[12:13], v[22:23]
	v_add_f64 v[24:25], v[24:25], v[16:17]
	v_fma_f64 v[12:13], v[14:15], v[20:21], v[12:13]
	;; [unrolled: 31-line block ×3, first 2 shown]
	v_add_f64 v[46:47], v[12:13], v[26:27]
	ds_read_b128 v[12:15], v33 offset:112
	ds_read_b128 v[16:19], v32 offset:3584
	;; [unrolled: 1-line block ×3, first 2 shown]
	s_waitcnt lgkmcnt(1)
	v_mul_f64 v[20:21], v[14:15], v[18:19]
	v_mul_f64 v[22:23], v[12:13], v[18:19]
	v_fma_f64 v[20:21], v[12:13], v[16:17], -v[20:21]
	v_fma_f64 v[22:23], v[14:15], v[16:17], v[22:23]
	v_add_f64 v[20:21], v[3:4], v[20:21]
	s_waitcnt lgkmcnt(0)
	v_mul_f64 v[3:4], v[14:15], v[26:27]
	v_add_f64 v[22:23], v[22:23], v[42:43]
	v_fma_f64 v[3:4], v[12:13], v[24:25], -v[3:4]
	v_mul_f64 v[12:13], v[12:13], v[26:27]
	v_fma_f64 v[14:15], v[14:15], v[24:25], v[12:13]
	v_add_f64 v[12:13], v[36:37], v[3:4]
	v_add_f64 v[14:15], v[14:15], v[34:35]
	ds_read_b128 v[34:37], v33 offset:2160
	s_waitcnt lgkmcnt(0)
	s_barrier
	v_mul_f64 v[3:4], v[36:37], v[18:19]
	v_mul_f64 v[18:19], v[34:35], v[18:19]
	v_fma_f64 v[3:4], v[34:35], v[16:17], -v[3:4]
	v_fma_f64 v[18:19], v[36:37], v[16:17], v[18:19]
	v_add_f64 v[16:17], v[38:39], v[3:4]
	v_mul_f64 v[3:4], v[36:37], v[26:27]
	v_mul_f64 v[26:27], v[34:35], v[26:27]
	v_add_f64 v[18:19], v[18:19], v[40:41]
	v_fma_f64 v[3:4], v[34:35], v[24:25], -v[3:4]
	v_fma_f64 v[26:27], v[36:37], v[24:25], v[26:27]
	v_add_f64 v[24:25], v[44:45], v[3:4]
	v_add_f64 v[26:27], v[26:27], v[46:47]
	s_cbranch_vccnz .LBB1374_12
.LBB1374_3:                             ; =>This Inner Loop Header: Depth=1
	v_mov_b32_e32 v4, s3
	v_add_co_u32_e32 v3, vcc, s2, v28
	v_addc_co_u32_e32 v4, vcc, 0, v4, vcc
	v_cmp_le_i64_e32 vcc, s[12:13], v[3:4]
	s_or_b64 s[10:11], s[6:7], vcc
	s_and_saveexec_b64 s[18:19], s[10:11]
	s_xor_b64 s[10:11], exec, s[18:19]
; %bb.4:                                ;   in Loop: Header=BB1374_3 Depth=1
	v_mov_b32_e32 v3, v2
	v_mov_b32_e32 v4, v2
	;; [unrolled: 1-line block ×3, first 2 shown]
	ds_write_b128 v30, v[2:5]
; %bb.5:                                ;   in Loop: Header=BB1374_3 Depth=1
	s_andn2_saveexec_b64 s[10:11], s[10:11]
	s_cbranch_execz .LBB1374_7
; %bb.6:                                ;   in Loop: Header=BB1374_3 Depth=1
	global_load_dwordx4 v[34:37], v[6:7], off
	s_waitcnt vmcnt(0)
	ds_write2_b64 v30, v[34:35], v[36:37] offset1:1
.LBB1374_7:                             ;   in Loop: Header=BB1374_3 Depth=1
	s_or_b64 exec, exec, s[10:11]
	v_mov_b32_e32 v4, s3
	v_add_co_u32_e32 v3, vcc, s2, v29
	v_addc_co_u32_e32 v4, vcc, 0, v4, vcc
	v_cmp_le_i64_e32 vcc, s[12:13], v[3:4]
	s_or_b64 s[10:11], vcc, s[0:1]
	s_and_saveexec_b64 s[18:19], s[10:11]
	s_xor_b64 s[10:11], exec, s[18:19]
; %bb.8:                                ;   in Loop: Header=BB1374_3 Depth=1
	v_mov_b32_e32 v3, v2
	v_mov_b32_e32 v4, v2
	;; [unrolled: 1-line block ×3, first 2 shown]
	ds_write_b128 v31, v[2:5]
; %bb.9:                                ;   in Loop: Header=BB1374_3 Depth=1
	s_andn2_saveexec_b64 s[10:11], s[10:11]
	s_cbranch_execz .LBB1374_2
; %bb.10:                               ;   in Loop: Header=BB1374_3 Depth=1
	global_load_dwordx4 v[34:37], v[8:9], off
	s_waitcnt vmcnt(0)
	ds_write2_b64 v31, v[34:35], v[36:37] offset1:1
	s_branch .LBB1374_2
.LBB1374_11:
	v_mov_b32_e32 v20, 0
	v_mov_b32_e32 v22, 0
	;; [unrolled: 1-line block ×16, first 2 shown]
.LBB1374_12:
	s_load_dwordx2 s[6:7], s[4:5], 0x70
	s_load_dwordx4 s[0:3], s[4:5], 0x60
	v_add_u32_e32 v4, s29, v1
	v_ashrrev_i32_e32 v1, 31, v4
	v_add_u32_e32 v0, s28, v0
	s_waitcnt lgkmcnt(0)
	s_mul_i32 s5, s7, s8
	v_mul_lo_u32 v3, s2, v1
	v_mul_lo_u32 v5, s3, v4
	v_mad_u64_u32 v[1:2], s[10:11], s2, v4, 0
	s_mul_hi_u32 s7, s6, s8
	s_mul_i32 s4, s6, s8
	s_add_i32 s5, s7, s5
	s_lshl_b64 s[4:5], s[4:5], 4
	v_add3_u32 v2, v2, v3, v5
	s_add_u32 s6, s0, s4
	v_lshlrev_b64 v[1:2], 4, v[1:2]
	s_addc_u32 s7, s1, s5
	v_mov_b32_e32 v3, s7
	v_add_co_u32_e64 v5, s[0:1], s6, v1
	v_addc_co_u32_e64 v6, s[0:1], v3, v2, s[0:1]
	v_cmp_gt_i32_e32 vcc, s9, v4
	v_cmp_le_i32_e64 s[0:1], v0, v4
	s_and_b64 s[0:1], vcc, s[0:1]
	s_and_saveexec_b64 s[4:5], s[0:1]
	s_cbranch_execz .LBB1374_14
; %bb.13:
	v_mul_f64 v[2:3], s[14:15], v[22:23]
	v_mul_f64 v[7:8], s[16:17], v[22:23]
	v_ashrrev_i32_e32 v1, 31, v0
	v_lshlrev_b64 v[9:10], 4, v[0:1]
	v_fma_f64 v[2:3], s[16:17], v[20:21], v[2:3]
	v_fma_f64 v[7:8], s[14:15], v[20:21], -v[7:8]
	v_add_co_u32_e64 v20, s[0:1], v5, v9
	v_addc_co_u32_e64 v21, s[0:1], v6, v10, s[0:1]
	v_cmp_ne_u32_e64 s[0:1], v4, v0
	v_cndmask_b32_e64 v10, 0, v3, s[0:1]
	v_cndmask_b32_e64 v9, 0, v2, s[0:1]
	global_store_dwordx4 v[20:21], v[7:10], off
.LBB1374_14:
	s_or_b64 exec, exec, s[4:5]
	v_add_u32_e32 v2, 16, v0
	v_cmp_le_i32_e64 s[0:1], v2, v4
	s_and_b64 s[4:5], vcc, s[0:1]
	s_and_saveexec_b64 s[0:1], s[4:5]
	s_cbranch_execz .LBB1374_16
; %bb.15:
	v_mul_f64 v[7:8], s[14:15], v[14:15]
	v_mul_f64 v[9:10], s[16:17], v[14:15]
	v_ashrrev_i32_e32 v3, 31, v2
	v_lshlrev_b64 v[20:21], 4, v[2:3]
	v_add_co_u32_e32 v5, vcc, v5, v20
	v_addc_co_u32_e32 v6, vcc, v6, v21, vcc
	v_fma_f64 v[14:15], s[16:17], v[12:13], v[7:8]
	v_fma_f64 v[7:8], s[14:15], v[12:13], -v[9:10]
	v_cmp_ne_u32_e32 vcc, v4, v2
	v_cndmask_b32_e32 v10, 0, v15, vcc
	v_cndmask_b32_e32 v9, 0, v14, vcc
	global_store_dwordx4 v[5:6], v[7:10], off
.LBB1374_16:
	s_or_b64 exec, exec, s[0:1]
	v_add_u32_e32 v3, 16, v4
	v_ashrrev_i32_e32 v1, 31, v3
	v_mul_lo_u32 v1, s2, v1
	v_mul_lo_u32 v7, s3, v3
	v_mad_u64_u32 v[5:6], s[0:1], s2, v3, 0
	v_cmp_gt_i32_e32 vcc, s9, v3
	v_add3_u32 v6, v6, v1, v7
	v_lshlrev_b64 v[5:6], 4, v[5:6]
	v_mov_b32_e32 v1, s7
	v_add_co_u32_e64 v5, s[0:1], s6, v5
	v_addc_co_u32_e64 v6, s[0:1], v1, v6, s[0:1]
	v_cmp_le_i32_e64 s[0:1], v0, v3
	s_and_b64 s[0:1], vcc, s[0:1]
	s_and_saveexec_b64 s[2:3], s[0:1]
	s_cbranch_execz .LBB1374_18
; %bb.17:
	v_mul_f64 v[7:8], s[14:15], v[18:19]
	v_mul_f64 v[9:10], s[16:17], v[18:19]
	v_ashrrev_i32_e32 v1, 31, v0
	v_lshlrev_b64 v[13:14], 4, v[0:1]
	v_add_co_u32_e64 v13, s[0:1], v5, v13
	v_addc_co_u32_e64 v14, s[0:1], v6, v14, s[0:1]
	v_fma_f64 v[11:12], s[16:17], v[16:17], v[7:8]
	v_fma_f64 v[7:8], s[14:15], v[16:17], -v[9:10]
	v_cmp_ne_u32_e64 s[0:1], v3, v0
	v_cndmask_b32_e64 v10, 0, v12, s[0:1]
	v_cndmask_b32_e64 v9, 0, v11, s[0:1]
	global_store_dwordx4 v[13:14], v[7:10], off
.LBB1374_18:
	s_or_b64 exec, exec, s[2:3]
	v_cmp_le_i32_e64 s[0:1], v2, v3
	s_and_b64 s[0:1], vcc, s[0:1]
	s_and_saveexec_b64 s[2:3], s[0:1]
	s_cbranch_execz .LBB1374_20
; %bb.19:
	v_mul_f64 v[7:8], s[14:15], v[26:27]
	v_mul_f64 v[9:10], s[16:17], v[26:27]
	v_ashrrev_i32_e32 v3, 31, v2
	v_lshlrev_b64 v[11:12], 4, v[2:3]
	v_add_co_u32_e32 v5, vcc, v5, v11
	v_addc_co_u32_e32 v6, vcc, v6, v12, vcc
	v_fma_f64 v[7:8], s[16:17], v[24:25], v[7:8]
	v_fma_f64 v[1:2], s[14:15], v[24:25], -v[9:10]
	v_cmp_ne_u32_e32 vcc, v4, v0
	v_cndmask_b32_e32 v4, 0, v8, vcc
	v_cndmask_b32_e32 v3, 0, v7, vcc
	global_store_dwordx4 v[5:6], v[1:4], off
.LBB1374_20:
	s_endpgm
	.section	.rodata,"a",@progbits
	.p2align	6, 0x0
	.amdhsa_kernel _ZL34rocblas_syrkx_herkx_general_kernelIl19rocblas_complex_numIdELi16ELi32ELi8ELb1ELb1ELc84ELc85EKS1_S1_EviT_T0_PT8_S3_lS6_S3_lS4_PT9_S3_li
		.amdhsa_group_segment_fixed_size 8192
		.amdhsa_private_segment_fixed_size 0
		.amdhsa_kernarg_size 124
		.amdhsa_user_sgpr_count 6
		.amdhsa_user_sgpr_private_segment_buffer 1
		.amdhsa_user_sgpr_dispatch_ptr 0
		.amdhsa_user_sgpr_queue_ptr 0
		.amdhsa_user_sgpr_kernarg_segment_ptr 1
		.amdhsa_user_sgpr_dispatch_id 0
		.amdhsa_user_sgpr_flat_scratch_init 0
		.amdhsa_user_sgpr_private_segment_size 0
		.amdhsa_uses_dynamic_stack 0
		.amdhsa_system_sgpr_private_segment_wavefront_offset 0
		.amdhsa_system_sgpr_workgroup_id_x 1
		.amdhsa_system_sgpr_workgroup_id_y 1
		.amdhsa_system_sgpr_workgroup_id_z 1
		.amdhsa_system_sgpr_workgroup_info 0
		.amdhsa_system_vgpr_workitem_id 1
		.amdhsa_next_free_vgpr 58
		.amdhsa_next_free_sgpr 61
		.amdhsa_reserve_vcc 1
		.amdhsa_reserve_flat_scratch 0
		.amdhsa_float_round_mode_32 0
		.amdhsa_float_round_mode_16_64 0
		.amdhsa_float_denorm_mode_32 3
		.amdhsa_float_denorm_mode_16_64 3
		.amdhsa_dx10_clamp 1
		.amdhsa_ieee_mode 1
		.amdhsa_fp16_overflow 0
		.amdhsa_exception_fp_ieee_invalid_op 0
		.amdhsa_exception_fp_denorm_src 0
		.amdhsa_exception_fp_ieee_div_zero 0
		.amdhsa_exception_fp_ieee_overflow 0
		.amdhsa_exception_fp_ieee_underflow 0
		.amdhsa_exception_fp_ieee_inexact 0
		.amdhsa_exception_int_div_zero 0
	.end_amdhsa_kernel
	.section	.text._ZL34rocblas_syrkx_herkx_general_kernelIl19rocblas_complex_numIdELi16ELi32ELi8ELb1ELb1ELc84ELc85EKS1_S1_EviT_T0_PT8_S3_lS6_S3_lS4_PT9_S3_li,"axG",@progbits,_ZL34rocblas_syrkx_herkx_general_kernelIl19rocblas_complex_numIdELi16ELi32ELi8ELb1ELb1ELc84ELc85EKS1_S1_EviT_T0_PT8_S3_lS6_S3_lS4_PT9_S3_li,comdat
.Lfunc_end1374:
	.size	_ZL34rocblas_syrkx_herkx_general_kernelIl19rocblas_complex_numIdELi16ELi32ELi8ELb1ELb1ELc84ELc85EKS1_S1_EviT_T0_PT8_S3_lS6_S3_lS4_PT9_S3_li, .Lfunc_end1374-_ZL34rocblas_syrkx_herkx_general_kernelIl19rocblas_complex_numIdELi16ELi32ELi8ELb1ELb1ELc84ELc85EKS1_S1_EviT_T0_PT8_S3_lS6_S3_lS4_PT9_S3_li
                                        ; -- End function
	.set _ZL34rocblas_syrkx_herkx_general_kernelIl19rocblas_complex_numIdELi16ELi32ELi8ELb1ELb1ELc84ELc85EKS1_S1_EviT_T0_PT8_S3_lS6_S3_lS4_PT9_S3_li.num_vgpr, 58
	.set _ZL34rocblas_syrkx_herkx_general_kernelIl19rocblas_complex_numIdELi16ELi32ELi8ELb1ELb1ELc84ELc85EKS1_S1_EviT_T0_PT8_S3_lS6_S3_lS4_PT9_S3_li.num_agpr, 0
	.set _ZL34rocblas_syrkx_herkx_general_kernelIl19rocblas_complex_numIdELi16ELi32ELi8ELb1ELb1ELc84ELc85EKS1_S1_EviT_T0_PT8_S3_lS6_S3_lS4_PT9_S3_li.numbered_sgpr, 30
	.set _ZL34rocblas_syrkx_herkx_general_kernelIl19rocblas_complex_numIdELi16ELi32ELi8ELb1ELb1ELc84ELc85EKS1_S1_EviT_T0_PT8_S3_lS6_S3_lS4_PT9_S3_li.num_named_barrier, 0
	.set _ZL34rocblas_syrkx_herkx_general_kernelIl19rocblas_complex_numIdELi16ELi32ELi8ELb1ELb1ELc84ELc85EKS1_S1_EviT_T0_PT8_S3_lS6_S3_lS4_PT9_S3_li.private_seg_size, 0
	.set _ZL34rocblas_syrkx_herkx_general_kernelIl19rocblas_complex_numIdELi16ELi32ELi8ELb1ELb1ELc84ELc85EKS1_S1_EviT_T0_PT8_S3_lS6_S3_lS4_PT9_S3_li.uses_vcc, 1
	.set _ZL34rocblas_syrkx_herkx_general_kernelIl19rocblas_complex_numIdELi16ELi32ELi8ELb1ELb1ELc84ELc85EKS1_S1_EviT_T0_PT8_S3_lS6_S3_lS4_PT9_S3_li.uses_flat_scratch, 0
	.set _ZL34rocblas_syrkx_herkx_general_kernelIl19rocblas_complex_numIdELi16ELi32ELi8ELb1ELb1ELc84ELc85EKS1_S1_EviT_T0_PT8_S3_lS6_S3_lS4_PT9_S3_li.has_dyn_sized_stack, 0
	.set _ZL34rocblas_syrkx_herkx_general_kernelIl19rocblas_complex_numIdELi16ELi32ELi8ELb1ELb1ELc84ELc85EKS1_S1_EviT_T0_PT8_S3_lS6_S3_lS4_PT9_S3_li.has_recursion, 0
	.set _ZL34rocblas_syrkx_herkx_general_kernelIl19rocblas_complex_numIdELi16ELi32ELi8ELb1ELb1ELc84ELc85EKS1_S1_EviT_T0_PT8_S3_lS6_S3_lS4_PT9_S3_li.has_indirect_call, 0
	.section	.AMDGPU.csdata,"",@progbits
; Kernel info:
; codeLenInByte = 3288
; TotalNumSgprs: 34
; NumVgprs: 58
; ScratchSize: 0
; MemoryBound: 0
; FloatMode: 240
; IeeeMode: 1
; LDSByteSize: 8192 bytes/workgroup (compile time only)
; SGPRBlocks: 8
; VGPRBlocks: 14
; NumSGPRsForWavesPerEU: 65
; NumVGPRsForWavesPerEU: 58
; Occupancy: 4
; WaveLimiterHint : 0
; COMPUTE_PGM_RSRC2:SCRATCH_EN: 0
; COMPUTE_PGM_RSRC2:USER_SGPR: 6
; COMPUTE_PGM_RSRC2:TRAP_HANDLER: 0
; COMPUTE_PGM_RSRC2:TGID_X_EN: 1
; COMPUTE_PGM_RSRC2:TGID_Y_EN: 1
; COMPUTE_PGM_RSRC2:TGID_Z_EN: 1
; COMPUTE_PGM_RSRC2:TIDIG_COMP_CNT: 1
	.section	.text._ZL34rocblas_syrkx_herkx_general_kernelIl19rocblas_complex_numIdELi16ELi32ELi8ELb1ELb1ELc67ELc85EKS1_S1_EviT_T0_PT8_S3_lS6_S3_lS4_PT9_S3_li,"axG",@progbits,_ZL34rocblas_syrkx_herkx_general_kernelIl19rocblas_complex_numIdELi16ELi32ELi8ELb1ELb1ELc67ELc85EKS1_S1_EviT_T0_PT8_S3_lS6_S3_lS4_PT9_S3_li,comdat
	.globl	_ZL34rocblas_syrkx_herkx_general_kernelIl19rocblas_complex_numIdELi16ELi32ELi8ELb1ELb1ELc67ELc85EKS1_S1_EviT_T0_PT8_S3_lS6_S3_lS4_PT9_S3_li ; -- Begin function _ZL34rocblas_syrkx_herkx_general_kernelIl19rocblas_complex_numIdELi16ELi32ELi8ELb1ELb1ELc67ELc85EKS1_S1_EviT_T0_PT8_S3_lS6_S3_lS4_PT9_S3_li
	.p2align	8
	.type	_ZL34rocblas_syrkx_herkx_general_kernelIl19rocblas_complex_numIdELi16ELi32ELi8ELb1ELb1ELc67ELc85EKS1_S1_EviT_T0_PT8_S3_lS6_S3_lS4_PT9_S3_li,@function
_ZL34rocblas_syrkx_herkx_general_kernelIl19rocblas_complex_numIdELi16ELi32ELi8ELb1ELb1ELc67ELc85EKS1_S1_EviT_T0_PT8_S3_lS6_S3_lS4_PT9_S3_li: ; @_ZL34rocblas_syrkx_herkx_general_kernelIl19rocblas_complex_numIdELi16ELi32ELi8ELb1ELb1ELc67ELc85EKS1_S1_EviT_T0_PT8_S3_lS6_S3_lS4_PT9_S3_li
; %bb.0:
	s_load_dwordx16 s[12:27], s[4:5], 0x8
	s_load_dword s9, s[4:5], 0x0
	s_lshl_b32 s28, s6, 5
	s_lshl_b32 s29, s7, 5
	s_waitcnt lgkmcnt(0)
	v_cmp_lt_i64_e64 s[0:1], s[12:13], 1
	s_and_b64 vcc, exec, s[0:1]
	s_cbranch_vccnz .LBB1375_9
; %bb.1:
	v_lshl_add_u32 v2, v1, 4, v0
	v_and_b32_e32 v5, 31, v2
	v_or_b32_e32 v6, s28, v5
	v_and_b32_e32 v30, 7, v0
	v_lshrrev_b32_e32 v3, 3, v2
	v_lshrrev_b32_e32 v29, 5, v2
	v_cmp_gt_i32_e64 s[0:1], s9, v6
	v_lshlrev_b32_e32 v2, 4, v5
	v_lshlrev_b32_e32 v6, 4, v30
	v_lshl_or_b32 v31, v29, 9, v2
	v_lshl_or_b32 v2, v3, 7, v6
	v_add_u32_e32 v32, 0x1000, v2
	v_add_u32_e32 v2, s28, v5
	;; [unrolled: 1-line block ×3, first 2 shown]
	v_ashrrev_i32_e32 v3, 31, v2
	v_mul_lo_u32 v5, s20, v3
	v_mul_lo_u32 v8, s21, v2
	v_mad_u64_u32 v[2:3], s[2:3], s20, v2, 0
	s_mul_i32 s2, s23, s8
	s_mul_hi_u32 s3, s22, s8
	v_add3_u32 v3, v3, v5, v8
	v_lshlrev_b64 v[2:3], 4, v[2:3]
	s_add_i32 s3, s3, s2
	s_mul_i32 s2, s22, s8
	s_lshl_b64 s[2:3], s[2:3], 4
	v_mov_b32_e32 v5, s3
	v_add_co_u32_e64 v2, s[2:3], s2, v2
	v_addc_co_u32_e64 v3, s[2:3], v3, v5, s[2:3]
	v_lshlrev_b32_e32 v5, 4, v29
	v_add_co_u32_e64 v2, s[2:3], v2, v5
	v_addc_co_u32_e64 v3, s[2:3], 0, v3, s[2:3]
	s_load_dwordx2 s[6:7], s[4:5], 0x48
	v_ashrrev_i32_e32 v7, 31, v4
	v_mov_b32_e32 v9, 0x1000
	v_mov_b32_e32 v5, s19
	v_add_co_u32_e64 v8, s[2:3], s18, v2
	v_lshl_add_u32 v34, v1, 7, v9
	v_addc_co_u32_e64 v5, s[2:3], v5, v3, s[2:3]
	v_mul_lo_u32 v9, s26, v7
	v_mul_lo_u32 v10, s27, v4
	v_mad_u64_u32 v[2:3], s[2:3], s26, v4, 0
	v_add_co_u32_e64 v7, s[2:3], 8, v8
	v_addc_co_u32_e64 v8, s[2:3], 0, v5, s[2:3]
	v_add3_u32 v3, v3, v9, v10
	s_waitcnt lgkmcnt(0)
	s_mul_i32 s2, s7, s8
	s_mul_hi_u32 s3, s6, s8
	v_lshlrev_b64 v[2:3], 4, v[2:3]
	s_add_i32 s3, s3, s2
	s_mul_i32 s2, s6, s8
	s_lshl_b64 s[2:3], s[2:3], 4
	v_cmp_gt_i32_e32 vcc, s9, v4
	v_mov_b32_e32 v4, s3
	v_add_co_u32_e64 v2, s[2:3], s2, v2
	v_addc_co_u32_e64 v3, s[2:3], v3, v4, s[2:3]
	v_add_co_u32_e64 v2, s[2:3], v2, v6
	v_addc_co_u32_e64 v3, s[2:3], 0, v3, s[2:3]
	v_mov_b32_e32 v4, s25
	v_add_co_u32_e64 v9, s[2:3], s24, v2
	v_addc_co_u32_e64 v10, s[2:3], v4, v3, s[2:3]
	v_mov_b32_e32 v27, 0
	v_mov_b32_e32 v11, s12
	;; [unrolled: 1-line block ×9, first 2 shown]
	v_lshlrev_b32_e32 v33, 4, v0
	s_mov_b64 s[2:3], 0
	v_mov_b32_e32 v28, 0
	s_xor_b64 s[6:7], vcc, -1
	v_mov_b32_e32 v12, s13
	v_mov_b32_e32 v26, 0
	;; [unrolled: 1-line block ×9, first 2 shown]
	s_branch .LBB1375_3
.LBB1375_2:                             ;   in Loop: Header=BB1375_3 Depth=1
	s_or_b64 exec, exec, s[10:11]
	s_waitcnt lgkmcnt(0)
	s_barrier
	ds_read_b128 v[3:6], v34
	ds_read_b128 v[35:38], v34 offset:16
	ds_read_b128 v[39:42], v34 offset:32
	;; [unrolled: 1-line block ×3, first 2 shown]
	ds_read_b128 v[47:50], v33
	v_add_co_u32_e32 v7, vcc, 0x80, v7
	v_addc_co_u32_e32 v8, vcc, 0, v8, vcc
	s_waitcnt lgkmcnt(0)
	v_mul_f64 v[51:52], v[5:6], v[49:50]
	v_mul_f64 v[53:54], v[3:4], v[49:50]
	s_add_u32 s2, s2, 8
	v_add_co_u32_e32 v9, vcc, 0x80, v9
	s_addc_u32 s3, s3, 0
	v_addc_co_u32_e32 v10, vcc, 0, v10, vcc
	v_fma_f64 v[51:52], v[3:4], v[47:48], -v[51:52]
	v_fma_f64 v[53:54], v[5:6], v[47:48], v[53:54]
	v_cmp_ge_i64_e32 vcc, s[2:3], v[11:12]
	s_and_b64 vcc, exec, vcc
	v_add_f64 v[51:52], v[21:22], v[51:52]
	v_add_f64 v[53:54], v[53:54], v[23:24]
	ds_read_b128 v[21:24], v33 offset:256
	s_waitcnt lgkmcnt(0)
	v_mul_f64 v[55:56], v[5:6], v[23:24]
	v_fma_f64 v[55:56], v[3:4], v[21:22], -v[55:56]
	v_mul_f64 v[3:4], v[3:4], v[23:24]
	v_add_f64 v[55:56], v[13:14], v[55:56]
	v_fma_f64 v[3:4], v[5:6], v[21:22], v[3:4]
	v_add_f64 v[57:58], v[3:4], v[15:16]
	ds_read_b128 v[3:6], v34 offset:2048
	s_waitcnt lgkmcnt(0)
	v_mul_f64 v[13:14], v[5:6], v[49:50]
	v_mul_f64 v[15:16], v[3:4], v[49:50]
	v_fma_f64 v[13:14], v[3:4], v[47:48], -v[13:14]
	v_fma_f64 v[15:16], v[5:6], v[47:48], v[15:16]
	v_add_f64 v[47:48], v[17:18], v[13:14]
	v_mul_f64 v[13:14], v[5:6], v[23:24]
	v_add_f64 v[49:50], v[15:16], v[19:20]
	v_fma_f64 v[13:14], v[3:4], v[21:22], -v[13:14]
	v_mul_f64 v[3:4], v[3:4], v[23:24]
	v_fma_f64 v[3:4], v[5:6], v[21:22], v[3:4]
	v_add_f64 v[21:22], v[25:26], v[13:14]
	v_add_f64 v[23:24], v[3:4], v[27:28]
	ds_read_b128 v[3:6], v33 offset:512
	s_waitcnt lgkmcnt(0)
	v_mul_f64 v[13:14], v[37:38], v[5:6]
	v_mul_f64 v[15:16], v[35:36], v[5:6]
	v_fma_f64 v[13:14], v[35:36], v[3:4], -v[13:14]
	v_fma_f64 v[15:16], v[37:38], v[3:4], v[15:16]
	v_add_f64 v[25:26], v[51:52], v[13:14]
	v_add_f64 v[27:28], v[15:16], v[53:54]
	ds_read_b128 v[13:16], v33 offset:768
	s_waitcnt lgkmcnt(0)
	v_mul_f64 v[17:18], v[37:38], v[15:16]
	v_mul_f64 v[19:20], v[35:36], v[15:16]
	v_fma_f64 v[17:18], v[35:36], v[13:14], -v[17:18]
	;; [unrolled: 8-line block ×3, first 2 shown]
	v_fma_f64 v[3:4], v[19:20], v[3:4], v[5:6]
	v_mul_f64 v[5:6], v[17:18], v[15:16]
	v_add_f64 v[47:48], v[47:48], v[51:52]
	v_add_f64 v[49:50], v[3:4], v[49:50]
	v_mul_f64 v[3:4], v[19:20], v[15:16]
	v_fma_f64 v[5:6], v[19:20], v[13:14], v[5:6]
	v_fma_f64 v[3:4], v[17:18], v[13:14], -v[3:4]
	v_add_f64 v[23:24], v[5:6], v[23:24]
	v_add_f64 v[21:22], v[21:22], v[3:4]
	ds_read_b128 v[3:6], v33 offset:1024
	s_waitcnt lgkmcnt(0)
	v_mul_f64 v[13:14], v[41:42], v[5:6]
	v_mul_f64 v[15:16], v[39:40], v[5:6]
	v_fma_f64 v[13:14], v[39:40], v[3:4], -v[13:14]
	v_fma_f64 v[15:16], v[41:42], v[3:4], v[15:16]
	v_add_f64 v[25:26], v[25:26], v[13:14]
	v_add_f64 v[27:28], v[15:16], v[27:28]
	ds_read_b128 v[13:16], v33 offset:1280
	s_waitcnt lgkmcnt(0)
	v_mul_f64 v[17:18], v[41:42], v[15:16]
	v_mul_f64 v[19:20], v[39:40], v[15:16]
	v_fma_f64 v[17:18], v[39:40], v[13:14], -v[17:18]
	v_fma_f64 v[19:20], v[41:42], v[13:14], v[19:20]
	v_add_f64 v[35:36], v[35:36], v[17:18]
	v_add_f64 v[37:38], v[19:20], v[37:38]
	ds_read_b128 v[17:20], v34 offset:2080
	s_waitcnt lgkmcnt(0)
	v_mul_f64 v[39:40], v[19:20], v[5:6]
	v_mul_f64 v[5:6], v[17:18], v[5:6]
	v_fma_f64 v[39:40], v[17:18], v[3:4], -v[39:40]
	v_fma_f64 v[3:4], v[19:20], v[3:4], v[5:6]
	v_mul_f64 v[5:6], v[17:18], v[15:16]
	v_add_f64 v[39:40], v[47:48], v[39:40]
	v_add_f64 v[41:42], v[3:4], v[49:50]
	v_mul_f64 v[3:4], v[19:20], v[15:16]
	v_fma_f64 v[5:6], v[19:20], v[13:14], v[5:6]
	v_fma_f64 v[3:4], v[17:18], v[13:14], -v[3:4]
	v_add_f64 v[23:24], v[5:6], v[23:24]
	v_add_f64 v[21:22], v[21:22], v[3:4]
	ds_read_b128 v[3:6], v33 offset:1536
	s_waitcnt lgkmcnt(0)
	v_mul_f64 v[13:14], v[45:46], v[5:6]
	v_mul_f64 v[15:16], v[43:44], v[5:6]
	v_fma_f64 v[13:14], v[43:44], v[3:4], -v[13:14]
	v_fma_f64 v[15:16], v[45:46], v[3:4], v[15:16]
	v_add_f64 v[25:26], v[25:26], v[13:14]
	v_add_f64 v[27:28], v[15:16], v[27:28]
	ds_read_b128 v[13:16], v33 offset:1792
	s_waitcnt lgkmcnt(0)
	v_mul_f64 v[17:18], v[45:46], v[15:16]
	v_mul_f64 v[19:20], v[43:44], v[15:16]
	v_fma_f64 v[17:18], v[43:44], v[13:14], -v[17:18]
	v_fma_f64 v[19:20], v[45:46], v[13:14], v[19:20]
	;; [unrolled: 8-line block ×3, first 2 shown]
	v_mul_f64 v[5:6], v[17:18], v[15:16]
	v_add_f64 v[39:40], v[39:40], v[43:44]
	v_add_f64 v[41:42], v[3:4], v[41:42]
	v_mul_f64 v[3:4], v[19:20], v[15:16]
	v_fma_f64 v[5:6], v[19:20], v[13:14], v[5:6]
	v_fma_f64 v[3:4], v[17:18], v[13:14], -v[3:4]
	v_add_f64 v[23:24], v[5:6], v[23:24]
	v_add_f64 v[21:22], v[21:22], v[3:4]
	ds_read_b128 v[3:6], v34 offset:64
	ds_read_b128 v[13:16], v33 offset:2048
	s_waitcnt lgkmcnt(0)
	v_mul_f64 v[17:18], v[5:6], v[15:16]
	v_mul_f64 v[19:20], v[3:4], v[15:16]
	v_fma_f64 v[17:18], v[3:4], v[13:14], -v[17:18]
	v_fma_f64 v[19:20], v[5:6], v[13:14], v[19:20]
	v_add_f64 v[25:26], v[25:26], v[17:18]
	v_add_f64 v[27:28], v[19:20], v[27:28]
	ds_read_b128 v[17:20], v33 offset:2304
	s_waitcnt lgkmcnt(0)
	v_mul_f64 v[43:44], v[5:6], v[19:20]
	v_fma_f64 v[43:44], v[3:4], v[17:18], -v[43:44]
	v_mul_f64 v[3:4], v[3:4], v[19:20]
	v_add_f64 v[35:36], v[35:36], v[43:44]
	v_fma_f64 v[3:4], v[5:6], v[17:18], v[3:4]
	v_add_f64 v[37:38], v[3:4], v[37:38]
	ds_read_b128 v[3:6], v34 offset:2112
	s_waitcnt lgkmcnt(0)
	v_mul_f64 v[43:44], v[5:6], v[15:16]
	v_mul_f64 v[15:16], v[3:4], v[15:16]
	v_fma_f64 v[43:44], v[3:4], v[13:14], -v[43:44]
	v_fma_f64 v[13:14], v[5:6], v[13:14], v[15:16]
	v_add_f64 v[39:40], v[39:40], v[43:44]
	v_add_f64 v[41:42], v[13:14], v[41:42]
	v_mul_f64 v[13:14], v[5:6], v[19:20]
	v_fma_f64 v[13:14], v[3:4], v[17:18], -v[13:14]
	v_mul_f64 v[3:4], v[3:4], v[19:20]
	v_add_f64 v[21:22], v[21:22], v[13:14]
	v_fma_f64 v[3:4], v[5:6], v[17:18], v[3:4]
	v_add_f64 v[23:24], v[3:4], v[23:24]
	ds_read_b128 v[3:6], v34 offset:80
	ds_read_b128 v[13:16], v33 offset:2560
	s_waitcnt lgkmcnt(0)
	v_mul_f64 v[17:18], v[5:6], v[15:16]
	v_mul_f64 v[19:20], v[3:4], v[15:16]
	v_fma_f64 v[17:18], v[3:4], v[13:14], -v[17:18]
	v_fma_f64 v[19:20], v[5:6], v[13:14], v[19:20]
	v_add_f64 v[25:26], v[25:26], v[17:18]
	v_add_f64 v[27:28], v[19:20], v[27:28]
	ds_read_b128 v[17:20], v33 offset:2816
	s_waitcnt lgkmcnt(0)
	v_mul_f64 v[43:44], v[5:6], v[19:20]
	v_fma_f64 v[43:44], v[3:4], v[17:18], -v[43:44]
	v_mul_f64 v[3:4], v[3:4], v[19:20]
	v_add_f64 v[35:36], v[35:36], v[43:44]
	v_fma_f64 v[3:4], v[5:6], v[17:18], v[3:4]
	v_add_f64 v[37:38], v[3:4], v[37:38]
	ds_read_b128 v[3:6], v34 offset:2128
	s_waitcnt lgkmcnt(0)
	v_mul_f64 v[43:44], v[5:6], v[15:16]
	v_mul_f64 v[15:16], v[3:4], v[15:16]
	v_fma_f64 v[43:44], v[3:4], v[13:14], -v[43:44]
	v_fma_f64 v[13:14], v[5:6], v[13:14], v[15:16]
	v_add_f64 v[39:40], v[39:40], v[43:44]
	v_add_f64 v[41:42], v[13:14], v[41:42]
	v_mul_f64 v[13:14], v[5:6], v[19:20]
	v_fma_f64 v[13:14], v[3:4], v[17:18], -v[13:14]
	v_mul_f64 v[3:4], v[3:4], v[19:20]
	v_add_f64 v[21:22], v[21:22], v[13:14]
	v_fma_f64 v[3:4], v[5:6], v[17:18], v[3:4]
	;; [unrolled: 31-line block ×3, first 2 shown]
	v_add_f64 v[45:46], v[3:4], v[23:24]
	ds_read_b128 v[3:6], v34 offset:112
	ds_read_b128 v[17:20], v33 offset:3584
	s_waitcnt lgkmcnt(0)
	v_mul_f64 v[13:14], v[5:6], v[19:20]
	v_mul_f64 v[15:16], v[3:4], v[19:20]
	v_fma_f64 v[13:14], v[3:4], v[17:18], -v[13:14]
	v_fma_f64 v[15:16], v[5:6], v[17:18], v[15:16]
	v_add_f64 v[21:22], v[25:26], v[13:14]
	v_add_f64 v[23:24], v[15:16], v[27:28]
	ds_read_b128 v[25:28], v33 offset:3840
	s_waitcnt lgkmcnt(0)
	v_mul_f64 v[13:14], v[5:6], v[27:28]
	v_fma_f64 v[13:14], v[3:4], v[25:26], -v[13:14]
	v_mul_f64 v[3:4], v[3:4], v[27:28]
	v_add_f64 v[13:14], v[35:36], v[13:14]
	v_fma_f64 v[3:4], v[5:6], v[25:26], v[3:4]
	v_add_f64 v[15:16], v[3:4], v[37:38]
	ds_read_b128 v[3:6], v34 offset:2160
	s_waitcnt lgkmcnt(0)
	s_barrier
	v_mul_f64 v[35:36], v[5:6], v[19:20]
	v_mul_f64 v[19:20], v[3:4], v[19:20]
	v_fma_f64 v[35:36], v[3:4], v[17:18], -v[35:36]
	v_fma_f64 v[19:20], v[5:6], v[17:18], v[19:20]
	v_add_f64 v[17:18], v[39:40], v[35:36]
	v_mul_f64 v[35:36], v[5:6], v[27:28]
	v_add_f64 v[19:20], v[19:20], v[41:42]
	v_fma_f64 v[35:36], v[3:4], v[25:26], -v[35:36]
	v_mul_f64 v[3:4], v[3:4], v[27:28]
	v_fma_f64 v[3:4], v[5:6], v[25:26], v[3:4]
	v_add_f64 v[25:26], v[43:44], v[35:36]
	v_add_f64 v[27:28], v[3:4], v[45:46]
	s_cbranch_vccnz .LBB1375_10
.LBB1375_3:                             ; =>This Inner Loop Header: Depth=1
	v_mov_b32_e32 v4, s3
	v_add_co_u32_e32 v3, vcc, s2, v29
	v_addc_co_u32_e32 v4, vcc, 0, v4, vcc
	v_cmp_gt_i64_e32 vcc, s[12:13], v[3:4]
	v_mov_b32_e32 v3, 0
	v_mov_b32_e32 v5, 0
	;; [unrolled: 1-line block ×4, first 2 shown]
	s_and_b64 s[18:19], s[0:1], vcc
	s_and_saveexec_b64 s[10:11], s[18:19]
	s_cbranch_execz .LBB1375_5
; %bb.4:                                ;   in Loop: Header=BB1375_3 Depth=1
	global_load_dwordx4 v[3:6], v[7:8], off offset:-8
	s_waitcnt vmcnt(0)
	v_xor_b32_e32 v6, 0x80000000, v6
.LBB1375_5:                             ;   in Loop: Header=BB1375_3 Depth=1
	s_or_b64 exec, exec, s[10:11]
	v_mov_b32_e32 v36, s3
	v_add_co_u32_e32 v35, vcc, s2, v30
	v_addc_co_u32_e32 v36, vcc, 0, v36, vcc
	v_cmp_le_i64_e32 vcc, s[12:13], v[35:36]
	ds_write_b128 v31, v[3:6]
	s_or_b64 s[10:11], vcc, s[6:7]
	s_and_saveexec_b64 s[18:19], s[10:11]
	s_xor_b64 s[10:11], exec, s[18:19]
; %bb.6:                                ;   in Loop: Header=BB1375_3 Depth=1
	v_mov_b32_e32 v3, v2
	v_mov_b32_e32 v4, v2
	;; [unrolled: 1-line block ×3, first 2 shown]
	ds_write_b128 v32, v[2:5]
; %bb.7:                                ;   in Loop: Header=BB1375_3 Depth=1
	s_andn2_saveexec_b64 s[10:11], s[10:11]
	s_cbranch_execz .LBB1375_2
; %bb.8:                                ;   in Loop: Header=BB1375_3 Depth=1
	global_load_dwordx4 v[3:6], v[9:10], off
	s_waitcnt vmcnt(0)
	ds_write2_b64 v32, v[3:4], v[5:6] offset1:1
	s_branch .LBB1375_2
.LBB1375_9:
	v_mov_b32_e32 v21, 0
	v_mov_b32_e32 v23, 0
	;; [unrolled: 1-line block ×16, first 2 shown]
.LBB1375_10:
	s_load_dwordx2 s[6:7], s[4:5], 0x70
	s_load_dwordx4 s[0:3], s[4:5], 0x60
	v_add_u32_e32 v4, s29, v1
	v_ashrrev_i32_e32 v1, 31, v4
	v_add_u32_e32 v0, s28, v0
	s_waitcnt lgkmcnt(0)
	s_mul_i32 s5, s7, s8
	v_mul_lo_u32 v3, s2, v1
	v_mul_lo_u32 v5, s3, v4
	v_mad_u64_u32 v[1:2], s[10:11], s2, v4, 0
	s_mul_hi_u32 s7, s6, s8
	s_mul_i32 s4, s6, s8
	s_add_i32 s5, s7, s5
	s_lshl_b64 s[4:5], s[4:5], 4
	v_add3_u32 v2, v2, v3, v5
	s_add_u32 s6, s0, s4
	v_lshlrev_b64 v[1:2], 4, v[1:2]
	s_addc_u32 s7, s1, s5
	v_mov_b32_e32 v3, s7
	v_add_co_u32_e64 v5, s[0:1], s6, v1
	v_addc_co_u32_e64 v6, s[0:1], v3, v2, s[0:1]
	v_cmp_gt_i32_e32 vcc, s9, v4
	v_cmp_le_i32_e64 s[0:1], v0, v4
	s_and_b64 s[0:1], vcc, s[0:1]
	s_and_saveexec_b64 s[4:5], s[0:1]
	s_cbranch_execz .LBB1375_12
; %bb.11:
	v_mul_f64 v[2:3], s[14:15], v[23:24]
	v_mul_f64 v[7:8], s[16:17], v[23:24]
	v_ashrrev_i32_e32 v1, 31, v0
	v_lshlrev_b64 v[9:10], 4, v[0:1]
	v_add_co_u32_e64 v11, s[0:1], v5, v9
	v_addc_co_u32_e64 v12, s[0:1], v6, v10, s[0:1]
	v_fma_f64 v[2:3], s[16:17], v[21:22], v[2:3]
	v_fma_f64 v[7:8], s[14:15], v[21:22], -v[7:8]
	v_cmp_ne_u32_e64 s[0:1], v4, v0
	v_cndmask_b32_e64 v10, 0, v3, s[0:1]
	v_cndmask_b32_e64 v9, 0, v2, s[0:1]
	global_store_dwordx4 v[11:12], v[7:10], off
.LBB1375_12:
	s_or_b64 exec, exec, s[4:5]
	v_add_u32_e32 v2, 16, v0
	v_cmp_le_i32_e64 s[0:1], v2, v4
	s_and_b64 s[4:5], vcc, s[0:1]
	s_and_saveexec_b64 s[0:1], s[4:5]
	s_cbranch_execz .LBB1375_14
; %bb.13:
	v_mul_f64 v[7:8], s[14:15], v[15:16]
	v_mul_f64 v[9:10], s[16:17], v[15:16]
	v_ashrrev_i32_e32 v3, 31, v2
	v_lshlrev_b64 v[15:16], 4, v[2:3]
	v_add_co_u32_e32 v5, vcc, v5, v15
	v_addc_co_u32_e32 v6, vcc, v6, v16, vcc
	v_fma_f64 v[11:12], s[16:17], v[13:14], v[7:8]
	v_fma_f64 v[7:8], s[14:15], v[13:14], -v[9:10]
	v_cmp_ne_u32_e32 vcc, v4, v2
	v_cndmask_b32_e32 v10, 0, v12, vcc
	v_cndmask_b32_e32 v9, 0, v11, vcc
	global_store_dwordx4 v[5:6], v[7:10], off
.LBB1375_14:
	s_or_b64 exec, exec, s[0:1]
	v_add_u32_e32 v3, 16, v4
	v_ashrrev_i32_e32 v1, 31, v3
	v_mul_lo_u32 v1, s2, v1
	v_mul_lo_u32 v7, s3, v3
	v_mad_u64_u32 v[5:6], s[0:1], s2, v3, 0
	v_cmp_gt_i32_e32 vcc, s9, v3
	v_add3_u32 v6, v6, v1, v7
	v_lshlrev_b64 v[5:6], 4, v[5:6]
	v_mov_b32_e32 v1, s7
	v_add_co_u32_e64 v5, s[0:1], s6, v5
	v_addc_co_u32_e64 v6, s[0:1], v1, v6, s[0:1]
	v_cmp_le_i32_e64 s[0:1], v0, v3
	s_and_b64 s[0:1], vcc, s[0:1]
	s_and_saveexec_b64 s[2:3], s[0:1]
	s_cbranch_execz .LBB1375_16
; %bb.15:
	v_mul_f64 v[7:8], s[14:15], v[19:20]
	v_mul_f64 v[9:10], s[16:17], v[19:20]
	v_ashrrev_i32_e32 v1, 31, v0
	v_lshlrev_b64 v[13:14], 4, v[0:1]
	v_add_co_u32_e64 v13, s[0:1], v5, v13
	v_addc_co_u32_e64 v14, s[0:1], v6, v14, s[0:1]
	v_fma_f64 v[11:12], s[16:17], v[17:18], v[7:8]
	v_fma_f64 v[7:8], s[14:15], v[17:18], -v[9:10]
	v_cmp_ne_u32_e64 s[0:1], v3, v0
	v_cndmask_b32_e64 v10, 0, v12, s[0:1]
	v_cndmask_b32_e64 v9, 0, v11, s[0:1]
	global_store_dwordx4 v[13:14], v[7:10], off
.LBB1375_16:
	s_or_b64 exec, exec, s[2:3]
	v_cmp_le_i32_e64 s[0:1], v2, v3
	s_and_b64 s[0:1], vcc, s[0:1]
	s_and_saveexec_b64 s[2:3], s[0:1]
	s_cbranch_execz .LBB1375_18
; %bb.17:
	v_mul_f64 v[7:8], s[14:15], v[27:28]
	v_mul_f64 v[9:10], s[16:17], v[27:28]
	v_ashrrev_i32_e32 v3, 31, v2
	v_lshlrev_b64 v[11:12], 4, v[2:3]
	v_add_co_u32_e32 v5, vcc, v5, v11
	v_addc_co_u32_e32 v6, vcc, v6, v12, vcc
	v_fma_f64 v[7:8], s[16:17], v[25:26], v[7:8]
	v_fma_f64 v[1:2], s[14:15], v[25:26], -v[9:10]
	v_cmp_ne_u32_e32 vcc, v4, v0
	v_cndmask_b32_e32 v4, 0, v8, vcc
	v_cndmask_b32_e32 v3, 0, v7, vcc
	global_store_dwordx4 v[5:6], v[1:4], off
.LBB1375_18:
	s_endpgm
	.section	.rodata,"a",@progbits
	.p2align	6, 0x0
	.amdhsa_kernel _ZL34rocblas_syrkx_herkx_general_kernelIl19rocblas_complex_numIdELi16ELi32ELi8ELb1ELb1ELc67ELc85EKS1_S1_EviT_T0_PT8_S3_lS6_S3_lS4_PT9_S3_li
		.amdhsa_group_segment_fixed_size 8192
		.amdhsa_private_segment_fixed_size 0
		.amdhsa_kernarg_size 124
		.amdhsa_user_sgpr_count 6
		.amdhsa_user_sgpr_private_segment_buffer 1
		.amdhsa_user_sgpr_dispatch_ptr 0
		.amdhsa_user_sgpr_queue_ptr 0
		.amdhsa_user_sgpr_kernarg_segment_ptr 1
		.amdhsa_user_sgpr_dispatch_id 0
		.amdhsa_user_sgpr_flat_scratch_init 0
		.amdhsa_user_sgpr_private_segment_size 0
		.amdhsa_uses_dynamic_stack 0
		.amdhsa_system_sgpr_private_segment_wavefront_offset 0
		.amdhsa_system_sgpr_workgroup_id_x 1
		.amdhsa_system_sgpr_workgroup_id_y 1
		.amdhsa_system_sgpr_workgroup_id_z 1
		.amdhsa_system_sgpr_workgroup_info 0
		.amdhsa_system_vgpr_workitem_id 1
		.amdhsa_next_free_vgpr 59
		.amdhsa_next_free_sgpr 61
		.amdhsa_reserve_vcc 1
		.amdhsa_reserve_flat_scratch 0
		.amdhsa_float_round_mode_32 0
		.amdhsa_float_round_mode_16_64 0
		.amdhsa_float_denorm_mode_32 3
		.amdhsa_float_denorm_mode_16_64 3
		.amdhsa_dx10_clamp 1
		.amdhsa_ieee_mode 1
		.amdhsa_fp16_overflow 0
		.amdhsa_exception_fp_ieee_invalid_op 0
		.amdhsa_exception_fp_denorm_src 0
		.amdhsa_exception_fp_ieee_div_zero 0
		.amdhsa_exception_fp_ieee_overflow 0
		.amdhsa_exception_fp_ieee_underflow 0
		.amdhsa_exception_fp_ieee_inexact 0
		.amdhsa_exception_int_div_zero 0
	.end_amdhsa_kernel
	.section	.text._ZL34rocblas_syrkx_herkx_general_kernelIl19rocblas_complex_numIdELi16ELi32ELi8ELb1ELb1ELc67ELc85EKS1_S1_EviT_T0_PT8_S3_lS6_S3_lS4_PT9_S3_li,"axG",@progbits,_ZL34rocblas_syrkx_herkx_general_kernelIl19rocblas_complex_numIdELi16ELi32ELi8ELb1ELb1ELc67ELc85EKS1_S1_EviT_T0_PT8_S3_lS6_S3_lS4_PT9_S3_li,comdat
.Lfunc_end1375:
	.size	_ZL34rocblas_syrkx_herkx_general_kernelIl19rocblas_complex_numIdELi16ELi32ELi8ELb1ELb1ELc67ELc85EKS1_S1_EviT_T0_PT8_S3_lS6_S3_lS4_PT9_S3_li, .Lfunc_end1375-_ZL34rocblas_syrkx_herkx_general_kernelIl19rocblas_complex_numIdELi16ELi32ELi8ELb1ELb1ELc67ELc85EKS1_S1_EviT_T0_PT8_S3_lS6_S3_lS4_PT9_S3_li
                                        ; -- End function
	.set _ZL34rocblas_syrkx_herkx_general_kernelIl19rocblas_complex_numIdELi16ELi32ELi8ELb1ELb1ELc67ELc85EKS1_S1_EviT_T0_PT8_S3_lS6_S3_lS4_PT9_S3_li.num_vgpr, 59
	.set _ZL34rocblas_syrkx_herkx_general_kernelIl19rocblas_complex_numIdELi16ELi32ELi8ELb1ELb1ELc67ELc85EKS1_S1_EviT_T0_PT8_S3_lS6_S3_lS4_PT9_S3_li.num_agpr, 0
	.set _ZL34rocblas_syrkx_herkx_general_kernelIl19rocblas_complex_numIdELi16ELi32ELi8ELb1ELb1ELc67ELc85EKS1_S1_EviT_T0_PT8_S3_lS6_S3_lS4_PT9_S3_li.numbered_sgpr, 30
	.set _ZL34rocblas_syrkx_herkx_general_kernelIl19rocblas_complex_numIdELi16ELi32ELi8ELb1ELb1ELc67ELc85EKS1_S1_EviT_T0_PT8_S3_lS6_S3_lS4_PT9_S3_li.num_named_barrier, 0
	.set _ZL34rocblas_syrkx_herkx_general_kernelIl19rocblas_complex_numIdELi16ELi32ELi8ELb1ELb1ELc67ELc85EKS1_S1_EviT_T0_PT8_S3_lS6_S3_lS4_PT9_S3_li.private_seg_size, 0
	.set _ZL34rocblas_syrkx_herkx_general_kernelIl19rocblas_complex_numIdELi16ELi32ELi8ELb1ELb1ELc67ELc85EKS1_S1_EviT_T0_PT8_S3_lS6_S3_lS4_PT9_S3_li.uses_vcc, 1
	.set _ZL34rocblas_syrkx_herkx_general_kernelIl19rocblas_complex_numIdELi16ELi32ELi8ELb1ELb1ELc67ELc85EKS1_S1_EviT_T0_PT8_S3_lS6_S3_lS4_PT9_S3_li.uses_flat_scratch, 0
	.set _ZL34rocblas_syrkx_herkx_general_kernelIl19rocblas_complex_numIdELi16ELi32ELi8ELb1ELb1ELc67ELc85EKS1_S1_EviT_T0_PT8_S3_lS6_S3_lS4_PT9_S3_li.has_dyn_sized_stack, 0
	.set _ZL34rocblas_syrkx_herkx_general_kernelIl19rocblas_complex_numIdELi16ELi32ELi8ELb1ELb1ELc67ELc85EKS1_S1_EviT_T0_PT8_S3_lS6_S3_lS4_PT9_S3_li.has_recursion, 0
	.set _ZL34rocblas_syrkx_herkx_general_kernelIl19rocblas_complex_numIdELi16ELi32ELi8ELb1ELb1ELc67ELc85EKS1_S1_EviT_T0_PT8_S3_lS6_S3_lS4_PT9_S3_li.has_indirect_call, 0
	.section	.AMDGPU.csdata,"",@progbits
; Kernel info:
; codeLenInByte = 3296
; TotalNumSgprs: 34
; NumVgprs: 59
; ScratchSize: 0
; MemoryBound: 1
; FloatMode: 240
; IeeeMode: 1
; LDSByteSize: 8192 bytes/workgroup (compile time only)
; SGPRBlocks: 8
; VGPRBlocks: 14
; NumSGPRsForWavesPerEU: 65
; NumVGPRsForWavesPerEU: 59
; Occupancy: 4
; WaveLimiterHint : 0
; COMPUTE_PGM_RSRC2:SCRATCH_EN: 0
; COMPUTE_PGM_RSRC2:USER_SGPR: 6
; COMPUTE_PGM_RSRC2:TRAP_HANDLER: 0
; COMPUTE_PGM_RSRC2:TGID_X_EN: 1
; COMPUTE_PGM_RSRC2:TGID_Y_EN: 1
; COMPUTE_PGM_RSRC2:TGID_Z_EN: 1
; COMPUTE_PGM_RSRC2:TIDIG_COMP_CNT: 1
	.section	.text._ZL34rocblas_syrkx_herkx_general_kernelIl19rocblas_complex_numIdELi16ELi32ELi8ELb1ELb1ELc78ELc85EKS1_S1_EviT_T0_PT8_S3_lS6_S3_lS4_PT9_S3_li,"axG",@progbits,_ZL34rocblas_syrkx_herkx_general_kernelIl19rocblas_complex_numIdELi16ELi32ELi8ELb1ELb1ELc78ELc85EKS1_S1_EviT_T0_PT8_S3_lS6_S3_lS4_PT9_S3_li,comdat
	.globl	_ZL34rocblas_syrkx_herkx_general_kernelIl19rocblas_complex_numIdELi16ELi32ELi8ELb1ELb1ELc78ELc85EKS1_S1_EviT_T0_PT8_S3_lS6_S3_lS4_PT9_S3_li ; -- Begin function _ZL34rocblas_syrkx_herkx_general_kernelIl19rocblas_complex_numIdELi16ELi32ELi8ELb1ELb1ELc78ELc85EKS1_S1_EviT_T0_PT8_S3_lS6_S3_lS4_PT9_S3_li
	.p2align	8
	.type	_ZL34rocblas_syrkx_herkx_general_kernelIl19rocblas_complex_numIdELi16ELi32ELi8ELb1ELb1ELc78ELc85EKS1_S1_EviT_T0_PT8_S3_lS6_S3_lS4_PT9_S3_li,@function
_ZL34rocblas_syrkx_herkx_general_kernelIl19rocblas_complex_numIdELi16ELi32ELi8ELb1ELb1ELc78ELc85EKS1_S1_EviT_T0_PT8_S3_lS6_S3_lS4_PT9_S3_li: ; @_ZL34rocblas_syrkx_herkx_general_kernelIl19rocblas_complex_numIdELi16ELi32ELi8ELb1ELb1ELc78ELc85EKS1_S1_EviT_T0_PT8_S3_lS6_S3_lS4_PT9_S3_li
; %bb.0:
	s_load_dwordx16 s[12:27], s[4:5], 0x8
	s_load_dword s9, s[4:5], 0x0
	s_lshl_b32 s28, s6, 5
	s_lshl_b32 s29, s7, 5
	s_waitcnt lgkmcnt(0)
	v_cmp_lt_i64_e64 s[0:1], s[12:13], 1
	s_and_b64 vcc, exec, s[0:1]
	s_cbranch_vccnz .LBB1376_9
; %bb.1:
	v_lshl_add_u32 v3, v1, 4, v0
	v_and_b32_e32 v7, 31, v3
	v_or_b32_e32 v4, s28, v7
	v_lshrrev_b32_e32 v29, 5, v3
	v_cmp_gt_i32_e32 vcc, s9, v4
	v_mad_u64_u32 v[4:5], s[2:3], s20, v29, 0
	v_lshrrev_b32_e32 v6, 3, v3
	v_and_b32_e32 v30, 7, v0
	v_lshlrev_b32_e32 v3, 4, v7
	v_lshl_or_b32 v31, v29, 9, v3
	v_lshlrev_b32_e32 v3, 4, v30
	v_add_u32_e32 v2, s29, v6
	v_lshl_or_b32 v3, v6, 7, v3
	v_mad_u64_u32 v[5:6], s[2:3], s21, v29, v[5:6]
	s_mul_i32 s2, s23, s8
	s_mul_hi_u32 s3, s22, s8
	v_lshlrev_b64 v[4:5], 4, v[4:5]
	s_add_i32 s3, s3, s2
	s_mul_i32 s2, s22, s8
	v_mov_b32_e32 v6, 0x1000
	s_lshl_b64 s[2:3], s[2:3], 4
	v_lshl_add_u32 v34, v1, 7, v6
	v_mov_b32_e32 v6, s3
	v_add_co_u32_e64 v8, s[2:3], s2, v4
	v_add_u32_e32 v4, s28, v7
	v_addc_co_u32_e64 v6, s[2:3], v5, v6, s[2:3]
	v_ashrrev_i32_e32 v5, 31, v4
	v_lshlrev_b64 v[4:5], 4, v[4:5]
	s_load_dwordx2 s[10:11], s[4:5], 0x48
	v_add_co_u32_e64 v4, s[2:3], v8, v4
	v_addc_co_u32_e64 v5, s[2:3], v6, v5, s[2:3]
	v_mov_b32_e32 v6, s19
	v_add_co_u32_e64 v7, s[2:3], s18, v4
	v_addc_co_u32_e64 v8, s[2:3], v6, v5, s[2:3]
	v_mad_u64_u32 v[4:5], s[2:3], s26, v30, 0
	s_waitcnt lgkmcnt(0)
	s_mul_i32 s11, s11, s8
	s_mul_hi_u32 s18, s10, s8
	v_mad_u64_u32 v[5:6], s[2:3], s27, v30, v[5:6]
	s_add_i32 s3, s18, s11
	s_mul_i32 s2, s10, s8
	v_lshlrev_b64 v[4:5], 4, v[4:5]
	v_add_u32_e32 v32, 0x1000, v3
	v_ashrrev_i32_e32 v3, 31, v2
	s_lshl_b64 s[2:3], s[2:3], 4
	v_cmp_gt_i32_e64 s[0:1], s9, v2
	v_mov_b32_e32 v6, s3
	v_add_co_u32_e64 v4, s[2:3], s2, v4
	v_lshlrev_b64 v[2:3], 4, v[2:3]
	v_addc_co_u32_e64 v5, s[2:3], v6, v5, s[2:3]
	v_add_co_u32_e64 v2, s[2:3], v4, v2
	v_addc_co_u32_e64 v3, s[2:3], v5, v3, s[2:3]
	v_mov_b32_e32 v4, s25
	v_add_co_u32_e64 v2, s[2:3], s24, v2
	v_addc_co_u32_e64 v3, s[2:3], v4, v3, s[2:3]
	v_add_co_u32_e64 v9, s[2:3], 8, v2
	v_addc_co_u32_e64 v10, s[2:3], 0, v3, s[2:3]
	s_lshl_b64 s[6:7], s[20:21], 7
	s_lshl_b64 s[2:3], s[26:27], 7
	v_mov_b32_e32 v27, 0
	v_mov_b32_e32 v11, s12
	;; [unrolled: 1-line block ×9, first 2 shown]
	v_lshlrev_b32_e32 v33, 4, v0
	s_mov_b64 s[10:11], 0
	v_mov_b32_e32 v28, 0
	s_xor_b64 s[18:19], vcc, -1
	v_mov_b32_e32 v35, s7
	v_mov_b32_e32 v36, s3
	;; [unrolled: 1-line block ×11, first 2 shown]
	s_branch .LBB1376_3
.LBB1376_2:                             ;   in Loop: Header=BB1376_3 Depth=1
	s_or_b64 exec, exec, s[20:21]
	ds_write_b128 v32, v[3:6]
	s_waitcnt lgkmcnt(0)
	s_barrier
	ds_read_b128 v[3:6], v34
	ds_read_b128 v[37:40], v34 offset:16
	ds_read_b128 v[41:44], v34 offset:32
	;; [unrolled: 1-line block ×3, first 2 shown]
	ds_read_b128 v[49:52], v33
	v_add_co_u32_e32 v7, vcc, s6, v7
	v_addc_co_u32_e32 v8, vcc, v8, v35, vcc
	s_waitcnt lgkmcnt(0)
	v_mul_f64 v[53:54], v[5:6], v[51:52]
	v_mul_f64 v[55:56], v[3:4], v[51:52]
	s_add_u32 s10, s10, 8
	v_add_co_u32_e32 v9, vcc, s2, v9
	s_addc_u32 s11, s11, 0
	v_addc_co_u32_e32 v10, vcc, v10, v36, vcc
	v_fma_f64 v[53:54], v[3:4], v[49:50], -v[53:54]
	v_fma_f64 v[55:56], v[5:6], v[49:50], v[55:56]
	v_cmp_ge_i64_e32 vcc, s[10:11], v[11:12]
	s_and_b64 vcc, exec, vcc
	v_add_f64 v[53:54], v[21:22], v[53:54]
	v_add_f64 v[55:56], v[55:56], v[23:24]
	ds_read_b128 v[21:24], v33 offset:256
	s_waitcnt lgkmcnt(0)
	v_mul_f64 v[57:58], v[5:6], v[23:24]
	v_fma_f64 v[57:58], v[3:4], v[21:22], -v[57:58]
	v_mul_f64 v[3:4], v[3:4], v[23:24]
	v_add_f64 v[57:58], v[13:14], v[57:58]
	v_fma_f64 v[3:4], v[5:6], v[21:22], v[3:4]
	v_add_f64 v[59:60], v[3:4], v[15:16]
	ds_read_b128 v[3:6], v34 offset:2048
	s_waitcnt lgkmcnt(0)
	v_mul_f64 v[13:14], v[5:6], v[51:52]
	v_mul_f64 v[15:16], v[3:4], v[51:52]
	v_fma_f64 v[13:14], v[3:4], v[49:50], -v[13:14]
	v_fma_f64 v[15:16], v[5:6], v[49:50], v[15:16]
	v_add_f64 v[49:50], v[17:18], v[13:14]
	v_mul_f64 v[13:14], v[5:6], v[23:24]
	v_add_f64 v[51:52], v[15:16], v[19:20]
	v_fma_f64 v[13:14], v[3:4], v[21:22], -v[13:14]
	v_mul_f64 v[3:4], v[3:4], v[23:24]
	v_fma_f64 v[3:4], v[5:6], v[21:22], v[3:4]
	v_add_f64 v[21:22], v[25:26], v[13:14]
	v_add_f64 v[23:24], v[3:4], v[27:28]
	ds_read_b128 v[3:6], v33 offset:512
	s_waitcnt lgkmcnt(0)
	v_mul_f64 v[13:14], v[39:40], v[5:6]
	v_mul_f64 v[15:16], v[37:38], v[5:6]
	v_fma_f64 v[13:14], v[37:38], v[3:4], -v[13:14]
	v_fma_f64 v[15:16], v[39:40], v[3:4], v[15:16]
	v_add_f64 v[25:26], v[53:54], v[13:14]
	v_add_f64 v[27:28], v[15:16], v[55:56]
	ds_read_b128 v[13:16], v33 offset:768
	s_waitcnt lgkmcnt(0)
	v_mul_f64 v[17:18], v[39:40], v[15:16]
	v_mul_f64 v[19:20], v[37:38], v[15:16]
	v_fma_f64 v[17:18], v[37:38], v[13:14], -v[17:18]
	;; [unrolled: 8-line block ×3, first 2 shown]
	v_fma_f64 v[3:4], v[19:20], v[3:4], v[5:6]
	v_mul_f64 v[5:6], v[17:18], v[15:16]
	v_add_f64 v[49:50], v[49:50], v[53:54]
	v_add_f64 v[51:52], v[3:4], v[51:52]
	v_mul_f64 v[3:4], v[19:20], v[15:16]
	v_fma_f64 v[5:6], v[19:20], v[13:14], v[5:6]
	v_fma_f64 v[3:4], v[17:18], v[13:14], -v[3:4]
	v_add_f64 v[23:24], v[5:6], v[23:24]
	v_add_f64 v[21:22], v[21:22], v[3:4]
	ds_read_b128 v[3:6], v33 offset:1024
	s_waitcnt lgkmcnt(0)
	v_mul_f64 v[13:14], v[43:44], v[5:6]
	v_mul_f64 v[15:16], v[41:42], v[5:6]
	v_fma_f64 v[13:14], v[41:42], v[3:4], -v[13:14]
	v_fma_f64 v[15:16], v[43:44], v[3:4], v[15:16]
	v_add_f64 v[25:26], v[25:26], v[13:14]
	v_add_f64 v[27:28], v[15:16], v[27:28]
	ds_read_b128 v[13:16], v33 offset:1280
	s_waitcnt lgkmcnt(0)
	v_mul_f64 v[17:18], v[43:44], v[15:16]
	v_mul_f64 v[19:20], v[41:42], v[15:16]
	v_fma_f64 v[17:18], v[41:42], v[13:14], -v[17:18]
	v_fma_f64 v[19:20], v[43:44], v[13:14], v[19:20]
	;; [unrolled: 8-line block ×3, first 2 shown]
	v_mul_f64 v[5:6], v[17:18], v[15:16]
	v_add_f64 v[41:42], v[49:50], v[41:42]
	v_add_f64 v[43:44], v[3:4], v[51:52]
	v_mul_f64 v[3:4], v[19:20], v[15:16]
	v_fma_f64 v[5:6], v[19:20], v[13:14], v[5:6]
	v_fma_f64 v[3:4], v[17:18], v[13:14], -v[3:4]
	v_add_f64 v[23:24], v[5:6], v[23:24]
	v_add_f64 v[21:22], v[21:22], v[3:4]
	ds_read_b128 v[3:6], v33 offset:1536
	s_waitcnt lgkmcnt(0)
	v_mul_f64 v[13:14], v[47:48], v[5:6]
	v_mul_f64 v[15:16], v[45:46], v[5:6]
	v_fma_f64 v[13:14], v[45:46], v[3:4], -v[13:14]
	v_fma_f64 v[15:16], v[47:48], v[3:4], v[15:16]
	v_add_f64 v[25:26], v[25:26], v[13:14]
	v_add_f64 v[27:28], v[15:16], v[27:28]
	ds_read_b128 v[13:16], v33 offset:1792
	s_waitcnt lgkmcnt(0)
	v_mul_f64 v[17:18], v[47:48], v[15:16]
	v_mul_f64 v[19:20], v[45:46], v[15:16]
	v_fma_f64 v[17:18], v[45:46], v[13:14], -v[17:18]
	v_fma_f64 v[19:20], v[47:48], v[13:14], v[19:20]
	;; [unrolled: 8-line block ×3, first 2 shown]
	v_mul_f64 v[5:6], v[17:18], v[15:16]
	v_add_f64 v[41:42], v[41:42], v[45:46]
	v_add_f64 v[43:44], v[3:4], v[43:44]
	v_mul_f64 v[3:4], v[19:20], v[15:16]
	v_fma_f64 v[5:6], v[19:20], v[13:14], v[5:6]
	v_fma_f64 v[3:4], v[17:18], v[13:14], -v[3:4]
	v_add_f64 v[23:24], v[5:6], v[23:24]
	v_add_f64 v[21:22], v[21:22], v[3:4]
	ds_read_b128 v[3:6], v34 offset:64
	ds_read_b128 v[13:16], v33 offset:2048
	s_waitcnt lgkmcnt(0)
	v_mul_f64 v[17:18], v[5:6], v[15:16]
	v_mul_f64 v[19:20], v[3:4], v[15:16]
	v_fma_f64 v[17:18], v[3:4], v[13:14], -v[17:18]
	v_fma_f64 v[19:20], v[5:6], v[13:14], v[19:20]
	v_add_f64 v[25:26], v[25:26], v[17:18]
	v_add_f64 v[27:28], v[19:20], v[27:28]
	ds_read_b128 v[17:20], v33 offset:2304
	s_waitcnt lgkmcnt(0)
	v_mul_f64 v[45:46], v[5:6], v[19:20]
	v_fma_f64 v[45:46], v[3:4], v[17:18], -v[45:46]
	v_mul_f64 v[3:4], v[3:4], v[19:20]
	v_add_f64 v[37:38], v[37:38], v[45:46]
	v_fma_f64 v[3:4], v[5:6], v[17:18], v[3:4]
	v_add_f64 v[39:40], v[3:4], v[39:40]
	ds_read_b128 v[3:6], v34 offset:2112
	s_waitcnt lgkmcnt(0)
	v_mul_f64 v[45:46], v[5:6], v[15:16]
	v_mul_f64 v[15:16], v[3:4], v[15:16]
	v_fma_f64 v[45:46], v[3:4], v[13:14], -v[45:46]
	v_fma_f64 v[13:14], v[5:6], v[13:14], v[15:16]
	v_add_f64 v[41:42], v[41:42], v[45:46]
	v_add_f64 v[43:44], v[13:14], v[43:44]
	v_mul_f64 v[13:14], v[5:6], v[19:20]
	v_fma_f64 v[13:14], v[3:4], v[17:18], -v[13:14]
	v_mul_f64 v[3:4], v[3:4], v[19:20]
	v_add_f64 v[21:22], v[21:22], v[13:14]
	v_fma_f64 v[3:4], v[5:6], v[17:18], v[3:4]
	v_add_f64 v[23:24], v[3:4], v[23:24]
	ds_read_b128 v[3:6], v34 offset:80
	ds_read_b128 v[13:16], v33 offset:2560
	s_waitcnt lgkmcnt(0)
	v_mul_f64 v[17:18], v[5:6], v[15:16]
	v_mul_f64 v[19:20], v[3:4], v[15:16]
	v_fma_f64 v[17:18], v[3:4], v[13:14], -v[17:18]
	v_fma_f64 v[19:20], v[5:6], v[13:14], v[19:20]
	v_add_f64 v[25:26], v[25:26], v[17:18]
	v_add_f64 v[27:28], v[19:20], v[27:28]
	ds_read_b128 v[17:20], v33 offset:2816
	s_waitcnt lgkmcnt(0)
	v_mul_f64 v[45:46], v[5:6], v[19:20]
	v_fma_f64 v[45:46], v[3:4], v[17:18], -v[45:46]
	v_mul_f64 v[3:4], v[3:4], v[19:20]
	v_add_f64 v[37:38], v[37:38], v[45:46]
	v_fma_f64 v[3:4], v[5:6], v[17:18], v[3:4]
	v_add_f64 v[39:40], v[3:4], v[39:40]
	ds_read_b128 v[3:6], v34 offset:2128
	s_waitcnt lgkmcnt(0)
	v_mul_f64 v[45:46], v[5:6], v[15:16]
	v_mul_f64 v[15:16], v[3:4], v[15:16]
	v_fma_f64 v[45:46], v[3:4], v[13:14], -v[45:46]
	v_fma_f64 v[13:14], v[5:6], v[13:14], v[15:16]
	v_add_f64 v[41:42], v[41:42], v[45:46]
	v_add_f64 v[43:44], v[13:14], v[43:44]
	v_mul_f64 v[13:14], v[5:6], v[19:20]
	v_fma_f64 v[13:14], v[3:4], v[17:18], -v[13:14]
	v_mul_f64 v[3:4], v[3:4], v[19:20]
	v_add_f64 v[21:22], v[21:22], v[13:14]
	v_fma_f64 v[3:4], v[5:6], v[17:18], v[3:4]
	;; [unrolled: 31-line block ×3, first 2 shown]
	v_add_f64 v[47:48], v[3:4], v[23:24]
	ds_read_b128 v[3:6], v34 offset:112
	ds_read_b128 v[17:20], v33 offset:3584
	s_waitcnt lgkmcnt(0)
	v_mul_f64 v[13:14], v[5:6], v[19:20]
	v_mul_f64 v[15:16], v[3:4], v[19:20]
	v_fma_f64 v[13:14], v[3:4], v[17:18], -v[13:14]
	v_fma_f64 v[15:16], v[5:6], v[17:18], v[15:16]
	v_add_f64 v[21:22], v[25:26], v[13:14]
	v_add_f64 v[23:24], v[15:16], v[27:28]
	ds_read_b128 v[25:28], v33 offset:3840
	s_waitcnt lgkmcnt(0)
	v_mul_f64 v[13:14], v[5:6], v[27:28]
	v_fma_f64 v[13:14], v[3:4], v[25:26], -v[13:14]
	v_mul_f64 v[3:4], v[3:4], v[27:28]
	v_add_f64 v[13:14], v[37:38], v[13:14]
	v_fma_f64 v[3:4], v[5:6], v[25:26], v[3:4]
	v_add_f64 v[15:16], v[3:4], v[39:40]
	ds_read_b128 v[3:6], v34 offset:2160
	s_waitcnt lgkmcnt(0)
	s_barrier
	v_mul_f64 v[37:38], v[5:6], v[19:20]
	v_mul_f64 v[19:20], v[3:4], v[19:20]
	v_fma_f64 v[37:38], v[3:4], v[17:18], -v[37:38]
	v_fma_f64 v[19:20], v[5:6], v[17:18], v[19:20]
	v_add_f64 v[17:18], v[41:42], v[37:38]
	v_mul_f64 v[37:38], v[5:6], v[27:28]
	v_add_f64 v[19:20], v[19:20], v[43:44]
	v_fma_f64 v[37:38], v[3:4], v[25:26], -v[37:38]
	v_mul_f64 v[3:4], v[3:4], v[27:28]
	v_fma_f64 v[3:4], v[5:6], v[25:26], v[3:4]
	v_add_f64 v[25:26], v[45:46], v[37:38]
	v_add_f64 v[27:28], v[3:4], v[47:48]
	s_cbranch_vccnz .LBB1376_10
.LBB1376_3:                             ; =>This Inner Loop Header: Depth=1
	v_mov_b32_e32 v4, s11
	v_add_co_u32_e32 v3, vcc, s10, v29
	v_addc_co_u32_e32 v4, vcc, 0, v4, vcc
	v_cmp_le_i64_e32 vcc, s[12:13], v[3:4]
	s_or_b64 s[20:21], s[18:19], vcc
	s_and_saveexec_b64 s[22:23], s[20:21]
	s_xor_b64 s[20:21], exec, s[22:23]
; %bb.4:                                ;   in Loop: Header=BB1376_3 Depth=1
	v_mov_b32_e32 v3, v2
	v_mov_b32_e32 v4, v2
	;; [unrolled: 1-line block ×3, first 2 shown]
	ds_write_b128 v31, v[2:5]
; %bb.5:                                ;   in Loop: Header=BB1376_3 Depth=1
	s_andn2_saveexec_b64 s[20:21], s[20:21]
	s_cbranch_execz .LBB1376_7
; %bb.6:                                ;   in Loop: Header=BB1376_3 Depth=1
	global_load_dwordx4 v[3:6], v[7:8], off
	s_waitcnt vmcnt(0)
	ds_write2_b64 v31, v[3:4], v[5:6] offset1:1
.LBB1376_7:                             ;   in Loop: Header=BB1376_3 Depth=1
	s_or_b64 exec, exec, s[20:21]
	v_mov_b32_e32 v4, s11
	v_add_co_u32_e32 v3, vcc, s10, v30
	v_addc_co_u32_e32 v4, vcc, 0, v4, vcc
	v_cmp_gt_i64_e32 vcc, s[12:13], v[3:4]
	v_mov_b32_e32 v3, 0
	v_mov_b32_e32 v5, 0
	;; [unrolled: 1-line block ×4, first 2 shown]
	s_and_b64 s[22:23], vcc, s[0:1]
	s_and_saveexec_b64 s[20:21], s[22:23]
	s_cbranch_execz .LBB1376_2
; %bb.8:                                ;   in Loop: Header=BB1376_3 Depth=1
	global_load_dwordx4 v[3:6], v[9:10], off offset:-8
	s_waitcnt vmcnt(0)
	v_xor_b32_e32 v6, 0x80000000, v6
	s_branch .LBB1376_2
.LBB1376_9:
	v_mov_b32_e32 v21, 0
	v_mov_b32_e32 v23, 0
	;; [unrolled: 1-line block ×16, first 2 shown]
.LBB1376_10:
	s_load_dwordx2 s[6:7], s[4:5], 0x70
	s_load_dwordx4 s[0:3], s[4:5], 0x60
	v_add_u32_e32 v4, s29, v1
	v_ashrrev_i32_e32 v1, 31, v4
	v_add_u32_e32 v0, s28, v0
	s_waitcnt lgkmcnt(0)
	s_mul_i32 s5, s7, s8
	v_mul_lo_u32 v3, s2, v1
	v_mul_lo_u32 v5, s3, v4
	v_mad_u64_u32 v[1:2], s[10:11], s2, v4, 0
	s_mul_hi_u32 s7, s6, s8
	s_mul_i32 s4, s6, s8
	s_add_i32 s5, s7, s5
	s_lshl_b64 s[4:5], s[4:5], 4
	v_add3_u32 v2, v2, v3, v5
	s_add_u32 s6, s0, s4
	v_lshlrev_b64 v[1:2], 4, v[1:2]
	s_addc_u32 s7, s1, s5
	v_mov_b32_e32 v3, s7
	v_add_co_u32_e64 v5, s[0:1], s6, v1
	v_addc_co_u32_e64 v6, s[0:1], v3, v2, s[0:1]
	v_cmp_gt_i32_e32 vcc, s9, v4
	v_cmp_le_i32_e64 s[0:1], v0, v4
	s_and_b64 s[0:1], vcc, s[0:1]
	s_and_saveexec_b64 s[4:5], s[0:1]
	s_cbranch_execz .LBB1376_12
; %bb.11:
	v_mul_f64 v[2:3], s[14:15], v[23:24]
	v_mul_f64 v[7:8], s[16:17], v[23:24]
	v_ashrrev_i32_e32 v1, 31, v0
	v_lshlrev_b64 v[9:10], 4, v[0:1]
	v_add_co_u32_e64 v11, s[0:1], v5, v9
	v_addc_co_u32_e64 v12, s[0:1], v6, v10, s[0:1]
	v_fma_f64 v[2:3], s[16:17], v[21:22], v[2:3]
	v_fma_f64 v[7:8], s[14:15], v[21:22], -v[7:8]
	v_cmp_ne_u32_e64 s[0:1], v4, v0
	v_cndmask_b32_e64 v10, 0, v3, s[0:1]
	v_cndmask_b32_e64 v9, 0, v2, s[0:1]
	global_store_dwordx4 v[11:12], v[7:10], off
.LBB1376_12:
	s_or_b64 exec, exec, s[4:5]
	v_add_u32_e32 v2, 16, v0
	v_cmp_le_i32_e64 s[0:1], v2, v4
	s_and_b64 s[4:5], vcc, s[0:1]
	s_and_saveexec_b64 s[0:1], s[4:5]
	s_cbranch_execz .LBB1376_14
; %bb.13:
	v_mul_f64 v[7:8], s[14:15], v[15:16]
	v_mul_f64 v[9:10], s[16:17], v[15:16]
	v_ashrrev_i32_e32 v3, 31, v2
	v_lshlrev_b64 v[15:16], 4, v[2:3]
	v_add_co_u32_e32 v5, vcc, v5, v15
	v_addc_co_u32_e32 v6, vcc, v6, v16, vcc
	v_fma_f64 v[11:12], s[16:17], v[13:14], v[7:8]
	v_fma_f64 v[7:8], s[14:15], v[13:14], -v[9:10]
	v_cmp_ne_u32_e32 vcc, v4, v2
	v_cndmask_b32_e32 v10, 0, v12, vcc
	v_cndmask_b32_e32 v9, 0, v11, vcc
	global_store_dwordx4 v[5:6], v[7:10], off
.LBB1376_14:
	s_or_b64 exec, exec, s[0:1]
	v_add_u32_e32 v3, 16, v4
	v_ashrrev_i32_e32 v1, 31, v3
	v_mul_lo_u32 v1, s2, v1
	v_mul_lo_u32 v7, s3, v3
	v_mad_u64_u32 v[5:6], s[0:1], s2, v3, 0
	v_cmp_gt_i32_e32 vcc, s9, v3
	v_add3_u32 v6, v6, v1, v7
	v_lshlrev_b64 v[5:6], 4, v[5:6]
	v_mov_b32_e32 v1, s7
	v_add_co_u32_e64 v5, s[0:1], s6, v5
	v_addc_co_u32_e64 v6, s[0:1], v1, v6, s[0:1]
	v_cmp_le_i32_e64 s[0:1], v0, v3
	s_and_b64 s[0:1], vcc, s[0:1]
	s_and_saveexec_b64 s[2:3], s[0:1]
	s_cbranch_execz .LBB1376_16
; %bb.15:
	v_mul_f64 v[7:8], s[14:15], v[19:20]
	v_mul_f64 v[9:10], s[16:17], v[19:20]
	v_ashrrev_i32_e32 v1, 31, v0
	v_lshlrev_b64 v[13:14], 4, v[0:1]
	v_add_co_u32_e64 v13, s[0:1], v5, v13
	v_addc_co_u32_e64 v14, s[0:1], v6, v14, s[0:1]
	v_fma_f64 v[11:12], s[16:17], v[17:18], v[7:8]
	v_fma_f64 v[7:8], s[14:15], v[17:18], -v[9:10]
	v_cmp_ne_u32_e64 s[0:1], v3, v0
	v_cndmask_b32_e64 v10, 0, v12, s[0:1]
	v_cndmask_b32_e64 v9, 0, v11, s[0:1]
	global_store_dwordx4 v[13:14], v[7:10], off
.LBB1376_16:
	s_or_b64 exec, exec, s[2:3]
	v_cmp_le_i32_e64 s[0:1], v2, v3
	s_and_b64 s[0:1], vcc, s[0:1]
	s_and_saveexec_b64 s[2:3], s[0:1]
	s_cbranch_execz .LBB1376_18
; %bb.17:
	v_mul_f64 v[7:8], s[14:15], v[27:28]
	v_mul_f64 v[9:10], s[16:17], v[27:28]
	v_ashrrev_i32_e32 v3, 31, v2
	v_lshlrev_b64 v[11:12], 4, v[2:3]
	v_add_co_u32_e32 v5, vcc, v5, v11
	v_addc_co_u32_e32 v6, vcc, v6, v12, vcc
	v_fma_f64 v[7:8], s[16:17], v[25:26], v[7:8]
	v_fma_f64 v[1:2], s[14:15], v[25:26], -v[9:10]
	v_cmp_ne_u32_e32 vcc, v4, v0
	v_cndmask_b32_e32 v4, 0, v8, vcc
	v_cndmask_b32_e32 v3, 0, v7, vcc
	global_store_dwordx4 v[5:6], v[1:4], off
.LBB1376_18:
	s_endpgm
	.section	.rodata,"a",@progbits
	.p2align	6, 0x0
	.amdhsa_kernel _ZL34rocblas_syrkx_herkx_general_kernelIl19rocblas_complex_numIdELi16ELi32ELi8ELb1ELb1ELc78ELc85EKS1_S1_EviT_T0_PT8_S3_lS6_S3_lS4_PT9_S3_li
		.amdhsa_group_segment_fixed_size 8192
		.amdhsa_private_segment_fixed_size 0
		.amdhsa_kernarg_size 124
		.amdhsa_user_sgpr_count 6
		.amdhsa_user_sgpr_private_segment_buffer 1
		.amdhsa_user_sgpr_dispatch_ptr 0
		.amdhsa_user_sgpr_queue_ptr 0
		.amdhsa_user_sgpr_kernarg_segment_ptr 1
		.amdhsa_user_sgpr_dispatch_id 0
		.amdhsa_user_sgpr_flat_scratch_init 0
		.amdhsa_user_sgpr_private_segment_size 0
		.amdhsa_uses_dynamic_stack 0
		.amdhsa_system_sgpr_private_segment_wavefront_offset 0
		.amdhsa_system_sgpr_workgroup_id_x 1
		.amdhsa_system_sgpr_workgroup_id_y 1
		.amdhsa_system_sgpr_workgroup_id_z 1
		.amdhsa_system_sgpr_workgroup_info 0
		.amdhsa_system_vgpr_workitem_id 1
		.amdhsa_next_free_vgpr 61
		.amdhsa_next_free_sgpr 61
		.amdhsa_reserve_vcc 1
		.amdhsa_reserve_flat_scratch 0
		.amdhsa_float_round_mode_32 0
		.amdhsa_float_round_mode_16_64 0
		.amdhsa_float_denorm_mode_32 3
		.amdhsa_float_denorm_mode_16_64 3
		.amdhsa_dx10_clamp 1
		.amdhsa_ieee_mode 1
		.amdhsa_fp16_overflow 0
		.amdhsa_exception_fp_ieee_invalid_op 0
		.amdhsa_exception_fp_denorm_src 0
		.amdhsa_exception_fp_ieee_div_zero 0
		.amdhsa_exception_fp_ieee_overflow 0
		.amdhsa_exception_fp_ieee_underflow 0
		.amdhsa_exception_fp_ieee_inexact 0
		.amdhsa_exception_int_div_zero 0
	.end_amdhsa_kernel
	.section	.text._ZL34rocblas_syrkx_herkx_general_kernelIl19rocblas_complex_numIdELi16ELi32ELi8ELb1ELb1ELc78ELc85EKS1_S1_EviT_T0_PT8_S3_lS6_S3_lS4_PT9_S3_li,"axG",@progbits,_ZL34rocblas_syrkx_herkx_general_kernelIl19rocblas_complex_numIdELi16ELi32ELi8ELb1ELb1ELc78ELc85EKS1_S1_EviT_T0_PT8_S3_lS6_S3_lS4_PT9_S3_li,comdat
.Lfunc_end1376:
	.size	_ZL34rocblas_syrkx_herkx_general_kernelIl19rocblas_complex_numIdELi16ELi32ELi8ELb1ELb1ELc78ELc85EKS1_S1_EviT_T0_PT8_S3_lS6_S3_lS4_PT9_S3_li, .Lfunc_end1376-_ZL34rocblas_syrkx_herkx_general_kernelIl19rocblas_complex_numIdELi16ELi32ELi8ELb1ELb1ELc78ELc85EKS1_S1_EviT_T0_PT8_S3_lS6_S3_lS4_PT9_S3_li
                                        ; -- End function
	.set _ZL34rocblas_syrkx_herkx_general_kernelIl19rocblas_complex_numIdELi16ELi32ELi8ELb1ELb1ELc78ELc85EKS1_S1_EviT_T0_PT8_S3_lS6_S3_lS4_PT9_S3_li.num_vgpr, 61
	.set _ZL34rocblas_syrkx_herkx_general_kernelIl19rocblas_complex_numIdELi16ELi32ELi8ELb1ELb1ELc78ELc85EKS1_S1_EviT_T0_PT8_S3_lS6_S3_lS4_PT9_S3_li.num_agpr, 0
	.set _ZL34rocblas_syrkx_herkx_general_kernelIl19rocblas_complex_numIdELi16ELi32ELi8ELb1ELb1ELc78ELc85EKS1_S1_EviT_T0_PT8_S3_lS6_S3_lS4_PT9_S3_li.numbered_sgpr, 30
	.set _ZL34rocblas_syrkx_herkx_general_kernelIl19rocblas_complex_numIdELi16ELi32ELi8ELb1ELb1ELc78ELc85EKS1_S1_EviT_T0_PT8_S3_lS6_S3_lS4_PT9_S3_li.num_named_barrier, 0
	.set _ZL34rocblas_syrkx_herkx_general_kernelIl19rocblas_complex_numIdELi16ELi32ELi8ELb1ELb1ELc78ELc85EKS1_S1_EviT_T0_PT8_S3_lS6_S3_lS4_PT9_S3_li.private_seg_size, 0
	.set _ZL34rocblas_syrkx_herkx_general_kernelIl19rocblas_complex_numIdELi16ELi32ELi8ELb1ELb1ELc78ELc85EKS1_S1_EviT_T0_PT8_S3_lS6_S3_lS4_PT9_S3_li.uses_vcc, 1
	.set _ZL34rocblas_syrkx_herkx_general_kernelIl19rocblas_complex_numIdELi16ELi32ELi8ELb1ELb1ELc78ELc85EKS1_S1_EviT_T0_PT8_S3_lS6_S3_lS4_PT9_S3_li.uses_flat_scratch, 0
	.set _ZL34rocblas_syrkx_herkx_general_kernelIl19rocblas_complex_numIdELi16ELi32ELi8ELb1ELb1ELc78ELc85EKS1_S1_EviT_T0_PT8_S3_lS6_S3_lS4_PT9_S3_li.has_dyn_sized_stack, 0
	.set _ZL34rocblas_syrkx_herkx_general_kernelIl19rocblas_complex_numIdELi16ELi32ELi8ELb1ELb1ELc78ELc85EKS1_S1_EviT_T0_PT8_S3_lS6_S3_lS4_PT9_S3_li.has_recursion, 0
	.set _ZL34rocblas_syrkx_herkx_general_kernelIl19rocblas_complex_numIdELi16ELi32ELi8ELb1ELb1ELc78ELc85EKS1_S1_EviT_T0_PT8_S3_lS6_S3_lS4_PT9_S3_li.has_indirect_call, 0
	.section	.AMDGPU.csdata,"",@progbits
; Kernel info:
; codeLenInByte = 3284
; TotalNumSgprs: 34
; NumVgprs: 61
; ScratchSize: 0
; MemoryBound: 1
; FloatMode: 240
; IeeeMode: 1
; LDSByteSize: 8192 bytes/workgroup (compile time only)
; SGPRBlocks: 8
; VGPRBlocks: 15
; NumSGPRsForWavesPerEU: 65
; NumVGPRsForWavesPerEU: 61
; Occupancy: 4
; WaveLimiterHint : 0
; COMPUTE_PGM_RSRC2:SCRATCH_EN: 0
; COMPUTE_PGM_RSRC2:USER_SGPR: 6
; COMPUTE_PGM_RSRC2:TRAP_HANDLER: 0
; COMPUTE_PGM_RSRC2:TGID_X_EN: 1
; COMPUTE_PGM_RSRC2:TGID_Y_EN: 1
; COMPUTE_PGM_RSRC2:TGID_Z_EN: 1
; COMPUTE_PGM_RSRC2:TIDIG_COMP_CNT: 1
	.section	.text._ZL34rocblas_syrkx_herkx_general_kernelIl19rocblas_complex_numIdELi16ELi32ELi8ELb0ELb1ELc84ELc76EKS1_S1_EviT_T0_PT8_S3_lS6_S3_lS4_PT9_S3_li,"axG",@progbits,_ZL34rocblas_syrkx_herkx_general_kernelIl19rocblas_complex_numIdELi16ELi32ELi8ELb0ELb1ELc84ELc76EKS1_S1_EviT_T0_PT8_S3_lS6_S3_lS4_PT9_S3_li,comdat
	.globl	_ZL34rocblas_syrkx_herkx_general_kernelIl19rocblas_complex_numIdELi16ELi32ELi8ELb0ELb1ELc84ELc76EKS1_S1_EviT_T0_PT8_S3_lS6_S3_lS4_PT9_S3_li ; -- Begin function _ZL34rocblas_syrkx_herkx_general_kernelIl19rocblas_complex_numIdELi16ELi32ELi8ELb0ELb1ELc84ELc76EKS1_S1_EviT_T0_PT8_S3_lS6_S3_lS4_PT9_S3_li
	.p2align	8
	.type	_ZL34rocblas_syrkx_herkx_general_kernelIl19rocblas_complex_numIdELi16ELi32ELi8ELb0ELb1ELc84ELc76EKS1_S1_EviT_T0_PT8_S3_lS6_S3_lS4_PT9_S3_li,@function
_ZL34rocblas_syrkx_herkx_general_kernelIl19rocblas_complex_numIdELi16ELi32ELi8ELb0ELb1ELc84ELc76EKS1_S1_EviT_T0_PT8_S3_lS6_S3_lS4_PT9_S3_li: ; @_ZL34rocblas_syrkx_herkx_general_kernelIl19rocblas_complex_numIdELi16ELi32ELi8ELb0ELb1ELc84ELc76EKS1_S1_EviT_T0_PT8_S3_lS6_S3_lS4_PT9_S3_li
; %bb.0:
	s_load_dwordx16 s[12:27], s[4:5], 0x8
	s_load_dword s9, s[4:5], 0x0
	s_load_dwordx4 s[28:31], s[4:5], 0x68
	s_load_dwordx8 s[36:43], s[4:5], 0x48
	s_lshl_b32 s10, s6, 5
	s_waitcnt lgkmcnt(0)
	v_cmp_lt_i64_e64 s[0:1], s[12:13], 1
	s_lshl_b32 s11, s7, 5
	s_and_b64 vcc, exec, s[0:1]
	s_cbranch_vccnz .LBB1377_11
; %bb.1:
	v_lshl_add_u32 v2, v1, 4, v0
	v_and_b32_e32 v5, 31, v2
	v_and_b32_e32 v29, 7, v0
	v_lshrrev_b32_e32 v3, 3, v2
	v_lshrrev_b32_e32 v28, 5, v2
	v_lshlrev_b32_e32 v2, 4, v5
	v_lshlrev_b32_e32 v8, 4, v29
	v_lshl_or_b32 v30, v28, 9, v2
	v_lshl_or_b32 v2, v3, 7, v8
	v_add_u32_e32 v31, 0x1000, v2
	v_add_u32_e32 v2, s10, v5
	;; [unrolled: 1-line block ×3, first 2 shown]
	v_ashrrev_i32_e32 v3, 31, v2
	v_or_b32_e32 v6, s10, v5
	v_mul_lo_u32 v5, s20, v3
	v_mul_lo_u32 v7, s21, v2
	v_mad_u64_u32 v[2:3], s[2:3], s20, v2, 0
	s_mul_i32 s2, s23, s8
	s_mul_hi_u32 s3, s22, s8
	v_add3_u32 v3, v3, v5, v7
	v_lshlrev_b64 v[2:3], 4, v[2:3]
	s_add_i32 s3, s3, s2
	s_mul_i32 s2, s22, s8
	s_lshl_b64 s[2:3], s[2:3], 4
	v_mov_b32_e32 v5, s3
	v_add_co_u32_e64 v2, s[2:3], s2, v2
	v_addc_co_u32_e64 v3, s[2:3], v3, v5, s[2:3]
	v_lshlrev_b32_e32 v5, 4, v28
	v_cmp_gt_i32_e32 vcc, s9, v6
	v_ashrrev_i32_e32 v6, 31, v4
	v_add_co_u32_e64 v5, s[2:3], v2, v5
	v_addc_co_u32_e64 v7, s[2:3], 0, v3, s[2:3]
	v_mul_lo_u32 v10, s26, v6
	v_mul_lo_u32 v11, s27, v4
	v_mad_u64_u32 v[2:3], s[2:3], s26, v4, 0
	v_mov_b32_e32 v9, 0x1000
	v_lshl_add_u32 v33, v1, 7, v9
	v_mov_b32_e32 v9, s19
	v_add_co_u32_e64 v6, s[2:3], s18, v5
	v_addc_co_u32_e64 v7, s[2:3], v9, v7, s[2:3]
	v_add3_u32 v3, v3, v10, v11
	s_mul_i32 s2, s37, s8
	s_mul_hi_u32 s3, s36, s8
	v_lshlrev_b64 v[2:3], 4, v[2:3]
	s_add_i32 s3, s3, s2
	s_mul_i32 s2, s36, s8
	s_lshl_b64 s[2:3], s[2:3], 4
	v_cmp_gt_i32_e64 s[0:1], s9, v4
	v_mov_b32_e32 v4, s3
	v_add_co_u32_e64 v2, s[2:3], s2, v2
	v_addc_co_u32_e64 v3, s[2:3], v3, v4, s[2:3]
	v_add_co_u32_e64 v2, s[2:3], v2, v8
	v_addc_co_u32_e64 v3, s[2:3], 0, v3, s[2:3]
	v_mov_b32_e32 v4, s25
	v_add_co_u32_e64 v8, s[2:3], s24, v2
	v_addc_co_u32_e64 v9, s[2:3], v4, v3, s[2:3]
	v_mov_b32_e32 v24, 0
	v_mov_b32_e32 v10, s12
	;; [unrolled: 1-line block ×9, first 2 shown]
	v_lshlrev_b32_e32 v32, 4, v0
	s_mov_b64 s[2:3], 0
	v_mov_b32_e32 v25, 0
	s_xor_b64 s[4:5], vcc, -1
	s_xor_b64 s[0:1], s[0:1], -1
	v_mov_b32_e32 v11, s13
	v_mov_b32_e32 v27, 0
	v_mov_b32_e32 v19, 0
	v_mov_b32_e32 v17, 0
	v_mov_b32_e32 v15, 0
	v_mov_b32_e32 v13, 0
	v_mov_b32_e32 v23, 0
	v_mov_b32_e32 v21, 0
	v_mov_b32_e32 v2, 0
	s_branch .LBB1377_3
.LBB1377_2:                             ;   in Loop: Header=BB1377_3 Depth=1
	s_or_b64 exec, exec, s[6:7]
	s_waitcnt lgkmcnt(0)
	s_barrier
	ds_read_b128 v[34:37], v33
	ds_read_b128 v[38:41], v33 offset:16
	ds_read_b128 v[42:45], v33 offset:32
	;; [unrolled: 1-line block ×3, first 2 shown]
	ds_read_b128 v[50:53], v32
	v_add_co_u32_e32 v6, vcc, 0x80, v6
	v_addc_co_u32_e32 v7, vcc, 0, v7, vcc
	s_waitcnt lgkmcnt(0)
	v_mul_f64 v[3:4], v[36:37], v[52:53]
	v_mul_f64 v[54:55], v[34:35], v[52:53]
	s_add_u32 s2, s2, 8
	v_add_co_u32_e32 v8, vcc, 0x80, v8
	s_addc_u32 s3, s3, 0
	v_addc_co_u32_e32 v9, vcc, 0, v9, vcc
	v_fma_f64 v[3:4], v[34:35], v[50:51], -v[3:4]
	v_fma_f64 v[54:55], v[36:37], v[50:51], v[54:55]
	v_cmp_ge_i64_e32 vcc, s[2:3], v[10:11]
	s_and_b64 vcc, exec, vcc
	v_add_f64 v[3:4], v[20:21], v[3:4]
	v_add_f64 v[54:55], v[54:55], v[22:23]
	ds_read_b128 v[20:23], v32 offset:256
	s_waitcnt lgkmcnt(0)
	v_mul_f64 v[56:57], v[36:37], v[22:23]
	v_fma_f64 v[56:57], v[34:35], v[20:21], -v[56:57]
	v_mul_f64 v[34:35], v[34:35], v[22:23]
	v_fma_f64 v[34:35], v[36:37], v[20:21], v[34:35]
	v_add_f64 v[36:37], v[12:13], v[56:57]
	v_add_f64 v[34:35], v[34:35], v[14:15]
	ds_read_b128 v[12:15], v33 offset:2048
	s_waitcnt lgkmcnt(0)
	v_mul_f64 v[56:57], v[14:15], v[52:53]
	v_mul_f64 v[52:53], v[12:13], v[52:53]
	v_fma_f64 v[56:57], v[12:13], v[50:51], -v[56:57]
	v_fma_f64 v[50:51], v[14:15], v[50:51], v[52:53]
	v_add_f64 v[52:53], v[16:17], v[56:57]
	v_mul_f64 v[16:17], v[14:15], v[22:23]
	v_add_f64 v[50:51], v[50:51], v[18:19]
	v_fma_f64 v[16:17], v[12:13], v[20:21], -v[16:17]
	v_mul_f64 v[12:13], v[12:13], v[22:23]
	v_add_f64 v[26:27], v[26:27], v[16:17]
	v_fma_f64 v[12:13], v[14:15], v[20:21], v[12:13]
	v_add_f64 v[24:25], v[12:13], v[24:25]
	ds_read_b128 v[12:15], v32 offset:512
	s_waitcnt lgkmcnt(0)
	v_mul_f64 v[16:17], v[40:41], v[14:15]
	v_mul_f64 v[18:19], v[38:39], v[14:15]
	v_fma_f64 v[16:17], v[38:39], v[12:13], -v[16:17]
	v_fma_f64 v[18:19], v[40:41], v[12:13], v[18:19]
	v_add_f64 v[3:4], v[3:4], v[16:17]
	v_add_f64 v[54:55], v[18:19], v[54:55]
	ds_read_b128 v[16:19], v32 offset:768
	s_waitcnt lgkmcnt(0)
	v_mul_f64 v[20:21], v[40:41], v[18:19]
	v_mul_f64 v[22:23], v[38:39], v[18:19]
	v_fma_f64 v[20:21], v[38:39], v[16:17], -v[20:21]
	v_fma_f64 v[22:23], v[40:41], v[16:17], v[22:23]
	v_add_f64 v[36:37], v[36:37], v[20:21]
	v_add_f64 v[34:35], v[22:23], v[34:35]
	ds_read_b128 v[20:23], v33 offset:2064
	s_waitcnt lgkmcnt(0)
	v_mul_f64 v[38:39], v[22:23], v[14:15]
	v_mul_f64 v[14:15], v[20:21], v[14:15]
	v_fma_f64 v[38:39], v[20:21], v[12:13], -v[38:39]
	v_fma_f64 v[12:13], v[22:23], v[12:13], v[14:15]
	v_mul_f64 v[14:15], v[20:21], v[18:19]
	v_add_f64 v[38:39], v[52:53], v[38:39]
	v_add_f64 v[40:41], v[12:13], v[50:51]
	v_mul_f64 v[12:13], v[22:23], v[18:19]
	v_fma_f64 v[14:15], v[22:23], v[16:17], v[14:15]
	v_fma_f64 v[12:13], v[20:21], v[16:17], -v[12:13]
	v_add_f64 v[24:25], v[14:15], v[24:25]
	v_add_f64 v[26:27], v[26:27], v[12:13]
	ds_read_b128 v[12:15], v32 offset:1024
	s_waitcnt lgkmcnt(0)
	v_mul_f64 v[16:17], v[44:45], v[14:15]
	v_mul_f64 v[18:19], v[42:43], v[14:15]
	v_fma_f64 v[16:17], v[42:43], v[12:13], -v[16:17]
	v_fma_f64 v[18:19], v[44:45], v[12:13], v[18:19]
	v_add_f64 v[3:4], v[3:4], v[16:17]
	v_add_f64 v[50:51], v[18:19], v[54:55]
	ds_read_b128 v[16:19], v32 offset:1280
	s_waitcnt lgkmcnt(0)
	v_mul_f64 v[20:21], v[44:45], v[18:19]
	v_mul_f64 v[22:23], v[42:43], v[18:19]
	v_fma_f64 v[20:21], v[42:43], v[16:17], -v[20:21]
	v_fma_f64 v[22:23], v[44:45], v[16:17], v[22:23]
	v_add_f64 v[36:37], v[36:37], v[20:21]
	v_add_f64 v[34:35], v[22:23], v[34:35]
	ds_read_b128 v[20:23], v33 offset:2080
	s_waitcnt lgkmcnt(0)
	v_mul_f64 v[42:43], v[22:23], v[14:15]
	v_mul_f64 v[14:15], v[20:21], v[14:15]
	v_fma_f64 v[42:43], v[20:21], v[12:13], -v[42:43]
	v_fma_f64 v[12:13], v[22:23], v[12:13], v[14:15]
	v_mul_f64 v[14:15], v[20:21], v[18:19]
	v_add_f64 v[38:39], v[38:39], v[42:43]
	v_add_f64 v[40:41], v[12:13], v[40:41]
	v_mul_f64 v[12:13], v[22:23], v[18:19]
	v_fma_f64 v[14:15], v[22:23], v[16:17], v[14:15]
	v_fma_f64 v[12:13], v[20:21], v[16:17], -v[12:13]
	v_add_f64 v[24:25], v[14:15], v[24:25]
	;; [unrolled: 30-line block ×3, first 2 shown]
	v_add_f64 v[26:27], v[26:27], v[12:13]
	ds_read_b128 v[12:15], v33 offset:64
	ds_read_b128 v[16:19], v32 offset:2048
	s_waitcnt lgkmcnt(0)
	v_mul_f64 v[20:21], v[14:15], v[18:19]
	v_mul_f64 v[22:23], v[12:13], v[18:19]
	v_fma_f64 v[20:21], v[12:13], v[16:17], -v[20:21]
	v_fma_f64 v[22:23], v[14:15], v[16:17], v[22:23]
	v_add_f64 v[3:4], v[3:4], v[20:21]
	v_add_f64 v[42:43], v[22:23], v[42:43]
	ds_read_b128 v[20:23], v32 offset:2304
	s_waitcnt lgkmcnt(0)
	v_mul_f64 v[44:45], v[14:15], v[22:23]
	v_fma_f64 v[44:45], v[12:13], v[20:21], -v[44:45]
	v_mul_f64 v[12:13], v[12:13], v[22:23]
	v_add_f64 v[36:37], v[36:37], v[44:45]
	v_fma_f64 v[12:13], v[14:15], v[20:21], v[12:13]
	v_add_f64 v[34:35], v[12:13], v[34:35]
	ds_read_b128 v[12:15], v33 offset:2112
	s_waitcnt lgkmcnt(0)
	v_mul_f64 v[44:45], v[14:15], v[18:19]
	v_mul_f64 v[18:19], v[12:13], v[18:19]
	v_fma_f64 v[44:45], v[12:13], v[16:17], -v[44:45]
	v_fma_f64 v[16:17], v[14:15], v[16:17], v[18:19]
	v_add_f64 v[38:39], v[38:39], v[44:45]
	v_add_f64 v[40:41], v[16:17], v[40:41]
	v_mul_f64 v[16:17], v[14:15], v[22:23]
	v_fma_f64 v[16:17], v[12:13], v[20:21], -v[16:17]
	v_mul_f64 v[12:13], v[12:13], v[22:23]
	v_add_f64 v[26:27], v[26:27], v[16:17]
	v_fma_f64 v[12:13], v[14:15], v[20:21], v[12:13]
	v_add_f64 v[24:25], v[12:13], v[24:25]
	ds_read_b128 v[12:15], v33 offset:80
	ds_read_b128 v[16:19], v32 offset:2560
	s_waitcnt lgkmcnt(0)
	v_mul_f64 v[20:21], v[14:15], v[18:19]
	v_mul_f64 v[22:23], v[12:13], v[18:19]
	v_fma_f64 v[20:21], v[12:13], v[16:17], -v[20:21]
	v_fma_f64 v[22:23], v[14:15], v[16:17], v[22:23]
	v_add_f64 v[3:4], v[3:4], v[20:21]
	v_add_f64 v[42:43], v[22:23], v[42:43]
	ds_read_b128 v[20:23], v32 offset:2816
	s_waitcnt lgkmcnt(0)
	v_mul_f64 v[44:45], v[14:15], v[22:23]
	v_fma_f64 v[44:45], v[12:13], v[20:21], -v[44:45]
	v_mul_f64 v[12:13], v[12:13], v[22:23]
	v_add_f64 v[36:37], v[36:37], v[44:45]
	v_fma_f64 v[12:13], v[14:15], v[20:21], v[12:13]
	v_add_f64 v[34:35], v[12:13], v[34:35]
	ds_read_b128 v[12:15], v33 offset:2128
	s_waitcnt lgkmcnt(0)
	v_mul_f64 v[44:45], v[14:15], v[18:19]
	v_mul_f64 v[18:19], v[12:13], v[18:19]
	v_fma_f64 v[44:45], v[12:13], v[16:17], -v[44:45]
	v_fma_f64 v[16:17], v[14:15], v[16:17], v[18:19]
	v_add_f64 v[38:39], v[38:39], v[44:45]
	v_add_f64 v[40:41], v[16:17], v[40:41]
	v_mul_f64 v[16:17], v[14:15], v[22:23]
	v_fma_f64 v[16:17], v[12:13], v[20:21], -v[16:17]
	v_mul_f64 v[12:13], v[12:13], v[22:23]
	v_add_f64 v[26:27], v[26:27], v[16:17]
	v_fma_f64 v[12:13], v[14:15], v[20:21], v[12:13]
	;; [unrolled: 31-line block ×3, first 2 shown]
	v_add_f64 v[46:47], v[12:13], v[24:25]
	ds_read_b128 v[12:15], v33 offset:112
	ds_read_b128 v[16:19], v32 offset:3584
	ds_read_b128 v[24:27], v32 offset:3840
	s_waitcnt lgkmcnt(1)
	v_mul_f64 v[20:21], v[14:15], v[18:19]
	v_mul_f64 v[22:23], v[12:13], v[18:19]
	v_fma_f64 v[20:21], v[12:13], v[16:17], -v[20:21]
	v_fma_f64 v[22:23], v[14:15], v[16:17], v[22:23]
	v_add_f64 v[20:21], v[3:4], v[20:21]
	s_waitcnt lgkmcnt(0)
	v_mul_f64 v[3:4], v[14:15], v[26:27]
	v_add_f64 v[22:23], v[22:23], v[42:43]
	v_fma_f64 v[3:4], v[12:13], v[24:25], -v[3:4]
	v_mul_f64 v[12:13], v[12:13], v[26:27]
	v_fma_f64 v[14:15], v[14:15], v[24:25], v[12:13]
	v_add_f64 v[12:13], v[36:37], v[3:4]
	v_add_f64 v[14:15], v[14:15], v[34:35]
	ds_read_b128 v[34:37], v33 offset:2160
	s_waitcnt lgkmcnt(0)
	s_barrier
	v_mul_f64 v[3:4], v[36:37], v[18:19]
	v_mul_f64 v[18:19], v[34:35], v[18:19]
	v_fma_f64 v[3:4], v[34:35], v[16:17], -v[3:4]
	v_fma_f64 v[18:19], v[36:37], v[16:17], v[18:19]
	v_add_f64 v[16:17], v[38:39], v[3:4]
	v_mul_f64 v[3:4], v[36:37], v[26:27]
	v_mul_f64 v[26:27], v[34:35], v[26:27]
	v_add_f64 v[18:19], v[18:19], v[40:41]
	v_fma_f64 v[3:4], v[34:35], v[24:25], -v[3:4]
	v_fma_f64 v[24:25], v[36:37], v[24:25], v[26:27]
	v_add_f64 v[26:27], v[44:45], v[3:4]
	v_add_f64 v[24:25], v[24:25], v[46:47]
	s_cbranch_vccnz .LBB1377_12
.LBB1377_3:                             ; =>This Inner Loop Header: Depth=1
	v_mov_b32_e32 v4, s3
	v_add_co_u32_e32 v3, vcc, s2, v28
	v_addc_co_u32_e32 v4, vcc, 0, v4, vcc
	v_cmp_le_i64_e32 vcc, s[12:13], v[3:4]
	s_or_b64 s[6:7], s[4:5], vcc
	s_and_saveexec_b64 s[18:19], s[6:7]
	s_xor_b64 s[6:7], exec, s[18:19]
; %bb.4:                                ;   in Loop: Header=BB1377_3 Depth=1
	v_mov_b32_e32 v3, v2
	v_mov_b32_e32 v4, v2
	;; [unrolled: 1-line block ×3, first 2 shown]
	ds_write_b128 v30, v[2:5]
; %bb.5:                                ;   in Loop: Header=BB1377_3 Depth=1
	s_andn2_saveexec_b64 s[6:7], s[6:7]
	s_cbranch_execz .LBB1377_7
; %bb.6:                                ;   in Loop: Header=BB1377_3 Depth=1
	global_load_dwordx4 v[34:37], v[6:7], off
	s_waitcnt vmcnt(0)
	ds_write2_b64 v30, v[34:35], v[36:37] offset1:1
.LBB1377_7:                             ;   in Loop: Header=BB1377_3 Depth=1
	s_or_b64 exec, exec, s[6:7]
	v_mov_b32_e32 v4, s3
	v_add_co_u32_e32 v3, vcc, s2, v29
	v_addc_co_u32_e32 v4, vcc, 0, v4, vcc
	v_cmp_le_i64_e32 vcc, s[12:13], v[3:4]
	s_or_b64 s[6:7], vcc, s[0:1]
	s_and_saveexec_b64 s[18:19], s[6:7]
	s_xor_b64 s[6:7], exec, s[18:19]
; %bb.8:                                ;   in Loop: Header=BB1377_3 Depth=1
	v_mov_b32_e32 v3, v2
	v_mov_b32_e32 v4, v2
	;; [unrolled: 1-line block ×3, first 2 shown]
	ds_write_b128 v31, v[2:5]
; %bb.9:                                ;   in Loop: Header=BB1377_3 Depth=1
	s_andn2_saveexec_b64 s[6:7], s[6:7]
	s_cbranch_execz .LBB1377_2
; %bb.10:                               ;   in Loop: Header=BB1377_3 Depth=1
	global_load_dwordx4 v[34:37], v[8:9], off
	s_waitcnt vmcnt(0)
	ds_write2_b64 v31, v[34:35], v[36:37] offset1:1
	s_branch .LBB1377_2
.LBB1377_11:
	v_mov_b32_e32 v20, 0
	v_mov_b32_e32 v22, 0
	;; [unrolled: 1-line block ×16, first 2 shown]
.LBB1377_12:
	v_add_u32_e32 v4, s11, v1
	v_ashrrev_i32_e32 v1, 31, v4
	v_mul_lo_u32 v3, s28, v1
	v_mul_lo_u32 v5, s29, v4
	v_mad_u64_u32 v[1:2], s[2:3], s28, v4, 0
	s_mul_i32 s0, s31, s8
	s_mul_hi_u32 s1, s30, s8
	s_add_i32 s1, s1, s0
	s_mul_i32 s0, s30, s8
	s_lshl_b64 s[0:1], s[0:1], 4
	v_add3_u32 v2, v2, v3, v5
	s_add_u32 s6, s42, s0
	v_lshlrev_b64 v[1:2], 4, v[1:2]
	s_addc_u32 s7, s43, s1
	v_mov_b32_e32 v3, s7
	v_add_co_u32_e32 v5, vcc, s6, v1
	v_add_u32_e32 v0, s10, v0
	v_addc_co_u32_e32 v6, vcc, v3, v2, vcc
	v_cmp_le_i32_e64 s[0:1], v4, v0
	v_cmp_gt_i32_e32 vcc, s9, v0
	s_and_b64 s[0:1], s[0:1], vcc
	s_and_saveexec_b64 s[2:3], s[0:1]
	s_cbranch_execz .LBB1377_14
; %bb.13:
	v_ashrrev_i32_e32 v1, 31, v0
	v_lshlrev_b64 v[1:2], 4, v[0:1]
	v_mul_f64 v[28:29], s[14:15], v[22:23]
	v_add_co_u32_e64 v1, s[0:1], v5, v1
	v_addc_co_u32_e64 v2, s[0:1], v6, v2, s[0:1]
	global_load_dwordx4 v[7:10], v[1:2], off
	v_mul_f64 v[22:23], s[16:17], v[22:23]
	v_cmp_ne_u32_e64 s[0:1], v4, v0
	v_fma_f64 v[28:29], s[16:17], v[20:21], v[28:29]
	v_fma_f64 v[20:21], s[14:15], v[20:21], -v[22:23]
	s_waitcnt vmcnt(0)
	v_mul_f64 v[30:31], s[38:39], v[9:10]
	v_mul_f64 v[9:10], s[40:41], v[9:10]
	v_fma_f64 v[30:31], s[40:41], v[7:8], v[30:31]
	v_fma_f64 v[7:8], s[38:39], v[7:8], -v[9:10]
	v_add_f64 v[9:10], v[28:29], v[30:31]
	v_add_f64 v[7:8], v[20:21], v[7:8]
	v_cndmask_b32_e64 v10, 0, v10, s[0:1]
	v_cndmask_b32_e64 v9, 0, v9, s[0:1]
	global_store_dwordx4 v[1:2], v[7:10], off
.LBB1377_14:
	s_or_b64 exec, exec, s[2:3]
	v_add_u32_e32 v2, 16, v0
	v_cmp_le_i32_e64 s[2:3], v4, v2
	v_cmp_gt_i32_e64 s[0:1], s9, v2
	s_and_b64 s[2:3], s[2:3], s[0:1]
	s_and_saveexec_b64 s[4:5], s[2:3]
	s_cbranch_execz .LBB1377_16
; %bb.15:
	v_ashrrev_i32_e32 v3, 31, v2
	v_lshlrev_b64 v[7:8], 4, v[2:3]
	v_mul_f64 v[20:21], s[14:15], v[14:15]
	v_add_co_u32_e64 v9, s[2:3], v5, v7
	v_addc_co_u32_e64 v10, s[2:3], v6, v8, s[2:3]
	global_load_dwordx4 v[5:8], v[9:10], off
	v_mul_f64 v[14:15], s[16:17], v[14:15]
	v_cmp_ne_u32_e64 s[2:3], v4, v2
	v_fma_f64 v[20:21], s[16:17], v[12:13], v[20:21]
	v_fma_f64 v[11:12], s[14:15], v[12:13], -v[14:15]
	s_waitcnt vmcnt(0)
	v_mul_f64 v[22:23], s[38:39], v[7:8]
	v_mul_f64 v[7:8], s[40:41], v[7:8]
	v_fma_f64 v[22:23], s[40:41], v[5:6], v[22:23]
	v_fma_f64 v[5:6], s[38:39], v[5:6], -v[7:8]
	v_add_f64 v[7:8], v[20:21], v[22:23]
	v_add_f64 v[5:6], v[11:12], v[5:6]
	v_cndmask_b32_e64 v8, 0, v8, s[2:3]
	v_cndmask_b32_e64 v7, 0, v7, s[2:3]
	global_store_dwordx4 v[9:10], v[5:8], off
.LBB1377_16:
	s_or_b64 exec, exec, s[4:5]
	v_add_u32_e32 v3, 16, v4
	v_ashrrev_i32_e32 v1, 31, v3
	v_mul_lo_u32 v7, s29, v3
	v_mad_u64_u32 v[5:6], s[2:3], s28, v3, 0
	v_mul_lo_u32 v1, s28, v1
	v_add3_u32 v6, v6, v1, v7
	v_lshlrev_b64 v[5:6], 4, v[5:6]
	v_mov_b32_e32 v1, s7
	v_add_co_u32_e64 v5, s[2:3], s6, v5
	v_addc_co_u32_e64 v6, s[2:3], v1, v6, s[2:3]
	v_cmp_le_i32_e64 s[2:3], v3, v0
	s_and_b64 s[4:5], s[2:3], vcc
	s_and_saveexec_b64 s[2:3], s[4:5]
	s_cbranch_execz .LBB1377_18
; %bb.17:
	v_ashrrev_i32_e32 v1, 31, v0
	v_lshlrev_b64 v[7:8], 4, v[0:1]
	v_mul_f64 v[13:14], s[14:15], v[18:19]
	v_add_co_u32_e32 v11, vcc, v5, v7
	v_addc_co_u32_e32 v12, vcc, v6, v8, vcc
	global_load_dwordx4 v[7:10], v[11:12], off
	v_mul_f64 v[18:19], s[16:17], v[18:19]
	v_cmp_ne_u32_e32 vcc, v3, v0
	v_fma_f64 v[13:14], s[16:17], v[16:17], v[13:14]
	v_fma_f64 v[15:16], s[14:15], v[16:17], -v[18:19]
	s_waitcnt vmcnt(0)
	v_mul_f64 v[20:21], s[38:39], v[9:10]
	v_mul_f64 v[9:10], s[40:41], v[9:10]
	v_fma_f64 v[20:21], s[40:41], v[7:8], v[20:21]
	v_fma_f64 v[7:8], s[38:39], v[7:8], -v[9:10]
	v_add_f64 v[9:10], v[13:14], v[20:21]
	v_add_f64 v[7:8], v[15:16], v[7:8]
	v_cndmask_b32_e32 v10, 0, v10, vcc
	v_cndmask_b32_e32 v9, 0, v9, vcc
	global_store_dwordx4 v[11:12], v[7:10], off
.LBB1377_18:
	s_or_b64 exec, exec, s[2:3]
	v_cmp_le_i32_e32 vcc, v3, v2
	s_and_b64 s[0:1], vcc, s[0:1]
	s_and_saveexec_b64 s[2:3], s[0:1]
	s_cbranch_execz .LBB1377_20
; %bb.19:
	v_ashrrev_i32_e32 v3, 31, v2
	v_lshlrev_b64 v[1:2], 4, v[2:3]
	v_mul_f64 v[13:14], s[16:17], v[24:25]
	v_add_co_u32_e32 v9, vcc, v5, v1
	v_addc_co_u32_e32 v10, vcc, v6, v2, vcc
	global_load_dwordx4 v[5:8], v[9:10], off
	v_mul_f64 v[1:2], s[14:15], v[24:25]
	v_cmp_ne_u32_e32 vcc, v4, v0
	v_fma_f64 v[13:14], s[14:15], v[26:27], -v[13:14]
	v_fma_f64 v[1:2], s[16:17], v[26:27], v[1:2]
	s_waitcnt vmcnt(0)
	v_mul_f64 v[11:12], s[38:39], v[7:8]
	v_mul_f64 v[7:8], s[40:41], v[7:8]
	v_fma_f64 v[11:12], s[40:41], v[5:6], v[11:12]
	v_fma_f64 v[5:6], s[38:39], v[5:6], -v[7:8]
	v_add_f64 v[7:8], v[1:2], v[11:12]
	v_add_f64 v[1:2], v[13:14], v[5:6]
	v_cndmask_b32_e32 v4, 0, v8, vcc
	v_cndmask_b32_e32 v3, 0, v7, vcc
	global_store_dwordx4 v[9:10], v[1:4], off
.LBB1377_20:
	s_endpgm
	.section	.rodata,"a",@progbits
	.p2align	6, 0x0
	.amdhsa_kernel _ZL34rocblas_syrkx_herkx_general_kernelIl19rocblas_complex_numIdELi16ELi32ELi8ELb0ELb1ELc84ELc76EKS1_S1_EviT_T0_PT8_S3_lS6_S3_lS4_PT9_S3_li
		.amdhsa_group_segment_fixed_size 8192
		.amdhsa_private_segment_fixed_size 0
		.amdhsa_kernarg_size 124
		.amdhsa_user_sgpr_count 6
		.amdhsa_user_sgpr_private_segment_buffer 1
		.amdhsa_user_sgpr_dispatch_ptr 0
		.amdhsa_user_sgpr_queue_ptr 0
		.amdhsa_user_sgpr_kernarg_segment_ptr 1
		.amdhsa_user_sgpr_dispatch_id 0
		.amdhsa_user_sgpr_flat_scratch_init 0
		.amdhsa_user_sgpr_private_segment_size 0
		.amdhsa_uses_dynamic_stack 0
		.amdhsa_system_sgpr_private_segment_wavefront_offset 0
		.amdhsa_system_sgpr_workgroup_id_x 1
		.amdhsa_system_sgpr_workgroup_id_y 1
		.amdhsa_system_sgpr_workgroup_id_z 1
		.amdhsa_system_sgpr_workgroup_info 0
		.amdhsa_system_vgpr_workitem_id 1
		.amdhsa_next_free_vgpr 58
		.amdhsa_next_free_sgpr 61
		.amdhsa_reserve_vcc 1
		.amdhsa_reserve_flat_scratch 0
		.amdhsa_float_round_mode_32 0
		.amdhsa_float_round_mode_16_64 0
		.amdhsa_float_denorm_mode_32 3
		.amdhsa_float_denorm_mode_16_64 3
		.amdhsa_dx10_clamp 1
		.amdhsa_ieee_mode 1
		.amdhsa_fp16_overflow 0
		.amdhsa_exception_fp_ieee_invalid_op 0
		.amdhsa_exception_fp_denorm_src 0
		.amdhsa_exception_fp_ieee_div_zero 0
		.amdhsa_exception_fp_ieee_overflow 0
		.amdhsa_exception_fp_ieee_underflow 0
		.amdhsa_exception_fp_ieee_inexact 0
		.amdhsa_exception_int_div_zero 0
	.end_amdhsa_kernel
	.section	.text._ZL34rocblas_syrkx_herkx_general_kernelIl19rocblas_complex_numIdELi16ELi32ELi8ELb0ELb1ELc84ELc76EKS1_S1_EviT_T0_PT8_S3_lS6_S3_lS4_PT9_S3_li,"axG",@progbits,_ZL34rocblas_syrkx_herkx_general_kernelIl19rocblas_complex_numIdELi16ELi32ELi8ELb0ELb1ELc84ELc76EKS1_S1_EviT_T0_PT8_S3_lS6_S3_lS4_PT9_S3_li,comdat
.Lfunc_end1377:
	.size	_ZL34rocblas_syrkx_herkx_general_kernelIl19rocblas_complex_numIdELi16ELi32ELi8ELb0ELb1ELc84ELc76EKS1_S1_EviT_T0_PT8_S3_lS6_S3_lS4_PT9_S3_li, .Lfunc_end1377-_ZL34rocblas_syrkx_herkx_general_kernelIl19rocblas_complex_numIdELi16ELi32ELi8ELb0ELb1ELc84ELc76EKS1_S1_EviT_T0_PT8_S3_lS6_S3_lS4_PT9_S3_li
                                        ; -- End function
	.set _ZL34rocblas_syrkx_herkx_general_kernelIl19rocblas_complex_numIdELi16ELi32ELi8ELb0ELb1ELc84ELc76EKS1_S1_EviT_T0_PT8_S3_lS6_S3_lS4_PT9_S3_li.num_vgpr, 58
	.set _ZL34rocblas_syrkx_herkx_general_kernelIl19rocblas_complex_numIdELi16ELi32ELi8ELb0ELb1ELc84ELc76EKS1_S1_EviT_T0_PT8_S3_lS6_S3_lS4_PT9_S3_li.num_agpr, 0
	.set _ZL34rocblas_syrkx_herkx_general_kernelIl19rocblas_complex_numIdELi16ELi32ELi8ELb0ELb1ELc84ELc76EKS1_S1_EviT_T0_PT8_S3_lS6_S3_lS4_PT9_S3_li.numbered_sgpr, 44
	.set _ZL34rocblas_syrkx_herkx_general_kernelIl19rocblas_complex_numIdELi16ELi32ELi8ELb0ELb1ELc84ELc76EKS1_S1_EviT_T0_PT8_S3_lS6_S3_lS4_PT9_S3_li.num_named_barrier, 0
	.set _ZL34rocblas_syrkx_herkx_general_kernelIl19rocblas_complex_numIdELi16ELi32ELi8ELb0ELb1ELc84ELc76EKS1_S1_EviT_T0_PT8_S3_lS6_S3_lS4_PT9_S3_li.private_seg_size, 0
	.set _ZL34rocblas_syrkx_herkx_general_kernelIl19rocblas_complex_numIdELi16ELi32ELi8ELb0ELb1ELc84ELc76EKS1_S1_EviT_T0_PT8_S3_lS6_S3_lS4_PT9_S3_li.uses_vcc, 1
	.set _ZL34rocblas_syrkx_herkx_general_kernelIl19rocblas_complex_numIdELi16ELi32ELi8ELb0ELb1ELc84ELc76EKS1_S1_EviT_T0_PT8_S3_lS6_S3_lS4_PT9_S3_li.uses_flat_scratch, 0
	.set _ZL34rocblas_syrkx_herkx_general_kernelIl19rocblas_complex_numIdELi16ELi32ELi8ELb0ELb1ELc84ELc76EKS1_S1_EviT_T0_PT8_S3_lS6_S3_lS4_PT9_S3_li.has_dyn_sized_stack, 0
	.set _ZL34rocblas_syrkx_herkx_general_kernelIl19rocblas_complex_numIdELi16ELi32ELi8ELb0ELb1ELc84ELc76EKS1_S1_EviT_T0_PT8_S3_lS6_S3_lS4_PT9_S3_li.has_recursion, 0
	.set _ZL34rocblas_syrkx_herkx_general_kernelIl19rocblas_complex_numIdELi16ELi32ELi8ELb0ELb1ELc84ELc76EKS1_S1_EviT_T0_PT8_S3_lS6_S3_lS4_PT9_S3_li.has_indirect_call, 0
	.section	.AMDGPU.csdata,"",@progbits
; Kernel info:
; codeLenInByte = 3504
; TotalNumSgprs: 48
; NumVgprs: 58
; ScratchSize: 0
; MemoryBound: 0
; FloatMode: 240
; IeeeMode: 1
; LDSByteSize: 8192 bytes/workgroup (compile time only)
; SGPRBlocks: 8
; VGPRBlocks: 14
; NumSGPRsForWavesPerEU: 65
; NumVGPRsForWavesPerEU: 58
; Occupancy: 4
; WaveLimiterHint : 0
; COMPUTE_PGM_RSRC2:SCRATCH_EN: 0
; COMPUTE_PGM_RSRC2:USER_SGPR: 6
; COMPUTE_PGM_RSRC2:TRAP_HANDLER: 0
; COMPUTE_PGM_RSRC2:TGID_X_EN: 1
; COMPUTE_PGM_RSRC2:TGID_Y_EN: 1
; COMPUTE_PGM_RSRC2:TGID_Z_EN: 1
; COMPUTE_PGM_RSRC2:TIDIG_COMP_CNT: 1
	.section	.text._ZL34rocblas_syrkx_herkx_general_kernelIl19rocblas_complex_numIdELi16ELi32ELi8ELb0ELb1ELc67ELc76EKS1_S1_EviT_T0_PT8_S3_lS6_S3_lS4_PT9_S3_li,"axG",@progbits,_ZL34rocblas_syrkx_herkx_general_kernelIl19rocblas_complex_numIdELi16ELi32ELi8ELb0ELb1ELc67ELc76EKS1_S1_EviT_T0_PT8_S3_lS6_S3_lS4_PT9_S3_li,comdat
	.globl	_ZL34rocblas_syrkx_herkx_general_kernelIl19rocblas_complex_numIdELi16ELi32ELi8ELb0ELb1ELc67ELc76EKS1_S1_EviT_T0_PT8_S3_lS6_S3_lS4_PT9_S3_li ; -- Begin function _ZL34rocblas_syrkx_herkx_general_kernelIl19rocblas_complex_numIdELi16ELi32ELi8ELb0ELb1ELc67ELc76EKS1_S1_EviT_T0_PT8_S3_lS6_S3_lS4_PT9_S3_li
	.p2align	8
	.type	_ZL34rocblas_syrkx_herkx_general_kernelIl19rocblas_complex_numIdELi16ELi32ELi8ELb0ELb1ELc67ELc76EKS1_S1_EviT_T0_PT8_S3_lS6_S3_lS4_PT9_S3_li,@function
_ZL34rocblas_syrkx_herkx_general_kernelIl19rocblas_complex_numIdELi16ELi32ELi8ELb0ELb1ELc67ELc76EKS1_S1_EviT_T0_PT8_S3_lS6_S3_lS4_PT9_S3_li: ; @_ZL34rocblas_syrkx_herkx_general_kernelIl19rocblas_complex_numIdELi16ELi32ELi8ELb0ELb1ELc67ELc76EKS1_S1_EviT_T0_PT8_S3_lS6_S3_lS4_PT9_S3_li
; %bb.0:
	s_load_dwordx16 s[12:27], s[4:5], 0x8
	s_load_dword s9, s[4:5], 0x0
	s_load_dwordx4 s[28:31], s[4:5], 0x68
	s_load_dwordx8 s[36:43], s[4:5], 0x48
	s_lshl_b32 s10, s6, 5
	s_waitcnt lgkmcnt(0)
	v_cmp_lt_i64_e64 s[0:1], s[12:13], 1
	s_lshl_b32 s11, s7, 5
	s_and_b64 vcc, exec, s[0:1]
	s_cbranch_vccnz .LBB1378_9
; %bb.1:
	v_lshl_add_u32 v2, v1, 4, v0
	v_and_b32_e32 v5, 31, v2
	v_or_b32_e32 v6, s10, v5
	v_and_b32_e32 v30, 7, v0
	v_lshrrev_b32_e32 v3, 3, v2
	v_lshrrev_b32_e32 v29, 5, v2
	v_cmp_gt_i32_e64 s[0:1], s9, v6
	v_lshlrev_b32_e32 v2, 4, v5
	v_lshlrev_b32_e32 v6, 4, v30
	v_lshl_or_b32 v31, v29, 9, v2
	v_lshl_or_b32 v2, v3, 7, v6
	v_add_u32_e32 v32, 0x1000, v2
	v_add_u32_e32 v2, s10, v5
	;; [unrolled: 1-line block ×3, first 2 shown]
	v_ashrrev_i32_e32 v3, 31, v2
	v_mul_lo_u32 v5, s20, v3
	v_mul_lo_u32 v8, s21, v2
	v_mad_u64_u32 v[2:3], s[2:3], s20, v2, 0
	s_mul_i32 s2, s23, s8
	s_mul_hi_u32 s3, s22, s8
	v_add3_u32 v3, v3, v5, v8
	v_lshlrev_b64 v[2:3], 4, v[2:3]
	s_add_i32 s3, s3, s2
	s_mul_i32 s2, s22, s8
	s_lshl_b64 s[2:3], s[2:3], 4
	v_mov_b32_e32 v5, s3
	v_add_co_u32_e64 v2, s[2:3], s2, v2
	v_addc_co_u32_e64 v3, s[2:3], v3, v5, s[2:3]
	v_lshlrev_b32_e32 v5, 4, v29
	v_add_co_u32_e64 v2, s[2:3], v2, v5
	v_addc_co_u32_e64 v3, s[2:3], 0, v3, s[2:3]
	v_ashrrev_i32_e32 v7, 31, v4
	v_mov_b32_e32 v9, 0x1000
	v_mov_b32_e32 v5, s19
	v_add_co_u32_e64 v8, s[2:3], s18, v2
	v_lshl_add_u32 v34, v1, 7, v9
	v_addc_co_u32_e64 v5, s[2:3], v5, v3, s[2:3]
	v_mul_lo_u32 v9, s26, v7
	v_mul_lo_u32 v10, s27, v4
	v_mad_u64_u32 v[2:3], s[2:3], s26, v4, 0
	v_add_co_u32_e64 v7, s[2:3], 8, v8
	v_addc_co_u32_e64 v8, s[2:3], 0, v5, s[2:3]
	v_add3_u32 v3, v3, v9, v10
	s_mul_i32 s2, s37, s8
	s_mul_hi_u32 s3, s36, s8
	v_lshlrev_b64 v[2:3], 4, v[2:3]
	s_add_i32 s3, s3, s2
	s_mul_i32 s2, s36, s8
	s_lshl_b64 s[2:3], s[2:3], 4
	v_cmp_gt_i32_e32 vcc, s9, v4
	v_mov_b32_e32 v4, s3
	v_add_co_u32_e64 v2, s[2:3], s2, v2
	v_addc_co_u32_e64 v3, s[2:3], v3, v4, s[2:3]
	v_add_co_u32_e64 v2, s[2:3], v2, v6
	v_addc_co_u32_e64 v3, s[2:3], 0, v3, s[2:3]
	v_mov_b32_e32 v4, s25
	v_add_co_u32_e64 v9, s[2:3], s24, v2
	v_addc_co_u32_e64 v10, s[2:3], v4, v3, s[2:3]
	v_mov_b32_e32 v25, 0
	v_mov_b32_e32 v11, s12
	;; [unrolled: 1-line block ×9, first 2 shown]
	v_lshlrev_b32_e32 v33, 4, v0
	s_mov_b64 s[2:3], 0
	v_mov_b32_e32 v26, 0
	s_xor_b64 s[4:5], vcc, -1
	v_mov_b32_e32 v12, s13
	v_mov_b32_e32 v28, 0
	;; [unrolled: 1-line block ×9, first 2 shown]
	s_branch .LBB1378_3
.LBB1378_2:                             ;   in Loop: Header=BB1378_3 Depth=1
	s_or_b64 exec, exec, s[6:7]
	s_waitcnt lgkmcnt(0)
	s_barrier
	ds_read_b128 v[3:6], v34
	ds_read_b128 v[35:38], v34 offset:16
	ds_read_b128 v[39:42], v34 offset:32
	;; [unrolled: 1-line block ×3, first 2 shown]
	ds_read_b128 v[47:50], v33
	v_add_co_u32_e32 v7, vcc, 0x80, v7
	v_addc_co_u32_e32 v8, vcc, 0, v8, vcc
	s_waitcnt lgkmcnt(0)
	v_mul_f64 v[51:52], v[5:6], v[49:50]
	v_mul_f64 v[53:54], v[3:4], v[49:50]
	s_add_u32 s2, s2, 8
	v_add_co_u32_e32 v9, vcc, 0x80, v9
	s_addc_u32 s3, s3, 0
	v_addc_co_u32_e32 v10, vcc, 0, v10, vcc
	v_fma_f64 v[51:52], v[3:4], v[47:48], -v[51:52]
	v_fma_f64 v[53:54], v[5:6], v[47:48], v[53:54]
	v_cmp_ge_i64_e32 vcc, s[2:3], v[11:12]
	s_and_b64 vcc, exec, vcc
	v_add_f64 v[51:52], v[21:22], v[51:52]
	v_add_f64 v[53:54], v[53:54], v[23:24]
	ds_read_b128 v[21:24], v33 offset:256
	s_waitcnt lgkmcnt(0)
	v_mul_f64 v[55:56], v[5:6], v[23:24]
	v_fma_f64 v[55:56], v[3:4], v[21:22], -v[55:56]
	v_mul_f64 v[3:4], v[3:4], v[23:24]
	v_add_f64 v[55:56], v[13:14], v[55:56]
	v_fma_f64 v[3:4], v[5:6], v[21:22], v[3:4]
	v_add_f64 v[57:58], v[3:4], v[15:16]
	ds_read_b128 v[3:6], v34 offset:2048
	s_waitcnt lgkmcnt(0)
	v_mul_f64 v[13:14], v[5:6], v[49:50]
	v_mul_f64 v[15:16], v[3:4], v[49:50]
	v_fma_f64 v[13:14], v[3:4], v[47:48], -v[13:14]
	v_fma_f64 v[15:16], v[5:6], v[47:48], v[15:16]
	v_add_f64 v[47:48], v[17:18], v[13:14]
	v_mul_f64 v[13:14], v[5:6], v[23:24]
	v_add_f64 v[49:50], v[15:16], v[19:20]
	v_fma_f64 v[13:14], v[3:4], v[21:22], -v[13:14]
	v_mul_f64 v[3:4], v[3:4], v[23:24]
	v_fma_f64 v[3:4], v[5:6], v[21:22], v[3:4]
	v_add_f64 v[21:22], v[27:28], v[13:14]
	v_add_f64 v[23:24], v[3:4], v[25:26]
	ds_read_b128 v[3:6], v33 offset:512
	s_waitcnt lgkmcnt(0)
	v_mul_f64 v[13:14], v[37:38], v[5:6]
	v_mul_f64 v[15:16], v[35:36], v[5:6]
	v_fma_f64 v[13:14], v[35:36], v[3:4], -v[13:14]
	v_fma_f64 v[15:16], v[37:38], v[3:4], v[15:16]
	v_add_f64 v[25:26], v[51:52], v[13:14]
	v_add_f64 v[27:28], v[15:16], v[53:54]
	ds_read_b128 v[13:16], v33 offset:768
	s_waitcnt lgkmcnt(0)
	v_mul_f64 v[17:18], v[37:38], v[15:16]
	v_mul_f64 v[19:20], v[35:36], v[15:16]
	v_fma_f64 v[17:18], v[35:36], v[13:14], -v[17:18]
	;; [unrolled: 8-line block ×3, first 2 shown]
	v_fma_f64 v[3:4], v[19:20], v[3:4], v[5:6]
	v_mul_f64 v[5:6], v[17:18], v[15:16]
	v_add_f64 v[47:48], v[47:48], v[51:52]
	v_add_f64 v[49:50], v[3:4], v[49:50]
	v_mul_f64 v[3:4], v[19:20], v[15:16]
	v_fma_f64 v[5:6], v[19:20], v[13:14], v[5:6]
	v_fma_f64 v[3:4], v[17:18], v[13:14], -v[3:4]
	v_add_f64 v[23:24], v[5:6], v[23:24]
	v_add_f64 v[21:22], v[21:22], v[3:4]
	ds_read_b128 v[3:6], v33 offset:1024
	s_waitcnt lgkmcnt(0)
	v_mul_f64 v[13:14], v[41:42], v[5:6]
	v_mul_f64 v[15:16], v[39:40], v[5:6]
	v_fma_f64 v[13:14], v[39:40], v[3:4], -v[13:14]
	v_fma_f64 v[15:16], v[41:42], v[3:4], v[15:16]
	v_add_f64 v[25:26], v[25:26], v[13:14]
	v_add_f64 v[27:28], v[15:16], v[27:28]
	ds_read_b128 v[13:16], v33 offset:1280
	s_waitcnt lgkmcnt(0)
	v_mul_f64 v[17:18], v[41:42], v[15:16]
	v_mul_f64 v[19:20], v[39:40], v[15:16]
	v_fma_f64 v[17:18], v[39:40], v[13:14], -v[17:18]
	v_fma_f64 v[19:20], v[41:42], v[13:14], v[19:20]
	;; [unrolled: 8-line block ×3, first 2 shown]
	v_mul_f64 v[5:6], v[17:18], v[15:16]
	v_add_f64 v[39:40], v[47:48], v[39:40]
	v_add_f64 v[41:42], v[3:4], v[49:50]
	v_mul_f64 v[3:4], v[19:20], v[15:16]
	v_fma_f64 v[5:6], v[19:20], v[13:14], v[5:6]
	v_fma_f64 v[3:4], v[17:18], v[13:14], -v[3:4]
	v_add_f64 v[23:24], v[5:6], v[23:24]
	v_add_f64 v[21:22], v[21:22], v[3:4]
	ds_read_b128 v[3:6], v33 offset:1536
	s_waitcnt lgkmcnt(0)
	v_mul_f64 v[13:14], v[45:46], v[5:6]
	v_mul_f64 v[15:16], v[43:44], v[5:6]
	v_fma_f64 v[13:14], v[43:44], v[3:4], -v[13:14]
	v_fma_f64 v[15:16], v[45:46], v[3:4], v[15:16]
	v_add_f64 v[25:26], v[25:26], v[13:14]
	v_add_f64 v[27:28], v[15:16], v[27:28]
	ds_read_b128 v[13:16], v33 offset:1792
	s_waitcnt lgkmcnt(0)
	v_mul_f64 v[17:18], v[45:46], v[15:16]
	v_mul_f64 v[19:20], v[43:44], v[15:16]
	v_fma_f64 v[17:18], v[43:44], v[13:14], -v[17:18]
	v_fma_f64 v[19:20], v[45:46], v[13:14], v[19:20]
	;; [unrolled: 8-line block ×3, first 2 shown]
	v_mul_f64 v[5:6], v[17:18], v[15:16]
	v_add_f64 v[39:40], v[39:40], v[43:44]
	v_add_f64 v[41:42], v[3:4], v[41:42]
	v_mul_f64 v[3:4], v[19:20], v[15:16]
	v_fma_f64 v[5:6], v[19:20], v[13:14], v[5:6]
	v_fma_f64 v[3:4], v[17:18], v[13:14], -v[3:4]
	v_add_f64 v[23:24], v[5:6], v[23:24]
	v_add_f64 v[21:22], v[21:22], v[3:4]
	ds_read_b128 v[3:6], v34 offset:64
	ds_read_b128 v[13:16], v33 offset:2048
	s_waitcnt lgkmcnt(0)
	v_mul_f64 v[17:18], v[5:6], v[15:16]
	v_mul_f64 v[19:20], v[3:4], v[15:16]
	v_fma_f64 v[17:18], v[3:4], v[13:14], -v[17:18]
	v_fma_f64 v[19:20], v[5:6], v[13:14], v[19:20]
	v_add_f64 v[25:26], v[25:26], v[17:18]
	v_add_f64 v[27:28], v[19:20], v[27:28]
	ds_read_b128 v[17:20], v33 offset:2304
	s_waitcnt lgkmcnt(0)
	v_mul_f64 v[43:44], v[5:6], v[19:20]
	v_fma_f64 v[43:44], v[3:4], v[17:18], -v[43:44]
	v_mul_f64 v[3:4], v[3:4], v[19:20]
	v_add_f64 v[35:36], v[35:36], v[43:44]
	v_fma_f64 v[3:4], v[5:6], v[17:18], v[3:4]
	v_add_f64 v[37:38], v[3:4], v[37:38]
	ds_read_b128 v[3:6], v34 offset:2112
	s_waitcnt lgkmcnt(0)
	v_mul_f64 v[43:44], v[5:6], v[15:16]
	v_mul_f64 v[15:16], v[3:4], v[15:16]
	v_fma_f64 v[43:44], v[3:4], v[13:14], -v[43:44]
	v_fma_f64 v[13:14], v[5:6], v[13:14], v[15:16]
	v_add_f64 v[39:40], v[39:40], v[43:44]
	v_add_f64 v[41:42], v[13:14], v[41:42]
	v_mul_f64 v[13:14], v[5:6], v[19:20]
	v_fma_f64 v[13:14], v[3:4], v[17:18], -v[13:14]
	v_mul_f64 v[3:4], v[3:4], v[19:20]
	v_add_f64 v[21:22], v[21:22], v[13:14]
	v_fma_f64 v[3:4], v[5:6], v[17:18], v[3:4]
	v_add_f64 v[23:24], v[3:4], v[23:24]
	ds_read_b128 v[3:6], v34 offset:80
	ds_read_b128 v[13:16], v33 offset:2560
	s_waitcnt lgkmcnt(0)
	v_mul_f64 v[17:18], v[5:6], v[15:16]
	v_mul_f64 v[19:20], v[3:4], v[15:16]
	v_fma_f64 v[17:18], v[3:4], v[13:14], -v[17:18]
	v_fma_f64 v[19:20], v[5:6], v[13:14], v[19:20]
	v_add_f64 v[25:26], v[25:26], v[17:18]
	v_add_f64 v[27:28], v[19:20], v[27:28]
	ds_read_b128 v[17:20], v33 offset:2816
	s_waitcnt lgkmcnt(0)
	v_mul_f64 v[43:44], v[5:6], v[19:20]
	v_fma_f64 v[43:44], v[3:4], v[17:18], -v[43:44]
	v_mul_f64 v[3:4], v[3:4], v[19:20]
	v_add_f64 v[35:36], v[35:36], v[43:44]
	v_fma_f64 v[3:4], v[5:6], v[17:18], v[3:4]
	v_add_f64 v[37:38], v[3:4], v[37:38]
	ds_read_b128 v[3:6], v34 offset:2128
	s_waitcnt lgkmcnt(0)
	v_mul_f64 v[43:44], v[5:6], v[15:16]
	v_mul_f64 v[15:16], v[3:4], v[15:16]
	v_fma_f64 v[43:44], v[3:4], v[13:14], -v[43:44]
	v_fma_f64 v[13:14], v[5:6], v[13:14], v[15:16]
	v_add_f64 v[39:40], v[39:40], v[43:44]
	v_add_f64 v[41:42], v[13:14], v[41:42]
	v_mul_f64 v[13:14], v[5:6], v[19:20]
	v_fma_f64 v[13:14], v[3:4], v[17:18], -v[13:14]
	v_mul_f64 v[3:4], v[3:4], v[19:20]
	v_add_f64 v[21:22], v[21:22], v[13:14]
	v_fma_f64 v[3:4], v[5:6], v[17:18], v[3:4]
	;; [unrolled: 31-line block ×3, first 2 shown]
	v_add_f64 v[45:46], v[3:4], v[23:24]
	ds_read_b128 v[3:6], v34 offset:112
	ds_read_b128 v[17:20], v33 offset:3584
	s_waitcnt lgkmcnt(0)
	v_mul_f64 v[13:14], v[5:6], v[19:20]
	v_mul_f64 v[15:16], v[3:4], v[19:20]
	v_fma_f64 v[13:14], v[3:4], v[17:18], -v[13:14]
	v_fma_f64 v[15:16], v[5:6], v[17:18], v[15:16]
	v_add_f64 v[21:22], v[25:26], v[13:14]
	v_add_f64 v[23:24], v[15:16], v[27:28]
	ds_read_b128 v[25:28], v33 offset:3840
	s_waitcnt lgkmcnt(0)
	v_mul_f64 v[13:14], v[5:6], v[27:28]
	v_fma_f64 v[13:14], v[3:4], v[25:26], -v[13:14]
	v_mul_f64 v[3:4], v[3:4], v[27:28]
	v_add_f64 v[13:14], v[35:36], v[13:14]
	v_fma_f64 v[3:4], v[5:6], v[25:26], v[3:4]
	v_add_f64 v[15:16], v[3:4], v[37:38]
	ds_read_b128 v[3:6], v34 offset:2160
	s_waitcnt lgkmcnt(0)
	s_barrier
	v_mul_f64 v[35:36], v[5:6], v[19:20]
	v_mul_f64 v[19:20], v[3:4], v[19:20]
	v_fma_f64 v[35:36], v[3:4], v[17:18], -v[35:36]
	v_fma_f64 v[19:20], v[5:6], v[17:18], v[19:20]
	v_add_f64 v[17:18], v[39:40], v[35:36]
	v_mul_f64 v[35:36], v[5:6], v[27:28]
	v_add_f64 v[19:20], v[19:20], v[41:42]
	v_fma_f64 v[35:36], v[3:4], v[25:26], -v[35:36]
	v_mul_f64 v[3:4], v[3:4], v[27:28]
	v_add_f64 v[27:28], v[43:44], v[35:36]
	v_fma_f64 v[3:4], v[5:6], v[25:26], v[3:4]
	v_add_f64 v[25:26], v[3:4], v[45:46]
	s_cbranch_vccnz .LBB1378_10
.LBB1378_3:                             ; =>This Inner Loop Header: Depth=1
	v_mov_b32_e32 v4, s3
	v_add_co_u32_e32 v3, vcc, s2, v29
	v_addc_co_u32_e32 v4, vcc, 0, v4, vcc
	v_cmp_gt_i64_e32 vcc, s[12:13], v[3:4]
	v_mov_b32_e32 v3, 0
	v_mov_b32_e32 v5, 0
	;; [unrolled: 1-line block ×4, first 2 shown]
	s_and_b64 s[18:19], s[0:1], vcc
	s_and_saveexec_b64 s[6:7], s[18:19]
	s_cbranch_execz .LBB1378_5
; %bb.4:                                ;   in Loop: Header=BB1378_3 Depth=1
	global_load_dwordx4 v[3:6], v[7:8], off offset:-8
	s_waitcnt vmcnt(0)
	v_xor_b32_e32 v6, 0x80000000, v6
.LBB1378_5:                             ;   in Loop: Header=BB1378_3 Depth=1
	s_or_b64 exec, exec, s[6:7]
	v_mov_b32_e32 v36, s3
	v_add_co_u32_e32 v35, vcc, s2, v30
	v_addc_co_u32_e32 v36, vcc, 0, v36, vcc
	v_cmp_le_i64_e32 vcc, s[12:13], v[35:36]
	ds_write_b128 v31, v[3:6]
	s_or_b64 s[6:7], vcc, s[4:5]
	s_and_saveexec_b64 s[18:19], s[6:7]
	s_xor_b64 s[6:7], exec, s[18:19]
; %bb.6:                                ;   in Loop: Header=BB1378_3 Depth=1
	v_mov_b32_e32 v3, v2
	v_mov_b32_e32 v4, v2
	v_mov_b32_e32 v5, v2
	ds_write_b128 v32, v[2:5]
; %bb.7:                                ;   in Loop: Header=BB1378_3 Depth=1
	s_andn2_saveexec_b64 s[6:7], s[6:7]
	s_cbranch_execz .LBB1378_2
; %bb.8:                                ;   in Loop: Header=BB1378_3 Depth=1
	global_load_dwordx4 v[3:6], v[9:10], off
	s_waitcnt vmcnt(0)
	ds_write2_b64 v32, v[3:4], v[5:6] offset1:1
	s_branch .LBB1378_2
.LBB1378_9:
	v_mov_b32_e32 v21, 0
	v_mov_b32_e32 v23, 0
	;; [unrolled: 1-line block ×16, first 2 shown]
.LBB1378_10:
	v_add_u32_e32 v4, s11, v1
	v_ashrrev_i32_e32 v1, 31, v4
	v_mul_lo_u32 v3, s28, v1
	v_mul_lo_u32 v5, s29, v4
	v_mad_u64_u32 v[1:2], s[2:3], s28, v4, 0
	s_mul_i32 s0, s31, s8
	s_mul_hi_u32 s1, s30, s8
	s_add_i32 s1, s1, s0
	s_mul_i32 s0, s30, s8
	s_lshl_b64 s[0:1], s[0:1], 4
	v_add3_u32 v2, v2, v3, v5
	s_add_u32 s6, s42, s0
	v_lshlrev_b64 v[1:2], 4, v[1:2]
	s_addc_u32 s7, s43, s1
	v_mov_b32_e32 v3, s7
	v_add_co_u32_e32 v5, vcc, s6, v1
	v_add_u32_e32 v0, s10, v0
	v_addc_co_u32_e32 v6, vcc, v3, v2, vcc
	v_cmp_le_i32_e64 s[0:1], v4, v0
	v_cmp_gt_i32_e32 vcc, s9, v0
	s_and_b64 s[0:1], s[0:1], vcc
	s_and_saveexec_b64 s[2:3], s[0:1]
	s_cbranch_execz .LBB1378_12
; %bb.11:
	v_ashrrev_i32_e32 v1, 31, v0
	v_lshlrev_b64 v[1:2], 4, v[0:1]
	v_mul_f64 v[11:12], s[14:15], v[23:24]
	v_add_co_u32_e64 v1, s[0:1], v5, v1
	v_addc_co_u32_e64 v2, s[0:1], v6, v2, s[0:1]
	global_load_dwordx4 v[7:10], v[1:2], off
	v_mul_f64 v[23:24], s[16:17], v[23:24]
	v_cmp_ne_u32_e64 s[0:1], v4, v0
	v_fma_f64 v[11:12], s[16:17], v[21:22], v[11:12]
	v_fma_f64 v[21:22], s[14:15], v[21:22], -v[23:24]
	s_waitcnt vmcnt(0)
	v_mul_f64 v[29:30], s[38:39], v[9:10]
	v_mul_f64 v[9:10], s[40:41], v[9:10]
	v_fma_f64 v[29:30], s[40:41], v[7:8], v[29:30]
	v_fma_f64 v[7:8], s[38:39], v[7:8], -v[9:10]
	v_add_f64 v[9:10], v[11:12], v[29:30]
	v_add_f64 v[7:8], v[21:22], v[7:8]
	v_cndmask_b32_e64 v10, 0, v10, s[0:1]
	v_cndmask_b32_e64 v9, 0, v9, s[0:1]
	global_store_dwordx4 v[1:2], v[7:10], off
.LBB1378_12:
	s_or_b64 exec, exec, s[2:3]
	v_add_u32_e32 v2, 16, v0
	v_cmp_le_i32_e64 s[2:3], v4, v2
	v_cmp_gt_i32_e64 s[0:1], s9, v2
	s_and_b64 s[2:3], s[2:3], s[0:1]
	s_and_saveexec_b64 s[4:5], s[2:3]
	s_cbranch_execz .LBB1378_14
; %bb.13:
	v_ashrrev_i32_e32 v3, 31, v2
	v_lshlrev_b64 v[7:8], 4, v[2:3]
	v_mul_f64 v[11:12], s[14:15], v[15:16]
	v_add_co_u32_e64 v9, s[2:3], v5, v7
	v_addc_co_u32_e64 v10, s[2:3], v6, v8, s[2:3]
	global_load_dwordx4 v[5:8], v[9:10], off
	v_mul_f64 v[15:16], s[16:17], v[15:16]
	v_cmp_ne_u32_e64 s[2:3], v4, v2
	v_fma_f64 v[11:12], s[16:17], v[13:14], v[11:12]
	v_fma_f64 v[13:14], s[14:15], v[13:14], -v[15:16]
	s_waitcnt vmcnt(0)
	v_mul_f64 v[21:22], s[38:39], v[7:8]
	v_mul_f64 v[7:8], s[40:41], v[7:8]
	v_fma_f64 v[21:22], s[40:41], v[5:6], v[21:22]
	v_fma_f64 v[5:6], s[38:39], v[5:6], -v[7:8]
	v_add_f64 v[7:8], v[11:12], v[21:22]
	v_add_f64 v[5:6], v[13:14], v[5:6]
	v_cndmask_b32_e64 v8, 0, v8, s[2:3]
	v_cndmask_b32_e64 v7, 0, v7, s[2:3]
	global_store_dwordx4 v[9:10], v[5:8], off
.LBB1378_14:
	s_or_b64 exec, exec, s[4:5]
	v_add_u32_e32 v3, 16, v4
	v_ashrrev_i32_e32 v1, 31, v3
	v_mul_lo_u32 v7, s29, v3
	v_mad_u64_u32 v[5:6], s[2:3], s28, v3, 0
	v_mul_lo_u32 v1, s28, v1
	v_add3_u32 v6, v6, v1, v7
	v_lshlrev_b64 v[5:6], 4, v[5:6]
	v_mov_b32_e32 v1, s7
	v_add_co_u32_e64 v5, s[2:3], s6, v5
	v_addc_co_u32_e64 v6, s[2:3], v1, v6, s[2:3]
	v_cmp_le_i32_e64 s[2:3], v3, v0
	s_and_b64 s[4:5], s[2:3], vcc
	s_and_saveexec_b64 s[2:3], s[4:5]
	s_cbranch_execz .LBB1378_16
; %bb.15:
	v_ashrrev_i32_e32 v1, 31, v0
	v_lshlrev_b64 v[7:8], 4, v[0:1]
	v_mul_f64 v[13:14], s[14:15], v[19:20]
	v_add_co_u32_e32 v11, vcc, v5, v7
	v_addc_co_u32_e32 v12, vcc, v6, v8, vcc
	global_load_dwordx4 v[7:10], v[11:12], off
	v_mul_f64 v[19:20], s[16:17], v[19:20]
	v_cmp_ne_u32_e32 vcc, v3, v0
	v_fma_f64 v[13:14], s[16:17], v[17:18], v[13:14]
	v_fma_f64 v[17:18], s[14:15], v[17:18], -v[19:20]
	s_waitcnt vmcnt(0)
	v_mul_f64 v[15:16], s[38:39], v[9:10]
	v_mul_f64 v[9:10], s[40:41], v[9:10]
	v_fma_f64 v[15:16], s[40:41], v[7:8], v[15:16]
	v_fma_f64 v[7:8], s[38:39], v[7:8], -v[9:10]
	v_add_f64 v[9:10], v[13:14], v[15:16]
	v_add_f64 v[7:8], v[17:18], v[7:8]
	v_cndmask_b32_e32 v10, 0, v10, vcc
	v_cndmask_b32_e32 v9, 0, v9, vcc
	global_store_dwordx4 v[11:12], v[7:10], off
.LBB1378_16:
	s_or_b64 exec, exec, s[2:3]
	v_cmp_le_i32_e32 vcc, v3, v2
	s_and_b64 s[0:1], vcc, s[0:1]
	s_and_saveexec_b64 s[2:3], s[0:1]
	s_cbranch_execz .LBB1378_18
; %bb.17:
	v_ashrrev_i32_e32 v3, 31, v2
	v_lshlrev_b64 v[1:2], 4, v[2:3]
	v_mul_f64 v[13:14], s[16:17], v[25:26]
	v_add_co_u32_e32 v9, vcc, v5, v1
	v_addc_co_u32_e32 v10, vcc, v6, v2, vcc
	global_load_dwordx4 v[5:8], v[9:10], off
	v_mul_f64 v[1:2], s[14:15], v[25:26]
	v_cmp_ne_u32_e32 vcc, v4, v0
	v_fma_f64 v[13:14], s[14:15], v[27:28], -v[13:14]
	v_fma_f64 v[1:2], s[16:17], v[27:28], v[1:2]
	s_waitcnt vmcnt(0)
	v_mul_f64 v[11:12], s[38:39], v[7:8]
	v_mul_f64 v[7:8], s[40:41], v[7:8]
	v_fma_f64 v[11:12], s[40:41], v[5:6], v[11:12]
	v_fma_f64 v[5:6], s[38:39], v[5:6], -v[7:8]
	v_add_f64 v[7:8], v[1:2], v[11:12]
	v_add_f64 v[1:2], v[13:14], v[5:6]
	v_cndmask_b32_e32 v4, 0, v8, vcc
	v_cndmask_b32_e32 v3, 0, v7, vcc
	global_store_dwordx4 v[9:10], v[1:4], off
.LBB1378_18:
	s_endpgm
	.section	.rodata,"a",@progbits
	.p2align	6, 0x0
	.amdhsa_kernel _ZL34rocblas_syrkx_herkx_general_kernelIl19rocblas_complex_numIdELi16ELi32ELi8ELb0ELb1ELc67ELc76EKS1_S1_EviT_T0_PT8_S3_lS6_S3_lS4_PT9_S3_li
		.amdhsa_group_segment_fixed_size 8192
		.amdhsa_private_segment_fixed_size 0
		.amdhsa_kernarg_size 124
		.amdhsa_user_sgpr_count 6
		.amdhsa_user_sgpr_private_segment_buffer 1
		.amdhsa_user_sgpr_dispatch_ptr 0
		.amdhsa_user_sgpr_queue_ptr 0
		.amdhsa_user_sgpr_kernarg_segment_ptr 1
		.amdhsa_user_sgpr_dispatch_id 0
		.amdhsa_user_sgpr_flat_scratch_init 0
		.amdhsa_user_sgpr_private_segment_size 0
		.amdhsa_uses_dynamic_stack 0
		.amdhsa_system_sgpr_private_segment_wavefront_offset 0
		.amdhsa_system_sgpr_workgroup_id_x 1
		.amdhsa_system_sgpr_workgroup_id_y 1
		.amdhsa_system_sgpr_workgroup_id_z 1
		.amdhsa_system_sgpr_workgroup_info 0
		.amdhsa_system_vgpr_workitem_id 1
		.amdhsa_next_free_vgpr 59
		.amdhsa_next_free_sgpr 61
		.amdhsa_reserve_vcc 1
		.amdhsa_reserve_flat_scratch 0
		.amdhsa_float_round_mode_32 0
		.amdhsa_float_round_mode_16_64 0
		.amdhsa_float_denorm_mode_32 3
		.amdhsa_float_denorm_mode_16_64 3
		.amdhsa_dx10_clamp 1
		.amdhsa_ieee_mode 1
		.amdhsa_fp16_overflow 0
		.amdhsa_exception_fp_ieee_invalid_op 0
		.amdhsa_exception_fp_denorm_src 0
		.amdhsa_exception_fp_ieee_div_zero 0
		.amdhsa_exception_fp_ieee_overflow 0
		.amdhsa_exception_fp_ieee_underflow 0
		.amdhsa_exception_fp_ieee_inexact 0
		.amdhsa_exception_int_div_zero 0
	.end_amdhsa_kernel
	.section	.text._ZL34rocblas_syrkx_herkx_general_kernelIl19rocblas_complex_numIdELi16ELi32ELi8ELb0ELb1ELc67ELc76EKS1_S1_EviT_T0_PT8_S3_lS6_S3_lS4_PT9_S3_li,"axG",@progbits,_ZL34rocblas_syrkx_herkx_general_kernelIl19rocblas_complex_numIdELi16ELi32ELi8ELb0ELb1ELc67ELc76EKS1_S1_EviT_T0_PT8_S3_lS6_S3_lS4_PT9_S3_li,comdat
.Lfunc_end1378:
	.size	_ZL34rocblas_syrkx_herkx_general_kernelIl19rocblas_complex_numIdELi16ELi32ELi8ELb0ELb1ELc67ELc76EKS1_S1_EviT_T0_PT8_S3_lS6_S3_lS4_PT9_S3_li, .Lfunc_end1378-_ZL34rocblas_syrkx_herkx_general_kernelIl19rocblas_complex_numIdELi16ELi32ELi8ELb0ELb1ELc67ELc76EKS1_S1_EviT_T0_PT8_S3_lS6_S3_lS4_PT9_S3_li
                                        ; -- End function
	.set _ZL34rocblas_syrkx_herkx_general_kernelIl19rocblas_complex_numIdELi16ELi32ELi8ELb0ELb1ELc67ELc76EKS1_S1_EviT_T0_PT8_S3_lS6_S3_lS4_PT9_S3_li.num_vgpr, 59
	.set _ZL34rocblas_syrkx_herkx_general_kernelIl19rocblas_complex_numIdELi16ELi32ELi8ELb0ELb1ELc67ELc76EKS1_S1_EviT_T0_PT8_S3_lS6_S3_lS4_PT9_S3_li.num_agpr, 0
	.set _ZL34rocblas_syrkx_herkx_general_kernelIl19rocblas_complex_numIdELi16ELi32ELi8ELb0ELb1ELc67ELc76EKS1_S1_EviT_T0_PT8_S3_lS6_S3_lS4_PT9_S3_li.numbered_sgpr, 44
	.set _ZL34rocblas_syrkx_herkx_general_kernelIl19rocblas_complex_numIdELi16ELi32ELi8ELb0ELb1ELc67ELc76EKS1_S1_EviT_T0_PT8_S3_lS6_S3_lS4_PT9_S3_li.num_named_barrier, 0
	.set _ZL34rocblas_syrkx_herkx_general_kernelIl19rocblas_complex_numIdELi16ELi32ELi8ELb0ELb1ELc67ELc76EKS1_S1_EviT_T0_PT8_S3_lS6_S3_lS4_PT9_S3_li.private_seg_size, 0
	.set _ZL34rocblas_syrkx_herkx_general_kernelIl19rocblas_complex_numIdELi16ELi32ELi8ELb0ELb1ELc67ELc76EKS1_S1_EviT_T0_PT8_S3_lS6_S3_lS4_PT9_S3_li.uses_vcc, 1
	.set _ZL34rocblas_syrkx_herkx_general_kernelIl19rocblas_complex_numIdELi16ELi32ELi8ELb0ELb1ELc67ELc76EKS1_S1_EviT_T0_PT8_S3_lS6_S3_lS4_PT9_S3_li.uses_flat_scratch, 0
	.set _ZL34rocblas_syrkx_herkx_general_kernelIl19rocblas_complex_numIdELi16ELi32ELi8ELb0ELb1ELc67ELc76EKS1_S1_EviT_T0_PT8_S3_lS6_S3_lS4_PT9_S3_li.has_dyn_sized_stack, 0
	.set _ZL34rocblas_syrkx_herkx_general_kernelIl19rocblas_complex_numIdELi16ELi32ELi8ELb0ELb1ELc67ELc76EKS1_S1_EviT_T0_PT8_S3_lS6_S3_lS4_PT9_S3_li.has_recursion, 0
	.set _ZL34rocblas_syrkx_herkx_general_kernelIl19rocblas_complex_numIdELi16ELi32ELi8ELb0ELb1ELc67ELc76EKS1_S1_EviT_T0_PT8_S3_lS6_S3_lS4_PT9_S3_li.has_indirect_call, 0
	.section	.AMDGPU.csdata,"",@progbits
; Kernel info:
; codeLenInByte = 3512
; TotalNumSgprs: 48
; NumVgprs: 59
; ScratchSize: 0
; MemoryBound: 1
; FloatMode: 240
; IeeeMode: 1
; LDSByteSize: 8192 bytes/workgroup (compile time only)
; SGPRBlocks: 8
; VGPRBlocks: 14
; NumSGPRsForWavesPerEU: 65
; NumVGPRsForWavesPerEU: 59
; Occupancy: 4
; WaveLimiterHint : 0
; COMPUTE_PGM_RSRC2:SCRATCH_EN: 0
; COMPUTE_PGM_RSRC2:USER_SGPR: 6
; COMPUTE_PGM_RSRC2:TRAP_HANDLER: 0
; COMPUTE_PGM_RSRC2:TGID_X_EN: 1
; COMPUTE_PGM_RSRC2:TGID_Y_EN: 1
; COMPUTE_PGM_RSRC2:TGID_Z_EN: 1
; COMPUTE_PGM_RSRC2:TIDIG_COMP_CNT: 1
	.section	.text._ZL34rocblas_syrkx_herkx_general_kernelIl19rocblas_complex_numIdELi16ELi32ELi8ELb0ELb1ELc78ELc76EKS1_S1_EviT_T0_PT8_S3_lS6_S3_lS4_PT9_S3_li,"axG",@progbits,_ZL34rocblas_syrkx_herkx_general_kernelIl19rocblas_complex_numIdELi16ELi32ELi8ELb0ELb1ELc78ELc76EKS1_S1_EviT_T0_PT8_S3_lS6_S3_lS4_PT9_S3_li,comdat
	.globl	_ZL34rocblas_syrkx_herkx_general_kernelIl19rocblas_complex_numIdELi16ELi32ELi8ELb0ELb1ELc78ELc76EKS1_S1_EviT_T0_PT8_S3_lS6_S3_lS4_PT9_S3_li ; -- Begin function _ZL34rocblas_syrkx_herkx_general_kernelIl19rocblas_complex_numIdELi16ELi32ELi8ELb0ELb1ELc78ELc76EKS1_S1_EviT_T0_PT8_S3_lS6_S3_lS4_PT9_S3_li
	.p2align	8
	.type	_ZL34rocblas_syrkx_herkx_general_kernelIl19rocblas_complex_numIdELi16ELi32ELi8ELb0ELb1ELc78ELc76EKS1_S1_EviT_T0_PT8_S3_lS6_S3_lS4_PT9_S3_li,@function
_ZL34rocblas_syrkx_herkx_general_kernelIl19rocblas_complex_numIdELi16ELi32ELi8ELb0ELb1ELc78ELc76EKS1_S1_EviT_T0_PT8_S3_lS6_S3_lS4_PT9_S3_li: ; @_ZL34rocblas_syrkx_herkx_general_kernelIl19rocblas_complex_numIdELi16ELi32ELi8ELb0ELb1ELc78ELc76EKS1_S1_EviT_T0_PT8_S3_lS6_S3_lS4_PT9_S3_li
; %bb.0:
	s_load_dwordx16 s[12:27], s[4:5], 0x8
	s_load_dword s9, s[4:5], 0x0
	s_load_dwordx4 s[28:31], s[4:5], 0x68
	s_load_dwordx8 s[36:43], s[4:5], 0x48
	s_lshl_b32 s33, s6, 5
	s_waitcnt lgkmcnt(0)
	v_cmp_lt_i64_e64 s[0:1], s[12:13], 1
	s_lshl_b32 s34, s7, 5
	s_and_b64 vcc, exec, s[0:1]
	s_cbranch_vccnz .LBB1379_9
; %bb.1:
	v_lshl_add_u32 v3, v1, 4, v0
	v_and_b32_e32 v7, 31, v3
	v_or_b32_e32 v4, s33, v7
	v_lshrrev_b32_e32 v29, 5, v3
	v_cmp_gt_i32_e32 vcc, s9, v4
	v_mad_u64_u32 v[4:5], s[2:3], s20, v29, 0
	v_lshrrev_b32_e32 v6, 3, v3
	v_and_b32_e32 v30, 7, v0
	v_lshlrev_b32_e32 v3, 4, v7
	v_lshl_or_b32 v31, v29, 9, v3
	v_lshlrev_b32_e32 v3, 4, v30
	v_add_u32_e32 v2, s34, v6
	v_lshl_or_b32 v3, v6, 7, v3
	v_mad_u64_u32 v[5:6], s[2:3], s21, v29, v[5:6]
	s_mul_i32 s2, s23, s8
	s_mul_hi_u32 s3, s22, s8
	v_lshlrev_b64 v[4:5], 4, v[4:5]
	s_add_i32 s3, s3, s2
	s_mul_i32 s2, s22, s8
	v_mov_b32_e32 v6, 0x1000
	s_lshl_b64 s[2:3], s[2:3], 4
	v_lshl_add_u32 v34, v1, 7, v6
	v_mov_b32_e32 v6, s3
	v_add_co_u32_e64 v8, s[2:3], s2, v4
	v_add_u32_e32 v4, s33, v7
	v_addc_co_u32_e64 v6, s[2:3], v5, v6, s[2:3]
	v_ashrrev_i32_e32 v5, 31, v4
	v_lshlrev_b64 v[4:5], 4, v[4:5]
	s_mul_i32 s6, s37, s8
	v_add_co_u32_e64 v4, s[2:3], v8, v4
	v_addc_co_u32_e64 v5, s[2:3], v6, v5, s[2:3]
	v_mov_b32_e32 v6, s19
	v_add_co_u32_e64 v7, s[2:3], s18, v4
	v_addc_co_u32_e64 v8, s[2:3], v6, v5, s[2:3]
	v_mad_u64_u32 v[4:5], s[2:3], s26, v30, 0
	s_mul_hi_u32 s7, s36, s8
	v_add_u32_e32 v32, 0x1000, v3
	v_mad_u64_u32 v[5:6], s[2:3], s27, v30, v[5:6]
	s_add_i32 s3, s7, s6
	s_mul_i32 s2, s36, s8
	v_lshlrev_b64 v[4:5], 4, v[4:5]
	v_ashrrev_i32_e32 v3, 31, v2
	s_lshl_b64 s[2:3], s[2:3], 4
	v_cmp_gt_i32_e64 s[0:1], s9, v2
	v_mov_b32_e32 v6, s3
	v_add_co_u32_e64 v4, s[2:3], s2, v4
	v_lshlrev_b64 v[2:3], 4, v[2:3]
	v_addc_co_u32_e64 v5, s[2:3], v6, v5, s[2:3]
	v_add_co_u32_e64 v2, s[2:3], v4, v2
	v_addc_co_u32_e64 v3, s[2:3], v5, v3, s[2:3]
	v_mov_b32_e32 v4, s25
	v_add_co_u32_e64 v2, s[2:3], s24, v2
	v_addc_co_u32_e64 v3, s[2:3], v4, v3, s[2:3]
	v_add_co_u32_e64 v9, s[2:3], 8, v2
	v_addc_co_u32_e64 v10, s[2:3], 0, v3, s[2:3]
	s_lshl_b64 s[4:5], s[20:21], 7
	s_lshl_b64 s[2:3], s[26:27], 7
	v_mov_b32_e32 v25, 0
	v_mov_b32_e32 v11, s12
	;; [unrolled: 1-line block ×9, first 2 shown]
	v_lshlrev_b32_e32 v33, 4, v0
	s_mov_b64 s[6:7], 0
	v_mov_b32_e32 v26, 0
	s_xor_b64 s[10:11], vcc, -1
	v_mov_b32_e32 v35, s5
	v_mov_b32_e32 v36, s3
	;; [unrolled: 1-line block ×11, first 2 shown]
	s_branch .LBB1379_3
.LBB1379_2:                             ;   in Loop: Header=BB1379_3 Depth=1
	s_or_b64 exec, exec, s[18:19]
	ds_write_b128 v32, v[3:6]
	s_waitcnt lgkmcnt(0)
	s_barrier
	ds_read_b128 v[3:6], v34
	ds_read_b128 v[37:40], v34 offset:16
	ds_read_b128 v[41:44], v34 offset:32
	;; [unrolled: 1-line block ×3, first 2 shown]
	ds_read_b128 v[49:52], v33
	v_add_co_u32_e32 v7, vcc, s4, v7
	v_addc_co_u32_e32 v8, vcc, v8, v35, vcc
	s_waitcnt lgkmcnt(0)
	v_mul_f64 v[53:54], v[5:6], v[51:52]
	v_mul_f64 v[55:56], v[3:4], v[51:52]
	s_add_u32 s6, s6, 8
	v_add_co_u32_e32 v9, vcc, s2, v9
	s_addc_u32 s7, s7, 0
	v_addc_co_u32_e32 v10, vcc, v10, v36, vcc
	v_fma_f64 v[53:54], v[3:4], v[49:50], -v[53:54]
	v_fma_f64 v[55:56], v[5:6], v[49:50], v[55:56]
	v_cmp_ge_i64_e32 vcc, s[6:7], v[11:12]
	s_and_b64 vcc, exec, vcc
	v_add_f64 v[53:54], v[21:22], v[53:54]
	v_add_f64 v[55:56], v[55:56], v[23:24]
	ds_read_b128 v[21:24], v33 offset:256
	s_waitcnt lgkmcnt(0)
	v_mul_f64 v[57:58], v[5:6], v[23:24]
	v_fma_f64 v[57:58], v[3:4], v[21:22], -v[57:58]
	v_mul_f64 v[3:4], v[3:4], v[23:24]
	v_add_f64 v[57:58], v[13:14], v[57:58]
	v_fma_f64 v[3:4], v[5:6], v[21:22], v[3:4]
	v_add_f64 v[59:60], v[3:4], v[15:16]
	ds_read_b128 v[3:6], v34 offset:2048
	s_waitcnt lgkmcnt(0)
	v_mul_f64 v[13:14], v[5:6], v[51:52]
	v_mul_f64 v[15:16], v[3:4], v[51:52]
	v_fma_f64 v[13:14], v[3:4], v[49:50], -v[13:14]
	v_fma_f64 v[15:16], v[5:6], v[49:50], v[15:16]
	v_add_f64 v[49:50], v[17:18], v[13:14]
	v_mul_f64 v[13:14], v[5:6], v[23:24]
	v_add_f64 v[51:52], v[15:16], v[19:20]
	v_fma_f64 v[13:14], v[3:4], v[21:22], -v[13:14]
	v_mul_f64 v[3:4], v[3:4], v[23:24]
	v_fma_f64 v[3:4], v[5:6], v[21:22], v[3:4]
	v_add_f64 v[21:22], v[27:28], v[13:14]
	v_add_f64 v[23:24], v[3:4], v[25:26]
	ds_read_b128 v[3:6], v33 offset:512
	s_waitcnt lgkmcnt(0)
	v_mul_f64 v[13:14], v[39:40], v[5:6]
	v_mul_f64 v[15:16], v[37:38], v[5:6]
	v_fma_f64 v[13:14], v[37:38], v[3:4], -v[13:14]
	v_fma_f64 v[15:16], v[39:40], v[3:4], v[15:16]
	v_add_f64 v[25:26], v[53:54], v[13:14]
	v_add_f64 v[27:28], v[15:16], v[55:56]
	ds_read_b128 v[13:16], v33 offset:768
	s_waitcnt lgkmcnt(0)
	v_mul_f64 v[17:18], v[39:40], v[15:16]
	v_mul_f64 v[19:20], v[37:38], v[15:16]
	v_fma_f64 v[17:18], v[37:38], v[13:14], -v[17:18]
	;; [unrolled: 8-line block ×3, first 2 shown]
	v_fma_f64 v[3:4], v[19:20], v[3:4], v[5:6]
	v_mul_f64 v[5:6], v[17:18], v[15:16]
	v_add_f64 v[49:50], v[49:50], v[53:54]
	v_add_f64 v[51:52], v[3:4], v[51:52]
	v_mul_f64 v[3:4], v[19:20], v[15:16]
	v_fma_f64 v[5:6], v[19:20], v[13:14], v[5:6]
	v_fma_f64 v[3:4], v[17:18], v[13:14], -v[3:4]
	v_add_f64 v[23:24], v[5:6], v[23:24]
	v_add_f64 v[21:22], v[21:22], v[3:4]
	ds_read_b128 v[3:6], v33 offset:1024
	s_waitcnt lgkmcnt(0)
	v_mul_f64 v[13:14], v[43:44], v[5:6]
	v_mul_f64 v[15:16], v[41:42], v[5:6]
	v_fma_f64 v[13:14], v[41:42], v[3:4], -v[13:14]
	v_fma_f64 v[15:16], v[43:44], v[3:4], v[15:16]
	v_add_f64 v[25:26], v[25:26], v[13:14]
	v_add_f64 v[27:28], v[15:16], v[27:28]
	ds_read_b128 v[13:16], v33 offset:1280
	s_waitcnt lgkmcnt(0)
	v_mul_f64 v[17:18], v[43:44], v[15:16]
	v_mul_f64 v[19:20], v[41:42], v[15:16]
	v_fma_f64 v[17:18], v[41:42], v[13:14], -v[17:18]
	v_fma_f64 v[19:20], v[43:44], v[13:14], v[19:20]
	;; [unrolled: 8-line block ×3, first 2 shown]
	v_mul_f64 v[5:6], v[17:18], v[15:16]
	v_add_f64 v[41:42], v[49:50], v[41:42]
	v_add_f64 v[43:44], v[3:4], v[51:52]
	v_mul_f64 v[3:4], v[19:20], v[15:16]
	v_fma_f64 v[5:6], v[19:20], v[13:14], v[5:6]
	v_fma_f64 v[3:4], v[17:18], v[13:14], -v[3:4]
	v_add_f64 v[23:24], v[5:6], v[23:24]
	v_add_f64 v[21:22], v[21:22], v[3:4]
	ds_read_b128 v[3:6], v33 offset:1536
	s_waitcnt lgkmcnt(0)
	v_mul_f64 v[13:14], v[47:48], v[5:6]
	v_mul_f64 v[15:16], v[45:46], v[5:6]
	v_fma_f64 v[13:14], v[45:46], v[3:4], -v[13:14]
	v_fma_f64 v[15:16], v[47:48], v[3:4], v[15:16]
	v_add_f64 v[25:26], v[25:26], v[13:14]
	v_add_f64 v[27:28], v[15:16], v[27:28]
	ds_read_b128 v[13:16], v33 offset:1792
	s_waitcnt lgkmcnt(0)
	v_mul_f64 v[17:18], v[47:48], v[15:16]
	v_mul_f64 v[19:20], v[45:46], v[15:16]
	v_fma_f64 v[17:18], v[45:46], v[13:14], -v[17:18]
	v_fma_f64 v[19:20], v[47:48], v[13:14], v[19:20]
	;; [unrolled: 8-line block ×3, first 2 shown]
	v_mul_f64 v[5:6], v[17:18], v[15:16]
	v_add_f64 v[41:42], v[41:42], v[45:46]
	v_add_f64 v[43:44], v[3:4], v[43:44]
	v_mul_f64 v[3:4], v[19:20], v[15:16]
	v_fma_f64 v[5:6], v[19:20], v[13:14], v[5:6]
	v_fma_f64 v[3:4], v[17:18], v[13:14], -v[3:4]
	v_add_f64 v[23:24], v[5:6], v[23:24]
	v_add_f64 v[21:22], v[21:22], v[3:4]
	ds_read_b128 v[3:6], v34 offset:64
	ds_read_b128 v[13:16], v33 offset:2048
	s_waitcnt lgkmcnt(0)
	v_mul_f64 v[17:18], v[5:6], v[15:16]
	v_mul_f64 v[19:20], v[3:4], v[15:16]
	v_fma_f64 v[17:18], v[3:4], v[13:14], -v[17:18]
	v_fma_f64 v[19:20], v[5:6], v[13:14], v[19:20]
	v_add_f64 v[25:26], v[25:26], v[17:18]
	v_add_f64 v[27:28], v[19:20], v[27:28]
	ds_read_b128 v[17:20], v33 offset:2304
	s_waitcnt lgkmcnt(0)
	v_mul_f64 v[45:46], v[5:6], v[19:20]
	v_fma_f64 v[45:46], v[3:4], v[17:18], -v[45:46]
	v_mul_f64 v[3:4], v[3:4], v[19:20]
	v_add_f64 v[37:38], v[37:38], v[45:46]
	v_fma_f64 v[3:4], v[5:6], v[17:18], v[3:4]
	v_add_f64 v[39:40], v[3:4], v[39:40]
	ds_read_b128 v[3:6], v34 offset:2112
	s_waitcnt lgkmcnt(0)
	v_mul_f64 v[45:46], v[5:6], v[15:16]
	v_mul_f64 v[15:16], v[3:4], v[15:16]
	v_fma_f64 v[45:46], v[3:4], v[13:14], -v[45:46]
	v_fma_f64 v[13:14], v[5:6], v[13:14], v[15:16]
	v_add_f64 v[41:42], v[41:42], v[45:46]
	v_add_f64 v[43:44], v[13:14], v[43:44]
	v_mul_f64 v[13:14], v[5:6], v[19:20]
	v_fma_f64 v[13:14], v[3:4], v[17:18], -v[13:14]
	v_mul_f64 v[3:4], v[3:4], v[19:20]
	v_add_f64 v[21:22], v[21:22], v[13:14]
	v_fma_f64 v[3:4], v[5:6], v[17:18], v[3:4]
	v_add_f64 v[23:24], v[3:4], v[23:24]
	ds_read_b128 v[3:6], v34 offset:80
	ds_read_b128 v[13:16], v33 offset:2560
	s_waitcnt lgkmcnt(0)
	v_mul_f64 v[17:18], v[5:6], v[15:16]
	v_mul_f64 v[19:20], v[3:4], v[15:16]
	v_fma_f64 v[17:18], v[3:4], v[13:14], -v[17:18]
	v_fma_f64 v[19:20], v[5:6], v[13:14], v[19:20]
	v_add_f64 v[25:26], v[25:26], v[17:18]
	v_add_f64 v[27:28], v[19:20], v[27:28]
	ds_read_b128 v[17:20], v33 offset:2816
	s_waitcnt lgkmcnt(0)
	v_mul_f64 v[45:46], v[5:6], v[19:20]
	v_fma_f64 v[45:46], v[3:4], v[17:18], -v[45:46]
	v_mul_f64 v[3:4], v[3:4], v[19:20]
	v_add_f64 v[37:38], v[37:38], v[45:46]
	v_fma_f64 v[3:4], v[5:6], v[17:18], v[3:4]
	v_add_f64 v[39:40], v[3:4], v[39:40]
	ds_read_b128 v[3:6], v34 offset:2128
	s_waitcnt lgkmcnt(0)
	v_mul_f64 v[45:46], v[5:6], v[15:16]
	v_mul_f64 v[15:16], v[3:4], v[15:16]
	v_fma_f64 v[45:46], v[3:4], v[13:14], -v[45:46]
	v_fma_f64 v[13:14], v[5:6], v[13:14], v[15:16]
	v_add_f64 v[41:42], v[41:42], v[45:46]
	v_add_f64 v[43:44], v[13:14], v[43:44]
	v_mul_f64 v[13:14], v[5:6], v[19:20]
	v_fma_f64 v[13:14], v[3:4], v[17:18], -v[13:14]
	v_mul_f64 v[3:4], v[3:4], v[19:20]
	v_add_f64 v[21:22], v[21:22], v[13:14]
	v_fma_f64 v[3:4], v[5:6], v[17:18], v[3:4]
	;; [unrolled: 31-line block ×3, first 2 shown]
	v_add_f64 v[47:48], v[3:4], v[23:24]
	ds_read_b128 v[3:6], v34 offset:112
	ds_read_b128 v[17:20], v33 offset:3584
	s_waitcnt lgkmcnt(0)
	v_mul_f64 v[13:14], v[5:6], v[19:20]
	v_mul_f64 v[15:16], v[3:4], v[19:20]
	v_fma_f64 v[13:14], v[3:4], v[17:18], -v[13:14]
	v_fma_f64 v[15:16], v[5:6], v[17:18], v[15:16]
	v_add_f64 v[21:22], v[25:26], v[13:14]
	v_add_f64 v[23:24], v[15:16], v[27:28]
	ds_read_b128 v[25:28], v33 offset:3840
	s_waitcnt lgkmcnt(0)
	v_mul_f64 v[13:14], v[5:6], v[27:28]
	v_fma_f64 v[13:14], v[3:4], v[25:26], -v[13:14]
	v_mul_f64 v[3:4], v[3:4], v[27:28]
	v_add_f64 v[13:14], v[37:38], v[13:14]
	v_fma_f64 v[3:4], v[5:6], v[25:26], v[3:4]
	v_add_f64 v[15:16], v[3:4], v[39:40]
	ds_read_b128 v[3:6], v34 offset:2160
	s_waitcnt lgkmcnt(0)
	s_barrier
	v_mul_f64 v[37:38], v[5:6], v[19:20]
	v_mul_f64 v[19:20], v[3:4], v[19:20]
	v_fma_f64 v[37:38], v[3:4], v[17:18], -v[37:38]
	v_fma_f64 v[19:20], v[5:6], v[17:18], v[19:20]
	v_add_f64 v[17:18], v[41:42], v[37:38]
	v_mul_f64 v[37:38], v[5:6], v[27:28]
	v_add_f64 v[19:20], v[19:20], v[43:44]
	v_fma_f64 v[37:38], v[3:4], v[25:26], -v[37:38]
	v_mul_f64 v[3:4], v[3:4], v[27:28]
	v_add_f64 v[27:28], v[45:46], v[37:38]
	v_fma_f64 v[3:4], v[5:6], v[25:26], v[3:4]
	v_add_f64 v[25:26], v[3:4], v[47:48]
	s_cbranch_vccnz .LBB1379_10
.LBB1379_3:                             ; =>This Inner Loop Header: Depth=1
	v_mov_b32_e32 v4, s7
	v_add_co_u32_e32 v3, vcc, s6, v29
	v_addc_co_u32_e32 v4, vcc, 0, v4, vcc
	v_cmp_le_i64_e32 vcc, s[12:13], v[3:4]
	s_or_b64 s[18:19], s[10:11], vcc
	s_and_saveexec_b64 s[20:21], s[18:19]
	s_xor_b64 s[18:19], exec, s[20:21]
; %bb.4:                                ;   in Loop: Header=BB1379_3 Depth=1
	v_mov_b32_e32 v3, v2
	v_mov_b32_e32 v4, v2
	;; [unrolled: 1-line block ×3, first 2 shown]
	ds_write_b128 v31, v[2:5]
; %bb.5:                                ;   in Loop: Header=BB1379_3 Depth=1
	s_andn2_saveexec_b64 s[18:19], s[18:19]
	s_cbranch_execz .LBB1379_7
; %bb.6:                                ;   in Loop: Header=BB1379_3 Depth=1
	global_load_dwordx4 v[3:6], v[7:8], off
	s_waitcnt vmcnt(0)
	ds_write2_b64 v31, v[3:4], v[5:6] offset1:1
.LBB1379_7:                             ;   in Loop: Header=BB1379_3 Depth=1
	s_or_b64 exec, exec, s[18:19]
	v_mov_b32_e32 v4, s7
	v_add_co_u32_e32 v3, vcc, s6, v30
	v_addc_co_u32_e32 v4, vcc, 0, v4, vcc
	v_cmp_gt_i64_e32 vcc, s[12:13], v[3:4]
	v_mov_b32_e32 v3, 0
	v_mov_b32_e32 v5, 0
	;; [unrolled: 1-line block ×4, first 2 shown]
	s_and_b64 s[20:21], vcc, s[0:1]
	s_and_saveexec_b64 s[18:19], s[20:21]
	s_cbranch_execz .LBB1379_2
; %bb.8:                                ;   in Loop: Header=BB1379_3 Depth=1
	global_load_dwordx4 v[3:6], v[9:10], off offset:-8
	s_waitcnt vmcnt(0)
	v_xor_b32_e32 v6, 0x80000000, v6
	s_branch .LBB1379_2
.LBB1379_9:
	v_mov_b32_e32 v21, 0
	v_mov_b32_e32 v23, 0
	;; [unrolled: 1-line block ×16, first 2 shown]
.LBB1379_10:
	v_add_u32_e32 v4, s34, v1
	v_ashrrev_i32_e32 v1, 31, v4
	v_mul_lo_u32 v3, s28, v1
	v_mul_lo_u32 v5, s29, v4
	v_mad_u64_u32 v[1:2], s[2:3], s28, v4, 0
	s_mul_i32 s0, s31, s8
	s_mul_hi_u32 s1, s30, s8
	s_add_i32 s1, s1, s0
	s_mul_i32 s0, s30, s8
	s_lshl_b64 s[0:1], s[0:1], 4
	v_add3_u32 v2, v2, v3, v5
	s_add_u32 s6, s42, s0
	v_lshlrev_b64 v[1:2], 4, v[1:2]
	s_addc_u32 s7, s43, s1
	v_mov_b32_e32 v3, s7
	v_add_co_u32_e32 v5, vcc, s6, v1
	v_add_u32_e32 v0, s33, v0
	v_addc_co_u32_e32 v6, vcc, v3, v2, vcc
	v_cmp_le_i32_e64 s[0:1], v4, v0
	v_cmp_gt_i32_e32 vcc, s9, v0
	s_and_b64 s[0:1], s[0:1], vcc
	s_and_saveexec_b64 s[2:3], s[0:1]
	s_cbranch_execz .LBB1379_12
; %bb.11:
	v_ashrrev_i32_e32 v1, 31, v0
	v_lshlrev_b64 v[1:2], 4, v[0:1]
	v_mul_f64 v[11:12], s[14:15], v[23:24]
	v_add_co_u32_e64 v1, s[0:1], v5, v1
	v_addc_co_u32_e64 v2, s[0:1], v6, v2, s[0:1]
	global_load_dwordx4 v[7:10], v[1:2], off
	v_mul_f64 v[23:24], s[16:17], v[23:24]
	v_cmp_ne_u32_e64 s[0:1], v4, v0
	v_fma_f64 v[11:12], s[16:17], v[21:22], v[11:12]
	v_fma_f64 v[21:22], s[14:15], v[21:22], -v[23:24]
	s_waitcnt vmcnt(0)
	v_mul_f64 v[29:30], s[38:39], v[9:10]
	v_mul_f64 v[9:10], s[40:41], v[9:10]
	v_fma_f64 v[29:30], s[40:41], v[7:8], v[29:30]
	v_fma_f64 v[7:8], s[38:39], v[7:8], -v[9:10]
	v_add_f64 v[9:10], v[11:12], v[29:30]
	v_add_f64 v[7:8], v[21:22], v[7:8]
	v_cndmask_b32_e64 v10, 0, v10, s[0:1]
	v_cndmask_b32_e64 v9, 0, v9, s[0:1]
	global_store_dwordx4 v[1:2], v[7:10], off
.LBB1379_12:
	s_or_b64 exec, exec, s[2:3]
	v_add_u32_e32 v2, 16, v0
	v_cmp_le_i32_e64 s[2:3], v4, v2
	v_cmp_gt_i32_e64 s[0:1], s9, v2
	s_and_b64 s[2:3], s[2:3], s[0:1]
	s_and_saveexec_b64 s[4:5], s[2:3]
	s_cbranch_execz .LBB1379_14
; %bb.13:
	v_ashrrev_i32_e32 v3, 31, v2
	v_lshlrev_b64 v[7:8], 4, v[2:3]
	v_mul_f64 v[11:12], s[14:15], v[15:16]
	v_add_co_u32_e64 v9, s[2:3], v5, v7
	v_addc_co_u32_e64 v10, s[2:3], v6, v8, s[2:3]
	global_load_dwordx4 v[5:8], v[9:10], off
	v_mul_f64 v[15:16], s[16:17], v[15:16]
	v_cmp_ne_u32_e64 s[2:3], v4, v2
	v_fma_f64 v[11:12], s[16:17], v[13:14], v[11:12]
	v_fma_f64 v[13:14], s[14:15], v[13:14], -v[15:16]
	s_waitcnt vmcnt(0)
	v_mul_f64 v[21:22], s[38:39], v[7:8]
	v_mul_f64 v[7:8], s[40:41], v[7:8]
	v_fma_f64 v[21:22], s[40:41], v[5:6], v[21:22]
	v_fma_f64 v[5:6], s[38:39], v[5:6], -v[7:8]
	v_add_f64 v[7:8], v[11:12], v[21:22]
	v_add_f64 v[5:6], v[13:14], v[5:6]
	v_cndmask_b32_e64 v8, 0, v8, s[2:3]
	v_cndmask_b32_e64 v7, 0, v7, s[2:3]
	global_store_dwordx4 v[9:10], v[5:8], off
.LBB1379_14:
	s_or_b64 exec, exec, s[4:5]
	v_add_u32_e32 v3, 16, v4
	v_ashrrev_i32_e32 v1, 31, v3
	v_mul_lo_u32 v7, s29, v3
	v_mad_u64_u32 v[5:6], s[2:3], s28, v3, 0
	v_mul_lo_u32 v1, s28, v1
	v_add3_u32 v6, v6, v1, v7
	v_lshlrev_b64 v[5:6], 4, v[5:6]
	v_mov_b32_e32 v1, s7
	v_add_co_u32_e64 v5, s[2:3], s6, v5
	v_addc_co_u32_e64 v6, s[2:3], v1, v6, s[2:3]
	v_cmp_le_i32_e64 s[2:3], v3, v0
	s_and_b64 s[4:5], s[2:3], vcc
	s_and_saveexec_b64 s[2:3], s[4:5]
	s_cbranch_execz .LBB1379_16
; %bb.15:
	v_ashrrev_i32_e32 v1, 31, v0
	v_lshlrev_b64 v[7:8], 4, v[0:1]
	v_mul_f64 v[13:14], s[14:15], v[19:20]
	v_add_co_u32_e32 v11, vcc, v5, v7
	v_addc_co_u32_e32 v12, vcc, v6, v8, vcc
	global_load_dwordx4 v[7:10], v[11:12], off
	v_mul_f64 v[19:20], s[16:17], v[19:20]
	v_cmp_ne_u32_e32 vcc, v3, v0
	v_fma_f64 v[13:14], s[16:17], v[17:18], v[13:14]
	v_fma_f64 v[17:18], s[14:15], v[17:18], -v[19:20]
	s_waitcnt vmcnt(0)
	v_mul_f64 v[15:16], s[38:39], v[9:10]
	v_mul_f64 v[9:10], s[40:41], v[9:10]
	v_fma_f64 v[15:16], s[40:41], v[7:8], v[15:16]
	v_fma_f64 v[7:8], s[38:39], v[7:8], -v[9:10]
	v_add_f64 v[9:10], v[13:14], v[15:16]
	v_add_f64 v[7:8], v[17:18], v[7:8]
	v_cndmask_b32_e32 v10, 0, v10, vcc
	v_cndmask_b32_e32 v9, 0, v9, vcc
	global_store_dwordx4 v[11:12], v[7:10], off
.LBB1379_16:
	s_or_b64 exec, exec, s[2:3]
	v_cmp_le_i32_e32 vcc, v3, v2
	s_and_b64 s[0:1], vcc, s[0:1]
	s_and_saveexec_b64 s[2:3], s[0:1]
	s_cbranch_execz .LBB1379_18
; %bb.17:
	v_ashrrev_i32_e32 v3, 31, v2
	v_lshlrev_b64 v[1:2], 4, v[2:3]
	v_mul_f64 v[13:14], s[16:17], v[25:26]
	v_add_co_u32_e32 v9, vcc, v5, v1
	v_addc_co_u32_e32 v10, vcc, v6, v2, vcc
	global_load_dwordx4 v[5:8], v[9:10], off
	v_mul_f64 v[1:2], s[14:15], v[25:26]
	v_cmp_ne_u32_e32 vcc, v4, v0
	v_fma_f64 v[13:14], s[14:15], v[27:28], -v[13:14]
	v_fma_f64 v[1:2], s[16:17], v[27:28], v[1:2]
	s_waitcnt vmcnt(0)
	v_mul_f64 v[11:12], s[38:39], v[7:8]
	v_mul_f64 v[7:8], s[40:41], v[7:8]
	v_fma_f64 v[11:12], s[40:41], v[5:6], v[11:12]
	v_fma_f64 v[5:6], s[38:39], v[5:6], -v[7:8]
	v_add_f64 v[7:8], v[1:2], v[11:12]
	v_add_f64 v[1:2], v[13:14], v[5:6]
	v_cndmask_b32_e32 v4, 0, v8, vcc
	v_cndmask_b32_e32 v3, 0, v7, vcc
	global_store_dwordx4 v[9:10], v[1:4], off
.LBB1379_18:
	s_endpgm
	.section	.rodata,"a",@progbits
	.p2align	6, 0x0
	.amdhsa_kernel _ZL34rocblas_syrkx_herkx_general_kernelIl19rocblas_complex_numIdELi16ELi32ELi8ELb0ELb1ELc78ELc76EKS1_S1_EviT_T0_PT8_S3_lS6_S3_lS4_PT9_S3_li
		.amdhsa_group_segment_fixed_size 8192
		.amdhsa_private_segment_fixed_size 0
		.amdhsa_kernarg_size 124
		.amdhsa_user_sgpr_count 6
		.amdhsa_user_sgpr_private_segment_buffer 1
		.amdhsa_user_sgpr_dispatch_ptr 0
		.amdhsa_user_sgpr_queue_ptr 0
		.amdhsa_user_sgpr_kernarg_segment_ptr 1
		.amdhsa_user_sgpr_dispatch_id 0
		.amdhsa_user_sgpr_flat_scratch_init 0
		.amdhsa_user_sgpr_private_segment_size 0
		.amdhsa_uses_dynamic_stack 0
		.amdhsa_system_sgpr_private_segment_wavefront_offset 0
		.amdhsa_system_sgpr_workgroup_id_x 1
		.amdhsa_system_sgpr_workgroup_id_y 1
		.amdhsa_system_sgpr_workgroup_id_z 1
		.amdhsa_system_sgpr_workgroup_info 0
		.amdhsa_system_vgpr_workitem_id 1
		.amdhsa_next_free_vgpr 61
		.amdhsa_next_free_sgpr 61
		.amdhsa_reserve_vcc 1
		.amdhsa_reserve_flat_scratch 0
		.amdhsa_float_round_mode_32 0
		.amdhsa_float_round_mode_16_64 0
		.amdhsa_float_denorm_mode_32 3
		.amdhsa_float_denorm_mode_16_64 3
		.amdhsa_dx10_clamp 1
		.amdhsa_ieee_mode 1
		.amdhsa_fp16_overflow 0
		.amdhsa_exception_fp_ieee_invalid_op 0
		.amdhsa_exception_fp_denorm_src 0
		.amdhsa_exception_fp_ieee_div_zero 0
		.amdhsa_exception_fp_ieee_overflow 0
		.amdhsa_exception_fp_ieee_underflow 0
		.amdhsa_exception_fp_ieee_inexact 0
		.amdhsa_exception_int_div_zero 0
	.end_amdhsa_kernel
	.section	.text._ZL34rocblas_syrkx_herkx_general_kernelIl19rocblas_complex_numIdELi16ELi32ELi8ELb0ELb1ELc78ELc76EKS1_S1_EviT_T0_PT8_S3_lS6_S3_lS4_PT9_S3_li,"axG",@progbits,_ZL34rocblas_syrkx_herkx_general_kernelIl19rocblas_complex_numIdELi16ELi32ELi8ELb0ELb1ELc78ELc76EKS1_S1_EviT_T0_PT8_S3_lS6_S3_lS4_PT9_S3_li,comdat
.Lfunc_end1379:
	.size	_ZL34rocblas_syrkx_herkx_general_kernelIl19rocblas_complex_numIdELi16ELi32ELi8ELb0ELb1ELc78ELc76EKS1_S1_EviT_T0_PT8_S3_lS6_S3_lS4_PT9_S3_li, .Lfunc_end1379-_ZL34rocblas_syrkx_herkx_general_kernelIl19rocblas_complex_numIdELi16ELi32ELi8ELb0ELb1ELc78ELc76EKS1_S1_EviT_T0_PT8_S3_lS6_S3_lS4_PT9_S3_li
                                        ; -- End function
	.set _ZL34rocblas_syrkx_herkx_general_kernelIl19rocblas_complex_numIdELi16ELi32ELi8ELb0ELb1ELc78ELc76EKS1_S1_EviT_T0_PT8_S3_lS6_S3_lS4_PT9_S3_li.num_vgpr, 61
	.set _ZL34rocblas_syrkx_herkx_general_kernelIl19rocblas_complex_numIdELi16ELi32ELi8ELb0ELb1ELc78ELc76EKS1_S1_EviT_T0_PT8_S3_lS6_S3_lS4_PT9_S3_li.num_agpr, 0
	.set _ZL34rocblas_syrkx_herkx_general_kernelIl19rocblas_complex_numIdELi16ELi32ELi8ELb0ELb1ELc78ELc76EKS1_S1_EviT_T0_PT8_S3_lS6_S3_lS4_PT9_S3_li.numbered_sgpr, 44
	.set _ZL34rocblas_syrkx_herkx_general_kernelIl19rocblas_complex_numIdELi16ELi32ELi8ELb0ELb1ELc78ELc76EKS1_S1_EviT_T0_PT8_S3_lS6_S3_lS4_PT9_S3_li.num_named_barrier, 0
	.set _ZL34rocblas_syrkx_herkx_general_kernelIl19rocblas_complex_numIdELi16ELi32ELi8ELb0ELb1ELc78ELc76EKS1_S1_EviT_T0_PT8_S3_lS6_S3_lS4_PT9_S3_li.private_seg_size, 0
	.set _ZL34rocblas_syrkx_herkx_general_kernelIl19rocblas_complex_numIdELi16ELi32ELi8ELb0ELb1ELc78ELc76EKS1_S1_EviT_T0_PT8_S3_lS6_S3_lS4_PT9_S3_li.uses_vcc, 1
	.set _ZL34rocblas_syrkx_herkx_general_kernelIl19rocblas_complex_numIdELi16ELi32ELi8ELb0ELb1ELc78ELc76EKS1_S1_EviT_T0_PT8_S3_lS6_S3_lS4_PT9_S3_li.uses_flat_scratch, 0
	.set _ZL34rocblas_syrkx_herkx_general_kernelIl19rocblas_complex_numIdELi16ELi32ELi8ELb0ELb1ELc78ELc76EKS1_S1_EviT_T0_PT8_S3_lS6_S3_lS4_PT9_S3_li.has_dyn_sized_stack, 0
	.set _ZL34rocblas_syrkx_herkx_general_kernelIl19rocblas_complex_numIdELi16ELi32ELi8ELb0ELb1ELc78ELc76EKS1_S1_EviT_T0_PT8_S3_lS6_S3_lS4_PT9_S3_li.has_recursion, 0
	.set _ZL34rocblas_syrkx_herkx_general_kernelIl19rocblas_complex_numIdELi16ELi32ELi8ELb0ELb1ELc78ELc76EKS1_S1_EviT_T0_PT8_S3_lS6_S3_lS4_PT9_S3_li.has_indirect_call, 0
	.section	.AMDGPU.csdata,"",@progbits
; Kernel info:
; codeLenInByte = 3500
; TotalNumSgprs: 48
; NumVgprs: 61
; ScratchSize: 0
; MemoryBound: 1
; FloatMode: 240
; IeeeMode: 1
; LDSByteSize: 8192 bytes/workgroup (compile time only)
; SGPRBlocks: 8
; VGPRBlocks: 15
; NumSGPRsForWavesPerEU: 65
; NumVGPRsForWavesPerEU: 61
; Occupancy: 4
; WaveLimiterHint : 0
; COMPUTE_PGM_RSRC2:SCRATCH_EN: 0
; COMPUTE_PGM_RSRC2:USER_SGPR: 6
; COMPUTE_PGM_RSRC2:TRAP_HANDLER: 0
; COMPUTE_PGM_RSRC2:TGID_X_EN: 1
; COMPUTE_PGM_RSRC2:TGID_Y_EN: 1
; COMPUTE_PGM_RSRC2:TGID_Z_EN: 1
; COMPUTE_PGM_RSRC2:TIDIG_COMP_CNT: 1
	.section	.text._ZL34rocblas_syrkx_herkx_general_kernelIl19rocblas_complex_numIdELi16ELi32ELi8ELb0ELb1ELc84ELc85EKS1_S1_EviT_T0_PT8_S3_lS6_S3_lS4_PT9_S3_li,"axG",@progbits,_ZL34rocblas_syrkx_herkx_general_kernelIl19rocblas_complex_numIdELi16ELi32ELi8ELb0ELb1ELc84ELc85EKS1_S1_EviT_T0_PT8_S3_lS6_S3_lS4_PT9_S3_li,comdat
	.globl	_ZL34rocblas_syrkx_herkx_general_kernelIl19rocblas_complex_numIdELi16ELi32ELi8ELb0ELb1ELc84ELc85EKS1_S1_EviT_T0_PT8_S3_lS6_S3_lS4_PT9_S3_li ; -- Begin function _ZL34rocblas_syrkx_herkx_general_kernelIl19rocblas_complex_numIdELi16ELi32ELi8ELb0ELb1ELc84ELc85EKS1_S1_EviT_T0_PT8_S3_lS6_S3_lS4_PT9_S3_li
	.p2align	8
	.type	_ZL34rocblas_syrkx_herkx_general_kernelIl19rocblas_complex_numIdELi16ELi32ELi8ELb0ELb1ELc84ELc85EKS1_S1_EviT_T0_PT8_S3_lS6_S3_lS4_PT9_S3_li,@function
_ZL34rocblas_syrkx_herkx_general_kernelIl19rocblas_complex_numIdELi16ELi32ELi8ELb0ELb1ELc84ELc85EKS1_S1_EviT_T0_PT8_S3_lS6_S3_lS4_PT9_S3_li: ; @_ZL34rocblas_syrkx_herkx_general_kernelIl19rocblas_complex_numIdELi16ELi32ELi8ELb0ELb1ELc84ELc85EKS1_S1_EviT_T0_PT8_S3_lS6_S3_lS4_PT9_S3_li
; %bb.0:
	s_load_dwordx16 s[12:27], s[4:5], 0x8
	s_load_dword s9, s[4:5], 0x0
	s_load_dwordx4 s[28:31], s[4:5], 0x68
	s_load_dwordx8 s[36:43], s[4:5], 0x48
	s_lshl_b32 s10, s6, 5
	s_waitcnt lgkmcnt(0)
	v_cmp_lt_i64_e64 s[0:1], s[12:13], 1
	s_lshl_b32 s11, s7, 5
	s_and_b64 vcc, exec, s[0:1]
	s_cbranch_vccnz .LBB1380_11
; %bb.1:
	v_lshl_add_u32 v2, v1, 4, v0
	v_and_b32_e32 v5, 31, v2
	v_and_b32_e32 v29, 7, v0
	v_lshrrev_b32_e32 v3, 3, v2
	v_lshrrev_b32_e32 v28, 5, v2
	v_lshlrev_b32_e32 v2, 4, v5
	v_lshlrev_b32_e32 v8, 4, v29
	v_lshl_or_b32 v30, v28, 9, v2
	v_lshl_or_b32 v2, v3, 7, v8
	v_add_u32_e32 v31, 0x1000, v2
	v_add_u32_e32 v2, s10, v5
	;; [unrolled: 1-line block ×3, first 2 shown]
	v_ashrrev_i32_e32 v3, 31, v2
	v_or_b32_e32 v6, s10, v5
	v_mul_lo_u32 v5, s20, v3
	v_mul_lo_u32 v7, s21, v2
	v_mad_u64_u32 v[2:3], s[2:3], s20, v2, 0
	s_mul_i32 s2, s23, s8
	s_mul_hi_u32 s3, s22, s8
	v_add3_u32 v3, v3, v5, v7
	v_lshlrev_b64 v[2:3], 4, v[2:3]
	s_add_i32 s3, s3, s2
	s_mul_i32 s2, s22, s8
	s_lshl_b64 s[2:3], s[2:3], 4
	v_mov_b32_e32 v5, s3
	v_add_co_u32_e64 v2, s[2:3], s2, v2
	v_addc_co_u32_e64 v3, s[2:3], v3, v5, s[2:3]
	v_lshlrev_b32_e32 v5, 4, v28
	v_cmp_gt_i32_e32 vcc, s9, v6
	v_ashrrev_i32_e32 v6, 31, v4
	v_add_co_u32_e64 v5, s[2:3], v2, v5
	v_addc_co_u32_e64 v7, s[2:3], 0, v3, s[2:3]
	v_mul_lo_u32 v10, s26, v6
	v_mul_lo_u32 v11, s27, v4
	v_mad_u64_u32 v[2:3], s[2:3], s26, v4, 0
	v_mov_b32_e32 v9, 0x1000
	v_lshl_add_u32 v33, v1, 7, v9
	v_mov_b32_e32 v9, s19
	v_add_co_u32_e64 v6, s[2:3], s18, v5
	v_addc_co_u32_e64 v7, s[2:3], v9, v7, s[2:3]
	v_add3_u32 v3, v3, v10, v11
	s_mul_i32 s2, s37, s8
	s_mul_hi_u32 s3, s36, s8
	v_lshlrev_b64 v[2:3], 4, v[2:3]
	s_add_i32 s3, s3, s2
	s_mul_i32 s2, s36, s8
	s_lshl_b64 s[2:3], s[2:3], 4
	v_cmp_gt_i32_e64 s[0:1], s9, v4
	v_mov_b32_e32 v4, s3
	v_add_co_u32_e64 v2, s[2:3], s2, v2
	v_addc_co_u32_e64 v3, s[2:3], v3, v4, s[2:3]
	v_add_co_u32_e64 v2, s[2:3], v2, v8
	v_addc_co_u32_e64 v3, s[2:3], 0, v3, s[2:3]
	v_mov_b32_e32 v4, s25
	v_add_co_u32_e64 v8, s[2:3], s24, v2
	v_addc_co_u32_e64 v9, s[2:3], v4, v3, s[2:3]
	v_mov_b32_e32 v24, 0
	v_mov_b32_e32 v10, s12
	;; [unrolled: 1-line block ×9, first 2 shown]
	v_lshlrev_b32_e32 v32, 4, v0
	s_mov_b64 s[2:3], 0
	v_mov_b32_e32 v25, 0
	s_xor_b64 s[4:5], vcc, -1
	s_xor_b64 s[0:1], s[0:1], -1
	v_mov_b32_e32 v11, s13
	v_mov_b32_e32 v27, 0
	;; [unrolled: 1-line block ×9, first 2 shown]
	s_branch .LBB1380_3
.LBB1380_2:                             ;   in Loop: Header=BB1380_3 Depth=1
	s_or_b64 exec, exec, s[6:7]
	s_waitcnt lgkmcnt(0)
	s_barrier
	ds_read_b128 v[34:37], v33
	ds_read_b128 v[38:41], v33 offset:16
	ds_read_b128 v[42:45], v33 offset:32
	;; [unrolled: 1-line block ×3, first 2 shown]
	ds_read_b128 v[50:53], v32
	v_add_co_u32_e32 v6, vcc, 0x80, v6
	v_addc_co_u32_e32 v7, vcc, 0, v7, vcc
	s_waitcnt lgkmcnt(0)
	v_mul_f64 v[3:4], v[36:37], v[52:53]
	v_mul_f64 v[54:55], v[34:35], v[52:53]
	s_add_u32 s2, s2, 8
	v_add_co_u32_e32 v8, vcc, 0x80, v8
	s_addc_u32 s3, s3, 0
	v_addc_co_u32_e32 v9, vcc, 0, v9, vcc
	v_fma_f64 v[3:4], v[34:35], v[50:51], -v[3:4]
	v_fma_f64 v[54:55], v[36:37], v[50:51], v[54:55]
	v_cmp_ge_i64_e32 vcc, s[2:3], v[10:11]
	s_and_b64 vcc, exec, vcc
	v_add_f64 v[3:4], v[20:21], v[3:4]
	v_add_f64 v[54:55], v[54:55], v[22:23]
	ds_read_b128 v[20:23], v32 offset:256
	s_waitcnt lgkmcnt(0)
	v_mul_f64 v[56:57], v[36:37], v[22:23]
	v_fma_f64 v[56:57], v[34:35], v[20:21], -v[56:57]
	v_mul_f64 v[34:35], v[34:35], v[22:23]
	v_fma_f64 v[34:35], v[36:37], v[20:21], v[34:35]
	v_add_f64 v[36:37], v[12:13], v[56:57]
	v_add_f64 v[34:35], v[34:35], v[14:15]
	ds_read_b128 v[12:15], v33 offset:2048
	s_waitcnt lgkmcnt(0)
	v_mul_f64 v[56:57], v[14:15], v[52:53]
	v_mul_f64 v[52:53], v[12:13], v[52:53]
	v_fma_f64 v[56:57], v[12:13], v[50:51], -v[56:57]
	v_fma_f64 v[50:51], v[14:15], v[50:51], v[52:53]
	v_add_f64 v[52:53], v[16:17], v[56:57]
	v_mul_f64 v[16:17], v[14:15], v[22:23]
	v_add_f64 v[50:51], v[50:51], v[18:19]
	v_fma_f64 v[16:17], v[12:13], v[20:21], -v[16:17]
	v_mul_f64 v[12:13], v[12:13], v[22:23]
	v_add_f64 v[26:27], v[26:27], v[16:17]
	v_fma_f64 v[12:13], v[14:15], v[20:21], v[12:13]
	v_add_f64 v[24:25], v[12:13], v[24:25]
	ds_read_b128 v[12:15], v32 offset:512
	s_waitcnt lgkmcnt(0)
	v_mul_f64 v[16:17], v[40:41], v[14:15]
	v_mul_f64 v[18:19], v[38:39], v[14:15]
	v_fma_f64 v[16:17], v[38:39], v[12:13], -v[16:17]
	v_fma_f64 v[18:19], v[40:41], v[12:13], v[18:19]
	v_add_f64 v[3:4], v[3:4], v[16:17]
	v_add_f64 v[54:55], v[18:19], v[54:55]
	ds_read_b128 v[16:19], v32 offset:768
	s_waitcnt lgkmcnt(0)
	v_mul_f64 v[20:21], v[40:41], v[18:19]
	v_mul_f64 v[22:23], v[38:39], v[18:19]
	v_fma_f64 v[20:21], v[38:39], v[16:17], -v[20:21]
	v_fma_f64 v[22:23], v[40:41], v[16:17], v[22:23]
	v_add_f64 v[36:37], v[36:37], v[20:21]
	v_add_f64 v[34:35], v[22:23], v[34:35]
	ds_read_b128 v[20:23], v33 offset:2064
	s_waitcnt lgkmcnt(0)
	v_mul_f64 v[38:39], v[22:23], v[14:15]
	v_mul_f64 v[14:15], v[20:21], v[14:15]
	v_fma_f64 v[38:39], v[20:21], v[12:13], -v[38:39]
	v_fma_f64 v[12:13], v[22:23], v[12:13], v[14:15]
	v_mul_f64 v[14:15], v[20:21], v[18:19]
	v_add_f64 v[38:39], v[52:53], v[38:39]
	v_add_f64 v[40:41], v[12:13], v[50:51]
	v_mul_f64 v[12:13], v[22:23], v[18:19]
	v_fma_f64 v[14:15], v[22:23], v[16:17], v[14:15]
	v_fma_f64 v[12:13], v[20:21], v[16:17], -v[12:13]
	v_add_f64 v[24:25], v[14:15], v[24:25]
	v_add_f64 v[26:27], v[26:27], v[12:13]
	ds_read_b128 v[12:15], v32 offset:1024
	s_waitcnt lgkmcnt(0)
	v_mul_f64 v[16:17], v[44:45], v[14:15]
	v_mul_f64 v[18:19], v[42:43], v[14:15]
	v_fma_f64 v[16:17], v[42:43], v[12:13], -v[16:17]
	v_fma_f64 v[18:19], v[44:45], v[12:13], v[18:19]
	v_add_f64 v[3:4], v[3:4], v[16:17]
	v_add_f64 v[50:51], v[18:19], v[54:55]
	ds_read_b128 v[16:19], v32 offset:1280
	s_waitcnt lgkmcnt(0)
	v_mul_f64 v[20:21], v[44:45], v[18:19]
	v_mul_f64 v[22:23], v[42:43], v[18:19]
	v_fma_f64 v[20:21], v[42:43], v[16:17], -v[20:21]
	v_fma_f64 v[22:23], v[44:45], v[16:17], v[22:23]
	v_add_f64 v[36:37], v[36:37], v[20:21]
	v_add_f64 v[34:35], v[22:23], v[34:35]
	ds_read_b128 v[20:23], v33 offset:2080
	s_waitcnt lgkmcnt(0)
	v_mul_f64 v[42:43], v[22:23], v[14:15]
	v_mul_f64 v[14:15], v[20:21], v[14:15]
	v_fma_f64 v[42:43], v[20:21], v[12:13], -v[42:43]
	v_fma_f64 v[12:13], v[22:23], v[12:13], v[14:15]
	v_mul_f64 v[14:15], v[20:21], v[18:19]
	v_add_f64 v[38:39], v[38:39], v[42:43]
	v_add_f64 v[40:41], v[12:13], v[40:41]
	v_mul_f64 v[12:13], v[22:23], v[18:19]
	v_fma_f64 v[14:15], v[22:23], v[16:17], v[14:15]
	v_fma_f64 v[12:13], v[20:21], v[16:17], -v[12:13]
	v_add_f64 v[24:25], v[14:15], v[24:25]
	;; [unrolled: 30-line block ×3, first 2 shown]
	v_add_f64 v[26:27], v[26:27], v[12:13]
	ds_read_b128 v[12:15], v33 offset:64
	ds_read_b128 v[16:19], v32 offset:2048
	s_waitcnt lgkmcnt(0)
	v_mul_f64 v[20:21], v[14:15], v[18:19]
	v_mul_f64 v[22:23], v[12:13], v[18:19]
	v_fma_f64 v[20:21], v[12:13], v[16:17], -v[20:21]
	v_fma_f64 v[22:23], v[14:15], v[16:17], v[22:23]
	v_add_f64 v[3:4], v[3:4], v[20:21]
	v_add_f64 v[42:43], v[22:23], v[42:43]
	ds_read_b128 v[20:23], v32 offset:2304
	s_waitcnt lgkmcnt(0)
	v_mul_f64 v[44:45], v[14:15], v[22:23]
	v_fma_f64 v[44:45], v[12:13], v[20:21], -v[44:45]
	v_mul_f64 v[12:13], v[12:13], v[22:23]
	v_add_f64 v[36:37], v[36:37], v[44:45]
	v_fma_f64 v[12:13], v[14:15], v[20:21], v[12:13]
	v_add_f64 v[34:35], v[12:13], v[34:35]
	ds_read_b128 v[12:15], v33 offset:2112
	s_waitcnt lgkmcnt(0)
	v_mul_f64 v[44:45], v[14:15], v[18:19]
	v_mul_f64 v[18:19], v[12:13], v[18:19]
	v_fma_f64 v[44:45], v[12:13], v[16:17], -v[44:45]
	v_fma_f64 v[16:17], v[14:15], v[16:17], v[18:19]
	v_add_f64 v[38:39], v[38:39], v[44:45]
	v_add_f64 v[40:41], v[16:17], v[40:41]
	v_mul_f64 v[16:17], v[14:15], v[22:23]
	v_fma_f64 v[16:17], v[12:13], v[20:21], -v[16:17]
	v_mul_f64 v[12:13], v[12:13], v[22:23]
	v_add_f64 v[26:27], v[26:27], v[16:17]
	v_fma_f64 v[12:13], v[14:15], v[20:21], v[12:13]
	v_add_f64 v[24:25], v[12:13], v[24:25]
	ds_read_b128 v[12:15], v33 offset:80
	ds_read_b128 v[16:19], v32 offset:2560
	s_waitcnt lgkmcnt(0)
	v_mul_f64 v[20:21], v[14:15], v[18:19]
	v_mul_f64 v[22:23], v[12:13], v[18:19]
	v_fma_f64 v[20:21], v[12:13], v[16:17], -v[20:21]
	v_fma_f64 v[22:23], v[14:15], v[16:17], v[22:23]
	v_add_f64 v[3:4], v[3:4], v[20:21]
	v_add_f64 v[42:43], v[22:23], v[42:43]
	ds_read_b128 v[20:23], v32 offset:2816
	s_waitcnt lgkmcnt(0)
	v_mul_f64 v[44:45], v[14:15], v[22:23]
	v_fma_f64 v[44:45], v[12:13], v[20:21], -v[44:45]
	v_mul_f64 v[12:13], v[12:13], v[22:23]
	v_add_f64 v[36:37], v[36:37], v[44:45]
	v_fma_f64 v[12:13], v[14:15], v[20:21], v[12:13]
	v_add_f64 v[34:35], v[12:13], v[34:35]
	ds_read_b128 v[12:15], v33 offset:2128
	s_waitcnt lgkmcnt(0)
	v_mul_f64 v[44:45], v[14:15], v[18:19]
	v_mul_f64 v[18:19], v[12:13], v[18:19]
	v_fma_f64 v[44:45], v[12:13], v[16:17], -v[44:45]
	v_fma_f64 v[16:17], v[14:15], v[16:17], v[18:19]
	v_add_f64 v[38:39], v[38:39], v[44:45]
	v_add_f64 v[40:41], v[16:17], v[40:41]
	v_mul_f64 v[16:17], v[14:15], v[22:23]
	v_fma_f64 v[16:17], v[12:13], v[20:21], -v[16:17]
	v_mul_f64 v[12:13], v[12:13], v[22:23]
	v_add_f64 v[26:27], v[26:27], v[16:17]
	v_fma_f64 v[12:13], v[14:15], v[20:21], v[12:13]
	;; [unrolled: 31-line block ×3, first 2 shown]
	v_add_f64 v[46:47], v[12:13], v[24:25]
	ds_read_b128 v[12:15], v33 offset:112
	ds_read_b128 v[16:19], v32 offset:3584
	;; [unrolled: 1-line block ×3, first 2 shown]
	s_waitcnt lgkmcnt(1)
	v_mul_f64 v[20:21], v[14:15], v[18:19]
	v_mul_f64 v[22:23], v[12:13], v[18:19]
	v_fma_f64 v[20:21], v[12:13], v[16:17], -v[20:21]
	v_fma_f64 v[22:23], v[14:15], v[16:17], v[22:23]
	v_add_f64 v[20:21], v[3:4], v[20:21]
	s_waitcnt lgkmcnt(0)
	v_mul_f64 v[3:4], v[14:15], v[26:27]
	v_add_f64 v[22:23], v[22:23], v[42:43]
	v_fma_f64 v[3:4], v[12:13], v[24:25], -v[3:4]
	v_mul_f64 v[12:13], v[12:13], v[26:27]
	v_fma_f64 v[14:15], v[14:15], v[24:25], v[12:13]
	v_add_f64 v[12:13], v[36:37], v[3:4]
	v_add_f64 v[14:15], v[14:15], v[34:35]
	ds_read_b128 v[34:37], v33 offset:2160
	s_waitcnt lgkmcnt(0)
	s_barrier
	v_mul_f64 v[3:4], v[36:37], v[18:19]
	v_mul_f64 v[18:19], v[34:35], v[18:19]
	v_fma_f64 v[3:4], v[34:35], v[16:17], -v[3:4]
	v_fma_f64 v[18:19], v[36:37], v[16:17], v[18:19]
	v_add_f64 v[16:17], v[38:39], v[3:4]
	v_mul_f64 v[3:4], v[36:37], v[26:27]
	v_mul_f64 v[26:27], v[34:35], v[26:27]
	v_add_f64 v[18:19], v[18:19], v[40:41]
	v_fma_f64 v[3:4], v[34:35], v[24:25], -v[3:4]
	v_fma_f64 v[24:25], v[36:37], v[24:25], v[26:27]
	v_add_f64 v[26:27], v[44:45], v[3:4]
	v_add_f64 v[24:25], v[24:25], v[46:47]
	s_cbranch_vccnz .LBB1380_12
.LBB1380_3:                             ; =>This Inner Loop Header: Depth=1
	v_mov_b32_e32 v4, s3
	v_add_co_u32_e32 v3, vcc, s2, v28
	v_addc_co_u32_e32 v4, vcc, 0, v4, vcc
	v_cmp_le_i64_e32 vcc, s[12:13], v[3:4]
	s_or_b64 s[6:7], s[4:5], vcc
	s_and_saveexec_b64 s[18:19], s[6:7]
	s_xor_b64 s[6:7], exec, s[18:19]
; %bb.4:                                ;   in Loop: Header=BB1380_3 Depth=1
	v_mov_b32_e32 v3, v2
	v_mov_b32_e32 v4, v2
	;; [unrolled: 1-line block ×3, first 2 shown]
	ds_write_b128 v30, v[2:5]
; %bb.5:                                ;   in Loop: Header=BB1380_3 Depth=1
	s_andn2_saveexec_b64 s[6:7], s[6:7]
	s_cbranch_execz .LBB1380_7
; %bb.6:                                ;   in Loop: Header=BB1380_3 Depth=1
	global_load_dwordx4 v[34:37], v[6:7], off
	s_waitcnt vmcnt(0)
	ds_write2_b64 v30, v[34:35], v[36:37] offset1:1
.LBB1380_7:                             ;   in Loop: Header=BB1380_3 Depth=1
	s_or_b64 exec, exec, s[6:7]
	v_mov_b32_e32 v4, s3
	v_add_co_u32_e32 v3, vcc, s2, v29
	v_addc_co_u32_e32 v4, vcc, 0, v4, vcc
	v_cmp_le_i64_e32 vcc, s[12:13], v[3:4]
	s_or_b64 s[6:7], vcc, s[0:1]
	s_and_saveexec_b64 s[18:19], s[6:7]
	s_xor_b64 s[6:7], exec, s[18:19]
; %bb.8:                                ;   in Loop: Header=BB1380_3 Depth=1
	v_mov_b32_e32 v3, v2
	v_mov_b32_e32 v4, v2
	;; [unrolled: 1-line block ×3, first 2 shown]
	ds_write_b128 v31, v[2:5]
; %bb.9:                                ;   in Loop: Header=BB1380_3 Depth=1
	s_andn2_saveexec_b64 s[6:7], s[6:7]
	s_cbranch_execz .LBB1380_2
; %bb.10:                               ;   in Loop: Header=BB1380_3 Depth=1
	global_load_dwordx4 v[34:37], v[8:9], off
	s_waitcnt vmcnt(0)
	ds_write2_b64 v31, v[34:35], v[36:37] offset1:1
	s_branch .LBB1380_2
.LBB1380_11:
	v_mov_b32_e32 v20, 0
	v_mov_b32_e32 v22, 0
	;; [unrolled: 1-line block ×16, first 2 shown]
.LBB1380_12:
	v_add_u32_e32 v4, s11, v1
	v_ashrrev_i32_e32 v1, 31, v4
	v_mul_lo_u32 v3, s28, v1
	v_mul_lo_u32 v5, s29, v4
	v_mad_u64_u32 v[1:2], s[2:3], s28, v4, 0
	s_mul_i32 s0, s31, s8
	s_mul_hi_u32 s1, s30, s8
	s_add_i32 s1, s1, s0
	s_mul_i32 s0, s30, s8
	s_lshl_b64 s[0:1], s[0:1], 4
	v_add3_u32 v2, v2, v3, v5
	s_add_u32 s4, s42, s0
	v_lshlrev_b64 v[1:2], 4, v[1:2]
	s_addc_u32 s5, s43, s1
	v_mov_b32_e32 v3, s5
	v_add_co_u32_e64 v5, s[0:1], s4, v1
	v_add_u32_e32 v0, s10, v0
	v_addc_co_u32_e64 v6, s[0:1], v3, v2, s[0:1]
	v_cmp_gt_i32_e32 vcc, s9, v4
	v_cmp_le_i32_e64 s[0:1], v0, v4
	s_and_b64 s[0:1], vcc, s[0:1]
	s_and_saveexec_b64 s[2:3], s[0:1]
	s_cbranch_execz .LBB1380_14
; %bb.13:
	v_ashrrev_i32_e32 v1, 31, v0
	v_lshlrev_b64 v[1:2], 4, v[0:1]
	v_mul_f64 v[28:29], s[14:15], v[22:23]
	v_add_co_u32_e64 v1, s[0:1], v5, v1
	v_addc_co_u32_e64 v2, s[0:1], v6, v2, s[0:1]
	global_load_dwordx4 v[7:10], v[1:2], off
	v_mul_f64 v[22:23], s[16:17], v[22:23]
	v_cmp_ne_u32_e64 s[0:1], v4, v0
	v_fma_f64 v[28:29], s[16:17], v[20:21], v[28:29]
	v_fma_f64 v[20:21], s[14:15], v[20:21], -v[22:23]
	s_waitcnt vmcnt(0)
	v_mul_f64 v[30:31], s[38:39], v[9:10]
	v_mul_f64 v[9:10], s[40:41], v[9:10]
	v_fma_f64 v[30:31], s[40:41], v[7:8], v[30:31]
	v_fma_f64 v[7:8], s[38:39], v[7:8], -v[9:10]
	v_add_f64 v[9:10], v[28:29], v[30:31]
	v_add_f64 v[7:8], v[20:21], v[7:8]
	v_cndmask_b32_e64 v10, 0, v10, s[0:1]
	v_cndmask_b32_e64 v9, 0, v9, s[0:1]
	global_store_dwordx4 v[1:2], v[7:10], off
.LBB1380_14:
	s_or_b64 exec, exec, s[2:3]
	v_add_u32_e32 v2, 16, v0
	v_cmp_le_i32_e64 s[0:1], v2, v4
	s_and_b64 s[2:3], vcc, s[0:1]
	s_and_saveexec_b64 s[0:1], s[2:3]
	s_cbranch_execz .LBB1380_16
; %bb.15:
	v_ashrrev_i32_e32 v3, 31, v2
	v_lshlrev_b64 v[7:8], 4, v[2:3]
	v_mul_f64 v[20:21], s[14:15], v[14:15]
	v_add_co_u32_e32 v9, vcc, v5, v7
	v_addc_co_u32_e32 v10, vcc, v6, v8, vcc
	global_load_dwordx4 v[5:8], v[9:10], off
	v_mul_f64 v[14:15], s[16:17], v[14:15]
	v_cmp_ne_u32_e32 vcc, v4, v2
	v_fma_f64 v[20:21], s[16:17], v[12:13], v[20:21]
	v_fma_f64 v[11:12], s[14:15], v[12:13], -v[14:15]
	s_waitcnt vmcnt(0)
	v_mul_f64 v[22:23], s[38:39], v[7:8]
	v_mul_f64 v[7:8], s[40:41], v[7:8]
	v_fma_f64 v[22:23], s[40:41], v[5:6], v[22:23]
	v_fma_f64 v[5:6], s[38:39], v[5:6], -v[7:8]
	v_add_f64 v[7:8], v[20:21], v[22:23]
	v_add_f64 v[5:6], v[11:12], v[5:6]
	v_cndmask_b32_e32 v8, 0, v8, vcc
	v_cndmask_b32_e32 v7, 0, v7, vcc
	global_store_dwordx4 v[9:10], v[5:8], off
.LBB1380_16:
	s_or_b64 exec, exec, s[0:1]
	v_add_u32_e32 v3, 16, v4
	v_ashrrev_i32_e32 v1, 31, v3
	v_mul_lo_u32 v1, s28, v1
	v_mul_lo_u32 v7, s29, v3
	v_mad_u64_u32 v[5:6], s[0:1], s28, v3, 0
	v_cmp_gt_i32_e32 vcc, s9, v3
	v_add3_u32 v6, v6, v1, v7
	v_lshlrev_b64 v[5:6], 4, v[5:6]
	v_mov_b32_e32 v1, s5
	v_add_co_u32_e64 v5, s[0:1], s4, v5
	v_addc_co_u32_e64 v6, s[0:1], v1, v6, s[0:1]
	v_cmp_le_i32_e64 s[0:1], v0, v3
	s_and_b64 s[0:1], vcc, s[0:1]
	s_and_saveexec_b64 s[2:3], s[0:1]
	s_cbranch_execz .LBB1380_18
; %bb.17:
	v_ashrrev_i32_e32 v1, 31, v0
	v_lshlrev_b64 v[7:8], 4, v[0:1]
	v_mul_f64 v[13:14], s[14:15], v[18:19]
	v_add_co_u32_e64 v11, s[0:1], v5, v7
	v_addc_co_u32_e64 v12, s[0:1], v6, v8, s[0:1]
	global_load_dwordx4 v[7:10], v[11:12], off
	v_mul_f64 v[18:19], s[16:17], v[18:19]
	v_cmp_ne_u32_e64 s[0:1], v3, v0
	v_fma_f64 v[13:14], s[16:17], v[16:17], v[13:14]
	v_fma_f64 v[15:16], s[14:15], v[16:17], -v[18:19]
	s_waitcnt vmcnt(0)
	v_mul_f64 v[20:21], s[38:39], v[9:10]
	v_mul_f64 v[9:10], s[40:41], v[9:10]
	v_fma_f64 v[20:21], s[40:41], v[7:8], v[20:21]
	v_fma_f64 v[7:8], s[38:39], v[7:8], -v[9:10]
	v_add_f64 v[9:10], v[13:14], v[20:21]
	v_add_f64 v[7:8], v[15:16], v[7:8]
	v_cndmask_b32_e64 v10, 0, v10, s[0:1]
	v_cndmask_b32_e64 v9, 0, v9, s[0:1]
	global_store_dwordx4 v[11:12], v[7:10], off
.LBB1380_18:
	s_or_b64 exec, exec, s[2:3]
	v_cmp_le_i32_e64 s[0:1], v2, v3
	s_and_b64 s[0:1], vcc, s[0:1]
	s_and_saveexec_b64 s[2:3], s[0:1]
	s_cbranch_execz .LBB1380_20
; %bb.19:
	v_ashrrev_i32_e32 v3, 31, v2
	v_lshlrev_b64 v[1:2], 4, v[2:3]
	v_mul_f64 v[13:14], s[16:17], v[24:25]
	v_add_co_u32_e32 v9, vcc, v5, v1
	v_addc_co_u32_e32 v10, vcc, v6, v2, vcc
	global_load_dwordx4 v[5:8], v[9:10], off
	v_mul_f64 v[1:2], s[14:15], v[24:25]
	v_cmp_ne_u32_e32 vcc, v4, v0
	v_fma_f64 v[13:14], s[14:15], v[26:27], -v[13:14]
	v_fma_f64 v[1:2], s[16:17], v[26:27], v[1:2]
	s_waitcnt vmcnt(0)
	v_mul_f64 v[11:12], s[38:39], v[7:8]
	v_mul_f64 v[7:8], s[40:41], v[7:8]
	v_fma_f64 v[11:12], s[40:41], v[5:6], v[11:12]
	v_fma_f64 v[5:6], s[38:39], v[5:6], -v[7:8]
	v_add_f64 v[7:8], v[1:2], v[11:12]
	v_add_f64 v[1:2], v[13:14], v[5:6]
	v_cndmask_b32_e32 v4, 0, v8, vcc
	v_cndmask_b32_e32 v3, 0, v7, vcc
	global_store_dwordx4 v[9:10], v[1:4], off
.LBB1380_20:
	s_endpgm
	.section	.rodata,"a",@progbits
	.p2align	6, 0x0
	.amdhsa_kernel _ZL34rocblas_syrkx_herkx_general_kernelIl19rocblas_complex_numIdELi16ELi32ELi8ELb0ELb1ELc84ELc85EKS1_S1_EviT_T0_PT8_S3_lS6_S3_lS4_PT9_S3_li
		.amdhsa_group_segment_fixed_size 8192
		.amdhsa_private_segment_fixed_size 0
		.amdhsa_kernarg_size 124
		.amdhsa_user_sgpr_count 6
		.amdhsa_user_sgpr_private_segment_buffer 1
		.amdhsa_user_sgpr_dispatch_ptr 0
		.amdhsa_user_sgpr_queue_ptr 0
		.amdhsa_user_sgpr_kernarg_segment_ptr 1
		.amdhsa_user_sgpr_dispatch_id 0
		.amdhsa_user_sgpr_flat_scratch_init 0
		.amdhsa_user_sgpr_private_segment_size 0
		.amdhsa_uses_dynamic_stack 0
		.amdhsa_system_sgpr_private_segment_wavefront_offset 0
		.amdhsa_system_sgpr_workgroup_id_x 1
		.amdhsa_system_sgpr_workgroup_id_y 1
		.amdhsa_system_sgpr_workgroup_id_z 1
		.amdhsa_system_sgpr_workgroup_info 0
		.amdhsa_system_vgpr_workitem_id 1
		.amdhsa_next_free_vgpr 58
		.amdhsa_next_free_sgpr 61
		.amdhsa_reserve_vcc 1
		.amdhsa_reserve_flat_scratch 0
		.amdhsa_float_round_mode_32 0
		.amdhsa_float_round_mode_16_64 0
		.amdhsa_float_denorm_mode_32 3
		.amdhsa_float_denorm_mode_16_64 3
		.amdhsa_dx10_clamp 1
		.amdhsa_ieee_mode 1
		.amdhsa_fp16_overflow 0
		.amdhsa_exception_fp_ieee_invalid_op 0
		.amdhsa_exception_fp_denorm_src 0
		.amdhsa_exception_fp_ieee_div_zero 0
		.amdhsa_exception_fp_ieee_overflow 0
		.amdhsa_exception_fp_ieee_underflow 0
		.amdhsa_exception_fp_ieee_inexact 0
		.amdhsa_exception_int_div_zero 0
	.end_amdhsa_kernel
	.section	.text._ZL34rocblas_syrkx_herkx_general_kernelIl19rocblas_complex_numIdELi16ELi32ELi8ELb0ELb1ELc84ELc85EKS1_S1_EviT_T0_PT8_S3_lS6_S3_lS4_PT9_S3_li,"axG",@progbits,_ZL34rocblas_syrkx_herkx_general_kernelIl19rocblas_complex_numIdELi16ELi32ELi8ELb0ELb1ELc84ELc85EKS1_S1_EviT_T0_PT8_S3_lS6_S3_lS4_PT9_S3_li,comdat
.Lfunc_end1380:
	.size	_ZL34rocblas_syrkx_herkx_general_kernelIl19rocblas_complex_numIdELi16ELi32ELi8ELb0ELb1ELc84ELc85EKS1_S1_EviT_T0_PT8_S3_lS6_S3_lS4_PT9_S3_li, .Lfunc_end1380-_ZL34rocblas_syrkx_herkx_general_kernelIl19rocblas_complex_numIdELi16ELi32ELi8ELb0ELb1ELc84ELc85EKS1_S1_EviT_T0_PT8_S3_lS6_S3_lS4_PT9_S3_li
                                        ; -- End function
	.set _ZL34rocblas_syrkx_herkx_general_kernelIl19rocblas_complex_numIdELi16ELi32ELi8ELb0ELb1ELc84ELc85EKS1_S1_EviT_T0_PT8_S3_lS6_S3_lS4_PT9_S3_li.num_vgpr, 58
	.set _ZL34rocblas_syrkx_herkx_general_kernelIl19rocblas_complex_numIdELi16ELi32ELi8ELb0ELb1ELc84ELc85EKS1_S1_EviT_T0_PT8_S3_lS6_S3_lS4_PT9_S3_li.num_agpr, 0
	.set _ZL34rocblas_syrkx_herkx_general_kernelIl19rocblas_complex_numIdELi16ELi32ELi8ELb0ELb1ELc84ELc85EKS1_S1_EviT_T0_PT8_S3_lS6_S3_lS4_PT9_S3_li.numbered_sgpr, 44
	.set _ZL34rocblas_syrkx_herkx_general_kernelIl19rocblas_complex_numIdELi16ELi32ELi8ELb0ELb1ELc84ELc85EKS1_S1_EviT_T0_PT8_S3_lS6_S3_lS4_PT9_S3_li.num_named_barrier, 0
	.set _ZL34rocblas_syrkx_herkx_general_kernelIl19rocblas_complex_numIdELi16ELi32ELi8ELb0ELb1ELc84ELc85EKS1_S1_EviT_T0_PT8_S3_lS6_S3_lS4_PT9_S3_li.private_seg_size, 0
	.set _ZL34rocblas_syrkx_herkx_general_kernelIl19rocblas_complex_numIdELi16ELi32ELi8ELb0ELb1ELc84ELc85EKS1_S1_EviT_T0_PT8_S3_lS6_S3_lS4_PT9_S3_li.uses_vcc, 1
	.set _ZL34rocblas_syrkx_herkx_general_kernelIl19rocblas_complex_numIdELi16ELi32ELi8ELb0ELb1ELc84ELc85EKS1_S1_EviT_T0_PT8_S3_lS6_S3_lS4_PT9_S3_li.uses_flat_scratch, 0
	.set _ZL34rocblas_syrkx_herkx_general_kernelIl19rocblas_complex_numIdELi16ELi32ELi8ELb0ELb1ELc84ELc85EKS1_S1_EviT_T0_PT8_S3_lS6_S3_lS4_PT9_S3_li.has_dyn_sized_stack, 0
	.set _ZL34rocblas_syrkx_herkx_general_kernelIl19rocblas_complex_numIdELi16ELi32ELi8ELb0ELb1ELc84ELc85EKS1_S1_EviT_T0_PT8_S3_lS6_S3_lS4_PT9_S3_li.has_recursion, 0
	.set _ZL34rocblas_syrkx_herkx_general_kernelIl19rocblas_complex_numIdELi16ELi32ELi8ELb0ELb1ELc84ELc85EKS1_S1_EviT_T0_PT8_S3_lS6_S3_lS4_PT9_S3_li.has_indirect_call, 0
	.section	.AMDGPU.csdata,"",@progbits
; Kernel info:
; codeLenInByte = 3512
; TotalNumSgprs: 48
; NumVgprs: 58
; ScratchSize: 0
; MemoryBound: 0
; FloatMode: 240
; IeeeMode: 1
; LDSByteSize: 8192 bytes/workgroup (compile time only)
; SGPRBlocks: 8
; VGPRBlocks: 14
; NumSGPRsForWavesPerEU: 65
; NumVGPRsForWavesPerEU: 58
; Occupancy: 4
; WaveLimiterHint : 0
; COMPUTE_PGM_RSRC2:SCRATCH_EN: 0
; COMPUTE_PGM_RSRC2:USER_SGPR: 6
; COMPUTE_PGM_RSRC2:TRAP_HANDLER: 0
; COMPUTE_PGM_RSRC2:TGID_X_EN: 1
; COMPUTE_PGM_RSRC2:TGID_Y_EN: 1
; COMPUTE_PGM_RSRC2:TGID_Z_EN: 1
; COMPUTE_PGM_RSRC2:TIDIG_COMP_CNT: 1
	.section	.text._ZL34rocblas_syrkx_herkx_general_kernelIl19rocblas_complex_numIdELi16ELi32ELi8ELb0ELb1ELc67ELc85EKS1_S1_EviT_T0_PT8_S3_lS6_S3_lS4_PT9_S3_li,"axG",@progbits,_ZL34rocblas_syrkx_herkx_general_kernelIl19rocblas_complex_numIdELi16ELi32ELi8ELb0ELb1ELc67ELc85EKS1_S1_EviT_T0_PT8_S3_lS6_S3_lS4_PT9_S3_li,comdat
	.globl	_ZL34rocblas_syrkx_herkx_general_kernelIl19rocblas_complex_numIdELi16ELi32ELi8ELb0ELb1ELc67ELc85EKS1_S1_EviT_T0_PT8_S3_lS6_S3_lS4_PT9_S3_li ; -- Begin function _ZL34rocblas_syrkx_herkx_general_kernelIl19rocblas_complex_numIdELi16ELi32ELi8ELb0ELb1ELc67ELc85EKS1_S1_EviT_T0_PT8_S3_lS6_S3_lS4_PT9_S3_li
	.p2align	8
	.type	_ZL34rocblas_syrkx_herkx_general_kernelIl19rocblas_complex_numIdELi16ELi32ELi8ELb0ELb1ELc67ELc85EKS1_S1_EviT_T0_PT8_S3_lS6_S3_lS4_PT9_S3_li,@function
_ZL34rocblas_syrkx_herkx_general_kernelIl19rocblas_complex_numIdELi16ELi32ELi8ELb0ELb1ELc67ELc85EKS1_S1_EviT_T0_PT8_S3_lS6_S3_lS4_PT9_S3_li: ; @_ZL34rocblas_syrkx_herkx_general_kernelIl19rocblas_complex_numIdELi16ELi32ELi8ELb0ELb1ELc67ELc85EKS1_S1_EviT_T0_PT8_S3_lS6_S3_lS4_PT9_S3_li
; %bb.0:
	s_load_dwordx16 s[12:27], s[4:5], 0x8
	s_load_dword s9, s[4:5], 0x0
	s_load_dwordx4 s[28:31], s[4:5], 0x68
	s_load_dwordx8 s[36:43], s[4:5], 0x48
	s_lshl_b32 s10, s6, 5
	s_waitcnt lgkmcnt(0)
	v_cmp_lt_i64_e64 s[0:1], s[12:13], 1
	s_lshl_b32 s11, s7, 5
	s_and_b64 vcc, exec, s[0:1]
	s_cbranch_vccnz .LBB1381_9
; %bb.1:
	v_lshl_add_u32 v2, v1, 4, v0
	v_and_b32_e32 v5, 31, v2
	v_or_b32_e32 v6, s10, v5
	v_and_b32_e32 v30, 7, v0
	v_lshrrev_b32_e32 v3, 3, v2
	v_lshrrev_b32_e32 v29, 5, v2
	v_cmp_gt_i32_e64 s[0:1], s9, v6
	v_lshlrev_b32_e32 v2, 4, v5
	v_lshlrev_b32_e32 v6, 4, v30
	v_lshl_or_b32 v31, v29, 9, v2
	v_lshl_or_b32 v2, v3, 7, v6
	v_add_u32_e32 v32, 0x1000, v2
	v_add_u32_e32 v2, s10, v5
	;; [unrolled: 1-line block ×3, first 2 shown]
	v_ashrrev_i32_e32 v3, 31, v2
	v_mul_lo_u32 v5, s20, v3
	v_mul_lo_u32 v8, s21, v2
	v_mad_u64_u32 v[2:3], s[2:3], s20, v2, 0
	s_mul_i32 s2, s23, s8
	s_mul_hi_u32 s3, s22, s8
	v_add3_u32 v3, v3, v5, v8
	v_lshlrev_b64 v[2:3], 4, v[2:3]
	s_add_i32 s3, s3, s2
	s_mul_i32 s2, s22, s8
	s_lshl_b64 s[2:3], s[2:3], 4
	v_mov_b32_e32 v5, s3
	v_add_co_u32_e64 v2, s[2:3], s2, v2
	v_addc_co_u32_e64 v3, s[2:3], v3, v5, s[2:3]
	v_lshlrev_b32_e32 v5, 4, v29
	v_add_co_u32_e64 v2, s[2:3], v2, v5
	v_addc_co_u32_e64 v3, s[2:3], 0, v3, s[2:3]
	v_ashrrev_i32_e32 v7, 31, v4
	v_mov_b32_e32 v9, 0x1000
	v_mov_b32_e32 v5, s19
	v_add_co_u32_e64 v8, s[2:3], s18, v2
	v_lshl_add_u32 v34, v1, 7, v9
	v_addc_co_u32_e64 v5, s[2:3], v5, v3, s[2:3]
	v_mul_lo_u32 v9, s26, v7
	v_mul_lo_u32 v10, s27, v4
	v_mad_u64_u32 v[2:3], s[2:3], s26, v4, 0
	v_add_co_u32_e64 v7, s[2:3], 8, v8
	v_addc_co_u32_e64 v8, s[2:3], 0, v5, s[2:3]
	v_add3_u32 v3, v3, v9, v10
	s_mul_i32 s2, s37, s8
	s_mul_hi_u32 s3, s36, s8
	v_lshlrev_b64 v[2:3], 4, v[2:3]
	s_add_i32 s3, s3, s2
	s_mul_i32 s2, s36, s8
	s_lshl_b64 s[2:3], s[2:3], 4
	v_cmp_gt_i32_e32 vcc, s9, v4
	v_mov_b32_e32 v4, s3
	v_add_co_u32_e64 v2, s[2:3], s2, v2
	v_addc_co_u32_e64 v3, s[2:3], v3, v4, s[2:3]
	v_add_co_u32_e64 v2, s[2:3], v2, v6
	v_addc_co_u32_e64 v3, s[2:3], 0, v3, s[2:3]
	v_mov_b32_e32 v4, s25
	v_add_co_u32_e64 v9, s[2:3], s24, v2
	v_addc_co_u32_e64 v10, s[2:3], v4, v3, s[2:3]
	v_mov_b32_e32 v25, 0
	v_mov_b32_e32 v11, s12
	;; [unrolled: 1-line block ×9, first 2 shown]
	v_lshlrev_b32_e32 v33, 4, v0
	s_mov_b64 s[2:3], 0
	v_mov_b32_e32 v26, 0
	s_xor_b64 s[4:5], vcc, -1
	v_mov_b32_e32 v12, s13
	v_mov_b32_e32 v28, 0
	;; [unrolled: 1-line block ×9, first 2 shown]
	s_branch .LBB1381_3
.LBB1381_2:                             ;   in Loop: Header=BB1381_3 Depth=1
	s_or_b64 exec, exec, s[6:7]
	s_waitcnt lgkmcnt(0)
	s_barrier
	ds_read_b128 v[3:6], v34
	ds_read_b128 v[35:38], v34 offset:16
	ds_read_b128 v[39:42], v34 offset:32
	;; [unrolled: 1-line block ×3, first 2 shown]
	ds_read_b128 v[47:50], v33
	v_add_co_u32_e32 v7, vcc, 0x80, v7
	v_addc_co_u32_e32 v8, vcc, 0, v8, vcc
	s_waitcnt lgkmcnt(0)
	v_mul_f64 v[51:52], v[5:6], v[49:50]
	v_mul_f64 v[53:54], v[3:4], v[49:50]
	s_add_u32 s2, s2, 8
	v_add_co_u32_e32 v9, vcc, 0x80, v9
	s_addc_u32 s3, s3, 0
	v_addc_co_u32_e32 v10, vcc, 0, v10, vcc
	v_fma_f64 v[51:52], v[3:4], v[47:48], -v[51:52]
	v_fma_f64 v[53:54], v[5:6], v[47:48], v[53:54]
	v_cmp_ge_i64_e32 vcc, s[2:3], v[11:12]
	s_and_b64 vcc, exec, vcc
	v_add_f64 v[51:52], v[21:22], v[51:52]
	v_add_f64 v[53:54], v[53:54], v[23:24]
	ds_read_b128 v[21:24], v33 offset:256
	s_waitcnt lgkmcnt(0)
	v_mul_f64 v[55:56], v[5:6], v[23:24]
	v_fma_f64 v[55:56], v[3:4], v[21:22], -v[55:56]
	v_mul_f64 v[3:4], v[3:4], v[23:24]
	v_add_f64 v[55:56], v[13:14], v[55:56]
	v_fma_f64 v[3:4], v[5:6], v[21:22], v[3:4]
	v_add_f64 v[57:58], v[3:4], v[15:16]
	ds_read_b128 v[3:6], v34 offset:2048
	s_waitcnt lgkmcnt(0)
	v_mul_f64 v[13:14], v[5:6], v[49:50]
	v_mul_f64 v[15:16], v[3:4], v[49:50]
	v_fma_f64 v[13:14], v[3:4], v[47:48], -v[13:14]
	v_fma_f64 v[15:16], v[5:6], v[47:48], v[15:16]
	v_add_f64 v[47:48], v[17:18], v[13:14]
	v_mul_f64 v[13:14], v[5:6], v[23:24]
	v_add_f64 v[49:50], v[15:16], v[19:20]
	v_fma_f64 v[13:14], v[3:4], v[21:22], -v[13:14]
	v_mul_f64 v[3:4], v[3:4], v[23:24]
	v_fma_f64 v[3:4], v[5:6], v[21:22], v[3:4]
	v_add_f64 v[21:22], v[27:28], v[13:14]
	v_add_f64 v[23:24], v[3:4], v[25:26]
	ds_read_b128 v[3:6], v33 offset:512
	s_waitcnt lgkmcnt(0)
	v_mul_f64 v[13:14], v[37:38], v[5:6]
	v_mul_f64 v[15:16], v[35:36], v[5:6]
	v_fma_f64 v[13:14], v[35:36], v[3:4], -v[13:14]
	v_fma_f64 v[15:16], v[37:38], v[3:4], v[15:16]
	v_add_f64 v[25:26], v[51:52], v[13:14]
	v_add_f64 v[27:28], v[15:16], v[53:54]
	ds_read_b128 v[13:16], v33 offset:768
	s_waitcnt lgkmcnt(0)
	v_mul_f64 v[17:18], v[37:38], v[15:16]
	v_mul_f64 v[19:20], v[35:36], v[15:16]
	v_fma_f64 v[17:18], v[35:36], v[13:14], -v[17:18]
	v_fma_f64 v[19:20], v[37:38], v[13:14], v[19:20]
	v_add_f64 v[35:36], v[55:56], v[17:18]
	v_add_f64 v[37:38], v[19:20], v[57:58]
	ds_read_b128 v[17:20], v34 offset:2064
	s_waitcnt lgkmcnt(0)
	v_mul_f64 v[51:52], v[19:20], v[5:6]
	v_mul_f64 v[5:6], v[17:18], v[5:6]
	v_fma_f64 v[51:52], v[17:18], v[3:4], -v[51:52]
	v_fma_f64 v[3:4], v[19:20], v[3:4], v[5:6]
	v_mul_f64 v[5:6], v[17:18], v[15:16]
	v_add_f64 v[47:48], v[47:48], v[51:52]
	v_add_f64 v[49:50], v[3:4], v[49:50]
	v_mul_f64 v[3:4], v[19:20], v[15:16]
	v_fma_f64 v[5:6], v[19:20], v[13:14], v[5:6]
	v_fma_f64 v[3:4], v[17:18], v[13:14], -v[3:4]
	v_add_f64 v[23:24], v[5:6], v[23:24]
	v_add_f64 v[21:22], v[21:22], v[3:4]
	ds_read_b128 v[3:6], v33 offset:1024
	s_waitcnt lgkmcnt(0)
	v_mul_f64 v[13:14], v[41:42], v[5:6]
	v_mul_f64 v[15:16], v[39:40], v[5:6]
	v_fma_f64 v[13:14], v[39:40], v[3:4], -v[13:14]
	v_fma_f64 v[15:16], v[41:42], v[3:4], v[15:16]
	v_add_f64 v[25:26], v[25:26], v[13:14]
	v_add_f64 v[27:28], v[15:16], v[27:28]
	ds_read_b128 v[13:16], v33 offset:1280
	s_waitcnt lgkmcnt(0)
	v_mul_f64 v[17:18], v[41:42], v[15:16]
	v_mul_f64 v[19:20], v[39:40], v[15:16]
	v_fma_f64 v[17:18], v[39:40], v[13:14], -v[17:18]
	v_fma_f64 v[19:20], v[41:42], v[13:14], v[19:20]
	;; [unrolled: 8-line block ×3, first 2 shown]
	v_mul_f64 v[5:6], v[17:18], v[15:16]
	v_add_f64 v[39:40], v[47:48], v[39:40]
	v_add_f64 v[41:42], v[3:4], v[49:50]
	v_mul_f64 v[3:4], v[19:20], v[15:16]
	v_fma_f64 v[5:6], v[19:20], v[13:14], v[5:6]
	v_fma_f64 v[3:4], v[17:18], v[13:14], -v[3:4]
	v_add_f64 v[23:24], v[5:6], v[23:24]
	v_add_f64 v[21:22], v[21:22], v[3:4]
	ds_read_b128 v[3:6], v33 offset:1536
	s_waitcnt lgkmcnt(0)
	v_mul_f64 v[13:14], v[45:46], v[5:6]
	v_mul_f64 v[15:16], v[43:44], v[5:6]
	v_fma_f64 v[13:14], v[43:44], v[3:4], -v[13:14]
	v_fma_f64 v[15:16], v[45:46], v[3:4], v[15:16]
	v_add_f64 v[25:26], v[25:26], v[13:14]
	v_add_f64 v[27:28], v[15:16], v[27:28]
	ds_read_b128 v[13:16], v33 offset:1792
	s_waitcnt lgkmcnt(0)
	v_mul_f64 v[17:18], v[45:46], v[15:16]
	v_mul_f64 v[19:20], v[43:44], v[15:16]
	v_fma_f64 v[17:18], v[43:44], v[13:14], -v[17:18]
	v_fma_f64 v[19:20], v[45:46], v[13:14], v[19:20]
	;; [unrolled: 8-line block ×3, first 2 shown]
	v_mul_f64 v[5:6], v[17:18], v[15:16]
	v_add_f64 v[39:40], v[39:40], v[43:44]
	v_add_f64 v[41:42], v[3:4], v[41:42]
	v_mul_f64 v[3:4], v[19:20], v[15:16]
	v_fma_f64 v[5:6], v[19:20], v[13:14], v[5:6]
	v_fma_f64 v[3:4], v[17:18], v[13:14], -v[3:4]
	v_add_f64 v[23:24], v[5:6], v[23:24]
	v_add_f64 v[21:22], v[21:22], v[3:4]
	ds_read_b128 v[3:6], v34 offset:64
	ds_read_b128 v[13:16], v33 offset:2048
	s_waitcnt lgkmcnt(0)
	v_mul_f64 v[17:18], v[5:6], v[15:16]
	v_mul_f64 v[19:20], v[3:4], v[15:16]
	v_fma_f64 v[17:18], v[3:4], v[13:14], -v[17:18]
	v_fma_f64 v[19:20], v[5:6], v[13:14], v[19:20]
	v_add_f64 v[25:26], v[25:26], v[17:18]
	v_add_f64 v[27:28], v[19:20], v[27:28]
	ds_read_b128 v[17:20], v33 offset:2304
	s_waitcnt lgkmcnt(0)
	v_mul_f64 v[43:44], v[5:6], v[19:20]
	v_fma_f64 v[43:44], v[3:4], v[17:18], -v[43:44]
	v_mul_f64 v[3:4], v[3:4], v[19:20]
	v_add_f64 v[35:36], v[35:36], v[43:44]
	v_fma_f64 v[3:4], v[5:6], v[17:18], v[3:4]
	v_add_f64 v[37:38], v[3:4], v[37:38]
	ds_read_b128 v[3:6], v34 offset:2112
	s_waitcnt lgkmcnt(0)
	v_mul_f64 v[43:44], v[5:6], v[15:16]
	v_mul_f64 v[15:16], v[3:4], v[15:16]
	v_fma_f64 v[43:44], v[3:4], v[13:14], -v[43:44]
	v_fma_f64 v[13:14], v[5:6], v[13:14], v[15:16]
	v_add_f64 v[39:40], v[39:40], v[43:44]
	v_add_f64 v[41:42], v[13:14], v[41:42]
	v_mul_f64 v[13:14], v[5:6], v[19:20]
	v_fma_f64 v[13:14], v[3:4], v[17:18], -v[13:14]
	v_mul_f64 v[3:4], v[3:4], v[19:20]
	v_add_f64 v[21:22], v[21:22], v[13:14]
	v_fma_f64 v[3:4], v[5:6], v[17:18], v[3:4]
	v_add_f64 v[23:24], v[3:4], v[23:24]
	ds_read_b128 v[3:6], v34 offset:80
	ds_read_b128 v[13:16], v33 offset:2560
	s_waitcnt lgkmcnt(0)
	v_mul_f64 v[17:18], v[5:6], v[15:16]
	v_mul_f64 v[19:20], v[3:4], v[15:16]
	v_fma_f64 v[17:18], v[3:4], v[13:14], -v[17:18]
	v_fma_f64 v[19:20], v[5:6], v[13:14], v[19:20]
	v_add_f64 v[25:26], v[25:26], v[17:18]
	v_add_f64 v[27:28], v[19:20], v[27:28]
	ds_read_b128 v[17:20], v33 offset:2816
	s_waitcnt lgkmcnt(0)
	v_mul_f64 v[43:44], v[5:6], v[19:20]
	v_fma_f64 v[43:44], v[3:4], v[17:18], -v[43:44]
	v_mul_f64 v[3:4], v[3:4], v[19:20]
	v_add_f64 v[35:36], v[35:36], v[43:44]
	v_fma_f64 v[3:4], v[5:6], v[17:18], v[3:4]
	v_add_f64 v[37:38], v[3:4], v[37:38]
	ds_read_b128 v[3:6], v34 offset:2128
	s_waitcnt lgkmcnt(0)
	v_mul_f64 v[43:44], v[5:6], v[15:16]
	v_mul_f64 v[15:16], v[3:4], v[15:16]
	v_fma_f64 v[43:44], v[3:4], v[13:14], -v[43:44]
	v_fma_f64 v[13:14], v[5:6], v[13:14], v[15:16]
	v_add_f64 v[39:40], v[39:40], v[43:44]
	v_add_f64 v[41:42], v[13:14], v[41:42]
	v_mul_f64 v[13:14], v[5:6], v[19:20]
	v_fma_f64 v[13:14], v[3:4], v[17:18], -v[13:14]
	v_mul_f64 v[3:4], v[3:4], v[19:20]
	v_add_f64 v[21:22], v[21:22], v[13:14]
	v_fma_f64 v[3:4], v[5:6], v[17:18], v[3:4]
	v_add_f64 v[23:24], v[3:4], v[23:24]
	ds_read_b128 v[3:6], v34 offset:96
	ds_read_b128 v[13:16], v33 offset:3072
	s_waitcnt lgkmcnt(0)
	v_mul_f64 v[17:18], v[5:6], v[15:16]
	v_mul_f64 v[19:20], v[3:4], v[15:16]
	v_fma_f64 v[17:18], v[3:4], v[13:14], -v[17:18]
	v_fma_f64 v[19:20], v[5:6], v[13:14], v[19:20]
	v_add_f64 v[25:26], v[25:26], v[17:18]
	v_add_f64 v[27:28], v[19:20], v[27:28]
	ds_read_b128 v[17:20], v33 offset:3328
	s_waitcnt lgkmcnt(0)
	v_mul_f64 v[43:44], v[5:6], v[19:20]
	v_fma_f64 v[43:44], v[3:4], v[17:18], -v[43:44]
	v_mul_f64 v[3:4], v[3:4], v[19:20]
	v_add_f64 v[35:36], v[35:36], v[43:44]
	v_fma_f64 v[3:4], v[5:6], v[17:18], v[3:4]
	v_add_f64 v[37:38], v[3:4], v[37:38]
	ds_read_b128 v[3:6], v34 offset:2144
	s_waitcnt lgkmcnt(0)
	v_mul_f64 v[43:44], v[5:6], v[15:16]
	v_mul_f64 v[15:16], v[3:4], v[15:16]
	v_fma_f64 v[43:44], v[3:4], v[13:14], -v[43:44]
	v_fma_f64 v[13:14], v[5:6], v[13:14], v[15:16]
	v_add_f64 v[39:40], v[39:40], v[43:44]
	v_add_f64 v[41:42], v[13:14], v[41:42]
	v_mul_f64 v[13:14], v[5:6], v[19:20]
	v_fma_f64 v[13:14], v[3:4], v[17:18], -v[13:14]
	v_mul_f64 v[3:4], v[3:4], v[19:20]
	v_add_f64 v[43:44], v[21:22], v[13:14]
	v_fma_f64 v[3:4], v[5:6], v[17:18], v[3:4]
	v_add_f64 v[45:46], v[3:4], v[23:24]
	ds_read_b128 v[3:6], v34 offset:112
	ds_read_b128 v[17:20], v33 offset:3584
	s_waitcnt lgkmcnt(0)
	v_mul_f64 v[13:14], v[5:6], v[19:20]
	v_mul_f64 v[15:16], v[3:4], v[19:20]
	v_fma_f64 v[13:14], v[3:4], v[17:18], -v[13:14]
	v_fma_f64 v[15:16], v[5:6], v[17:18], v[15:16]
	v_add_f64 v[21:22], v[25:26], v[13:14]
	v_add_f64 v[23:24], v[15:16], v[27:28]
	ds_read_b128 v[25:28], v33 offset:3840
	s_waitcnt lgkmcnt(0)
	v_mul_f64 v[13:14], v[5:6], v[27:28]
	v_fma_f64 v[13:14], v[3:4], v[25:26], -v[13:14]
	v_mul_f64 v[3:4], v[3:4], v[27:28]
	v_add_f64 v[13:14], v[35:36], v[13:14]
	v_fma_f64 v[3:4], v[5:6], v[25:26], v[3:4]
	v_add_f64 v[15:16], v[3:4], v[37:38]
	ds_read_b128 v[3:6], v34 offset:2160
	s_waitcnt lgkmcnt(0)
	s_barrier
	v_mul_f64 v[35:36], v[5:6], v[19:20]
	v_mul_f64 v[19:20], v[3:4], v[19:20]
	v_fma_f64 v[35:36], v[3:4], v[17:18], -v[35:36]
	v_fma_f64 v[19:20], v[5:6], v[17:18], v[19:20]
	v_add_f64 v[17:18], v[39:40], v[35:36]
	v_mul_f64 v[35:36], v[5:6], v[27:28]
	v_add_f64 v[19:20], v[19:20], v[41:42]
	v_fma_f64 v[35:36], v[3:4], v[25:26], -v[35:36]
	v_mul_f64 v[3:4], v[3:4], v[27:28]
	v_add_f64 v[27:28], v[43:44], v[35:36]
	v_fma_f64 v[3:4], v[5:6], v[25:26], v[3:4]
	v_add_f64 v[25:26], v[3:4], v[45:46]
	s_cbranch_vccnz .LBB1381_10
.LBB1381_3:                             ; =>This Inner Loop Header: Depth=1
	v_mov_b32_e32 v4, s3
	v_add_co_u32_e32 v3, vcc, s2, v29
	v_addc_co_u32_e32 v4, vcc, 0, v4, vcc
	v_cmp_gt_i64_e32 vcc, s[12:13], v[3:4]
	v_mov_b32_e32 v3, 0
	v_mov_b32_e32 v5, 0
	;; [unrolled: 1-line block ×4, first 2 shown]
	s_and_b64 s[18:19], s[0:1], vcc
	s_and_saveexec_b64 s[6:7], s[18:19]
	s_cbranch_execz .LBB1381_5
; %bb.4:                                ;   in Loop: Header=BB1381_3 Depth=1
	global_load_dwordx4 v[3:6], v[7:8], off offset:-8
	s_waitcnt vmcnt(0)
	v_xor_b32_e32 v6, 0x80000000, v6
.LBB1381_5:                             ;   in Loop: Header=BB1381_3 Depth=1
	s_or_b64 exec, exec, s[6:7]
	v_mov_b32_e32 v36, s3
	v_add_co_u32_e32 v35, vcc, s2, v30
	v_addc_co_u32_e32 v36, vcc, 0, v36, vcc
	v_cmp_le_i64_e32 vcc, s[12:13], v[35:36]
	ds_write_b128 v31, v[3:6]
	s_or_b64 s[6:7], vcc, s[4:5]
	s_and_saveexec_b64 s[18:19], s[6:7]
	s_xor_b64 s[6:7], exec, s[18:19]
; %bb.6:                                ;   in Loop: Header=BB1381_3 Depth=1
	v_mov_b32_e32 v3, v2
	v_mov_b32_e32 v4, v2
	;; [unrolled: 1-line block ×3, first 2 shown]
	ds_write_b128 v32, v[2:5]
; %bb.7:                                ;   in Loop: Header=BB1381_3 Depth=1
	s_andn2_saveexec_b64 s[6:7], s[6:7]
	s_cbranch_execz .LBB1381_2
; %bb.8:                                ;   in Loop: Header=BB1381_3 Depth=1
	global_load_dwordx4 v[3:6], v[9:10], off
	s_waitcnt vmcnt(0)
	ds_write2_b64 v32, v[3:4], v[5:6] offset1:1
	s_branch .LBB1381_2
.LBB1381_9:
	v_mov_b32_e32 v21, 0
	v_mov_b32_e32 v23, 0
	v_mov_b32_e32 v13, 0
	v_mov_b32_e32 v15, 0
	v_mov_b32_e32 v17, 0
	v_mov_b32_e32 v19, 0
	v_mov_b32_e32 v27, 0
	v_mov_b32_e32 v25, 0
	v_mov_b32_e32 v22, 0
	v_mov_b32_e32 v24, 0
	v_mov_b32_e32 v14, 0
	v_mov_b32_e32 v16, 0
	v_mov_b32_e32 v18, 0
	v_mov_b32_e32 v20, 0
	v_mov_b32_e32 v28, 0
	v_mov_b32_e32 v26, 0
.LBB1381_10:
	v_add_u32_e32 v4, s11, v1
	v_ashrrev_i32_e32 v1, 31, v4
	v_mul_lo_u32 v3, s28, v1
	v_mul_lo_u32 v5, s29, v4
	v_mad_u64_u32 v[1:2], s[2:3], s28, v4, 0
	s_mul_i32 s0, s31, s8
	s_mul_hi_u32 s1, s30, s8
	s_add_i32 s1, s1, s0
	s_mul_i32 s0, s30, s8
	s_lshl_b64 s[0:1], s[0:1], 4
	v_add3_u32 v2, v2, v3, v5
	s_add_u32 s4, s42, s0
	v_lshlrev_b64 v[1:2], 4, v[1:2]
	s_addc_u32 s5, s43, s1
	v_mov_b32_e32 v3, s5
	v_add_co_u32_e64 v5, s[0:1], s4, v1
	v_add_u32_e32 v0, s10, v0
	v_addc_co_u32_e64 v6, s[0:1], v3, v2, s[0:1]
	v_cmp_gt_i32_e32 vcc, s9, v4
	v_cmp_le_i32_e64 s[0:1], v0, v4
	s_and_b64 s[0:1], vcc, s[0:1]
	s_and_saveexec_b64 s[2:3], s[0:1]
	s_cbranch_execz .LBB1381_12
; %bb.11:
	v_ashrrev_i32_e32 v1, 31, v0
	v_lshlrev_b64 v[1:2], 4, v[0:1]
	v_mul_f64 v[11:12], s[14:15], v[23:24]
	v_add_co_u32_e64 v1, s[0:1], v5, v1
	v_addc_co_u32_e64 v2, s[0:1], v6, v2, s[0:1]
	global_load_dwordx4 v[7:10], v[1:2], off
	v_mul_f64 v[23:24], s[16:17], v[23:24]
	v_cmp_ne_u32_e64 s[0:1], v4, v0
	v_fma_f64 v[11:12], s[16:17], v[21:22], v[11:12]
	v_fma_f64 v[21:22], s[14:15], v[21:22], -v[23:24]
	s_waitcnt vmcnt(0)
	v_mul_f64 v[29:30], s[38:39], v[9:10]
	v_mul_f64 v[9:10], s[40:41], v[9:10]
	v_fma_f64 v[29:30], s[40:41], v[7:8], v[29:30]
	v_fma_f64 v[7:8], s[38:39], v[7:8], -v[9:10]
	v_add_f64 v[9:10], v[11:12], v[29:30]
	v_add_f64 v[7:8], v[21:22], v[7:8]
	v_cndmask_b32_e64 v10, 0, v10, s[0:1]
	v_cndmask_b32_e64 v9, 0, v9, s[0:1]
	global_store_dwordx4 v[1:2], v[7:10], off
.LBB1381_12:
	s_or_b64 exec, exec, s[2:3]
	v_add_u32_e32 v2, 16, v0
	v_cmp_le_i32_e64 s[0:1], v2, v4
	s_and_b64 s[2:3], vcc, s[0:1]
	s_and_saveexec_b64 s[0:1], s[2:3]
	s_cbranch_execz .LBB1381_14
; %bb.13:
	v_ashrrev_i32_e32 v3, 31, v2
	v_lshlrev_b64 v[7:8], 4, v[2:3]
	v_mul_f64 v[11:12], s[14:15], v[15:16]
	v_add_co_u32_e32 v9, vcc, v5, v7
	v_addc_co_u32_e32 v10, vcc, v6, v8, vcc
	global_load_dwordx4 v[5:8], v[9:10], off
	v_mul_f64 v[15:16], s[16:17], v[15:16]
	v_cmp_ne_u32_e32 vcc, v4, v2
	v_fma_f64 v[11:12], s[16:17], v[13:14], v[11:12]
	v_fma_f64 v[13:14], s[14:15], v[13:14], -v[15:16]
	s_waitcnt vmcnt(0)
	v_mul_f64 v[21:22], s[38:39], v[7:8]
	v_mul_f64 v[7:8], s[40:41], v[7:8]
	v_fma_f64 v[21:22], s[40:41], v[5:6], v[21:22]
	v_fma_f64 v[5:6], s[38:39], v[5:6], -v[7:8]
	v_add_f64 v[7:8], v[11:12], v[21:22]
	v_add_f64 v[5:6], v[13:14], v[5:6]
	v_cndmask_b32_e32 v8, 0, v8, vcc
	v_cndmask_b32_e32 v7, 0, v7, vcc
	global_store_dwordx4 v[9:10], v[5:8], off
.LBB1381_14:
	s_or_b64 exec, exec, s[0:1]
	v_add_u32_e32 v3, 16, v4
	v_ashrrev_i32_e32 v1, 31, v3
	v_mul_lo_u32 v1, s28, v1
	v_mul_lo_u32 v7, s29, v3
	v_mad_u64_u32 v[5:6], s[0:1], s28, v3, 0
	v_cmp_gt_i32_e32 vcc, s9, v3
	v_add3_u32 v6, v6, v1, v7
	v_lshlrev_b64 v[5:6], 4, v[5:6]
	v_mov_b32_e32 v1, s5
	v_add_co_u32_e64 v5, s[0:1], s4, v5
	v_addc_co_u32_e64 v6, s[0:1], v1, v6, s[0:1]
	v_cmp_le_i32_e64 s[0:1], v0, v3
	s_and_b64 s[0:1], vcc, s[0:1]
	s_and_saveexec_b64 s[2:3], s[0:1]
	s_cbranch_execz .LBB1381_16
; %bb.15:
	v_ashrrev_i32_e32 v1, 31, v0
	v_lshlrev_b64 v[7:8], 4, v[0:1]
	v_mul_f64 v[13:14], s[14:15], v[19:20]
	v_add_co_u32_e64 v11, s[0:1], v5, v7
	v_addc_co_u32_e64 v12, s[0:1], v6, v8, s[0:1]
	global_load_dwordx4 v[7:10], v[11:12], off
	v_mul_f64 v[19:20], s[16:17], v[19:20]
	v_cmp_ne_u32_e64 s[0:1], v3, v0
	v_fma_f64 v[13:14], s[16:17], v[17:18], v[13:14]
	v_fma_f64 v[17:18], s[14:15], v[17:18], -v[19:20]
	s_waitcnt vmcnt(0)
	v_mul_f64 v[15:16], s[38:39], v[9:10]
	v_mul_f64 v[9:10], s[40:41], v[9:10]
	v_fma_f64 v[15:16], s[40:41], v[7:8], v[15:16]
	v_fma_f64 v[7:8], s[38:39], v[7:8], -v[9:10]
	v_add_f64 v[9:10], v[13:14], v[15:16]
	v_add_f64 v[7:8], v[17:18], v[7:8]
	v_cndmask_b32_e64 v10, 0, v10, s[0:1]
	v_cndmask_b32_e64 v9, 0, v9, s[0:1]
	global_store_dwordx4 v[11:12], v[7:10], off
.LBB1381_16:
	s_or_b64 exec, exec, s[2:3]
	v_cmp_le_i32_e64 s[0:1], v2, v3
	s_and_b64 s[0:1], vcc, s[0:1]
	s_and_saveexec_b64 s[2:3], s[0:1]
	s_cbranch_execz .LBB1381_18
; %bb.17:
	v_ashrrev_i32_e32 v3, 31, v2
	v_lshlrev_b64 v[1:2], 4, v[2:3]
	v_mul_f64 v[13:14], s[16:17], v[25:26]
	v_add_co_u32_e32 v9, vcc, v5, v1
	v_addc_co_u32_e32 v10, vcc, v6, v2, vcc
	global_load_dwordx4 v[5:8], v[9:10], off
	v_mul_f64 v[1:2], s[14:15], v[25:26]
	v_cmp_ne_u32_e32 vcc, v4, v0
	v_fma_f64 v[13:14], s[14:15], v[27:28], -v[13:14]
	v_fma_f64 v[1:2], s[16:17], v[27:28], v[1:2]
	s_waitcnt vmcnt(0)
	v_mul_f64 v[11:12], s[38:39], v[7:8]
	v_mul_f64 v[7:8], s[40:41], v[7:8]
	v_fma_f64 v[11:12], s[40:41], v[5:6], v[11:12]
	v_fma_f64 v[5:6], s[38:39], v[5:6], -v[7:8]
	v_add_f64 v[7:8], v[1:2], v[11:12]
	v_add_f64 v[1:2], v[13:14], v[5:6]
	v_cndmask_b32_e32 v4, 0, v8, vcc
	v_cndmask_b32_e32 v3, 0, v7, vcc
	global_store_dwordx4 v[9:10], v[1:4], off
.LBB1381_18:
	s_endpgm
	.section	.rodata,"a",@progbits
	.p2align	6, 0x0
	.amdhsa_kernel _ZL34rocblas_syrkx_herkx_general_kernelIl19rocblas_complex_numIdELi16ELi32ELi8ELb0ELb1ELc67ELc85EKS1_S1_EviT_T0_PT8_S3_lS6_S3_lS4_PT9_S3_li
		.amdhsa_group_segment_fixed_size 8192
		.amdhsa_private_segment_fixed_size 0
		.amdhsa_kernarg_size 124
		.amdhsa_user_sgpr_count 6
		.amdhsa_user_sgpr_private_segment_buffer 1
		.amdhsa_user_sgpr_dispatch_ptr 0
		.amdhsa_user_sgpr_queue_ptr 0
		.amdhsa_user_sgpr_kernarg_segment_ptr 1
		.amdhsa_user_sgpr_dispatch_id 0
		.amdhsa_user_sgpr_flat_scratch_init 0
		.amdhsa_user_sgpr_private_segment_size 0
		.amdhsa_uses_dynamic_stack 0
		.amdhsa_system_sgpr_private_segment_wavefront_offset 0
		.amdhsa_system_sgpr_workgroup_id_x 1
		.amdhsa_system_sgpr_workgroup_id_y 1
		.amdhsa_system_sgpr_workgroup_id_z 1
		.amdhsa_system_sgpr_workgroup_info 0
		.amdhsa_system_vgpr_workitem_id 1
		.amdhsa_next_free_vgpr 59
		.amdhsa_next_free_sgpr 61
		.amdhsa_reserve_vcc 1
		.amdhsa_reserve_flat_scratch 0
		.amdhsa_float_round_mode_32 0
		.amdhsa_float_round_mode_16_64 0
		.amdhsa_float_denorm_mode_32 3
		.amdhsa_float_denorm_mode_16_64 3
		.amdhsa_dx10_clamp 1
		.amdhsa_ieee_mode 1
		.amdhsa_fp16_overflow 0
		.amdhsa_exception_fp_ieee_invalid_op 0
		.amdhsa_exception_fp_denorm_src 0
		.amdhsa_exception_fp_ieee_div_zero 0
		.amdhsa_exception_fp_ieee_overflow 0
		.amdhsa_exception_fp_ieee_underflow 0
		.amdhsa_exception_fp_ieee_inexact 0
		.amdhsa_exception_int_div_zero 0
	.end_amdhsa_kernel
	.section	.text._ZL34rocblas_syrkx_herkx_general_kernelIl19rocblas_complex_numIdELi16ELi32ELi8ELb0ELb1ELc67ELc85EKS1_S1_EviT_T0_PT8_S3_lS6_S3_lS4_PT9_S3_li,"axG",@progbits,_ZL34rocblas_syrkx_herkx_general_kernelIl19rocblas_complex_numIdELi16ELi32ELi8ELb0ELb1ELc67ELc85EKS1_S1_EviT_T0_PT8_S3_lS6_S3_lS4_PT9_S3_li,comdat
.Lfunc_end1381:
	.size	_ZL34rocblas_syrkx_herkx_general_kernelIl19rocblas_complex_numIdELi16ELi32ELi8ELb0ELb1ELc67ELc85EKS1_S1_EviT_T0_PT8_S3_lS6_S3_lS4_PT9_S3_li, .Lfunc_end1381-_ZL34rocblas_syrkx_herkx_general_kernelIl19rocblas_complex_numIdELi16ELi32ELi8ELb0ELb1ELc67ELc85EKS1_S1_EviT_T0_PT8_S3_lS6_S3_lS4_PT9_S3_li
                                        ; -- End function
	.set _ZL34rocblas_syrkx_herkx_general_kernelIl19rocblas_complex_numIdELi16ELi32ELi8ELb0ELb1ELc67ELc85EKS1_S1_EviT_T0_PT8_S3_lS6_S3_lS4_PT9_S3_li.num_vgpr, 59
	.set _ZL34rocblas_syrkx_herkx_general_kernelIl19rocblas_complex_numIdELi16ELi32ELi8ELb0ELb1ELc67ELc85EKS1_S1_EviT_T0_PT8_S3_lS6_S3_lS4_PT9_S3_li.num_agpr, 0
	.set _ZL34rocblas_syrkx_herkx_general_kernelIl19rocblas_complex_numIdELi16ELi32ELi8ELb0ELb1ELc67ELc85EKS1_S1_EviT_T0_PT8_S3_lS6_S3_lS4_PT9_S3_li.numbered_sgpr, 44
	.set _ZL34rocblas_syrkx_herkx_general_kernelIl19rocblas_complex_numIdELi16ELi32ELi8ELb0ELb1ELc67ELc85EKS1_S1_EviT_T0_PT8_S3_lS6_S3_lS4_PT9_S3_li.num_named_barrier, 0
	.set _ZL34rocblas_syrkx_herkx_general_kernelIl19rocblas_complex_numIdELi16ELi32ELi8ELb0ELb1ELc67ELc85EKS1_S1_EviT_T0_PT8_S3_lS6_S3_lS4_PT9_S3_li.private_seg_size, 0
	.set _ZL34rocblas_syrkx_herkx_general_kernelIl19rocblas_complex_numIdELi16ELi32ELi8ELb0ELb1ELc67ELc85EKS1_S1_EviT_T0_PT8_S3_lS6_S3_lS4_PT9_S3_li.uses_vcc, 1
	.set _ZL34rocblas_syrkx_herkx_general_kernelIl19rocblas_complex_numIdELi16ELi32ELi8ELb0ELb1ELc67ELc85EKS1_S1_EviT_T0_PT8_S3_lS6_S3_lS4_PT9_S3_li.uses_flat_scratch, 0
	.set _ZL34rocblas_syrkx_herkx_general_kernelIl19rocblas_complex_numIdELi16ELi32ELi8ELb0ELb1ELc67ELc85EKS1_S1_EviT_T0_PT8_S3_lS6_S3_lS4_PT9_S3_li.has_dyn_sized_stack, 0
	.set _ZL34rocblas_syrkx_herkx_general_kernelIl19rocblas_complex_numIdELi16ELi32ELi8ELb0ELb1ELc67ELc85EKS1_S1_EviT_T0_PT8_S3_lS6_S3_lS4_PT9_S3_li.has_recursion, 0
	.set _ZL34rocblas_syrkx_herkx_general_kernelIl19rocblas_complex_numIdELi16ELi32ELi8ELb0ELb1ELc67ELc85EKS1_S1_EviT_T0_PT8_S3_lS6_S3_lS4_PT9_S3_li.has_indirect_call, 0
	.section	.AMDGPU.csdata,"",@progbits
; Kernel info:
; codeLenInByte = 3520
; TotalNumSgprs: 48
; NumVgprs: 59
; ScratchSize: 0
; MemoryBound: 1
; FloatMode: 240
; IeeeMode: 1
; LDSByteSize: 8192 bytes/workgroup (compile time only)
; SGPRBlocks: 8
; VGPRBlocks: 14
; NumSGPRsForWavesPerEU: 65
; NumVGPRsForWavesPerEU: 59
; Occupancy: 4
; WaveLimiterHint : 0
; COMPUTE_PGM_RSRC2:SCRATCH_EN: 0
; COMPUTE_PGM_RSRC2:USER_SGPR: 6
; COMPUTE_PGM_RSRC2:TRAP_HANDLER: 0
; COMPUTE_PGM_RSRC2:TGID_X_EN: 1
; COMPUTE_PGM_RSRC2:TGID_Y_EN: 1
; COMPUTE_PGM_RSRC2:TGID_Z_EN: 1
; COMPUTE_PGM_RSRC2:TIDIG_COMP_CNT: 1
	.section	.text._ZL34rocblas_syrkx_herkx_general_kernelIl19rocblas_complex_numIdELi16ELi32ELi8ELb0ELb1ELc78ELc85EKS1_S1_EviT_T0_PT8_S3_lS6_S3_lS4_PT9_S3_li,"axG",@progbits,_ZL34rocblas_syrkx_herkx_general_kernelIl19rocblas_complex_numIdELi16ELi32ELi8ELb0ELb1ELc78ELc85EKS1_S1_EviT_T0_PT8_S3_lS6_S3_lS4_PT9_S3_li,comdat
	.globl	_ZL34rocblas_syrkx_herkx_general_kernelIl19rocblas_complex_numIdELi16ELi32ELi8ELb0ELb1ELc78ELc85EKS1_S1_EviT_T0_PT8_S3_lS6_S3_lS4_PT9_S3_li ; -- Begin function _ZL34rocblas_syrkx_herkx_general_kernelIl19rocblas_complex_numIdELi16ELi32ELi8ELb0ELb1ELc78ELc85EKS1_S1_EviT_T0_PT8_S3_lS6_S3_lS4_PT9_S3_li
	.p2align	8
	.type	_ZL34rocblas_syrkx_herkx_general_kernelIl19rocblas_complex_numIdELi16ELi32ELi8ELb0ELb1ELc78ELc85EKS1_S1_EviT_T0_PT8_S3_lS6_S3_lS4_PT9_S3_li,@function
_ZL34rocblas_syrkx_herkx_general_kernelIl19rocblas_complex_numIdELi16ELi32ELi8ELb0ELb1ELc78ELc85EKS1_S1_EviT_T0_PT8_S3_lS6_S3_lS4_PT9_S3_li: ; @_ZL34rocblas_syrkx_herkx_general_kernelIl19rocblas_complex_numIdELi16ELi32ELi8ELb0ELb1ELc78ELc85EKS1_S1_EviT_T0_PT8_S3_lS6_S3_lS4_PT9_S3_li
; %bb.0:
	s_load_dwordx16 s[12:27], s[4:5], 0x8
	s_load_dword s9, s[4:5], 0x0
	s_load_dwordx4 s[28:31], s[4:5], 0x68
	s_load_dwordx8 s[36:43], s[4:5], 0x48
	s_lshl_b32 s33, s6, 5
	s_waitcnt lgkmcnt(0)
	v_cmp_lt_i64_e64 s[0:1], s[12:13], 1
	s_lshl_b32 s34, s7, 5
	s_and_b64 vcc, exec, s[0:1]
	s_cbranch_vccnz .LBB1382_9
; %bb.1:
	v_lshl_add_u32 v3, v1, 4, v0
	v_and_b32_e32 v7, 31, v3
	v_or_b32_e32 v4, s33, v7
	v_lshrrev_b32_e32 v29, 5, v3
	v_cmp_gt_i32_e32 vcc, s9, v4
	v_mad_u64_u32 v[4:5], s[2:3], s20, v29, 0
	v_lshrrev_b32_e32 v6, 3, v3
	v_and_b32_e32 v30, 7, v0
	v_lshlrev_b32_e32 v3, 4, v7
	v_lshl_or_b32 v31, v29, 9, v3
	v_lshlrev_b32_e32 v3, 4, v30
	v_add_u32_e32 v2, s34, v6
	v_lshl_or_b32 v3, v6, 7, v3
	v_mad_u64_u32 v[5:6], s[2:3], s21, v29, v[5:6]
	s_mul_i32 s2, s23, s8
	s_mul_hi_u32 s3, s22, s8
	v_lshlrev_b64 v[4:5], 4, v[4:5]
	s_add_i32 s3, s3, s2
	s_mul_i32 s2, s22, s8
	v_mov_b32_e32 v6, 0x1000
	s_lshl_b64 s[2:3], s[2:3], 4
	v_lshl_add_u32 v34, v1, 7, v6
	v_mov_b32_e32 v6, s3
	v_add_co_u32_e64 v8, s[2:3], s2, v4
	v_add_u32_e32 v4, s33, v7
	v_addc_co_u32_e64 v6, s[2:3], v5, v6, s[2:3]
	v_ashrrev_i32_e32 v5, 31, v4
	v_lshlrev_b64 v[4:5], 4, v[4:5]
	s_mul_i32 s6, s37, s8
	v_add_co_u32_e64 v4, s[2:3], v8, v4
	v_addc_co_u32_e64 v5, s[2:3], v6, v5, s[2:3]
	v_mov_b32_e32 v6, s19
	v_add_co_u32_e64 v7, s[2:3], s18, v4
	v_addc_co_u32_e64 v8, s[2:3], v6, v5, s[2:3]
	v_mad_u64_u32 v[4:5], s[2:3], s26, v30, 0
	s_mul_hi_u32 s7, s36, s8
	v_add_u32_e32 v32, 0x1000, v3
	v_mad_u64_u32 v[5:6], s[2:3], s27, v30, v[5:6]
	s_add_i32 s3, s7, s6
	s_mul_i32 s2, s36, s8
	v_lshlrev_b64 v[4:5], 4, v[4:5]
	v_ashrrev_i32_e32 v3, 31, v2
	s_lshl_b64 s[2:3], s[2:3], 4
	v_cmp_gt_i32_e64 s[0:1], s9, v2
	v_mov_b32_e32 v6, s3
	v_add_co_u32_e64 v4, s[2:3], s2, v4
	v_lshlrev_b64 v[2:3], 4, v[2:3]
	v_addc_co_u32_e64 v5, s[2:3], v6, v5, s[2:3]
	v_add_co_u32_e64 v2, s[2:3], v4, v2
	v_addc_co_u32_e64 v3, s[2:3], v5, v3, s[2:3]
	v_mov_b32_e32 v4, s25
	v_add_co_u32_e64 v2, s[2:3], s24, v2
	v_addc_co_u32_e64 v3, s[2:3], v4, v3, s[2:3]
	v_add_co_u32_e64 v9, s[2:3], 8, v2
	v_addc_co_u32_e64 v10, s[2:3], 0, v3, s[2:3]
	s_lshl_b64 s[4:5], s[20:21], 7
	s_lshl_b64 s[2:3], s[26:27], 7
	v_mov_b32_e32 v25, 0
	v_mov_b32_e32 v11, s12
	;; [unrolled: 1-line block ×9, first 2 shown]
	v_lshlrev_b32_e32 v33, 4, v0
	s_mov_b64 s[6:7], 0
	v_mov_b32_e32 v26, 0
	s_xor_b64 s[10:11], vcc, -1
	v_mov_b32_e32 v35, s5
	v_mov_b32_e32 v36, s3
	;; [unrolled: 1-line block ×11, first 2 shown]
	s_branch .LBB1382_3
.LBB1382_2:                             ;   in Loop: Header=BB1382_3 Depth=1
	s_or_b64 exec, exec, s[18:19]
	ds_write_b128 v32, v[3:6]
	s_waitcnt lgkmcnt(0)
	s_barrier
	ds_read_b128 v[3:6], v34
	ds_read_b128 v[37:40], v34 offset:16
	ds_read_b128 v[41:44], v34 offset:32
	;; [unrolled: 1-line block ×3, first 2 shown]
	ds_read_b128 v[49:52], v33
	v_add_co_u32_e32 v7, vcc, s4, v7
	v_addc_co_u32_e32 v8, vcc, v8, v35, vcc
	s_waitcnt lgkmcnt(0)
	v_mul_f64 v[53:54], v[5:6], v[51:52]
	v_mul_f64 v[55:56], v[3:4], v[51:52]
	s_add_u32 s6, s6, 8
	v_add_co_u32_e32 v9, vcc, s2, v9
	s_addc_u32 s7, s7, 0
	v_addc_co_u32_e32 v10, vcc, v10, v36, vcc
	v_fma_f64 v[53:54], v[3:4], v[49:50], -v[53:54]
	v_fma_f64 v[55:56], v[5:6], v[49:50], v[55:56]
	v_cmp_ge_i64_e32 vcc, s[6:7], v[11:12]
	s_and_b64 vcc, exec, vcc
	v_add_f64 v[53:54], v[21:22], v[53:54]
	v_add_f64 v[55:56], v[55:56], v[23:24]
	ds_read_b128 v[21:24], v33 offset:256
	s_waitcnt lgkmcnt(0)
	v_mul_f64 v[57:58], v[5:6], v[23:24]
	v_fma_f64 v[57:58], v[3:4], v[21:22], -v[57:58]
	v_mul_f64 v[3:4], v[3:4], v[23:24]
	v_add_f64 v[57:58], v[13:14], v[57:58]
	v_fma_f64 v[3:4], v[5:6], v[21:22], v[3:4]
	v_add_f64 v[59:60], v[3:4], v[15:16]
	ds_read_b128 v[3:6], v34 offset:2048
	s_waitcnt lgkmcnt(0)
	v_mul_f64 v[13:14], v[5:6], v[51:52]
	v_mul_f64 v[15:16], v[3:4], v[51:52]
	v_fma_f64 v[13:14], v[3:4], v[49:50], -v[13:14]
	v_fma_f64 v[15:16], v[5:6], v[49:50], v[15:16]
	v_add_f64 v[49:50], v[17:18], v[13:14]
	v_mul_f64 v[13:14], v[5:6], v[23:24]
	v_add_f64 v[51:52], v[15:16], v[19:20]
	v_fma_f64 v[13:14], v[3:4], v[21:22], -v[13:14]
	v_mul_f64 v[3:4], v[3:4], v[23:24]
	v_fma_f64 v[3:4], v[5:6], v[21:22], v[3:4]
	v_add_f64 v[21:22], v[27:28], v[13:14]
	v_add_f64 v[23:24], v[3:4], v[25:26]
	ds_read_b128 v[3:6], v33 offset:512
	s_waitcnt lgkmcnt(0)
	v_mul_f64 v[13:14], v[39:40], v[5:6]
	v_mul_f64 v[15:16], v[37:38], v[5:6]
	v_fma_f64 v[13:14], v[37:38], v[3:4], -v[13:14]
	v_fma_f64 v[15:16], v[39:40], v[3:4], v[15:16]
	v_add_f64 v[25:26], v[53:54], v[13:14]
	v_add_f64 v[27:28], v[15:16], v[55:56]
	ds_read_b128 v[13:16], v33 offset:768
	s_waitcnt lgkmcnt(0)
	v_mul_f64 v[17:18], v[39:40], v[15:16]
	v_mul_f64 v[19:20], v[37:38], v[15:16]
	v_fma_f64 v[17:18], v[37:38], v[13:14], -v[17:18]
	;; [unrolled: 8-line block ×3, first 2 shown]
	v_fma_f64 v[3:4], v[19:20], v[3:4], v[5:6]
	v_mul_f64 v[5:6], v[17:18], v[15:16]
	v_add_f64 v[49:50], v[49:50], v[53:54]
	v_add_f64 v[51:52], v[3:4], v[51:52]
	v_mul_f64 v[3:4], v[19:20], v[15:16]
	v_fma_f64 v[5:6], v[19:20], v[13:14], v[5:6]
	v_fma_f64 v[3:4], v[17:18], v[13:14], -v[3:4]
	v_add_f64 v[23:24], v[5:6], v[23:24]
	v_add_f64 v[21:22], v[21:22], v[3:4]
	ds_read_b128 v[3:6], v33 offset:1024
	s_waitcnt lgkmcnt(0)
	v_mul_f64 v[13:14], v[43:44], v[5:6]
	v_mul_f64 v[15:16], v[41:42], v[5:6]
	v_fma_f64 v[13:14], v[41:42], v[3:4], -v[13:14]
	v_fma_f64 v[15:16], v[43:44], v[3:4], v[15:16]
	v_add_f64 v[25:26], v[25:26], v[13:14]
	v_add_f64 v[27:28], v[15:16], v[27:28]
	ds_read_b128 v[13:16], v33 offset:1280
	s_waitcnt lgkmcnt(0)
	v_mul_f64 v[17:18], v[43:44], v[15:16]
	v_mul_f64 v[19:20], v[41:42], v[15:16]
	v_fma_f64 v[17:18], v[41:42], v[13:14], -v[17:18]
	v_fma_f64 v[19:20], v[43:44], v[13:14], v[19:20]
	;; [unrolled: 8-line block ×3, first 2 shown]
	v_mul_f64 v[5:6], v[17:18], v[15:16]
	v_add_f64 v[41:42], v[49:50], v[41:42]
	v_add_f64 v[43:44], v[3:4], v[51:52]
	v_mul_f64 v[3:4], v[19:20], v[15:16]
	v_fma_f64 v[5:6], v[19:20], v[13:14], v[5:6]
	v_fma_f64 v[3:4], v[17:18], v[13:14], -v[3:4]
	v_add_f64 v[23:24], v[5:6], v[23:24]
	v_add_f64 v[21:22], v[21:22], v[3:4]
	ds_read_b128 v[3:6], v33 offset:1536
	s_waitcnt lgkmcnt(0)
	v_mul_f64 v[13:14], v[47:48], v[5:6]
	v_mul_f64 v[15:16], v[45:46], v[5:6]
	v_fma_f64 v[13:14], v[45:46], v[3:4], -v[13:14]
	v_fma_f64 v[15:16], v[47:48], v[3:4], v[15:16]
	v_add_f64 v[25:26], v[25:26], v[13:14]
	v_add_f64 v[27:28], v[15:16], v[27:28]
	ds_read_b128 v[13:16], v33 offset:1792
	s_waitcnt lgkmcnt(0)
	v_mul_f64 v[17:18], v[47:48], v[15:16]
	v_mul_f64 v[19:20], v[45:46], v[15:16]
	v_fma_f64 v[17:18], v[45:46], v[13:14], -v[17:18]
	v_fma_f64 v[19:20], v[47:48], v[13:14], v[19:20]
	v_add_f64 v[37:38], v[37:38], v[17:18]
	v_add_f64 v[39:40], v[19:20], v[39:40]
	ds_read_b128 v[17:20], v34 offset:2096
	s_waitcnt lgkmcnt(0)
	v_mul_f64 v[45:46], v[19:20], v[5:6]
	v_mul_f64 v[5:6], v[17:18], v[5:6]
	v_fma_f64 v[45:46], v[17:18], v[3:4], -v[45:46]
	v_fma_f64 v[3:4], v[19:20], v[3:4], v[5:6]
	v_mul_f64 v[5:6], v[17:18], v[15:16]
	v_add_f64 v[41:42], v[41:42], v[45:46]
	v_add_f64 v[43:44], v[3:4], v[43:44]
	v_mul_f64 v[3:4], v[19:20], v[15:16]
	v_fma_f64 v[5:6], v[19:20], v[13:14], v[5:6]
	v_fma_f64 v[3:4], v[17:18], v[13:14], -v[3:4]
	v_add_f64 v[23:24], v[5:6], v[23:24]
	v_add_f64 v[21:22], v[21:22], v[3:4]
	ds_read_b128 v[3:6], v34 offset:64
	ds_read_b128 v[13:16], v33 offset:2048
	s_waitcnt lgkmcnt(0)
	v_mul_f64 v[17:18], v[5:6], v[15:16]
	v_mul_f64 v[19:20], v[3:4], v[15:16]
	v_fma_f64 v[17:18], v[3:4], v[13:14], -v[17:18]
	v_fma_f64 v[19:20], v[5:6], v[13:14], v[19:20]
	v_add_f64 v[25:26], v[25:26], v[17:18]
	v_add_f64 v[27:28], v[19:20], v[27:28]
	ds_read_b128 v[17:20], v33 offset:2304
	s_waitcnt lgkmcnt(0)
	v_mul_f64 v[45:46], v[5:6], v[19:20]
	v_fma_f64 v[45:46], v[3:4], v[17:18], -v[45:46]
	v_mul_f64 v[3:4], v[3:4], v[19:20]
	v_add_f64 v[37:38], v[37:38], v[45:46]
	v_fma_f64 v[3:4], v[5:6], v[17:18], v[3:4]
	v_add_f64 v[39:40], v[3:4], v[39:40]
	ds_read_b128 v[3:6], v34 offset:2112
	s_waitcnt lgkmcnt(0)
	v_mul_f64 v[45:46], v[5:6], v[15:16]
	v_mul_f64 v[15:16], v[3:4], v[15:16]
	v_fma_f64 v[45:46], v[3:4], v[13:14], -v[45:46]
	v_fma_f64 v[13:14], v[5:6], v[13:14], v[15:16]
	v_add_f64 v[41:42], v[41:42], v[45:46]
	v_add_f64 v[43:44], v[13:14], v[43:44]
	v_mul_f64 v[13:14], v[5:6], v[19:20]
	v_fma_f64 v[13:14], v[3:4], v[17:18], -v[13:14]
	v_mul_f64 v[3:4], v[3:4], v[19:20]
	v_add_f64 v[21:22], v[21:22], v[13:14]
	v_fma_f64 v[3:4], v[5:6], v[17:18], v[3:4]
	v_add_f64 v[23:24], v[3:4], v[23:24]
	ds_read_b128 v[3:6], v34 offset:80
	ds_read_b128 v[13:16], v33 offset:2560
	s_waitcnt lgkmcnt(0)
	v_mul_f64 v[17:18], v[5:6], v[15:16]
	v_mul_f64 v[19:20], v[3:4], v[15:16]
	v_fma_f64 v[17:18], v[3:4], v[13:14], -v[17:18]
	v_fma_f64 v[19:20], v[5:6], v[13:14], v[19:20]
	v_add_f64 v[25:26], v[25:26], v[17:18]
	v_add_f64 v[27:28], v[19:20], v[27:28]
	ds_read_b128 v[17:20], v33 offset:2816
	s_waitcnt lgkmcnt(0)
	v_mul_f64 v[45:46], v[5:6], v[19:20]
	v_fma_f64 v[45:46], v[3:4], v[17:18], -v[45:46]
	v_mul_f64 v[3:4], v[3:4], v[19:20]
	v_add_f64 v[37:38], v[37:38], v[45:46]
	v_fma_f64 v[3:4], v[5:6], v[17:18], v[3:4]
	v_add_f64 v[39:40], v[3:4], v[39:40]
	ds_read_b128 v[3:6], v34 offset:2128
	s_waitcnt lgkmcnt(0)
	v_mul_f64 v[45:46], v[5:6], v[15:16]
	v_mul_f64 v[15:16], v[3:4], v[15:16]
	v_fma_f64 v[45:46], v[3:4], v[13:14], -v[45:46]
	v_fma_f64 v[13:14], v[5:6], v[13:14], v[15:16]
	v_add_f64 v[41:42], v[41:42], v[45:46]
	v_add_f64 v[43:44], v[13:14], v[43:44]
	v_mul_f64 v[13:14], v[5:6], v[19:20]
	v_fma_f64 v[13:14], v[3:4], v[17:18], -v[13:14]
	v_mul_f64 v[3:4], v[3:4], v[19:20]
	v_add_f64 v[21:22], v[21:22], v[13:14]
	v_fma_f64 v[3:4], v[5:6], v[17:18], v[3:4]
	;; [unrolled: 31-line block ×3, first 2 shown]
	v_add_f64 v[47:48], v[3:4], v[23:24]
	ds_read_b128 v[3:6], v34 offset:112
	ds_read_b128 v[17:20], v33 offset:3584
	s_waitcnt lgkmcnt(0)
	v_mul_f64 v[13:14], v[5:6], v[19:20]
	v_mul_f64 v[15:16], v[3:4], v[19:20]
	v_fma_f64 v[13:14], v[3:4], v[17:18], -v[13:14]
	v_fma_f64 v[15:16], v[5:6], v[17:18], v[15:16]
	v_add_f64 v[21:22], v[25:26], v[13:14]
	v_add_f64 v[23:24], v[15:16], v[27:28]
	ds_read_b128 v[25:28], v33 offset:3840
	s_waitcnt lgkmcnt(0)
	v_mul_f64 v[13:14], v[5:6], v[27:28]
	v_fma_f64 v[13:14], v[3:4], v[25:26], -v[13:14]
	v_mul_f64 v[3:4], v[3:4], v[27:28]
	v_add_f64 v[13:14], v[37:38], v[13:14]
	v_fma_f64 v[3:4], v[5:6], v[25:26], v[3:4]
	v_add_f64 v[15:16], v[3:4], v[39:40]
	ds_read_b128 v[3:6], v34 offset:2160
	s_waitcnt lgkmcnt(0)
	s_barrier
	v_mul_f64 v[37:38], v[5:6], v[19:20]
	v_mul_f64 v[19:20], v[3:4], v[19:20]
	v_fma_f64 v[37:38], v[3:4], v[17:18], -v[37:38]
	v_fma_f64 v[19:20], v[5:6], v[17:18], v[19:20]
	v_add_f64 v[17:18], v[41:42], v[37:38]
	v_mul_f64 v[37:38], v[5:6], v[27:28]
	v_add_f64 v[19:20], v[19:20], v[43:44]
	v_fma_f64 v[37:38], v[3:4], v[25:26], -v[37:38]
	v_mul_f64 v[3:4], v[3:4], v[27:28]
	v_add_f64 v[27:28], v[45:46], v[37:38]
	v_fma_f64 v[3:4], v[5:6], v[25:26], v[3:4]
	v_add_f64 v[25:26], v[3:4], v[47:48]
	s_cbranch_vccnz .LBB1382_10
.LBB1382_3:                             ; =>This Inner Loop Header: Depth=1
	v_mov_b32_e32 v4, s7
	v_add_co_u32_e32 v3, vcc, s6, v29
	v_addc_co_u32_e32 v4, vcc, 0, v4, vcc
	v_cmp_le_i64_e32 vcc, s[12:13], v[3:4]
	s_or_b64 s[18:19], s[10:11], vcc
	s_and_saveexec_b64 s[20:21], s[18:19]
	s_xor_b64 s[18:19], exec, s[20:21]
; %bb.4:                                ;   in Loop: Header=BB1382_3 Depth=1
	v_mov_b32_e32 v3, v2
	v_mov_b32_e32 v4, v2
	;; [unrolled: 1-line block ×3, first 2 shown]
	ds_write_b128 v31, v[2:5]
; %bb.5:                                ;   in Loop: Header=BB1382_3 Depth=1
	s_andn2_saveexec_b64 s[18:19], s[18:19]
	s_cbranch_execz .LBB1382_7
; %bb.6:                                ;   in Loop: Header=BB1382_3 Depth=1
	global_load_dwordx4 v[3:6], v[7:8], off
	s_waitcnt vmcnt(0)
	ds_write2_b64 v31, v[3:4], v[5:6] offset1:1
.LBB1382_7:                             ;   in Loop: Header=BB1382_3 Depth=1
	s_or_b64 exec, exec, s[18:19]
	v_mov_b32_e32 v4, s7
	v_add_co_u32_e32 v3, vcc, s6, v30
	v_addc_co_u32_e32 v4, vcc, 0, v4, vcc
	v_cmp_gt_i64_e32 vcc, s[12:13], v[3:4]
	v_mov_b32_e32 v3, 0
	v_mov_b32_e32 v5, 0
	;; [unrolled: 1-line block ×4, first 2 shown]
	s_and_b64 s[20:21], vcc, s[0:1]
	s_and_saveexec_b64 s[18:19], s[20:21]
	s_cbranch_execz .LBB1382_2
; %bb.8:                                ;   in Loop: Header=BB1382_3 Depth=1
	global_load_dwordx4 v[3:6], v[9:10], off offset:-8
	s_waitcnt vmcnt(0)
	v_xor_b32_e32 v6, 0x80000000, v6
	s_branch .LBB1382_2
.LBB1382_9:
	v_mov_b32_e32 v21, 0
	v_mov_b32_e32 v23, 0
	;; [unrolled: 1-line block ×16, first 2 shown]
.LBB1382_10:
	v_add_u32_e32 v4, s34, v1
	v_ashrrev_i32_e32 v1, 31, v4
	v_mul_lo_u32 v3, s28, v1
	v_mul_lo_u32 v5, s29, v4
	v_mad_u64_u32 v[1:2], s[2:3], s28, v4, 0
	s_mul_i32 s0, s31, s8
	s_mul_hi_u32 s1, s30, s8
	s_add_i32 s1, s1, s0
	s_mul_i32 s0, s30, s8
	s_lshl_b64 s[0:1], s[0:1], 4
	v_add3_u32 v2, v2, v3, v5
	s_add_u32 s4, s42, s0
	v_lshlrev_b64 v[1:2], 4, v[1:2]
	s_addc_u32 s5, s43, s1
	v_mov_b32_e32 v3, s5
	v_add_co_u32_e64 v5, s[0:1], s4, v1
	v_add_u32_e32 v0, s33, v0
	v_addc_co_u32_e64 v6, s[0:1], v3, v2, s[0:1]
	v_cmp_gt_i32_e32 vcc, s9, v4
	v_cmp_le_i32_e64 s[0:1], v0, v4
	s_and_b64 s[0:1], vcc, s[0:1]
	s_and_saveexec_b64 s[2:3], s[0:1]
	s_cbranch_execz .LBB1382_12
; %bb.11:
	v_ashrrev_i32_e32 v1, 31, v0
	v_lshlrev_b64 v[1:2], 4, v[0:1]
	v_mul_f64 v[11:12], s[14:15], v[23:24]
	v_add_co_u32_e64 v1, s[0:1], v5, v1
	v_addc_co_u32_e64 v2, s[0:1], v6, v2, s[0:1]
	global_load_dwordx4 v[7:10], v[1:2], off
	v_mul_f64 v[23:24], s[16:17], v[23:24]
	v_cmp_ne_u32_e64 s[0:1], v4, v0
	v_fma_f64 v[11:12], s[16:17], v[21:22], v[11:12]
	v_fma_f64 v[21:22], s[14:15], v[21:22], -v[23:24]
	s_waitcnt vmcnt(0)
	v_mul_f64 v[29:30], s[38:39], v[9:10]
	v_mul_f64 v[9:10], s[40:41], v[9:10]
	v_fma_f64 v[29:30], s[40:41], v[7:8], v[29:30]
	v_fma_f64 v[7:8], s[38:39], v[7:8], -v[9:10]
	v_add_f64 v[9:10], v[11:12], v[29:30]
	v_add_f64 v[7:8], v[21:22], v[7:8]
	v_cndmask_b32_e64 v10, 0, v10, s[0:1]
	v_cndmask_b32_e64 v9, 0, v9, s[0:1]
	global_store_dwordx4 v[1:2], v[7:10], off
.LBB1382_12:
	s_or_b64 exec, exec, s[2:3]
	v_add_u32_e32 v2, 16, v0
	v_cmp_le_i32_e64 s[0:1], v2, v4
	s_and_b64 s[2:3], vcc, s[0:1]
	s_and_saveexec_b64 s[0:1], s[2:3]
	s_cbranch_execz .LBB1382_14
; %bb.13:
	v_ashrrev_i32_e32 v3, 31, v2
	v_lshlrev_b64 v[7:8], 4, v[2:3]
	v_mul_f64 v[11:12], s[14:15], v[15:16]
	v_add_co_u32_e32 v9, vcc, v5, v7
	v_addc_co_u32_e32 v10, vcc, v6, v8, vcc
	global_load_dwordx4 v[5:8], v[9:10], off
	v_mul_f64 v[15:16], s[16:17], v[15:16]
	v_cmp_ne_u32_e32 vcc, v4, v2
	v_fma_f64 v[11:12], s[16:17], v[13:14], v[11:12]
	v_fma_f64 v[13:14], s[14:15], v[13:14], -v[15:16]
	s_waitcnt vmcnt(0)
	v_mul_f64 v[21:22], s[38:39], v[7:8]
	v_mul_f64 v[7:8], s[40:41], v[7:8]
	v_fma_f64 v[21:22], s[40:41], v[5:6], v[21:22]
	v_fma_f64 v[5:6], s[38:39], v[5:6], -v[7:8]
	v_add_f64 v[7:8], v[11:12], v[21:22]
	v_add_f64 v[5:6], v[13:14], v[5:6]
	v_cndmask_b32_e32 v8, 0, v8, vcc
	v_cndmask_b32_e32 v7, 0, v7, vcc
	global_store_dwordx4 v[9:10], v[5:8], off
.LBB1382_14:
	s_or_b64 exec, exec, s[0:1]
	v_add_u32_e32 v3, 16, v4
	v_ashrrev_i32_e32 v1, 31, v3
	v_mul_lo_u32 v1, s28, v1
	v_mul_lo_u32 v7, s29, v3
	v_mad_u64_u32 v[5:6], s[0:1], s28, v3, 0
	v_cmp_gt_i32_e32 vcc, s9, v3
	v_add3_u32 v6, v6, v1, v7
	v_lshlrev_b64 v[5:6], 4, v[5:6]
	v_mov_b32_e32 v1, s5
	v_add_co_u32_e64 v5, s[0:1], s4, v5
	v_addc_co_u32_e64 v6, s[0:1], v1, v6, s[0:1]
	v_cmp_le_i32_e64 s[0:1], v0, v3
	s_and_b64 s[0:1], vcc, s[0:1]
	s_and_saveexec_b64 s[2:3], s[0:1]
	s_cbranch_execz .LBB1382_16
; %bb.15:
	v_ashrrev_i32_e32 v1, 31, v0
	v_lshlrev_b64 v[7:8], 4, v[0:1]
	v_mul_f64 v[13:14], s[14:15], v[19:20]
	v_add_co_u32_e64 v11, s[0:1], v5, v7
	v_addc_co_u32_e64 v12, s[0:1], v6, v8, s[0:1]
	global_load_dwordx4 v[7:10], v[11:12], off
	v_mul_f64 v[19:20], s[16:17], v[19:20]
	v_cmp_ne_u32_e64 s[0:1], v3, v0
	v_fma_f64 v[13:14], s[16:17], v[17:18], v[13:14]
	v_fma_f64 v[17:18], s[14:15], v[17:18], -v[19:20]
	s_waitcnt vmcnt(0)
	v_mul_f64 v[15:16], s[38:39], v[9:10]
	v_mul_f64 v[9:10], s[40:41], v[9:10]
	v_fma_f64 v[15:16], s[40:41], v[7:8], v[15:16]
	v_fma_f64 v[7:8], s[38:39], v[7:8], -v[9:10]
	v_add_f64 v[9:10], v[13:14], v[15:16]
	v_add_f64 v[7:8], v[17:18], v[7:8]
	v_cndmask_b32_e64 v10, 0, v10, s[0:1]
	v_cndmask_b32_e64 v9, 0, v9, s[0:1]
	global_store_dwordx4 v[11:12], v[7:10], off
.LBB1382_16:
	s_or_b64 exec, exec, s[2:3]
	v_cmp_le_i32_e64 s[0:1], v2, v3
	s_and_b64 s[0:1], vcc, s[0:1]
	s_and_saveexec_b64 s[2:3], s[0:1]
	s_cbranch_execz .LBB1382_18
; %bb.17:
	v_ashrrev_i32_e32 v3, 31, v2
	v_lshlrev_b64 v[1:2], 4, v[2:3]
	v_mul_f64 v[13:14], s[16:17], v[25:26]
	v_add_co_u32_e32 v9, vcc, v5, v1
	v_addc_co_u32_e32 v10, vcc, v6, v2, vcc
	global_load_dwordx4 v[5:8], v[9:10], off
	v_mul_f64 v[1:2], s[14:15], v[25:26]
	v_cmp_ne_u32_e32 vcc, v4, v0
	v_fma_f64 v[13:14], s[14:15], v[27:28], -v[13:14]
	v_fma_f64 v[1:2], s[16:17], v[27:28], v[1:2]
	s_waitcnt vmcnt(0)
	v_mul_f64 v[11:12], s[38:39], v[7:8]
	v_mul_f64 v[7:8], s[40:41], v[7:8]
	v_fma_f64 v[11:12], s[40:41], v[5:6], v[11:12]
	v_fma_f64 v[5:6], s[38:39], v[5:6], -v[7:8]
	v_add_f64 v[7:8], v[1:2], v[11:12]
	v_add_f64 v[1:2], v[13:14], v[5:6]
	v_cndmask_b32_e32 v4, 0, v8, vcc
	v_cndmask_b32_e32 v3, 0, v7, vcc
	global_store_dwordx4 v[9:10], v[1:4], off
.LBB1382_18:
	s_endpgm
	.section	.rodata,"a",@progbits
	.p2align	6, 0x0
	.amdhsa_kernel _ZL34rocblas_syrkx_herkx_general_kernelIl19rocblas_complex_numIdELi16ELi32ELi8ELb0ELb1ELc78ELc85EKS1_S1_EviT_T0_PT8_S3_lS6_S3_lS4_PT9_S3_li
		.amdhsa_group_segment_fixed_size 8192
		.amdhsa_private_segment_fixed_size 0
		.amdhsa_kernarg_size 124
		.amdhsa_user_sgpr_count 6
		.amdhsa_user_sgpr_private_segment_buffer 1
		.amdhsa_user_sgpr_dispatch_ptr 0
		.amdhsa_user_sgpr_queue_ptr 0
		.amdhsa_user_sgpr_kernarg_segment_ptr 1
		.amdhsa_user_sgpr_dispatch_id 0
		.amdhsa_user_sgpr_flat_scratch_init 0
		.amdhsa_user_sgpr_private_segment_size 0
		.amdhsa_uses_dynamic_stack 0
		.amdhsa_system_sgpr_private_segment_wavefront_offset 0
		.amdhsa_system_sgpr_workgroup_id_x 1
		.amdhsa_system_sgpr_workgroup_id_y 1
		.amdhsa_system_sgpr_workgroup_id_z 1
		.amdhsa_system_sgpr_workgroup_info 0
		.amdhsa_system_vgpr_workitem_id 1
		.amdhsa_next_free_vgpr 61
		.amdhsa_next_free_sgpr 61
		.amdhsa_reserve_vcc 1
		.amdhsa_reserve_flat_scratch 0
		.amdhsa_float_round_mode_32 0
		.amdhsa_float_round_mode_16_64 0
		.amdhsa_float_denorm_mode_32 3
		.amdhsa_float_denorm_mode_16_64 3
		.amdhsa_dx10_clamp 1
		.amdhsa_ieee_mode 1
		.amdhsa_fp16_overflow 0
		.amdhsa_exception_fp_ieee_invalid_op 0
		.amdhsa_exception_fp_denorm_src 0
		.amdhsa_exception_fp_ieee_div_zero 0
		.amdhsa_exception_fp_ieee_overflow 0
		.amdhsa_exception_fp_ieee_underflow 0
		.amdhsa_exception_fp_ieee_inexact 0
		.amdhsa_exception_int_div_zero 0
	.end_amdhsa_kernel
	.section	.text._ZL34rocblas_syrkx_herkx_general_kernelIl19rocblas_complex_numIdELi16ELi32ELi8ELb0ELb1ELc78ELc85EKS1_S1_EviT_T0_PT8_S3_lS6_S3_lS4_PT9_S3_li,"axG",@progbits,_ZL34rocblas_syrkx_herkx_general_kernelIl19rocblas_complex_numIdELi16ELi32ELi8ELb0ELb1ELc78ELc85EKS1_S1_EviT_T0_PT8_S3_lS6_S3_lS4_PT9_S3_li,comdat
.Lfunc_end1382:
	.size	_ZL34rocblas_syrkx_herkx_general_kernelIl19rocblas_complex_numIdELi16ELi32ELi8ELb0ELb1ELc78ELc85EKS1_S1_EviT_T0_PT8_S3_lS6_S3_lS4_PT9_S3_li, .Lfunc_end1382-_ZL34rocblas_syrkx_herkx_general_kernelIl19rocblas_complex_numIdELi16ELi32ELi8ELb0ELb1ELc78ELc85EKS1_S1_EviT_T0_PT8_S3_lS6_S3_lS4_PT9_S3_li
                                        ; -- End function
	.set _ZL34rocblas_syrkx_herkx_general_kernelIl19rocblas_complex_numIdELi16ELi32ELi8ELb0ELb1ELc78ELc85EKS1_S1_EviT_T0_PT8_S3_lS6_S3_lS4_PT9_S3_li.num_vgpr, 61
	.set _ZL34rocblas_syrkx_herkx_general_kernelIl19rocblas_complex_numIdELi16ELi32ELi8ELb0ELb1ELc78ELc85EKS1_S1_EviT_T0_PT8_S3_lS6_S3_lS4_PT9_S3_li.num_agpr, 0
	.set _ZL34rocblas_syrkx_herkx_general_kernelIl19rocblas_complex_numIdELi16ELi32ELi8ELb0ELb1ELc78ELc85EKS1_S1_EviT_T0_PT8_S3_lS6_S3_lS4_PT9_S3_li.numbered_sgpr, 44
	.set _ZL34rocblas_syrkx_herkx_general_kernelIl19rocblas_complex_numIdELi16ELi32ELi8ELb0ELb1ELc78ELc85EKS1_S1_EviT_T0_PT8_S3_lS6_S3_lS4_PT9_S3_li.num_named_barrier, 0
	.set _ZL34rocblas_syrkx_herkx_general_kernelIl19rocblas_complex_numIdELi16ELi32ELi8ELb0ELb1ELc78ELc85EKS1_S1_EviT_T0_PT8_S3_lS6_S3_lS4_PT9_S3_li.private_seg_size, 0
	.set _ZL34rocblas_syrkx_herkx_general_kernelIl19rocblas_complex_numIdELi16ELi32ELi8ELb0ELb1ELc78ELc85EKS1_S1_EviT_T0_PT8_S3_lS6_S3_lS4_PT9_S3_li.uses_vcc, 1
	.set _ZL34rocblas_syrkx_herkx_general_kernelIl19rocblas_complex_numIdELi16ELi32ELi8ELb0ELb1ELc78ELc85EKS1_S1_EviT_T0_PT8_S3_lS6_S3_lS4_PT9_S3_li.uses_flat_scratch, 0
	.set _ZL34rocblas_syrkx_herkx_general_kernelIl19rocblas_complex_numIdELi16ELi32ELi8ELb0ELb1ELc78ELc85EKS1_S1_EviT_T0_PT8_S3_lS6_S3_lS4_PT9_S3_li.has_dyn_sized_stack, 0
	.set _ZL34rocblas_syrkx_herkx_general_kernelIl19rocblas_complex_numIdELi16ELi32ELi8ELb0ELb1ELc78ELc85EKS1_S1_EviT_T0_PT8_S3_lS6_S3_lS4_PT9_S3_li.has_recursion, 0
	.set _ZL34rocblas_syrkx_herkx_general_kernelIl19rocblas_complex_numIdELi16ELi32ELi8ELb0ELb1ELc78ELc85EKS1_S1_EviT_T0_PT8_S3_lS6_S3_lS4_PT9_S3_li.has_indirect_call, 0
	.section	.AMDGPU.csdata,"",@progbits
; Kernel info:
; codeLenInByte = 3508
; TotalNumSgprs: 48
; NumVgprs: 61
; ScratchSize: 0
; MemoryBound: 1
; FloatMode: 240
; IeeeMode: 1
; LDSByteSize: 8192 bytes/workgroup (compile time only)
; SGPRBlocks: 8
; VGPRBlocks: 15
; NumSGPRsForWavesPerEU: 65
; NumVGPRsForWavesPerEU: 61
; Occupancy: 4
; WaveLimiterHint : 0
; COMPUTE_PGM_RSRC2:SCRATCH_EN: 0
; COMPUTE_PGM_RSRC2:USER_SGPR: 6
; COMPUTE_PGM_RSRC2:TRAP_HANDLER: 0
; COMPUTE_PGM_RSRC2:TGID_X_EN: 1
; COMPUTE_PGM_RSRC2:TGID_Y_EN: 1
; COMPUTE_PGM_RSRC2:TGID_Z_EN: 1
; COMPUTE_PGM_RSRC2:TIDIG_COMP_CNT: 1
	.section	.text._ZL26rocblas_syr2k_scale_kernelIlLi128ELi8ELb1E19rocblas_complex_numIdES1_PS1_EvbiT_T3_T4_T5_S3_li,"axG",@progbits,_ZL26rocblas_syr2k_scale_kernelIlLi128ELi8ELb1E19rocblas_complex_numIdES1_PS1_EvbiT_T3_T4_T5_S3_li,comdat
	.globl	_ZL26rocblas_syr2k_scale_kernelIlLi128ELi8ELb1E19rocblas_complex_numIdES1_PS1_EvbiT_T3_T4_T5_S3_li ; -- Begin function _ZL26rocblas_syr2k_scale_kernelIlLi128ELi8ELb1E19rocblas_complex_numIdES1_PS1_EvbiT_T3_T4_T5_S3_li
	.p2align	8
	.type	_ZL26rocblas_syr2k_scale_kernelIlLi128ELi8ELb1E19rocblas_complex_numIdES1_PS1_EvbiT_T3_T4_T5_S3_li,@function
_ZL26rocblas_syr2k_scale_kernelIlLi128ELi8ELb1E19rocblas_complex_numIdES1_PS1_EvbiT_T3_T4_T5_S3_li: ; @_ZL26rocblas_syr2k_scale_kernelIlLi128ELi8ELb1E19rocblas_complex_numIdES1_PS1_EvbiT_T3_T4_T5_S3_li
; %bb.0:
	s_load_dwordx16 s[12:27], s[4:5], 0x8
	s_mov_b64 s[0:1], 0
	s_waitcnt lgkmcnt(0)
	v_cmp_eq_f64_e64 s[2:3], s[18:19], 1.0
	v_cmp_eq_f64_e64 s[10:11], s[20:21], 0
	s_and_b64 s[2:3], s[2:3], s[10:11]
	s_andn2_b64 vcc, exec, s[2:3]
	s_mov_b64 s[2:3], -1
	s_cbranch_vccnz .LBB1383_4
; %bb.1:
	s_cmp_lg_u64 s[12:13], 0
	s_cbranch_scc0 .LBB1383_3
; %bb.2:
	v_cmp_neq_f64_e64 s[0:1], s[14:15], 0
	v_cmp_neq_f64_e64 s[2:3], s[16:17], 0
	s_or_b64 s[0:1], s[0:1], s[2:3]
.LBB1383_3:
	s_mov_b64 s[2:3], s[0:1]
.LBB1383_4:
	s_and_b64 vcc, exec, s[2:3]
	s_cbranch_vccz .LBB1383_9
; %bb.5:
	s_load_dwordx2 s[0:1], s[4:5], 0x0
	s_load_dword s2, s[4:5], 0x5c
	s_waitcnt lgkmcnt(0)
	s_bitcmp1_b32 s0, 0
	s_cselect_b64 vcc, -1, 0
	s_lshr_b32 s0, s2, 16
	s_and_b32 s2, s2, 0xffff
	s_mul_i32 s6, s6, s2
	s_mul_i32 s7, s7, s0
	v_add_u32_e32 v2, s6, v0
	v_add_u32_e32 v8, s7, v1
	v_cndmask_b32_e32 v0, v8, v2, vcc
	v_cndmask_b32_e32 v1, v2, v8, vcc
	v_max_u32_e32 v3, v2, v8
	v_cmp_gt_u32_e32 vcc, s1, v3
	v_cmp_le_i32_e64 s[0:1], v0, v1
	s_and_b64 s[0:1], vcc, s[0:1]
	s_and_saveexec_b64 s[2:3], s[0:1]
	s_cbranch_execz .LBB1383_9
; %bb.6:
	v_mad_u64_u32 v[0:1], s[0:1], s24, v8, 0
	s_mul_i32 s2, s27, s8
	s_mul_hi_u32 s0, s26, s8
	s_add_i32 s1, s0, s2
	s_mul_i32 s0, s26, s8
	s_lshl_b64 s[0:1], s[0:1], 4
	v_mad_u64_u32 v[3:4], s[2:3], s25, v8, v[1:2]
	s_add_u32 s4, s22, s0
	s_addc_u32 s5, s23, s1
	v_cmp_neq_f64_e64 s[0:1], s[18:19], 0
	v_cmp_neq_f64_e64 s[2:3], s[20:21], 0
	v_mov_b32_e32 v1, v3
	v_lshlrev_b64 v[0:1], 4, v[0:1]
	v_mov_b32_e32 v3, 0
	v_mov_b32_e32 v4, s5
	v_add_co_u32_e32 v9, vcc, s4, v0
	v_addc_co_u32_e32 v10, vcc, v4, v1, vcc
	v_lshlrev_b64 v[4:5], 4, v[2:3]
	s_or_b64 s[0:1], s[0:1], s[2:3]
	v_mov_b32_e32 v0, 0
	s_andn2_b64 vcc, exec, s[0:1]
	v_mov_b32_e32 v6, 0
	v_add_co_u32_e64 v4, s[0:1], v9, v4
	v_mov_b32_e32 v1, 0
	v_mov_b32_e32 v7, 0
	v_addc_co_u32_e64 v5, s[0:1], v10, v5, s[0:1]
	s_cbranch_vccnz .LBB1383_8
; %bb.7:
	global_load_dwordx4 v[9:12], v[4:5], off
	s_waitcnt vmcnt(0)
	v_mul_f64 v[0:1], s[20:21], v[11:12]
	v_mul_f64 v[6:7], s[18:19], v[11:12]
	v_fma_f64 v[0:1], s[18:19], v[9:10], -v[0:1]
	v_fma_f64 v[6:7], s[20:21], v[9:10], v[6:7]
.LBB1383_8:
	v_cmp_ne_u32_e32 vcc, v2, v8
	v_cndmask_b32_e32 v3, 0, v7, vcc
	v_cndmask_b32_e32 v2, 0, v6, vcc
	global_store_dwordx4 v[4:5], v[0:3], off
.LBB1383_9:
	s_endpgm
	.section	.rodata,"a",@progbits
	.p2align	6, 0x0
	.amdhsa_kernel _ZL26rocblas_syr2k_scale_kernelIlLi128ELi8ELb1E19rocblas_complex_numIdES1_PS1_EvbiT_T3_T4_T5_S3_li
		.amdhsa_group_segment_fixed_size 0
		.amdhsa_private_segment_fixed_size 0
		.amdhsa_kernarg_size 336
		.amdhsa_user_sgpr_count 6
		.amdhsa_user_sgpr_private_segment_buffer 1
		.amdhsa_user_sgpr_dispatch_ptr 0
		.amdhsa_user_sgpr_queue_ptr 0
		.amdhsa_user_sgpr_kernarg_segment_ptr 1
		.amdhsa_user_sgpr_dispatch_id 0
		.amdhsa_user_sgpr_flat_scratch_init 0
		.amdhsa_user_sgpr_private_segment_size 0
		.amdhsa_uses_dynamic_stack 0
		.amdhsa_system_sgpr_private_segment_wavefront_offset 0
		.amdhsa_system_sgpr_workgroup_id_x 1
		.amdhsa_system_sgpr_workgroup_id_y 1
		.amdhsa_system_sgpr_workgroup_id_z 1
		.amdhsa_system_sgpr_workgroup_info 0
		.amdhsa_system_vgpr_workitem_id 1
		.amdhsa_next_free_vgpr 13
		.amdhsa_next_free_sgpr 28
		.amdhsa_reserve_vcc 1
		.amdhsa_reserve_flat_scratch 0
		.amdhsa_float_round_mode_32 0
		.amdhsa_float_round_mode_16_64 0
		.amdhsa_float_denorm_mode_32 3
		.amdhsa_float_denorm_mode_16_64 3
		.amdhsa_dx10_clamp 1
		.amdhsa_ieee_mode 1
		.amdhsa_fp16_overflow 0
		.amdhsa_exception_fp_ieee_invalid_op 0
		.amdhsa_exception_fp_denorm_src 0
		.amdhsa_exception_fp_ieee_div_zero 0
		.amdhsa_exception_fp_ieee_overflow 0
		.amdhsa_exception_fp_ieee_underflow 0
		.amdhsa_exception_fp_ieee_inexact 0
		.amdhsa_exception_int_div_zero 0
	.end_amdhsa_kernel
	.section	.text._ZL26rocblas_syr2k_scale_kernelIlLi128ELi8ELb1E19rocblas_complex_numIdES1_PS1_EvbiT_T3_T4_T5_S3_li,"axG",@progbits,_ZL26rocblas_syr2k_scale_kernelIlLi128ELi8ELb1E19rocblas_complex_numIdES1_PS1_EvbiT_T3_T4_T5_S3_li,comdat
.Lfunc_end1383:
	.size	_ZL26rocblas_syr2k_scale_kernelIlLi128ELi8ELb1E19rocblas_complex_numIdES1_PS1_EvbiT_T3_T4_T5_S3_li, .Lfunc_end1383-_ZL26rocblas_syr2k_scale_kernelIlLi128ELi8ELb1E19rocblas_complex_numIdES1_PS1_EvbiT_T3_T4_T5_S3_li
                                        ; -- End function
	.set _ZL26rocblas_syr2k_scale_kernelIlLi128ELi8ELb1E19rocblas_complex_numIdES1_PS1_EvbiT_T3_T4_T5_S3_li.num_vgpr, 13
	.set _ZL26rocblas_syr2k_scale_kernelIlLi128ELi8ELb1E19rocblas_complex_numIdES1_PS1_EvbiT_T3_T4_T5_S3_li.num_agpr, 0
	.set _ZL26rocblas_syr2k_scale_kernelIlLi128ELi8ELb1E19rocblas_complex_numIdES1_PS1_EvbiT_T3_T4_T5_S3_li.numbered_sgpr, 28
	.set _ZL26rocblas_syr2k_scale_kernelIlLi128ELi8ELb1E19rocblas_complex_numIdES1_PS1_EvbiT_T3_T4_T5_S3_li.num_named_barrier, 0
	.set _ZL26rocblas_syr2k_scale_kernelIlLi128ELi8ELb1E19rocblas_complex_numIdES1_PS1_EvbiT_T3_T4_T5_S3_li.private_seg_size, 0
	.set _ZL26rocblas_syr2k_scale_kernelIlLi128ELi8ELb1E19rocblas_complex_numIdES1_PS1_EvbiT_T3_T4_T5_S3_li.uses_vcc, 1
	.set _ZL26rocblas_syr2k_scale_kernelIlLi128ELi8ELb1E19rocblas_complex_numIdES1_PS1_EvbiT_T3_T4_T5_S3_li.uses_flat_scratch, 0
	.set _ZL26rocblas_syr2k_scale_kernelIlLi128ELi8ELb1E19rocblas_complex_numIdES1_PS1_EvbiT_T3_T4_T5_S3_li.has_dyn_sized_stack, 0
	.set _ZL26rocblas_syr2k_scale_kernelIlLi128ELi8ELb1E19rocblas_complex_numIdES1_PS1_EvbiT_T3_T4_T5_S3_li.has_recursion, 0
	.set _ZL26rocblas_syr2k_scale_kernelIlLi128ELi8ELb1E19rocblas_complex_numIdES1_PS1_EvbiT_T3_T4_T5_S3_li.has_indirect_call, 0
	.section	.AMDGPU.csdata,"",@progbits
; Kernel info:
; codeLenInByte = 388
; TotalNumSgprs: 32
; NumVgprs: 13
; ScratchSize: 0
; MemoryBound: 0
; FloatMode: 240
; IeeeMode: 1
; LDSByteSize: 0 bytes/workgroup (compile time only)
; SGPRBlocks: 3
; VGPRBlocks: 3
; NumSGPRsForWavesPerEU: 32
; NumVGPRsForWavesPerEU: 13
; Occupancy: 10
; WaveLimiterHint : 0
; COMPUTE_PGM_RSRC2:SCRATCH_EN: 0
; COMPUTE_PGM_RSRC2:USER_SGPR: 6
; COMPUTE_PGM_RSRC2:TRAP_HANDLER: 0
; COMPUTE_PGM_RSRC2:TGID_X_EN: 1
; COMPUTE_PGM_RSRC2:TGID_Y_EN: 1
; COMPUTE_PGM_RSRC2:TGID_Z_EN: 1
; COMPUTE_PGM_RSRC2:TIDIG_COMP_CNT: 1
	.section	.text._ZL26rocblas_syr2k_her2k_kernelIlLb0ELb1ELb0ELi32EPK19rocblas_complex_numIdES3_PS1_EvbiT_T4_T5_S5_lS7_S5_lT6_S5_li,"axG",@progbits,_ZL26rocblas_syr2k_her2k_kernelIlLb0ELb1ELb0ELi32EPK19rocblas_complex_numIdES3_PS1_EvbiT_T4_T5_S5_lS7_S5_lT6_S5_li,comdat
	.globl	_ZL26rocblas_syr2k_her2k_kernelIlLb0ELb1ELb0ELi32EPK19rocblas_complex_numIdES3_PS1_EvbiT_T4_T5_S5_lS7_S5_lT6_S5_li ; -- Begin function _ZL26rocblas_syr2k_her2k_kernelIlLb0ELb1ELb0ELi32EPK19rocblas_complex_numIdES3_PS1_EvbiT_T4_T5_S5_lS7_S5_lT6_S5_li
	.p2align	8
	.type	_ZL26rocblas_syr2k_her2k_kernelIlLb0ELb1ELb0ELi32EPK19rocblas_complex_numIdES3_PS1_EvbiT_T4_T5_S5_lS7_S5_lT6_S5_li,@function
_ZL26rocblas_syr2k_her2k_kernelIlLb0ELb1ELb0ELi32EPK19rocblas_complex_numIdES3_PS1_EvbiT_T4_T5_S5_lS7_S5_lT6_S5_li: ; @_ZL26rocblas_syr2k_her2k_kernelIlLb0ELb1ELb0ELi32EPK19rocblas_complex_numIdES3_PS1_EvbiT_T4_T5_S5_lS7_S5_lT6_S5_li
; %bb.0:
	s_load_dwordx16 s[12:27], s[4:5], 0x8
	s_waitcnt lgkmcnt(0)
	s_load_dwordx4 s[28:31], s[14:15], 0x0
	s_waitcnt lgkmcnt(0)
	v_cmp_eq_f64_e64 s[0:1], s[28:29], 0
	v_cmp_eq_f64_e64 s[2:3], s[30:31], 0
	s_and_b64 s[0:1], s[0:1], s[2:3]
	s_and_b64 vcc, exec, s[0:1]
	s_cbranch_vccnz .LBB1384_13
; %bb.1:
	s_load_dwordx2 s[10:11], s[4:5], 0x0
	s_lshl_b32 s2, s7, 5
	s_lshl_b32 s3, s6, 5
	s_waitcnt lgkmcnt(0)
	s_and_b32 s0, 1, s10
	s_cmp_eq_u32 s0, 1
	s_cselect_b64 s[0:1], -1, 0
	s_and_b64 s[6:7], s[0:1], exec
	s_cselect_b32 s6, s3, s2
	s_cselect_b32 s7, s2, s3
	s_cmp_gt_i32 s6, s7
	s_cbranch_scc1 .LBB1384_13
; %bb.2:
	s_load_dwordx2 s[6:7], s[4:5], 0x58
	s_load_dwordx4 s[36:39], s[4:5], 0x48
	v_add_u32_e32 v8, s3, v0
	v_add_u32_e32 v12, s2, v1
	v_ashrrev_i32_e32 v11, 31, v8
	s_waitcnt lgkmcnt(0)
	s_mul_i32 s3, s7, s8
	s_mul_hi_u32 s5, s6, s8
	s_mul_i32 s4, s6, s8
	s_add_i32 s5, s5, s3
	s_lshl_b64 s[4:5], s[4:5], 4
	s_add_u32 s10, s36, s4
	s_addc_u32 s33, s37, s5
	v_cmp_lt_i64_e64 s[4:5], s[12:13], 1
	s_and_b64 vcc, exec, s[4:5]
	s_cbranch_vccnz .LBB1384_11
; %bb.3:
	v_lshlrev_b32_e32 v18, 9, v0
	v_lshlrev_b32_e32 v2, 4, v1
	v_add_u32_e32 v19, v18, v2
	v_or_b32_e32 v20, 0x4000, v2
	v_ashrrev_i32_e32 v2, 31, v12
	v_mul_lo_u32 v7, s39, v12
	v_mul_lo_u32 v10, s38, v2
	v_mad_u64_u32 v[2:3], s[4:5], s38, v12, 0
	v_cndmask_b32_e64 v4, v8, v12, s[0:1]
	v_cndmask_b32_e64 v5, v12, v8, s[0:1]
	v_add3_u32 v3, v3, v10, v7
	v_max_i32_e32 v6, v8, v12
	v_lshlrev_b64 v[2:3], 4, v[2:3]
	v_cmp_gt_i32_e32 vcc, s11, v6
	v_cmp_le_i32_e64 s[4:5], v5, v4
	s_and_b64 s[6:7], s[4:5], vcc
	v_mov_b32_e32 v4, s33
	v_add_co_u32_e32 v6, vcc, s10, v2
	v_addc_co_u32_e32 v7, vcc, v4, v3, vcc
	v_mad_u64_u32 v[4:5], s[4:5], s24, v0, 0
	v_mov_b32_e32 v10, v8
	v_lshlrev_b64 v[2:3], 4, v[10:11]
	s_mul_i32 s9, s27, s8
	v_add_co_u32_e32 v14, vcc, v6, v2
	v_mov_b32_e32 v2, v5
	v_addc_co_u32_e32 v15, vcc, v7, v3, vcc
	v_mad_u64_u32 v[2:3], s[4:5], s25, v0, v[2:3]
	s_mul_hi_u32 s14, s26, s8
	s_add_i32 s5, s14, s9
	v_mov_b32_e32 v5, v2
	s_mul_i32 s4, s26, s8
	v_lshlrev_b64 v[2:3], 4, v[4:5]
	v_mov_b32_e32 v9, 0
	s_lshl_b64 s[4:5], s[4:5], 4
	v_mov_b32_e32 v13, v9
	v_mov_b32_e32 v4, s5
	v_add_co_u32_e32 v5, vcc, s4, v2
	v_addc_co_u32_e32 v4, vcc, v4, v3, vcc
	v_lshlrev_b64 v[2:3], 4, v[12:13]
	s_mul_i32 s9, s21, s8
	v_add_co_u32_e32 v2, vcc, v5, v2
	v_addc_co_u32_e32 v3, vcc, v4, v3, vcc
	v_mov_b32_e32 v4, s23
	v_add_co_u32_e32 v2, vcc, s22, v2
	v_addc_co_u32_e32 v3, vcc, v4, v3, vcc
	v_add_co_u32_e32 v16, vcc, 8, v2
	v_addc_co_u32_e32 v17, vcc, 0, v3, vcc
	v_mad_u64_u32 v[2:3], s[4:5], s18, v1, 0
	s_mul_hi_u32 s21, s20, s8
	s_ashr_i32 s3, s11, 31
	v_mad_u64_u32 v[3:4], s[4:5], s19, v1, v[3:4]
	s_add_i32 s5, s21, s9
	s_mul_i32 s4, s20, s8
	v_lshlrev_b64 v[2:3], 4, v[2:3]
	s_lshl_b64 s[4:5], s[4:5], 4
	v_mov_b32_e32 v4, s5
	v_add_co_u32_e32 v5, vcc, s4, v2
	v_addc_co_u32_e32 v4, vcc, v4, v3, vcc
	v_lshlrev_b64 v[2:3], 4, v[8:9]
	s_mov_b32 s2, s11
	v_add_co_u32_e32 v2, vcc, v5, v2
	v_addc_co_u32_e32 v3, vcc, v4, v3, vcc
	v_mov_b32_e32 v4, s17
	v_add_co_u32_e32 v2, vcc, s16, v2
	v_addc_co_u32_e32 v3, vcc, v4, v3, vcc
	v_cmp_gt_i64_e64 s[0:1], s[2:3], v[8:9]
	v_cmp_gt_i64_e64 s[2:3], s[2:3], v[12:13]
	v_add_co_u32_e32 v9, vcc, 8, v2
	v_add_u32_e32 v21, v20, v18
	s_lshl_b64 s[14:15], s[24:25], 9
	v_addc_co_u32_e32 v10, vcc, 0, v3, vcc
	s_lshl_b64 s[8:9], s[18:19], 9
	s_mov_b64 s[16:17], 0
	s_branch .LBB1384_5
.LBB1384_4:                             ;   in Loop: Header=BB1384_5 Depth=1
	s_or_b64 exec, exec, s[4:5]
	v_mov_b32_e32 v2, s15
	v_add_co_u32_e32 v16, vcc, s14, v16
	s_add_u32 s16, s16, 32
	v_addc_co_u32_e32 v17, vcc, v17, v2, vcc
	v_mov_b32_e32 v2, s12
	s_addc_u32 s17, s17, 0
	v_mov_b32_e32 v3, s13
	v_cmp_ge_i64_e32 vcc, s[16:17], v[2:3]
	v_mov_b32_e32 v4, s9
	v_add_co_u32_e64 v9, s[4:5], s8, v9
	v_addc_co_u32_e64 v10, s[4:5], v10, v4, s[4:5]
	s_waitcnt vmcnt(0)
	s_barrier
	s_cbranch_vccnz .LBB1384_11
.LBB1384_5:                             ; =>This Inner Loop Header: Depth=1
	v_mov_b32_e32 v3, s17
	v_add_co_u32_e32 v2, vcc, s16, v1
	v_addc_co_u32_e32 v3, vcc, 0, v3, vcc
	v_cmp_gt_i64_e32 vcc, s[12:13], v[2:3]
	v_mov_b32_e32 v2, 0
	v_mov_b32_e32 v4, 0
	;; [unrolled: 1-line block ×6, first 2 shown]
	s_and_b64 s[18:19], s[0:1], vcc
	s_and_saveexec_b64 s[4:5], s[18:19]
	s_cbranch_execz .LBB1384_7
; %bb.6:                                ;   in Loop: Header=BB1384_5 Depth=1
	global_load_dwordx4 v[4:7], v[9:10], off offset:-8
.LBB1384_7:                             ;   in Loop: Header=BB1384_5 Depth=1
	s_or_b64 exec, exec, s[4:5]
	s_waitcnt vmcnt(0)
	ds_write_b128 v19, v[4:7]
	v_mov_b32_e32 v5, s17
	v_add_co_u32_e32 v4, vcc, s16, v0
	v_addc_co_u32_e32 v5, vcc, 0, v5, vcc
	v_cmp_gt_i64_e32 vcc, s[12:13], v[4:5]
	v_mov_b32_e32 v4, 0
	v_mov_b32_e32 v5, 0
	s_and_b64 s[18:19], s[2:3], vcc
	s_and_saveexec_b64 s[4:5], s[18:19]
	s_cbranch_execz .LBB1384_9
; %bb.8:                                ;   in Loop: Header=BB1384_5 Depth=1
	global_load_dwordx4 v[2:5], v[16:17], off offset:-8
	s_waitcnt vmcnt(0)
	v_xor_b32_e32 v5, 0x80000000, v5
.LBB1384_9:                             ;   in Loop: Header=BB1384_5 Depth=1
	s_or_b64 exec, exec, s[4:5]
	ds_write_b128 v21, v[2:5]
	s_waitcnt lgkmcnt(0)
	s_barrier
	s_and_saveexec_b64 s[4:5], s[6:7]
	s_cbranch_execz .LBB1384_4
; %bb.10:                               ;   in Loop: Header=BB1384_5 Depth=1
	ds_read_b128 v[22:25], v20
	ds_read_b128 v[26:29], v18
	ds_read_b128 v[30:33], v18 offset:16
	ds_read_b128 v[34:37], v18 offset:32
	;; [unrolled: 1-line block ×3, first 2 shown]
	s_waitcnt lgkmcnt(3)
	v_mul_f64 v[6:7], v[24:25], v[28:29]
	v_fma_f64 v[6:7], v[22:23], v[26:27], -v[6:7]
	v_mul_f64 v[22:23], v[22:23], v[28:29]
	v_add_f64 v[6:7], v[6:7], 0
	v_fma_f64 v[22:23], v[24:25], v[26:27], v[22:23]
	v_add_f64 v[26:27], v[22:23], 0
	ds_read_b128 v[22:25], v20 offset:512
	s_waitcnt lgkmcnt(0)
	v_mul_f64 v[28:29], v[24:25], v[32:33]
	v_fma_f64 v[28:29], v[22:23], v[30:31], -v[28:29]
	v_mul_f64 v[22:23], v[22:23], v[32:33]
	v_add_f64 v[6:7], v[6:7], v[28:29]
	v_fma_f64 v[22:23], v[24:25], v[30:31], v[22:23]
	v_add_f64 v[26:27], v[26:27], v[22:23]
	ds_read_b128 v[22:25], v20 offset:1024
	;; [unrolled: 8-line block ×3, first 2 shown]
	s_waitcnt lgkmcnt(0)
	v_mul_f64 v[28:29], v[24:25], v[4:5]
	v_mul_f64 v[4:5], v[22:23], v[4:5]
	v_fma_f64 v[28:29], v[22:23], v[2:3], -v[28:29]
	v_fma_f64 v[2:3], v[24:25], v[2:3], v[4:5]
	v_add_f64 v[6:7], v[6:7], v[28:29]
	v_add_f64 v[26:27], v[26:27], v[2:3]
	ds_read_b128 v[2:5], v20 offset:2048
	ds_read_b128 v[22:25], v18 offset:64
	s_waitcnt lgkmcnt(0)
	v_mul_f64 v[28:29], v[4:5], v[24:25]
	v_fma_f64 v[28:29], v[2:3], v[22:23], -v[28:29]
	v_mul_f64 v[2:3], v[2:3], v[24:25]
	v_add_f64 v[6:7], v[6:7], v[28:29]
	v_fma_f64 v[2:3], v[4:5], v[22:23], v[2:3]
	v_add_f64 v[26:27], v[26:27], v[2:3]
	ds_read_b128 v[2:5], v20 offset:2560
	ds_read_b128 v[22:25], v18 offset:80
	s_waitcnt lgkmcnt(0)
	v_mul_f64 v[28:29], v[4:5], v[24:25]
	v_fma_f64 v[28:29], v[2:3], v[22:23], -v[28:29]
	v_mul_f64 v[2:3], v[2:3], v[24:25]
	v_add_f64 v[6:7], v[6:7], v[28:29]
	v_fma_f64 v[2:3], v[4:5], v[22:23], v[2:3]
	;; [unrolled: 9-line block ×27, first 2 shown]
	v_add_f64 v[26:27], v[26:27], v[2:3]
	ds_read_b128 v[2:5], v20 offset:15872
	ds_read_b128 v[22:25], v18 offset:496
	s_waitcnt lgkmcnt(0)
	v_mul_f64 v[28:29], v[4:5], v[24:25]
	v_fma_f64 v[28:29], v[2:3], v[22:23], -v[28:29]
	v_mul_f64 v[2:3], v[2:3], v[24:25]
	v_fma_f64 v[2:3], v[4:5], v[22:23], v[2:3]
	global_load_dwordx4 v[22:25], v[14:15], off
	v_add_f64 v[4:5], v[6:7], v[28:29]
	v_add_f64 v[6:7], v[26:27], v[2:3]
	v_mul_f64 v[2:3], s[30:31], v[6:7]
	v_mul_f64 v[6:7], s[28:29], v[6:7]
	v_fma_f64 v[2:3], s[28:29], v[4:5], -v[2:3]
	v_fma_f64 v[4:5], s[30:31], v[4:5], v[6:7]
	s_waitcnt vmcnt(0)
	v_add_f64 v[2:3], v[22:23], v[2:3]
	v_add_f64 v[4:5], v[24:25], v[4:5]
	global_store_dwordx4 v[14:15], v[2:5], off
	s_branch .LBB1384_4
.LBB1384_11:
	v_cmp_eq_u32_e32 vcc, v8, v12
	v_cmp_gt_i32_e64 s[0:1], s11, v8
	s_and_b64 s[0:1], vcc, s[0:1]
	s_and_saveexec_b64 s[2:3], s[0:1]
	s_cbranch_execz .LBB1384_13
; %bb.12:
	v_mul_lo_u32 v2, s39, v8
	v_mul_lo_u32 v3, s38, v11
	v_mad_u64_u32 v[0:1], s[0:1], s38, v8, 0
	v_mov_b32_e32 v9, v11
	v_add3_u32 v1, v1, v3, v2
	v_lshlrev_b64 v[0:1], 4, v[0:1]
	v_mov_b32_e32 v2, s33
	v_add_co_u32_e32 v3, vcc, s10, v0
	v_addc_co_u32_e32 v2, vcc, v2, v1, vcc
	v_lshlrev_b64 v[0:1], 4, v[8:9]
	v_add_co_u32_e32 v0, vcc, v3, v0
	v_addc_co_u32_e32 v1, vcc, v2, v1, vcc
	v_mov_b32_e32 v2, 0
	v_mov_b32_e32 v3, v2
	global_store_dwordx2 v[0:1], v[2:3], off offset:8
.LBB1384_13:
	s_endpgm
	.section	.rodata,"a",@progbits
	.p2align	6, 0x0
	.amdhsa_kernel _ZL26rocblas_syr2k_her2k_kernelIlLb0ELb1ELb0ELi32EPK19rocblas_complex_numIdES3_PS1_EvbiT_T4_T5_S5_lS7_S5_lT6_S5_li
		.amdhsa_group_segment_fixed_size 32768
		.amdhsa_private_segment_fixed_size 0
		.amdhsa_kernarg_size 100
		.amdhsa_user_sgpr_count 6
		.amdhsa_user_sgpr_private_segment_buffer 1
		.amdhsa_user_sgpr_dispatch_ptr 0
		.amdhsa_user_sgpr_queue_ptr 0
		.amdhsa_user_sgpr_kernarg_segment_ptr 1
		.amdhsa_user_sgpr_dispatch_id 0
		.amdhsa_user_sgpr_flat_scratch_init 0
		.amdhsa_user_sgpr_private_segment_size 0
		.amdhsa_uses_dynamic_stack 0
		.amdhsa_system_sgpr_private_segment_wavefront_offset 0
		.amdhsa_system_sgpr_workgroup_id_x 1
		.amdhsa_system_sgpr_workgroup_id_y 1
		.amdhsa_system_sgpr_workgroup_id_z 1
		.amdhsa_system_sgpr_workgroup_info 0
		.amdhsa_system_vgpr_workitem_id 1
		.amdhsa_next_free_vgpr 38
		.amdhsa_next_free_sgpr 61
		.amdhsa_reserve_vcc 1
		.amdhsa_reserve_flat_scratch 0
		.amdhsa_float_round_mode_32 0
		.amdhsa_float_round_mode_16_64 0
		.amdhsa_float_denorm_mode_32 3
		.amdhsa_float_denorm_mode_16_64 3
		.amdhsa_dx10_clamp 1
		.amdhsa_ieee_mode 1
		.amdhsa_fp16_overflow 0
		.amdhsa_exception_fp_ieee_invalid_op 0
		.amdhsa_exception_fp_denorm_src 0
		.amdhsa_exception_fp_ieee_div_zero 0
		.amdhsa_exception_fp_ieee_overflow 0
		.amdhsa_exception_fp_ieee_underflow 0
		.amdhsa_exception_fp_ieee_inexact 0
		.amdhsa_exception_int_div_zero 0
	.end_amdhsa_kernel
	.section	.text._ZL26rocblas_syr2k_her2k_kernelIlLb0ELb1ELb0ELi32EPK19rocblas_complex_numIdES3_PS1_EvbiT_T4_T5_S5_lS7_S5_lT6_S5_li,"axG",@progbits,_ZL26rocblas_syr2k_her2k_kernelIlLb0ELb1ELb0ELi32EPK19rocblas_complex_numIdES3_PS1_EvbiT_T4_T5_S5_lS7_S5_lT6_S5_li,comdat
.Lfunc_end1384:
	.size	_ZL26rocblas_syr2k_her2k_kernelIlLb0ELb1ELb0ELi32EPK19rocblas_complex_numIdES3_PS1_EvbiT_T4_T5_S5_lS7_S5_lT6_S5_li, .Lfunc_end1384-_ZL26rocblas_syr2k_her2k_kernelIlLb0ELb1ELb0ELi32EPK19rocblas_complex_numIdES3_PS1_EvbiT_T4_T5_S5_lS7_S5_lT6_S5_li
                                        ; -- End function
	.set _ZL26rocblas_syr2k_her2k_kernelIlLb0ELb1ELb0ELi32EPK19rocblas_complex_numIdES3_PS1_EvbiT_T4_T5_S5_lS7_S5_lT6_S5_li.num_vgpr, 38
	.set _ZL26rocblas_syr2k_her2k_kernelIlLb0ELb1ELb0ELi32EPK19rocblas_complex_numIdES3_PS1_EvbiT_T4_T5_S5_lS7_S5_lT6_S5_li.num_agpr, 0
	.set _ZL26rocblas_syr2k_her2k_kernelIlLb0ELb1ELb0ELi32EPK19rocblas_complex_numIdES3_PS1_EvbiT_T4_T5_S5_lS7_S5_lT6_S5_li.numbered_sgpr, 40
	.set _ZL26rocblas_syr2k_her2k_kernelIlLb0ELb1ELb0ELi32EPK19rocblas_complex_numIdES3_PS1_EvbiT_T4_T5_S5_lS7_S5_lT6_S5_li.num_named_barrier, 0
	.set _ZL26rocblas_syr2k_her2k_kernelIlLb0ELb1ELb0ELi32EPK19rocblas_complex_numIdES3_PS1_EvbiT_T4_T5_S5_lS7_S5_lT6_S5_li.private_seg_size, 0
	.set _ZL26rocblas_syr2k_her2k_kernelIlLb0ELb1ELb0ELi32EPK19rocblas_complex_numIdES3_PS1_EvbiT_T4_T5_S5_lS7_S5_lT6_S5_li.uses_vcc, 1
	.set _ZL26rocblas_syr2k_her2k_kernelIlLb0ELb1ELb0ELi32EPK19rocblas_complex_numIdES3_PS1_EvbiT_T4_T5_S5_lS7_S5_lT6_S5_li.uses_flat_scratch, 0
	.set _ZL26rocblas_syr2k_her2k_kernelIlLb0ELb1ELb0ELi32EPK19rocblas_complex_numIdES3_PS1_EvbiT_T4_T5_S5_lS7_S5_lT6_S5_li.has_dyn_sized_stack, 0
	.set _ZL26rocblas_syr2k_her2k_kernelIlLb0ELb1ELb0ELi32EPK19rocblas_complex_numIdES3_PS1_EvbiT_T4_T5_S5_lS7_S5_lT6_S5_li.has_recursion, 0
	.set _ZL26rocblas_syr2k_her2k_kernelIlLb0ELb1ELb0ELi32EPK19rocblas_complex_numIdES3_PS1_EvbiT_T4_T5_S5_lS7_S5_lT6_S5_li.has_indirect_call, 0
	.section	.AMDGPU.csdata,"",@progbits
; Kernel info:
; codeLenInByte = 3148
; TotalNumSgprs: 44
; NumVgprs: 38
; ScratchSize: 0
; MemoryBound: 1
; FloatMode: 240
; IeeeMode: 1
; LDSByteSize: 32768 bytes/workgroup (compile time only)
; SGPRBlocks: 8
; VGPRBlocks: 9
; NumSGPRsForWavesPerEU: 65
; NumVGPRsForWavesPerEU: 38
; Occupancy: 6
; WaveLimiterHint : 0
; COMPUTE_PGM_RSRC2:SCRATCH_EN: 0
; COMPUTE_PGM_RSRC2:USER_SGPR: 6
; COMPUTE_PGM_RSRC2:TRAP_HANDLER: 0
; COMPUTE_PGM_RSRC2:TGID_X_EN: 1
; COMPUTE_PGM_RSRC2:TGID_Y_EN: 1
; COMPUTE_PGM_RSRC2:TGID_Z_EN: 1
; COMPUTE_PGM_RSRC2:TIDIG_COMP_CNT: 1
	.section	.text._ZL26rocblas_syr2k_her2k_kernelIlLb0ELb1ELb1ELi32EPK19rocblas_complex_numIdES3_PS1_EvbiT_T4_T5_S5_lS7_S5_lT6_S5_li,"axG",@progbits,_ZL26rocblas_syr2k_her2k_kernelIlLb0ELb1ELb1ELi32EPK19rocblas_complex_numIdES3_PS1_EvbiT_T4_T5_S5_lS7_S5_lT6_S5_li,comdat
	.globl	_ZL26rocblas_syr2k_her2k_kernelIlLb0ELb1ELb1ELi32EPK19rocblas_complex_numIdES3_PS1_EvbiT_T4_T5_S5_lS7_S5_lT6_S5_li ; -- Begin function _ZL26rocblas_syr2k_her2k_kernelIlLb0ELb1ELb1ELi32EPK19rocblas_complex_numIdES3_PS1_EvbiT_T4_T5_S5_lS7_S5_lT6_S5_li
	.p2align	8
	.type	_ZL26rocblas_syr2k_her2k_kernelIlLb0ELb1ELb1ELi32EPK19rocblas_complex_numIdES3_PS1_EvbiT_T4_T5_S5_lS7_S5_lT6_S5_li,@function
_ZL26rocblas_syr2k_her2k_kernelIlLb0ELb1ELb1ELi32EPK19rocblas_complex_numIdES3_PS1_EvbiT_T4_T5_S5_lS7_S5_lT6_S5_li: ; @_ZL26rocblas_syr2k_her2k_kernelIlLb0ELb1ELb1ELi32EPK19rocblas_complex_numIdES3_PS1_EvbiT_T4_T5_S5_lS7_S5_lT6_S5_li
; %bb.0:
	s_load_dwordx16 s[12:27], s[4:5], 0x8
	s_waitcnt lgkmcnt(0)
	s_load_dwordx4 s[28:31], s[14:15], 0x0
	s_waitcnt lgkmcnt(0)
	v_cmp_eq_f64_e64 s[0:1], s[28:29], 0
	v_cmp_eq_f64_e64 s[2:3], s[30:31], 0
	s_and_b64 s[0:1], s[0:1], s[2:3]
	s_and_b64 vcc, exec, s[0:1]
	s_cbranch_vccnz .LBB1385_13
; %bb.1:
	s_load_dwordx2 s[10:11], s[4:5], 0x0
	s_lshl_b32 s2, s7, 5
	s_lshl_b32 s3, s6, 5
	s_waitcnt lgkmcnt(0)
	s_and_b32 s0, 1, s10
	s_cmp_eq_u32 s0, 1
	s_cselect_b64 s[0:1], -1, 0
	s_and_b64 s[6:7], s[0:1], exec
	s_cselect_b32 s6, s3, s2
	s_cselect_b32 s7, s2, s3
	s_cmp_gt_i32 s6, s7
	s_cbranch_scc1 .LBB1385_13
; %bb.2:
	s_load_dwordx2 s[6:7], s[4:5], 0x58
	s_load_dwordx4 s[36:39], s[4:5], 0x48
	v_add_u32_e32 v8, s3, v0
	v_add_u32_e32 v10, s2, v1
	v_ashrrev_i32_e32 v17, 31, v8
	s_waitcnt lgkmcnt(0)
	s_mul_i32 s3, s7, s8
	s_mul_hi_u32 s5, s6, s8
	s_mul_i32 s4, s6, s8
	s_add_i32 s5, s5, s3
	s_lshl_b64 s[4:5], s[4:5], 4
	s_add_u32 s10, s36, s4
	s_addc_u32 s14, s37, s5
	v_cmp_lt_i64_e64 s[4:5], s[12:13], 1
	s_and_b64 vcc, exec, s[4:5]
	s_cbranch_vccnz .LBB1385_11
; %bb.3:
	v_mov_b32_e32 v9, 0
	s_ashr_i32 s3, s11, 31
	s_mov_b32 s2, s11
	v_mov_b32_e32 v11, v9
	v_ashrrev_i32_e32 v2, 31, v10
	v_cndmask_b32_e64 v4, v8, v10, s[0:1]
	v_cndmask_b32_e64 v5, v10, v8, s[0:1]
	v_cmp_gt_i64_e64 s[0:1], s[2:3], v[8:9]
	v_cmp_gt_i64_e64 s[2:3], s[2:3], v[10:11]
	v_mul_lo_u32 v9, s39, v10
	v_mul_lo_u32 v11, s38, v2
	v_mad_u64_u32 v[2:3], s[4:5], s38, v10, 0
	v_max_i32_e32 v7, v8, v10
	v_cmp_gt_i32_e32 vcc, s11, v7
	v_add3_u32 v3, v3, v11, v9
	v_lshlrev_b64 v[2:3], 4, v[2:3]
	v_cmp_le_i32_e64 s[4:5], v5, v4
	s_and_b64 s[6:7], s[4:5], vcc
	v_mov_b32_e32 v4, s14
	v_add_co_u32_e32 v7, vcc, s10, v2
	v_addc_co_u32_e32 v12, vcc, v4, v3, vcc
	v_mad_u64_u32 v[4:5], s[4:5], s24, v10, 0
	v_mov_b32_e32 v9, v17
	v_lshlrev_b64 v[2:3], 4, v[8:9]
	s_mul_i32 s9, s27, s8
	v_add_co_u32_e32 v11, vcc, v7, v2
	v_mov_b32_e32 v2, v5
	v_addc_co_u32_e32 v12, vcc, v12, v3, vcc
	v_mad_u64_u32 v[2:3], s[4:5], s25, v10, v[2:3]
	s_mul_hi_u32 s15, s26, s8
	s_add_i32 s5, s15, s9
	v_mov_b32_e32 v5, v2
	s_mul_i32 s4, s26, s8
	v_lshlrev_b64 v[2:3], 4, v[4:5]
	s_lshl_b64 s[4:5], s[4:5], 4
	v_mov_b32_e32 v4, s5
	v_add_co_u32_e32 v2, vcc, s4, v2
	v_addc_co_u32_e32 v3, vcc, v4, v3, vcc
	v_lshlrev_b32_e32 v4, 4, v0
	v_add_co_u32_e32 v2, vcc, v2, v4
	v_addc_co_u32_e32 v3, vcc, 0, v3, vcc
	v_mov_b32_e32 v4, s23
	v_add_co_u32_e32 v5, vcc, s22, v2
	v_addc_co_u32_e32 v4, vcc, v4, v3, vcc
	v_mad_u64_u32 v[2:3], s[4:5], s18, v8, 0
	v_add_co_u32_e32 v13, vcc, 8, v5
	v_addc_co_u32_e32 v14, vcc, 0, v4, vcc
	v_mad_u64_u32 v[3:4], s[4:5], s19, v8, v[3:4]
	s_mul_i32 s9, s21, s8
	s_mul_hi_u32 s15, s20, s8
	s_add_i32 s5, s15, s9
	s_mul_i32 s4, s20, s8
	v_lshlrev_b64 v[2:3], 4, v[2:3]
	s_lshl_b64 s[4:5], s[4:5], 4
	v_mov_b32_e32 v4, s5
	v_add_co_u32_e32 v2, vcc, s4, v2
	v_lshlrev_b32_e32 v6, 4, v1
	v_addc_co_u32_e32 v3, vcc, v4, v3, vcc
	v_add_co_u32_e32 v2, vcc, v2, v6
	v_addc_co_u32_e32 v3, vcc, 0, v3, vcc
	v_mov_b32_e32 v4, s17
	v_add_co_u32_e32 v2, vcc, s16, v2
	v_addc_co_u32_e32 v3, vcc, v4, v3, vcc
	v_lshlrev_b32_e32 v18, 9, v0
	v_or_b32_e32 v20, 0x4000, v6
	v_add_co_u32_e32 v15, vcc, 8, v2
	v_add_u32_e32 v19, v18, v6
	v_add_u32_e32 v21, v20, v18
	v_addc_co_u32_e32 v16, vcc, 0, v3, vcc
	s_mov_b64 s[8:9], 0
	s_branch .LBB1385_5
.LBB1385_4:                             ;   in Loop: Header=BB1385_5 Depth=1
	s_or_b64 exec, exec, s[4:5]
	s_add_u32 s8, s8, 32
	v_add_co_u32_e32 v13, vcc, 0x200, v13
	v_mov_b32_e32 v2, s12
	s_addc_u32 s9, s9, 0
	v_addc_co_u32_e32 v14, vcc, 0, v14, vcc
	v_mov_b32_e32 v3, s13
	v_add_co_u32_e32 v15, vcc, 0x200, v15
	v_cmp_ge_i64_e64 s[4:5], s[8:9], v[2:3]
	v_addc_co_u32_e32 v16, vcc, 0, v16, vcc
	s_and_b64 vcc, exec, s[4:5]
	s_waitcnt vmcnt(0)
	s_barrier
	s_cbranch_vccnz .LBB1385_11
.LBB1385_5:                             ; =>This Inner Loop Header: Depth=1
	v_mov_b32_e32 v3, s9
	v_add_co_u32_e32 v2, vcc, s8, v1
	v_addc_co_u32_e32 v3, vcc, 0, v3, vcc
	v_cmp_gt_i64_e32 vcc, s[12:13], v[2:3]
	v_mov_b32_e32 v2, 0
	v_mov_b32_e32 v4, 0
	v_mov_b32_e32 v6, 0
	v_mov_b32_e32 v3, 0
	v_mov_b32_e32 v5, 0
	v_mov_b32_e32 v7, 0
	s_and_b64 s[16:17], s[0:1], vcc
	s_and_saveexec_b64 s[4:5], s[16:17]
	s_cbranch_execz .LBB1385_7
; %bb.6:                                ;   in Loop: Header=BB1385_5 Depth=1
	global_load_dwordx4 v[4:7], v[15:16], off offset:-8
	s_waitcnt vmcnt(0)
	v_xor_b32_e32 v7, 0x80000000, v7
.LBB1385_7:                             ;   in Loop: Header=BB1385_5 Depth=1
	s_or_b64 exec, exec, s[4:5]
	ds_write_b128 v19, v[4:7]
	v_mov_b32_e32 v5, s9
	v_add_co_u32_e32 v4, vcc, s8, v0
	v_addc_co_u32_e32 v5, vcc, 0, v5, vcc
	v_cmp_gt_i64_e32 vcc, s[12:13], v[4:5]
	v_mov_b32_e32 v4, 0
	v_mov_b32_e32 v5, 0
	s_and_b64 s[16:17], s[2:3], vcc
	s_and_saveexec_b64 s[4:5], s[16:17]
	s_cbranch_execz .LBB1385_9
; %bb.8:                                ;   in Loop: Header=BB1385_5 Depth=1
	global_load_dwordx4 v[2:5], v[13:14], off offset:-8
.LBB1385_9:                             ;   in Loop: Header=BB1385_5 Depth=1
	s_or_b64 exec, exec, s[4:5]
	s_waitcnt vmcnt(0)
	ds_write_b128 v21, v[2:5]
	s_waitcnt lgkmcnt(0)
	s_barrier
	s_and_saveexec_b64 s[4:5], s[6:7]
	s_cbranch_execz .LBB1385_4
; %bb.10:                               ;   in Loop: Header=BB1385_5 Depth=1
	ds_read_b128 v[22:25], v20
	ds_read_b128 v[26:29], v18
	ds_read_b128 v[30:33], v18 offset:16
	ds_read_b128 v[34:37], v18 offset:32
	;; [unrolled: 1-line block ×3, first 2 shown]
	s_waitcnt lgkmcnt(3)
	v_mul_f64 v[6:7], v[24:25], v[28:29]
	v_fma_f64 v[6:7], v[22:23], v[26:27], -v[6:7]
	v_mul_f64 v[22:23], v[22:23], v[28:29]
	v_add_f64 v[6:7], v[6:7], 0
	v_fma_f64 v[22:23], v[24:25], v[26:27], v[22:23]
	v_add_f64 v[26:27], v[22:23], 0
	ds_read_b128 v[22:25], v20 offset:512
	s_waitcnt lgkmcnt(0)
	v_mul_f64 v[28:29], v[24:25], v[32:33]
	v_fma_f64 v[28:29], v[22:23], v[30:31], -v[28:29]
	v_mul_f64 v[22:23], v[22:23], v[32:33]
	v_add_f64 v[6:7], v[6:7], v[28:29]
	v_fma_f64 v[22:23], v[24:25], v[30:31], v[22:23]
	v_add_f64 v[26:27], v[26:27], v[22:23]
	ds_read_b128 v[22:25], v20 offset:1024
	;; [unrolled: 8-line block ×3, first 2 shown]
	s_waitcnt lgkmcnt(0)
	v_mul_f64 v[28:29], v[24:25], v[4:5]
	v_mul_f64 v[4:5], v[22:23], v[4:5]
	v_fma_f64 v[28:29], v[22:23], v[2:3], -v[28:29]
	v_fma_f64 v[2:3], v[24:25], v[2:3], v[4:5]
	v_add_f64 v[6:7], v[6:7], v[28:29]
	v_add_f64 v[26:27], v[26:27], v[2:3]
	ds_read_b128 v[2:5], v20 offset:2048
	ds_read_b128 v[22:25], v18 offset:64
	s_waitcnt lgkmcnt(0)
	v_mul_f64 v[28:29], v[4:5], v[24:25]
	v_fma_f64 v[28:29], v[2:3], v[22:23], -v[28:29]
	v_mul_f64 v[2:3], v[2:3], v[24:25]
	v_add_f64 v[6:7], v[6:7], v[28:29]
	v_fma_f64 v[2:3], v[4:5], v[22:23], v[2:3]
	v_add_f64 v[26:27], v[26:27], v[2:3]
	ds_read_b128 v[2:5], v20 offset:2560
	ds_read_b128 v[22:25], v18 offset:80
	s_waitcnt lgkmcnt(0)
	v_mul_f64 v[28:29], v[4:5], v[24:25]
	v_fma_f64 v[28:29], v[2:3], v[22:23], -v[28:29]
	v_mul_f64 v[2:3], v[2:3], v[24:25]
	v_add_f64 v[6:7], v[6:7], v[28:29]
	v_fma_f64 v[2:3], v[4:5], v[22:23], v[2:3]
	;; [unrolled: 9-line block ×27, first 2 shown]
	v_add_f64 v[26:27], v[26:27], v[2:3]
	ds_read_b128 v[2:5], v20 offset:15872
	ds_read_b128 v[22:25], v18 offset:496
	s_waitcnt lgkmcnt(0)
	v_mul_f64 v[28:29], v[4:5], v[24:25]
	v_fma_f64 v[28:29], v[2:3], v[22:23], -v[28:29]
	v_mul_f64 v[2:3], v[2:3], v[24:25]
	v_fma_f64 v[2:3], v[4:5], v[22:23], v[2:3]
	global_load_dwordx4 v[22:25], v[11:12], off
	v_add_f64 v[4:5], v[6:7], v[28:29]
	v_add_f64 v[6:7], v[26:27], v[2:3]
	v_mul_f64 v[2:3], s[30:31], v[6:7]
	v_mul_f64 v[6:7], s[28:29], v[6:7]
	v_fma_f64 v[2:3], s[28:29], v[4:5], -v[2:3]
	v_fma_f64 v[4:5], s[30:31], v[4:5], v[6:7]
	s_waitcnt vmcnt(0)
	v_add_f64 v[2:3], v[22:23], v[2:3]
	v_add_f64 v[4:5], v[24:25], v[4:5]
	global_store_dwordx4 v[11:12], v[2:5], off
	s_branch .LBB1385_4
.LBB1385_11:
	v_cmp_eq_u32_e32 vcc, v8, v10
	v_cmp_gt_i32_e64 s[0:1], s11, v8
	s_and_b64 s[0:1], vcc, s[0:1]
	s_and_saveexec_b64 s[2:3], s[0:1]
	s_cbranch_execz .LBB1385_13
; %bb.12:
	v_mul_lo_u32 v2, s39, v8
	v_mul_lo_u32 v3, s38, v17
	v_mad_u64_u32 v[0:1], s[0:1], s38, v8, 0
	v_mov_b32_e32 v9, v17
	v_add3_u32 v1, v1, v3, v2
	v_lshlrev_b64 v[0:1], 4, v[0:1]
	v_mov_b32_e32 v2, s14
	v_add_co_u32_e32 v3, vcc, s10, v0
	v_addc_co_u32_e32 v2, vcc, v2, v1, vcc
	v_lshlrev_b64 v[0:1], 4, v[8:9]
	v_add_co_u32_e32 v0, vcc, v3, v0
	v_addc_co_u32_e32 v1, vcc, v2, v1, vcc
	v_mov_b32_e32 v2, 0
	v_mov_b32_e32 v3, v2
	global_store_dwordx2 v[0:1], v[2:3], off offset:8
.LBB1385_13:
	s_endpgm
	.section	.rodata,"a",@progbits
	.p2align	6, 0x0
	.amdhsa_kernel _ZL26rocblas_syr2k_her2k_kernelIlLb0ELb1ELb1ELi32EPK19rocblas_complex_numIdES3_PS1_EvbiT_T4_T5_S5_lS7_S5_lT6_S5_li
		.amdhsa_group_segment_fixed_size 32768
		.amdhsa_private_segment_fixed_size 0
		.amdhsa_kernarg_size 100
		.amdhsa_user_sgpr_count 6
		.amdhsa_user_sgpr_private_segment_buffer 1
		.amdhsa_user_sgpr_dispatch_ptr 0
		.amdhsa_user_sgpr_queue_ptr 0
		.amdhsa_user_sgpr_kernarg_segment_ptr 1
		.amdhsa_user_sgpr_dispatch_id 0
		.amdhsa_user_sgpr_flat_scratch_init 0
		.amdhsa_user_sgpr_private_segment_size 0
		.amdhsa_uses_dynamic_stack 0
		.amdhsa_system_sgpr_private_segment_wavefront_offset 0
		.amdhsa_system_sgpr_workgroup_id_x 1
		.amdhsa_system_sgpr_workgroup_id_y 1
		.amdhsa_system_sgpr_workgroup_id_z 1
		.amdhsa_system_sgpr_workgroup_info 0
		.amdhsa_system_vgpr_workitem_id 1
		.amdhsa_next_free_vgpr 38
		.amdhsa_next_free_sgpr 61
		.amdhsa_reserve_vcc 1
		.amdhsa_reserve_flat_scratch 0
		.amdhsa_float_round_mode_32 0
		.amdhsa_float_round_mode_16_64 0
		.amdhsa_float_denorm_mode_32 3
		.amdhsa_float_denorm_mode_16_64 3
		.amdhsa_dx10_clamp 1
		.amdhsa_ieee_mode 1
		.amdhsa_fp16_overflow 0
		.amdhsa_exception_fp_ieee_invalid_op 0
		.amdhsa_exception_fp_denorm_src 0
		.amdhsa_exception_fp_ieee_div_zero 0
		.amdhsa_exception_fp_ieee_overflow 0
		.amdhsa_exception_fp_ieee_underflow 0
		.amdhsa_exception_fp_ieee_inexact 0
		.amdhsa_exception_int_div_zero 0
	.end_amdhsa_kernel
	.section	.text._ZL26rocblas_syr2k_her2k_kernelIlLb0ELb1ELb1ELi32EPK19rocblas_complex_numIdES3_PS1_EvbiT_T4_T5_S5_lS7_S5_lT6_S5_li,"axG",@progbits,_ZL26rocblas_syr2k_her2k_kernelIlLb0ELb1ELb1ELi32EPK19rocblas_complex_numIdES3_PS1_EvbiT_T4_T5_S5_lS7_S5_lT6_S5_li,comdat
.Lfunc_end1385:
	.size	_ZL26rocblas_syr2k_her2k_kernelIlLb0ELb1ELb1ELi32EPK19rocblas_complex_numIdES3_PS1_EvbiT_T4_T5_S5_lS7_S5_lT6_S5_li, .Lfunc_end1385-_ZL26rocblas_syr2k_her2k_kernelIlLb0ELb1ELb1ELi32EPK19rocblas_complex_numIdES3_PS1_EvbiT_T4_T5_S5_lS7_S5_lT6_S5_li
                                        ; -- End function
	.set _ZL26rocblas_syr2k_her2k_kernelIlLb0ELb1ELb1ELi32EPK19rocblas_complex_numIdES3_PS1_EvbiT_T4_T5_S5_lS7_S5_lT6_S5_li.num_vgpr, 38
	.set _ZL26rocblas_syr2k_her2k_kernelIlLb0ELb1ELb1ELi32EPK19rocblas_complex_numIdES3_PS1_EvbiT_T4_T5_S5_lS7_S5_lT6_S5_li.num_agpr, 0
	.set _ZL26rocblas_syr2k_her2k_kernelIlLb0ELb1ELb1ELi32EPK19rocblas_complex_numIdES3_PS1_EvbiT_T4_T5_S5_lS7_S5_lT6_S5_li.numbered_sgpr, 40
	.set _ZL26rocblas_syr2k_her2k_kernelIlLb0ELb1ELb1ELi32EPK19rocblas_complex_numIdES3_PS1_EvbiT_T4_T5_S5_lS7_S5_lT6_S5_li.num_named_barrier, 0
	.set _ZL26rocblas_syr2k_her2k_kernelIlLb0ELb1ELb1ELi32EPK19rocblas_complex_numIdES3_PS1_EvbiT_T4_T5_S5_lS7_S5_lT6_S5_li.private_seg_size, 0
	.set _ZL26rocblas_syr2k_her2k_kernelIlLb0ELb1ELb1ELi32EPK19rocblas_complex_numIdES3_PS1_EvbiT_T4_T5_S5_lS7_S5_lT6_S5_li.uses_vcc, 1
	.set _ZL26rocblas_syr2k_her2k_kernelIlLb0ELb1ELb1ELi32EPK19rocblas_complex_numIdES3_PS1_EvbiT_T4_T5_S5_lS7_S5_lT6_S5_li.uses_flat_scratch, 0
	.set _ZL26rocblas_syr2k_her2k_kernelIlLb0ELb1ELb1ELi32EPK19rocblas_complex_numIdES3_PS1_EvbiT_T4_T5_S5_lS7_S5_lT6_S5_li.has_dyn_sized_stack, 0
	.set _ZL26rocblas_syr2k_her2k_kernelIlLb0ELb1ELb1ELi32EPK19rocblas_complex_numIdES3_PS1_EvbiT_T4_T5_S5_lS7_S5_lT6_S5_li.has_recursion, 0
	.set _ZL26rocblas_syr2k_her2k_kernelIlLb0ELb1ELb1ELi32EPK19rocblas_complex_numIdES3_PS1_EvbiT_T4_T5_S5_lS7_S5_lT6_S5_li.has_indirect_call, 0
	.section	.AMDGPU.csdata,"",@progbits
; Kernel info:
; codeLenInByte = 3128
; TotalNumSgprs: 44
; NumVgprs: 38
; ScratchSize: 0
; MemoryBound: 1
; FloatMode: 240
; IeeeMode: 1
; LDSByteSize: 32768 bytes/workgroup (compile time only)
; SGPRBlocks: 8
; VGPRBlocks: 9
; NumSGPRsForWavesPerEU: 65
; NumVGPRsForWavesPerEU: 38
; Occupancy: 6
; WaveLimiterHint : 0
; COMPUTE_PGM_RSRC2:SCRATCH_EN: 0
; COMPUTE_PGM_RSRC2:USER_SGPR: 6
; COMPUTE_PGM_RSRC2:TRAP_HANDLER: 0
; COMPUTE_PGM_RSRC2:TGID_X_EN: 1
; COMPUTE_PGM_RSRC2:TGID_Y_EN: 1
; COMPUTE_PGM_RSRC2:TGID_Z_EN: 1
; COMPUTE_PGM_RSRC2:TIDIG_COMP_CNT: 1
	.section	.text._ZL26rocblas_syr2k_her2k_kernelIlLb0ELb0ELb0ELi32EfPKPKfPKPfEvbiT_T4_T5_S7_lS9_S7_lT6_S7_li,"axG",@progbits,_ZL26rocblas_syr2k_her2k_kernelIlLb0ELb0ELb0ELi32EfPKPKfPKPfEvbiT_T4_T5_S7_lS9_S7_lT6_S7_li,comdat
	.globl	_ZL26rocblas_syr2k_her2k_kernelIlLb0ELb0ELb0ELi32EfPKPKfPKPfEvbiT_T4_T5_S7_lS9_S7_lT6_S7_li ; -- Begin function _ZL26rocblas_syr2k_her2k_kernelIlLb0ELb0ELb0ELi32EfPKPKfPKPfEvbiT_T4_T5_S7_lS9_S7_lT6_S7_li
	.p2align	8
	.type	_ZL26rocblas_syr2k_her2k_kernelIlLb0ELb0ELb0ELi32EfPKPKfPKPfEvbiT_T4_T5_S7_lS9_S7_lT6_S7_li,@function
_ZL26rocblas_syr2k_her2k_kernelIlLb0ELb0ELb0ELi32EfPKPKfPKPfEvbiT_T4_T5_S7_lS9_S7_lT6_S7_li: ; @_ZL26rocblas_syr2k_her2k_kernelIlLb0ELb0ELb0ELi32EfPKPKfPKPfEvbiT_T4_T5_S7_lS9_S7_lT6_S7_li
; %bb.0:
	s_load_dword s33, s[4:5], 0x10
	s_waitcnt lgkmcnt(0)
	v_cmp_eq_f32_e64 s[0:1], s33, 0
	s_and_b64 vcc, exec, s[0:1]
	s_cbranch_vccnz .LBB1386_10
; %bb.1:
	s_load_dwordx4 s[28:31], s[4:5], 0x0
	s_lshl_b32 s3, s7, 5
	s_lshl_b32 s2, s6, 5
	s_waitcnt lgkmcnt(0)
	s_and_b32 s0, 1, s28
	s_cmp_eq_u32 s0, 1
	s_cselect_b64 s[0:1], -1, 0
	s_and_b64 s[6:7], s[0:1], exec
	s_cselect_b32 s6, s2, s3
	s_cselect_b32 s7, s3, s2
	s_cmp_gt_i32 s6, s7
	v_cmp_lt_i64_e64 s[6:7], s[30:31], 1
	s_cselect_b64 s[10:11], -1, 0
	s_or_b64 s[6:7], s[10:11], s[6:7]
	s_and_b64 vcc, exec, s[6:7]
	s_cbranch_vccnz .LBB1386_10
; %bb.2:
	s_load_dwordx16 s[12:27], s[4:5], 0x18
	s_mov_b32 s9, 0
	s_lshl_b64 s[6:7], s[8:9], 3
	s_load_dwordx2 s[4:5], s[4:5], 0x58
	v_add_u32_e32 v4, s3, v1
	s_waitcnt lgkmcnt(0)
	s_add_u32 s8, s12, s6
	s_addc_u32 s9, s13, s7
	s_add_u32 s12, s18, s6
	s_addc_u32 s13, s19, s7
	;; [unrolled: 2-line block ×3, first 2 shown]
	s_load_dwordx2 s[6:7], s[6:7], 0x0
	v_lshlrev_b32_e32 v8, 7, v0
	v_lshlrev_b32_e32 v2, 2, v1
	v_add_u32_e32 v9, v8, v2
	v_or_b32_e32 v10, 0x1000, v2
	v_ashrrev_i32_e32 v2, 31, v4
	v_add_u32_e32 v6, s2, v0
	s_lshl_b64 s[2:3], s[4:5], 2
	v_mul_lo_u32 v15, s26, v2
	v_mul_lo_u32 v16, s27, v4
	v_mad_u64_u32 v[2:3], s[4:5], s26, v4, 0
	v_cndmask_b32_e64 v12, v6, v4, s[0:1]
	v_cndmask_b32_e64 v13, v4, v6, s[0:1]
	v_max_i32_e32 v14, v6, v4
	s_load_dwordx2 s[10:11], s[8:9], 0x0
	s_load_dwordx2 s[18:19], s[12:13], 0x0
	s_waitcnt lgkmcnt(0)
	s_add_u32 s8, s6, s2
	v_cmp_gt_i32_e32 vcc, s29, v14
	v_cmp_le_i32_e64 s[4:5], v13, v12
	s_addc_u32 s9, s7, s3
	s_and_b64 s[6:7], s[4:5], vcc
	v_add3_u32 v3, v3, v15, v16
	v_mad_u64_u32 v[14:15], s[4:5], s20, v0, 0
	v_lshlrev_b64 v[2:3], 2, v[2:3]
	v_ashrrev_i32_e32 v13, 31, v6
	v_mov_b32_e32 v12, v6
	v_mov_b32_e32 v16, s9
	v_add_co_u32_e32 v17, vcc, s8, v2
	v_addc_co_u32_e32 v16, vcc, v16, v3, vcc
	v_lshlrev_b64 v[2:3], 2, v[12:13]
	v_mov_b32_e32 v12, v15
	v_mad_u64_u32 v[12:13], s[4:5], s21, v0, v[12:13]
	v_add_co_u32_e32 v2, vcc, v17, v2
	v_mov_b32_e32 v15, v12
	v_lshlrev_b64 v[12:13], 2, v[14:15]
	v_addc_co_u32_e32 v3, vcc, v16, v3, vcc
	s_lshl_b64 s[4:5], s[22:23], 2
	v_mov_b32_e32 v7, 0
	v_mov_b32_e32 v14, s5
	v_add_co_u32_e32 v15, vcc, s4, v12
	s_ashr_i32 s3, s29, 31
	s_mov_b32 s2, s29
	v_mov_b32_e32 v5, v7
	v_addc_co_u32_e32 v14, vcc, v13, v14, vcc
	v_mad_u64_u32 v[12:13], s[4:5], s14, v1, 0
	v_cmp_gt_i64_e64 s[0:1], s[2:3], v[6:7]
	v_cmp_gt_i64_e64 s[2:3], s[2:3], v[4:5]
	v_lshlrev_b64 v[4:5], 2, v[4:5]
	v_mov_b32_e32 v16, s19
	v_add_co_u32_e32 v15, vcc, v15, v4
	v_addc_co_u32_e32 v5, vcc, v14, v5, vcc
	v_mov_b32_e32 v4, v13
	v_mad_u64_u32 v[13:14], s[4:5], s15, v1, v[4:5]
	v_add_co_u32_e32 v4, vcc, s18, v15
	v_lshlrev_b64 v[12:13], 2, v[12:13]
	v_addc_co_u32_e32 v5, vcc, v16, v5, vcc
	s_lshl_b64 s[4:5], s[16:17], 2
	v_mov_b32_e32 v14, s5
	v_add_co_u32_e32 v12, vcc, s4, v12
	v_lshlrev_b64 v[6:7], 2, v[6:7]
	v_addc_co_u32_e32 v13, vcc, v13, v14, vcc
	v_add_co_u32_e32 v6, vcc, v12, v6
	v_addc_co_u32_e32 v7, vcc, v13, v7, vcc
	v_mov_b32_e32 v12, s11
	v_add_co_u32_e32 v6, vcc, s10, v6
	v_add_u32_e32 v11, v10, v8
	s_lshl_b64 s[8:9], s[20:21], 7
	v_addc_co_u32_e32 v7, vcc, v12, v7, vcc
	s_lshl_b64 s[10:11], s[14:15], 7
	s_mov_b64 s[12:13], 0
	v_add_u32_e32 v12, 0x400, v10
	v_add_u32_e32 v13, 0x800, v10
	;; [unrolled: 1-line block ×3, first 2 shown]
	s_branch .LBB1386_4
.LBB1386_3:                             ;   in Loop: Header=BB1386_4 Depth=1
	s_or_b64 exec, exec, s[4:5]
	v_mov_b32_e32 v15, s9
	v_add_co_u32_e32 v4, vcc, s8, v4
	s_add_u32 s12, s12, 32
	v_addc_co_u32_e32 v5, vcc, v5, v15, vcc
	v_mov_b32_e32 v15, s30
	s_addc_u32 s13, s13, 0
	v_mov_b32_e32 v16, s31
	v_cmp_lt_i64_e32 vcc, s[12:13], v[15:16]
	v_mov_b32_e32 v17, s11
	v_add_co_u32_e64 v6, s[4:5], s10, v6
	v_addc_co_u32_e64 v7, s[4:5], v7, v17, s[4:5]
	s_waitcnt vmcnt(0) lgkmcnt(0)
	s_barrier
	s_cbranch_vccz .LBB1386_10
.LBB1386_4:                             ; =>This Inner Loop Header: Depth=1
	v_mov_b32_e32 v16, s13
	v_add_co_u32_e32 v15, vcc, s12, v1
	v_addc_co_u32_e32 v16, vcc, 0, v16, vcc
	v_cmp_gt_i64_e32 vcc, s[30:31], v[15:16]
	v_mov_b32_e32 v15, 0
	s_and_b64 s[14:15], s[0:1], vcc
	s_and_saveexec_b64 s[4:5], s[14:15]
	s_cbranch_execz .LBB1386_6
; %bb.5:                                ;   in Loop: Header=BB1386_4 Depth=1
	flat_load_dword v15, v[6:7]
.LBB1386_6:                             ;   in Loop: Header=BB1386_4 Depth=1
	s_or_b64 exec, exec, s[4:5]
	v_mov_b32_e32 v17, s13
	v_add_co_u32_e32 v16, vcc, s12, v0
	v_addc_co_u32_e32 v17, vcc, 0, v17, vcc
	v_cmp_gt_i64_e32 vcc, s[30:31], v[16:17]
	s_waitcnt vmcnt(0) lgkmcnt(0)
	ds_write_b32 v9, v15
	s_and_b64 s[14:15], s[2:3], vcc
	v_mov_b32_e32 v15, 0
	s_and_saveexec_b64 s[4:5], s[14:15]
	s_cbranch_execz .LBB1386_8
; %bb.7:                                ;   in Loop: Header=BB1386_4 Depth=1
	flat_load_dword v15, v[4:5]
.LBB1386_8:                             ;   in Loop: Header=BB1386_4 Depth=1
	s_or_b64 exec, exec, s[4:5]
	s_waitcnt vmcnt(0) lgkmcnt(0)
	ds_write_b32 v11, v15
	s_waitcnt lgkmcnt(0)
	s_barrier
	s_and_saveexec_b64 s[4:5], s[6:7]
	s_cbranch_execz .LBB1386_3
; %bb.9:                                ;   in Loop: Header=BB1386_4 Depth=1
	flat_load_dword v27, v[2:3]
	ds_read_b128 v[15:18], v8
	ds_read2_b32 v[23:24], v10 offset1:32
	ds_read2_b32 v[25:26], v10 offset0:64 offset1:96
	ds_read_b128 v[19:22], v8 offset:16
	s_waitcnt lgkmcnt(0)
	v_fma_f32 v28, v15, v23, 0
	v_fmac_f32_e32 v28, v16, v24
	ds_read2_b32 v[23:24], v10 offset0:128 offset1:160
	v_fmac_f32_e32 v28, v17, v25
	v_fmac_f32_e32 v28, v18, v26
	ds_read2_b32 v[25:26], v10 offset0:192 offset1:224
	ds_read_b128 v[15:18], v8 offset:32
	s_waitcnt lgkmcnt(0)
	v_fmac_f32_e32 v28, v19, v23
	v_fmac_f32_e32 v28, v20, v24
	ds_read2_b32 v[23:24], v12 offset1:32
	v_fmac_f32_e32 v28, v21, v25
	v_fmac_f32_e32 v28, v22, v26
	ds_read_b128 v[19:22], v8 offset:48
	ds_read2_b32 v[25:26], v12 offset0:64 offset1:96
	s_waitcnt lgkmcnt(0)
	v_fmac_f32_e32 v28, v15, v23
	v_fmac_f32_e32 v28, v16, v24
	ds_read2_b32 v[15:16], v12 offset0:128 offset1:160
	v_fmac_f32_e32 v28, v17, v25
	v_fmac_f32_e32 v28, v18, v26
	ds_read2_b32 v[23:24], v12 offset0:192 offset1:224
	s_waitcnt lgkmcnt(0)
	v_fmac_f32_e32 v28, v19, v15
	v_fmac_f32_e32 v28, v20, v16
	ds_read_b128 v[15:18], v8 offset:64
	ds_read2_b32 v[25:26], v13 offset1:32
	v_fmac_f32_e32 v28, v21, v23
	v_fmac_f32_e32 v28, v22, v24
	ds_read2_b32 v[23:24], v13 offset0:64 offset1:96
	ds_read_b128 v[19:22], v8 offset:80
	s_waitcnt lgkmcnt(0)
	v_fmac_f32_e32 v28, v15, v25
	v_fmac_f32_e32 v28, v16, v26
	ds_read2_b32 v[15:16], v13 offset0:128 offset1:160
	v_fmac_f32_e32 v28, v17, v23
	v_fmac_f32_e32 v28, v18, v24
	ds_read2_b32 v[23:24], v13 offset0:192 offset1:224
	s_waitcnt lgkmcnt(0)
	v_fmac_f32_e32 v28, v19, v15
	v_fmac_f32_e32 v28, v20, v16
	ds_read_b128 v[15:18], v8 offset:96
	ds_read2_b32 v[25:26], v14 offset1:32
	v_fmac_f32_e32 v28, v21, v23
	v_fmac_f32_e32 v28, v22, v24
	ds_read2_b32 v[23:24], v14 offset0:64 offset1:96
	ds_read_b128 v[19:22], v8 offset:112
	s_waitcnt lgkmcnt(0)
	v_fmac_f32_e32 v28, v15, v25
	v_fmac_f32_e32 v28, v16, v26
	ds_read2_b32 v[15:16], v14 offset0:128 offset1:160
	v_fmac_f32_e32 v28, v17, v23
	v_fmac_f32_e32 v28, v18, v24
	ds_read2_b32 v[17:18], v14 offset0:192 offset1:224
	s_waitcnt lgkmcnt(0)
	v_fmac_f32_e32 v28, v19, v15
	v_fmac_f32_e32 v28, v20, v16
	;; [unrolled: 1-line block ×4, first 2 shown]
	s_waitcnt vmcnt(0)
	v_fmac_f32_e32 v27, s33, v28
	flat_store_dword v[2:3], v27
	s_branch .LBB1386_3
.LBB1386_10:
	s_endpgm
	.section	.rodata,"a",@progbits
	.p2align	6, 0x0
	.amdhsa_kernel _ZL26rocblas_syr2k_her2k_kernelIlLb0ELb0ELb0ELi32EfPKPKfPKPfEvbiT_T4_T5_S7_lS9_S7_lT6_S7_li
		.amdhsa_group_segment_fixed_size 8192
		.amdhsa_private_segment_fixed_size 0
		.amdhsa_kernarg_size 100
		.amdhsa_user_sgpr_count 6
		.amdhsa_user_sgpr_private_segment_buffer 1
		.amdhsa_user_sgpr_dispatch_ptr 0
		.amdhsa_user_sgpr_queue_ptr 0
		.amdhsa_user_sgpr_kernarg_segment_ptr 1
		.amdhsa_user_sgpr_dispatch_id 0
		.amdhsa_user_sgpr_flat_scratch_init 0
		.amdhsa_user_sgpr_private_segment_size 0
		.amdhsa_uses_dynamic_stack 0
		.amdhsa_system_sgpr_private_segment_wavefront_offset 0
		.amdhsa_system_sgpr_workgroup_id_x 1
		.amdhsa_system_sgpr_workgroup_id_y 1
		.amdhsa_system_sgpr_workgroup_id_z 1
		.amdhsa_system_sgpr_workgroup_info 0
		.amdhsa_system_vgpr_workitem_id 1
		.amdhsa_next_free_vgpr 29
		.amdhsa_next_free_sgpr 61
		.amdhsa_reserve_vcc 1
		.amdhsa_reserve_flat_scratch 0
		.amdhsa_float_round_mode_32 0
		.amdhsa_float_round_mode_16_64 0
		.amdhsa_float_denorm_mode_32 3
		.amdhsa_float_denorm_mode_16_64 3
		.amdhsa_dx10_clamp 1
		.amdhsa_ieee_mode 1
		.amdhsa_fp16_overflow 0
		.amdhsa_exception_fp_ieee_invalid_op 0
		.amdhsa_exception_fp_denorm_src 0
		.amdhsa_exception_fp_ieee_div_zero 0
		.amdhsa_exception_fp_ieee_overflow 0
		.amdhsa_exception_fp_ieee_underflow 0
		.amdhsa_exception_fp_ieee_inexact 0
		.amdhsa_exception_int_div_zero 0
	.end_amdhsa_kernel
	.section	.text._ZL26rocblas_syr2k_her2k_kernelIlLb0ELb0ELb0ELi32EfPKPKfPKPfEvbiT_T4_T5_S7_lS9_S7_lT6_S7_li,"axG",@progbits,_ZL26rocblas_syr2k_her2k_kernelIlLb0ELb0ELb0ELi32EfPKPKfPKPfEvbiT_T4_T5_S7_lS9_S7_lT6_S7_li,comdat
.Lfunc_end1386:
	.size	_ZL26rocblas_syr2k_her2k_kernelIlLb0ELb0ELb0ELi32EfPKPKfPKPfEvbiT_T4_T5_S7_lS9_S7_lT6_S7_li, .Lfunc_end1386-_ZL26rocblas_syr2k_her2k_kernelIlLb0ELb0ELb0ELi32EfPKPKfPKPfEvbiT_T4_T5_S7_lS9_S7_lT6_S7_li
                                        ; -- End function
	.set _ZL26rocblas_syr2k_her2k_kernelIlLb0ELb0ELb0ELi32EfPKPKfPKPfEvbiT_T4_T5_S7_lS9_S7_lT6_S7_li.num_vgpr, 29
	.set _ZL26rocblas_syr2k_her2k_kernelIlLb0ELb0ELb0ELi32EfPKPKfPKPfEvbiT_T4_T5_S7_lS9_S7_lT6_S7_li.num_agpr, 0
	.set _ZL26rocblas_syr2k_her2k_kernelIlLb0ELb0ELb0ELi32EfPKPKfPKPfEvbiT_T4_T5_S7_lS9_S7_lT6_S7_li.numbered_sgpr, 34
	.set _ZL26rocblas_syr2k_her2k_kernelIlLb0ELb0ELb0ELi32EfPKPKfPKPfEvbiT_T4_T5_S7_lS9_S7_lT6_S7_li.num_named_barrier, 0
	.set _ZL26rocblas_syr2k_her2k_kernelIlLb0ELb0ELb0ELi32EfPKPKfPKPfEvbiT_T4_T5_S7_lS9_S7_lT6_S7_li.private_seg_size, 0
	.set _ZL26rocblas_syr2k_her2k_kernelIlLb0ELb0ELb0ELi32EfPKPKfPKPfEvbiT_T4_T5_S7_lS9_S7_lT6_S7_li.uses_vcc, 1
	.set _ZL26rocblas_syr2k_her2k_kernelIlLb0ELb0ELb0ELi32EfPKPKfPKPfEvbiT_T4_T5_S7_lS9_S7_lT6_S7_li.uses_flat_scratch, 0
	.set _ZL26rocblas_syr2k_her2k_kernelIlLb0ELb0ELb0ELi32EfPKPKfPKPfEvbiT_T4_T5_S7_lS9_S7_lT6_S7_li.has_dyn_sized_stack, 0
	.set _ZL26rocblas_syr2k_her2k_kernelIlLb0ELb0ELb0ELi32EfPKPKfPKPfEvbiT_T4_T5_S7_lS9_S7_lT6_S7_li.has_recursion, 0
	.set _ZL26rocblas_syr2k_her2k_kernelIlLb0ELb0ELb0ELi32EfPKPKfPKPfEvbiT_T4_T5_S7_lS9_S7_lT6_S7_li.has_indirect_call, 0
	.section	.AMDGPU.csdata,"",@progbits
; Kernel info:
; codeLenInByte = 1144
; TotalNumSgprs: 38
; NumVgprs: 29
; ScratchSize: 0
; MemoryBound: 0
; FloatMode: 240
; IeeeMode: 1
; LDSByteSize: 8192 bytes/workgroup (compile time only)
; SGPRBlocks: 8
; VGPRBlocks: 7
; NumSGPRsForWavesPerEU: 65
; NumVGPRsForWavesPerEU: 29
; Occupancy: 8
; WaveLimiterHint : 1
; COMPUTE_PGM_RSRC2:SCRATCH_EN: 0
; COMPUTE_PGM_RSRC2:USER_SGPR: 6
; COMPUTE_PGM_RSRC2:TRAP_HANDLER: 0
; COMPUTE_PGM_RSRC2:TGID_X_EN: 1
; COMPUTE_PGM_RSRC2:TGID_Y_EN: 1
; COMPUTE_PGM_RSRC2:TGID_Z_EN: 1
; COMPUTE_PGM_RSRC2:TIDIG_COMP_CNT: 1
	.section	.text._ZL26rocblas_syr2k_her2k_kernelIlLb0ELb0ELb1ELi32EfPKPKfPKPfEvbiT_T4_T5_S7_lS9_S7_lT6_S7_li,"axG",@progbits,_ZL26rocblas_syr2k_her2k_kernelIlLb0ELb0ELb1ELi32EfPKPKfPKPfEvbiT_T4_T5_S7_lS9_S7_lT6_S7_li,comdat
	.globl	_ZL26rocblas_syr2k_her2k_kernelIlLb0ELb0ELb1ELi32EfPKPKfPKPfEvbiT_T4_T5_S7_lS9_S7_lT6_S7_li ; -- Begin function _ZL26rocblas_syr2k_her2k_kernelIlLb0ELb0ELb1ELi32EfPKPKfPKPfEvbiT_T4_T5_S7_lS9_S7_lT6_S7_li
	.p2align	8
	.type	_ZL26rocblas_syr2k_her2k_kernelIlLb0ELb0ELb1ELi32EfPKPKfPKPfEvbiT_T4_T5_S7_lS9_S7_lT6_S7_li,@function
_ZL26rocblas_syr2k_her2k_kernelIlLb0ELb0ELb1ELi32EfPKPKfPKPfEvbiT_T4_T5_S7_lS9_S7_lT6_S7_li: ; @_ZL26rocblas_syr2k_her2k_kernelIlLb0ELb0ELb1ELi32EfPKPKfPKPfEvbiT_T4_T5_S7_lS9_S7_lT6_S7_li
; %bb.0:
	s_load_dword s10, s[4:5], 0x10
	s_waitcnt lgkmcnt(0)
	v_cmp_eq_f32_e64 s[0:1], s10, 0
	s_and_b64 vcc, exec, s[0:1]
	s_cbranch_vccnz .LBB1387_10
; %bb.1:
	s_load_dwordx4 s[28:31], s[4:5], 0x0
	s_lshl_b32 s3, s7, 5
	s_lshl_b32 s2, s6, 5
	s_waitcnt lgkmcnt(0)
	s_and_b32 s0, 1, s28
	s_cmp_eq_u32 s0, 1
	s_cselect_b64 s[0:1], -1, 0
	s_and_b64 s[6:7], s[0:1], exec
	s_cselect_b32 s6, s2, s3
	s_cselect_b32 s7, s3, s2
	s_cmp_gt_i32 s6, s7
	v_cmp_lt_i64_e64 s[6:7], s[30:31], 1
	s_cselect_b64 s[12:13], -1, 0
	s_or_b64 s[6:7], s[12:13], s[6:7]
	s_and_b64 vcc, exec, s[6:7]
	s_cbranch_vccnz .LBB1387_10
; %bb.2:
	s_load_dwordx16 s[12:27], s[4:5], 0x18
	s_mov_b32 s9, 0
	s_lshl_b64 s[6:7], s[8:9], 3
	s_load_dwordx2 s[4:5], s[4:5], 0x58
	v_add_u32_e32 v2, s3, v1
	s_waitcnt lgkmcnt(0)
	s_add_u32 s8, s12, s6
	s_addc_u32 s9, s13, s7
	s_add_u32 s12, s18, s6
	s_addc_u32 s13, s19, s7
	s_add_u32 s6, s24, s6
	s_addc_u32 s7, s25, s7
	s_load_dwordx2 s[6:7], s[6:7], 0x0
	v_add_u32_e32 v4, s2, v0
	s_lshl_b64 s[2:3], s[4:5], 2
	s_load_dwordx2 s[18:19], s[8:9], 0x0
	s_load_dwordx2 s[24:25], s[12:13], 0x0
	v_mov_b32_e32 v5, 0
	s_waitcnt lgkmcnt(0)
	s_add_u32 s8, s6, s2
	s_addc_u32 s9, s7, s3
	s_ashr_i32 s3, s29, 31
	s_mov_b32 s2, s29
	v_cndmask_b32_e64 v12, v4, v2, s[0:1]
	v_cndmask_b32_e64 v13, v2, v4, s[0:1]
	v_cmp_gt_i64_e64 s[0:1], s[2:3], v[4:5]
	v_mov_b32_e32 v3, v5
	v_ashrrev_i32_e32 v5, 31, v2
	v_mul_lo_u32 v5, s26, v5
	v_mul_lo_u32 v14, s27, v2
	v_mad_u64_u32 v[6:7], s[4:5], s26, v2, 0
	v_cmp_gt_i64_e64 s[2:3], s[2:3], v[2:3]
	v_max_i32_e32 v3, v4, v2
	v_cmp_gt_i32_e32 vcc, s29, v3
	v_cmp_le_i32_e64 s[4:5], v13, v12
	s_and_b64 s[6:7], s[4:5], vcc
	v_add3_u32 v7, v7, v5, v14
	v_mad_u64_u32 v[12:13], s[4:5], s20, v2, 0
	v_lshlrev_b64 v[6:7], 2, v[6:7]
	v_mov_b32_e32 v3, s9
	v_add_co_u32_e32 v16, vcc, s8, v6
	v_addc_co_u32_e32 v7, vcc, v3, v7, vcc
	v_mov_b32_e32 v3, v13
	v_ashrrev_i32_e32 v5, 31, v4
	v_mad_u64_u32 v[13:14], s[4:5], s21, v2, v[3:4]
	v_lshlrev_b64 v[5:6], 2, v[4:5]
	s_lshl_b64 s[4:5], s[22:23], 2
	v_add_co_u32_e32 v2, vcc, v16, v5
	v_addc_co_u32_e32 v3, vcc, v7, v6, vcc
	v_lshlrev_b64 v[5:6], 2, v[12:13]
	v_mov_b32_e32 v7, s5
	v_add_co_u32_e32 v5, vcc, s4, v5
	v_addc_co_u32_e32 v12, vcc, v6, v7, vcc
	v_mad_u64_u32 v[6:7], s[4:5], s14, v4, 0
	v_lshlrev_b32_e32 v13, 2, v0
	v_add_co_u32_e32 v14, vcc, v5, v13
	v_mov_b32_e32 v5, v7
	v_addc_co_u32_e32 v16, vcc, 0, v12, vcc
	v_mad_u64_u32 v[12:13], s[4:5], s15, v4, v[5:6]
	v_mov_b32_e32 v17, s25
	v_add_co_u32_e32 v4, vcc, s24, v14
	v_mov_b32_e32 v7, v12
	v_lshlrev_b64 v[6:7], 2, v[6:7]
	v_addc_co_u32_e32 v5, vcc, v17, v16, vcc
	s_lshl_b64 s[4:5], s[16:17], 2
	v_mov_b32_e32 v12, s5
	v_add_co_u32_e32 v6, vcc, s4, v6
	v_lshlrev_b32_e32 v15, 2, v1
	v_addc_co_u32_e32 v7, vcc, v7, v12, vcc
	v_add_co_u32_e32 v6, vcc, v6, v15
	v_addc_co_u32_e32 v7, vcc, 0, v7, vcc
	v_lshlrev_b32_e32 v8, 7, v0
	v_or_b32_e32 v10, 0x1000, v15
	v_mov_b32_e32 v12, s19
	v_add_co_u32_e32 v6, vcc, s18, v6
	v_add_u32_e32 v9, v8, v15
	v_add_u32_e32 v11, v10, v8
	v_addc_co_u32_e32 v7, vcc, v12, v7, vcc
	s_mov_b64 s[8:9], 0
	v_add_u32_e32 v12, 0x400, v10
	v_add_u32_e32 v13, 0x800, v10
	;; [unrolled: 1-line block ×3, first 2 shown]
	s_branch .LBB1387_4
.LBB1387_3:                             ;   in Loop: Header=BB1387_4 Depth=1
	s_or_b64 exec, exec, s[4:5]
	s_add_u32 s8, s8, 32
	v_add_co_u32_e32 v4, vcc, 0x80, v4
	v_mov_b32_e32 v15, s30
	s_addc_u32 s9, s9, 0
	v_addc_co_u32_e32 v5, vcc, 0, v5, vcc
	v_mov_b32_e32 v16, s31
	v_add_co_u32_e32 v6, vcc, 0x80, v6
	v_cmp_lt_i64_e64 s[4:5], s[8:9], v[15:16]
	v_addc_co_u32_e32 v7, vcc, 0, v7, vcc
	s_and_b64 vcc, exec, s[4:5]
	s_waitcnt vmcnt(0) lgkmcnt(0)
	s_barrier
	s_cbranch_vccz .LBB1387_10
.LBB1387_4:                             ; =>This Inner Loop Header: Depth=1
	v_mov_b32_e32 v16, s9
	v_add_co_u32_e32 v15, vcc, s8, v1
	v_addc_co_u32_e32 v16, vcc, 0, v16, vcc
	v_cmp_gt_i64_e32 vcc, s[30:31], v[15:16]
	v_mov_b32_e32 v15, 0
	s_and_b64 s[12:13], s[0:1], vcc
	s_and_saveexec_b64 s[4:5], s[12:13]
	s_cbranch_execz .LBB1387_6
; %bb.5:                                ;   in Loop: Header=BB1387_4 Depth=1
	flat_load_dword v15, v[6:7]
.LBB1387_6:                             ;   in Loop: Header=BB1387_4 Depth=1
	s_or_b64 exec, exec, s[4:5]
	v_mov_b32_e32 v17, s9
	v_add_co_u32_e32 v16, vcc, s8, v0
	v_addc_co_u32_e32 v17, vcc, 0, v17, vcc
	v_cmp_gt_i64_e32 vcc, s[30:31], v[16:17]
	s_waitcnt vmcnt(0) lgkmcnt(0)
	ds_write_b32 v9, v15
	s_and_b64 s[12:13], s[2:3], vcc
	v_mov_b32_e32 v15, 0
	s_and_saveexec_b64 s[4:5], s[12:13]
	s_cbranch_execz .LBB1387_8
; %bb.7:                                ;   in Loop: Header=BB1387_4 Depth=1
	flat_load_dword v15, v[4:5]
.LBB1387_8:                             ;   in Loop: Header=BB1387_4 Depth=1
	s_or_b64 exec, exec, s[4:5]
	s_waitcnt vmcnt(0) lgkmcnt(0)
	ds_write_b32 v11, v15
	s_waitcnt lgkmcnt(0)
	s_barrier
	s_and_saveexec_b64 s[4:5], s[6:7]
	s_cbranch_execz .LBB1387_3
; %bb.9:                                ;   in Loop: Header=BB1387_4 Depth=1
	flat_load_dword v27, v[2:3]
	ds_read_b128 v[15:18], v8
	ds_read2_b32 v[23:24], v10 offset1:32
	ds_read2_b32 v[25:26], v10 offset0:64 offset1:96
	ds_read_b128 v[19:22], v8 offset:16
	s_waitcnt lgkmcnt(0)
	v_fma_f32 v28, v15, v23, 0
	v_fmac_f32_e32 v28, v16, v24
	ds_read2_b32 v[23:24], v10 offset0:128 offset1:160
	v_fmac_f32_e32 v28, v17, v25
	v_fmac_f32_e32 v28, v18, v26
	ds_read2_b32 v[25:26], v10 offset0:192 offset1:224
	ds_read_b128 v[15:18], v8 offset:32
	s_waitcnt lgkmcnt(0)
	v_fmac_f32_e32 v28, v19, v23
	v_fmac_f32_e32 v28, v20, v24
	ds_read2_b32 v[23:24], v12 offset1:32
	v_fmac_f32_e32 v28, v21, v25
	v_fmac_f32_e32 v28, v22, v26
	ds_read_b128 v[19:22], v8 offset:48
	ds_read2_b32 v[25:26], v12 offset0:64 offset1:96
	s_waitcnt lgkmcnt(0)
	v_fmac_f32_e32 v28, v15, v23
	v_fmac_f32_e32 v28, v16, v24
	ds_read2_b32 v[15:16], v12 offset0:128 offset1:160
	v_fmac_f32_e32 v28, v17, v25
	v_fmac_f32_e32 v28, v18, v26
	ds_read2_b32 v[23:24], v12 offset0:192 offset1:224
	s_waitcnt lgkmcnt(0)
	v_fmac_f32_e32 v28, v19, v15
	v_fmac_f32_e32 v28, v20, v16
	ds_read_b128 v[15:18], v8 offset:64
	ds_read2_b32 v[25:26], v13 offset1:32
	v_fmac_f32_e32 v28, v21, v23
	v_fmac_f32_e32 v28, v22, v24
	ds_read2_b32 v[23:24], v13 offset0:64 offset1:96
	ds_read_b128 v[19:22], v8 offset:80
	s_waitcnt lgkmcnt(0)
	v_fmac_f32_e32 v28, v15, v25
	v_fmac_f32_e32 v28, v16, v26
	ds_read2_b32 v[15:16], v13 offset0:128 offset1:160
	v_fmac_f32_e32 v28, v17, v23
	v_fmac_f32_e32 v28, v18, v24
	ds_read2_b32 v[23:24], v13 offset0:192 offset1:224
	s_waitcnt lgkmcnt(0)
	v_fmac_f32_e32 v28, v19, v15
	v_fmac_f32_e32 v28, v20, v16
	ds_read_b128 v[15:18], v8 offset:96
	ds_read2_b32 v[25:26], v14 offset1:32
	v_fmac_f32_e32 v28, v21, v23
	v_fmac_f32_e32 v28, v22, v24
	ds_read2_b32 v[23:24], v14 offset0:64 offset1:96
	ds_read_b128 v[19:22], v8 offset:112
	s_waitcnt lgkmcnt(0)
	v_fmac_f32_e32 v28, v15, v25
	v_fmac_f32_e32 v28, v16, v26
	ds_read2_b32 v[15:16], v14 offset0:128 offset1:160
	v_fmac_f32_e32 v28, v17, v23
	v_fmac_f32_e32 v28, v18, v24
	ds_read2_b32 v[17:18], v14 offset0:192 offset1:224
	s_waitcnt lgkmcnt(0)
	v_fmac_f32_e32 v28, v19, v15
	v_fmac_f32_e32 v28, v20, v16
	v_fmac_f32_e32 v28, v21, v17
	v_fmac_f32_e32 v28, v22, v18
	s_waitcnt vmcnt(0)
	v_fmac_f32_e32 v27, s10, v28
	flat_store_dword v[2:3], v27
	s_branch .LBB1387_3
.LBB1387_10:
	s_endpgm
	.section	.rodata,"a",@progbits
	.p2align	6, 0x0
	.amdhsa_kernel _ZL26rocblas_syr2k_her2k_kernelIlLb0ELb0ELb1ELi32EfPKPKfPKPfEvbiT_T4_T5_S7_lS9_S7_lT6_S7_li
		.amdhsa_group_segment_fixed_size 8192
		.amdhsa_private_segment_fixed_size 0
		.amdhsa_kernarg_size 100
		.amdhsa_user_sgpr_count 6
		.amdhsa_user_sgpr_private_segment_buffer 1
		.amdhsa_user_sgpr_dispatch_ptr 0
		.amdhsa_user_sgpr_queue_ptr 0
		.amdhsa_user_sgpr_kernarg_segment_ptr 1
		.amdhsa_user_sgpr_dispatch_id 0
		.amdhsa_user_sgpr_flat_scratch_init 0
		.amdhsa_user_sgpr_private_segment_size 0
		.amdhsa_uses_dynamic_stack 0
		.amdhsa_system_sgpr_private_segment_wavefront_offset 0
		.amdhsa_system_sgpr_workgroup_id_x 1
		.amdhsa_system_sgpr_workgroup_id_y 1
		.amdhsa_system_sgpr_workgroup_id_z 1
		.amdhsa_system_sgpr_workgroup_info 0
		.amdhsa_system_vgpr_workitem_id 1
		.amdhsa_next_free_vgpr 29
		.amdhsa_next_free_sgpr 61
		.amdhsa_reserve_vcc 1
		.amdhsa_reserve_flat_scratch 0
		.amdhsa_float_round_mode_32 0
		.amdhsa_float_round_mode_16_64 0
		.amdhsa_float_denorm_mode_32 3
		.amdhsa_float_denorm_mode_16_64 3
		.amdhsa_dx10_clamp 1
		.amdhsa_ieee_mode 1
		.amdhsa_fp16_overflow 0
		.amdhsa_exception_fp_ieee_invalid_op 0
		.amdhsa_exception_fp_denorm_src 0
		.amdhsa_exception_fp_ieee_div_zero 0
		.amdhsa_exception_fp_ieee_overflow 0
		.amdhsa_exception_fp_ieee_underflow 0
		.amdhsa_exception_fp_ieee_inexact 0
		.amdhsa_exception_int_div_zero 0
	.end_amdhsa_kernel
	.section	.text._ZL26rocblas_syr2k_her2k_kernelIlLb0ELb0ELb1ELi32EfPKPKfPKPfEvbiT_T4_T5_S7_lS9_S7_lT6_S7_li,"axG",@progbits,_ZL26rocblas_syr2k_her2k_kernelIlLb0ELb0ELb1ELi32EfPKPKfPKPfEvbiT_T4_T5_S7_lS9_S7_lT6_S7_li,comdat
.Lfunc_end1387:
	.size	_ZL26rocblas_syr2k_her2k_kernelIlLb0ELb0ELb1ELi32EfPKPKfPKPfEvbiT_T4_T5_S7_lS9_S7_lT6_S7_li, .Lfunc_end1387-_ZL26rocblas_syr2k_her2k_kernelIlLb0ELb0ELb1ELi32EfPKPKfPKPfEvbiT_T4_T5_S7_lS9_S7_lT6_S7_li
                                        ; -- End function
	.set _ZL26rocblas_syr2k_her2k_kernelIlLb0ELb0ELb1ELi32EfPKPKfPKPfEvbiT_T4_T5_S7_lS9_S7_lT6_S7_li.num_vgpr, 29
	.set _ZL26rocblas_syr2k_her2k_kernelIlLb0ELb0ELb1ELi32EfPKPKfPKPfEvbiT_T4_T5_S7_lS9_S7_lT6_S7_li.num_agpr, 0
	.set _ZL26rocblas_syr2k_her2k_kernelIlLb0ELb0ELb1ELi32EfPKPKfPKPfEvbiT_T4_T5_S7_lS9_S7_lT6_S7_li.numbered_sgpr, 32
	.set _ZL26rocblas_syr2k_her2k_kernelIlLb0ELb0ELb1ELi32EfPKPKfPKPfEvbiT_T4_T5_S7_lS9_S7_lT6_S7_li.num_named_barrier, 0
	.set _ZL26rocblas_syr2k_her2k_kernelIlLb0ELb0ELb1ELi32EfPKPKfPKPfEvbiT_T4_T5_S7_lS9_S7_lT6_S7_li.private_seg_size, 0
	.set _ZL26rocblas_syr2k_her2k_kernelIlLb0ELb0ELb1ELi32EfPKPKfPKPfEvbiT_T4_T5_S7_lS9_S7_lT6_S7_li.uses_vcc, 1
	.set _ZL26rocblas_syr2k_her2k_kernelIlLb0ELb0ELb1ELi32EfPKPKfPKPfEvbiT_T4_T5_S7_lS9_S7_lT6_S7_li.uses_flat_scratch, 0
	.set _ZL26rocblas_syr2k_her2k_kernelIlLb0ELb0ELb1ELi32EfPKPKfPKPfEvbiT_T4_T5_S7_lS9_S7_lT6_S7_li.has_dyn_sized_stack, 0
	.set _ZL26rocblas_syr2k_her2k_kernelIlLb0ELb0ELb1ELi32EfPKPKfPKPfEvbiT_T4_T5_S7_lS9_S7_lT6_S7_li.has_recursion, 0
	.set _ZL26rocblas_syr2k_her2k_kernelIlLb0ELb0ELb1ELi32EfPKPKfPKPfEvbiT_T4_T5_S7_lS9_S7_lT6_S7_li.has_indirect_call, 0
	.section	.AMDGPU.csdata,"",@progbits
; Kernel info:
; codeLenInByte = 1120
; TotalNumSgprs: 36
; NumVgprs: 29
; ScratchSize: 0
; MemoryBound: 0
; FloatMode: 240
; IeeeMode: 1
; LDSByteSize: 8192 bytes/workgroup (compile time only)
; SGPRBlocks: 8
; VGPRBlocks: 7
; NumSGPRsForWavesPerEU: 65
; NumVGPRsForWavesPerEU: 29
; Occupancy: 8
; WaveLimiterHint : 1
; COMPUTE_PGM_RSRC2:SCRATCH_EN: 0
; COMPUTE_PGM_RSRC2:USER_SGPR: 6
; COMPUTE_PGM_RSRC2:TRAP_HANDLER: 0
; COMPUTE_PGM_RSRC2:TGID_X_EN: 1
; COMPUTE_PGM_RSRC2:TGID_Y_EN: 1
; COMPUTE_PGM_RSRC2:TGID_Z_EN: 1
; COMPUTE_PGM_RSRC2:TIDIG_COMP_CNT: 1
	.section	.text._ZL37rocblas_syrkx_herkx_restricted_kernelIlfLi16ELi32ELi8ELi1ELi1ELb0ELc84ELc76EKPKfKPfEviT_PT9_S5_lS7_S5_lPT10_S5_li,"axG",@progbits,_ZL37rocblas_syrkx_herkx_restricted_kernelIlfLi16ELi32ELi8ELi1ELi1ELb0ELc84ELc76EKPKfKPfEviT_PT9_S5_lS7_S5_lPT10_S5_li,comdat
	.globl	_ZL37rocblas_syrkx_herkx_restricted_kernelIlfLi16ELi32ELi8ELi1ELi1ELb0ELc84ELc76EKPKfKPfEviT_PT9_S5_lS7_S5_lPT10_S5_li ; -- Begin function _ZL37rocblas_syrkx_herkx_restricted_kernelIlfLi16ELi32ELi8ELi1ELi1ELb0ELc84ELc76EKPKfKPfEviT_PT9_S5_lS7_S5_lPT10_S5_li
	.p2align	8
	.type	_ZL37rocblas_syrkx_herkx_restricted_kernelIlfLi16ELi32ELi8ELi1ELi1ELb0ELc84ELc76EKPKfKPfEviT_PT9_S5_lS7_S5_lPT10_S5_li,@function
_ZL37rocblas_syrkx_herkx_restricted_kernelIlfLi16ELi32ELi8ELi1ELi1ELb0ELc84ELc76EKPKfKPfEviT_PT9_S5_lS7_S5_lPT10_S5_li: ; @_ZL37rocblas_syrkx_herkx_restricted_kernelIlfLi16ELi32ELi8ELi1ELi1ELb0ELc84ELc76EKPKfKPfEviT_PT9_S5_lS7_S5_lPT10_S5_li
; %bb.0:
	s_load_dwordx4 s[12:15], s[4:5], 0x40
	s_load_dwordx4 s[16:19], s[4:5], 0x8
	s_mov_b32 s9, 0
	s_lshl_b64 s[0:1], s[8:9], 3
	s_waitcnt lgkmcnt(0)
	s_add_u32 s2, s12, s0
	s_addc_u32 s3, s13, s1
	s_load_dwordx2 s[8:9], s[2:3], 0x0
	v_cmp_lt_i64_e64 s[2:3], s[16:17], 1
	s_lshl_b32 s6, s6, 5
	s_lshl_b32 s7, s7, 5
	s_and_b64 vcc, exec, s[2:3]
	s_cbranch_vccnz .LBB1388_3
; %bb.1:
	s_load_dwordx2 s[2:3], s[4:5], 0x18
	s_load_dwordx4 s[20:23], s[4:5], 0x28
	v_lshl_add_u32 v4, v1, 4, v0
	v_lshrrev_b32_e32 v8, 3, v4
	v_add_u32_e32 v5, s7, v8
	v_ashrrev_i32_e32 v6, 31, v5
	v_and_b32_e32 v2, 7, v0
	v_mov_b32_e32 v3, 0
	s_waitcnt lgkmcnt(0)
	v_mul_lo_u32 v9, s22, v6
	v_mul_lo_u32 v10, s23, v5
	v_mad_u64_u32 v[6:7], s[12:13], s22, v5, v[2:3]
	v_lshlrev_b32_e32 v2, 2, v2
	v_lshl_or_b32 v2, v8, 5, v2
	v_add3_u32 v7, v10, v7, v9
	v_and_b32_e32 v9, 31, v4
	v_add_u32_e32 v11, 0x400, v2
	v_add_u32_e32 v2, s6, v9
	v_lshrrev_b32_e32 v4, 5, v4
	v_mov_b32_e32 v5, v3
	v_lshlrev_b32_e32 v10, 2, v9
	v_ashrrev_i32_e32 v8, 31, v2
	s_add_u32 s10, s18, s0
	v_lshl_or_b32 v10, v4, 7, v10
	v_mul_lo_u32 v8, s2, v8
	v_mad_u64_u32 v[4:5], s[12:13], s2, v2, v[4:5]
	v_mul_lo_u32 v2, s3, v2
	s_addc_u32 s11, s19, s1
	s_load_dwordx2 s[10:11], s[10:11], 0x0
	s_add_u32 s0, s20, s0
	s_addc_u32 s1, s21, s1
	s_load_dwordx2 s[0:1], s[0:1], 0x0
	v_add3_u32 v5, v2, v5, v8
	v_lshlrev_b64 v[4:5], 2, v[4:5]
	s_waitcnt lgkmcnt(0)
	v_mov_b32_e32 v2, s11
	v_add_co_u32_e32 v4, vcc, s10, v4
	v_lshlrev_b64 v[6:7], 2, v[6:7]
	v_addc_co_u32_e32 v5, vcc, v2, v5, vcc
	v_mov_b32_e32 v9, 0x400
	v_mov_b32_e32 v2, s1
	v_add_co_u32_e32 v6, vcc, s0, v6
	v_lshlrev_b32_e32 v12, 2, v0
	v_lshl_add_u32 v13, v1, 5, v9
	v_addc_co_u32_e32 v7, vcc, v2, v7, vcc
	s_mov_b64 s[2:3], 0
	v_mov_b32_e32 v2, v3
	v_mov_b32_e32 v8, v3
	;; [unrolled: 1-line block ×3, first 2 shown]
.LBB1388_2:                             ; =>This Inner Loop Header: Depth=1
	flat_load_dword v14, v[4:5]
	s_add_u32 s2, s2, 8
	s_addc_u32 s3, s3, 0
	v_add_co_u32_e64 v4, s[0:1], 32, v4
	v_addc_co_u32_e64 v5, s[0:1], 0, v5, s[0:1]
	s_waitcnt vmcnt(0) lgkmcnt(0)
	ds_write_b32 v10, v14
	flat_load_dword v14, v[6:7]
	v_add_co_u32_e64 v6, s[0:1], 32, v6
	v_addc_co_u32_e64 v7, s[0:1], 0, v7, s[0:1]
	s_waitcnt vmcnt(0) lgkmcnt(0)
	ds_write_b32 v11, v14
	s_waitcnt lgkmcnt(0)
	s_barrier
	ds_read2_b32 v[26:27], v12 offset1:16
	ds_read_b128 v[14:17], v13
	ds_read2_b32 v[28:29], v12 offset0:32 offset1:48
	ds_read2_b32 v[30:31], v12 offset0:64 offset1:80
	ds_read_b128 v[18:21], v13 offset:16
	ds_read2_b32 v[32:33], v12 offset0:96 offset1:112
	s_waitcnt lgkmcnt(4)
	v_fmac_f32_e32 v9, v26, v14
	v_fmac_f32_e32 v8, v27, v14
	s_waitcnt lgkmcnt(3)
	v_fmac_f32_e32 v9, v28, v15
	v_fmac_f32_e32 v8, v29, v15
	v_mov_b32_e32 v15, s3
	s_waitcnt lgkmcnt(2)
	v_fmac_f32_e32 v9, v30, v16
	v_fmac_f32_e32 v8, v31, v16
	v_mov_b32_e32 v14, s2
	s_waitcnt lgkmcnt(0)
	v_fmac_f32_e32 v9, v32, v17
	v_fmac_f32_e32 v8, v33, v17
	v_cmp_le_u64_e32 vcc, s[16:17], v[14:15]
	ds_read_b128 v[14:17], v13 offset:512
	ds_read_b128 v[22:25], v13 offset:528
	s_and_b64 vcc, exec, vcc
	s_waitcnt lgkmcnt(1)
	v_fmac_f32_e32 v2, v26, v14
	v_fmac_f32_e32 v3, v27, v14
	;; [unrolled: 1-line block ×8, first 2 shown]
	ds_read2_b32 v[14:15], v12 offset0:128 offset1:144
	ds_read2_b32 v[16:17], v12 offset0:160 offset1:176
	;; [unrolled: 1-line block ×3, first 2 shown]
	s_waitcnt lgkmcnt(2)
	v_fmac_f32_e32 v9, v14, v18
	v_fmac_f32_e32 v8, v15, v18
	;; [unrolled: 1-line block ×4, first 2 shown]
	ds_read2_b32 v[14:15], v12 offset0:224 offset1:240
	s_waitcnt lgkmcnt(2)
	v_fmac_f32_e32 v9, v16, v19
	v_fmac_f32_e32 v8, v17, v19
	v_fmac_f32_e32 v2, v16, v23
	v_fmac_f32_e32 v3, v17, v23
	s_waitcnt lgkmcnt(1)
	v_fmac_f32_e32 v9, v26, v20
	v_fmac_f32_e32 v8, v27, v20
	v_fmac_f32_e32 v2, v26, v24
	v_fmac_f32_e32 v3, v27, v24
	s_waitcnt lgkmcnt(0)
	v_fmac_f32_e32 v9, v14, v21
	v_fmac_f32_e32 v8, v15, v21
	v_fmac_f32_e32 v2, v14, v25
	v_fmac_f32_e32 v3, v15, v25
	s_barrier
	s_cbranch_vccz .LBB1388_2
	s_branch .LBB1388_4
.LBB1388_3:
	v_mov_b32_e32 v9, 0
	v_mov_b32_e32 v8, 0
	;; [unrolled: 1-line block ×4, first 2 shown]
.LBB1388_4:
	v_add_u32_e32 v6, s7, v1
	v_ashrrev_i32_e32 v1, 31, v6
	v_mul_lo_u32 v1, s14, v1
	v_mul_lo_u32 v7, s15, v6
	v_mad_u64_u32 v[4:5], s[0:1], s14, v6, 0
	s_load_dword s4, s[4:5], 0x0
	v_add_u32_e32 v0, s6, v0
	v_add3_u32 v5, v5, v1, v7
	v_lshlrev_b64 v[4:5], 2, v[4:5]
	s_waitcnt lgkmcnt(0)
	v_mov_b32_e32 v1, s9
	v_add_co_u32_e32 v7, vcc, s8, v4
	v_addc_co_u32_e32 v10, vcc, v1, v5, vcc
	v_cmp_le_i32_e64 s[0:1], v6, v0
	v_cmp_gt_i32_e32 vcc, s4, v0
	s_and_b64 s[0:1], s[0:1], vcc
	s_and_saveexec_b64 s[2:3], s[0:1]
	s_cbranch_execz .LBB1388_6
; %bb.5:
	v_ashrrev_i32_e32 v1, 31, v0
	v_lshlrev_b64 v[4:5], 2, v[0:1]
	v_add_co_u32_e64 v4, s[0:1], v7, v4
	v_addc_co_u32_e64 v5, s[0:1], v10, v5, s[0:1]
	flat_load_dword v1, v[4:5]
	s_waitcnt vmcnt(0) lgkmcnt(0)
	v_add_f32_e32 v1, v9, v1
	flat_store_dword v[4:5], v1
.LBB1388_6:
	s_or_b64 exec, exec, s[2:3]
	v_add_u32_e32 v4, 16, v0
	v_cmp_le_i32_e64 s[2:3], v6, v4
	v_cmp_gt_i32_e64 s[0:1], s4, v4
	s_and_b64 s[2:3], s[2:3], s[0:1]
	s_and_saveexec_b64 s[4:5], s[2:3]
	s_cbranch_execz .LBB1388_8
; %bb.7:
	v_ashrrev_i32_e32 v5, 31, v4
	v_lshlrev_b64 v[11:12], 2, v[4:5]
	v_add_co_u32_e64 v9, s[2:3], v7, v11
	v_addc_co_u32_e64 v10, s[2:3], v10, v12, s[2:3]
	flat_load_dword v1, v[9:10]
	s_waitcnt vmcnt(0) lgkmcnt(0)
	v_add_f32_e32 v1, v8, v1
	flat_store_dword v[9:10], v1
.LBB1388_8:
	s_or_b64 exec, exec, s[4:5]
	v_add_u32_e32 v5, 16, v6
	v_ashrrev_i32_e32 v1, 31, v5
	v_mul_lo_u32 v8, s15, v5
	v_mad_u64_u32 v[6:7], s[2:3], s14, v5, 0
	v_mul_lo_u32 v1, s14, v1
	v_add3_u32 v7, v7, v1, v8
	v_lshlrev_b64 v[6:7], 2, v[6:7]
	v_mov_b32_e32 v1, s9
	v_add_co_u32_e64 v6, s[2:3], s8, v6
	v_addc_co_u32_e64 v7, s[2:3], v1, v7, s[2:3]
	v_cmp_le_i32_e64 s[2:3], v5, v0
	s_and_b64 s[4:5], s[2:3], vcc
	s_and_saveexec_b64 s[2:3], s[4:5]
	s_cbranch_execz .LBB1388_10
; %bb.9:
	v_ashrrev_i32_e32 v1, 31, v0
	v_lshlrev_b64 v[0:1], 2, v[0:1]
	v_add_co_u32_e32 v0, vcc, v6, v0
	v_addc_co_u32_e32 v1, vcc, v7, v1, vcc
	flat_load_dword v8, v[0:1]
	s_waitcnt vmcnt(0) lgkmcnt(0)
	v_add_f32_e32 v2, v2, v8
	flat_store_dword v[0:1], v2
.LBB1388_10:
	s_or_b64 exec, exec, s[2:3]
	v_cmp_le_i32_e32 vcc, v5, v4
	s_and_b64 s[0:1], vcc, s[0:1]
	s_and_saveexec_b64 s[2:3], s[0:1]
	s_cbranch_execz .LBB1388_12
; %bb.11:
	v_ashrrev_i32_e32 v5, 31, v4
	v_lshlrev_b64 v[0:1], 2, v[4:5]
	v_add_co_u32_e32 v0, vcc, v6, v0
	v_addc_co_u32_e32 v1, vcc, v7, v1, vcc
	flat_load_dword v2, v[0:1]
	s_waitcnt vmcnt(0) lgkmcnt(0)
	v_add_f32_e32 v2, v3, v2
	flat_store_dword v[0:1], v2
.LBB1388_12:
	s_endpgm
	.section	.rodata,"a",@progbits
	.p2align	6, 0x0
	.amdhsa_kernel _ZL37rocblas_syrkx_herkx_restricted_kernelIlfLi16ELi32ELi8ELi1ELi1ELb0ELc84ELc76EKPKfKPfEviT_PT9_S5_lS7_S5_lPT10_S5_li
		.amdhsa_group_segment_fixed_size 2048
		.amdhsa_private_segment_fixed_size 0
		.amdhsa_kernarg_size 92
		.amdhsa_user_sgpr_count 6
		.amdhsa_user_sgpr_private_segment_buffer 1
		.amdhsa_user_sgpr_dispatch_ptr 0
		.amdhsa_user_sgpr_queue_ptr 0
		.amdhsa_user_sgpr_kernarg_segment_ptr 1
		.amdhsa_user_sgpr_dispatch_id 0
		.amdhsa_user_sgpr_flat_scratch_init 0
		.amdhsa_user_sgpr_private_segment_size 0
		.amdhsa_uses_dynamic_stack 0
		.amdhsa_system_sgpr_private_segment_wavefront_offset 0
		.amdhsa_system_sgpr_workgroup_id_x 1
		.amdhsa_system_sgpr_workgroup_id_y 1
		.amdhsa_system_sgpr_workgroup_id_z 1
		.amdhsa_system_sgpr_workgroup_info 0
		.amdhsa_system_vgpr_workitem_id 1
		.amdhsa_next_free_vgpr 34
		.amdhsa_next_free_sgpr 24
		.amdhsa_reserve_vcc 1
		.amdhsa_reserve_flat_scratch 0
		.amdhsa_float_round_mode_32 0
		.amdhsa_float_round_mode_16_64 0
		.amdhsa_float_denorm_mode_32 3
		.amdhsa_float_denorm_mode_16_64 3
		.amdhsa_dx10_clamp 1
		.amdhsa_ieee_mode 1
		.amdhsa_fp16_overflow 0
		.amdhsa_exception_fp_ieee_invalid_op 0
		.amdhsa_exception_fp_denorm_src 0
		.amdhsa_exception_fp_ieee_div_zero 0
		.amdhsa_exception_fp_ieee_overflow 0
		.amdhsa_exception_fp_ieee_underflow 0
		.amdhsa_exception_fp_ieee_inexact 0
		.amdhsa_exception_int_div_zero 0
	.end_amdhsa_kernel
	.section	.text._ZL37rocblas_syrkx_herkx_restricted_kernelIlfLi16ELi32ELi8ELi1ELi1ELb0ELc84ELc76EKPKfKPfEviT_PT9_S5_lS7_S5_lPT10_S5_li,"axG",@progbits,_ZL37rocblas_syrkx_herkx_restricted_kernelIlfLi16ELi32ELi8ELi1ELi1ELb0ELc84ELc76EKPKfKPfEviT_PT9_S5_lS7_S5_lPT10_S5_li,comdat
.Lfunc_end1388:
	.size	_ZL37rocblas_syrkx_herkx_restricted_kernelIlfLi16ELi32ELi8ELi1ELi1ELb0ELc84ELc76EKPKfKPfEviT_PT9_S5_lS7_S5_lPT10_S5_li, .Lfunc_end1388-_ZL37rocblas_syrkx_herkx_restricted_kernelIlfLi16ELi32ELi8ELi1ELi1ELb0ELc84ELc76EKPKfKPfEviT_PT9_S5_lS7_S5_lPT10_S5_li
                                        ; -- End function
	.set _ZL37rocblas_syrkx_herkx_restricted_kernelIlfLi16ELi32ELi8ELi1ELi1ELb0ELc84ELc76EKPKfKPfEviT_PT9_S5_lS7_S5_lPT10_S5_li.num_vgpr, 34
	.set _ZL37rocblas_syrkx_herkx_restricted_kernelIlfLi16ELi32ELi8ELi1ELi1ELb0ELc84ELc76EKPKfKPfEviT_PT9_S5_lS7_S5_lPT10_S5_li.num_agpr, 0
	.set _ZL37rocblas_syrkx_herkx_restricted_kernelIlfLi16ELi32ELi8ELi1ELi1ELb0ELc84ELc76EKPKfKPfEviT_PT9_S5_lS7_S5_lPT10_S5_li.numbered_sgpr, 24
	.set _ZL37rocblas_syrkx_herkx_restricted_kernelIlfLi16ELi32ELi8ELi1ELi1ELb0ELc84ELc76EKPKfKPfEviT_PT9_S5_lS7_S5_lPT10_S5_li.num_named_barrier, 0
	.set _ZL37rocblas_syrkx_herkx_restricted_kernelIlfLi16ELi32ELi8ELi1ELi1ELb0ELc84ELc76EKPKfKPfEviT_PT9_S5_lS7_S5_lPT10_S5_li.private_seg_size, 0
	.set _ZL37rocblas_syrkx_herkx_restricted_kernelIlfLi16ELi32ELi8ELi1ELi1ELb0ELc84ELc76EKPKfKPfEviT_PT9_S5_lS7_S5_lPT10_S5_li.uses_vcc, 1
	.set _ZL37rocblas_syrkx_herkx_restricted_kernelIlfLi16ELi32ELi8ELi1ELi1ELb0ELc84ELc76EKPKfKPfEviT_PT9_S5_lS7_S5_lPT10_S5_li.uses_flat_scratch, 0
	.set _ZL37rocblas_syrkx_herkx_restricted_kernelIlfLi16ELi32ELi8ELi1ELi1ELb0ELc84ELc76EKPKfKPfEviT_PT9_S5_lS7_S5_lPT10_S5_li.has_dyn_sized_stack, 0
	.set _ZL37rocblas_syrkx_herkx_restricted_kernelIlfLi16ELi32ELi8ELi1ELi1ELb0ELc84ELc76EKPKfKPfEviT_PT9_S5_lS7_S5_lPT10_S5_li.has_recursion, 0
	.set _ZL37rocblas_syrkx_herkx_restricted_kernelIlfLi16ELi32ELi8ELi1ELi1ELb0ELc84ELc76EKPKfKPfEviT_PT9_S5_lS7_S5_lPT10_S5_li.has_indirect_call, 0
	.section	.AMDGPU.csdata,"",@progbits
; Kernel info:
; codeLenInByte = 1180
; TotalNumSgprs: 28
; NumVgprs: 34
; ScratchSize: 0
; MemoryBound: 0
; FloatMode: 240
; IeeeMode: 1
; LDSByteSize: 2048 bytes/workgroup (compile time only)
; SGPRBlocks: 3
; VGPRBlocks: 8
; NumSGPRsForWavesPerEU: 28
; NumVGPRsForWavesPerEU: 34
; Occupancy: 7
; WaveLimiterHint : 1
; COMPUTE_PGM_RSRC2:SCRATCH_EN: 0
; COMPUTE_PGM_RSRC2:USER_SGPR: 6
; COMPUTE_PGM_RSRC2:TRAP_HANDLER: 0
; COMPUTE_PGM_RSRC2:TGID_X_EN: 1
; COMPUTE_PGM_RSRC2:TGID_Y_EN: 1
; COMPUTE_PGM_RSRC2:TGID_Z_EN: 1
; COMPUTE_PGM_RSRC2:TIDIG_COMP_CNT: 1
	.section	.text._ZL37rocblas_syrkx_herkx_restricted_kernelIlfLi16ELi32ELi8ELi1ELi1ELb0ELc67ELc76EKPKfKPfEviT_PT9_S5_lS7_S5_lPT10_S5_li,"axG",@progbits,_ZL37rocblas_syrkx_herkx_restricted_kernelIlfLi16ELi32ELi8ELi1ELi1ELb0ELc67ELc76EKPKfKPfEviT_PT9_S5_lS7_S5_lPT10_S5_li,comdat
	.globl	_ZL37rocblas_syrkx_herkx_restricted_kernelIlfLi16ELi32ELi8ELi1ELi1ELb0ELc67ELc76EKPKfKPfEviT_PT9_S5_lS7_S5_lPT10_S5_li ; -- Begin function _ZL37rocblas_syrkx_herkx_restricted_kernelIlfLi16ELi32ELi8ELi1ELi1ELb0ELc67ELc76EKPKfKPfEviT_PT9_S5_lS7_S5_lPT10_S5_li
	.p2align	8
	.type	_ZL37rocblas_syrkx_herkx_restricted_kernelIlfLi16ELi32ELi8ELi1ELi1ELb0ELc67ELc76EKPKfKPfEviT_PT9_S5_lS7_S5_lPT10_S5_li,@function
_ZL37rocblas_syrkx_herkx_restricted_kernelIlfLi16ELi32ELi8ELi1ELi1ELb0ELc67ELc76EKPKfKPfEviT_PT9_S5_lS7_S5_lPT10_S5_li: ; @_ZL37rocblas_syrkx_herkx_restricted_kernelIlfLi16ELi32ELi8ELi1ELi1ELb0ELc67ELc76EKPKfKPfEviT_PT9_S5_lS7_S5_lPT10_S5_li
; %bb.0:
	s_load_dwordx4 s[12:15], s[4:5], 0x40
	s_load_dwordx4 s[16:19], s[4:5], 0x8
	s_mov_b32 s9, 0
	s_lshl_b64 s[0:1], s[8:9], 3
	s_waitcnt lgkmcnt(0)
	s_add_u32 s2, s12, s0
	s_addc_u32 s3, s13, s1
	s_load_dwordx2 s[8:9], s[2:3], 0x0
	v_cmp_lt_i64_e64 s[2:3], s[16:17], 1
	s_lshl_b32 s6, s6, 5
	s_lshl_b32 s7, s7, 5
	s_and_b64 vcc, exec, s[2:3]
	s_cbranch_vccnz .LBB1389_3
; %bb.1:
	s_load_dwordx2 s[2:3], s[4:5], 0x18
	s_load_dwordx4 s[20:23], s[4:5], 0x28
	v_lshl_add_u32 v4, v1, 4, v0
	v_lshrrev_b32_e32 v8, 3, v4
	v_add_u32_e32 v5, s7, v8
	v_ashrrev_i32_e32 v6, 31, v5
	v_and_b32_e32 v2, 7, v0
	v_mov_b32_e32 v3, 0
	s_waitcnt lgkmcnt(0)
	v_mul_lo_u32 v9, s22, v6
	v_mul_lo_u32 v10, s23, v5
	v_mad_u64_u32 v[6:7], s[12:13], s22, v5, v[2:3]
	v_lshlrev_b32_e32 v2, 2, v2
	v_lshl_or_b32 v2, v8, 5, v2
	v_add3_u32 v7, v10, v7, v9
	v_and_b32_e32 v9, 31, v4
	v_add_u32_e32 v11, 0x400, v2
	v_add_u32_e32 v2, s6, v9
	v_lshrrev_b32_e32 v4, 5, v4
	v_mov_b32_e32 v5, v3
	v_lshlrev_b32_e32 v10, 2, v9
	v_ashrrev_i32_e32 v8, 31, v2
	s_add_u32 s10, s18, s0
	v_lshl_or_b32 v10, v4, 7, v10
	v_mul_lo_u32 v8, s2, v8
	v_mad_u64_u32 v[4:5], s[12:13], s2, v2, v[4:5]
	v_mul_lo_u32 v2, s3, v2
	s_addc_u32 s11, s19, s1
	s_load_dwordx2 s[10:11], s[10:11], 0x0
	s_add_u32 s0, s20, s0
	s_addc_u32 s1, s21, s1
	s_load_dwordx2 s[0:1], s[0:1], 0x0
	v_add3_u32 v5, v2, v5, v8
	v_lshlrev_b64 v[4:5], 2, v[4:5]
	s_waitcnt lgkmcnt(0)
	v_mov_b32_e32 v2, s11
	v_add_co_u32_e32 v4, vcc, s10, v4
	v_lshlrev_b64 v[6:7], 2, v[6:7]
	v_addc_co_u32_e32 v5, vcc, v2, v5, vcc
	v_mov_b32_e32 v9, 0x400
	v_mov_b32_e32 v2, s1
	v_add_co_u32_e32 v6, vcc, s0, v6
	v_lshlrev_b32_e32 v12, 2, v0
	v_lshl_add_u32 v13, v1, 5, v9
	v_addc_co_u32_e32 v7, vcc, v2, v7, vcc
	s_mov_b64 s[2:3], 0
	v_mov_b32_e32 v2, v3
	v_mov_b32_e32 v8, v3
	;; [unrolled: 1-line block ×3, first 2 shown]
.LBB1389_2:                             ; =>This Inner Loop Header: Depth=1
	flat_load_dword v14, v[4:5]
	s_add_u32 s2, s2, 8
	s_addc_u32 s3, s3, 0
	v_add_co_u32_e64 v4, s[0:1], 32, v4
	v_addc_co_u32_e64 v5, s[0:1], 0, v5, s[0:1]
	s_waitcnt vmcnt(0) lgkmcnt(0)
	ds_write_b32 v10, v14
	flat_load_dword v14, v[6:7]
	v_add_co_u32_e64 v6, s[0:1], 32, v6
	v_addc_co_u32_e64 v7, s[0:1], 0, v7, s[0:1]
	s_waitcnt vmcnt(0) lgkmcnt(0)
	ds_write_b32 v11, v14
	s_waitcnt lgkmcnt(0)
	s_barrier
	ds_read2_b32 v[26:27], v12 offset1:16
	ds_read_b128 v[14:17], v13
	ds_read2_b32 v[28:29], v12 offset0:32 offset1:48
	ds_read2_b32 v[30:31], v12 offset0:64 offset1:80
	ds_read_b128 v[18:21], v13 offset:16
	ds_read2_b32 v[32:33], v12 offset0:96 offset1:112
	s_waitcnt lgkmcnt(4)
	v_fmac_f32_e32 v9, v26, v14
	v_fmac_f32_e32 v8, v27, v14
	s_waitcnt lgkmcnt(3)
	v_fmac_f32_e32 v9, v28, v15
	v_fmac_f32_e32 v8, v29, v15
	v_mov_b32_e32 v15, s3
	s_waitcnt lgkmcnt(2)
	v_fmac_f32_e32 v9, v30, v16
	v_fmac_f32_e32 v8, v31, v16
	v_mov_b32_e32 v14, s2
	s_waitcnt lgkmcnt(0)
	v_fmac_f32_e32 v9, v32, v17
	v_fmac_f32_e32 v8, v33, v17
	v_cmp_le_u64_e32 vcc, s[16:17], v[14:15]
	ds_read_b128 v[14:17], v13 offset:512
	ds_read_b128 v[22:25], v13 offset:528
	s_and_b64 vcc, exec, vcc
	s_waitcnt lgkmcnt(1)
	v_fmac_f32_e32 v2, v26, v14
	v_fmac_f32_e32 v3, v27, v14
	v_fmac_f32_e32 v2, v28, v15
	v_fmac_f32_e32 v3, v29, v15
	v_fmac_f32_e32 v2, v30, v16
	v_fmac_f32_e32 v3, v31, v16
	v_fmac_f32_e32 v2, v32, v17
	v_fmac_f32_e32 v3, v33, v17
	ds_read2_b32 v[14:15], v12 offset0:128 offset1:144
	ds_read2_b32 v[16:17], v12 offset0:160 offset1:176
	;; [unrolled: 1-line block ×3, first 2 shown]
	s_waitcnt lgkmcnt(2)
	v_fmac_f32_e32 v9, v14, v18
	v_fmac_f32_e32 v8, v15, v18
	v_fmac_f32_e32 v2, v14, v22
	v_fmac_f32_e32 v3, v15, v22
	ds_read2_b32 v[14:15], v12 offset0:224 offset1:240
	s_waitcnt lgkmcnt(2)
	v_fmac_f32_e32 v9, v16, v19
	v_fmac_f32_e32 v8, v17, v19
	v_fmac_f32_e32 v2, v16, v23
	v_fmac_f32_e32 v3, v17, v23
	s_waitcnt lgkmcnt(1)
	v_fmac_f32_e32 v9, v26, v20
	v_fmac_f32_e32 v8, v27, v20
	v_fmac_f32_e32 v2, v26, v24
	v_fmac_f32_e32 v3, v27, v24
	;; [unrolled: 5-line block ×3, first 2 shown]
	s_barrier
	s_cbranch_vccz .LBB1389_2
	s_branch .LBB1389_4
.LBB1389_3:
	v_mov_b32_e32 v9, 0
	v_mov_b32_e32 v8, 0
	;; [unrolled: 1-line block ×4, first 2 shown]
.LBB1389_4:
	v_add_u32_e32 v6, s7, v1
	v_ashrrev_i32_e32 v1, 31, v6
	v_mul_lo_u32 v1, s14, v1
	v_mul_lo_u32 v7, s15, v6
	v_mad_u64_u32 v[4:5], s[0:1], s14, v6, 0
	s_load_dword s4, s[4:5], 0x0
	v_add_u32_e32 v0, s6, v0
	v_add3_u32 v5, v5, v1, v7
	v_lshlrev_b64 v[4:5], 2, v[4:5]
	s_waitcnt lgkmcnt(0)
	v_mov_b32_e32 v1, s9
	v_add_co_u32_e32 v7, vcc, s8, v4
	v_addc_co_u32_e32 v10, vcc, v1, v5, vcc
	v_cmp_le_i32_e64 s[0:1], v6, v0
	v_cmp_gt_i32_e32 vcc, s4, v0
	s_and_b64 s[0:1], s[0:1], vcc
	s_and_saveexec_b64 s[2:3], s[0:1]
	s_cbranch_execz .LBB1389_6
; %bb.5:
	v_ashrrev_i32_e32 v1, 31, v0
	v_lshlrev_b64 v[4:5], 2, v[0:1]
	v_add_co_u32_e64 v4, s[0:1], v7, v4
	v_addc_co_u32_e64 v5, s[0:1], v10, v5, s[0:1]
	flat_load_dword v1, v[4:5]
	s_waitcnt vmcnt(0) lgkmcnt(0)
	v_add_f32_e32 v1, v9, v1
	flat_store_dword v[4:5], v1
.LBB1389_6:
	s_or_b64 exec, exec, s[2:3]
	v_add_u32_e32 v4, 16, v0
	v_cmp_le_i32_e64 s[2:3], v6, v4
	v_cmp_gt_i32_e64 s[0:1], s4, v4
	s_and_b64 s[2:3], s[2:3], s[0:1]
	s_and_saveexec_b64 s[4:5], s[2:3]
	s_cbranch_execz .LBB1389_8
; %bb.7:
	v_ashrrev_i32_e32 v5, 31, v4
	v_lshlrev_b64 v[11:12], 2, v[4:5]
	v_add_co_u32_e64 v9, s[2:3], v7, v11
	v_addc_co_u32_e64 v10, s[2:3], v10, v12, s[2:3]
	flat_load_dword v1, v[9:10]
	s_waitcnt vmcnt(0) lgkmcnt(0)
	v_add_f32_e32 v1, v8, v1
	flat_store_dword v[9:10], v1
.LBB1389_8:
	s_or_b64 exec, exec, s[4:5]
	v_add_u32_e32 v5, 16, v6
	v_ashrrev_i32_e32 v1, 31, v5
	v_mul_lo_u32 v8, s15, v5
	v_mad_u64_u32 v[6:7], s[2:3], s14, v5, 0
	v_mul_lo_u32 v1, s14, v1
	v_add3_u32 v7, v7, v1, v8
	v_lshlrev_b64 v[6:7], 2, v[6:7]
	v_mov_b32_e32 v1, s9
	v_add_co_u32_e64 v6, s[2:3], s8, v6
	v_addc_co_u32_e64 v7, s[2:3], v1, v7, s[2:3]
	v_cmp_le_i32_e64 s[2:3], v5, v0
	s_and_b64 s[4:5], s[2:3], vcc
	s_and_saveexec_b64 s[2:3], s[4:5]
	s_cbranch_execz .LBB1389_10
; %bb.9:
	v_ashrrev_i32_e32 v1, 31, v0
	v_lshlrev_b64 v[0:1], 2, v[0:1]
	v_add_co_u32_e32 v0, vcc, v6, v0
	v_addc_co_u32_e32 v1, vcc, v7, v1, vcc
	flat_load_dword v8, v[0:1]
	s_waitcnt vmcnt(0) lgkmcnt(0)
	v_add_f32_e32 v2, v2, v8
	flat_store_dword v[0:1], v2
.LBB1389_10:
	s_or_b64 exec, exec, s[2:3]
	v_cmp_le_i32_e32 vcc, v5, v4
	s_and_b64 s[0:1], vcc, s[0:1]
	s_and_saveexec_b64 s[2:3], s[0:1]
	s_cbranch_execz .LBB1389_12
; %bb.11:
	v_ashrrev_i32_e32 v5, 31, v4
	v_lshlrev_b64 v[0:1], 2, v[4:5]
	v_add_co_u32_e32 v0, vcc, v6, v0
	v_addc_co_u32_e32 v1, vcc, v7, v1, vcc
	flat_load_dword v2, v[0:1]
	s_waitcnt vmcnt(0) lgkmcnt(0)
	v_add_f32_e32 v2, v3, v2
	flat_store_dword v[0:1], v2
.LBB1389_12:
	s_endpgm
	.section	.rodata,"a",@progbits
	.p2align	6, 0x0
	.amdhsa_kernel _ZL37rocblas_syrkx_herkx_restricted_kernelIlfLi16ELi32ELi8ELi1ELi1ELb0ELc67ELc76EKPKfKPfEviT_PT9_S5_lS7_S5_lPT10_S5_li
		.amdhsa_group_segment_fixed_size 2048
		.amdhsa_private_segment_fixed_size 0
		.amdhsa_kernarg_size 92
		.amdhsa_user_sgpr_count 6
		.amdhsa_user_sgpr_private_segment_buffer 1
		.amdhsa_user_sgpr_dispatch_ptr 0
		.amdhsa_user_sgpr_queue_ptr 0
		.amdhsa_user_sgpr_kernarg_segment_ptr 1
		.amdhsa_user_sgpr_dispatch_id 0
		.amdhsa_user_sgpr_flat_scratch_init 0
		.amdhsa_user_sgpr_private_segment_size 0
		.amdhsa_uses_dynamic_stack 0
		.amdhsa_system_sgpr_private_segment_wavefront_offset 0
		.amdhsa_system_sgpr_workgroup_id_x 1
		.amdhsa_system_sgpr_workgroup_id_y 1
		.amdhsa_system_sgpr_workgroup_id_z 1
		.amdhsa_system_sgpr_workgroup_info 0
		.amdhsa_system_vgpr_workitem_id 1
		.amdhsa_next_free_vgpr 34
		.amdhsa_next_free_sgpr 24
		.amdhsa_reserve_vcc 1
		.amdhsa_reserve_flat_scratch 0
		.amdhsa_float_round_mode_32 0
		.amdhsa_float_round_mode_16_64 0
		.amdhsa_float_denorm_mode_32 3
		.amdhsa_float_denorm_mode_16_64 3
		.amdhsa_dx10_clamp 1
		.amdhsa_ieee_mode 1
		.amdhsa_fp16_overflow 0
		.amdhsa_exception_fp_ieee_invalid_op 0
		.amdhsa_exception_fp_denorm_src 0
		.amdhsa_exception_fp_ieee_div_zero 0
		.amdhsa_exception_fp_ieee_overflow 0
		.amdhsa_exception_fp_ieee_underflow 0
		.amdhsa_exception_fp_ieee_inexact 0
		.amdhsa_exception_int_div_zero 0
	.end_amdhsa_kernel
	.section	.text._ZL37rocblas_syrkx_herkx_restricted_kernelIlfLi16ELi32ELi8ELi1ELi1ELb0ELc67ELc76EKPKfKPfEviT_PT9_S5_lS7_S5_lPT10_S5_li,"axG",@progbits,_ZL37rocblas_syrkx_herkx_restricted_kernelIlfLi16ELi32ELi8ELi1ELi1ELb0ELc67ELc76EKPKfKPfEviT_PT9_S5_lS7_S5_lPT10_S5_li,comdat
.Lfunc_end1389:
	.size	_ZL37rocblas_syrkx_herkx_restricted_kernelIlfLi16ELi32ELi8ELi1ELi1ELb0ELc67ELc76EKPKfKPfEviT_PT9_S5_lS7_S5_lPT10_S5_li, .Lfunc_end1389-_ZL37rocblas_syrkx_herkx_restricted_kernelIlfLi16ELi32ELi8ELi1ELi1ELb0ELc67ELc76EKPKfKPfEviT_PT9_S5_lS7_S5_lPT10_S5_li
                                        ; -- End function
	.set _ZL37rocblas_syrkx_herkx_restricted_kernelIlfLi16ELi32ELi8ELi1ELi1ELb0ELc67ELc76EKPKfKPfEviT_PT9_S5_lS7_S5_lPT10_S5_li.num_vgpr, 34
	.set _ZL37rocblas_syrkx_herkx_restricted_kernelIlfLi16ELi32ELi8ELi1ELi1ELb0ELc67ELc76EKPKfKPfEviT_PT9_S5_lS7_S5_lPT10_S5_li.num_agpr, 0
	.set _ZL37rocblas_syrkx_herkx_restricted_kernelIlfLi16ELi32ELi8ELi1ELi1ELb0ELc67ELc76EKPKfKPfEviT_PT9_S5_lS7_S5_lPT10_S5_li.numbered_sgpr, 24
	.set _ZL37rocblas_syrkx_herkx_restricted_kernelIlfLi16ELi32ELi8ELi1ELi1ELb0ELc67ELc76EKPKfKPfEviT_PT9_S5_lS7_S5_lPT10_S5_li.num_named_barrier, 0
	.set _ZL37rocblas_syrkx_herkx_restricted_kernelIlfLi16ELi32ELi8ELi1ELi1ELb0ELc67ELc76EKPKfKPfEviT_PT9_S5_lS7_S5_lPT10_S5_li.private_seg_size, 0
	.set _ZL37rocblas_syrkx_herkx_restricted_kernelIlfLi16ELi32ELi8ELi1ELi1ELb0ELc67ELc76EKPKfKPfEviT_PT9_S5_lS7_S5_lPT10_S5_li.uses_vcc, 1
	.set _ZL37rocblas_syrkx_herkx_restricted_kernelIlfLi16ELi32ELi8ELi1ELi1ELb0ELc67ELc76EKPKfKPfEviT_PT9_S5_lS7_S5_lPT10_S5_li.uses_flat_scratch, 0
	.set _ZL37rocblas_syrkx_herkx_restricted_kernelIlfLi16ELi32ELi8ELi1ELi1ELb0ELc67ELc76EKPKfKPfEviT_PT9_S5_lS7_S5_lPT10_S5_li.has_dyn_sized_stack, 0
	.set _ZL37rocblas_syrkx_herkx_restricted_kernelIlfLi16ELi32ELi8ELi1ELi1ELb0ELc67ELc76EKPKfKPfEviT_PT9_S5_lS7_S5_lPT10_S5_li.has_recursion, 0
	.set _ZL37rocblas_syrkx_herkx_restricted_kernelIlfLi16ELi32ELi8ELi1ELi1ELb0ELc67ELc76EKPKfKPfEviT_PT9_S5_lS7_S5_lPT10_S5_li.has_indirect_call, 0
	.section	.AMDGPU.csdata,"",@progbits
; Kernel info:
; codeLenInByte = 1180
; TotalNumSgprs: 28
; NumVgprs: 34
; ScratchSize: 0
; MemoryBound: 0
; FloatMode: 240
; IeeeMode: 1
; LDSByteSize: 2048 bytes/workgroup (compile time only)
; SGPRBlocks: 3
; VGPRBlocks: 8
; NumSGPRsForWavesPerEU: 28
; NumVGPRsForWavesPerEU: 34
; Occupancy: 7
; WaveLimiterHint : 1
; COMPUTE_PGM_RSRC2:SCRATCH_EN: 0
; COMPUTE_PGM_RSRC2:USER_SGPR: 6
; COMPUTE_PGM_RSRC2:TRAP_HANDLER: 0
; COMPUTE_PGM_RSRC2:TGID_X_EN: 1
; COMPUTE_PGM_RSRC2:TGID_Y_EN: 1
; COMPUTE_PGM_RSRC2:TGID_Z_EN: 1
; COMPUTE_PGM_RSRC2:TIDIG_COMP_CNT: 1
	.section	.text._ZL37rocblas_syrkx_herkx_restricted_kernelIlfLi16ELi32ELi8ELi1ELi1ELb0ELc78ELc76EKPKfKPfEviT_PT9_S5_lS7_S5_lPT10_S5_li,"axG",@progbits,_ZL37rocblas_syrkx_herkx_restricted_kernelIlfLi16ELi32ELi8ELi1ELi1ELb0ELc78ELc76EKPKfKPfEviT_PT9_S5_lS7_S5_lPT10_S5_li,comdat
	.globl	_ZL37rocblas_syrkx_herkx_restricted_kernelIlfLi16ELi32ELi8ELi1ELi1ELb0ELc78ELc76EKPKfKPfEviT_PT9_S5_lS7_S5_lPT10_S5_li ; -- Begin function _ZL37rocblas_syrkx_herkx_restricted_kernelIlfLi16ELi32ELi8ELi1ELi1ELb0ELc78ELc76EKPKfKPfEviT_PT9_S5_lS7_S5_lPT10_S5_li
	.p2align	8
	.type	_ZL37rocblas_syrkx_herkx_restricted_kernelIlfLi16ELi32ELi8ELi1ELi1ELb0ELc78ELc76EKPKfKPfEviT_PT9_S5_lS7_S5_lPT10_S5_li,@function
_ZL37rocblas_syrkx_herkx_restricted_kernelIlfLi16ELi32ELi8ELi1ELi1ELb0ELc78ELc76EKPKfKPfEviT_PT9_S5_lS7_S5_lPT10_S5_li: ; @_ZL37rocblas_syrkx_herkx_restricted_kernelIlfLi16ELi32ELi8ELi1ELi1ELb0ELc78ELc76EKPKfKPfEviT_PT9_S5_lS7_S5_lPT10_S5_li
; %bb.0:
	s_load_dwordx4 s[12:15], s[4:5], 0x40
	s_load_dwordx4 s[16:19], s[4:5], 0x8
	s_mov_b32 s9, 0
	s_lshl_b64 s[10:11], s[8:9], 3
	s_waitcnt lgkmcnt(0)
	s_add_u32 s0, s12, s10
	s_addc_u32 s1, s13, s11
	s_load_dwordx2 s[8:9], s[0:1], 0x0
	v_cmp_lt_i64_e64 s[0:1], s[16:17], 1
	s_lshl_b32 s12, s6, 5
	s_lshl_b32 s13, s7, 5
	s_and_b64 vcc, exec, s[0:1]
	s_cbranch_vccnz .LBB1390_3
; %bb.1:
	s_load_dwordx2 s[6:7], s[4:5], 0x18
	s_load_dwordx4 s[0:3], s[4:5], 0x28
	v_lshl_add_u32 v7, v1, 4, v0
	v_lshrrev_b32_e32 v8, 3, v7
	v_add_u32_e32 v2, s13, v8
	v_and_b32_e32 v6, 7, v0
	v_ashrrev_i32_e32 v3, 31, v2
	s_waitcnt lgkmcnt(0)
	v_mad_u64_u32 v[4:5], s[20:21], s2, v6, v[2:3]
	s_add_u32 s18, s18, s10
	s_addc_u32 s19, s19, s11
	v_mov_b32_e32 v2, v5
	v_mad_u64_u32 v[2:3], s[20:21], s3, v6, v[2:3]
	v_lshrrev_b32_e32 v9, 5, v7
	s_add_u32 s0, s0, s10
	v_mov_b32_e32 v5, v2
	v_and_b32_e32 v2, 31, v7
	v_lshlrev_b32_e32 v3, 2, v2
	v_add_u32_e32 v2, s12, v2
	v_lshl_or_b32 v10, v9, 7, v3
	v_ashrrev_i32_e32 v3, 31, v2
	s_addc_u32 s1, s1, s11
	v_mad_u64_u32 v[2:3], s[10:11], s6, v9, v[2:3]
	v_lshlrev_b32_e32 v6, 2, v6
	v_lshl_or_b32 v6, v8, 5, v6
	v_add_u32_e32 v11, 0x400, v6
	v_mad_u64_u32 v[6:7], s[10:11], s7, v9, v[3:4]
	s_load_dwordx2 s[18:19], s[18:19], 0x0
	v_mov_b32_e32 v3, 0x400
	s_load_dwordx2 s[0:1], s[0:1], 0x0
	v_lshl_add_u32 v13, v1, 5, v3
	v_mov_b32_e32 v3, v6
	v_lshlrev_b64 v[2:3], 2, v[2:3]
	s_waitcnt lgkmcnt(0)
	v_mov_b32_e32 v6, s19
	v_add_co_u32_e32 v2, vcc, s18, v2
	v_lshlrev_b64 v[4:5], 2, v[4:5]
	v_addc_co_u32_e32 v3, vcc, v6, v3, vcc
	v_mov_b32_e32 v6, s1
	v_add_co_u32_e32 v4, vcc, s0, v4
	v_lshlrev_b32_e32 v12, 2, v0
	s_lshl_b64 s[6:7], s[6:7], 5
	v_addc_co_u32_e32 v5, vcc, v6, v5, vcc
	s_lshl_b64 s[2:3], s[2:3], 5
	v_mov_b32_e32 v6, 0
	s_mov_b64 s[10:11], 0
	v_mov_b32_e32 v7, 0
	v_mov_b32_e32 v8, 0
	;; [unrolled: 1-line block ×3, first 2 shown]
.LBB1390_2:                             ; =>This Inner Loop Header: Depth=1
	flat_load_dword v14, v[2:3]
	s_add_u32 s10, s10, 8
	s_addc_u32 s11, s11, 0
	v_add_co_u32_e64 v2, s[0:1], s6, v2
	s_waitcnt vmcnt(0) lgkmcnt(0)
	ds_write_b32 v10, v14
	flat_load_dword v16, v[4:5]
	v_mov_b32_e32 v15, s11
	v_mov_b32_e32 v14, s10
	v_cmp_le_u64_e32 vcc, s[16:17], v[14:15]
	s_and_b64 vcc, exec, vcc
	s_waitcnt vmcnt(0) lgkmcnt(0)
	ds_write_b32 v11, v16
	s_waitcnt lgkmcnt(0)
	s_barrier
	ds_read2_b32 v[26:27], v12 offset1:16
	ds_read_b128 v[14:17], v13
	ds_read2_b32 v[28:29], v12 offset0:32 offset1:48
	ds_read2_b32 v[30:31], v12 offset0:64 offset1:80
	;; [unrolled: 1-line block ×3, first 2 shown]
	ds_read_b128 v[18:21], v13 offset:16
	s_waitcnt lgkmcnt(4)
	v_fmac_f32_e32 v9, v26, v14
	v_fmac_f32_e32 v8, v27, v14
	s_waitcnt lgkmcnt(3)
	v_fmac_f32_e32 v9, v28, v15
	v_fmac_f32_e32 v8, v29, v15
	s_waitcnt lgkmcnt(2)
	v_fmac_f32_e32 v9, v30, v16
	v_fmac_f32_e32 v8, v31, v16
	s_waitcnt lgkmcnt(1)
	v_fmac_f32_e32 v9, v32, v17
	v_fmac_f32_e32 v8, v33, v17
	ds_read_b128 v[14:17], v13 offset:512
	ds_read_b128 v[22:25], v13 offset:528
	s_waitcnt lgkmcnt(1)
	v_fmac_f32_e32 v7, v26, v14
	v_fmac_f32_e32 v6, v27, v14
	v_mov_b32_e32 v14, s7
	v_addc_co_u32_e64 v3, s[0:1], v3, v14, s[0:1]
	v_mov_b32_e32 v14, s3
	v_add_co_u32_e64 v4, s[0:1], s2, v4
	v_fmac_f32_e32 v7, v28, v15
	v_fmac_f32_e32 v6, v29, v15
	v_addc_co_u32_e64 v5, s[0:1], v5, v14, s[0:1]
	ds_read2_b32 v[14:15], v12 offset0:128 offset1:144
	v_fmac_f32_e32 v7, v30, v16
	v_fmac_f32_e32 v6, v31, v16
	v_fmac_f32_e32 v7, v32, v17
	v_fmac_f32_e32 v6, v33, v17
	ds_read2_b32 v[16:17], v12 offset0:160 offset1:176
	ds_read2_b32 v[26:27], v12 offset0:192 offset1:208
	ds_read2_b32 v[28:29], v12 offset0:224 offset1:240
	s_waitcnt lgkmcnt(3)
	v_fmac_f32_e32 v9, v14, v18
	v_fmac_f32_e32 v8, v15, v18
	v_fmac_f32_e32 v7, v14, v22
	v_fmac_f32_e32 v6, v15, v22
	s_waitcnt lgkmcnt(2)
	v_fmac_f32_e32 v9, v16, v19
	v_fmac_f32_e32 v8, v17, v19
	v_fmac_f32_e32 v7, v16, v23
	v_fmac_f32_e32 v6, v17, v23
	;; [unrolled: 5-line block ×4, first 2 shown]
	s_barrier
	s_cbranch_vccz .LBB1390_2
	s_branch .LBB1390_4
.LBB1390_3:
	v_mov_b32_e32 v9, 0
	v_mov_b32_e32 v8, 0
	;; [unrolled: 1-line block ×4, first 2 shown]
.LBB1390_4:
	v_add_u32_e32 v4, s13, v1
	v_ashrrev_i32_e32 v1, 31, v4
	v_mul_lo_u32 v3, s14, v1
	v_mul_lo_u32 v5, s15, v4
	v_mad_u64_u32 v[1:2], s[0:1], s14, v4, 0
	s_load_dword s4, s[4:5], 0x0
	v_add_u32_e32 v0, s12, v0
	v_add3_u32 v2, v2, v3, v5
	v_lshlrev_b64 v[1:2], 2, v[1:2]
	s_waitcnt lgkmcnt(0)
	v_mov_b32_e32 v3, s9
	v_add_co_u32_e32 v5, vcc, s8, v1
	v_addc_co_u32_e32 v10, vcc, v3, v2, vcc
	v_cmp_le_i32_e64 s[0:1], v4, v0
	v_cmp_gt_i32_e32 vcc, s4, v0
	s_and_b64 s[0:1], s[0:1], vcc
	s_and_saveexec_b64 s[2:3], s[0:1]
	s_cbranch_execz .LBB1390_6
; %bb.5:
	v_ashrrev_i32_e32 v1, 31, v0
	v_lshlrev_b64 v[1:2], 2, v[0:1]
	v_add_co_u32_e64 v1, s[0:1], v5, v1
	v_addc_co_u32_e64 v2, s[0:1], v10, v2, s[0:1]
	flat_load_dword v3, v[1:2]
	s_waitcnt vmcnt(0) lgkmcnt(0)
	v_add_f32_e32 v3, v9, v3
	flat_store_dword v[1:2], v3
.LBB1390_6:
	s_or_b64 exec, exec, s[2:3]
	v_add_u32_e32 v2, 16, v0
	v_cmp_le_i32_e64 s[2:3], v4, v2
	v_cmp_gt_i32_e64 s[0:1], s4, v2
	s_and_b64 s[2:3], s[2:3], s[0:1]
	s_and_saveexec_b64 s[4:5], s[2:3]
	s_cbranch_execz .LBB1390_8
; %bb.7:
	v_ashrrev_i32_e32 v3, 31, v2
	v_lshlrev_b64 v[11:12], 2, v[2:3]
	v_add_co_u32_e64 v9, s[2:3], v5, v11
	v_addc_co_u32_e64 v10, s[2:3], v10, v12, s[2:3]
	flat_load_dword v1, v[9:10]
	s_waitcnt vmcnt(0) lgkmcnt(0)
	v_add_f32_e32 v1, v8, v1
	flat_store_dword v[9:10], v1
.LBB1390_8:
	s_or_b64 exec, exec, s[4:5]
	v_add_u32_e32 v3, 16, v4
	v_ashrrev_i32_e32 v1, 31, v3
	v_mul_lo_u32 v8, s15, v3
	v_mad_u64_u32 v[4:5], s[2:3], s14, v3, 0
	v_mul_lo_u32 v1, s14, v1
	v_add3_u32 v5, v5, v1, v8
	v_lshlrev_b64 v[4:5], 2, v[4:5]
	v_mov_b32_e32 v1, s9
	v_add_co_u32_e64 v4, s[2:3], s8, v4
	v_addc_co_u32_e64 v5, s[2:3], v1, v5, s[2:3]
	v_cmp_le_i32_e64 s[2:3], v3, v0
	s_and_b64 s[4:5], s[2:3], vcc
	s_and_saveexec_b64 s[2:3], s[4:5]
	s_cbranch_execz .LBB1390_10
; %bb.9:
	v_ashrrev_i32_e32 v1, 31, v0
	v_lshlrev_b64 v[0:1], 2, v[0:1]
	v_add_co_u32_e32 v0, vcc, v4, v0
	v_addc_co_u32_e32 v1, vcc, v5, v1, vcc
	flat_load_dword v8, v[0:1]
	s_waitcnt vmcnt(0) lgkmcnt(0)
	v_add_f32_e32 v7, v7, v8
	flat_store_dword v[0:1], v7
.LBB1390_10:
	s_or_b64 exec, exec, s[2:3]
	v_cmp_le_i32_e32 vcc, v3, v2
	s_and_b64 s[0:1], vcc, s[0:1]
	s_and_saveexec_b64 s[2:3], s[0:1]
	s_cbranch_execz .LBB1390_12
; %bb.11:
	v_ashrrev_i32_e32 v3, 31, v2
	v_lshlrev_b64 v[0:1], 2, v[2:3]
	v_add_co_u32_e32 v0, vcc, v4, v0
	v_addc_co_u32_e32 v1, vcc, v5, v1, vcc
	flat_load_dword v2, v[0:1]
	s_waitcnt vmcnt(0) lgkmcnt(0)
	v_add_f32_e32 v2, v6, v2
	flat_store_dword v[0:1], v2
.LBB1390_12:
	s_endpgm
	.section	.rodata,"a",@progbits
	.p2align	6, 0x0
	.amdhsa_kernel _ZL37rocblas_syrkx_herkx_restricted_kernelIlfLi16ELi32ELi8ELi1ELi1ELb0ELc78ELc76EKPKfKPfEviT_PT9_S5_lS7_S5_lPT10_S5_li
		.amdhsa_group_segment_fixed_size 2048
		.amdhsa_private_segment_fixed_size 0
		.amdhsa_kernarg_size 92
		.amdhsa_user_sgpr_count 6
		.amdhsa_user_sgpr_private_segment_buffer 1
		.amdhsa_user_sgpr_dispatch_ptr 0
		.amdhsa_user_sgpr_queue_ptr 0
		.amdhsa_user_sgpr_kernarg_segment_ptr 1
		.amdhsa_user_sgpr_dispatch_id 0
		.amdhsa_user_sgpr_flat_scratch_init 0
		.amdhsa_user_sgpr_private_segment_size 0
		.amdhsa_uses_dynamic_stack 0
		.amdhsa_system_sgpr_private_segment_wavefront_offset 0
		.amdhsa_system_sgpr_workgroup_id_x 1
		.amdhsa_system_sgpr_workgroup_id_y 1
		.amdhsa_system_sgpr_workgroup_id_z 1
		.amdhsa_system_sgpr_workgroup_info 0
		.amdhsa_system_vgpr_workitem_id 1
		.amdhsa_next_free_vgpr 34
		.amdhsa_next_free_sgpr 22
		.amdhsa_reserve_vcc 1
		.amdhsa_reserve_flat_scratch 0
		.amdhsa_float_round_mode_32 0
		.amdhsa_float_round_mode_16_64 0
		.amdhsa_float_denorm_mode_32 3
		.amdhsa_float_denorm_mode_16_64 3
		.amdhsa_dx10_clamp 1
		.amdhsa_ieee_mode 1
		.amdhsa_fp16_overflow 0
		.amdhsa_exception_fp_ieee_invalid_op 0
		.amdhsa_exception_fp_denorm_src 0
		.amdhsa_exception_fp_ieee_div_zero 0
		.amdhsa_exception_fp_ieee_overflow 0
		.amdhsa_exception_fp_ieee_underflow 0
		.amdhsa_exception_fp_ieee_inexact 0
		.amdhsa_exception_int_div_zero 0
	.end_amdhsa_kernel
	.section	.text._ZL37rocblas_syrkx_herkx_restricted_kernelIlfLi16ELi32ELi8ELi1ELi1ELb0ELc78ELc76EKPKfKPfEviT_PT9_S5_lS7_S5_lPT10_S5_li,"axG",@progbits,_ZL37rocblas_syrkx_herkx_restricted_kernelIlfLi16ELi32ELi8ELi1ELi1ELb0ELc78ELc76EKPKfKPfEviT_PT9_S5_lS7_S5_lPT10_S5_li,comdat
.Lfunc_end1390:
	.size	_ZL37rocblas_syrkx_herkx_restricted_kernelIlfLi16ELi32ELi8ELi1ELi1ELb0ELc78ELc76EKPKfKPfEviT_PT9_S5_lS7_S5_lPT10_S5_li, .Lfunc_end1390-_ZL37rocblas_syrkx_herkx_restricted_kernelIlfLi16ELi32ELi8ELi1ELi1ELb0ELc78ELc76EKPKfKPfEviT_PT9_S5_lS7_S5_lPT10_S5_li
                                        ; -- End function
	.set _ZL37rocblas_syrkx_herkx_restricted_kernelIlfLi16ELi32ELi8ELi1ELi1ELb0ELc78ELc76EKPKfKPfEviT_PT9_S5_lS7_S5_lPT10_S5_li.num_vgpr, 34
	.set _ZL37rocblas_syrkx_herkx_restricted_kernelIlfLi16ELi32ELi8ELi1ELi1ELb0ELc78ELc76EKPKfKPfEviT_PT9_S5_lS7_S5_lPT10_S5_li.num_agpr, 0
	.set _ZL37rocblas_syrkx_herkx_restricted_kernelIlfLi16ELi32ELi8ELi1ELi1ELb0ELc78ELc76EKPKfKPfEviT_PT9_S5_lS7_S5_lPT10_S5_li.numbered_sgpr, 22
	.set _ZL37rocblas_syrkx_herkx_restricted_kernelIlfLi16ELi32ELi8ELi1ELi1ELb0ELc78ELc76EKPKfKPfEviT_PT9_S5_lS7_S5_lPT10_S5_li.num_named_barrier, 0
	.set _ZL37rocblas_syrkx_herkx_restricted_kernelIlfLi16ELi32ELi8ELi1ELi1ELb0ELc78ELc76EKPKfKPfEviT_PT9_S5_lS7_S5_lPT10_S5_li.private_seg_size, 0
	.set _ZL37rocblas_syrkx_herkx_restricted_kernelIlfLi16ELi32ELi8ELi1ELi1ELb0ELc78ELc76EKPKfKPfEviT_PT9_S5_lS7_S5_lPT10_S5_li.uses_vcc, 1
	.set _ZL37rocblas_syrkx_herkx_restricted_kernelIlfLi16ELi32ELi8ELi1ELi1ELb0ELc78ELc76EKPKfKPfEviT_PT9_S5_lS7_S5_lPT10_S5_li.uses_flat_scratch, 0
	.set _ZL37rocblas_syrkx_herkx_restricted_kernelIlfLi16ELi32ELi8ELi1ELi1ELb0ELc78ELc76EKPKfKPfEviT_PT9_S5_lS7_S5_lPT10_S5_li.has_dyn_sized_stack, 0
	.set _ZL37rocblas_syrkx_herkx_restricted_kernelIlfLi16ELi32ELi8ELi1ELi1ELb0ELc78ELc76EKPKfKPfEviT_PT9_S5_lS7_S5_lPT10_S5_li.has_recursion, 0
	.set _ZL37rocblas_syrkx_herkx_restricted_kernelIlfLi16ELi32ELi8ELi1ELi1ELb0ELc78ELc76EKPKfKPfEviT_PT9_S5_lS7_S5_lPT10_S5_li.has_indirect_call, 0
	.section	.AMDGPU.csdata,"",@progbits
; Kernel info:
; codeLenInByte = 1172
; TotalNumSgprs: 26
; NumVgprs: 34
; ScratchSize: 0
; MemoryBound: 0
; FloatMode: 240
; IeeeMode: 1
; LDSByteSize: 2048 bytes/workgroup (compile time only)
; SGPRBlocks: 3
; VGPRBlocks: 8
; NumSGPRsForWavesPerEU: 26
; NumVGPRsForWavesPerEU: 34
; Occupancy: 7
; WaveLimiterHint : 1
; COMPUTE_PGM_RSRC2:SCRATCH_EN: 0
; COMPUTE_PGM_RSRC2:USER_SGPR: 6
; COMPUTE_PGM_RSRC2:TRAP_HANDLER: 0
; COMPUTE_PGM_RSRC2:TGID_X_EN: 1
; COMPUTE_PGM_RSRC2:TGID_Y_EN: 1
; COMPUTE_PGM_RSRC2:TGID_Z_EN: 1
; COMPUTE_PGM_RSRC2:TIDIG_COMP_CNT: 1
	.section	.text._ZL37rocblas_syrkx_herkx_restricted_kernelIlfLi16ELi32ELi8ELi1ELi1ELb0ELc84ELc85EKPKfKPfEviT_PT9_S5_lS7_S5_lPT10_S5_li,"axG",@progbits,_ZL37rocblas_syrkx_herkx_restricted_kernelIlfLi16ELi32ELi8ELi1ELi1ELb0ELc84ELc85EKPKfKPfEviT_PT9_S5_lS7_S5_lPT10_S5_li,comdat
	.globl	_ZL37rocblas_syrkx_herkx_restricted_kernelIlfLi16ELi32ELi8ELi1ELi1ELb0ELc84ELc85EKPKfKPfEviT_PT9_S5_lS7_S5_lPT10_S5_li ; -- Begin function _ZL37rocblas_syrkx_herkx_restricted_kernelIlfLi16ELi32ELi8ELi1ELi1ELb0ELc84ELc85EKPKfKPfEviT_PT9_S5_lS7_S5_lPT10_S5_li
	.p2align	8
	.type	_ZL37rocblas_syrkx_herkx_restricted_kernelIlfLi16ELi32ELi8ELi1ELi1ELb0ELc84ELc85EKPKfKPfEviT_PT9_S5_lS7_S5_lPT10_S5_li,@function
_ZL37rocblas_syrkx_herkx_restricted_kernelIlfLi16ELi32ELi8ELi1ELi1ELb0ELc84ELc85EKPKfKPfEviT_PT9_S5_lS7_S5_lPT10_S5_li: ; @_ZL37rocblas_syrkx_herkx_restricted_kernelIlfLi16ELi32ELi8ELi1ELi1ELb0ELc84ELc85EKPKfKPfEviT_PT9_S5_lS7_S5_lPT10_S5_li
; %bb.0:
	s_load_dwordx4 s[0:3], s[4:5], 0x40
	s_load_dwordx4 s[12:15], s[4:5], 0x8
	s_mov_b32 s9, 0
	s_lshl_b64 s[10:11], s[8:9], 3
	s_waitcnt lgkmcnt(0)
	s_add_u32 s0, s0, s10
	s_addc_u32 s1, s1, s11
	s_load_dwordx2 s[8:9], s[0:1], 0x0
	v_cmp_lt_i64_e64 s[0:1], s[12:13], 1
	s_lshl_b32 s16, s6, 5
	s_lshl_b32 s17, s7, 5
	s_and_b64 vcc, exec, s[0:1]
	s_cbranch_vccnz .LBB1391_3
; %bb.1:
	s_load_dwordx2 s[0:1], s[4:5], 0x18
	s_load_dwordx4 s[20:23], s[4:5], 0x28
	v_lshl_add_u32 v4, v1, 4, v0
	v_lshrrev_b32_e32 v8, 3, v4
	v_add_u32_e32 v5, s17, v8
	s_add_u32 s6, s14, s10
	v_ashrrev_i32_e32 v6, 31, v5
	v_and_b32_e32 v2, 7, v0
	v_mov_b32_e32 v3, 0
	s_addc_u32 s7, s15, s11
	s_waitcnt lgkmcnt(0)
	v_mul_lo_u32 v9, s22, v6
	v_mul_lo_u32 v10, s23, v5
	v_mad_u64_u32 v[6:7], s[14:15], s22, v5, v[2:3]
	v_lshlrev_b32_e32 v2, 2, v2
	v_lshl_or_b32 v2, v8, 5, v2
	v_add3_u32 v7, v10, v7, v9
	v_and_b32_e32 v9, 31, v4
	v_add_u32_e32 v11, 0x400, v2
	v_add_u32_e32 v2, s16, v9
	v_lshrrev_b32_e32 v4, 5, v4
	v_mov_b32_e32 v5, v3
	v_lshlrev_b32_e32 v10, 2, v9
	v_ashrrev_i32_e32 v8, 31, v2
	v_lshl_or_b32 v10, v4, 7, v10
	v_mul_lo_u32 v8, s0, v8
	v_mad_u64_u32 v[4:5], s[14:15], s0, v2, v[4:5]
	v_mul_lo_u32 v2, s1, v2
	s_load_dwordx2 s[6:7], s[6:7], 0x0
	s_add_u32 s10, s20, s10
	s_addc_u32 s11, s21, s11
	s_load_dwordx2 s[10:11], s[10:11], 0x0
	v_add3_u32 v5, v2, v5, v8
	v_lshlrev_b64 v[4:5], 2, v[4:5]
	s_waitcnt lgkmcnt(0)
	v_mov_b32_e32 v2, s7
	v_add_co_u32_e32 v4, vcc, s6, v4
	v_lshlrev_b64 v[6:7], 2, v[6:7]
	v_addc_co_u32_e32 v5, vcc, v2, v5, vcc
	v_mov_b32_e32 v9, 0x400
	v_mov_b32_e32 v2, s11
	v_add_co_u32_e32 v6, vcc, s10, v6
	v_lshlrev_b32_e32 v12, 2, v0
	v_lshl_add_u32 v13, v1, 5, v9
	v_addc_co_u32_e32 v7, vcc, v2, v7, vcc
	s_mov_b64 s[6:7], 0
	v_mov_b32_e32 v2, v3
	v_mov_b32_e32 v8, v3
	;; [unrolled: 1-line block ×3, first 2 shown]
.LBB1391_2:                             ; =>This Inner Loop Header: Depth=1
	flat_load_dword v14, v[4:5]
	s_add_u32 s6, s6, 8
	s_addc_u32 s7, s7, 0
	v_add_co_u32_e64 v4, s[0:1], 32, v4
	v_addc_co_u32_e64 v5, s[0:1], 0, v5, s[0:1]
	s_waitcnt vmcnt(0) lgkmcnt(0)
	ds_write_b32 v10, v14
	flat_load_dword v14, v[6:7]
	v_add_co_u32_e64 v6, s[0:1], 32, v6
	v_addc_co_u32_e64 v7, s[0:1], 0, v7, s[0:1]
	s_waitcnt vmcnt(0) lgkmcnt(0)
	ds_write_b32 v11, v14
	s_waitcnt lgkmcnt(0)
	s_barrier
	ds_read2_b32 v[26:27], v12 offset1:16
	ds_read_b128 v[14:17], v13
	ds_read2_b32 v[28:29], v12 offset0:32 offset1:48
	ds_read2_b32 v[30:31], v12 offset0:64 offset1:80
	ds_read_b128 v[18:21], v13 offset:16
	ds_read2_b32 v[32:33], v12 offset0:96 offset1:112
	s_waitcnt lgkmcnt(4)
	v_fmac_f32_e32 v9, v26, v14
	v_fmac_f32_e32 v8, v27, v14
	s_waitcnt lgkmcnt(3)
	v_fmac_f32_e32 v9, v28, v15
	v_fmac_f32_e32 v8, v29, v15
	v_mov_b32_e32 v15, s7
	s_waitcnt lgkmcnt(2)
	v_fmac_f32_e32 v9, v30, v16
	v_fmac_f32_e32 v8, v31, v16
	v_mov_b32_e32 v14, s6
	s_waitcnt lgkmcnt(0)
	v_fmac_f32_e32 v9, v32, v17
	v_fmac_f32_e32 v8, v33, v17
	v_cmp_le_u64_e32 vcc, s[12:13], v[14:15]
	ds_read_b128 v[14:17], v13 offset:512
	ds_read_b128 v[22:25], v13 offset:528
	s_and_b64 vcc, exec, vcc
	s_waitcnt lgkmcnt(1)
	v_fmac_f32_e32 v2, v26, v14
	v_fmac_f32_e32 v3, v27, v14
	;; [unrolled: 1-line block ×8, first 2 shown]
	ds_read2_b32 v[14:15], v12 offset0:128 offset1:144
	ds_read2_b32 v[16:17], v12 offset0:160 offset1:176
	;; [unrolled: 1-line block ×3, first 2 shown]
	s_waitcnt lgkmcnt(2)
	v_fmac_f32_e32 v9, v14, v18
	v_fmac_f32_e32 v8, v15, v18
	;; [unrolled: 1-line block ×4, first 2 shown]
	ds_read2_b32 v[14:15], v12 offset0:224 offset1:240
	s_waitcnt lgkmcnt(2)
	v_fmac_f32_e32 v9, v16, v19
	v_fmac_f32_e32 v8, v17, v19
	v_fmac_f32_e32 v2, v16, v23
	v_fmac_f32_e32 v3, v17, v23
	s_waitcnt lgkmcnt(1)
	v_fmac_f32_e32 v9, v26, v20
	v_fmac_f32_e32 v8, v27, v20
	v_fmac_f32_e32 v2, v26, v24
	v_fmac_f32_e32 v3, v27, v24
	;; [unrolled: 5-line block ×3, first 2 shown]
	s_barrier
	s_cbranch_vccz .LBB1391_2
	s_branch .LBB1391_4
.LBB1391_3:
	v_mov_b32_e32 v9, 0
	v_mov_b32_e32 v8, 0
	;; [unrolled: 1-line block ×4, first 2 shown]
.LBB1391_4:
	v_add_u32_e32 v6, s17, v1
	v_ashrrev_i32_e32 v1, 31, v6
	v_mul_lo_u32 v1, s2, v1
	v_mul_lo_u32 v7, s3, v6
	v_mad_u64_u32 v[4:5], s[0:1], s2, v6, 0
	s_load_dword s6, s[4:5], 0x0
	v_add_u32_e32 v0, s16, v0
	v_add3_u32 v5, v5, v1, v7
	v_lshlrev_b64 v[4:5], 2, v[4:5]
	s_waitcnt lgkmcnt(0)
	v_mov_b32_e32 v1, s9
	v_add_co_u32_e64 v7, s[0:1], s8, v4
	v_addc_co_u32_e64 v10, s[0:1], v1, v5, s[0:1]
	v_cmp_gt_i32_e32 vcc, s6, v6
	v_cmp_le_i32_e64 s[0:1], v0, v6
	s_and_b64 s[0:1], vcc, s[0:1]
	s_and_saveexec_b64 s[4:5], s[0:1]
	s_cbranch_execz .LBB1391_6
; %bb.5:
	v_ashrrev_i32_e32 v1, 31, v0
	v_lshlrev_b64 v[4:5], 2, v[0:1]
	v_add_co_u32_e64 v4, s[0:1], v7, v4
	v_addc_co_u32_e64 v5, s[0:1], v10, v5, s[0:1]
	flat_load_dword v1, v[4:5]
	s_waitcnt vmcnt(0) lgkmcnt(0)
	v_add_f32_e32 v1, v9, v1
	flat_store_dword v[4:5], v1
.LBB1391_6:
	s_or_b64 exec, exec, s[4:5]
	v_add_u32_e32 v4, 16, v0
	v_cmp_le_i32_e64 s[0:1], v4, v6
	s_and_b64 s[4:5], vcc, s[0:1]
	s_and_saveexec_b64 s[0:1], s[4:5]
	s_cbranch_execz .LBB1391_8
; %bb.7:
	v_ashrrev_i32_e32 v5, 31, v4
	v_lshlrev_b64 v[11:12], 2, v[4:5]
	v_add_co_u32_e32 v9, vcc, v7, v11
	v_addc_co_u32_e32 v10, vcc, v10, v12, vcc
	flat_load_dword v1, v[9:10]
	s_waitcnt vmcnt(0) lgkmcnt(0)
	v_add_f32_e32 v1, v8, v1
	flat_store_dword v[9:10], v1
.LBB1391_8:
	s_or_b64 exec, exec, s[0:1]
	v_add_u32_e32 v5, 16, v6
	v_ashrrev_i32_e32 v1, 31, v5
	v_mul_lo_u32 v1, s2, v1
	v_mul_lo_u32 v8, s3, v5
	v_mad_u64_u32 v[6:7], s[0:1], s2, v5, 0
	v_cmp_gt_i32_e32 vcc, s6, v5
	v_add3_u32 v7, v7, v1, v8
	v_lshlrev_b64 v[6:7], 2, v[6:7]
	v_mov_b32_e32 v1, s9
	v_add_co_u32_e64 v6, s[0:1], s8, v6
	v_addc_co_u32_e64 v7, s[0:1], v1, v7, s[0:1]
	v_cmp_le_i32_e64 s[0:1], v0, v5
	s_and_b64 s[0:1], vcc, s[0:1]
	s_and_saveexec_b64 s[2:3], s[0:1]
	s_cbranch_execz .LBB1391_10
; %bb.9:
	v_ashrrev_i32_e32 v1, 31, v0
	v_lshlrev_b64 v[0:1], 2, v[0:1]
	v_add_co_u32_e64 v0, s[0:1], v6, v0
	v_addc_co_u32_e64 v1, s[0:1], v7, v1, s[0:1]
	flat_load_dword v8, v[0:1]
	s_waitcnt vmcnt(0) lgkmcnt(0)
	v_add_f32_e32 v2, v2, v8
	flat_store_dword v[0:1], v2
.LBB1391_10:
	s_or_b64 exec, exec, s[2:3]
	v_cmp_le_i32_e64 s[0:1], v4, v5
	s_and_b64 s[0:1], vcc, s[0:1]
	s_and_saveexec_b64 s[2:3], s[0:1]
	s_cbranch_execz .LBB1391_12
; %bb.11:
	v_ashrrev_i32_e32 v5, 31, v4
	v_lshlrev_b64 v[0:1], 2, v[4:5]
	v_add_co_u32_e32 v0, vcc, v6, v0
	v_addc_co_u32_e32 v1, vcc, v7, v1, vcc
	flat_load_dword v2, v[0:1]
	s_waitcnt vmcnt(0) lgkmcnt(0)
	v_add_f32_e32 v2, v3, v2
	flat_store_dword v[0:1], v2
.LBB1391_12:
	s_endpgm
	.section	.rodata,"a",@progbits
	.p2align	6, 0x0
	.amdhsa_kernel _ZL37rocblas_syrkx_herkx_restricted_kernelIlfLi16ELi32ELi8ELi1ELi1ELb0ELc84ELc85EKPKfKPfEviT_PT9_S5_lS7_S5_lPT10_S5_li
		.amdhsa_group_segment_fixed_size 2048
		.amdhsa_private_segment_fixed_size 0
		.amdhsa_kernarg_size 92
		.amdhsa_user_sgpr_count 6
		.amdhsa_user_sgpr_private_segment_buffer 1
		.amdhsa_user_sgpr_dispatch_ptr 0
		.amdhsa_user_sgpr_queue_ptr 0
		.amdhsa_user_sgpr_kernarg_segment_ptr 1
		.amdhsa_user_sgpr_dispatch_id 0
		.amdhsa_user_sgpr_flat_scratch_init 0
		.amdhsa_user_sgpr_private_segment_size 0
		.amdhsa_uses_dynamic_stack 0
		.amdhsa_system_sgpr_private_segment_wavefront_offset 0
		.amdhsa_system_sgpr_workgroup_id_x 1
		.amdhsa_system_sgpr_workgroup_id_y 1
		.amdhsa_system_sgpr_workgroup_id_z 1
		.amdhsa_system_sgpr_workgroup_info 0
		.amdhsa_system_vgpr_workitem_id 1
		.amdhsa_next_free_vgpr 34
		.amdhsa_next_free_sgpr 24
		.amdhsa_reserve_vcc 1
		.amdhsa_reserve_flat_scratch 0
		.amdhsa_float_round_mode_32 0
		.amdhsa_float_round_mode_16_64 0
		.amdhsa_float_denorm_mode_32 3
		.amdhsa_float_denorm_mode_16_64 3
		.amdhsa_dx10_clamp 1
		.amdhsa_ieee_mode 1
		.amdhsa_fp16_overflow 0
		.amdhsa_exception_fp_ieee_invalid_op 0
		.amdhsa_exception_fp_denorm_src 0
		.amdhsa_exception_fp_ieee_div_zero 0
		.amdhsa_exception_fp_ieee_overflow 0
		.amdhsa_exception_fp_ieee_underflow 0
		.amdhsa_exception_fp_ieee_inexact 0
		.amdhsa_exception_int_div_zero 0
	.end_amdhsa_kernel
	.section	.text._ZL37rocblas_syrkx_herkx_restricted_kernelIlfLi16ELi32ELi8ELi1ELi1ELb0ELc84ELc85EKPKfKPfEviT_PT9_S5_lS7_S5_lPT10_S5_li,"axG",@progbits,_ZL37rocblas_syrkx_herkx_restricted_kernelIlfLi16ELi32ELi8ELi1ELi1ELb0ELc84ELc85EKPKfKPfEviT_PT9_S5_lS7_S5_lPT10_S5_li,comdat
.Lfunc_end1391:
	.size	_ZL37rocblas_syrkx_herkx_restricted_kernelIlfLi16ELi32ELi8ELi1ELi1ELb0ELc84ELc85EKPKfKPfEviT_PT9_S5_lS7_S5_lPT10_S5_li, .Lfunc_end1391-_ZL37rocblas_syrkx_herkx_restricted_kernelIlfLi16ELi32ELi8ELi1ELi1ELb0ELc84ELc85EKPKfKPfEviT_PT9_S5_lS7_S5_lPT10_S5_li
                                        ; -- End function
	.set _ZL37rocblas_syrkx_herkx_restricted_kernelIlfLi16ELi32ELi8ELi1ELi1ELb0ELc84ELc85EKPKfKPfEviT_PT9_S5_lS7_S5_lPT10_S5_li.num_vgpr, 34
	.set _ZL37rocblas_syrkx_herkx_restricted_kernelIlfLi16ELi32ELi8ELi1ELi1ELb0ELc84ELc85EKPKfKPfEviT_PT9_S5_lS7_S5_lPT10_S5_li.num_agpr, 0
	.set _ZL37rocblas_syrkx_herkx_restricted_kernelIlfLi16ELi32ELi8ELi1ELi1ELb0ELc84ELc85EKPKfKPfEviT_PT9_S5_lS7_S5_lPT10_S5_li.numbered_sgpr, 24
	.set _ZL37rocblas_syrkx_herkx_restricted_kernelIlfLi16ELi32ELi8ELi1ELi1ELb0ELc84ELc85EKPKfKPfEviT_PT9_S5_lS7_S5_lPT10_S5_li.num_named_barrier, 0
	.set _ZL37rocblas_syrkx_herkx_restricted_kernelIlfLi16ELi32ELi8ELi1ELi1ELb0ELc84ELc85EKPKfKPfEviT_PT9_S5_lS7_S5_lPT10_S5_li.private_seg_size, 0
	.set _ZL37rocblas_syrkx_herkx_restricted_kernelIlfLi16ELi32ELi8ELi1ELi1ELb0ELc84ELc85EKPKfKPfEviT_PT9_S5_lS7_S5_lPT10_S5_li.uses_vcc, 1
	.set _ZL37rocblas_syrkx_herkx_restricted_kernelIlfLi16ELi32ELi8ELi1ELi1ELb0ELc84ELc85EKPKfKPfEviT_PT9_S5_lS7_S5_lPT10_S5_li.uses_flat_scratch, 0
	.set _ZL37rocblas_syrkx_herkx_restricted_kernelIlfLi16ELi32ELi8ELi1ELi1ELb0ELc84ELc85EKPKfKPfEviT_PT9_S5_lS7_S5_lPT10_S5_li.has_dyn_sized_stack, 0
	.set _ZL37rocblas_syrkx_herkx_restricted_kernelIlfLi16ELi32ELi8ELi1ELi1ELb0ELc84ELc85EKPKfKPfEviT_PT9_S5_lS7_S5_lPT10_S5_li.has_recursion, 0
	.set _ZL37rocblas_syrkx_herkx_restricted_kernelIlfLi16ELi32ELi8ELi1ELi1ELb0ELc84ELc85EKPKfKPfEviT_PT9_S5_lS7_S5_lPT10_S5_li.has_indirect_call, 0
	.section	.AMDGPU.csdata,"",@progbits
; Kernel info:
; codeLenInByte = 1188
; TotalNumSgprs: 28
; NumVgprs: 34
; ScratchSize: 0
; MemoryBound: 0
; FloatMode: 240
; IeeeMode: 1
; LDSByteSize: 2048 bytes/workgroup (compile time only)
; SGPRBlocks: 3
; VGPRBlocks: 8
; NumSGPRsForWavesPerEU: 28
; NumVGPRsForWavesPerEU: 34
; Occupancy: 7
; WaveLimiterHint : 1
; COMPUTE_PGM_RSRC2:SCRATCH_EN: 0
; COMPUTE_PGM_RSRC2:USER_SGPR: 6
; COMPUTE_PGM_RSRC2:TRAP_HANDLER: 0
; COMPUTE_PGM_RSRC2:TGID_X_EN: 1
; COMPUTE_PGM_RSRC2:TGID_Y_EN: 1
; COMPUTE_PGM_RSRC2:TGID_Z_EN: 1
; COMPUTE_PGM_RSRC2:TIDIG_COMP_CNT: 1
	.section	.text._ZL37rocblas_syrkx_herkx_restricted_kernelIlfLi16ELi32ELi8ELi1ELi1ELb0ELc67ELc85EKPKfKPfEviT_PT9_S5_lS7_S5_lPT10_S5_li,"axG",@progbits,_ZL37rocblas_syrkx_herkx_restricted_kernelIlfLi16ELi32ELi8ELi1ELi1ELb0ELc67ELc85EKPKfKPfEviT_PT9_S5_lS7_S5_lPT10_S5_li,comdat
	.globl	_ZL37rocblas_syrkx_herkx_restricted_kernelIlfLi16ELi32ELi8ELi1ELi1ELb0ELc67ELc85EKPKfKPfEviT_PT9_S5_lS7_S5_lPT10_S5_li ; -- Begin function _ZL37rocblas_syrkx_herkx_restricted_kernelIlfLi16ELi32ELi8ELi1ELi1ELb0ELc67ELc85EKPKfKPfEviT_PT9_S5_lS7_S5_lPT10_S5_li
	.p2align	8
	.type	_ZL37rocblas_syrkx_herkx_restricted_kernelIlfLi16ELi32ELi8ELi1ELi1ELb0ELc67ELc85EKPKfKPfEviT_PT9_S5_lS7_S5_lPT10_S5_li,@function
_ZL37rocblas_syrkx_herkx_restricted_kernelIlfLi16ELi32ELi8ELi1ELi1ELb0ELc67ELc85EKPKfKPfEviT_PT9_S5_lS7_S5_lPT10_S5_li: ; @_ZL37rocblas_syrkx_herkx_restricted_kernelIlfLi16ELi32ELi8ELi1ELi1ELb0ELc67ELc85EKPKfKPfEviT_PT9_S5_lS7_S5_lPT10_S5_li
; %bb.0:
	s_load_dwordx4 s[0:3], s[4:5], 0x40
	s_load_dwordx4 s[12:15], s[4:5], 0x8
	s_mov_b32 s9, 0
	s_lshl_b64 s[10:11], s[8:9], 3
	s_waitcnt lgkmcnt(0)
	s_add_u32 s0, s0, s10
	s_addc_u32 s1, s1, s11
	s_load_dwordx2 s[8:9], s[0:1], 0x0
	v_cmp_lt_i64_e64 s[0:1], s[12:13], 1
	s_lshl_b32 s16, s6, 5
	s_lshl_b32 s17, s7, 5
	s_and_b64 vcc, exec, s[0:1]
	s_cbranch_vccnz .LBB1392_3
; %bb.1:
	s_load_dwordx2 s[0:1], s[4:5], 0x18
	s_load_dwordx4 s[20:23], s[4:5], 0x28
	v_lshl_add_u32 v4, v1, 4, v0
	v_lshrrev_b32_e32 v8, 3, v4
	v_add_u32_e32 v5, s17, v8
	s_add_u32 s6, s14, s10
	v_ashrrev_i32_e32 v6, 31, v5
	v_and_b32_e32 v2, 7, v0
	v_mov_b32_e32 v3, 0
	s_addc_u32 s7, s15, s11
	s_waitcnt lgkmcnt(0)
	v_mul_lo_u32 v9, s22, v6
	v_mul_lo_u32 v10, s23, v5
	v_mad_u64_u32 v[6:7], s[14:15], s22, v5, v[2:3]
	v_lshlrev_b32_e32 v2, 2, v2
	v_lshl_or_b32 v2, v8, 5, v2
	v_add3_u32 v7, v10, v7, v9
	v_and_b32_e32 v9, 31, v4
	v_add_u32_e32 v11, 0x400, v2
	v_add_u32_e32 v2, s16, v9
	v_lshrrev_b32_e32 v4, 5, v4
	v_mov_b32_e32 v5, v3
	v_lshlrev_b32_e32 v10, 2, v9
	v_ashrrev_i32_e32 v8, 31, v2
	v_lshl_or_b32 v10, v4, 7, v10
	v_mul_lo_u32 v8, s0, v8
	v_mad_u64_u32 v[4:5], s[14:15], s0, v2, v[4:5]
	v_mul_lo_u32 v2, s1, v2
	s_load_dwordx2 s[6:7], s[6:7], 0x0
	s_add_u32 s10, s20, s10
	s_addc_u32 s11, s21, s11
	s_load_dwordx2 s[10:11], s[10:11], 0x0
	v_add3_u32 v5, v2, v5, v8
	v_lshlrev_b64 v[4:5], 2, v[4:5]
	s_waitcnt lgkmcnt(0)
	v_mov_b32_e32 v2, s7
	v_add_co_u32_e32 v4, vcc, s6, v4
	v_lshlrev_b64 v[6:7], 2, v[6:7]
	v_addc_co_u32_e32 v5, vcc, v2, v5, vcc
	v_mov_b32_e32 v9, 0x400
	v_mov_b32_e32 v2, s11
	v_add_co_u32_e32 v6, vcc, s10, v6
	v_lshlrev_b32_e32 v12, 2, v0
	v_lshl_add_u32 v13, v1, 5, v9
	v_addc_co_u32_e32 v7, vcc, v2, v7, vcc
	s_mov_b64 s[6:7], 0
	v_mov_b32_e32 v2, v3
	v_mov_b32_e32 v8, v3
	;; [unrolled: 1-line block ×3, first 2 shown]
.LBB1392_2:                             ; =>This Inner Loop Header: Depth=1
	flat_load_dword v14, v[4:5]
	s_add_u32 s6, s6, 8
	s_addc_u32 s7, s7, 0
	v_add_co_u32_e64 v4, s[0:1], 32, v4
	v_addc_co_u32_e64 v5, s[0:1], 0, v5, s[0:1]
	s_waitcnt vmcnt(0) lgkmcnt(0)
	ds_write_b32 v10, v14
	flat_load_dword v14, v[6:7]
	v_add_co_u32_e64 v6, s[0:1], 32, v6
	v_addc_co_u32_e64 v7, s[0:1], 0, v7, s[0:1]
	s_waitcnt vmcnt(0) lgkmcnt(0)
	ds_write_b32 v11, v14
	s_waitcnt lgkmcnt(0)
	s_barrier
	ds_read2_b32 v[26:27], v12 offset1:16
	ds_read_b128 v[14:17], v13
	ds_read2_b32 v[28:29], v12 offset0:32 offset1:48
	ds_read2_b32 v[30:31], v12 offset0:64 offset1:80
	ds_read_b128 v[18:21], v13 offset:16
	ds_read2_b32 v[32:33], v12 offset0:96 offset1:112
	s_waitcnt lgkmcnt(4)
	v_fmac_f32_e32 v9, v26, v14
	v_fmac_f32_e32 v8, v27, v14
	s_waitcnt lgkmcnt(3)
	v_fmac_f32_e32 v9, v28, v15
	v_fmac_f32_e32 v8, v29, v15
	v_mov_b32_e32 v15, s7
	s_waitcnt lgkmcnt(2)
	v_fmac_f32_e32 v9, v30, v16
	v_fmac_f32_e32 v8, v31, v16
	v_mov_b32_e32 v14, s6
	s_waitcnt lgkmcnt(0)
	v_fmac_f32_e32 v9, v32, v17
	v_fmac_f32_e32 v8, v33, v17
	v_cmp_le_u64_e32 vcc, s[12:13], v[14:15]
	ds_read_b128 v[14:17], v13 offset:512
	ds_read_b128 v[22:25], v13 offset:528
	s_and_b64 vcc, exec, vcc
	s_waitcnt lgkmcnt(1)
	v_fmac_f32_e32 v2, v26, v14
	v_fmac_f32_e32 v3, v27, v14
	;; [unrolled: 1-line block ×8, first 2 shown]
	ds_read2_b32 v[14:15], v12 offset0:128 offset1:144
	ds_read2_b32 v[16:17], v12 offset0:160 offset1:176
	;; [unrolled: 1-line block ×3, first 2 shown]
	s_waitcnt lgkmcnt(2)
	v_fmac_f32_e32 v9, v14, v18
	v_fmac_f32_e32 v8, v15, v18
	;; [unrolled: 1-line block ×4, first 2 shown]
	ds_read2_b32 v[14:15], v12 offset0:224 offset1:240
	s_waitcnt lgkmcnt(2)
	v_fmac_f32_e32 v9, v16, v19
	v_fmac_f32_e32 v8, v17, v19
	v_fmac_f32_e32 v2, v16, v23
	v_fmac_f32_e32 v3, v17, v23
	s_waitcnt lgkmcnt(1)
	v_fmac_f32_e32 v9, v26, v20
	v_fmac_f32_e32 v8, v27, v20
	v_fmac_f32_e32 v2, v26, v24
	v_fmac_f32_e32 v3, v27, v24
	;; [unrolled: 5-line block ×3, first 2 shown]
	s_barrier
	s_cbranch_vccz .LBB1392_2
	s_branch .LBB1392_4
.LBB1392_3:
	v_mov_b32_e32 v9, 0
	v_mov_b32_e32 v8, 0
	;; [unrolled: 1-line block ×4, first 2 shown]
.LBB1392_4:
	v_add_u32_e32 v6, s17, v1
	v_ashrrev_i32_e32 v1, 31, v6
	v_mul_lo_u32 v1, s2, v1
	v_mul_lo_u32 v7, s3, v6
	v_mad_u64_u32 v[4:5], s[0:1], s2, v6, 0
	s_load_dword s6, s[4:5], 0x0
	v_add_u32_e32 v0, s16, v0
	v_add3_u32 v5, v5, v1, v7
	v_lshlrev_b64 v[4:5], 2, v[4:5]
	s_waitcnt lgkmcnt(0)
	v_mov_b32_e32 v1, s9
	v_add_co_u32_e64 v7, s[0:1], s8, v4
	v_addc_co_u32_e64 v10, s[0:1], v1, v5, s[0:1]
	v_cmp_gt_i32_e32 vcc, s6, v6
	v_cmp_le_i32_e64 s[0:1], v0, v6
	s_and_b64 s[0:1], vcc, s[0:1]
	s_and_saveexec_b64 s[4:5], s[0:1]
	s_cbranch_execz .LBB1392_6
; %bb.5:
	v_ashrrev_i32_e32 v1, 31, v0
	v_lshlrev_b64 v[4:5], 2, v[0:1]
	v_add_co_u32_e64 v4, s[0:1], v7, v4
	v_addc_co_u32_e64 v5, s[0:1], v10, v5, s[0:1]
	flat_load_dword v1, v[4:5]
	s_waitcnt vmcnt(0) lgkmcnt(0)
	v_add_f32_e32 v1, v9, v1
	flat_store_dword v[4:5], v1
.LBB1392_6:
	s_or_b64 exec, exec, s[4:5]
	v_add_u32_e32 v4, 16, v0
	v_cmp_le_i32_e64 s[0:1], v4, v6
	s_and_b64 s[4:5], vcc, s[0:1]
	s_and_saveexec_b64 s[0:1], s[4:5]
	s_cbranch_execz .LBB1392_8
; %bb.7:
	v_ashrrev_i32_e32 v5, 31, v4
	v_lshlrev_b64 v[11:12], 2, v[4:5]
	v_add_co_u32_e32 v9, vcc, v7, v11
	v_addc_co_u32_e32 v10, vcc, v10, v12, vcc
	flat_load_dword v1, v[9:10]
	s_waitcnt vmcnt(0) lgkmcnt(0)
	v_add_f32_e32 v1, v8, v1
	flat_store_dword v[9:10], v1
.LBB1392_8:
	s_or_b64 exec, exec, s[0:1]
	v_add_u32_e32 v5, 16, v6
	v_ashrrev_i32_e32 v1, 31, v5
	v_mul_lo_u32 v1, s2, v1
	v_mul_lo_u32 v8, s3, v5
	v_mad_u64_u32 v[6:7], s[0:1], s2, v5, 0
	v_cmp_gt_i32_e32 vcc, s6, v5
	v_add3_u32 v7, v7, v1, v8
	v_lshlrev_b64 v[6:7], 2, v[6:7]
	v_mov_b32_e32 v1, s9
	v_add_co_u32_e64 v6, s[0:1], s8, v6
	v_addc_co_u32_e64 v7, s[0:1], v1, v7, s[0:1]
	v_cmp_le_i32_e64 s[0:1], v0, v5
	s_and_b64 s[0:1], vcc, s[0:1]
	s_and_saveexec_b64 s[2:3], s[0:1]
	s_cbranch_execz .LBB1392_10
; %bb.9:
	v_ashrrev_i32_e32 v1, 31, v0
	v_lshlrev_b64 v[0:1], 2, v[0:1]
	v_add_co_u32_e64 v0, s[0:1], v6, v0
	v_addc_co_u32_e64 v1, s[0:1], v7, v1, s[0:1]
	flat_load_dword v8, v[0:1]
	s_waitcnt vmcnt(0) lgkmcnt(0)
	v_add_f32_e32 v2, v2, v8
	flat_store_dword v[0:1], v2
.LBB1392_10:
	s_or_b64 exec, exec, s[2:3]
	v_cmp_le_i32_e64 s[0:1], v4, v5
	s_and_b64 s[0:1], vcc, s[0:1]
	s_and_saveexec_b64 s[2:3], s[0:1]
	s_cbranch_execz .LBB1392_12
; %bb.11:
	v_ashrrev_i32_e32 v5, 31, v4
	v_lshlrev_b64 v[0:1], 2, v[4:5]
	v_add_co_u32_e32 v0, vcc, v6, v0
	v_addc_co_u32_e32 v1, vcc, v7, v1, vcc
	flat_load_dword v2, v[0:1]
	s_waitcnt vmcnt(0) lgkmcnt(0)
	v_add_f32_e32 v2, v3, v2
	flat_store_dword v[0:1], v2
.LBB1392_12:
	s_endpgm
	.section	.rodata,"a",@progbits
	.p2align	6, 0x0
	.amdhsa_kernel _ZL37rocblas_syrkx_herkx_restricted_kernelIlfLi16ELi32ELi8ELi1ELi1ELb0ELc67ELc85EKPKfKPfEviT_PT9_S5_lS7_S5_lPT10_S5_li
		.amdhsa_group_segment_fixed_size 2048
		.amdhsa_private_segment_fixed_size 0
		.amdhsa_kernarg_size 92
		.amdhsa_user_sgpr_count 6
		.amdhsa_user_sgpr_private_segment_buffer 1
		.amdhsa_user_sgpr_dispatch_ptr 0
		.amdhsa_user_sgpr_queue_ptr 0
		.amdhsa_user_sgpr_kernarg_segment_ptr 1
		.amdhsa_user_sgpr_dispatch_id 0
		.amdhsa_user_sgpr_flat_scratch_init 0
		.amdhsa_user_sgpr_private_segment_size 0
		.amdhsa_uses_dynamic_stack 0
		.amdhsa_system_sgpr_private_segment_wavefront_offset 0
		.amdhsa_system_sgpr_workgroup_id_x 1
		.amdhsa_system_sgpr_workgroup_id_y 1
		.amdhsa_system_sgpr_workgroup_id_z 1
		.amdhsa_system_sgpr_workgroup_info 0
		.amdhsa_system_vgpr_workitem_id 1
		.amdhsa_next_free_vgpr 34
		.amdhsa_next_free_sgpr 24
		.amdhsa_reserve_vcc 1
		.amdhsa_reserve_flat_scratch 0
		.amdhsa_float_round_mode_32 0
		.amdhsa_float_round_mode_16_64 0
		.amdhsa_float_denorm_mode_32 3
		.amdhsa_float_denorm_mode_16_64 3
		.amdhsa_dx10_clamp 1
		.amdhsa_ieee_mode 1
		.amdhsa_fp16_overflow 0
		.amdhsa_exception_fp_ieee_invalid_op 0
		.amdhsa_exception_fp_denorm_src 0
		.amdhsa_exception_fp_ieee_div_zero 0
		.amdhsa_exception_fp_ieee_overflow 0
		.amdhsa_exception_fp_ieee_underflow 0
		.amdhsa_exception_fp_ieee_inexact 0
		.amdhsa_exception_int_div_zero 0
	.end_amdhsa_kernel
	.section	.text._ZL37rocblas_syrkx_herkx_restricted_kernelIlfLi16ELi32ELi8ELi1ELi1ELb0ELc67ELc85EKPKfKPfEviT_PT9_S5_lS7_S5_lPT10_S5_li,"axG",@progbits,_ZL37rocblas_syrkx_herkx_restricted_kernelIlfLi16ELi32ELi8ELi1ELi1ELb0ELc67ELc85EKPKfKPfEviT_PT9_S5_lS7_S5_lPT10_S5_li,comdat
.Lfunc_end1392:
	.size	_ZL37rocblas_syrkx_herkx_restricted_kernelIlfLi16ELi32ELi8ELi1ELi1ELb0ELc67ELc85EKPKfKPfEviT_PT9_S5_lS7_S5_lPT10_S5_li, .Lfunc_end1392-_ZL37rocblas_syrkx_herkx_restricted_kernelIlfLi16ELi32ELi8ELi1ELi1ELb0ELc67ELc85EKPKfKPfEviT_PT9_S5_lS7_S5_lPT10_S5_li
                                        ; -- End function
	.set _ZL37rocblas_syrkx_herkx_restricted_kernelIlfLi16ELi32ELi8ELi1ELi1ELb0ELc67ELc85EKPKfKPfEviT_PT9_S5_lS7_S5_lPT10_S5_li.num_vgpr, 34
	.set _ZL37rocblas_syrkx_herkx_restricted_kernelIlfLi16ELi32ELi8ELi1ELi1ELb0ELc67ELc85EKPKfKPfEviT_PT9_S5_lS7_S5_lPT10_S5_li.num_agpr, 0
	.set _ZL37rocblas_syrkx_herkx_restricted_kernelIlfLi16ELi32ELi8ELi1ELi1ELb0ELc67ELc85EKPKfKPfEviT_PT9_S5_lS7_S5_lPT10_S5_li.numbered_sgpr, 24
	.set _ZL37rocblas_syrkx_herkx_restricted_kernelIlfLi16ELi32ELi8ELi1ELi1ELb0ELc67ELc85EKPKfKPfEviT_PT9_S5_lS7_S5_lPT10_S5_li.num_named_barrier, 0
	.set _ZL37rocblas_syrkx_herkx_restricted_kernelIlfLi16ELi32ELi8ELi1ELi1ELb0ELc67ELc85EKPKfKPfEviT_PT9_S5_lS7_S5_lPT10_S5_li.private_seg_size, 0
	.set _ZL37rocblas_syrkx_herkx_restricted_kernelIlfLi16ELi32ELi8ELi1ELi1ELb0ELc67ELc85EKPKfKPfEviT_PT9_S5_lS7_S5_lPT10_S5_li.uses_vcc, 1
	.set _ZL37rocblas_syrkx_herkx_restricted_kernelIlfLi16ELi32ELi8ELi1ELi1ELb0ELc67ELc85EKPKfKPfEviT_PT9_S5_lS7_S5_lPT10_S5_li.uses_flat_scratch, 0
	.set _ZL37rocblas_syrkx_herkx_restricted_kernelIlfLi16ELi32ELi8ELi1ELi1ELb0ELc67ELc85EKPKfKPfEviT_PT9_S5_lS7_S5_lPT10_S5_li.has_dyn_sized_stack, 0
	.set _ZL37rocblas_syrkx_herkx_restricted_kernelIlfLi16ELi32ELi8ELi1ELi1ELb0ELc67ELc85EKPKfKPfEviT_PT9_S5_lS7_S5_lPT10_S5_li.has_recursion, 0
	.set _ZL37rocblas_syrkx_herkx_restricted_kernelIlfLi16ELi32ELi8ELi1ELi1ELb0ELc67ELc85EKPKfKPfEviT_PT9_S5_lS7_S5_lPT10_S5_li.has_indirect_call, 0
	.section	.AMDGPU.csdata,"",@progbits
; Kernel info:
; codeLenInByte = 1188
; TotalNumSgprs: 28
; NumVgprs: 34
; ScratchSize: 0
; MemoryBound: 0
; FloatMode: 240
; IeeeMode: 1
; LDSByteSize: 2048 bytes/workgroup (compile time only)
; SGPRBlocks: 3
; VGPRBlocks: 8
; NumSGPRsForWavesPerEU: 28
; NumVGPRsForWavesPerEU: 34
; Occupancy: 7
; WaveLimiterHint : 1
; COMPUTE_PGM_RSRC2:SCRATCH_EN: 0
; COMPUTE_PGM_RSRC2:USER_SGPR: 6
; COMPUTE_PGM_RSRC2:TRAP_HANDLER: 0
; COMPUTE_PGM_RSRC2:TGID_X_EN: 1
; COMPUTE_PGM_RSRC2:TGID_Y_EN: 1
; COMPUTE_PGM_RSRC2:TGID_Z_EN: 1
; COMPUTE_PGM_RSRC2:TIDIG_COMP_CNT: 1
	.section	.text._ZL37rocblas_syrkx_herkx_restricted_kernelIlfLi16ELi32ELi8ELi1ELi1ELb0ELc78ELc85EKPKfKPfEviT_PT9_S5_lS7_S5_lPT10_S5_li,"axG",@progbits,_ZL37rocblas_syrkx_herkx_restricted_kernelIlfLi16ELi32ELi8ELi1ELi1ELb0ELc78ELc85EKPKfKPfEviT_PT9_S5_lS7_S5_lPT10_S5_li,comdat
	.globl	_ZL37rocblas_syrkx_herkx_restricted_kernelIlfLi16ELi32ELi8ELi1ELi1ELb0ELc78ELc85EKPKfKPfEviT_PT9_S5_lS7_S5_lPT10_S5_li ; -- Begin function _ZL37rocblas_syrkx_herkx_restricted_kernelIlfLi16ELi32ELi8ELi1ELi1ELb0ELc78ELc85EKPKfKPfEviT_PT9_S5_lS7_S5_lPT10_S5_li
	.p2align	8
	.type	_ZL37rocblas_syrkx_herkx_restricted_kernelIlfLi16ELi32ELi8ELi1ELi1ELb0ELc78ELc85EKPKfKPfEviT_PT9_S5_lS7_S5_lPT10_S5_li,@function
_ZL37rocblas_syrkx_herkx_restricted_kernelIlfLi16ELi32ELi8ELi1ELi1ELb0ELc78ELc85EKPKfKPfEviT_PT9_S5_lS7_S5_lPT10_S5_li: ; @_ZL37rocblas_syrkx_herkx_restricted_kernelIlfLi16ELi32ELi8ELi1ELi1ELb0ELc78ELc85EKPKfKPfEviT_PT9_S5_lS7_S5_lPT10_S5_li
; %bb.0:
	s_load_dwordx4 s[0:3], s[4:5], 0x40
	s_load_dwordx4 s[12:15], s[4:5], 0x8
	s_mov_b32 s9, 0
	s_lshl_b64 s[18:19], s[8:9], 3
	s_waitcnt lgkmcnt(0)
	s_add_u32 s0, s0, s18
	s_addc_u32 s1, s1, s19
	s_load_dwordx2 s[16:17], s[0:1], 0x0
	v_cmp_lt_i64_e64 s[0:1], s[12:13], 1
	s_lshl_b32 s20, s6, 5
	s_lshl_b32 s21, s7, 5
	s_and_b64 vcc, exec, s[0:1]
	s_cbranch_vccnz .LBB1393_3
; %bb.1:
	s_load_dwordx2 s[0:1], s[4:5], 0x18
	s_load_dwordx4 s[8:11], s[4:5], 0x28
	v_lshl_add_u32 v7, v1, 4, v0
	v_lshrrev_b32_e32 v8, 3, v7
	v_add_u32_e32 v2, s21, v8
	v_and_b32_e32 v6, 7, v0
	v_ashrrev_i32_e32 v3, 31, v2
	s_waitcnt lgkmcnt(0)
	v_mad_u64_u32 v[4:5], s[6:7], s10, v6, v[2:3]
	s_add_u32 s6, s14, s18
	s_addc_u32 s7, s15, s19
	v_mov_b32_e32 v2, v5
	v_mad_u64_u32 v[2:3], s[14:15], s11, v6, v[2:3]
	v_lshrrev_b32_e32 v9, 5, v7
	v_lshlrev_b32_e32 v6, 2, v6
	v_mov_b32_e32 v5, v2
	v_and_b32_e32 v2, 31, v7
	v_lshlrev_b32_e32 v3, 2, v2
	v_add_u32_e32 v2, s20, v2
	v_lshl_or_b32 v10, v9, 7, v3
	v_ashrrev_i32_e32 v3, 31, v2
	v_mad_u64_u32 v[2:3], s[14:15], s0, v9, v[2:3]
	v_lshl_or_b32 v6, v8, 5, v6
	v_add_u32_e32 v11, 0x400, v6
	v_mad_u64_u32 v[6:7], s[14:15], s1, v9, v[3:4]
	s_load_dwordx2 s[6:7], s[6:7], 0x0
	s_add_u32 s8, s8, s18
	s_addc_u32 s9, s9, s19
	v_mov_b32_e32 v3, 0x400
	s_load_dwordx2 s[8:9], s[8:9], 0x0
	v_lshl_add_u32 v13, v1, 5, v3
	v_mov_b32_e32 v3, v6
	v_lshlrev_b64 v[2:3], 2, v[2:3]
	s_waitcnt lgkmcnt(0)
	v_mov_b32_e32 v6, s7
	v_add_co_u32_e32 v2, vcc, s6, v2
	v_lshlrev_b64 v[4:5], 2, v[4:5]
	v_addc_co_u32_e32 v3, vcc, v6, v3, vcc
	v_mov_b32_e32 v6, s9
	v_add_co_u32_e32 v4, vcc, s8, v4
	v_lshlrev_b32_e32 v12, 2, v0
	s_lshl_b64 s[6:7], s[0:1], 5
	v_addc_co_u32_e32 v5, vcc, v6, v5, vcc
	s_lshl_b64 s[8:9], s[10:11], 5
	v_mov_b32_e32 v6, 0
	s_mov_b64 s[10:11], 0
	v_mov_b32_e32 v7, 0
	v_mov_b32_e32 v8, 0
	;; [unrolled: 1-line block ×3, first 2 shown]
.LBB1393_2:                             ; =>This Inner Loop Header: Depth=1
	flat_load_dword v14, v[2:3]
	s_add_u32 s10, s10, 8
	s_addc_u32 s11, s11, 0
	v_add_co_u32_e64 v2, s[0:1], s6, v2
	s_waitcnt vmcnt(0) lgkmcnt(0)
	ds_write_b32 v10, v14
	flat_load_dword v16, v[4:5]
	v_mov_b32_e32 v15, s11
	v_mov_b32_e32 v14, s10
	v_cmp_le_u64_e32 vcc, s[12:13], v[14:15]
	s_and_b64 vcc, exec, vcc
	s_waitcnt vmcnt(0) lgkmcnt(0)
	ds_write_b32 v11, v16
	s_waitcnt lgkmcnt(0)
	s_barrier
	ds_read2_b32 v[26:27], v12 offset1:16
	ds_read_b128 v[14:17], v13
	ds_read2_b32 v[28:29], v12 offset0:32 offset1:48
	ds_read2_b32 v[30:31], v12 offset0:64 offset1:80
	ds_read2_b32 v[32:33], v12 offset0:96 offset1:112
	ds_read_b128 v[18:21], v13 offset:16
	s_waitcnt lgkmcnt(4)
	v_fmac_f32_e32 v9, v26, v14
	v_fmac_f32_e32 v8, v27, v14
	s_waitcnt lgkmcnt(3)
	v_fmac_f32_e32 v9, v28, v15
	v_fmac_f32_e32 v8, v29, v15
	;; [unrolled: 3-line block ×4, first 2 shown]
	ds_read_b128 v[14:17], v13 offset:512
	ds_read_b128 v[22:25], v13 offset:528
	s_waitcnt lgkmcnt(1)
	v_fmac_f32_e32 v7, v26, v14
	v_fmac_f32_e32 v6, v27, v14
	v_mov_b32_e32 v14, s7
	v_addc_co_u32_e64 v3, s[0:1], v3, v14, s[0:1]
	v_mov_b32_e32 v14, s9
	v_add_co_u32_e64 v4, s[0:1], s8, v4
	v_fmac_f32_e32 v7, v28, v15
	v_fmac_f32_e32 v6, v29, v15
	v_addc_co_u32_e64 v5, s[0:1], v5, v14, s[0:1]
	ds_read2_b32 v[14:15], v12 offset0:128 offset1:144
	v_fmac_f32_e32 v7, v30, v16
	v_fmac_f32_e32 v6, v31, v16
	;; [unrolled: 1-line block ×4, first 2 shown]
	ds_read2_b32 v[16:17], v12 offset0:160 offset1:176
	ds_read2_b32 v[26:27], v12 offset0:192 offset1:208
	;; [unrolled: 1-line block ×3, first 2 shown]
	s_waitcnt lgkmcnt(3)
	v_fmac_f32_e32 v9, v14, v18
	v_fmac_f32_e32 v8, v15, v18
	v_fmac_f32_e32 v7, v14, v22
	v_fmac_f32_e32 v6, v15, v22
	s_waitcnt lgkmcnt(2)
	v_fmac_f32_e32 v9, v16, v19
	v_fmac_f32_e32 v8, v17, v19
	v_fmac_f32_e32 v7, v16, v23
	v_fmac_f32_e32 v6, v17, v23
	;; [unrolled: 5-line block ×4, first 2 shown]
	s_barrier
	s_cbranch_vccz .LBB1393_2
	s_branch .LBB1393_4
.LBB1393_3:
	v_mov_b32_e32 v9, 0
	v_mov_b32_e32 v8, 0
	v_mov_b32_e32 v7, 0
	v_mov_b32_e32 v6, 0
.LBB1393_4:
	v_add_u32_e32 v4, s21, v1
	v_ashrrev_i32_e32 v1, 31, v4
	v_mul_lo_u32 v3, s2, v1
	v_mul_lo_u32 v5, s3, v4
	v_mad_u64_u32 v[1:2], s[0:1], s2, v4, 0
	s_load_dword s6, s[4:5], 0x0
	v_add_u32_e32 v0, s20, v0
	v_add3_u32 v2, v2, v3, v5
	v_lshlrev_b64 v[1:2], 2, v[1:2]
	s_waitcnt lgkmcnt(0)
	v_mov_b32_e32 v3, s17
	v_add_co_u32_e64 v5, s[0:1], s16, v1
	v_addc_co_u32_e64 v10, s[0:1], v3, v2, s[0:1]
	v_cmp_gt_i32_e32 vcc, s6, v4
	v_cmp_le_i32_e64 s[0:1], v0, v4
	s_and_b64 s[0:1], vcc, s[0:1]
	s_and_saveexec_b64 s[4:5], s[0:1]
	s_cbranch_execz .LBB1393_6
; %bb.5:
	v_ashrrev_i32_e32 v1, 31, v0
	v_lshlrev_b64 v[1:2], 2, v[0:1]
	v_add_co_u32_e64 v1, s[0:1], v5, v1
	v_addc_co_u32_e64 v2, s[0:1], v10, v2, s[0:1]
	flat_load_dword v3, v[1:2]
	s_waitcnt vmcnt(0) lgkmcnt(0)
	v_add_f32_e32 v3, v9, v3
	flat_store_dword v[1:2], v3
.LBB1393_6:
	s_or_b64 exec, exec, s[4:5]
	v_add_u32_e32 v2, 16, v0
	v_cmp_le_i32_e64 s[0:1], v2, v4
	s_and_b64 s[4:5], vcc, s[0:1]
	s_and_saveexec_b64 s[0:1], s[4:5]
	s_cbranch_execz .LBB1393_8
; %bb.7:
	v_ashrrev_i32_e32 v3, 31, v2
	v_lshlrev_b64 v[11:12], 2, v[2:3]
	v_add_co_u32_e32 v9, vcc, v5, v11
	v_addc_co_u32_e32 v10, vcc, v10, v12, vcc
	flat_load_dword v1, v[9:10]
	s_waitcnt vmcnt(0) lgkmcnt(0)
	v_add_f32_e32 v1, v8, v1
	flat_store_dword v[9:10], v1
.LBB1393_8:
	s_or_b64 exec, exec, s[0:1]
	v_add_u32_e32 v3, 16, v4
	v_ashrrev_i32_e32 v1, 31, v3
	v_mul_lo_u32 v1, s2, v1
	v_mul_lo_u32 v8, s3, v3
	v_mad_u64_u32 v[4:5], s[0:1], s2, v3, 0
	v_cmp_gt_i32_e32 vcc, s6, v3
	v_add3_u32 v5, v5, v1, v8
	v_lshlrev_b64 v[4:5], 2, v[4:5]
	v_mov_b32_e32 v1, s17
	v_add_co_u32_e64 v4, s[0:1], s16, v4
	v_addc_co_u32_e64 v5, s[0:1], v1, v5, s[0:1]
	v_cmp_le_i32_e64 s[0:1], v0, v3
	s_and_b64 s[0:1], vcc, s[0:1]
	s_and_saveexec_b64 s[2:3], s[0:1]
	s_cbranch_execz .LBB1393_10
; %bb.9:
	v_ashrrev_i32_e32 v1, 31, v0
	v_lshlrev_b64 v[0:1], 2, v[0:1]
	v_add_co_u32_e64 v0, s[0:1], v4, v0
	v_addc_co_u32_e64 v1, s[0:1], v5, v1, s[0:1]
	flat_load_dword v8, v[0:1]
	s_waitcnt vmcnt(0) lgkmcnt(0)
	v_add_f32_e32 v7, v7, v8
	flat_store_dword v[0:1], v7
.LBB1393_10:
	s_or_b64 exec, exec, s[2:3]
	v_cmp_le_i32_e64 s[0:1], v2, v3
	s_and_b64 s[0:1], vcc, s[0:1]
	s_and_saveexec_b64 s[2:3], s[0:1]
	s_cbranch_execz .LBB1393_12
; %bb.11:
	v_ashrrev_i32_e32 v3, 31, v2
	v_lshlrev_b64 v[0:1], 2, v[2:3]
	v_add_co_u32_e32 v0, vcc, v4, v0
	v_addc_co_u32_e32 v1, vcc, v5, v1, vcc
	flat_load_dword v2, v[0:1]
	s_waitcnt vmcnt(0) lgkmcnt(0)
	v_add_f32_e32 v2, v6, v2
	flat_store_dword v[0:1], v2
.LBB1393_12:
	s_endpgm
	.section	.rodata,"a",@progbits
	.p2align	6, 0x0
	.amdhsa_kernel _ZL37rocblas_syrkx_herkx_restricted_kernelIlfLi16ELi32ELi8ELi1ELi1ELb0ELc78ELc85EKPKfKPfEviT_PT9_S5_lS7_S5_lPT10_S5_li
		.amdhsa_group_segment_fixed_size 2048
		.amdhsa_private_segment_fixed_size 0
		.amdhsa_kernarg_size 92
		.amdhsa_user_sgpr_count 6
		.amdhsa_user_sgpr_private_segment_buffer 1
		.amdhsa_user_sgpr_dispatch_ptr 0
		.amdhsa_user_sgpr_queue_ptr 0
		.amdhsa_user_sgpr_kernarg_segment_ptr 1
		.amdhsa_user_sgpr_dispatch_id 0
		.amdhsa_user_sgpr_flat_scratch_init 0
		.amdhsa_user_sgpr_private_segment_size 0
		.amdhsa_uses_dynamic_stack 0
		.amdhsa_system_sgpr_private_segment_wavefront_offset 0
		.amdhsa_system_sgpr_workgroup_id_x 1
		.amdhsa_system_sgpr_workgroup_id_y 1
		.amdhsa_system_sgpr_workgroup_id_z 1
		.amdhsa_system_sgpr_workgroup_info 0
		.amdhsa_system_vgpr_workitem_id 1
		.amdhsa_next_free_vgpr 34
		.amdhsa_next_free_sgpr 22
		.amdhsa_reserve_vcc 1
		.amdhsa_reserve_flat_scratch 0
		.amdhsa_float_round_mode_32 0
		.amdhsa_float_round_mode_16_64 0
		.amdhsa_float_denorm_mode_32 3
		.amdhsa_float_denorm_mode_16_64 3
		.amdhsa_dx10_clamp 1
		.amdhsa_ieee_mode 1
		.amdhsa_fp16_overflow 0
		.amdhsa_exception_fp_ieee_invalid_op 0
		.amdhsa_exception_fp_denorm_src 0
		.amdhsa_exception_fp_ieee_div_zero 0
		.amdhsa_exception_fp_ieee_overflow 0
		.amdhsa_exception_fp_ieee_underflow 0
		.amdhsa_exception_fp_ieee_inexact 0
		.amdhsa_exception_int_div_zero 0
	.end_amdhsa_kernel
	.section	.text._ZL37rocblas_syrkx_herkx_restricted_kernelIlfLi16ELi32ELi8ELi1ELi1ELb0ELc78ELc85EKPKfKPfEviT_PT9_S5_lS7_S5_lPT10_S5_li,"axG",@progbits,_ZL37rocblas_syrkx_herkx_restricted_kernelIlfLi16ELi32ELi8ELi1ELi1ELb0ELc78ELc85EKPKfKPfEviT_PT9_S5_lS7_S5_lPT10_S5_li,comdat
.Lfunc_end1393:
	.size	_ZL37rocblas_syrkx_herkx_restricted_kernelIlfLi16ELi32ELi8ELi1ELi1ELb0ELc78ELc85EKPKfKPfEviT_PT9_S5_lS7_S5_lPT10_S5_li, .Lfunc_end1393-_ZL37rocblas_syrkx_herkx_restricted_kernelIlfLi16ELi32ELi8ELi1ELi1ELb0ELc78ELc85EKPKfKPfEviT_PT9_S5_lS7_S5_lPT10_S5_li
                                        ; -- End function
	.set _ZL37rocblas_syrkx_herkx_restricted_kernelIlfLi16ELi32ELi8ELi1ELi1ELb0ELc78ELc85EKPKfKPfEviT_PT9_S5_lS7_S5_lPT10_S5_li.num_vgpr, 34
	.set _ZL37rocblas_syrkx_herkx_restricted_kernelIlfLi16ELi32ELi8ELi1ELi1ELb0ELc78ELc85EKPKfKPfEviT_PT9_S5_lS7_S5_lPT10_S5_li.num_agpr, 0
	.set _ZL37rocblas_syrkx_herkx_restricted_kernelIlfLi16ELi32ELi8ELi1ELi1ELb0ELc78ELc85EKPKfKPfEviT_PT9_S5_lS7_S5_lPT10_S5_li.numbered_sgpr, 22
	.set _ZL37rocblas_syrkx_herkx_restricted_kernelIlfLi16ELi32ELi8ELi1ELi1ELb0ELc78ELc85EKPKfKPfEviT_PT9_S5_lS7_S5_lPT10_S5_li.num_named_barrier, 0
	.set _ZL37rocblas_syrkx_herkx_restricted_kernelIlfLi16ELi32ELi8ELi1ELi1ELb0ELc78ELc85EKPKfKPfEviT_PT9_S5_lS7_S5_lPT10_S5_li.private_seg_size, 0
	.set _ZL37rocblas_syrkx_herkx_restricted_kernelIlfLi16ELi32ELi8ELi1ELi1ELb0ELc78ELc85EKPKfKPfEviT_PT9_S5_lS7_S5_lPT10_S5_li.uses_vcc, 1
	.set _ZL37rocblas_syrkx_herkx_restricted_kernelIlfLi16ELi32ELi8ELi1ELi1ELb0ELc78ELc85EKPKfKPfEviT_PT9_S5_lS7_S5_lPT10_S5_li.uses_flat_scratch, 0
	.set _ZL37rocblas_syrkx_herkx_restricted_kernelIlfLi16ELi32ELi8ELi1ELi1ELb0ELc78ELc85EKPKfKPfEviT_PT9_S5_lS7_S5_lPT10_S5_li.has_dyn_sized_stack, 0
	.set _ZL37rocblas_syrkx_herkx_restricted_kernelIlfLi16ELi32ELi8ELi1ELi1ELb0ELc78ELc85EKPKfKPfEviT_PT9_S5_lS7_S5_lPT10_S5_li.has_recursion, 0
	.set _ZL37rocblas_syrkx_herkx_restricted_kernelIlfLi16ELi32ELi8ELi1ELi1ELb0ELc78ELc85EKPKfKPfEviT_PT9_S5_lS7_S5_lPT10_S5_li.has_indirect_call, 0
	.section	.AMDGPU.csdata,"",@progbits
; Kernel info:
; codeLenInByte = 1180
; TotalNumSgprs: 26
; NumVgprs: 34
; ScratchSize: 0
; MemoryBound: 0
; FloatMode: 240
; IeeeMode: 1
; LDSByteSize: 2048 bytes/workgroup (compile time only)
; SGPRBlocks: 3
; VGPRBlocks: 8
; NumSGPRsForWavesPerEU: 26
; NumVGPRsForWavesPerEU: 34
; Occupancy: 7
; WaveLimiterHint : 1
; COMPUTE_PGM_RSRC2:SCRATCH_EN: 0
; COMPUTE_PGM_RSRC2:USER_SGPR: 6
; COMPUTE_PGM_RSRC2:TRAP_HANDLER: 0
; COMPUTE_PGM_RSRC2:TGID_X_EN: 1
; COMPUTE_PGM_RSRC2:TGID_Y_EN: 1
; COMPUTE_PGM_RSRC2:TGID_Z_EN: 1
; COMPUTE_PGM_RSRC2:TIDIG_COMP_CNT: 1
	.section	.text._ZL37rocblas_syrkx_herkx_restricted_kernelIlfLi16ELi32ELi8ELi1ELin1ELb0ELc84ELc76EKPKfKPfEviT_PT9_S5_lS7_S5_lPT10_S5_li,"axG",@progbits,_ZL37rocblas_syrkx_herkx_restricted_kernelIlfLi16ELi32ELi8ELi1ELin1ELb0ELc84ELc76EKPKfKPfEviT_PT9_S5_lS7_S5_lPT10_S5_li,comdat
	.globl	_ZL37rocblas_syrkx_herkx_restricted_kernelIlfLi16ELi32ELi8ELi1ELin1ELb0ELc84ELc76EKPKfKPfEviT_PT9_S5_lS7_S5_lPT10_S5_li ; -- Begin function _ZL37rocblas_syrkx_herkx_restricted_kernelIlfLi16ELi32ELi8ELi1ELin1ELb0ELc84ELc76EKPKfKPfEviT_PT9_S5_lS7_S5_lPT10_S5_li
	.p2align	8
	.type	_ZL37rocblas_syrkx_herkx_restricted_kernelIlfLi16ELi32ELi8ELi1ELin1ELb0ELc84ELc76EKPKfKPfEviT_PT9_S5_lS7_S5_lPT10_S5_li,@function
_ZL37rocblas_syrkx_herkx_restricted_kernelIlfLi16ELi32ELi8ELi1ELin1ELb0ELc84ELc76EKPKfKPfEviT_PT9_S5_lS7_S5_lPT10_S5_li: ; @_ZL37rocblas_syrkx_herkx_restricted_kernelIlfLi16ELi32ELi8ELi1ELin1ELb0ELc84ELc76EKPKfKPfEviT_PT9_S5_lS7_S5_lPT10_S5_li
; %bb.0:
	s_load_dwordx4 s[12:15], s[4:5], 0x40
	s_load_dwordx4 s[16:19], s[4:5], 0x8
	s_mov_b32 s9, 0
	s_lshl_b64 s[0:1], s[8:9], 3
	s_waitcnt lgkmcnt(0)
	s_add_u32 s2, s12, s0
	s_addc_u32 s3, s13, s1
	s_load_dwordx2 s[8:9], s[2:3], 0x0
	v_cmp_lt_i64_e64 s[2:3], s[16:17], 1
	s_lshl_b32 s6, s6, 5
	s_lshl_b32 s7, s7, 5
	s_and_b64 vcc, exec, s[2:3]
	s_cbranch_vccnz .LBB1394_3
; %bb.1:
	s_load_dwordx2 s[2:3], s[4:5], 0x18
	s_load_dwordx4 s[20:23], s[4:5], 0x28
	v_lshl_add_u32 v4, v1, 4, v0
	v_lshrrev_b32_e32 v8, 3, v4
	v_add_u32_e32 v5, s7, v8
	v_ashrrev_i32_e32 v6, 31, v5
	v_and_b32_e32 v2, 7, v0
	v_mov_b32_e32 v3, 0
	s_waitcnt lgkmcnt(0)
	v_mul_lo_u32 v9, s22, v6
	v_mul_lo_u32 v10, s23, v5
	v_mad_u64_u32 v[6:7], s[12:13], s22, v5, v[2:3]
	v_lshlrev_b32_e32 v2, 2, v2
	v_lshl_or_b32 v2, v8, 5, v2
	v_add3_u32 v7, v10, v7, v9
	v_and_b32_e32 v9, 31, v4
	v_add_u32_e32 v11, 0x400, v2
	v_add_u32_e32 v2, s6, v9
	v_lshrrev_b32_e32 v4, 5, v4
	v_mov_b32_e32 v5, v3
	v_lshlrev_b32_e32 v10, 2, v9
	v_ashrrev_i32_e32 v8, 31, v2
	s_add_u32 s10, s18, s0
	v_lshl_or_b32 v10, v4, 7, v10
	v_mul_lo_u32 v8, s2, v8
	v_mad_u64_u32 v[4:5], s[12:13], s2, v2, v[4:5]
	v_mul_lo_u32 v2, s3, v2
	s_addc_u32 s11, s19, s1
	s_load_dwordx2 s[10:11], s[10:11], 0x0
	s_add_u32 s0, s20, s0
	s_addc_u32 s1, s21, s1
	s_load_dwordx2 s[0:1], s[0:1], 0x0
	v_add3_u32 v5, v2, v5, v8
	v_lshlrev_b64 v[4:5], 2, v[4:5]
	s_waitcnt lgkmcnt(0)
	v_mov_b32_e32 v2, s11
	v_add_co_u32_e32 v4, vcc, s10, v4
	v_lshlrev_b64 v[6:7], 2, v[6:7]
	v_addc_co_u32_e32 v5, vcc, v2, v5, vcc
	v_mov_b32_e32 v9, 0x400
	v_mov_b32_e32 v2, s1
	v_add_co_u32_e32 v6, vcc, s0, v6
	v_lshlrev_b32_e32 v12, 2, v0
	v_lshl_add_u32 v13, v1, 5, v9
	v_addc_co_u32_e32 v7, vcc, v2, v7, vcc
	s_mov_b64 s[2:3], 0
	v_mov_b32_e32 v2, v3
	v_mov_b32_e32 v8, v3
	;; [unrolled: 1-line block ×3, first 2 shown]
.LBB1394_2:                             ; =>This Inner Loop Header: Depth=1
	flat_load_dword v14, v[4:5]
	s_add_u32 s2, s2, 8
	s_addc_u32 s3, s3, 0
	v_add_co_u32_e64 v4, s[0:1], 32, v4
	v_addc_co_u32_e64 v5, s[0:1], 0, v5, s[0:1]
	s_waitcnt vmcnt(0) lgkmcnt(0)
	ds_write_b32 v10, v14
	flat_load_dword v14, v[6:7]
	v_add_co_u32_e64 v6, s[0:1], 32, v6
	v_addc_co_u32_e64 v7, s[0:1], 0, v7, s[0:1]
	s_waitcnt vmcnt(0) lgkmcnt(0)
	ds_write_b32 v11, v14
	s_waitcnt lgkmcnt(0)
	s_barrier
	ds_read2_b32 v[26:27], v12 offset1:16
	ds_read_b128 v[14:17], v13
	ds_read2_b32 v[28:29], v12 offset0:32 offset1:48
	ds_read2_b32 v[30:31], v12 offset0:64 offset1:80
	ds_read_b128 v[18:21], v13 offset:16
	ds_read2_b32 v[32:33], v12 offset0:96 offset1:112
	s_waitcnt lgkmcnt(4)
	v_fmac_f32_e32 v9, v26, v14
	v_fmac_f32_e32 v8, v27, v14
	s_waitcnt lgkmcnt(3)
	v_fmac_f32_e32 v9, v28, v15
	v_fmac_f32_e32 v8, v29, v15
	v_mov_b32_e32 v15, s3
	s_waitcnt lgkmcnt(2)
	v_fmac_f32_e32 v9, v30, v16
	v_fmac_f32_e32 v8, v31, v16
	v_mov_b32_e32 v14, s2
	s_waitcnt lgkmcnt(0)
	v_fmac_f32_e32 v9, v32, v17
	v_fmac_f32_e32 v8, v33, v17
	v_cmp_le_u64_e32 vcc, s[16:17], v[14:15]
	ds_read_b128 v[14:17], v13 offset:512
	ds_read_b128 v[22:25], v13 offset:528
	s_and_b64 vcc, exec, vcc
	s_waitcnt lgkmcnt(1)
	v_fmac_f32_e32 v2, v26, v14
	v_fmac_f32_e32 v3, v27, v14
	;; [unrolled: 1-line block ×8, first 2 shown]
	ds_read2_b32 v[14:15], v12 offset0:128 offset1:144
	ds_read2_b32 v[16:17], v12 offset0:160 offset1:176
	;; [unrolled: 1-line block ×3, first 2 shown]
	s_waitcnt lgkmcnt(2)
	v_fmac_f32_e32 v9, v14, v18
	v_fmac_f32_e32 v8, v15, v18
	v_fmac_f32_e32 v2, v14, v22
	v_fmac_f32_e32 v3, v15, v22
	ds_read2_b32 v[14:15], v12 offset0:224 offset1:240
	s_waitcnt lgkmcnt(2)
	v_fmac_f32_e32 v9, v16, v19
	v_fmac_f32_e32 v8, v17, v19
	v_fmac_f32_e32 v2, v16, v23
	v_fmac_f32_e32 v3, v17, v23
	s_waitcnt lgkmcnt(1)
	v_fmac_f32_e32 v9, v26, v20
	v_fmac_f32_e32 v8, v27, v20
	v_fmac_f32_e32 v2, v26, v24
	v_fmac_f32_e32 v3, v27, v24
	;; [unrolled: 5-line block ×3, first 2 shown]
	s_barrier
	s_cbranch_vccz .LBB1394_2
	s_branch .LBB1394_4
.LBB1394_3:
	v_mov_b32_e32 v9, 0
	v_mov_b32_e32 v8, 0
	;; [unrolled: 1-line block ×4, first 2 shown]
.LBB1394_4:
	v_add_u32_e32 v6, s7, v1
	v_ashrrev_i32_e32 v1, 31, v6
	v_mul_lo_u32 v1, s14, v1
	v_mul_lo_u32 v7, s15, v6
	v_mad_u64_u32 v[4:5], s[0:1], s14, v6, 0
	s_load_dword s4, s[4:5], 0x0
	v_add_u32_e32 v0, s6, v0
	v_add3_u32 v5, v5, v1, v7
	v_lshlrev_b64 v[4:5], 2, v[4:5]
	s_waitcnt lgkmcnt(0)
	v_mov_b32_e32 v1, s9
	v_add_co_u32_e32 v7, vcc, s8, v4
	v_addc_co_u32_e32 v10, vcc, v1, v5, vcc
	v_cmp_le_i32_e64 s[0:1], v6, v0
	v_cmp_gt_i32_e32 vcc, s4, v0
	s_and_b64 s[0:1], s[0:1], vcc
	s_and_saveexec_b64 s[2:3], s[0:1]
	s_cbranch_execz .LBB1394_6
; %bb.5:
	v_ashrrev_i32_e32 v1, 31, v0
	v_lshlrev_b64 v[4:5], 2, v[0:1]
	v_add_co_u32_e64 v4, s[0:1], v7, v4
	v_addc_co_u32_e64 v5, s[0:1], v10, v5, s[0:1]
	flat_load_dword v1, v[4:5]
	s_waitcnt vmcnt(0) lgkmcnt(0)
	v_sub_f32_e32 v1, v9, v1
	flat_store_dword v[4:5], v1
.LBB1394_6:
	s_or_b64 exec, exec, s[2:3]
	v_add_u32_e32 v4, 16, v0
	v_cmp_le_i32_e64 s[2:3], v6, v4
	v_cmp_gt_i32_e64 s[0:1], s4, v4
	s_and_b64 s[2:3], s[2:3], s[0:1]
	s_and_saveexec_b64 s[4:5], s[2:3]
	s_cbranch_execz .LBB1394_8
; %bb.7:
	v_ashrrev_i32_e32 v5, 31, v4
	v_lshlrev_b64 v[11:12], 2, v[4:5]
	v_add_co_u32_e64 v9, s[2:3], v7, v11
	v_addc_co_u32_e64 v10, s[2:3], v10, v12, s[2:3]
	flat_load_dword v1, v[9:10]
	s_waitcnt vmcnt(0) lgkmcnt(0)
	v_sub_f32_e32 v1, v8, v1
	flat_store_dword v[9:10], v1
.LBB1394_8:
	s_or_b64 exec, exec, s[4:5]
	v_add_u32_e32 v5, 16, v6
	v_ashrrev_i32_e32 v1, 31, v5
	v_mul_lo_u32 v8, s15, v5
	v_mad_u64_u32 v[6:7], s[2:3], s14, v5, 0
	v_mul_lo_u32 v1, s14, v1
	v_add3_u32 v7, v7, v1, v8
	v_lshlrev_b64 v[6:7], 2, v[6:7]
	v_mov_b32_e32 v1, s9
	v_add_co_u32_e64 v6, s[2:3], s8, v6
	v_addc_co_u32_e64 v7, s[2:3], v1, v7, s[2:3]
	v_cmp_le_i32_e64 s[2:3], v5, v0
	s_and_b64 s[4:5], s[2:3], vcc
	s_and_saveexec_b64 s[2:3], s[4:5]
	s_cbranch_execz .LBB1394_10
; %bb.9:
	v_ashrrev_i32_e32 v1, 31, v0
	v_lshlrev_b64 v[0:1], 2, v[0:1]
	v_add_co_u32_e32 v0, vcc, v6, v0
	v_addc_co_u32_e32 v1, vcc, v7, v1, vcc
	flat_load_dword v8, v[0:1]
	s_waitcnt vmcnt(0) lgkmcnt(0)
	v_sub_f32_e32 v2, v2, v8
	flat_store_dword v[0:1], v2
.LBB1394_10:
	s_or_b64 exec, exec, s[2:3]
	v_cmp_le_i32_e32 vcc, v5, v4
	s_and_b64 s[0:1], vcc, s[0:1]
	s_and_saveexec_b64 s[2:3], s[0:1]
	s_cbranch_execz .LBB1394_12
; %bb.11:
	v_ashrrev_i32_e32 v5, 31, v4
	v_lshlrev_b64 v[0:1], 2, v[4:5]
	v_add_co_u32_e32 v0, vcc, v6, v0
	v_addc_co_u32_e32 v1, vcc, v7, v1, vcc
	flat_load_dword v2, v[0:1]
	s_waitcnt vmcnt(0) lgkmcnt(0)
	v_sub_f32_e32 v2, v3, v2
	flat_store_dword v[0:1], v2
.LBB1394_12:
	s_endpgm
	.section	.rodata,"a",@progbits
	.p2align	6, 0x0
	.amdhsa_kernel _ZL37rocblas_syrkx_herkx_restricted_kernelIlfLi16ELi32ELi8ELi1ELin1ELb0ELc84ELc76EKPKfKPfEviT_PT9_S5_lS7_S5_lPT10_S5_li
		.amdhsa_group_segment_fixed_size 2048
		.amdhsa_private_segment_fixed_size 0
		.amdhsa_kernarg_size 92
		.amdhsa_user_sgpr_count 6
		.amdhsa_user_sgpr_private_segment_buffer 1
		.amdhsa_user_sgpr_dispatch_ptr 0
		.amdhsa_user_sgpr_queue_ptr 0
		.amdhsa_user_sgpr_kernarg_segment_ptr 1
		.amdhsa_user_sgpr_dispatch_id 0
		.amdhsa_user_sgpr_flat_scratch_init 0
		.amdhsa_user_sgpr_private_segment_size 0
		.amdhsa_uses_dynamic_stack 0
		.amdhsa_system_sgpr_private_segment_wavefront_offset 0
		.amdhsa_system_sgpr_workgroup_id_x 1
		.amdhsa_system_sgpr_workgroup_id_y 1
		.amdhsa_system_sgpr_workgroup_id_z 1
		.amdhsa_system_sgpr_workgroup_info 0
		.amdhsa_system_vgpr_workitem_id 1
		.amdhsa_next_free_vgpr 34
		.amdhsa_next_free_sgpr 24
		.amdhsa_reserve_vcc 1
		.amdhsa_reserve_flat_scratch 0
		.amdhsa_float_round_mode_32 0
		.amdhsa_float_round_mode_16_64 0
		.amdhsa_float_denorm_mode_32 3
		.amdhsa_float_denorm_mode_16_64 3
		.amdhsa_dx10_clamp 1
		.amdhsa_ieee_mode 1
		.amdhsa_fp16_overflow 0
		.amdhsa_exception_fp_ieee_invalid_op 0
		.amdhsa_exception_fp_denorm_src 0
		.amdhsa_exception_fp_ieee_div_zero 0
		.amdhsa_exception_fp_ieee_overflow 0
		.amdhsa_exception_fp_ieee_underflow 0
		.amdhsa_exception_fp_ieee_inexact 0
		.amdhsa_exception_int_div_zero 0
	.end_amdhsa_kernel
	.section	.text._ZL37rocblas_syrkx_herkx_restricted_kernelIlfLi16ELi32ELi8ELi1ELin1ELb0ELc84ELc76EKPKfKPfEviT_PT9_S5_lS7_S5_lPT10_S5_li,"axG",@progbits,_ZL37rocblas_syrkx_herkx_restricted_kernelIlfLi16ELi32ELi8ELi1ELin1ELb0ELc84ELc76EKPKfKPfEviT_PT9_S5_lS7_S5_lPT10_S5_li,comdat
.Lfunc_end1394:
	.size	_ZL37rocblas_syrkx_herkx_restricted_kernelIlfLi16ELi32ELi8ELi1ELin1ELb0ELc84ELc76EKPKfKPfEviT_PT9_S5_lS7_S5_lPT10_S5_li, .Lfunc_end1394-_ZL37rocblas_syrkx_herkx_restricted_kernelIlfLi16ELi32ELi8ELi1ELin1ELb0ELc84ELc76EKPKfKPfEviT_PT9_S5_lS7_S5_lPT10_S5_li
                                        ; -- End function
	.set _ZL37rocblas_syrkx_herkx_restricted_kernelIlfLi16ELi32ELi8ELi1ELin1ELb0ELc84ELc76EKPKfKPfEviT_PT9_S5_lS7_S5_lPT10_S5_li.num_vgpr, 34
	.set _ZL37rocblas_syrkx_herkx_restricted_kernelIlfLi16ELi32ELi8ELi1ELin1ELb0ELc84ELc76EKPKfKPfEviT_PT9_S5_lS7_S5_lPT10_S5_li.num_agpr, 0
	.set _ZL37rocblas_syrkx_herkx_restricted_kernelIlfLi16ELi32ELi8ELi1ELin1ELb0ELc84ELc76EKPKfKPfEviT_PT9_S5_lS7_S5_lPT10_S5_li.numbered_sgpr, 24
	.set _ZL37rocblas_syrkx_herkx_restricted_kernelIlfLi16ELi32ELi8ELi1ELin1ELb0ELc84ELc76EKPKfKPfEviT_PT9_S5_lS7_S5_lPT10_S5_li.num_named_barrier, 0
	.set _ZL37rocblas_syrkx_herkx_restricted_kernelIlfLi16ELi32ELi8ELi1ELin1ELb0ELc84ELc76EKPKfKPfEviT_PT9_S5_lS7_S5_lPT10_S5_li.private_seg_size, 0
	.set _ZL37rocblas_syrkx_herkx_restricted_kernelIlfLi16ELi32ELi8ELi1ELin1ELb0ELc84ELc76EKPKfKPfEviT_PT9_S5_lS7_S5_lPT10_S5_li.uses_vcc, 1
	.set _ZL37rocblas_syrkx_herkx_restricted_kernelIlfLi16ELi32ELi8ELi1ELin1ELb0ELc84ELc76EKPKfKPfEviT_PT9_S5_lS7_S5_lPT10_S5_li.uses_flat_scratch, 0
	.set _ZL37rocblas_syrkx_herkx_restricted_kernelIlfLi16ELi32ELi8ELi1ELin1ELb0ELc84ELc76EKPKfKPfEviT_PT9_S5_lS7_S5_lPT10_S5_li.has_dyn_sized_stack, 0
	.set _ZL37rocblas_syrkx_herkx_restricted_kernelIlfLi16ELi32ELi8ELi1ELin1ELb0ELc84ELc76EKPKfKPfEviT_PT9_S5_lS7_S5_lPT10_S5_li.has_recursion, 0
	.set _ZL37rocblas_syrkx_herkx_restricted_kernelIlfLi16ELi32ELi8ELi1ELin1ELb0ELc84ELc76EKPKfKPfEviT_PT9_S5_lS7_S5_lPT10_S5_li.has_indirect_call, 0
	.section	.AMDGPU.csdata,"",@progbits
; Kernel info:
; codeLenInByte = 1180
; TotalNumSgprs: 28
; NumVgprs: 34
; ScratchSize: 0
; MemoryBound: 0
; FloatMode: 240
; IeeeMode: 1
; LDSByteSize: 2048 bytes/workgroup (compile time only)
; SGPRBlocks: 3
; VGPRBlocks: 8
; NumSGPRsForWavesPerEU: 28
; NumVGPRsForWavesPerEU: 34
; Occupancy: 7
; WaveLimiterHint : 1
; COMPUTE_PGM_RSRC2:SCRATCH_EN: 0
; COMPUTE_PGM_RSRC2:USER_SGPR: 6
; COMPUTE_PGM_RSRC2:TRAP_HANDLER: 0
; COMPUTE_PGM_RSRC2:TGID_X_EN: 1
; COMPUTE_PGM_RSRC2:TGID_Y_EN: 1
; COMPUTE_PGM_RSRC2:TGID_Z_EN: 1
; COMPUTE_PGM_RSRC2:TIDIG_COMP_CNT: 1
	.section	.text._ZL37rocblas_syrkx_herkx_restricted_kernelIlfLi16ELi32ELi8ELi1ELin1ELb0ELc67ELc76EKPKfKPfEviT_PT9_S5_lS7_S5_lPT10_S5_li,"axG",@progbits,_ZL37rocblas_syrkx_herkx_restricted_kernelIlfLi16ELi32ELi8ELi1ELin1ELb0ELc67ELc76EKPKfKPfEviT_PT9_S5_lS7_S5_lPT10_S5_li,comdat
	.globl	_ZL37rocblas_syrkx_herkx_restricted_kernelIlfLi16ELi32ELi8ELi1ELin1ELb0ELc67ELc76EKPKfKPfEviT_PT9_S5_lS7_S5_lPT10_S5_li ; -- Begin function _ZL37rocblas_syrkx_herkx_restricted_kernelIlfLi16ELi32ELi8ELi1ELin1ELb0ELc67ELc76EKPKfKPfEviT_PT9_S5_lS7_S5_lPT10_S5_li
	.p2align	8
	.type	_ZL37rocblas_syrkx_herkx_restricted_kernelIlfLi16ELi32ELi8ELi1ELin1ELb0ELc67ELc76EKPKfKPfEviT_PT9_S5_lS7_S5_lPT10_S5_li,@function
_ZL37rocblas_syrkx_herkx_restricted_kernelIlfLi16ELi32ELi8ELi1ELin1ELb0ELc67ELc76EKPKfKPfEviT_PT9_S5_lS7_S5_lPT10_S5_li: ; @_ZL37rocblas_syrkx_herkx_restricted_kernelIlfLi16ELi32ELi8ELi1ELin1ELb0ELc67ELc76EKPKfKPfEviT_PT9_S5_lS7_S5_lPT10_S5_li
; %bb.0:
	s_load_dwordx4 s[12:15], s[4:5], 0x40
	s_load_dwordx4 s[16:19], s[4:5], 0x8
	s_mov_b32 s9, 0
	s_lshl_b64 s[0:1], s[8:9], 3
	s_waitcnt lgkmcnt(0)
	s_add_u32 s2, s12, s0
	s_addc_u32 s3, s13, s1
	s_load_dwordx2 s[8:9], s[2:3], 0x0
	v_cmp_lt_i64_e64 s[2:3], s[16:17], 1
	s_lshl_b32 s6, s6, 5
	s_lshl_b32 s7, s7, 5
	s_and_b64 vcc, exec, s[2:3]
	s_cbranch_vccnz .LBB1395_3
; %bb.1:
	s_load_dwordx2 s[2:3], s[4:5], 0x18
	s_load_dwordx4 s[20:23], s[4:5], 0x28
	v_lshl_add_u32 v4, v1, 4, v0
	v_lshrrev_b32_e32 v8, 3, v4
	v_add_u32_e32 v5, s7, v8
	v_ashrrev_i32_e32 v6, 31, v5
	v_and_b32_e32 v2, 7, v0
	v_mov_b32_e32 v3, 0
	s_waitcnt lgkmcnt(0)
	v_mul_lo_u32 v9, s22, v6
	v_mul_lo_u32 v10, s23, v5
	v_mad_u64_u32 v[6:7], s[12:13], s22, v5, v[2:3]
	v_lshlrev_b32_e32 v2, 2, v2
	v_lshl_or_b32 v2, v8, 5, v2
	v_add3_u32 v7, v10, v7, v9
	v_and_b32_e32 v9, 31, v4
	v_add_u32_e32 v11, 0x400, v2
	v_add_u32_e32 v2, s6, v9
	v_lshrrev_b32_e32 v4, 5, v4
	v_mov_b32_e32 v5, v3
	v_lshlrev_b32_e32 v10, 2, v9
	v_ashrrev_i32_e32 v8, 31, v2
	s_add_u32 s10, s18, s0
	v_lshl_or_b32 v10, v4, 7, v10
	v_mul_lo_u32 v8, s2, v8
	v_mad_u64_u32 v[4:5], s[12:13], s2, v2, v[4:5]
	v_mul_lo_u32 v2, s3, v2
	s_addc_u32 s11, s19, s1
	s_load_dwordx2 s[10:11], s[10:11], 0x0
	s_add_u32 s0, s20, s0
	s_addc_u32 s1, s21, s1
	s_load_dwordx2 s[0:1], s[0:1], 0x0
	v_add3_u32 v5, v2, v5, v8
	v_lshlrev_b64 v[4:5], 2, v[4:5]
	s_waitcnt lgkmcnt(0)
	v_mov_b32_e32 v2, s11
	v_add_co_u32_e32 v4, vcc, s10, v4
	v_lshlrev_b64 v[6:7], 2, v[6:7]
	v_addc_co_u32_e32 v5, vcc, v2, v5, vcc
	v_mov_b32_e32 v9, 0x400
	v_mov_b32_e32 v2, s1
	v_add_co_u32_e32 v6, vcc, s0, v6
	v_lshlrev_b32_e32 v12, 2, v0
	v_lshl_add_u32 v13, v1, 5, v9
	v_addc_co_u32_e32 v7, vcc, v2, v7, vcc
	s_mov_b64 s[2:3], 0
	v_mov_b32_e32 v2, v3
	v_mov_b32_e32 v8, v3
	;; [unrolled: 1-line block ×3, first 2 shown]
.LBB1395_2:                             ; =>This Inner Loop Header: Depth=1
	flat_load_dword v14, v[4:5]
	s_add_u32 s2, s2, 8
	s_addc_u32 s3, s3, 0
	v_add_co_u32_e64 v4, s[0:1], 32, v4
	v_addc_co_u32_e64 v5, s[0:1], 0, v5, s[0:1]
	s_waitcnt vmcnt(0) lgkmcnt(0)
	ds_write_b32 v10, v14
	flat_load_dword v14, v[6:7]
	v_add_co_u32_e64 v6, s[0:1], 32, v6
	v_addc_co_u32_e64 v7, s[0:1], 0, v7, s[0:1]
	s_waitcnt vmcnt(0) lgkmcnt(0)
	ds_write_b32 v11, v14
	s_waitcnt lgkmcnt(0)
	s_barrier
	ds_read2_b32 v[26:27], v12 offset1:16
	ds_read_b128 v[14:17], v13
	ds_read2_b32 v[28:29], v12 offset0:32 offset1:48
	ds_read2_b32 v[30:31], v12 offset0:64 offset1:80
	ds_read_b128 v[18:21], v13 offset:16
	ds_read2_b32 v[32:33], v12 offset0:96 offset1:112
	s_waitcnt lgkmcnt(4)
	v_fmac_f32_e32 v9, v26, v14
	v_fmac_f32_e32 v8, v27, v14
	s_waitcnt lgkmcnt(3)
	v_fmac_f32_e32 v9, v28, v15
	v_fmac_f32_e32 v8, v29, v15
	v_mov_b32_e32 v15, s3
	s_waitcnt lgkmcnt(2)
	v_fmac_f32_e32 v9, v30, v16
	v_fmac_f32_e32 v8, v31, v16
	v_mov_b32_e32 v14, s2
	s_waitcnt lgkmcnt(0)
	v_fmac_f32_e32 v9, v32, v17
	v_fmac_f32_e32 v8, v33, v17
	v_cmp_le_u64_e32 vcc, s[16:17], v[14:15]
	ds_read_b128 v[14:17], v13 offset:512
	ds_read_b128 v[22:25], v13 offset:528
	s_and_b64 vcc, exec, vcc
	s_waitcnt lgkmcnt(1)
	v_fmac_f32_e32 v2, v26, v14
	v_fmac_f32_e32 v3, v27, v14
	;; [unrolled: 1-line block ×8, first 2 shown]
	ds_read2_b32 v[14:15], v12 offset0:128 offset1:144
	ds_read2_b32 v[16:17], v12 offset0:160 offset1:176
	;; [unrolled: 1-line block ×3, first 2 shown]
	s_waitcnt lgkmcnt(2)
	v_fmac_f32_e32 v9, v14, v18
	v_fmac_f32_e32 v8, v15, v18
	;; [unrolled: 1-line block ×4, first 2 shown]
	ds_read2_b32 v[14:15], v12 offset0:224 offset1:240
	s_waitcnt lgkmcnt(2)
	v_fmac_f32_e32 v9, v16, v19
	v_fmac_f32_e32 v8, v17, v19
	v_fmac_f32_e32 v2, v16, v23
	v_fmac_f32_e32 v3, v17, v23
	s_waitcnt lgkmcnt(1)
	v_fmac_f32_e32 v9, v26, v20
	v_fmac_f32_e32 v8, v27, v20
	v_fmac_f32_e32 v2, v26, v24
	v_fmac_f32_e32 v3, v27, v24
	;; [unrolled: 5-line block ×3, first 2 shown]
	s_barrier
	s_cbranch_vccz .LBB1395_2
	s_branch .LBB1395_4
.LBB1395_3:
	v_mov_b32_e32 v9, 0
	v_mov_b32_e32 v8, 0
	;; [unrolled: 1-line block ×4, first 2 shown]
.LBB1395_4:
	v_add_u32_e32 v6, s7, v1
	v_ashrrev_i32_e32 v1, 31, v6
	v_mul_lo_u32 v1, s14, v1
	v_mul_lo_u32 v7, s15, v6
	v_mad_u64_u32 v[4:5], s[0:1], s14, v6, 0
	s_load_dword s4, s[4:5], 0x0
	v_add_u32_e32 v0, s6, v0
	v_add3_u32 v5, v5, v1, v7
	v_lshlrev_b64 v[4:5], 2, v[4:5]
	s_waitcnt lgkmcnt(0)
	v_mov_b32_e32 v1, s9
	v_add_co_u32_e32 v7, vcc, s8, v4
	v_addc_co_u32_e32 v10, vcc, v1, v5, vcc
	v_cmp_le_i32_e64 s[0:1], v6, v0
	v_cmp_gt_i32_e32 vcc, s4, v0
	s_and_b64 s[0:1], s[0:1], vcc
	s_and_saveexec_b64 s[2:3], s[0:1]
	s_cbranch_execz .LBB1395_6
; %bb.5:
	v_ashrrev_i32_e32 v1, 31, v0
	v_lshlrev_b64 v[4:5], 2, v[0:1]
	v_add_co_u32_e64 v4, s[0:1], v7, v4
	v_addc_co_u32_e64 v5, s[0:1], v10, v5, s[0:1]
	flat_load_dword v1, v[4:5]
	s_waitcnt vmcnt(0) lgkmcnt(0)
	v_sub_f32_e32 v1, v9, v1
	flat_store_dword v[4:5], v1
.LBB1395_6:
	s_or_b64 exec, exec, s[2:3]
	v_add_u32_e32 v4, 16, v0
	v_cmp_le_i32_e64 s[2:3], v6, v4
	v_cmp_gt_i32_e64 s[0:1], s4, v4
	s_and_b64 s[2:3], s[2:3], s[0:1]
	s_and_saveexec_b64 s[4:5], s[2:3]
	s_cbranch_execz .LBB1395_8
; %bb.7:
	v_ashrrev_i32_e32 v5, 31, v4
	v_lshlrev_b64 v[11:12], 2, v[4:5]
	v_add_co_u32_e64 v9, s[2:3], v7, v11
	v_addc_co_u32_e64 v10, s[2:3], v10, v12, s[2:3]
	flat_load_dword v1, v[9:10]
	s_waitcnt vmcnt(0) lgkmcnt(0)
	v_sub_f32_e32 v1, v8, v1
	flat_store_dword v[9:10], v1
.LBB1395_8:
	s_or_b64 exec, exec, s[4:5]
	v_add_u32_e32 v5, 16, v6
	v_ashrrev_i32_e32 v1, 31, v5
	v_mul_lo_u32 v8, s15, v5
	v_mad_u64_u32 v[6:7], s[2:3], s14, v5, 0
	v_mul_lo_u32 v1, s14, v1
	v_add3_u32 v7, v7, v1, v8
	v_lshlrev_b64 v[6:7], 2, v[6:7]
	v_mov_b32_e32 v1, s9
	v_add_co_u32_e64 v6, s[2:3], s8, v6
	v_addc_co_u32_e64 v7, s[2:3], v1, v7, s[2:3]
	v_cmp_le_i32_e64 s[2:3], v5, v0
	s_and_b64 s[4:5], s[2:3], vcc
	s_and_saveexec_b64 s[2:3], s[4:5]
	s_cbranch_execz .LBB1395_10
; %bb.9:
	v_ashrrev_i32_e32 v1, 31, v0
	v_lshlrev_b64 v[0:1], 2, v[0:1]
	v_add_co_u32_e32 v0, vcc, v6, v0
	v_addc_co_u32_e32 v1, vcc, v7, v1, vcc
	flat_load_dword v8, v[0:1]
	s_waitcnt vmcnt(0) lgkmcnt(0)
	v_sub_f32_e32 v2, v2, v8
	flat_store_dword v[0:1], v2
.LBB1395_10:
	s_or_b64 exec, exec, s[2:3]
	v_cmp_le_i32_e32 vcc, v5, v4
	s_and_b64 s[0:1], vcc, s[0:1]
	s_and_saveexec_b64 s[2:3], s[0:1]
	s_cbranch_execz .LBB1395_12
; %bb.11:
	v_ashrrev_i32_e32 v5, 31, v4
	v_lshlrev_b64 v[0:1], 2, v[4:5]
	v_add_co_u32_e32 v0, vcc, v6, v0
	v_addc_co_u32_e32 v1, vcc, v7, v1, vcc
	flat_load_dword v2, v[0:1]
	s_waitcnt vmcnt(0) lgkmcnt(0)
	v_sub_f32_e32 v2, v3, v2
	flat_store_dword v[0:1], v2
.LBB1395_12:
	s_endpgm
	.section	.rodata,"a",@progbits
	.p2align	6, 0x0
	.amdhsa_kernel _ZL37rocblas_syrkx_herkx_restricted_kernelIlfLi16ELi32ELi8ELi1ELin1ELb0ELc67ELc76EKPKfKPfEviT_PT9_S5_lS7_S5_lPT10_S5_li
		.amdhsa_group_segment_fixed_size 2048
		.amdhsa_private_segment_fixed_size 0
		.amdhsa_kernarg_size 92
		.amdhsa_user_sgpr_count 6
		.amdhsa_user_sgpr_private_segment_buffer 1
		.amdhsa_user_sgpr_dispatch_ptr 0
		.amdhsa_user_sgpr_queue_ptr 0
		.amdhsa_user_sgpr_kernarg_segment_ptr 1
		.amdhsa_user_sgpr_dispatch_id 0
		.amdhsa_user_sgpr_flat_scratch_init 0
		.amdhsa_user_sgpr_private_segment_size 0
		.amdhsa_uses_dynamic_stack 0
		.amdhsa_system_sgpr_private_segment_wavefront_offset 0
		.amdhsa_system_sgpr_workgroup_id_x 1
		.amdhsa_system_sgpr_workgroup_id_y 1
		.amdhsa_system_sgpr_workgroup_id_z 1
		.amdhsa_system_sgpr_workgroup_info 0
		.amdhsa_system_vgpr_workitem_id 1
		.amdhsa_next_free_vgpr 34
		.amdhsa_next_free_sgpr 24
		.amdhsa_reserve_vcc 1
		.amdhsa_reserve_flat_scratch 0
		.amdhsa_float_round_mode_32 0
		.amdhsa_float_round_mode_16_64 0
		.amdhsa_float_denorm_mode_32 3
		.amdhsa_float_denorm_mode_16_64 3
		.amdhsa_dx10_clamp 1
		.amdhsa_ieee_mode 1
		.amdhsa_fp16_overflow 0
		.amdhsa_exception_fp_ieee_invalid_op 0
		.amdhsa_exception_fp_denorm_src 0
		.amdhsa_exception_fp_ieee_div_zero 0
		.amdhsa_exception_fp_ieee_overflow 0
		.amdhsa_exception_fp_ieee_underflow 0
		.amdhsa_exception_fp_ieee_inexact 0
		.amdhsa_exception_int_div_zero 0
	.end_amdhsa_kernel
	.section	.text._ZL37rocblas_syrkx_herkx_restricted_kernelIlfLi16ELi32ELi8ELi1ELin1ELb0ELc67ELc76EKPKfKPfEviT_PT9_S5_lS7_S5_lPT10_S5_li,"axG",@progbits,_ZL37rocblas_syrkx_herkx_restricted_kernelIlfLi16ELi32ELi8ELi1ELin1ELb0ELc67ELc76EKPKfKPfEviT_PT9_S5_lS7_S5_lPT10_S5_li,comdat
.Lfunc_end1395:
	.size	_ZL37rocblas_syrkx_herkx_restricted_kernelIlfLi16ELi32ELi8ELi1ELin1ELb0ELc67ELc76EKPKfKPfEviT_PT9_S5_lS7_S5_lPT10_S5_li, .Lfunc_end1395-_ZL37rocblas_syrkx_herkx_restricted_kernelIlfLi16ELi32ELi8ELi1ELin1ELb0ELc67ELc76EKPKfKPfEviT_PT9_S5_lS7_S5_lPT10_S5_li
                                        ; -- End function
	.set _ZL37rocblas_syrkx_herkx_restricted_kernelIlfLi16ELi32ELi8ELi1ELin1ELb0ELc67ELc76EKPKfKPfEviT_PT9_S5_lS7_S5_lPT10_S5_li.num_vgpr, 34
	.set _ZL37rocblas_syrkx_herkx_restricted_kernelIlfLi16ELi32ELi8ELi1ELin1ELb0ELc67ELc76EKPKfKPfEviT_PT9_S5_lS7_S5_lPT10_S5_li.num_agpr, 0
	.set _ZL37rocblas_syrkx_herkx_restricted_kernelIlfLi16ELi32ELi8ELi1ELin1ELb0ELc67ELc76EKPKfKPfEviT_PT9_S5_lS7_S5_lPT10_S5_li.numbered_sgpr, 24
	.set _ZL37rocblas_syrkx_herkx_restricted_kernelIlfLi16ELi32ELi8ELi1ELin1ELb0ELc67ELc76EKPKfKPfEviT_PT9_S5_lS7_S5_lPT10_S5_li.num_named_barrier, 0
	.set _ZL37rocblas_syrkx_herkx_restricted_kernelIlfLi16ELi32ELi8ELi1ELin1ELb0ELc67ELc76EKPKfKPfEviT_PT9_S5_lS7_S5_lPT10_S5_li.private_seg_size, 0
	.set _ZL37rocblas_syrkx_herkx_restricted_kernelIlfLi16ELi32ELi8ELi1ELin1ELb0ELc67ELc76EKPKfKPfEviT_PT9_S5_lS7_S5_lPT10_S5_li.uses_vcc, 1
	.set _ZL37rocblas_syrkx_herkx_restricted_kernelIlfLi16ELi32ELi8ELi1ELin1ELb0ELc67ELc76EKPKfKPfEviT_PT9_S5_lS7_S5_lPT10_S5_li.uses_flat_scratch, 0
	.set _ZL37rocblas_syrkx_herkx_restricted_kernelIlfLi16ELi32ELi8ELi1ELin1ELb0ELc67ELc76EKPKfKPfEviT_PT9_S5_lS7_S5_lPT10_S5_li.has_dyn_sized_stack, 0
	.set _ZL37rocblas_syrkx_herkx_restricted_kernelIlfLi16ELi32ELi8ELi1ELin1ELb0ELc67ELc76EKPKfKPfEviT_PT9_S5_lS7_S5_lPT10_S5_li.has_recursion, 0
	.set _ZL37rocblas_syrkx_herkx_restricted_kernelIlfLi16ELi32ELi8ELi1ELin1ELb0ELc67ELc76EKPKfKPfEviT_PT9_S5_lS7_S5_lPT10_S5_li.has_indirect_call, 0
	.section	.AMDGPU.csdata,"",@progbits
; Kernel info:
; codeLenInByte = 1180
; TotalNumSgprs: 28
; NumVgprs: 34
; ScratchSize: 0
; MemoryBound: 0
; FloatMode: 240
; IeeeMode: 1
; LDSByteSize: 2048 bytes/workgroup (compile time only)
; SGPRBlocks: 3
; VGPRBlocks: 8
; NumSGPRsForWavesPerEU: 28
; NumVGPRsForWavesPerEU: 34
; Occupancy: 7
; WaveLimiterHint : 1
; COMPUTE_PGM_RSRC2:SCRATCH_EN: 0
; COMPUTE_PGM_RSRC2:USER_SGPR: 6
; COMPUTE_PGM_RSRC2:TRAP_HANDLER: 0
; COMPUTE_PGM_RSRC2:TGID_X_EN: 1
; COMPUTE_PGM_RSRC2:TGID_Y_EN: 1
; COMPUTE_PGM_RSRC2:TGID_Z_EN: 1
; COMPUTE_PGM_RSRC2:TIDIG_COMP_CNT: 1
	.section	.text._ZL37rocblas_syrkx_herkx_restricted_kernelIlfLi16ELi32ELi8ELi1ELin1ELb0ELc78ELc76EKPKfKPfEviT_PT9_S5_lS7_S5_lPT10_S5_li,"axG",@progbits,_ZL37rocblas_syrkx_herkx_restricted_kernelIlfLi16ELi32ELi8ELi1ELin1ELb0ELc78ELc76EKPKfKPfEviT_PT9_S5_lS7_S5_lPT10_S5_li,comdat
	.globl	_ZL37rocblas_syrkx_herkx_restricted_kernelIlfLi16ELi32ELi8ELi1ELin1ELb0ELc78ELc76EKPKfKPfEviT_PT9_S5_lS7_S5_lPT10_S5_li ; -- Begin function _ZL37rocblas_syrkx_herkx_restricted_kernelIlfLi16ELi32ELi8ELi1ELin1ELb0ELc78ELc76EKPKfKPfEviT_PT9_S5_lS7_S5_lPT10_S5_li
	.p2align	8
	.type	_ZL37rocblas_syrkx_herkx_restricted_kernelIlfLi16ELi32ELi8ELi1ELin1ELb0ELc78ELc76EKPKfKPfEviT_PT9_S5_lS7_S5_lPT10_S5_li,@function
_ZL37rocblas_syrkx_herkx_restricted_kernelIlfLi16ELi32ELi8ELi1ELin1ELb0ELc78ELc76EKPKfKPfEviT_PT9_S5_lS7_S5_lPT10_S5_li: ; @_ZL37rocblas_syrkx_herkx_restricted_kernelIlfLi16ELi32ELi8ELi1ELin1ELb0ELc78ELc76EKPKfKPfEviT_PT9_S5_lS7_S5_lPT10_S5_li
; %bb.0:
	s_load_dwordx4 s[12:15], s[4:5], 0x40
	s_load_dwordx4 s[16:19], s[4:5], 0x8
	s_mov_b32 s9, 0
	s_lshl_b64 s[10:11], s[8:9], 3
	s_waitcnt lgkmcnt(0)
	s_add_u32 s0, s12, s10
	s_addc_u32 s1, s13, s11
	s_load_dwordx2 s[8:9], s[0:1], 0x0
	v_cmp_lt_i64_e64 s[0:1], s[16:17], 1
	s_lshl_b32 s12, s6, 5
	s_lshl_b32 s13, s7, 5
	s_and_b64 vcc, exec, s[0:1]
	s_cbranch_vccnz .LBB1396_3
; %bb.1:
	s_load_dwordx2 s[6:7], s[4:5], 0x18
	s_load_dwordx4 s[0:3], s[4:5], 0x28
	v_lshl_add_u32 v7, v1, 4, v0
	v_lshrrev_b32_e32 v8, 3, v7
	v_add_u32_e32 v2, s13, v8
	v_and_b32_e32 v6, 7, v0
	v_ashrrev_i32_e32 v3, 31, v2
	s_waitcnt lgkmcnt(0)
	v_mad_u64_u32 v[4:5], s[20:21], s2, v6, v[2:3]
	s_add_u32 s18, s18, s10
	s_addc_u32 s19, s19, s11
	v_mov_b32_e32 v2, v5
	v_mad_u64_u32 v[2:3], s[20:21], s3, v6, v[2:3]
	v_lshrrev_b32_e32 v9, 5, v7
	s_add_u32 s0, s0, s10
	v_mov_b32_e32 v5, v2
	v_and_b32_e32 v2, 31, v7
	v_lshlrev_b32_e32 v3, 2, v2
	v_add_u32_e32 v2, s12, v2
	v_lshl_or_b32 v10, v9, 7, v3
	v_ashrrev_i32_e32 v3, 31, v2
	s_addc_u32 s1, s1, s11
	v_mad_u64_u32 v[2:3], s[10:11], s6, v9, v[2:3]
	v_lshlrev_b32_e32 v6, 2, v6
	v_lshl_or_b32 v6, v8, 5, v6
	v_add_u32_e32 v11, 0x400, v6
	v_mad_u64_u32 v[6:7], s[10:11], s7, v9, v[3:4]
	s_load_dwordx2 s[18:19], s[18:19], 0x0
	v_mov_b32_e32 v3, 0x400
	s_load_dwordx2 s[0:1], s[0:1], 0x0
	v_lshl_add_u32 v13, v1, 5, v3
	v_mov_b32_e32 v3, v6
	v_lshlrev_b64 v[2:3], 2, v[2:3]
	s_waitcnt lgkmcnt(0)
	v_mov_b32_e32 v6, s19
	v_add_co_u32_e32 v2, vcc, s18, v2
	v_lshlrev_b64 v[4:5], 2, v[4:5]
	v_addc_co_u32_e32 v3, vcc, v6, v3, vcc
	v_mov_b32_e32 v6, s1
	v_add_co_u32_e32 v4, vcc, s0, v4
	v_lshlrev_b32_e32 v12, 2, v0
	s_lshl_b64 s[6:7], s[6:7], 5
	v_addc_co_u32_e32 v5, vcc, v6, v5, vcc
	s_lshl_b64 s[2:3], s[2:3], 5
	v_mov_b32_e32 v6, 0
	s_mov_b64 s[10:11], 0
	v_mov_b32_e32 v7, 0
	v_mov_b32_e32 v8, 0
	;; [unrolled: 1-line block ×3, first 2 shown]
.LBB1396_2:                             ; =>This Inner Loop Header: Depth=1
	flat_load_dword v14, v[2:3]
	s_add_u32 s10, s10, 8
	s_addc_u32 s11, s11, 0
	v_add_co_u32_e64 v2, s[0:1], s6, v2
	s_waitcnt vmcnt(0) lgkmcnt(0)
	ds_write_b32 v10, v14
	flat_load_dword v16, v[4:5]
	v_mov_b32_e32 v15, s11
	v_mov_b32_e32 v14, s10
	v_cmp_le_u64_e32 vcc, s[16:17], v[14:15]
	s_and_b64 vcc, exec, vcc
	s_waitcnt vmcnt(0) lgkmcnt(0)
	ds_write_b32 v11, v16
	s_waitcnt lgkmcnt(0)
	s_barrier
	ds_read2_b32 v[26:27], v12 offset1:16
	ds_read_b128 v[14:17], v13
	ds_read2_b32 v[28:29], v12 offset0:32 offset1:48
	ds_read2_b32 v[30:31], v12 offset0:64 offset1:80
	;; [unrolled: 1-line block ×3, first 2 shown]
	ds_read_b128 v[18:21], v13 offset:16
	s_waitcnt lgkmcnt(4)
	v_fmac_f32_e32 v9, v26, v14
	v_fmac_f32_e32 v8, v27, v14
	s_waitcnt lgkmcnt(3)
	v_fmac_f32_e32 v9, v28, v15
	v_fmac_f32_e32 v8, v29, v15
	;; [unrolled: 3-line block ×4, first 2 shown]
	ds_read_b128 v[14:17], v13 offset:512
	ds_read_b128 v[22:25], v13 offset:528
	s_waitcnt lgkmcnt(1)
	v_fmac_f32_e32 v7, v26, v14
	v_fmac_f32_e32 v6, v27, v14
	v_mov_b32_e32 v14, s7
	v_addc_co_u32_e64 v3, s[0:1], v3, v14, s[0:1]
	v_mov_b32_e32 v14, s3
	v_add_co_u32_e64 v4, s[0:1], s2, v4
	v_fmac_f32_e32 v7, v28, v15
	v_fmac_f32_e32 v6, v29, v15
	v_addc_co_u32_e64 v5, s[0:1], v5, v14, s[0:1]
	ds_read2_b32 v[14:15], v12 offset0:128 offset1:144
	v_fmac_f32_e32 v7, v30, v16
	v_fmac_f32_e32 v6, v31, v16
	v_fmac_f32_e32 v7, v32, v17
	v_fmac_f32_e32 v6, v33, v17
	ds_read2_b32 v[16:17], v12 offset0:160 offset1:176
	ds_read2_b32 v[26:27], v12 offset0:192 offset1:208
	;; [unrolled: 1-line block ×3, first 2 shown]
	s_waitcnt lgkmcnt(3)
	v_fmac_f32_e32 v9, v14, v18
	v_fmac_f32_e32 v8, v15, v18
	v_fmac_f32_e32 v7, v14, v22
	v_fmac_f32_e32 v6, v15, v22
	s_waitcnt lgkmcnt(2)
	v_fmac_f32_e32 v9, v16, v19
	v_fmac_f32_e32 v8, v17, v19
	v_fmac_f32_e32 v7, v16, v23
	v_fmac_f32_e32 v6, v17, v23
	;; [unrolled: 5-line block ×4, first 2 shown]
	s_barrier
	s_cbranch_vccz .LBB1396_2
	s_branch .LBB1396_4
.LBB1396_3:
	v_mov_b32_e32 v9, 0
	v_mov_b32_e32 v8, 0
	;; [unrolled: 1-line block ×4, first 2 shown]
.LBB1396_4:
	v_add_u32_e32 v4, s13, v1
	v_ashrrev_i32_e32 v1, 31, v4
	v_mul_lo_u32 v3, s14, v1
	v_mul_lo_u32 v5, s15, v4
	v_mad_u64_u32 v[1:2], s[0:1], s14, v4, 0
	s_load_dword s4, s[4:5], 0x0
	v_add_u32_e32 v0, s12, v0
	v_add3_u32 v2, v2, v3, v5
	v_lshlrev_b64 v[1:2], 2, v[1:2]
	s_waitcnt lgkmcnt(0)
	v_mov_b32_e32 v3, s9
	v_add_co_u32_e32 v5, vcc, s8, v1
	v_addc_co_u32_e32 v10, vcc, v3, v2, vcc
	v_cmp_le_i32_e64 s[0:1], v4, v0
	v_cmp_gt_i32_e32 vcc, s4, v0
	s_and_b64 s[0:1], s[0:1], vcc
	s_and_saveexec_b64 s[2:3], s[0:1]
	s_cbranch_execz .LBB1396_6
; %bb.5:
	v_ashrrev_i32_e32 v1, 31, v0
	v_lshlrev_b64 v[1:2], 2, v[0:1]
	v_add_co_u32_e64 v1, s[0:1], v5, v1
	v_addc_co_u32_e64 v2, s[0:1], v10, v2, s[0:1]
	flat_load_dword v3, v[1:2]
	s_waitcnt vmcnt(0) lgkmcnt(0)
	v_sub_f32_e32 v3, v9, v3
	flat_store_dword v[1:2], v3
.LBB1396_6:
	s_or_b64 exec, exec, s[2:3]
	v_add_u32_e32 v2, 16, v0
	v_cmp_le_i32_e64 s[2:3], v4, v2
	v_cmp_gt_i32_e64 s[0:1], s4, v2
	s_and_b64 s[2:3], s[2:3], s[0:1]
	s_and_saveexec_b64 s[4:5], s[2:3]
	s_cbranch_execz .LBB1396_8
; %bb.7:
	v_ashrrev_i32_e32 v3, 31, v2
	v_lshlrev_b64 v[11:12], 2, v[2:3]
	v_add_co_u32_e64 v9, s[2:3], v5, v11
	v_addc_co_u32_e64 v10, s[2:3], v10, v12, s[2:3]
	flat_load_dword v1, v[9:10]
	s_waitcnt vmcnt(0) lgkmcnt(0)
	v_sub_f32_e32 v1, v8, v1
	flat_store_dword v[9:10], v1
.LBB1396_8:
	s_or_b64 exec, exec, s[4:5]
	v_add_u32_e32 v3, 16, v4
	v_ashrrev_i32_e32 v1, 31, v3
	v_mul_lo_u32 v8, s15, v3
	v_mad_u64_u32 v[4:5], s[2:3], s14, v3, 0
	v_mul_lo_u32 v1, s14, v1
	v_add3_u32 v5, v5, v1, v8
	v_lshlrev_b64 v[4:5], 2, v[4:5]
	v_mov_b32_e32 v1, s9
	v_add_co_u32_e64 v4, s[2:3], s8, v4
	v_addc_co_u32_e64 v5, s[2:3], v1, v5, s[2:3]
	v_cmp_le_i32_e64 s[2:3], v3, v0
	s_and_b64 s[4:5], s[2:3], vcc
	s_and_saveexec_b64 s[2:3], s[4:5]
	s_cbranch_execz .LBB1396_10
; %bb.9:
	v_ashrrev_i32_e32 v1, 31, v0
	v_lshlrev_b64 v[0:1], 2, v[0:1]
	v_add_co_u32_e32 v0, vcc, v4, v0
	v_addc_co_u32_e32 v1, vcc, v5, v1, vcc
	flat_load_dword v8, v[0:1]
	s_waitcnt vmcnt(0) lgkmcnt(0)
	v_sub_f32_e32 v7, v7, v8
	flat_store_dword v[0:1], v7
.LBB1396_10:
	s_or_b64 exec, exec, s[2:3]
	v_cmp_le_i32_e32 vcc, v3, v2
	s_and_b64 s[0:1], vcc, s[0:1]
	s_and_saveexec_b64 s[2:3], s[0:1]
	s_cbranch_execz .LBB1396_12
; %bb.11:
	v_ashrrev_i32_e32 v3, 31, v2
	v_lshlrev_b64 v[0:1], 2, v[2:3]
	v_add_co_u32_e32 v0, vcc, v4, v0
	v_addc_co_u32_e32 v1, vcc, v5, v1, vcc
	flat_load_dword v2, v[0:1]
	s_waitcnt vmcnt(0) lgkmcnt(0)
	v_sub_f32_e32 v2, v6, v2
	flat_store_dword v[0:1], v2
.LBB1396_12:
	s_endpgm
	.section	.rodata,"a",@progbits
	.p2align	6, 0x0
	.amdhsa_kernel _ZL37rocblas_syrkx_herkx_restricted_kernelIlfLi16ELi32ELi8ELi1ELin1ELb0ELc78ELc76EKPKfKPfEviT_PT9_S5_lS7_S5_lPT10_S5_li
		.amdhsa_group_segment_fixed_size 2048
		.amdhsa_private_segment_fixed_size 0
		.amdhsa_kernarg_size 92
		.amdhsa_user_sgpr_count 6
		.amdhsa_user_sgpr_private_segment_buffer 1
		.amdhsa_user_sgpr_dispatch_ptr 0
		.amdhsa_user_sgpr_queue_ptr 0
		.amdhsa_user_sgpr_kernarg_segment_ptr 1
		.amdhsa_user_sgpr_dispatch_id 0
		.amdhsa_user_sgpr_flat_scratch_init 0
		.amdhsa_user_sgpr_private_segment_size 0
		.amdhsa_uses_dynamic_stack 0
		.amdhsa_system_sgpr_private_segment_wavefront_offset 0
		.amdhsa_system_sgpr_workgroup_id_x 1
		.amdhsa_system_sgpr_workgroup_id_y 1
		.amdhsa_system_sgpr_workgroup_id_z 1
		.amdhsa_system_sgpr_workgroup_info 0
		.amdhsa_system_vgpr_workitem_id 1
		.amdhsa_next_free_vgpr 34
		.amdhsa_next_free_sgpr 22
		.amdhsa_reserve_vcc 1
		.amdhsa_reserve_flat_scratch 0
		.amdhsa_float_round_mode_32 0
		.amdhsa_float_round_mode_16_64 0
		.amdhsa_float_denorm_mode_32 3
		.amdhsa_float_denorm_mode_16_64 3
		.amdhsa_dx10_clamp 1
		.amdhsa_ieee_mode 1
		.amdhsa_fp16_overflow 0
		.amdhsa_exception_fp_ieee_invalid_op 0
		.amdhsa_exception_fp_denorm_src 0
		.amdhsa_exception_fp_ieee_div_zero 0
		.amdhsa_exception_fp_ieee_overflow 0
		.amdhsa_exception_fp_ieee_underflow 0
		.amdhsa_exception_fp_ieee_inexact 0
		.amdhsa_exception_int_div_zero 0
	.end_amdhsa_kernel
	.section	.text._ZL37rocblas_syrkx_herkx_restricted_kernelIlfLi16ELi32ELi8ELi1ELin1ELb0ELc78ELc76EKPKfKPfEviT_PT9_S5_lS7_S5_lPT10_S5_li,"axG",@progbits,_ZL37rocblas_syrkx_herkx_restricted_kernelIlfLi16ELi32ELi8ELi1ELin1ELb0ELc78ELc76EKPKfKPfEviT_PT9_S5_lS7_S5_lPT10_S5_li,comdat
.Lfunc_end1396:
	.size	_ZL37rocblas_syrkx_herkx_restricted_kernelIlfLi16ELi32ELi8ELi1ELin1ELb0ELc78ELc76EKPKfKPfEviT_PT9_S5_lS7_S5_lPT10_S5_li, .Lfunc_end1396-_ZL37rocblas_syrkx_herkx_restricted_kernelIlfLi16ELi32ELi8ELi1ELin1ELb0ELc78ELc76EKPKfKPfEviT_PT9_S5_lS7_S5_lPT10_S5_li
                                        ; -- End function
	.set _ZL37rocblas_syrkx_herkx_restricted_kernelIlfLi16ELi32ELi8ELi1ELin1ELb0ELc78ELc76EKPKfKPfEviT_PT9_S5_lS7_S5_lPT10_S5_li.num_vgpr, 34
	.set _ZL37rocblas_syrkx_herkx_restricted_kernelIlfLi16ELi32ELi8ELi1ELin1ELb0ELc78ELc76EKPKfKPfEviT_PT9_S5_lS7_S5_lPT10_S5_li.num_agpr, 0
	.set _ZL37rocblas_syrkx_herkx_restricted_kernelIlfLi16ELi32ELi8ELi1ELin1ELb0ELc78ELc76EKPKfKPfEviT_PT9_S5_lS7_S5_lPT10_S5_li.numbered_sgpr, 22
	.set _ZL37rocblas_syrkx_herkx_restricted_kernelIlfLi16ELi32ELi8ELi1ELin1ELb0ELc78ELc76EKPKfKPfEviT_PT9_S5_lS7_S5_lPT10_S5_li.num_named_barrier, 0
	.set _ZL37rocblas_syrkx_herkx_restricted_kernelIlfLi16ELi32ELi8ELi1ELin1ELb0ELc78ELc76EKPKfKPfEviT_PT9_S5_lS7_S5_lPT10_S5_li.private_seg_size, 0
	.set _ZL37rocblas_syrkx_herkx_restricted_kernelIlfLi16ELi32ELi8ELi1ELin1ELb0ELc78ELc76EKPKfKPfEviT_PT9_S5_lS7_S5_lPT10_S5_li.uses_vcc, 1
	.set _ZL37rocblas_syrkx_herkx_restricted_kernelIlfLi16ELi32ELi8ELi1ELin1ELb0ELc78ELc76EKPKfKPfEviT_PT9_S5_lS7_S5_lPT10_S5_li.uses_flat_scratch, 0
	.set _ZL37rocblas_syrkx_herkx_restricted_kernelIlfLi16ELi32ELi8ELi1ELin1ELb0ELc78ELc76EKPKfKPfEviT_PT9_S5_lS7_S5_lPT10_S5_li.has_dyn_sized_stack, 0
	.set _ZL37rocblas_syrkx_herkx_restricted_kernelIlfLi16ELi32ELi8ELi1ELin1ELb0ELc78ELc76EKPKfKPfEviT_PT9_S5_lS7_S5_lPT10_S5_li.has_recursion, 0
	.set _ZL37rocblas_syrkx_herkx_restricted_kernelIlfLi16ELi32ELi8ELi1ELin1ELb0ELc78ELc76EKPKfKPfEviT_PT9_S5_lS7_S5_lPT10_S5_li.has_indirect_call, 0
	.section	.AMDGPU.csdata,"",@progbits
; Kernel info:
; codeLenInByte = 1172
; TotalNumSgprs: 26
; NumVgprs: 34
; ScratchSize: 0
; MemoryBound: 0
; FloatMode: 240
; IeeeMode: 1
; LDSByteSize: 2048 bytes/workgroup (compile time only)
; SGPRBlocks: 3
; VGPRBlocks: 8
; NumSGPRsForWavesPerEU: 26
; NumVGPRsForWavesPerEU: 34
; Occupancy: 7
; WaveLimiterHint : 1
; COMPUTE_PGM_RSRC2:SCRATCH_EN: 0
; COMPUTE_PGM_RSRC2:USER_SGPR: 6
; COMPUTE_PGM_RSRC2:TRAP_HANDLER: 0
; COMPUTE_PGM_RSRC2:TGID_X_EN: 1
; COMPUTE_PGM_RSRC2:TGID_Y_EN: 1
; COMPUTE_PGM_RSRC2:TGID_Z_EN: 1
; COMPUTE_PGM_RSRC2:TIDIG_COMP_CNT: 1
	.section	.text._ZL37rocblas_syrkx_herkx_restricted_kernelIlfLi16ELi32ELi8ELi1ELin1ELb0ELc84ELc85EKPKfKPfEviT_PT9_S5_lS7_S5_lPT10_S5_li,"axG",@progbits,_ZL37rocblas_syrkx_herkx_restricted_kernelIlfLi16ELi32ELi8ELi1ELin1ELb0ELc84ELc85EKPKfKPfEviT_PT9_S5_lS7_S5_lPT10_S5_li,comdat
	.globl	_ZL37rocblas_syrkx_herkx_restricted_kernelIlfLi16ELi32ELi8ELi1ELin1ELb0ELc84ELc85EKPKfKPfEviT_PT9_S5_lS7_S5_lPT10_S5_li ; -- Begin function _ZL37rocblas_syrkx_herkx_restricted_kernelIlfLi16ELi32ELi8ELi1ELin1ELb0ELc84ELc85EKPKfKPfEviT_PT9_S5_lS7_S5_lPT10_S5_li
	.p2align	8
	.type	_ZL37rocblas_syrkx_herkx_restricted_kernelIlfLi16ELi32ELi8ELi1ELin1ELb0ELc84ELc85EKPKfKPfEviT_PT9_S5_lS7_S5_lPT10_S5_li,@function
_ZL37rocblas_syrkx_herkx_restricted_kernelIlfLi16ELi32ELi8ELi1ELin1ELb0ELc84ELc85EKPKfKPfEviT_PT9_S5_lS7_S5_lPT10_S5_li: ; @_ZL37rocblas_syrkx_herkx_restricted_kernelIlfLi16ELi32ELi8ELi1ELin1ELb0ELc84ELc85EKPKfKPfEviT_PT9_S5_lS7_S5_lPT10_S5_li
; %bb.0:
	s_load_dwordx4 s[0:3], s[4:5], 0x40
	s_load_dwordx4 s[12:15], s[4:5], 0x8
	s_mov_b32 s9, 0
	s_lshl_b64 s[10:11], s[8:9], 3
	s_waitcnt lgkmcnt(0)
	s_add_u32 s0, s0, s10
	s_addc_u32 s1, s1, s11
	s_load_dwordx2 s[8:9], s[0:1], 0x0
	v_cmp_lt_i64_e64 s[0:1], s[12:13], 1
	s_lshl_b32 s16, s6, 5
	s_lshl_b32 s17, s7, 5
	s_and_b64 vcc, exec, s[0:1]
	s_cbranch_vccnz .LBB1397_3
; %bb.1:
	s_load_dwordx2 s[0:1], s[4:5], 0x18
	s_load_dwordx4 s[20:23], s[4:5], 0x28
	v_lshl_add_u32 v4, v1, 4, v0
	v_lshrrev_b32_e32 v8, 3, v4
	v_add_u32_e32 v5, s17, v8
	s_add_u32 s6, s14, s10
	v_ashrrev_i32_e32 v6, 31, v5
	v_and_b32_e32 v2, 7, v0
	v_mov_b32_e32 v3, 0
	s_addc_u32 s7, s15, s11
	s_waitcnt lgkmcnt(0)
	v_mul_lo_u32 v9, s22, v6
	v_mul_lo_u32 v10, s23, v5
	v_mad_u64_u32 v[6:7], s[14:15], s22, v5, v[2:3]
	v_lshlrev_b32_e32 v2, 2, v2
	v_lshl_or_b32 v2, v8, 5, v2
	v_add3_u32 v7, v10, v7, v9
	v_and_b32_e32 v9, 31, v4
	v_add_u32_e32 v11, 0x400, v2
	v_add_u32_e32 v2, s16, v9
	v_lshrrev_b32_e32 v4, 5, v4
	v_mov_b32_e32 v5, v3
	v_lshlrev_b32_e32 v10, 2, v9
	v_ashrrev_i32_e32 v8, 31, v2
	v_lshl_or_b32 v10, v4, 7, v10
	v_mul_lo_u32 v8, s0, v8
	v_mad_u64_u32 v[4:5], s[14:15], s0, v2, v[4:5]
	v_mul_lo_u32 v2, s1, v2
	s_load_dwordx2 s[6:7], s[6:7], 0x0
	s_add_u32 s10, s20, s10
	s_addc_u32 s11, s21, s11
	s_load_dwordx2 s[10:11], s[10:11], 0x0
	v_add3_u32 v5, v2, v5, v8
	v_lshlrev_b64 v[4:5], 2, v[4:5]
	s_waitcnt lgkmcnt(0)
	v_mov_b32_e32 v2, s7
	v_add_co_u32_e32 v4, vcc, s6, v4
	v_lshlrev_b64 v[6:7], 2, v[6:7]
	v_addc_co_u32_e32 v5, vcc, v2, v5, vcc
	v_mov_b32_e32 v9, 0x400
	v_mov_b32_e32 v2, s11
	v_add_co_u32_e32 v6, vcc, s10, v6
	v_lshlrev_b32_e32 v12, 2, v0
	v_lshl_add_u32 v13, v1, 5, v9
	v_addc_co_u32_e32 v7, vcc, v2, v7, vcc
	s_mov_b64 s[6:7], 0
	v_mov_b32_e32 v2, v3
	v_mov_b32_e32 v8, v3
	;; [unrolled: 1-line block ×3, first 2 shown]
.LBB1397_2:                             ; =>This Inner Loop Header: Depth=1
	flat_load_dword v14, v[4:5]
	s_add_u32 s6, s6, 8
	s_addc_u32 s7, s7, 0
	v_add_co_u32_e64 v4, s[0:1], 32, v4
	v_addc_co_u32_e64 v5, s[0:1], 0, v5, s[0:1]
	s_waitcnt vmcnt(0) lgkmcnt(0)
	ds_write_b32 v10, v14
	flat_load_dword v14, v[6:7]
	v_add_co_u32_e64 v6, s[0:1], 32, v6
	v_addc_co_u32_e64 v7, s[0:1], 0, v7, s[0:1]
	s_waitcnt vmcnt(0) lgkmcnt(0)
	ds_write_b32 v11, v14
	s_waitcnt lgkmcnt(0)
	s_barrier
	ds_read2_b32 v[26:27], v12 offset1:16
	ds_read_b128 v[14:17], v13
	ds_read2_b32 v[28:29], v12 offset0:32 offset1:48
	ds_read2_b32 v[30:31], v12 offset0:64 offset1:80
	ds_read_b128 v[18:21], v13 offset:16
	ds_read2_b32 v[32:33], v12 offset0:96 offset1:112
	s_waitcnt lgkmcnt(4)
	v_fmac_f32_e32 v9, v26, v14
	v_fmac_f32_e32 v8, v27, v14
	s_waitcnt lgkmcnt(3)
	v_fmac_f32_e32 v9, v28, v15
	v_fmac_f32_e32 v8, v29, v15
	v_mov_b32_e32 v15, s7
	s_waitcnt lgkmcnt(2)
	v_fmac_f32_e32 v9, v30, v16
	v_fmac_f32_e32 v8, v31, v16
	v_mov_b32_e32 v14, s6
	s_waitcnt lgkmcnt(0)
	v_fmac_f32_e32 v9, v32, v17
	v_fmac_f32_e32 v8, v33, v17
	v_cmp_le_u64_e32 vcc, s[12:13], v[14:15]
	ds_read_b128 v[14:17], v13 offset:512
	ds_read_b128 v[22:25], v13 offset:528
	s_and_b64 vcc, exec, vcc
	s_waitcnt lgkmcnt(1)
	v_fmac_f32_e32 v2, v26, v14
	v_fmac_f32_e32 v3, v27, v14
	;; [unrolled: 1-line block ×8, first 2 shown]
	ds_read2_b32 v[14:15], v12 offset0:128 offset1:144
	ds_read2_b32 v[16:17], v12 offset0:160 offset1:176
	;; [unrolled: 1-line block ×3, first 2 shown]
	s_waitcnt lgkmcnt(2)
	v_fmac_f32_e32 v9, v14, v18
	v_fmac_f32_e32 v8, v15, v18
	v_fmac_f32_e32 v2, v14, v22
	v_fmac_f32_e32 v3, v15, v22
	ds_read2_b32 v[14:15], v12 offset0:224 offset1:240
	s_waitcnt lgkmcnt(2)
	v_fmac_f32_e32 v9, v16, v19
	v_fmac_f32_e32 v8, v17, v19
	v_fmac_f32_e32 v2, v16, v23
	v_fmac_f32_e32 v3, v17, v23
	s_waitcnt lgkmcnt(1)
	v_fmac_f32_e32 v9, v26, v20
	v_fmac_f32_e32 v8, v27, v20
	v_fmac_f32_e32 v2, v26, v24
	v_fmac_f32_e32 v3, v27, v24
	;; [unrolled: 5-line block ×3, first 2 shown]
	s_barrier
	s_cbranch_vccz .LBB1397_2
	s_branch .LBB1397_4
.LBB1397_3:
	v_mov_b32_e32 v9, 0
	v_mov_b32_e32 v8, 0
	;; [unrolled: 1-line block ×4, first 2 shown]
.LBB1397_4:
	v_add_u32_e32 v6, s17, v1
	v_ashrrev_i32_e32 v1, 31, v6
	v_mul_lo_u32 v1, s2, v1
	v_mul_lo_u32 v7, s3, v6
	v_mad_u64_u32 v[4:5], s[0:1], s2, v6, 0
	s_load_dword s6, s[4:5], 0x0
	v_add_u32_e32 v0, s16, v0
	v_add3_u32 v5, v5, v1, v7
	v_lshlrev_b64 v[4:5], 2, v[4:5]
	s_waitcnt lgkmcnt(0)
	v_mov_b32_e32 v1, s9
	v_add_co_u32_e64 v7, s[0:1], s8, v4
	v_addc_co_u32_e64 v10, s[0:1], v1, v5, s[0:1]
	v_cmp_gt_i32_e32 vcc, s6, v6
	v_cmp_le_i32_e64 s[0:1], v0, v6
	s_and_b64 s[0:1], vcc, s[0:1]
	s_and_saveexec_b64 s[4:5], s[0:1]
	s_cbranch_execz .LBB1397_6
; %bb.5:
	v_ashrrev_i32_e32 v1, 31, v0
	v_lshlrev_b64 v[4:5], 2, v[0:1]
	v_add_co_u32_e64 v4, s[0:1], v7, v4
	v_addc_co_u32_e64 v5, s[0:1], v10, v5, s[0:1]
	flat_load_dword v1, v[4:5]
	s_waitcnt vmcnt(0) lgkmcnt(0)
	v_sub_f32_e32 v1, v9, v1
	flat_store_dword v[4:5], v1
.LBB1397_6:
	s_or_b64 exec, exec, s[4:5]
	v_add_u32_e32 v4, 16, v0
	v_cmp_le_i32_e64 s[0:1], v4, v6
	s_and_b64 s[4:5], vcc, s[0:1]
	s_and_saveexec_b64 s[0:1], s[4:5]
	s_cbranch_execz .LBB1397_8
; %bb.7:
	v_ashrrev_i32_e32 v5, 31, v4
	v_lshlrev_b64 v[11:12], 2, v[4:5]
	v_add_co_u32_e32 v9, vcc, v7, v11
	v_addc_co_u32_e32 v10, vcc, v10, v12, vcc
	flat_load_dword v1, v[9:10]
	s_waitcnt vmcnt(0) lgkmcnt(0)
	v_sub_f32_e32 v1, v8, v1
	flat_store_dword v[9:10], v1
.LBB1397_8:
	s_or_b64 exec, exec, s[0:1]
	v_add_u32_e32 v5, 16, v6
	v_ashrrev_i32_e32 v1, 31, v5
	v_mul_lo_u32 v1, s2, v1
	v_mul_lo_u32 v8, s3, v5
	v_mad_u64_u32 v[6:7], s[0:1], s2, v5, 0
	v_cmp_gt_i32_e32 vcc, s6, v5
	v_add3_u32 v7, v7, v1, v8
	v_lshlrev_b64 v[6:7], 2, v[6:7]
	v_mov_b32_e32 v1, s9
	v_add_co_u32_e64 v6, s[0:1], s8, v6
	v_addc_co_u32_e64 v7, s[0:1], v1, v7, s[0:1]
	v_cmp_le_i32_e64 s[0:1], v0, v5
	s_and_b64 s[0:1], vcc, s[0:1]
	s_and_saveexec_b64 s[2:3], s[0:1]
	s_cbranch_execz .LBB1397_10
; %bb.9:
	v_ashrrev_i32_e32 v1, 31, v0
	v_lshlrev_b64 v[0:1], 2, v[0:1]
	v_add_co_u32_e64 v0, s[0:1], v6, v0
	v_addc_co_u32_e64 v1, s[0:1], v7, v1, s[0:1]
	flat_load_dword v8, v[0:1]
	s_waitcnt vmcnt(0) lgkmcnt(0)
	v_sub_f32_e32 v2, v2, v8
	flat_store_dword v[0:1], v2
.LBB1397_10:
	s_or_b64 exec, exec, s[2:3]
	v_cmp_le_i32_e64 s[0:1], v4, v5
	s_and_b64 s[0:1], vcc, s[0:1]
	s_and_saveexec_b64 s[2:3], s[0:1]
	s_cbranch_execz .LBB1397_12
; %bb.11:
	v_ashrrev_i32_e32 v5, 31, v4
	v_lshlrev_b64 v[0:1], 2, v[4:5]
	v_add_co_u32_e32 v0, vcc, v6, v0
	v_addc_co_u32_e32 v1, vcc, v7, v1, vcc
	flat_load_dword v2, v[0:1]
	s_waitcnt vmcnt(0) lgkmcnt(0)
	v_sub_f32_e32 v2, v3, v2
	flat_store_dword v[0:1], v2
.LBB1397_12:
	s_endpgm
	.section	.rodata,"a",@progbits
	.p2align	6, 0x0
	.amdhsa_kernel _ZL37rocblas_syrkx_herkx_restricted_kernelIlfLi16ELi32ELi8ELi1ELin1ELb0ELc84ELc85EKPKfKPfEviT_PT9_S5_lS7_S5_lPT10_S5_li
		.amdhsa_group_segment_fixed_size 2048
		.amdhsa_private_segment_fixed_size 0
		.amdhsa_kernarg_size 92
		.amdhsa_user_sgpr_count 6
		.amdhsa_user_sgpr_private_segment_buffer 1
		.amdhsa_user_sgpr_dispatch_ptr 0
		.amdhsa_user_sgpr_queue_ptr 0
		.amdhsa_user_sgpr_kernarg_segment_ptr 1
		.amdhsa_user_sgpr_dispatch_id 0
		.amdhsa_user_sgpr_flat_scratch_init 0
		.amdhsa_user_sgpr_private_segment_size 0
		.amdhsa_uses_dynamic_stack 0
		.amdhsa_system_sgpr_private_segment_wavefront_offset 0
		.amdhsa_system_sgpr_workgroup_id_x 1
		.amdhsa_system_sgpr_workgroup_id_y 1
		.amdhsa_system_sgpr_workgroup_id_z 1
		.amdhsa_system_sgpr_workgroup_info 0
		.amdhsa_system_vgpr_workitem_id 1
		.amdhsa_next_free_vgpr 34
		.amdhsa_next_free_sgpr 24
		.amdhsa_reserve_vcc 1
		.amdhsa_reserve_flat_scratch 0
		.amdhsa_float_round_mode_32 0
		.amdhsa_float_round_mode_16_64 0
		.amdhsa_float_denorm_mode_32 3
		.amdhsa_float_denorm_mode_16_64 3
		.amdhsa_dx10_clamp 1
		.amdhsa_ieee_mode 1
		.amdhsa_fp16_overflow 0
		.amdhsa_exception_fp_ieee_invalid_op 0
		.amdhsa_exception_fp_denorm_src 0
		.amdhsa_exception_fp_ieee_div_zero 0
		.amdhsa_exception_fp_ieee_overflow 0
		.amdhsa_exception_fp_ieee_underflow 0
		.amdhsa_exception_fp_ieee_inexact 0
		.amdhsa_exception_int_div_zero 0
	.end_amdhsa_kernel
	.section	.text._ZL37rocblas_syrkx_herkx_restricted_kernelIlfLi16ELi32ELi8ELi1ELin1ELb0ELc84ELc85EKPKfKPfEviT_PT9_S5_lS7_S5_lPT10_S5_li,"axG",@progbits,_ZL37rocblas_syrkx_herkx_restricted_kernelIlfLi16ELi32ELi8ELi1ELin1ELb0ELc84ELc85EKPKfKPfEviT_PT9_S5_lS7_S5_lPT10_S5_li,comdat
.Lfunc_end1397:
	.size	_ZL37rocblas_syrkx_herkx_restricted_kernelIlfLi16ELi32ELi8ELi1ELin1ELb0ELc84ELc85EKPKfKPfEviT_PT9_S5_lS7_S5_lPT10_S5_li, .Lfunc_end1397-_ZL37rocblas_syrkx_herkx_restricted_kernelIlfLi16ELi32ELi8ELi1ELin1ELb0ELc84ELc85EKPKfKPfEviT_PT9_S5_lS7_S5_lPT10_S5_li
                                        ; -- End function
	.set _ZL37rocblas_syrkx_herkx_restricted_kernelIlfLi16ELi32ELi8ELi1ELin1ELb0ELc84ELc85EKPKfKPfEviT_PT9_S5_lS7_S5_lPT10_S5_li.num_vgpr, 34
	.set _ZL37rocblas_syrkx_herkx_restricted_kernelIlfLi16ELi32ELi8ELi1ELin1ELb0ELc84ELc85EKPKfKPfEviT_PT9_S5_lS7_S5_lPT10_S5_li.num_agpr, 0
	.set _ZL37rocblas_syrkx_herkx_restricted_kernelIlfLi16ELi32ELi8ELi1ELin1ELb0ELc84ELc85EKPKfKPfEviT_PT9_S5_lS7_S5_lPT10_S5_li.numbered_sgpr, 24
	.set _ZL37rocblas_syrkx_herkx_restricted_kernelIlfLi16ELi32ELi8ELi1ELin1ELb0ELc84ELc85EKPKfKPfEviT_PT9_S5_lS7_S5_lPT10_S5_li.num_named_barrier, 0
	.set _ZL37rocblas_syrkx_herkx_restricted_kernelIlfLi16ELi32ELi8ELi1ELin1ELb0ELc84ELc85EKPKfKPfEviT_PT9_S5_lS7_S5_lPT10_S5_li.private_seg_size, 0
	.set _ZL37rocblas_syrkx_herkx_restricted_kernelIlfLi16ELi32ELi8ELi1ELin1ELb0ELc84ELc85EKPKfKPfEviT_PT9_S5_lS7_S5_lPT10_S5_li.uses_vcc, 1
	.set _ZL37rocblas_syrkx_herkx_restricted_kernelIlfLi16ELi32ELi8ELi1ELin1ELb0ELc84ELc85EKPKfKPfEviT_PT9_S5_lS7_S5_lPT10_S5_li.uses_flat_scratch, 0
	.set _ZL37rocblas_syrkx_herkx_restricted_kernelIlfLi16ELi32ELi8ELi1ELin1ELb0ELc84ELc85EKPKfKPfEviT_PT9_S5_lS7_S5_lPT10_S5_li.has_dyn_sized_stack, 0
	.set _ZL37rocblas_syrkx_herkx_restricted_kernelIlfLi16ELi32ELi8ELi1ELin1ELb0ELc84ELc85EKPKfKPfEviT_PT9_S5_lS7_S5_lPT10_S5_li.has_recursion, 0
	.set _ZL37rocblas_syrkx_herkx_restricted_kernelIlfLi16ELi32ELi8ELi1ELin1ELb0ELc84ELc85EKPKfKPfEviT_PT9_S5_lS7_S5_lPT10_S5_li.has_indirect_call, 0
	.section	.AMDGPU.csdata,"",@progbits
; Kernel info:
; codeLenInByte = 1188
; TotalNumSgprs: 28
; NumVgprs: 34
; ScratchSize: 0
; MemoryBound: 0
; FloatMode: 240
; IeeeMode: 1
; LDSByteSize: 2048 bytes/workgroup (compile time only)
; SGPRBlocks: 3
; VGPRBlocks: 8
; NumSGPRsForWavesPerEU: 28
; NumVGPRsForWavesPerEU: 34
; Occupancy: 7
; WaveLimiterHint : 1
; COMPUTE_PGM_RSRC2:SCRATCH_EN: 0
; COMPUTE_PGM_RSRC2:USER_SGPR: 6
; COMPUTE_PGM_RSRC2:TRAP_HANDLER: 0
; COMPUTE_PGM_RSRC2:TGID_X_EN: 1
; COMPUTE_PGM_RSRC2:TGID_Y_EN: 1
; COMPUTE_PGM_RSRC2:TGID_Z_EN: 1
; COMPUTE_PGM_RSRC2:TIDIG_COMP_CNT: 1
	.section	.text._ZL37rocblas_syrkx_herkx_restricted_kernelIlfLi16ELi32ELi8ELi1ELin1ELb0ELc67ELc85EKPKfKPfEviT_PT9_S5_lS7_S5_lPT10_S5_li,"axG",@progbits,_ZL37rocblas_syrkx_herkx_restricted_kernelIlfLi16ELi32ELi8ELi1ELin1ELb0ELc67ELc85EKPKfKPfEviT_PT9_S5_lS7_S5_lPT10_S5_li,comdat
	.globl	_ZL37rocblas_syrkx_herkx_restricted_kernelIlfLi16ELi32ELi8ELi1ELin1ELb0ELc67ELc85EKPKfKPfEviT_PT9_S5_lS7_S5_lPT10_S5_li ; -- Begin function _ZL37rocblas_syrkx_herkx_restricted_kernelIlfLi16ELi32ELi8ELi1ELin1ELb0ELc67ELc85EKPKfKPfEviT_PT9_S5_lS7_S5_lPT10_S5_li
	.p2align	8
	.type	_ZL37rocblas_syrkx_herkx_restricted_kernelIlfLi16ELi32ELi8ELi1ELin1ELb0ELc67ELc85EKPKfKPfEviT_PT9_S5_lS7_S5_lPT10_S5_li,@function
_ZL37rocblas_syrkx_herkx_restricted_kernelIlfLi16ELi32ELi8ELi1ELin1ELb0ELc67ELc85EKPKfKPfEviT_PT9_S5_lS7_S5_lPT10_S5_li: ; @_ZL37rocblas_syrkx_herkx_restricted_kernelIlfLi16ELi32ELi8ELi1ELin1ELb0ELc67ELc85EKPKfKPfEviT_PT9_S5_lS7_S5_lPT10_S5_li
; %bb.0:
	s_load_dwordx4 s[0:3], s[4:5], 0x40
	s_load_dwordx4 s[12:15], s[4:5], 0x8
	s_mov_b32 s9, 0
	s_lshl_b64 s[10:11], s[8:9], 3
	s_waitcnt lgkmcnt(0)
	s_add_u32 s0, s0, s10
	s_addc_u32 s1, s1, s11
	s_load_dwordx2 s[8:9], s[0:1], 0x0
	v_cmp_lt_i64_e64 s[0:1], s[12:13], 1
	s_lshl_b32 s16, s6, 5
	s_lshl_b32 s17, s7, 5
	s_and_b64 vcc, exec, s[0:1]
	s_cbranch_vccnz .LBB1398_3
; %bb.1:
	s_load_dwordx2 s[0:1], s[4:5], 0x18
	s_load_dwordx4 s[20:23], s[4:5], 0x28
	v_lshl_add_u32 v4, v1, 4, v0
	v_lshrrev_b32_e32 v8, 3, v4
	v_add_u32_e32 v5, s17, v8
	s_add_u32 s6, s14, s10
	v_ashrrev_i32_e32 v6, 31, v5
	v_and_b32_e32 v2, 7, v0
	v_mov_b32_e32 v3, 0
	s_addc_u32 s7, s15, s11
	s_waitcnt lgkmcnt(0)
	v_mul_lo_u32 v9, s22, v6
	v_mul_lo_u32 v10, s23, v5
	v_mad_u64_u32 v[6:7], s[14:15], s22, v5, v[2:3]
	v_lshlrev_b32_e32 v2, 2, v2
	v_lshl_or_b32 v2, v8, 5, v2
	v_add3_u32 v7, v10, v7, v9
	v_and_b32_e32 v9, 31, v4
	v_add_u32_e32 v11, 0x400, v2
	v_add_u32_e32 v2, s16, v9
	v_lshrrev_b32_e32 v4, 5, v4
	v_mov_b32_e32 v5, v3
	v_lshlrev_b32_e32 v10, 2, v9
	v_ashrrev_i32_e32 v8, 31, v2
	v_lshl_or_b32 v10, v4, 7, v10
	v_mul_lo_u32 v8, s0, v8
	v_mad_u64_u32 v[4:5], s[14:15], s0, v2, v[4:5]
	v_mul_lo_u32 v2, s1, v2
	s_load_dwordx2 s[6:7], s[6:7], 0x0
	s_add_u32 s10, s20, s10
	s_addc_u32 s11, s21, s11
	s_load_dwordx2 s[10:11], s[10:11], 0x0
	v_add3_u32 v5, v2, v5, v8
	v_lshlrev_b64 v[4:5], 2, v[4:5]
	s_waitcnt lgkmcnt(0)
	v_mov_b32_e32 v2, s7
	v_add_co_u32_e32 v4, vcc, s6, v4
	v_lshlrev_b64 v[6:7], 2, v[6:7]
	v_addc_co_u32_e32 v5, vcc, v2, v5, vcc
	v_mov_b32_e32 v9, 0x400
	v_mov_b32_e32 v2, s11
	v_add_co_u32_e32 v6, vcc, s10, v6
	v_lshlrev_b32_e32 v12, 2, v0
	v_lshl_add_u32 v13, v1, 5, v9
	v_addc_co_u32_e32 v7, vcc, v2, v7, vcc
	s_mov_b64 s[6:7], 0
	v_mov_b32_e32 v2, v3
	v_mov_b32_e32 v8, v3
	;; [unrolled: 1-line block ×3, first 2 shown]
.LBB1398_2:                             ; =>This Inner Loop Header: Depth=1
	flat_load_dword v14, v[4:5]
	s_add_u32 s6, s6, 8
	s_addc_u32 s7, s7, 0
	v_add_co_u32_e64 v4, s[0:1], 32, v4
	v_addc_co_u32_e64 v5, s[0:1], 0, v5, s[0:1]
	s_waitcnt vmcnt(0) lgkmcnt(0)
	ds_write_b32 v10, v14
	flat_load_dword v14, v[6:7]
	v_add_co_u32_e64 v6, s[0:1], 32, v6
	v_addc_co_u32_e64 v7, s[0:1], 0, v7, s[0:1]
	s_waitcnt vmcnt(0) lgkmcnt(0)
	ds_write_b32 v11, v14
	s_waitcnt lgkmcnt(0)
	s_barrier
	ds_read2_b32 v[26:27], v12 offset1:16
	ds_read_b128 v[14:17], v13
	ds_read2_b32 v[28:29], v12 offset0:32 offset1:48
	ds_read2_b32 v[30:31], v12 offset0:64 offset1:80
	ds_read_b128 v[18:21], v13 offset:16
	ds_read2_b32 v[32:33], v12 offset0:96 offset1:112
	s_waitcnt lgkmcnt(4)
	v_fmac_f32_e32 v9, v26, v14
	v_fmac_f32_e32 v8, v27, v14
	s_waitcnt lgkmcnt(3)
	v_fmac_f32_e32 v9, v28, v15
	v_fmac_f32_e32 v8, v29, v15
	v_mov_b32_e32 v15, s7
	s_waitcnt lgkmcnt(2)
	v_fmac_f32_e32 v9, v30, v16
	v_fmac_f32_e32 v8, v31, v16
	v_mov_b32_e32 v14, s6
	s_waitcnt lgkmcnt(0)
	v_fmac_f32_e32 v9, v32, v17
	v_fmac_f32_e32 v8, v33, v17
	v_cmp_le_u64_e32 vcc, s[12:13], v[14:15]
	ds_read_b128 v[14:17], v13 offset:512
	ds_read_b128 v[22:25], v13 offset:528
	s_and_b64 vcc, exec, vcc
	s_waitcnt lgkmcnt(1)
	v_fmac_f32_e32 v2, v26, v14
	v_fmac_f32_e32 v3, v27, v14
	;; [unrolled: 1-line block ×8, first 2 shown]
	ds_read2_b32 v[14:15], v12 offset0:128 offset1:144
	ds_read2_b32 v[16:17], v12 offset0:160 offset1:176
	;; [unrolled: 1-line block ×3, first 2 shown]
	s_waitcnt lgkmcnt(2)
	v_fmac_f32_e32 v9, v14, v18
	v_fmac_f32_e32 v8, v15, v18
	;; [unrolled: 1-line block ×4, first 2 shown]
	ds_read2_b32 v[14:15], v12 offset0:224 offset1:240
	s_waitcnt lgkmcnt(2)
	v_fmac_f32_e32 v9, v16, v19
	v_fmac_f32_e32 v8, v17, v19
	v_fmac_f32_e32 v2, v16, v23
	v_fmac_f32_e32 v3, v17, v23
	s_waitcnt lgkmcnt(1)
	v_fmac_f32_e32 v9, v26, v20
	v_fmac_f32_e32 v8, v27, v20
	v_fmac_f32_e32 v2, v26, v24
	v_fmac_f32_e32 v3, v27, v24
	;; [unrolled: 5-line block ×3, first 2 shown]
	s_barrier
	s_cbranch_vccz .LBB1398_2
	s_branch .LBB1398_4
.LBB1398_3:
	v_mov_b32_e32 v9, 0
	v_mov_b32_e32 v8, 0
	;; [unrolled: 1-line block ×4, first 2 shown]
.LBB1398_4:
	v_add_u32_e32 v6, s17, v1
	v_ashrrev_i32_e32 v1, 31, v6
	v_mul_lo_u32 v1, s2, v1
	v_mul_lo_u32 v7, s3, v6
	v_mad_u64_u32 v[4:5], s[0:1], s2, v6, 0
	s_load_dword s6, s[4:5], 0x0
	v_add_u32_e32 v0, s16, v0
	v_add3_u32 v5, v5, v1, v7
	v_lshlrev_b64 v[4:5], 2, v[4:5]
	s_waitcnt lgkmcnt(0)
	v_mov_b32_e32 v1, s9
	v_add_co_u32_e64 v7, s[0:1], s8, v4
	v_addc_co_u32_e64 v10, s[0:1], v1, v5, s[0:1]
	v_cmp_gt_i32_e32 vcc, s6, v6
	v_cmp_le_i32_e64 s[0:1], v0, v6
	s_and_b64 s[0:1], vcc, s[0:1]
	s_and_saveexec_b64 s[4:5], s[0:1]
	s_cbranch_execz .LBB1398_6
; %bb.5:
	v_ashrrev_i32_e32 v1, 31, v0
	v_lshlrev_b64 v[4:5], 2, v[0:1]
	v_add_co_u32_e64 v4, s[0:1], v7, v4
	v_addc_co_u32_e64 v5, s[0:1], v10, v5, s[0:1]
	flat_load_dword v1, v[4:5]
	s_waitcnt vmcnt(0) lgkmcnt(0)
	v_sub_f32_e32 v1, v9, v1
	flat_store_dword v[4:5], v1
.LBB1398_6:
	s_or_b64 exec, exec, s[4:5]
	v_add_u32_e32 v4, 16, v0
	v_cmp_le_i32_e64 s[0:1], v4, v6
	s_and_b64 s[4:5], vcc, s[0:1]
	s_and_saveexec_b64 s[0:1], s[4:5]
	s_cbranch_execz .LBB1398_8
; %bb.7:
	v_ashrrev_i32_e32 v5, 31, v4
	v_lshlrev_b64 v[11:12], 2, v[4:5]
	v_add_co_u32_e32 v9, vcc, v7, v11
	v_addc_co_u32_e32 v10, vcc, v10, v12, vcc
	flat_load_dword v1, v[9:10]
	s_waitcnt vmcnt(0) lgkmcnt(0)
	v_sub_f32_e32 v1, v8, v1
	flat_store_dword v[9:10], v1
.LBB1398_8:
	s_or_b64 exec, exec, s[0:1]
	v_add_u32_e32 v5, 16, v6
	v_ashrrev_i32_e32 v1, 31, v5
	v_mul_lo_u32 v1, s2, v1
	v_mul_lo_u32 v8, s3, v5
	v_mad_u64_u32 v[6:7], s[0:1], s2, v5, 0
	v_cmp_gt_i32_e32 vcc, s6, v5
	v_add3_u32 v7, v7, v1, v8
	v_lshlrev_b64 v[6:7], 2, v[6:7]
	v_mov_b32_e32 v1, s9
	v_add_co_u32_e64 v6, s[0:1], s8, v6
	v_addc_co_u32_e64 v7, s[0:1], v1, v7, s[0:1]
	v_cmp_le_i32_e64 s[0:1], v0, v5
	s_and_b64 s[0:1], vcc, s[0:1]
	s_and_saveexec_b64 s[2:3], s[0:1]
	s_cbranch_execz .LBB1398_10
; %bb.9:
	v_ashrrev_i32_e32 v1, 31, v0
	v_lshlrev_b64 v[0:1], 2, v[0:1]
	v_add_co_u32_e64 v0, s[0:1], v6, v0
	v_addc_co_u32_e64 v1, s[0:1], v7, v1, s[0:1]
	flat_load_dword v8, v[0:1]
	s_waitcnt vmcnt(0) lgkmcnt(0)
	v_sub_f32_e32 v2, v2, v8
	flat_store_dword v[0:1], v2
.LBB1398_10:
	s_or_b64 exec, exec, s[2:3]
	v_cmp_le_i32_e64 s[0:1], v4, v5
	s_and_b64 s[0:1], vcc, s[0:1]
	s_and_saveexec_b64 s[2:3], s[0:1]
	s_cbranch_execz .LBB1398_12
; %bb.11:
	v_ashrrev_i32_e32 v5, 31, v4
	v_lshlrev_b64 v[0:1], 2, v[4:5]
	v_add_co_u32_e32 v0, vcc, v6, v0
	v_addc_co_u32_e32 v1, vcc, v7, v1, vcc
	flat_load_dword v2, v[0:1]
	s_waitcnt vmcnt(0) lgkmcnt(0)
	v_sub_f32_e32 v2, v3, v2
	flat_store_dword v[0:1], v2
.LBB1398_12:
	s_endpgm
	.section	.rodata,"a",@progbits
	.p2align	6, 0x0
	.amdhsa_kernel _ZL37rocblas_syrkx_herkx_restricted_kernelIlfLi16ELi32ELi8ELi1ELin1ELb0ELc67ELc85EKPKfKPfEviT_PT9_S5_lS7_S5_lPT10_S5_li
		.amdhsa_group_segment_fixed_size 2048
		.amdhsa_private_segment_fixed_size 0
		.amdhsa_kernarg_size 92
		.amdhsa_user_sgpr_count 6
		.amdhsa_user_sgpr_private_segment_buffer 1
		.amdhsa_user_sgpr_dispatch_ptr 0
		.amdhsa_user_sgpr_queue_ptr 0
		.amdhsa_user_sgpr_kernarg_segment_ptr 1
		.amdhsa_user_sgpr_dispatch_id 0
		.amdhsa_user_sgpr_flat_scratch_init 0
		.amdhsa_user_sgpr_private_segment_size 0
		.amdhsa_uses_dynamic_stack 0
		.amdhsa_system_sgpr_private_segment_wavefront_offset 0
		.amdhsa_system_sgpr_workgroup_id_x 1
		.amdhsa_system_sgpr_workgroup_id_y 1
		.amdhsa_system_sgpr_workgroup_id_z 1
		.amdhsa_system_sgpr_workgroup_info 0
		.amdhsa_system_vgpr_workitem_id 1
		.amdhsa_next_free_vgpr 34
		.amdhsa_next_free_sgpr 24
		.amdhsa_reserve_vcc 1
		.amdhsa_reserve_flat_scratch 0
		.amdhsa_float_round_mode_32 0
		.amdhsa_float_round_mode_16_64 0
		.amdhsa_float_denorm_mode_32 3
		.amdhsa_float_denorm_mode_16_64 3
		.amdhsa_dx10_clamp 1
		.amdhsa_ieee_mode 1
		.amdhsa_fp16_overflow 0
		.amdhsa_exception_fp_ieee_invalid_op 0
		.amdhsa_exception_fp_denorm_src 0
		.amdhsa_exception_fp_ieee_div_zero 0
		.amdhsa_exception_fp_ieee_overflow 0
		.amdhsa_exception_fp_ieee_underflow 0
		.amdhsa_exception_fp_ieee_inexact 0
		.amdhsa_exception_int_div_zero 0
	.end_amdhsa_kernel
	.section	.text._ZL37rocblas_syrkx_herkx_restricted_kernelIlfLi16ELi32ELi8ELi1ELin1ELb0ELc67ELc85EKPKfKPfEviT_PT9_S5_lS7_S5_lPT10_S5_li,"axG",@progbits,_ZL37rocblas_syrkx_herkx_restricted_kernelIlfLi16ELi32ELi8ELi1ELin1ELb0ELc67ELc85EKPKfKPfEviT_PT9_S5_lS7_S5_lPT10_S5_li,comdat
.Lfunc_end1398:
	.size	_ZL37rocblas_syrkx_herkx_restricted_kernelIlfLi16ELi32ELi8ELi1ELin1ELb0ELc67ELc85EKPKfKPfEviT_PT9_S5_lS7_S5_lPT10_S5_li, .Lfunc_end1398-_ZL37rocblas_syrkx_herkx_restricted_kernelIlfLi16ELi32ELi8ELi1ELin1ELb0ELc67ELc85EKPKfKPfEviT_PT9_S5_lS7_S5_lPT10_S5_li
                                        ; -- End function
	.set _ZL37rocblas_syrkx_herkx_restricted_kernelIlfLi16ELi32ELi8ELi1ELin1ELb0ELc67ELc85EKPKfKPfEviT_PT9_S5_lS7_S5_lPT10_S5_li.num_vgpr, 34
	.set _ZL37rocblas_syrkx_herkx_restricted_kernelIlfLi16ELi32ELi8ELi1ELin1ELb0ELc67ELc85EKPKfKPfEviT_PT9_S5_lS7_S5_lPT10_S5_li.num_agpr, 0
	.set _ZL37rocblas_syrkx_herkx_restricted_kernelIlfLi16ELi32ELi8ELi1ELin1ELb0ELc67ELc85EKPKfKPfEviT_PT9_S5_lS7_S5_lPT10_S5_li.numbered_sgpr, 24
	.set _ZL37rocblas_syrkx_herkx_restricted_kernelIlfLi16ELi32ELi8ELi1ELin1ELb0ELc67ELc85EKPKfKPfEviT_PT9_S5_lS7_S5_lPT10_S5_li.num_named_barrier, 0
	.set _ZL37rocblas_syrkx_herkx_restricted_kernelIlfLi16ELi32ELi8ELi1ELin1ELb0ELc67ELc85EKPKfKPfEviT_PT9_S5_lS7_S5_lPT10_S5_li.private_seg_size, 0
	.set _ZL37rocblas_syrkx_herkx_restricted_kernelIlfLi16ELi32ELi8ELi1ELin1ELb0ELc67ELc85EKPKfKPfEviT_PT9_S5_lS7_S5_lPT10_S5_li.uses_vcc, 1
	.set _ZL37rocblas_syrkx_herkx_restricted_kernelIlfLi16ELi32ELi8ELi1ELin1ELb0ELc67ELc85EKPKfKPfEviT_PT9_S5_lS7_S5_lPT10_S5_li.uses_flat_scratch, 0
	.set _ZL37rocblas_syrkx_herkx_restricted_kernelIlfLi16ELi32ELi8ELi1ELin1ELb0ELc67ELc85EKPKfKPfEviT_PT9_S5_lS7_S5_lPT10_S5_li.has_dyn_sized_stack, 0
	.set _ZL37rocblas_syrkx_herkx_restricted_kernelIlfLi16ELi32ELi8ELi1ELin1ELb0ELc67ELc85EKPKfKPfEviT_PT9_S5_lS7_S5_lPT10_S5_li.has_recursion, 0
	.set _ZL37rocblas_syrkx_herkx_restricted_kernelIlfLi16ELi32ELi8ELi1ELin1ELb0ELc67ELc85EKPKfKPfEviT_PT9_S5_lS7_S5_lPT10_S5_li.has_indirect_call, 0
	.section	.AMDGPU.csdata,"",@progbits
; Kernel info:
; codeLenInByte = 1188
; TotalNumSgprs: 28
; NumVgprs: 34
; ScratchSize: 0
; MemoryBound: 0
; FloatMode: 240
; IeeeMode: 1
; LDSByteSize: 2048 bytes/workgroup (compile time only)
; SGPRBlocks: 3
; VGPRBlocks: 8
; NumSGPRsForWavesPerEU: 28
; NumVGPRsForWavesPerEU: 34
; Occupancy: 7
; WaveLimiterHint : 1
; COMPUTE_PGM_RSRC2:SCRATCH_EN: 0
; COMPUTE_PGM_RSRC2:USER_SGPR: 6
; COMPUTE_PGM_RSRC2:TRAP_HANDLER: 0
; COMPUTE_PGM_RSRC2:TGID_X_EN: 1
; COMPUTE_PGM_RSRC2:TGID_Y_EN: 1
; COMPUTE_PGM_RSRC2:TGID_Z_EN: 1
; COMPUTE_PGM_RSRC2:TIDIG_COMP_CNT: 1
	.section	.text._ZL37rocblas_syrkx_herkx_restricted_kernelIlfLi16ELi32ELi8ELi1ELin1ELb0ELc78ELc85EKPKfKPfEviT_PT9_S5_lS7_S5_lPT10_S5_li,"axG",@progbits,_ZL37rocblas_syrkx_herkx_restricted_kernelIlfLi16ELi32ELi8ELi1ELin1ELb0ELc78ELc85EKPKfKPfEviT_PT9_S5_lS7_S5_lPT10_S5_li,comdat
	.globl	_ZL37rocblas_syrkx_herkx_restricted_kernelIlfLi16ELi32ELi8ELi1ELin1ELb0ELc78ELc85EKPKfKPfEviT_PT9_S5_lS7_S5_lPT10_S5_li ; -- Begin function _ZL37rocblas_syrkx_herkx_restricted_kernelIlfLi16ELi32ELi8ELi1ELin1ELb0ELc78ELc85EKPKfKPfEviT_PT9_S5_lS7_S5_lPT10_S5_li
	.p2align	8
	.type	_ZL37rocblas_syrkx_herkx_restricted_kernelIlfLi16ELi32ELi8ELi1ELin1ELb0ELc78ELc85EKPKfKPfEviT_PT9_S5_lS7_S5_lPT10_S5_li,@function
_ZL37rocblas_syrkx_herkx_restricted_kernelIlfLi16ELi32ELi8ELi1ELin1ELb0ELc78ELc85EKPKfKPfEviT_PT9_S5_lS7_S5_lPT10_S5_li: ; @_ZL37rocblas_syrkx_herkx_restricted_kernelIlfLi16ELi32ELi8ELi1ELin1ELb0ELc78ELc85EKPKfKPfEviT_PT9_S5_lS7_S5_lPT10_S5_li
; %bb.0:
	s_load_dwordx4 s[0:3], s[4:5], 0x40
	s_load_dwordx4 s[12:15], s[4:5], 0x8
	s_mov_b32 s9, 0
	s_lshl_b64 s[18:19], s[8:9], 3
	s_waitcnt lgkmcnt(0)
	s_add_u32 s0, s0, s18
	s_addc_u32 s1, s1, s19
	s_load_dwordx2 s[16:17], s[0:1], 0x0
	v_cmp_lt_i64_e64 s[0:1], s[12:13], 1
	s_lshl_b32 s20, s6, 5
	s_lshl_b32 s21, s7, 5
	s_and_b64 vcc, exec, s[0:1]
	s_cbranch_vccnz .LBB1399_3
; %bb.1:
	s_load_dwordx2 s[0:1], s[4:5], 0x18
	s_load_dwordx4 s[8:11], s[4:5], 0x28
	v_lshl_add_u32 v7, v1, 4, v0
	v_lshrrev_b32_e32 v8, 3, v7
	v_add_u32_e32 v2, s21, v8
	v_and_b32_e32 v6, 7, v0
	v_ashrrev_i32_e32 v3, 31, v2
	s_waitcnt lgkmcnt(0)
	v_mad_u64_u32 v[4:5], s[6:7], s10, v6, v[2:3]
	s_add_u32 s6, s14, s18
	s_addc_u32 s7, s15, s19
	v_mov_b32_e32 v2, v5
	v_mad_u64_u32 v[2:3], s[14:15], s11, v6, v[2:3]
	v_lshrrev_b32_e32 v9, 5, v7
	v_lshlrev_b32_e32 v6, 2, v6
	v_mov_b32_e32 v5, v2
	v_and_b32_e32 v2, 31, v7
	v_lshlrev_b32_e32 v3, 2, v2
	v_add_u32_e32 v2, s20, v2
	v_lshl_or_b32 v10, v9, 7, v3
	v_ashrrev_i32_e32 v3, 31, v2
	v_mad_u64_u32 v[2:3], s[14:15], s0, v9, v[2:3]
	v_lshl_or_b32 v6, v8, 5, v6
	v_add_u32_e32 v11, 0x400, v6
	v_mad_u64_u32 v[6:7], s[14:15], s1, v9, v[3:4]
	s_load_dwordx2 s[6:7], s[6:7], 0x0
	s_add_u32 s8, s8, s18
	s_addc_u32 s9, s9, s19
	v_mov_b32_e32 v3, 0x400
	s_load_dwordx2 s[8:9], s[8:9], 0x0
	v_lshl_add_u32 v13, v1, 5, v3
	v_mov_b32_e32 v3, v6
	v_lshlrev_b64 v[2:3], 2, v[2:3]
	s_waitcnt lgkmcnt(0)
	v_mov_b32_e32 v6, s7
	v_add_co_u32_e32 v2, vcc, s6, v2
	v_lshlrev_b64 v[4:5], 2, v[4:5]
	v_addc_co_u32_e32 v3, vcc, v6, v3, vcc
	v_mov_b32_e32 v6, s9
	v_add_co_u32_e32 v4, vcc, s8, v4
	v_lshlrev_b32_e32 v12, 2, v0
	s_lshl_b64 s[6:7], s[0:1], 5
	v_addc_co_u32_e32 v5, vcc, v6, v5, vcc
	s_lshl_b64 s[8:9], s[10:11], 5
	v_mov_b32_e32 v6, 0
	s_mov_b64 s[10:11], 0
	v_mov_b32_e32 v7, 0
	v_mov_b32_e32 v8, 0
	;; [unrolled: 1-line block ×3, first 2 shown]
.LBB1399_2:                             ; =>This Inner Loop Header: Depth=1
	flat_load_dword v14, v[2:3]
	s_add_u32 s10, s10, 8
	s_addc_u32 s11, s11, 0
	v_add_co_u32_e64 v2, s[0:1], s6, v2
	s_waitcnt vmcnt(0) lgkmcnt(0)
	ds_write_b32 v10, v14
	flat_load_dword v16, v[4:5]
	v_mov_b32_e32 v15, s11
	v_mov_b32_e32 v14, s10
	v_cmp_le_u64_e32 vcc, s[12:13], v[14:15]
	s_and_b64 vcc, exec, vcc
	s_waitcnt vmcnt(0) lgkmcnt(0)
	ds_write_b32 v11, v16
	s_waitcnt lgkmcnt(0)
	s_barrier
	ds_read2_b32 v[26:27], v12 offset1:16
	ds_read_b128 v[14:17], v13
	ds_read2_b32 v[28:29], v12 offset0:32 offset1:48
	ds_read2_b32 v[30:31], v12 offset0:64 offset1:80
	;; [unrolled: 1-line block ×3, first 2 shown]
	ds_read_b128 v[18:21], v13 offset:16
	s_waitcnt lgkmcnt(4)
	v_fmac_f32_e32 v9, v26, v14
	v_fmac_f32_e32 v8, v27, v14
	s_waitcnt lgkmcnt(3)
	v_fmac_f32_e32 v9, v28, v15
	v_fmac_f32_e32 v8, v29, v15
	;; [unrolled: 3-line block ×4, first 2 shown]
	ds_read_b128 v[14:17], v13 offset:512
	ds_read_b128 v[22:25], v13 offset:528
	s_waitcnt lgkmcnt(1)
	v_fmac_f32_e32 v7, v26, v14
	v_fmac_f32_e32 v6, v27, v14
	v_mov_b32_e32 v14, s7
	v_addc_co_u32_e64 v3, s[0:1], v3, v14, s[0:1]
	v_mov_b32_e32 v14, s9
	v_add_co_u32_e64 v4, s[0:1], s8, v4
	v_fmac_f32_e32 v7, v28, v15
	v_fmac_f32_e32 v6, v29, v15
	v_addc_co_u32_e64 v5, s[0:1], v5, v14, s[0:1]
	ds_read2_b32 v[14:15], v12 offset0:128 offset1:144
	v_fmac_f32_e32 v7, v30, v16
	v_fmac_f32_e32 v6, v31, v16
	;; [unrolled: 1-line block ×4, first 2 shown]
	ds_read2_b32 v[16:17], v12 offset0:160 offset1:176
	ds_read2_b32 v[26:27], v12 offset0:192 offset1:208
	;; [unrolled: 1-line block ×3, first 2 shown]
	s_waitcnt lgkmcnt(3)
	v_fmac_f32_e32 v9, v14, v18
	v_fmac_f32_e32 v8, v15, v18
	v_fmac_f32_e32 v7, v14, v22
	v_fmac_f32_e32 v6, v15, v22
	s_waitcnt lgkmcnt(2)
	v_fmac_f32_e32 v9, v16, v19
	v_fmac_f32_e32 v8, v17, v19
	v_fmac_f32_e32 v7, v16, v23
	v_fmac_f32_e32 v6, v17, v23
	;; [unrolled: 5-line block ×4, first 2 shown]
	s_barrier
	s_cbranch_vccz .LBB1399_2
	s_branch .LBB1399_4
.LBB1399_3:
	v_mov_b32_e32 v9, 0
	v_mov_b32_e32 v8, 0
	v_mov_b32_e32 v7, 0
	v_mov_b32_e32 v6, 0
.LBB1399_4:
	v_add_u32_e32 v4, s21, v1
	v_ashrrev_i32_e32 v1, 31, v4
	v_mul_lo_u32 v3, s2, v1
	v_mul_lo_u32 v5, s3, v4
	v_mad_u64_u32 v[1:2], s[0:1], s2, v4, 0
	s_load_dword s6, s[4:5], 0x0
	v_add_u32_e32 v0, s20, v0
	v_add3_u32 v2, v2, v3, v5
	v_lshlrev_b64 v[1:2], 2, v[1:2]
	s_waitcnt lgkmcnt(0)
	v_mov_b32_e32 v3, s17
	v_add_co_u32_e64 v5, s[0:1], s16, v1
	v_addc_co_u32_e64 v10, s[0:1], v3, v2, s[0:1]
	v_cmp_gt_i32_e32 vcc, s6, v4
	v_cmp_le_i32_e64 s[0:1], v0, v4
	s_and_b64 s[0:1], vcc, s[0:1]
	s_and_saveexec_b64 s[4:5], s[0:1]
	s_cbranch_execz .LBB1399_6
; %bb.5:
	v_ashrrev_i32_e32 v1, 31, v0
	v_lshlrev_b64 v[1:2], 2, v[0:1]
	v_add_co_u32_e64 v1, s[0:1], v5, v1
	v_addc_co_u32_e64 v2, s[0:1], v10, v2, s[0:1]
	flat_load_dword v3, v[1:2]
	s_waitcnt vmcnt(0) lgkmcnt(0)
	v_sub_f32_e32 v3, v9, v3
	flat_store_dword v[1:2], v3
.LBB1399_6:
	s_or_b64 exec, exec, s[4:5]
	v_add_u32_e32 v2, 16, v0
	v_cmp_le_i32_e64 s[0:1], v2, v4
	s_and_b64 s[4:5], vcc, s[0:1]
	s_and_saveexec_b64 s[0:1], s[4:5]
	s_cbranch_execz .LBB1399_8
; %bb.7:
	v_ashrrev_i32_e32 v3, 31, v2
	v_lshlrev_b64 v[11:12], 2, v[2:3]
	v_add_co_u32_e32 v9, vcc, v5, v11
	v_addc_co_u32_e32 v10, vcc, v10, v12, vcc
	flat_load_dword v1, v[9:10]
	s_waitcnt vmcnt(0) lgkmcnt(0)
	v_sub_f32_e32 v1, v8, v1
	flat_store_dword v[9:10], v1
.LBB1399_8:
	s_or_b64 exec, exec, s[0:1]
	v_add_u32_e32 v3, 16, v4
	v_ashrrev_i32_e32 v1, 31, v3
	v_mul_lo_u32 v1, s2, v1
	v_mul_lo_u32 v8, s3, v3
	v_mad_u64_u32 v[4:5], s[0:1], s2, v3, 0
	v_cmp_gt_i32_e32 vcc, s6, v3
	v_add3_u32 v5, v5, v1, v8
	v_lshlrev_b64 v[4:5], 2, v[4:5]
	v_mov_b32_e32 v1, s17
	v_add_co_u32_e64 v4, s[0:1], s16, v4
	v_addc_co_u32_e64 v5, s[0:1], v1, v5, s[0:1]
	v_cmp_le_i32_e64 s[0:1], v0, v3
	s_and_b64 s[0:1], vcc, s[0:1]
	s_and_saveexec_b64 s[2:3], s[0:1]
	s_cbranch_execz .LBB1399_10
; %bb.9:
	v_ashrrev_i32_e32 v1, 31, v0
	v_lshlrev_b64 v[0:1], 2, v[0:1]
	v_add_co_u32_e64 v0, s[0:1], v4, v0
	v_addc_co_u32_e64 v1, s[0:1], v5, v1, s[0:1]
	flat_load_dword v8, v[0:1]
	s_waitcnt vmcnt(0) lgkmcnt(0)
	v_sub_f32_e32 v7, v7, v8
	flat_store_dword v[0:1], v7
.LBB1399_10:
	s_or_b64 exec, exec, s[2:3]
	v_cmp_le_i32_e64 s[0:1], v2, v3
	s_and_b64 s[0:1], vcc, s[0:1]
	s_and_saveexec_b64 s[2:3], s[0:1]
	s_cbranch_execz .LBB1399_12
; %bb.11:
	v_ashrrev_i32_e32 v3, 31, v2
	v_lshlrev_b64 v[0:1], 2, v[2:3]
	v_add_co_u32_e32 v0, vcc, v4, v0
	v_addc_co_u32_e32 v1, vcc, v5, v1, vcc
	flat_load_dword v2, v[0:1]
	s_waitcnt vmcnt(0) lgkmcnt(0)
	v_sub_f32_e32 v2, v6, v2
	flat_store_dword v[0:1], v2
.LBB1399_12:
	s_endpgm
	.section	.rodata,"a",@progbits
	.p2align	6, 0x0
	.amdhsa_kernel _ZL37rocblas_syrkx_herkx_restricted_kernelIlfLi16ELi32ELi8ELi1ELin1ELb0ELc78ELc85EKPKfKPfEviT_PT9_S5_lS7_S5_lPT10_S5_li
		.amdhsa_group_segment_fixed_size 2048
		.amdhsa_private_segment_fixed_size 0
		.amdhsa_kernarg_size 92
		.amdhsa_user_sgpr_count 6
		.amdhsa_user_sgpr_private_segment_buffer 1
		.amdhsa_user_sgpr_dispatch_ptr 0
		.amdhsa_user_sgpr_queue_ptr 0
		.amdhsa_user_sgpr_kernarg_segment_ptr 1
		.amdhsa_user_sgpr_dispatch_id 0
		.amdhsa_user_sgpr_flat_scratch_init 0
		.amdhsa_user_sgpr_private_segment_size 0
		.amdhsa_uses_dynamic_stack 0
		.amdhsa_system_sgpr_private_segment_wavefront_offset 0
		.amdhsa_system_sgpr_workgroup_id_x 1
		.amdhsa_system_sgpr_workgroup_id_y 1
		.amdhsa_system_sgpr_workgroup_id_z 1
		.amdhsa_system_sgpr_workgroup_info 0
		.amdhsa_system_vgpr_workitem_id 1
		.amdhsa_next_free_vgpr 34
		.amdhsa_next_free_sgpr 22
		.amdhsa_reserve_vcc 1
		.amdhsa_reserve_flat_scratch 0
		.amdhsa_float_round_mode_32 0
		.amdhsa_float_round_mode_16_64 0
		.amdhsa_float_denorm_mode_32 3
		.amdhsa_float_denorm_mode_16_64 3
		.amdhsa_dx10_clamp 1
		.amdhsa_ieee_mode 1
		.amdhsa_fp16_overflow 0
		.amdhsa_exception_fp_ieee_invalid_op 0
		.amdhsa_exception_fp_denorm_src 0
		.amdhsa_exception_fp_ieee_div_zero 0
		.amdhsa_exception_fp_ieee_overflow 0
		.amdhsa_exception_fp_ieee_underflow 0
		.amdhsa_exception_fp_ieee_inexact 0
		.amdhsa_exception_int_div_zero 0
	.end_amdhsa_kernel
	.section	.text._ZL37rocblas_syrkx_herkx_restricted_kernelIlfLi16ELi32ELi8ELi1ELin1ELb0ELc78ELc85EKPKfKPfEviT_PT9_S5_lS7_S5_lPT10_S5_li,"axG",@progbits,_ZL37rocblas_syrkx_herkx_restricted_kernelIlfLi16ELi32ELi8ELi1ELin1ELb0ELc78ELc85EKPKfKPfEviT_PT9_S5_lS7_S5_lPT10_S5_li,comdat
.Lfunc_end1399:
	.size	_ZL37rocblas_syrkx_herkx_restricted_kernelIlfLi16ELi32ELi8ELi1ELin1ELb0ELc78ELc85EKPKfKPfEviT_PT9_S5_lS7_S5_lPT10_S5_li, .Lfunc_end1399-_ZL37rocblas_syrkx_herkx_restricted_kernelIlfLi16ELi32ELi8ELi1ELin1ELb0ELc78ELc85EKPKfKPfEviT_PT9_S5_lS7_S5_lPT10_S5_li
                                        ; -- End function
	.set _ZL37rocblas_syrkx_herkx_restricted_kernelIlfLi16ELi32ELi8ELi1ELin1ELb0ELc78ELc85EKPKfKPfEviT_PT9_S5_lS7_S5_lPT10_S5_li.num_vgpr, 34
	.set _ZL37rocblas_syrkx_herkx_restricted_kernelIlfLi16ELi32ELi8ELi1ELin1ELb0ELc78ELc85EKPKfKPfEviT_PT9_S5_lS7_S5_lPT10_S5_li.num_agpr, 0
	.set _ZL37rocblas_syrkx_herkx_restricted_kernelIlfLi16ELi32ELi8ELi1ELin1ELb0ELc78ELc85EKPKfKPfEviT_PT9_S5_lS7_S5_lPT10_S5_li.numbered_sgpr, 22
	.set _ZL37rocblas_syrkx_herkx_restricted_kernelIlfLi16ELi32ELi8ELi1ELin1ELb0ELc78ELc85EKPKfKPfEviT_PT9_S5_lS7_S5_lPT10_S5_li.num_named_barrier, 0
	.set _ZL37rocblas_syrkx_herkx_restricted_kernelIlfLi16ELi32ELi8ELi1ELin1ELb0ELc78ELc85EKPKfKPfEviT_PT9_S5_lS7_S5_lPT10_S5_li.private_seg_size, 0
	.set _ZL37rocblas_syrkx_herkx_restricted_kernelIlfLi16ELi32ELi8ELi1ELin1ELb0ELc78ELc85EKPKfKPfEviT_PT9_S5_lS7_S5_lPT10_S5_li.uses_vcc, 1
	.set _ZL37rocblas_syrkx_herkx_restricted_kernelIlfLi16ELi32ELi8ELi1ELin1ELb0ELc78ELc85EKPKfKPfEviT_PT9_S5_lS7_S5_lPT10_S5_li.uses_flat_scratch, 0
	.set _ZL37rocblas_syrkx_herkx_restricted_kernelIlfLi16ELi32ELi8ELi1ELin1ELb0ELc78ELc85EKPKfKPfEviT_PT9_S5_lS7_S5_lPT10_S5_li.has_dyn_sized_stack, 0
	.set _ZL37rocblas_syrkx_herkx_restricted_kernelIlfLi16ELi32ELi8ELi1ELin1ELb0ELc78ELc85EKPKfKPfEviT_PT9_S5_lS7_S5_lPT10_S5_li.has_recursion, 0
	.set _ZL37rocblas_syrkx_herkx_restricted_kernelIlfLi16ELi32ELi8ELi1ELin1ELb0ELc78ELc85EKPKfKPfEviT_PT9_S5_lS7_S5_lPT10_S5_li.has_indirect_call, 0
	.section	.AMDGPU.csdata,"",@progbits
; Kernel info:
; codeLenInByte = 1180
; TotalNumSgprs: 26
; NumVgprs: 34
; ScratchSize: 0
; MemoryBound: 0
; FloatMode: 240
; IeeeMode: 1
; LDSByteSize: 2048 bytes/workgroup (compile time only)
; SGPRBlocks: 3
; VGPRBlocks: 8
; NumSGPRsForWavesPerEU: 26
; NumVGPRsForWavesPerEU: 34
; Occupancy: 7
; WaveLimiterHint : 1
; COMPUTE_PGM_RSRC2:SCRATCH_EN: 0
; COMPUTE_PGM_RSRC2:USER_SGPR: 6
; COMPUTE_PGM_RSRC2:TRAP_HANDLER: 0
; COMPUTE_PGM_RSRC2:TGID_X_EN: 1
; COMPUTE_PGM_RSRC2:TGID_Y_EN: 1
; COMPUTE_PGM_RSRC2:TGID_Z_EN: 1
; COMPUTE_PGM_RSRC2:TIDIG_COMP_CNT: 1
	.section	.text._ZL37rocblas_syrkx_herkx_restricted_kernelIlfLi16ELi32ELi8ELi1ELi0ELb0ELc84ELc76EKPKfKPfEviT_PT9_S5_lS7_S5_lPT10_S5_li,"axG",@progbits,_ZL37rocblas_syrkx_herkx_restricted_kernelIlfLi16ELi32ELi8ELi1ELi0ELb0ELc84ELc76EKPKfKPfEviT_PT9_S5_lS7_S5_lPT10_S5_li,comdat
	.globl	_ZL37rocblas_syrkx_herkx_restricted_kernelIlfLi16ELi32ELi8ELi1ELi0ELb0ELc84ELc76EKPKfKPfEviT_PT9_S5_lS7_S5_lPT10_S5_li ; -- Begin function _ZL37rocblas_syrkx_herkx_restricted_kernelIlfLi16ELi32ELi8ELi1ELi0ELb0ELc84ELc76EKPKfKPfEviT_PT9_S5_lS7_S5_lPT10_S5_li
	.p2align	8
	.type	_ZL37rocblas_syrkx_herkx_restricted_kernelIlfLi16ELi32ELi8ELi1ELi0ELb0ELc84ELc76EKPKfKPfEviT_PT9_S5_lS7_S5_lPT10_S5_li,@function
_ZL37rocblas_syrkx_herkx_restricted_kernelIlfLi16ELi32ELi8ELi1ELi0ELb0ELc84ELc76EKPKfKPfEviT_PT9_S5_lS7_S5_lPT10_S5_li: ; @_ZL37rocblas_syrkx_herkx_restricted_kernelIlfLi16ELi32ELi8ELi1ELi0ELb0ELc84ELc76EKPKfKPfEviT_PT9_S5_lS7_S5_lPT10_S5_li
; %bb.0:
	s_load_dwordx4 s[12:15], s[4:5], 0x40
	s_load_dwordx4 s[16:19], s[4:5], 0x8
	s_mov_b32 s9, 0
	s_lshl_b64 s[0:1], s[8:9], 3
	s_waitcnt lgkmcnt(0)
	s_add_u32 s2, s12, s0
	s_addc_u32 s3, s13, s1
	s_load_dwordx2 s[8:9], s[2:3], 0x0
	v_cmp_lt_i64_e64 s[2:3], s[16:17], 1
	s_lshl_b32 s6, s6, 5
	s_lshl_b32 s7, s7, 5
	s_and_b64 vcc, exec, s[2:3]
	s_cbranch_vccnz .LBB1400_3
; %bb.1:
	s_load_dwordx2 s[2:3], s[4:5], 0x18
	s_load_dwordx4 s[20:23], s[4:5], 0x28
	v_lshl_add_u32 v4, v1, 4, v0
	v_lshrrev_b32_e32 v8, 3, v4
	v_add_u32_e32 v5, s7, v8
	v_ashrrev_i32_e32 v6, 31, v5
	v_and_b32_e32 v2, 7, v0
	v_mov_b32_e32 v3, 0
	s_waitcnt lgkmcnt(0)
	v_mul_lo_u32 v9, s22, v6
	v_mul_lo_u32 v10, s23, v5
	v_mad_u64_u32 v[6:7], s[12:13], s22, v5, v[2:3]
	v_lshlrev_b32_e32 v2, 2, v2
	v_lshl_or_b32 v2, v8, 5, v2
	v_add3_u32 v7, v10, v7, v9
	v_and_b32_e32 v9, 31, v4
	v_add_u32_e32 v11, 0x400, v2
	v_add_u32_e32 v2, s6, v9
	v_lshrrev_b32_e32 v4, 5, v4
	v_mov_b32_e32 v5, v3
	v_lshlrev_b32_e32 v10, 2, v9
	v_ashrrev_i32_e32 v8, 31, v2
	s_add_u32 s10, s18, s0
	v_lshl_or_b32 v10, v4, 7, v10
	v_mul_lo_u32 v8, s2, v8
	v_mad_u64_u32 v[4:5], s[12:13], s2, v2, v[4:5]
	v_mul_lo_u32 v2, s3, v2
	s_addc_u32 s11, s19, s1
	s_load_dwordx2 s[10:11], s[10:11], 0x0
	s_add_u32 s0, s20, s0
	s_addc_u32 s1, s21, s1
	s_load_dwordx2 s[0:1], s[0:1], 0x0
	v_add3_u32 v5, v2, v5, v8
	v_lshlrev_b64 v[4:5], 2, v[4:5]
	s_waitcnt lgkmcnt(0)
	v_mov_b32_e32 v2, s11
	v_add_co_u32_e32 v4, vcc, s10, v4
	v_lshlrev_b64 v[6:7], 2, v[6:7]
	v_addc_co_u32_e32 v5, vcc, v2, v5, vcc
	v_mov_b32_e32 v9, 0x400
	v_mov_b32_e32 v2, s1
	v_add_co_u32_e32 v6, vcc, s0, v6
	v_lshlrev_b32_e32 v12, 2, v0
	v_lshl_add_u32 v13, v1, 5, v9
	v_addc_co_u32_e32 v7, vcc, v2, v7, vcc
	s_mov_b64 s[2:3], 0
	v_mov_b32_e32 v2, v3
	v_mov_b32_e32 v8, v3
	;; [unrolled: 1-line block ×3, first 2 shown]
.LBB1400_2:                             ; =>This Inner Loop Header: Depth=1
	flat_load_dword v14, v[4:5]
	s_add_u32 s2, s2, 8
	s_addc_u32 s3, s3, 0
	v_add_co_u32_e64 v4, s[0:1], 32, v4
	v_addc_co_u32_e64 v5, s[0:1], 0, v5, s[0:1]
	s_waitcnt vmcnt(0) lgkmcnt(0)
	ds_write_b32 v10, v14
	flat_load_dword v14, v[6:7]
	v_add_co_u32_e64 v6, s[0:1], 32, v6
	v_addc_co_u32_e64 v7, s[0:1], 0, v7, s[0:1]
	s_waitcnt vmcnt(0) lgkmcnt(0)
	ds_write_b32 v11, v14
	s_waitcnt lgkmcnt(0)
	s_barrier
	ds_read2_b32 v[26:27], v12 offset1:16
	ds_read_b128 v[14:17], v13
	ds_read2_b32 v[28:29], v12 offset0:32 offset1:48
	ds_read2_b32 v[30:31], v12 offset0:64 offset1:80
	ds_read_b128 v[18:21], v13 offset:16
	ds_read2_b32 v[32:33], v12 offset0:96 offset1:112
	s_waitcnt lgkmcnt(4)
	v_fmac_f32_e32 v9, v26, v14
	v_fmac_f32_e32 v8, v27, v14
	s_waitcnt lgkmcnt(3)
	v_fmac_f32_e32 v9, v28, v15
	v_fmac_f32_e32 v8, v29, v15
	v_mov_b32_e32 v15, s3
	s_waitcnt lgkmcnt(2)
	v_fmac_f32_e32 v9, v30, v16
	v_fmac_f32_e32 v8, v31, v16
	v_mov_b32_e32 v14, s2
	s_waitcnt lgkmcnt(0)
	v_fmac_f32_e32 v9, v32, v17
	v_fmac_f32_e32 v8, v33, v17
	v_cmp_le_u64_e32 vcc, s[16:17], v[14:15]
	ds_read_b128 v[14:17], v13 offset:512
	ds_read_b128 v[22:25], v13 offset:528
	s_and_b64 vcc, exec, vcc
	s_waitcnt lgkmcnt(1)
	v_fmac_f32_e32 v2, v26, v14
	v_fmac_f32_e32 v3, v27, v14
	v_fmac_f32_e32 v2, v28, v15
	v_fmac_f32_e32 v3, v29, v15
	v_fmac_f32_e32 v2, v30, v16
	v_fmac_f32_e32 v3, v31, v16
	v_fmac_f32_e32 v2, v32, v17
	v_fmac_f32_e32 v3, v33, v17
	ds_read2_b32 v[14:15], v12 offset0:128 offset1:144
	ds_read2_b32 v[16:17], v12 offset0:160 offset1:176
	;; [unrolled: 1-line block ×3, first 2 shown]
	s_waitcnt lgkmcnt(2)
	v_fmac_f32_e32 v9, v14, v18
	v_fmac_f32_e32 v8, v15, v18
	v_fmac_f32_e32 v2, v14, v22
	v_fmac_f32_e32 v3, v15, v22
	ds_read2_b32 v[14:15], v12 offset0:224 offset1:240
	s_waitcnt lgkmcnt(2)
	v_fmac_f32_e32 v9, v16, v19
	v_fmac_f32_e32 v8, v17, v19
	v_fmac_f32_e32 v2, v16, v23
	v_fmac_f32_e32 v3, v17, v23
	s_waitcnt lgkmcnt(1)
	v_fmac_f32_e32 v9, v26, v20
	v_fmac_f32_e32 v8, v27, v20
	v_fmac_f32_e32 v2, v26, v24
	v_fmac_f32_e32 v3, v27, v24
	;; [unrolled: 5-line block ×3, first 2 shown]
	s_barrier
	s_cbranch_vccz .LBB1400_2
	s_branch .LBB1400_4
.LBB1400_3:
	v_mov_b32_e32 v9, 0
	v_mov_b32_e32 v8, 0
	;; [unrolled: 1-line block ×4, first 2 shown]
.LBB1400_4:
	v_add_u32_e32 v6, s7, v1
	v_ashrrev_i32_e32 v1, 31, v6
	v_mul_lo_u32 v1, s14, v1
	v_mul_lo_u32 v7, s15, v6
	v_mad_u64_u32 v[4:5], s[0:1], s14, v6, 0
	s_load_dword s4, s[4:5], 0x0
	v_add_u32_e32 v0, s6, v0
	v_add3_u32 v5, v5, v1, v7
	v_lshlrev_b64 v[4:5], 2, v[4:5]
	s_waitcnt lgkmcnt(0)
	v_mov_b32_e32 v1, s9
	v_add_co_u32_e32 v7, vcc, s8, v4
	v_addc_co_u32_e32 v10, vcc, v1, v5, vcc
	v_cmp_le_i32_e64 s[0:1], v6, v0
	v_cmp_gt_i32_e32 vcc, s4, v0
	s_and_b64 s[0:1], s[0:1], vcc
	s_and_saveexec_b64 s[2:3], s[0:1]
	s_cbranch_execz .LBB1400_6
; %bb.5:
	v_ashrrev_i32_e32 v1, 31, v0
	v_lshlrev_b64 v[4:5], 2, v[0:1]
	v_add_co_u32_e64 v4, s[0:1], v7, v4
	v_addc_co_u32_e64 v5, s[0:1], v10, v5, s[0:1]
	flat_store_dword v[4:5], v9
.LBB1400_6:
	s_or_b64 exec, exec, s[2:3]
	v_add_u32_e32 v4, 16, v0
	v_cmp_le_i32_e64 s[2:3], v6, v4
	v_cmp_gt_i32_e64 s[0:1], s4, v4
	s_and_b64 s[2:3], s[2:3], s[0:1]
	s_and_saveexec_b64 s[4:5], s[2:3]
	s_cbranch_execz .LBB1400_8
; %bb.7:
	v_ashrrev_i32_e32 v5, 31, v4
	v_lshlrev_b64 v[11:12], 2, v[4:5]
	v_add_co_u32_e64 v9, s[2:3], v7, v11
	v_addc_co_u32_e64 v10, s[2:3], v10, v12, s[2:3]
	flat_store_dword v[9:10], v8
.LBB1400_8:
	s_or_b64 exec, exec, s[4:5]
	v_add_u32_e32 v5, 16, v6
	v_ashrrev_i32_e32 v1, 31, v5
	v_mul_lo_u32 v8, s15, v5
	v_mad_u64_u32 v[6:7], s[2:3], s14, v5, 0
	v_mul_lo_u32 v1, s14, v1
	v_add3_u32 v7, v7, v1, v8
	v_lshlrev_b64 v[6:7], 2, v[6:7]
	v_mov_b32_e32 v1, s9
	v_add_co_u32_e64 v6, s[2:3], s8, v6
	v_addc_co_u32_e64 v7, s[2:3], v1, v7, s[2:3]
	v_cmp_le_i32_e64 s[2:3], v5, v0
	s_and_b64 s[4:5], s[2:3], vcc
	s_and_saveexec_b64 s[2:3], s[4:5]
	s_cbranch_execz .LBB1400_10
; %bb.9:
	v_ashrrev_i32_e32 v1, 31, v0
	v_lshlrev_b64 v[0:1], 2, v[0:1]
	v_add_co_u32_e32 v0, vcc, v6, v0
	v_addc_co_u32_e32 v1, vcc, v7, v1, vcc
	flat_store_dword v[0:1], v2
.LBB1400_10:
	s_or_b64 exec, exec, s[2:3]
	v_cmp_le_i32_e32 vcc, v5, v4
	s_and_b64 s[0:1], vcc, s[0:1]
	s_and_saveexec_b64 s[2:3], s[0:1]
	s_cbranch_execz .LBB1400_12
; %bb.11:
	v_ashrrev_i32_e32 v5, 31, v4
	v_lshlrev_b64 v[0:1], 2, v[4:5]
	v_add_co_u32_e32 v0, vcc, v6, v0
	v_addc_co_u32_e32 v1, vcc, v7, v1, vcc
	flat_store_dword v[0:1], v3
.LBB1400_12:
	s_endpgm
	.section	.rodata,"a",@progbits
	.p2align	6, 0x0
	.amdhsa_kernel _ZL37rocblas_syrkx_herkx_restricted_kernelIlfLi16ELi32ELi8ELi1ELi0ELb0ELc84ELc76EKPKfKPfEviT_PT9_S5_lS7_S5_lPT10_S5_li
		.amdhsa_group_segment_fixed_size 2048
		.amdhsa_private_segment_fixed_size 0
		.amdhsa_kernarg_size 92
		.amdhsa_user_sgpr_count 6
		.amdhsa_user_sgpr_private_segment_buffer 1
		.amdhsa_user_sgpr_dispatch_ptr 0
		.amdhsa_user_sgpr_queue_ptr 0
		.amdhsa_user_sgpr_kernarg_segment_ptr 1
		.amdhsa_user_sgpr_dispatch_id 0
		.amdhsa_user_sgpr_flat_scratch_init 0
		.amdhsa_user_sgpr_private_segment_size 0
		.amdhsa_uses_dynamic_stack 0
		.amdhsa_system_sgpr_private_segment_wavefront_offset 0
		.amdhsa_system_sgpr_workgroup_id_x 1
		.amdhsa_system_sgpr_workgroup_id_y 1
		.amdhsa_system_sgpr_workgroup_id_z 1
		.amdhsa_system_sgpr_workgroup_info 0
		.amdhsa_system_vgpr_workitem_id 1
		.amdhsa_next_free_vgpr 34
		.amdhsa_next_free_sgpr 24
		.amdhsa_reserve_vcc 1
		.amdhsa_reserve_flat_scratch 0
		.amdhsa_float_round_mode_32 0
		.amdhsa_float_round_mode_16_64 0
		.amdhsa_float_denorm_mode_32 3
		.amdhsa_float_denorm_mode_16_64 3
		.amdhsa_dx10_clamp 1
		.amdhsa_ieee_mode 1
		.amdhsa_fp16_overflow 0
		.amdhsa_exception_fp_ieee_invalid_op 0
		.amdhsa_exception_fp_denorm_src 0
		.amdhsa_exception_fp_ieee_div_zero 0
		.amdhsa_exception_fp_ieee_overflow 0
		.amdhsa_exception_fp_ieee_underflow 0
		.amdhsa_exception_fp_ieee_inexact 0
		.amdhsa_exception_int_div_zero 0
	.end_amdhsa_kernel
	.section	.text._ZL37rocblas_syrkx_herkx_restricted_kernelIlfLi16ELi32ELi8ELi1ELi0ELb0ELc84ELc76EKPKfKPfEviT_PT9_S5_lS7_S5_lPT10_S5_li,"axG",@progbits,_ZL37rocblas_syrkx_herkx_restricted_kernelIlfLi16ELi32ELi8ELi1ELi0ELb0ELc84ELc76EKPKfKPfEviT_PT9_S5_lS7_S5_lPT10_S5_li,comdat
.Lfunc_end1400:
	.size	_ZL37rocblas_syrkx_herkx_restricted_kernelIlfLi16ELi32ELi8ELi1ELi0ELb0ELc84ELc76EKPKfKPfEviT_PT9_S5_lS7_S5_lPT10_S5_li, .Lfunc_end1400-_ZL37rocblas_syrkx_herkx_restricted_kernelIlfLi16ELi32ELi8ELi1ELi0ELb0ELc84ELc76EKPKfKPfEviT_PT9_S5_lS7_S5_lPT10_S5_li
                                        ; -- End function
	.set _ZL37rocblas_syrkx_herkx_restricted_kernelIlfLi16ELi32ELi8ELi1ELi0ELb0ELc84ELc76EKPKfKPfEviT_PT9_S5_lS7_S5_lPT10_S5_li.num_vgpr, 34
	.set _ZL37rocblas_syrkx_herkx_restricted_kernelIlfLi16ELi32ELi8ELi1ELi0ELb0ELc84ELc76EKPKfKPfEviT_PT9_S5_lS7_S5_lPT10_S5_li.num_agpr, 0
	.set _ZL37rocblas_syrkx_herkx_restricted_kernelIlfLi16ELi32ELi8ELi1ELi0ELb0ELc84ELc76EKPKfKPfEviT_PT9_S5_lS7_S5_lPT10_S5_li.numbered_sgpr, 24
	.set _ZL37rocblas_syrkx_herkx_restricted_kernelIlfLi16ELi32ELi8ELi1ELi0ELb0ELc84ELc76EKPKfKPfEviT_PT9_S5_lS7_S5_lPT10_S5_li.num_named_barrier, 0
	.set _ZL37rocblas_syrkx_herkx_restricted_kernelIlfLi16ELi32ELi8ELi1ELi0ELb0ELc84ELc76EKPKfKPfEviT_PT9_S5_lS7_S5_lPT10_S5_li.private_seg_size, 0
	.set _ZL37rocblas_syrkx_herkx_restricted_kernelIlfLi16ELi32ELi8ELi1ELi0ELb0ELc84ELc76EKPKfKPfEviT_PT9_S5_lS7_S5_lPT10_S5_li.uses_vcc, 1
	.set _ZL37rocblas_syrkx_herkx_restricted_kernelIlfLi16ELi32ELi8ELi1ELi0ELb0ELc84ELc76EKPKfKPfEviT_PT9_S5_lS7_S5_lPT10_S5_li.uses_flat_scratch, 0
	.set _ZL37rocblas_syrkx_herkx_restricted_kernelIlfLi16ELi32ELi8ELi1ELi0ELb0ELc84ELc76EKPKfKPfEviT_PT9_S5_lS7_S5_lPT10_S5_li.has_dyn_sized_stack, 0
	.set _ZL37rocblas_syrkx_herkx_restricted_kernelIlfLi16ELi32ELi8ELi1ELi0ELb0ELc84ELc76EKPKfKPfEviT_PT9_S5_lS7_S5_lPT10_S5_li.has_recursion, 0
	.set _ZL37rocblas_syrkx_herkx_restricted_kernelIlfLi16ELi32ELi8ELi1ELi0ELb0ELc84ELc76EKPKfKPfEviT_PT9_S5_lS7_S5_lPT10_S5_li.has_indirect_call, 0
	.section	.AMDGPU.csdata,"",@progbits
; Kernel info:
; codeLenInByte = 1116
; TotalNumSgprs: 28
; NumVgprs: 34
; ScratchSize: 0
; MemoryBound: 0
; FloatMode: 240
; IeeeMode: 1
; LDSByteSize: 2048 bytes/workgroup (compile time only)
; SGPRBlocks: 3
; VGPRBlocks: 8
; NumSGPRsForWavesPerEU: 28
; NumVGPRsForWavesPerEU: 34
; Occupancy: 7
; WaveLimiterHint : 1
; COMPUTE_PGM_RSRC2:SCRATCH_EN: 0
; COMPUTE_PGM_RSRC2:USER_SGPR: 6
; COMPUTE_PGM_RSRC2:TRAP_HANDLER: 0
; COMPUTE_PGM_RSRC2:TGID_X_EN: 1
; COMPUTE_PGM_RSRC2:TGID_Y_EN: 1
; COMPUTE_PGM_RSRC2:TGID_Z_EN: 1
; COMPUTE_PGM_RSRC2:TIDIG_COMP_CNT: 1
	.section	.text._ZL37rocblas_syrkx_herkx_restricted_kernelIlfLi16ELi32ELi8ELi1ELi0ELb0ELc67ELc76EKPKfKPfEviT_PT9_S5_lS7_S5_lPT10_S5_li,"axG",@progbits,_ZL37rocblas_syrkx_herkx_restricted_kernelIlfLi16ELi32ELi8ELi1ELi0ELb0ELc67ELc76EKPKfKPfEviT_PT9_S5_lS7_S5_lPT10_S5_li,comdat
	.globl	_ZL37rocblas_syrkx_herkx_restricted_kernelIlfLi16ELi32ELi8ELi1ELi0ELb0ELc67ELc76EKPKfKPfEviT_PT9_S5_lS7_S5_lPT10_S5_li ; -- Begin function _ZL37rocblas_syrkx_herkx_restricted_kernelIlfLi16ELi32ELi8ELi1ELi0ELb0ELc67ELc76EKPKfKPfEviT_PT9_S5_lS7_S5_lPT10_S5_li
	.p2align	8
	.type	_ZL37rocblas_syrkx_herkx_restricted_kernelIlfLi16ELi32ELi8ELi1ELi0ELb0ELc67ELc76EKPKfKPfEviT_PT9_S5_lS7_S5_lPT10_S5_li,@function
_ZL37rocblas_syrkx_herkx_restricted_kernelIlfLi16ELi32ELi8ELi1ELi0ELb0ELc67ELc76EKPKfKPfEviT_PT9_S5_lS7_S5_lPT10_S5_li: ; @_ZL37rocblas_syrkx_herkx_restricted_kernelIlfLi16ELi32ELi8ELi1ELi0ELb0ELc67ELc76EKPKfKPfEviT_PT9_S5_lS7_S5_lPT10_S5_li
; %bb.0:
	s_load_dwordx4 s[12:15], s[4:5], 0x40
	s_load_dwordx4 s[16:19], s[4:5], 0x8
	s_mov_b32 s9, 0
	s_lshl_b64 s[0:1], s[8:9], 3
	s_waitcnt lgkmcnt(0)
	s_add_u32 s2, s12, s0
	s_addc_u32 s3, s13, s1
	s_load_dwordx2 s[8:9], s[2:3], 0x0
	v_cmp_lt_i64_e64 s[2:3], s[16:17], 1
	s_lshl_b32 s6, s6, 5
	s_lshl_b32 s7, s7, 5
	s_and_b64 vcc, exec, s[2:3]
	s_cbranch_vccnz .LBB1401_3
; %bb.1:
	s_load_dwordx2 s[2:3], s[4:5], 0x18
	s_load_dwordx4 s[20:23], s[4:5], 0x28
	v_lshl_add_u32 v4, v1, 4, v0
	v_lshrrev_b32_e32 v8, 3, v4
	v_add_u32_e32 v5, s7, v8
	v_ashrrev_i32_e32 v6, 31, v5
	v_and_b32_e32 v2, 7, v0
	v_mov_b32_e32 v3, 0
	s_waitcnt lgkmcnt(0)
	v_mul_lo_u32 v9, s22, v6
	v_mul_lo_u32 v10, s23, v5
	v_mad_u64_u32 v[6:7], s[12:13], s22, v5, v[2:3]
	v_lshlrev_b32_e32 v2, 2, v2
	v_lshl_or_b32 v2, v8, 5, v2
	v_add3_u32 v7, v10, v7, v9
	v_and_b32_e32 v9, 31, v4
	v_add_u32_e32 v11, 0x400, v2
	v_add_u32_e32 v2, s6, v9
	v_lshrrev_b32_e32 v4, 5, v4
	v_mov_b32_e32 v5, v3
	v_lshlrev_b32_e32 v10, 2, v9
	v_ashrrev_i32_e32 v8, 31, v2
	s_add_u32 s10, s18, s0
	v_lshl_or_b32 v10, v4, 7, v10
	v_mul_lo_u32 v8, s2, v8
	v_mad_u64_u32 v[4:5], s[12:13], s2, v2, v[4:5]
	v_mul_lo_u32 v2, s3, v2
	s_addc_u32 s11, s19, s1
	s_load_dwordx2 s[10:11], s[10:11], 0x0
	s_add_u32 s0, s20, s0
	s_addc_u32 s1, s21, s1
	s_load_dwordx2 s[0:1], s[0:1], 0x0
	v_add3_u32 v5, v2, v5, v8
	v_lshlrev_b64 v[4:5], 2, v[4:5]
	s_waitcnt lgkmcnt(0)
	v_mov_b32_e32 v2, s11
	v_add_co_u32_e32 v4, vcc, s10, v4
	v_lshlrev_b64 v[6:7], 2, v[6:7]
	v_addc_co_u32_e32 v5, vcc, v2, v5, vcc
	v_mov_b32_e32 v9, 0x400
	v_mov_b32_e32 v2, s1
	v_add_co_u32_e32 v6, vcc, s0, v6
	v_lshlrev_b32_e32 v12, 2, v0
	v_lshl_add_u32 v13, v1, 5, v9
	v_addc_co_u32_e32 v7, vcc, v2, v7, vcc
	s_mov_b64 s[2:3], 0
	v_mov_b32_e32 v2, v3
	v_mov_b32_e32 v8, v3
	;; [unrolled: 1-line block ×3, first 2 shown]
.LBB1401_2:                             ; =>This Inner Loop Header: Depth=1
	flat_load_dword v14, v[4:5]
	s_add_u32 s2, s2, 8
	s_addc_u32 s3, s3, 0
	v_add_co_u32_e64 v4, s[0:1], 32, v4
	v_addc_co_u32_e64 v5, s[0:1], 0, v5, s[0:1]
	s_waitcnt vmcnt(0) lgkmcnt(0)
	ds_write_b32 v10, v14
	flat_load_dword v14, v[6:7]
	v_add_co_u32_e64 v6, s[0:1], 32, v6
	v_addc_co_u32_e64 v7, s[0:1], 0, v7, s[0:1]
	s_waitcnt vmcnt(0) lgkmcnt(0)
	ds_write_b32 v11, v14
	s_waitcnt lgkmcnt(0)
	s_barrier
	ds_read2_b32 v[26:27], v12 offset1:16
	ds_read_b128 v[14:17], v13
	ds_read2_b32 v[28:29], v12 offset0:32 offset1:48
	ds_read2_b32 v[30:31], v12 offset0:64 offset1:80
	ds_read_b128 v[18:21], v13 offset:16
	ds_read2_b32 v[32:33], v12 offset0:96 offset1:112
	s_waitcnt lgkmcnt(4)
	v_fmac_f32_e32 v9, v26, v14
	v_fmac_f32_e32 v8, v27, v14
	s_waitcnt lgkmcnt(3)
	v_fmac_f32_e32 v9, v28, v15
	v_fmac_f32_e32 v8, v29, v15
	v_mov_b32_e32 v15, s3
	s_waitcnt lgkmcnt(2)
	v_fmac_f32_e32 v9, v30, v16
	v_fmac_f32_e32 v8, v31, v16
	v_mov_b32_e32 v14, s2
	s_waitcnt lgkmcnt(0)
	v_fmac_f32_e32 v9, v32, v17
	v_fmac_f32_e32 v8, v33, v17
	v_cmp_le_u64_e32 vcc, s[16:17], v[14:15]
	ds_read_b128 v[14:17], v13 offset:512
	ds_read_b128 v[22:25], v13 offset:528
	s_and_b64 vcc, exec, vcc
	s_waitcnt lgkmcnt(1)
	v_fmac_f32_e32 v2, v26, v14
	v_fmac_f32_e32 v3, v27, v14
	;; [unrolled: 1-line block ×8, first 2 shown]
	ds_read2_b32 v[14:15], v12 offset0:128 offset1:144
	ds_read2_b32 v[16:17], v12 offset0:160 offset1:176
	;; [unrolled: 1-line block ×3, first 2 shown]
	s_waitcnt lgkmcnt(2)
	v_fmac_f32_e32 v9, v14, v18
	v_fmac_f32_e32 v8, v15, v18
	;; [unrolled: 1-line block ×4, first 2 shown]
	ds_read2_b32 v[14:15], v12 offset0:224 offset1:240
	s_waitcnt lgkmcnt(2)
	v_fmac_f32_e32 v9, v16, v19
	v_fmac_f32_e32 v8, v17, v19
	v_fmac_f32_e32 v2, v16, v23
	v_fmac_f32_e32 v3, v17, v23
	s_waitcnt lgkmcnt(1)
	v_fmac_f32_e32 v9, v26, v20
	v_fmac_f32_e32 v8, v27, v20
	v_fmac_f32_e32 v2, v26, v24
	v_fmac_f32_e32 v3, v27, v24
	s_waitcnt lgkmcnt(0)
	v_fmac_f32_e32 v9, v14, v21
	v_fmac_f32_e32 v8, v15, v21
	v_fmac_f32_e32 v2, v14, v25
	v_fmac_f32_e32 v3, v15, v25
	s_barrier
	s_cbranch_vccz .LBB1401_2
	s_branch .LBB1401_4
.LBB1401_3:
	v_mov_b32_e32 v9, 0
	v_mov_b32_e32 v8, 0
	;; [unrolled: 1-line block ×4, first 2 shown]
.LBB1401_4:
	v_add_u32_e32 v6, s7, v1
	v_ashrrev_i32_e32 v1, 31, v6
	v_mul_lo_u32 v1, s14, v1
	v_mul_lo_u32 v7, s15, v6
	v_mad_u64_u32 v[4:5], s[0:1], s14, v6, 0
	s_load_dword s4, s[4:5], 0x0
	v_add_u32_e32 v0, s6, v0
	v_add3_u32 v5, v5, v1, v7
	v_lshlrev_b64 v[4:5], 2, v[4:5]
	s_waitcnt lgkmcnt(0)
	v_mov_b32_e32 v1, s9
	v_add_co_u32_e32 v7, vcc, s8, v4
	v_addc_co_u32_e32 v10, vcc, v1, v5, vcc
	v_cmp_le_i32_e64 s[0:1], v6, v0
	v_cmp_gt_i32_e32 vcc, s4, v0
	s_and_b64 s[0:1], s[0:1], vcc
	s_and_saveexec_b64 s[2:3], s[0:1]
	s_cbranch_execz .LBB1401_6
; %bb.5:
	v_ashrrev_i32_e32 v1, 31, v0
	v_lshlrev_b64 v[4:5], 2, v[0:1]
	v_add_co_u32_e64 v4, s[0:1], v7, v4
	v_addc_co_u32_e64 v5, s[0:1], v10, v5, s[0:1]
	flat_store_dword v[4:5], v9
.LBB1401_6:
	s_or_b64 exec, exec, s[2:3]
	v_add_u32_e32 v4, 16, v0
	v_cmp_le_i32_e64 s[2:3], v6, v4
	v_cmp_gt_i32_e64 s[0:1], s4, v4
	s_and_b64 s[2:3], s[2:3], s[0:1]
	s_and_saveexec_b64 s[4:5], s[2:3]
	s_cbranch_execz .LBB1401_8
; %bb.7:
	v_ashrrev_i32_e32 v5, 31, v4
	v_lshlrev_b64 v[11:12], 2, v[4:5]
	v_add_co_u32_e64 v9, s[2:3], v7, v11
	v_addc_co_u32_e64 v10, s[2:3], v10, v12, s[2:3]
	flat_store_dword v[9:10], v8
.LBB1401_8:
	s_or_b64 exec, exec, s[4:5]
	v_add_u32_e32 v5, 16, v6
	v_ashrrev_i32_e32 v1, 31, v5
	v_mul_lo_u32 v8, s15, v5
	v_mad_u64_u32 v[6:7], s[2:3], s14, v5, 0
	v_mul_lo_u32 v1, s14, v1
	v_add3_u32 v7, v7, v1, v8
	v_lshlrev_b64 v[6:7], 2, v[6:7]
	v_mov_b32_e32 v1, s9
	v_add_co_u32_e64 v6, s[2:3], s8, v6
	v_addc_co_u32_e64 v7, s[2:3], v1, v7, s[2:3]
	v_cmp_le_i32_e64 s[2:3], v5, v0
	s_and_b64 s[4:5], s[2:3], vcc
	s_and_saveexec_b64 s[2:3], s[4:5]
	s_cbranch_execz .LBB1401_10
; %bb.9:
	v_ashrrev_i32_e32 v1, 31, v0
	v_lshlrev_b64 v[0:1], 2, v[0:1]
	v_add_co_u32_e32 v0, vcc, v6, v0
	v_addc_co_u32_e32 v1, vcc, v7, v1, vcc
	flat_store_dword v[0:1], v2
.LBB1401_10:
	s_or_b64 exec, exec, s[2:3]
	v_cmp_le_i32_e32 vcc, v5, v4
	s_and_b64 s[0:1], vcc, s[0:1]
	s_and_saveexec_b64 s[2:3], s[0:1]
	s_cbranch_execz .LBB1401_12
; %bb.11:
	v_ashrrev_i32_e32 v5, 31, v4
	v_lshlrev_b64 v[0:1], 2, v[4:5]
	v_add_co_u32_e32 v0, vcc, v6, v0
	v_addc_co_u32_e32 v1, vcc, v7, v1, vcc
	flat_store_dword v[0:1], v3
.LBB1401_12:
	s_endpgm
	.section	.rodata,"a",@progbits
	.p2align	6, 0x0
	.amdhsa_kernel _ZL37rocblas_syrkx_herkx_restricted_kernelIlfLi16ELi32ELi8ELi1ELi0ELb0ELc67ELc76EKPKfKPfEviT_PT9_S5_lS7_S5_lPT10_S5_li
		.amdhsa_group_segment_fixed_size 2048
		.amdhsa_private_segment_fixed_size 0
		.amdhsa_kernarg_size 92
		.amdhsa_user_sgpr_count 6
		.amdhsa_user_sgpr_private_segment_buffer 1
		.amdhsa_user_sgpr_dispatch_ptr 0
		.amdhsa_user_sgpr_queue_ptr 0
		.amdhsa_user_sgpr_kernarg_segment_ptr 1
		.amdhsa_user_sgpr_dispatch_id 0
		.amdhsa_user_sgpr_flat_scratch_init 0
		.amdhsa_user_sgpr_private_segment_size 0
		.amdhsa_uses_dynamic_stack 0
		.amdhsa_system_sgpr_private_segment_wavefront_offset 0
		.amdhsa_system_sgpr_workgroup_id_x 1
		.amdhsa_system_sgpr_workgroup_id_y 1
		.amdhsa_system_sgpr_workgroup_id_z 1
		.amdhsa_system_sgpr_workgroup_info 0
		.amdhsa_system_vgpr_workitem_id 1
		.amdhsa_next_free_vgpr 34
		.amdhsa_next_free_sgpr 24
		.amdhsa_reserve_vcc 1
		.amdhsa_reserve_flat_scratch 0
		.amdhsa_float_round_mode_32 0
		.amdhsa_float_round_mode_16_64 0
		.amdhsa_float_denorm_mode_32 3
		.amdhsa_float_denorm_mode_16_64 3
		.amdhsa_dx10_clamp 1
		.amdhsa_ieee_mode 1
		.amdhsa_fp16_overflow 0
		.amdhsa_exception_fp_ieee_invalid_op 0
		.amdhsa_exception_fp_denorm_src 0
		.amdhsa_exception_fp_ieee_div_zero 0
		.amdhsa_exception_fp_ieee_overflow 0
		.amdhsa_exception_fp_ieee_underflow 0
		.amdhsa_exception_fp_ieee_inexact 0
		.amdhsa_exception_int_div_zero 0
	.end_amdhsa_kernel
	.section	.text._ZL37rocblas_syrkx_herkx_restricted_kernelIlfLi16ELi32ELi8ELi1ELi0ELb0ELc67ELc76EKPKfKPfEviT_PT9_S5_lS7_S5_lPT10_S5_li,"axG",@progbits,_ZL37rocblas_syrkx_herkx_restricted_kernelIlfLi16ELi32ELi8ELi1ELi0ELb0ELc67ELc76EKPKfKPfEviT_PT9_S5_lS7_S5_lPT10_S5_li,comdat
.Lfunc_end1401:
	.size	_ZL37rocblas_syrkx_herkx_restricted_kernelIlfLi16ELi32ELi8ELi1ELi0ELb0ELc67ELc76EKPKfKPfEviT_PT9_S5_lS7_S5_lPT10_S5_li, .Lfunc_end1401-_ZL37rocblas_syrkx_herkx_restricted_kernelIlfLi16ELi32ELi8ELi1ELi0ELb0ELc67ELc76EKPKfKPfEviT_PT9_S5_lS7_S5_lPT10_S5_li
                                        ; -- End function
	.set _ZL37rocblas_syrkx_herkx_restricted_kernelIlfLi16ELi32ELi8ELi1ELi0ELb0ELc67ELc76EKPKfKPfEviT_PT9_S5_lS7_S5_lPT10_S5_li.num_vgpr, 34
	.set _ZL37rocblas_syrkx_herkx_restricted_kernelIlfLi16ELi32ELi8ELi1ELi0ELb0ELc67ELc76EKPKfKPfEviT_PT9_S5_lS7_S5_lPT10_S5_li.num_agpr, 0
	.set _ZL37rocblas_syrkx_herkx_restricted_kernelIlfLi16ELi32ELi8ELi1ELi0ELb0ELc67ELc76EKPKfKPfEviT_PT9_S5_lS7_S5_lPT10_S5_li.numbered_sgpr, 24
	.set _ZL37rocblas_syrkx_herkx_restricted_kernelIlfLi16ELi32ELi8ELi1ELi0ELb0ELc67ELc76EKPKfKPfEviT_PT9_S5_lS7_S5_lPT10_S5_li.num_named_barrier, 0
	.set _ZL37rocblas_syrkx_herkx_restricted_kernelIlfLi16ELi32ELi8ELi1ELi0ELb0ELc67ELc76EKPKfKPfEviT_PT9_S5_lS7_S5_lPT10_S5_li.private_seg_size, 0
	.set _ZL37rocblas_syrkx_herkx_restricted_kernelIlfLi16ELi32ELi8ELi1ELi0ELb0ELc67ELc76EKPKfKPfEviT_PT9_S5_lS7_S5_lPT10_S5_li.uses_vcc, 1
	.set _ZL37rocblas_syrkx_herkx_restricted_kernelIlfLi16ELi32ELi8ELi1ELi0ELb0ELc67ELc76EKPKfKPfEviT_PT9_S5_lS7_S5_lPT10_S5_li.uses_flat_scratch, 0
	.set _ZL37rocblas_syrkx_herkx_restricted_kernelIlfLi16ELi32ELi8ELi1ELi0ELb0ELc67ELc76EKPKfKPfEviT_PT9_S5_lS7_S5_lPT10_S5_li.has_dyn_sized_stack, 0
	.set _ZL37rocblas_syrkx_herkx_restricted_kernelIlfLi16ELi32ELi8ELi1ELi0ELb0ELc67ELc76EKPKfKPfEviT_PT9_S5_lS7_S5_lPT10_S5_li.has_recursion, 0
	.set _ZL37rocblas_syrkx_herkx_restricted_kernelIlfLi16ELi32ELi8ELi1ELi0ELb0ELc67ELc76EKPKfKPfEviT_PT9_S5_lS7_S5_lPT10_S5_li.has_indirect_call, 0
	.section	.AMDGPU.csdata,"",@progbits
; Kernel info:
; codeLenInByte = 1116
; TotalNumSgprs: 28
; NumVgprs: 34
; ScratchSize: 0
; MemoryBound: 0
; FloatMode: 240
; IeeeMode: 1
; LDSByteSize: 2048 bytes/workgroup (compile time only)
; SGPRBlocks: 3
; VGPRBlocks: 8
; NumSGPRsForWavesPerEU: 28
; NumVGPRsForWavesPerEU: 34
; Occupancy: 7
; WaveLimiterHint : 1
; COMPUTE_PGM_RSRC2:SCRATCH_EN: 0
; COMPUTE_PGM_RSRC2:USER_SGPR: 6
; COMPUTE_PGM_RSRC2:TRAP_HANDLER: 0
; COMPUTE_PGM_RSRC2:TGID_X_EN: 1
; COMPUTE_PGM_RSRC2:TGID_Y_EN: 1
; COMPUTE_PGM_RSRC2:TGID_Z_EN: 1
; COMPUTE_PGM_RSRC2:TIDIG_COMP_CNT: 1
	.section	.text._ZL37rocblas_syrkx_herkx_restricted_kernelIlfLi16ELi32ELi8ELi1ELi0ELb0ELc78ELc76EKPKfKPfEviT_PT9_S5_lS7_S5_lPT10_S5_li,"axG",@progbits,_ZL37rocblas_syrkx_herkx_restricted_kernelIlfLi16ELi32ELi8ELi1ELi0ELb0ELc78ELc76EKPKfKPfEviT_PT9_S5_lS7_S5_lPT10_S5_li,comdat
	.globl	_ZL37rocblas_syrkx_herkx_restricted_kernelIlfLi16ELi32ELi8ELi1ELi0ELb0ELc78ELc76EKPKfKPfEviT_PT9_S5_lS7_S5_lPT10_S5_li ; -- Begin function _ZL37rocblas_syrkx_herkx_restricted_kernelIlfLi16ELi32ELi8ELi1ELi0ELb0ELc78ELc76EKPKfKPfEviT_PT9_S5_lS7_S5_lPT10_S5_li
	.p2align	8
	.type	_ZL37rocblas_syrkx_herkx_restricted_kernelIlfLi16ELi32ELi8ELi1ELi0ELb0ELc78ELc76EKPKfKPfEviT_PT9_S5_lS7_S5_lPT10_S5_li,@function
_ZL37rocblas_syrkx_herkx_restricted_kernelIlfLi16ELi32ELi8ELi1ELi0ELb0ELc78ELc76EKPKfKPfEviT_PT9_S5_lS7_S5_lPT10_S5_li: ; @_ZL37rocblas_syrkx_herkx_restricted_kernelIlfLi16ELi32ELi8ELi1ELi0ELb0ELc78ELc76EKPKfKPfEviT_PT9_S5_lS7_S5_lPT10_S5_li
; %bb.0:
	s_load_dwordx4 s[12:15], s[4:5], 0x40
	s_load_dwordx4 s[16:19], s[4:5], 0x8
	s_mov_b32 s9, 0
	s_lshl_b64 s[10:11], s[8:9], 3
	s_waitcnt lgkmcnt(0)
	s_add_u32 s0, s12, s10
	s_addc_u32 s1, s13, s11
	s_load_dwordx2 s[8:9], s[0:1], 0x0
	v_cmp_lt_i64_e64 s[0:1], s[16:17], 1
	s_lshl_b32 s12, s6, 5
	s_lshl_b32 s13, s7, 5
	s_and_b64 vcc, exec, s[0:1]
	s_cbranch_vccnz .LBB1402_3
; %bb.1:
	s_load_dwordx2 s[6:7], s[4:5], 0x18
	s_load_dwordx4 s[0:3], s[4:5], 0x28
	v_lshl_add_u32 v7, v1, 4, v0
	v_lshrrev_b32_e32 v8, 3, v7
	v_add_u32_e32 v2, s13, v8
	v_and_b32_e32 v6, 7, v0
	v_ashrrev_i32_e32 v3, 31, v2
	s_waitcnt lgkmcnt(0)
	v_mad_u64_u32 v[4:5], s[20:21], s2, v6, v[2:3]
	s_add_u32 s18, s18, s10
	s_addc_u32 s19, s19, s11
	v_mov_b32_e32 v2, v5
	v_mad_u64_u32 v[2:3], s[20:21], s3, v6, v[2:3]
	v_lshrrev_b32_e32 v9, 5, v7
	s_add_u32 s0, s0, s10
	v_mov_b32_e32 v5, v2
	v_and_b32_e32 v2, 31, v7
	v_lshlrev_b32_e32 v3, 2, v2
	v_add_u32_e32 v2, s12, v2
	v_lshl_or_b32 v10, v9, 7, v3
	v_ashrrev_i32_e32 v3, 31, v2
	s_addc_u32 s1, s1, s11
	v_mad_u64_u32 v[2:3], s[10:11], s6, v9, v[2:3]
	v_lshlrev_b32_e32 v6, 2, v6
	v_lshl_or_b32 v6, v8, 5, v6
	v_add_u32_e32 v11, 0x400, v6
	v_mad_u64_u32 v[6:7], s[10:11], s7, v9, v[3:4]
	s_load_dwordx2 s[18:19], s[18:19], 0x0
	v_mov_b32_e32 v3, 0x400
	s_load_dwordx2 s[0:1], s[0:1], 0x0
	v_lshl_add_u32 v13, v1, 5, v3
	v_mov_b32_e32 v3, v6
	v_lshlrev_b64 v[2:3], 2, v[2:3]
	s_waitcnt lgkmcnt(0)
	v_mov_b32_e32 v6, s19
	v_add_co_u32_e32 v2, vcc, s18, v2
	v_lshlrev_b64 v[4:5], 2, v[4:5]
	v_addc_co_u32_e32 v3, vcc, v6, v3, vcc
	v_mov_b32_e32 v6, s1
	v_add_co_u32_e32 v4, vcc, s0, v4
	v_lshlrev_b32_e32 v12, 2, v0
	s_lshl_b64 s[6:7], s[6:7], 5
	v_addc_co_u32_e32 v5, vcc, v6, v5, vcc
	s_lshl_b64 s[2:3], s[2:3], 5
	v_mov_b32_e32 v6, 0
	s_mov_b64 s[10:11], 0
	v_mov_b32_e32 v7, 0
	v_mov_b32_e32 v8, 0
	;; [unrolled: 1-line block ×3, first 2 shown]
.LBB1402_2:                             ; =>This Inner Loop Header: Depth=1
	flat_load_dword v14, v[2:3]
	s_add_u32 s10, s10, 8
	s_addc_u32 s11, s11, 0
	v_add_co_u32_e64 v2, s[0:1], s6, v2
	s_waitcnt vmcnt(0) lgkmcnt(0)
	ds_write_b32 v10, v14
	flat_load_dword v16, v[4:5]
	v_mov_b32_e32 v15, s11
	v_mov_b32_e32 v14, s10
	v_cmp_le_u64_e32 vcc, s[16:17], v[14:15]
	s_and_b64 vcc, exec, vcc
	s_waitcnt vmcnt(0) lgkmcnt(0)
	ds_write_b32 v11, v16
	s_waitcnt lgkmcnt(0)
	s_barrier
	ds_read2_b32 v[26:27], v12 offset1:16
	ds_read_b128 v[14:17], v13
	ds_read2_b32 v[28:29], v12 offset0:32 offset1:48
	ds_read2_b32 v[30:31], v12 offset0:64 offset1:80
	;; [unrolled: 1-line block ×3, first 2 shown]
	ds_read_b128 v[18:21], v13 offset:16
	s_waitcnt lgkmcnt(4)
	v_fmac_f32_e32 v9, v26, v14
	v_fmac_f32_e32 v8, v27, v14
	s_waitcnt lgkmcnt(3)
	v_fmac_f32_e32 v9, v28, v15
	v_fmac_f32_e32 v8, v29, v15
	s_waitcnt lgkmcnt(2)
	v_fmac_f32_e32 v9, v30, v16
	v_fmac_f32_e32 v8, v31, v16
	s_waitcnt lgkmcnt(1)
	v_fmac_f32_e32 v9, v32, v17
	v_fmac_f32_e32 v8, v33, v17
	ds_read_b128 v[14:17], v13 offset:512
	ds_read_b128 v[22:25], v13 offset:528
	s_waitcnt lgkmcnt(1)
	v_fmac_f32_e32 v7, v26, v14
	v_fmac_f32_e32 v6, v27, v14
	v_mov_b32_e32 v14, s7
	v_addc_co_u32_e64 v3, s[0:1], v3, v14, s[0:1]
	v_mov_b32_e32 v14, s3
	v_add_co_u32_e64 v4, s[0:1], s2, v4
	v_fmac_f32_e32 v7, v28, v15
	v_fmac_f32_e32 v6, v29, v15
	v_addc_co_u32_e64 v5, s[0:1], v5, v14, s[0:1]
	ds_read2_b32 v[14:15], v12 offset0:128 offset1:144
	v_fmac_f32_e32 v7, v30, v16
	v_fmac_f32_e32 v6, v31, v16
	v_fmac_f32_e32 v7, v32, v17
	v_fmac_f32_e32 v6, v33, v17
	ds_read2_b32 v[16:17], v12 offset0:160 offset1:176
	ds_read2_b32 v[26:27], v12 offset0:192 offset1:208
	;; [unrolled: 1-line block ×3, first 2 shown]
	s_waitcnt lgkmcnt(3)
	v_fmac_f32_e32 v9, v14, v18
	v_fmac_f32_e32 v8, v15, v18
	v_fmac_f32_e32 v7, v14, v22
	v_fmac_f32_e32 v6, v15, v22
	s_waitcnt lgkmcnt(2)
	v_fmac_f32_e32 v9, v16, v19
	v_fmac_f32_e32 v8, v17, v19
	v_fmac_f32_e32 v7, v16, v23
	v_fmac_f32_e32 v6, v17, v23
	;; [unrolled: 5-line block ×4, first 2 shown]
	s_barrier
	s_cbranch_vccz .LBB1402_2
	s_branch .LBB1402_4
.LBB1402_3:
	v_mov_b32_e32 v9, 0
	v_mov_b32_e32 v8, 0
	;; [unrolled: 1-line block ×4, first 2 shown]
.LBB1402_4:
	v_add_u32_e32 v4, s13, v1
	v_ashrrev_i32_e32 v1, 31, v4
	v_mul_lo_u32 v3, s14, v1
	v_mul_lo_u32 v5, s15, v4
	v_mad_u64_u32 v[1:2], s[0:1], s14, v4, 0
	s_load_dword s4, s[4:5], 0x0
	v_add_u32_e32 v0, s12, v0
	v_add3_u32 v2, v2, v3, v5
	v_lshlrev_b64 v[1:2], 2, v[1:2]
	s_waitcnt lgkmcnt(0)
	v_mov_b32_e32 v3, s9
	v_add_co_u32_e32 v5, vcc, s8, v1
	v_addc_co_u32_e32 v10, vcc, v3, v2, vcc
	v_cmp_le_i32_e64 s[0:1], v4, v0
	v_cmp_gt_i32_e32 vcc, s4, v0
	s_and_b64 s[0:1], s[0:1], vcc
	s_and_saveexec_b64 s[2:3], s[0:1]
	s_cbranch_execz .LBB1402_6
; %bb.5:
	v_ashrrev_i32_e32 v1, 31, v0
	v_lshlrev_b64 v[1:2], 2, v[0:1]
	v_add_co_u32_e64 v1, s[0:1], v5, v1
	v_addc_co_u32_e64 v2, s[0:1], v10, v2, s[0:1]
	flat_store_dword v[1:2], v9
.LBB1402_6:
	s_or_b64 exec, exec, s[2:3]
	v_add_u32_e32 v2, 16, v0
	v_cmp_le_i32_e64 s[2:3], v4, v2
	v_cmp_gt_i32_e64 s[0:1], s4, v2
	s_and_b64 s[2:3], s[2:3], s[0:1]
	s_and_saveexec_b64 s[4:5], s[2:3]
	s_cbranch_execz .LBB1402_8
; %bb.7:
	v_ashrrev_i32_e32 v3, 31, v2
	v_lshlrev_b64 v[11:12], 2, v[2:3]
	v_add_co_u32_e64 v9, s[2:3], v5, v11
	v_addc_co_u32_e64 v10, s[2:3], v10, v12, s[2:3]
	flat_store_dword v[9:10], v8
.LBB1402_8:
	s_or_b64 exec, exec, s[4:5]
	v_add_u32_e32 v3, 16, v4
	v_ashrrev_i32_e32 v1, 31, v3
	v_mul_lo_u32 v8, s15, v3
	v_mad_u64_u32 v[4:5], s[2:3], s14, v3, 0
	v_mul_lo_u32 v1, s14, v1
	v_add3_u32 v5, v5, v1, v8
	v_lshlrev_b64 v[4:5], 2, v[4:5]
	v_mov_b32_e32 v1, s9
	v_add_co_u32_e64 v4, s[2:3], s8, v4
	v_addc_co_u32_e64 v5, s[2:3], v1, v5, s[2:3]
	v_cmp_le_i32_e64 s[2:3], v3, v0
	s_and_b64 s[4:5], s[2:3], vcc
	s_and_saveexec_b64 s[2:3], s[4:5]
	s_cbranch_execz .LBB1402_10
; %bb.9:
	v_ashrrev_i32_e32 v1, 31, v0
	v_lshlrev_b64 v[0:1], 2, v[0:1]
	v_add_co_u32_e32 v0, vcc, v4, v0
	v_addc_co_u32_e32 v1, vcc, v5, v1, vcc
	flat_store_dword v[0:1], v7
.LBB1402_10:
	s_or_b64 exec, exec, s[2:3]
	v_cmp_le_i32_e32 vcc, v3, v2
	s_and_b64 s[0:1], vcc, s[0:1]
	s_and_saveexec_b64 s[2:3], s[0:1]
	s_cbranch_execz .LBB1402_12
; %bb.11:
	v_ashrrev_i32_e32 v3, 31, v2
	v_lshlrev_b64 v[0:1], 2, v[2:3]
	v_add_co_u32_e32 v0, vcc, v4, v0
	v_addc_co_u32_e32 v1, vcc, v5, v1, vcc
	flat_store_dword v[0:1], v6
.LBB1402_12:
	s_endpgm
	.section	.rodata,"a",@progbits
	.p2align	6, 0x0
	.amdhsa_kernel _ZL37rocblas_syrkx_herkx_restricted_kernelIlfLi16ELi32ELi8ELi1ELi0ELb0ELc78ELc76EKPKfKPfEviT_PT9_S5_lS7_S5_lPT10_S5_li
		.amdhsa_group_segment_fixed_size 2048
		.amdhsa_private_segment_fixed_size 0
		.amdhsa_kernarg_size 92
		.amdhsa_user_sgpr_count 6
		.amdhsa_user_sgpr_private_segment_buffer 1
		.amdhsa_user_sgpr_dispatch_ptr 0
		.amdhsa_user_sgpr_queue_ptr 0
		.amdhsa_user_sgpr_kernarg_segment_ptr 1
		.amdhsa_user_sgpr_dispatch_id 0
		.amdhsa_user_sgpr_flat_scratch_init 0
		.amdhsa_user_sgpr_private_segment_size 0
		.amdhsa_uses_dynamic_stack 0
		.amdhsa_system_sgpr_private_segment_wavefront_offset 0
		.amdhsa_system_sgpr_workgroup_id_x 1
		.amdhsa_system_sgpr_workgroup_id_y 1
		.amdhsa_system_sgpr_workgroup_id_z 1
		.amdhsa_system_sgpr_workgroup_info 0
		.amdhsa_system_vgpr_workitem_id 1
		.amdhsa_next_free_vgpr 34
		.amdhsa_next_free_sgpr 22
		.amdhsa_reserve_vcc 1
		.amdhsa_reserve_flat_scratch 0
		.amdhsa_float_round_mode_32 0
		.amdhsa_float_round_mode_16_64 0
		.amdhsa_float_denorm_mode_32 3
		.amdhsa_float_denorm_mode_16_64 3
		.amdhsa_dx10_clamp 1
		.amdhsa_ieee_mode 1
		.amdhsa_fp16_overflow 0
		.amdhsa_exception_fp_ieee_invalid_op 0
		.amdhsa_exception_fp_denorm_src 0
		.amdhsa_exception_fp_ieee_div_zero 0
		.amdhsa_exception_fp_ieee_overflow 0
		.amdhsa_exception_fp_ieee_underflow 0
		.amdhsa_exception_fp_ieee_inexact 0
		.amdhsa_exception_int_div_zero 0
	.end_amdhsa_kernel
	.section	.text._ZL37rocblas_syrkx_herkx_restricted_kernelIlfLi16ELi32ELi8ELi1ELi0ELb0ELc78ELc76EKPKfKPfEviT_PT9_S5_lS7_S5_lPT10_S5_li,"axG",@progbits,_ZL37rocblas_syrkx_herkx_restricted_kernelIlfLi16ELi32ELi8ELi1ELi0ELb0ELc78ELc76EKPKfKPfEviT_PT9_S5_lS7_S5_lPT10_S5_li,comdat
.Lfunc_end1402:
	.size	_ZL37rocblas_syrkx_herkx_restricted_kernelIlfLi16ELi32ELi8ELi1ELi0ELb0ELc78ELc76EKPKfKPfEviT_PT9_S5_lS7_S5_lPT10_S5_li, .Lfunc_end1402-_ZL37rocblas_syrkx_herkx_restricted_kernelIlfLi16ELi32ELi8ELi1ELi0ELb0ELc78ELc76EKPKfKPfEviT_PT9_S5_lS7_S5_lPT10_S5_li
                                        ; -- End function
	.set _ZL37rocblas_syrkx_herkx_restricted_kernelIlfLi16ELi32ELi8ELi1ELi0ELb0ELc78ELc76EKPKfKPfEviT_PT9_S5_lS7_S5_lPT10_S5_li.num_vgpr, 34
	.set _ZL37rocblas_syrkx_herkx_restricted_kernelIlfLi16ELi32ELi8ELi1ELi0ELb0ELc78ELc76EKPKfKPfEviT_PT9_S5_lS7_S5_lPT10_S5_li.num_agpr, 0
	.set _ZL37rocblas_syrkx_herkx_restricted_kernelIlfLi16ELi32ELi8ELi1ELi0ELb0ELc78ELc76EKPKfKPfEviT_PT9_S5_lS7_S5_lPT10_S5_li.numbered_sgpr, 22
	.set _ZL37rocblas_syrkx_herkx_restricted_kernelIlfLi16ELi32ELi8ELi1ELi0ELb0ELc78ELc76EKPKfKPfEviT_PT9_S5_lS7_S5_lPT10_S5_li.num_named_barrier, 0
	.set _ZL37rocblas_syrkx_herkx_restricted_kernelIlfLi16ELi32ELi8ELi1ELi0ELb0ELc78ELc76EKPKfKPfEviT_PT9_S5_lS7_S5_lPT10_S5_li.private_seg_size, 0
	.set _ZL37rocblas_syrkx_herkx_restricted_kernelIlfLi16ELi32ELi8ELi1ELi0ELb0ELc78ELc76EKPKfKPfEviT_PT9_S5_lS7_S5_lPT10_S5_li.uses_vcc, 1
	.set _ZL37rocblas_syrkx_herkx_restricted_kernelIlfLi16ELi32ELi8ELi1ELi0ELb0ELc78ELc76EKPKfKPfEviT_PT9_S5_lS7_S5_lPT10_S5_li.uses_flat_scratch, 0
	.set _ZL37rocblas_syrkx_herkx_restricted_kernelIlfLi16ELi32ELi8ELi1ELi0ELb0ELc78ELc76EKPKfKPfEviT_PT9_S5_lS7_S5_lPT10_S5_li.has_dyn_sized_stack, 0
	.set _ZL37rocblas_syrkx_herkx_restricted_kernelIlfLi16ELi32ELi8ELi1ELi0ELb0ELc78ELc76EKPKfKPfEviT_PT9_S5_lS7_S5_lPT10_S5_li.has_recursion, 0
	.set _ZL37rocblas_syrkx_herkx_restricted_kernelIlfLi16ELi32ELi8ELi1ELi0ELb0ELc78ELc76EKPKfKPfEviT_PT9_S5_lS7_S5_lPT10_S5_li.has_indirect_call, 0
	.section	.AMDGPU.csdata,"",@progbits
; Kernel info:
; codeLenInByte = 1108
; TotalNumSgprs: 26
; NumVgprs: 34
; ScratchSize: 0
; MemoryBound: 0
; FloatMode: 240
; IeeeMode: 1
; LDSByteSize: 2048 bytes/workgroup (compile time only)
; SGPRBlocks: 3
; VGPRBlocks: 8
; NumSGPRsForWavesPerEU: 26
; NumVGPRsForWavesPerEU: 34
; Occupancy: 7
; WaveLimiterHint : 1
; COMPUTE_PGM_RSRC2:SCRATCH_EN: 0
; COMPUTE_PGM_RSRC2:USER_SGPR: 6
; COMPUTE_PGM_RSRC2:TRAP_HANDLER: 0
; COMPUTE_PGM_RSRC2:TGID_X_EN: 1
; COMPUTE_PGM_RSRC2:TGID_Y_EN: 1
; COMPUTE_PGM_RSRC2:TGID_Z_EN: 1
; COMPUTE_PGM_RSRC2:TIDIG_COMP_CNT: 1
	.section	.text._ZL37rocblas_syrkx_herkx_restricted_kernelIlfLi16ELi32ELi8ELi1ELi0ELb0ELc84ELc85EKPKfKPfEviT_PT9_S5_lS7_S5_lPT10_S5_li,"axG",@progbits,_ZL37rocblas_syrkx_herkx_restricted_kernelIlfLi16ELi32ELi8ELi1ELi0ELb0ELc84ELc85EKPKfKPfEviT_PT9_S5_lS7_S5_lPT10_S5_li,comdat
	.globl	_ZL37rocblas_syrkx_herkx_restricted_kernelIlfLi16ELi32ELi8ELi1ELi0ELb0ELc84ELc85EKPKfKPfEviT_PT9_S5_lS7_S5_lPT10_S5_li ; -- Begin function _ZL37rocblas_syrkx_herkx_restricted_kernelIlfLi16ELi32ELi8ELi1ELi0ELb0ELc84ELc85EKPKfKPfEviT_PT9_S5_lS7_S5_lPT10_S5_li
	.p2align	8
	.type	_ZL37rocblas_syrkx_herkx_restricted_kernelIlfLi16ELi32ELi8ELi1ELi0ELb0ELc84ELc85EKPKfKPfEviT_PT9_S5_lS7_S5_lPT10_S5_li,@function
_ZL37rocblas_syrkx_herkx_restricted_kernelIlfLi16ELi32ELi8ELi1ELi0ELb0ELc84ELc85EKPKfKPfEviT_PT9_S5_lS7_S5_lPT10_S5_li: ; @_ZL37rocblas_syrkx_herkx_restricted_kernelIlfLi16ELi32ELi8ELi1ELi0ELb0ELc84ELc85EKPKfKPfEviT_PT9_S5_lS7_S5_lPT10_S5_li
; %bb.0:
	s_load_dwordx4 s[0:3], s[4:5], 0x40
	s_load_dwordx4 s[12:15], s[4:5], 0x8
	s_mov_b32 s9, 0
	s_lshl_b64 s[10:11], s[8:9], 3
	s_waitcnt lgkmcnt(0)
	s_add_u32 s0, s0, s10
	s_addc_u32 s1, s1, s11
	s_load_dwordx2 s[8:9], s[0:1], 0x0
	v_cmp_lt_i64_e64 s[0:1], s[12:13], 1
	s_lshl_b32 s16, s6, 5
	s_lshl_b32 s17, s7, 5
	s_and_b64 vcc, exec, s[0:1]
	s_cbranch_vccnz .LBB1403_3
; %bb.1:
	s_load_dwordx2 s[0:1], s[4:5], 0x18
	s_load_dwordx4 s[20:23], s[4:5], 0x28
	v_lshl_add_u32 v4, v1, 4, v0
	v_lshrrev_b32_e32 v8, 3, v4
	v_add_u32_e32 v5, s17, v8
	s_add_u32 s6, s14, s10
	v_ashrrev_i32_e32 v6, 31, v5
	v_and_b32_e32 v2, 7, v0
	v_mov_b32_e32 v3, 0
	s_addc_u32 s7, s15, s11
	s_waitcnt lgkmcnt(0)
	v_mul_lo_u32 v9, s22, v6
	v_mul_lo_u32 v10, s23, v5
	v_mad_u64_u32 v[6:7], s[14:15], s22, v5, v[2:3]
	v_lshlrev_b32_e32 v2, 2, v2
	v_lshl_or_b32 v2, v8, 5, v2
	v_add3_u32 v7, v10, v7, v9
	v_and_b32_e32 v9, 31, v4
	v_add_u32_e32 v11, 0x400, v2
	v_add_u32_e32 v2, s16, v9
	v_lshrrev_b32_e32 v4, 5, v4
	v_mov_b32_e32 v5, v3
	v_lshlrev_b32_e32 v10, 2, v9
	v_ashrrev_i32_e32 v8, 31, v2
	v_lshl_or_b32 v10, v4, 7, v10
	v_mul_lo_u32 v8, s0, v8
	v_mad_u64_u32 v[4:5], s[14:15], s0, v2, v[4:5]
	v_mul_lo_u32 v2, s1, v2
	s_load_dwordx2 s[6:7], s[6:7], 0x0
	s_add_u32 s10, s20, s10
	s_addc_u32 s11, s21, s11
	s_load_dwordx2 s[10:11], s[10:11], 0x0
	v_add3_u32 v5, v2, v5, v8
	v_lshlrev_b64 v[4:5], 2, v[4:5]
	s_waitcnt lgkmcnt(0)
	v_mov_b32_e32 v2, s7
	v_add_co_u32_e32 v4, vcc, s6, v4
	v_lshlrev_b64 v[6:7], 2, v[6:7]
	v_addc_co_u32_e32 v5, vcc, v2, v5, vcc
	v_mov_b32_e32 v9, 0x400
	v_mov_b32_e32 v2, s11
	v_add_co_u32_e32 v6, vcc, s10, v6
	v_lshlrev_b32_e32 v12, 2, v0
	v_lshl_add_u32 v13, v1, 5, v9
	v_addc_co_u32_e32 v7, vcc, v2, v7, vcc
	s_mov_b64 s[6:7], 0
	v_mov_b32_e32 v2, v3
	v_mov_b32_e32 v8, v3
	;; [unrolled: 1-line block ×3, first 2 shown]
.LBB1403_2:                             ; =>This Inner Loop Header: Depth=1
	flat_load_dword v14, v[4:5]
	s_add_u32 s6, s6, 8
	s_addc_u32 s7, s7, 0
	v_add_co_u32_e64 v4, s[0:1], 32, v4
	v_addc_co_u32_e64 v5, s[0:1], 0, v5, s[0:1]
	s_waitcnt vmcnt(0) lgkmcnt(0)
	ds_write_b32 v10, v14
	flat_load_dword v14, v[6:7]
	v_add_co_u32_e64 v6, s[0:1], 32, v6
	v_addc_co_u32_e64 v7, s[0:1], 0, v7, s[0:1]
	s_waitcnt vmcnt(0) lgkmcnt(0)
	ds_write_b32 v11, v14
	s_waitcnt lgkmcnt(0)
	s_barrier
	ds_read2_b32 v[26:27], v12 offset1:16
	ds_read_b128 v[14:17], v13
	ds_read2_b32 v[28:29], v12 offset0:32 offset1:48
	ds_read2_b32 v[30:31], v12 offset0:64 offset1:80
	ds_read_b128 v[18:21], v13 offset:16
	ds_read2_b32 v[32:33], v12 offset0:96 offset1:112
	s_waitcnt lgkmcnt(4)
	v_fmac_f32_e32 v9, v26, v14
	v_fmac_f32_e32 v8, v27, v14
	s_waitcnt lgkmcnt(3)
	v_fmac_f32_e32 v9, v28, v15
	v_fmac_f32_e32 v8, v29, v15
	v_mov_b32_e32 v15, s7
	s_waitcnt lgkmcnt(2)
	v_fmac_f32_e32 v9, v30, v16
	v_fmac_f32_e32 v8, v31, v16
	v_mov_b32_e32 v14, s6
	s_waitcnt lgkmcnt(0)
	v_fmac_f32_e32 v9, v32, v17
	v_fmac_f32_e32 v8, v33, v17
	v_cmp_le_u64_e32 vcc, s[12:13], v[14:15]
	ds_read_b128 v[14:17], v13 offset:512
	ds_read_b128 v[22:25], v13 offset:528
	s_and_b64 vcc, exec, vcc
	s_waitcnt lgkmcnt(1)
	v_fmac_f32_e32 v2, v26, v14
	v_fmac_f32_e32 v3, v27, v14
	;; [unrolled: 1-line block ×8, first 2 shown]
	ds_read2_b32 v[14:15], v12 offset0:128 offset1:144
	ds_read2_b32 v[16:17], v12 offset0:160 offset1:176
	ds_read2_b32 v[26:27], v12 offset0:192 offset1:208
	s_waitcnt lgkmcnt(2)
	v_fmac_f32_e32 v9, v14, v18
	v_fmac_f32_e32 v8, v15, v18
	;; [unrolled: 1-line block ×4, first 2 shown]
	ds_read2_b32 v[14:15], v12 offset0:224 offset1:240
	s_waitcnt lgkmcnt(2)
	v_fmac_f32_e32 v9, v16, v19
	v_fmac_f32_e32 v8, v17, v19
	v_fmac_f32_e32 v2, v16, v23
	v_fmac_f32_e32 v3, v17, v23
	s_waitcnt lgkmcnt(1)
	v_fmac_f32_e32 v9, v26, v20
	v_fmac_f32_e32 v8, v27, v20
	v_fmac_f32_e32 v2, v26, v24
	v_fmac_f32_e32 v3, v27, v24
	;; [unrolled: 5-line block ×3, first 2 shown]
	s_barrier
	s_cbranch_vccz .LBB1403_2
	s_branch .LBB1403_4
.LBB1403_3:
	v_mov_b32_e32 v9, 0
	v_mov_b32_e32 v8, 0
	;; [unrolled: 1-line block ×4, first 2 shown]
.LBB1403_4:
	v_add_u32_e32 v6, s17, v1
	v_ashrrev_i32_e32 v1, 31, v6
	v_mul_lo_u32 v1, s2, v1
	v_mul_lo_u32 v7, s3, v6
	v_mad_u64_u32 v[4:5], s[0:1], s2, v6, 0
	s_load_dword s6, s[4:5], 0x0
	v_add_u32_e32 v0, s16, v0
	v_add3_u32 v5, v5, v1, v7
	v_lshlrev_b64 v[4:5], 2, v[4:5]
	s_waitcnt lgkmcnt(0)
	v_mov_b32_e32 v1, s9
	v_add_co_u32_e64 v7, s[0:1], s8, v4
	v_addc_co_u32_e64 v10, s[0:1], v1, v5, s[0:1]
	v_cmp_gt_i32_e32 vcc, s6, v6
	v_cmp_le_i32_e64 s[0:1], v0, v6
	s_and_b64 s[0:1], vcc, s[0:1]
	s_and_saveexec_b64 s[4:5], s[0:1]
	s_cbranch_execz .LBB1403_6
; %bb.5:
	v_ashrrev_i32_e32 v1, 31, v0
	v_lshlrev_b64 v[4:5], 2, v[0:1]
	v_add_co_u32_e64 v4, s[0:1], v7, v4
	v_addc_co_u32_e64 v5, s[0:1], v10, v5, s[0:1]
	flat_store_dword v[4:5], v9
.LBB1403_6:
	s_or_b64 exec, exec, s[4:5]
	v_add_u32_e32 v4, 16, v0
	v_cmp_le_i32_e64 s[0:1], v4, v6
	s_and_b64 s[4:5], vcc, s[0:1]
	s_and_saveexec_b64 s[0:1], s[4:5]
	s_cbranch_execz .LBB1403_8
; %bb.7:
	v_ashrrev_i32_e32 v5, 31, v4
	v_lshlrev_b64 v[11:12], 2, v[4:5]
	v_add_co_u32_e32 v9, vcc, v7, v11
	v_addc_co_u32_e32 v10, vcc, v10, v12, vcc
	flat_store_dword v[9:10], v8
.LBB1403_8:
	s_or_b64 exec, exec, s[0:1]
	v_add_u32_e32 v5, 16, v6
	v_ashrrev_i32_e32 v1, 31, v5
	v_mul_lo_u32 v1, s2, v1
	v_mul_lo_u32 v8, s3, v5
	v_mad_u64_u32 v[6:7], s[0:1], s2, v5, 0
	v_cmp_gt_i32_e32 vcc, s6, v5
	v_add3_u32 v7, v7, v1, v8
	v_lshlrev_b64 v[6:7], 2, v[6:7]
	v_mov_b32_e32 v1, s9
	v_add_co_u32_e64 v6, s[0:1], s8, v6
	v_addc_co_u32_e64 v7, s[0:1], v1, v7, s[0:1]
	v_cmp_le_i32_e64 s[0:1], v0, v5
	s_and_b64 s[0:1], vcc, s[0:1]
	s_and_saveexec_b64 s[2:3], s[0:1]
	s_cbranch_execz .LBB1403_10
; %bb.9:
	v_ashrrev_i32_e32 v1, 31, v0
	v_lshlrev_b64 v[0:1], 2, v[0:1]
	v_add_co_u32_e64 v0, s[0:1], v6, v0
	v_addc_co_u32_e64 v1, s[0:1], v7, v1, s[0:1]
	flat_store_dword v[0:1], v2
.LBB1403_10:
	s_or_b64 exec, exec, s[2:3]
	v_cmp_le_i32_e64 s[0:1], v4, v5
	s_and_b64 s[0:1], vcc, s[0:1]
	s_and_saveexec_b64 s[2:3], s[0:1]
	s_cbranch_execz .LBB1403_12
; %bb.11:
	v_ashrrev_i32_e32 v5, 31, v4
	v_lshlrev_b64 v[0:1], 2, v[4:5]
	v_add_co_u32_e32 v0, vcc, v6, v0
	v_addc_co_u32_e32 v1, vcc, v7, v1, vcc
	flat_store_dword v[0:1], v3
.LBB1403_12:
	s_endpgm
	.section	.rodata,"a",@progbits
	.p2align	6, 0x0
	.amdhsa_kernel _ZL37rocblas_syrkx_herkx_restricted_kernelIlfLi16ELi32ELi8ELi1ELi0ELb0ELc84ELc85EKPKfKPfEviT_PT9_S5_lS7_S5_lPT10_S5_li
		.amdhsa_group_segment_fixed_size 2048
		.amdhsa_private_segment_fixed_size 0
		.amdhsa_kernarg_size 92
		.amdhsa_user_sgpr_count 6
		.amdhsa_user_sgpr_private_segment_buffer 1
		.amdhsa_user_sgpr_dispatch_ptr 0
		.amdhsa_user_sgpr_queue_ptr 0
		.amdhsa_user_sgpr_kernarg_segment_ptr 1
		.amdhsa_user_sgpr_dispatch_id 0
		.amdhsa_user_sgpr_flat_scratch_init 0
		.amdhsa_user_sgpr_private_segment_size 0
		.amdhsa_uses_dynamic_stack 0
		.amdhsa_system_sgpr_private_segment_wavefront_offset 0
		.amdhsa_system_sgpr_workgroup_id_x 1
		.amdhsa_system_sgpr_workgroup_id_y 1
		.amdhsa_system_sgpr_workgroup_id_z 1
		.amdhsa_system_sgpr_workgroup_info 0
		.amdhsa_system_vgpr_workitem_id 1
		.amdhsa_next_free_vgpr 34
		.amdhsa_next_free_sgpr 24
		.amdhsa_reserve_vcc 1
		.amdhsa_reserve_flat_scratch 0
		.amdhsa_float_round_mode_32 0
		.amdhsa_float_round_mode_16_64 0
		.amdhsa_float_denorm_mode_32 3
		.amdhsa_float_denorm_mode_16_64 3
		.amdhsa_dx10_clamp 1
		.amdhsa_ieee_mode 1
		.amdhsa_fp16_overflow 0
		.amdhsa_exception_fp_ieee_invalid_op 0
		.amdhsa_exception_fp_denorm_src 0
		.amdhsa_exception_fp_ieee_div_zero 0
		.amdhsa_exception_fp_ieee_overflow 0
		.amdhsa_exception_fp_ieee_underflow 0
		.amdhsa_exception_fp_ieee_inexact 0
		.amdhsa_exception_int_div_zero 0
	.end_amdhsa_kernel
	.section	.text._ZL37rocblas_syrkx_herkx_restricted_kernelIlfLi16ELi32ELi8ELi1ELi0ELb0ELc84ELc85EKPKfKPfEviT_PT9_S5_lS7_S5_lPT10_S5_li,"axG",@progbits,_ZL37rocblas_syrkx_herkx_restricted_kernelIlfLi16ELi32ELi8ELi1ELi0ELb0ELc84ELc85EKPKfKPfEviT_PT9_S5_lS7_S5_lPT10_S5_li,comdat
.Lfunc_end1403:
	.size	_ZL37rocblas_syrkx_herkx_restricted_kernelIlfLi16ELi32ELi8ELi1ELi0ELb0ELc84ELc85EKPKfKPfEviT_PT9_S5_lS7_S5_lPT10_S5_li, .Lfunc_end1403-_ZL37rocblas_syrkx_herkx_restricted_kernelIlfLi16ELi32ELi8ELi1ELi0ELb0ELc84ELc85EKPKfKPfEviT_PT9_S5_lS7_S5_lPT10_S5_li
                                        ; -- End function
	.set _ZL37rocblas_syrkx_herkx_restricted_kernelIlfLi16ELi32ELi8ELi1ELi0ELb0ELc84ELc85EKPKfKPfEviT_PT9_S5_lS7_S5_lPT10_S5_li.num_vgpr, 34
	.set _ZL37rocblas_syrkx_herkx_restricted_kernelIlfLi16ELi32ELi8ELi1ELi0ELb0ELc84ELc85EKPKfKPfEviT_PT9_S5_lS7_S5_lPT10_S5_li.num_agpr, 0
	.set _ZL37rocblas_syrkx_herkx_restricted_kernelIlfLi16ELi32ELi8ELi1ELi0ELb0ELc84ELc85EKPKfKPfEviT_PT9_S5_lS7_S5_lPT10_S5_li.numbered_sgpr, 24
	.set _ZL37rocblas_syrkx_herkx_restricted_kernelIlfLi16ELi32ELi8ELi1ELi0ELb0ELc84ELc85EKPKfKPfEviT_PT9_S5_lS7_S5_lPT10_S5_li.num_named_barrier, 0
	.set _ZL37rocblas_syrkx_herkx_restricted_kernelIlfLi16ELi32ELi8ELi1ELi0ELb0ELc84ELc85EKPKfKPfEviT_PT9_S5_lS7_S5_lPT10_S5_li.private_seg_size, 0
	.set _ZL37rocblas_syrkx_herkx_restricted_kernelIlfLi16ELi32ELi8ELi1ELi0ELb0ELc84ELc85EKPKfKPfEviT_PT9_S5_lS7_S5_lPT10_S5_li.uses_vcc, 1
	.set _ZL37rocblas_syrkx_herkx_restricted_kernelIlfLi16ELi32ELi8ELi1ELi0ELb0ELc84ELc85EKPKfKPfEviT_PT9_S5_lS7_S5_lPT10_S5_li.uses_flat_scratch, 0
	.set _ZL37rocblas_syrkx_herkx_restricted_kernelIlfLi16ELi32ELi8ELi1ELi0ELb0ELc84ELc85EKPKfKPfEviT_PT9_S5_lS7_S5_lPT10_S5_li.has_dyn_sized_stack, 0
	.set _ZL37rocblas_syrkx_herkx_restricted_kernelIlfLi16ELi32ELi8ELi1ELi0ELb0ELc84ELc85EKPKfKPfEviT_PT9_S5_lS7_S5_lPT10_S5_li.has_recursion, 0
	.set _ZL37rocblas_syrkx_herkx_restricted_kernelIlfLi16ELi32ELi8ELi1ELi0ELb0ELc84ELc85EKPKfKPfEviT_PT9_S5_lS7_S5_lPT10_S5_li.has_indirect_call, 0
	.section	.AMDGPU.csdata,"",@progbits
; Kernel info:
; codeLenInByte = 1124
; TotalNumSgprs: 28
; NumVgprs: 34
; ScratchSize: 0
; MemoryBound: 0
; FloatMode: 240
; IeeeMode: 1
; LDSByteSize: 2048 bytes/workgroup (compile time only)
; SGPRBlocks: 3
; VGPRBlocks: 8
; NumSGPRsForWavesPerEU: 28
; NumVGPRsForWavesPerEU: 34
; Occupancy: 7
; WaveLimiterHint : 1
; COMPUTE_PGM_RSRC2:SCRATCH_EN: 0
; COMPUTE_PGM_RSRC2:USER_SGPR: 6
; COMPUTE_PGM_RSRC2:TRAP_HANDLER: 0
; COMPUTE_PGM_RSRC2:TGID_X_EN: 1
; COMPUTE_PGM_RSRC2:TGID_Y_EN: 1
; COMPUTE_PGM_RSRC2:TGID_Z_EN: 1
; COMPUTE_PGM_RSRC2:TIDIG_COMP_CNT: 1
	.section	.text._ZL37rocblas_syrkx_herkx_restricted_kernelIlfLi16ELi32ELi8ELi1ELi0ELb0ELc67ELc85EKPKfKPfEviT_PT9_S5_lS7_S5_lPT10_S5_li,"axG",@progbits,_ZL37rocblas_syrkx_herkx_restricted_kernelIlfLi16ELi32ELi8ELi1ELi0ELb0ELc67ELc85EKPKfKPfEviT_PT9_S5_lS7_S5_lPT10_S5_li,comdat
	.globl	_ZL37rocblas_syrkx_herkx_restricted_kernelIlfLi16ELi32ELi8ELi1ELi0ELb0ELc67ELc85EKPKfKPfEviT_PT9_S5_lS7_S5_lPT10_S5_li ; -- Begin function _ZL37rocblas_syrkx_herkx_restricted_kernelIlfLi16ELi32ELi8ELi1ELi0ELb0ELc67ELc85EKPKfKPfEviT_PT9_S5_lS7_S5_lPT10_S5_li
	.p2align	8
	.type	_ZL37rocblas_syrkx_herkx_restricted_kernelIlfLi16ELi32ELi8ELi1ELi0ELb0ELc67ELc85EKPKfKPfEviT_PT9_S5_lS7_S5_lPT10_S5_li,@function
_ZL37rocblas_syrkx_herkx_restricted_kernelIlfLi16ELi32ELi8ELi1ELi0ELb0ELc67ELc85EKPKfKPfEviT_PT9_S5_lS7_S5_lPT10_S5_li: ; @_ZL37rocblas_syrkx_herkx_restricted_kernelIlfLi16ELi32ELi8ELi1ELi0ELb0ELc67ELc85EKPKfKPfEviT_PT9_S5_lS7_S5_lPT10_S5_li
; %bb.0:
	s_load_dwordx4 s[0:3], s[4:5], 0x40
	s_load_dwordx4 s[12:15], s[4:5], 0x8
	s_mov_b32 s9, 0
	s_lshl_b64 s[10:11], s[8:9], 3
	s_waitcnt lgkmcnt(0)
	s_add_u32 s0, s0, s10
	s_addc_u32 s1, s1, s11
	s_load_dwordx2 s[8:9], s[0:1], 0x0
	v_cmp_lt_i64_e64 s[0:1], s[12:13], 1
	s_lshl_b32 s16, s6, 5
	s_lshl_b32 s17, s7, 5
	s_and_b64 vcc, exec, s[0:1]
	s_cbranch_vccnz .LBB1404_3
; %bb.1:
	s_load_dwordx2 s[0:1], s[4:5], 0x18
	s_load_dwordx4 s[20:23], s[4:5], 0x28
	v_lshl_add_u32 v4, v1, 4, v0
	v_lshrrev_b32_e32 v8, 3, v4
	v_add_u32_e32 v5, s17, v8
	s_add_u32 s6, s14, s10
	v_ashrrev_i32_e32 v6, 31, v5
	v_and_b32_e32 v2, 7, v0
	v_mov_b32_e32 v3, 0
	s_addc_u32 s7, s15, s11
	s_waitcnt lgkmcnt(0)
	v_mul_lo_u32 v9, s22, v6
	v_mul_lo_u32 v10, s23, v5
	v_mad_u64_u32 v[6:7], s[14:15], s22, v5, v[2:3]
	v_lshlrev_b32_e32 v2, 2, v2
	v_lshl_or_b32 v2, v8, 5, v2
	v_add3_u32 v7, v10, v7, v9
	v_and_b32_e32 v9, 31, v4
	v_add_u32_e32 v11, 0x400, v2
	v_add_u32_e32 v2, s16, v9
	v_lshrrev_b32_e32 v4, 5, v4
	v_mov_b32_e32 v5, v3
	v_lshlrev_b32_e32 v10, 2, v9
	v_ashrrev_i32_e32 v8, 31, v2
	v_lshl_or_b32 v10, v4, 7, v10
	v_mul_lo_u32 v8, s0, v8
	v_mad_u64_u32 v[4:5], s[14:15], s0, v2, v[4:5]
	v_mul_lo_u32 v2, s1, v2
	s_load_dwordx2 s[6:7], s[6:7], 0x0
	s_add_u32 s10, s20, s10
	s_addc_u32 s11, s21, s11
	s_load_dwordx2 s[10:11], s[10:11], 0x0
	v_add3_u32 v5, v2, v5, v8
	v_lshlrev_b64 v[4:5], 2, v[4:5]
	s_waitcnt lgkmcnt(0)
	v_mov_b32_e32 v2, s7
	v_add_co_u32_e32 v4, vcc, s6, v4
	v_lshlrev_b64 v[6:7], 2, v[6:7]
	v_addc_co_u32_e32 v5, vcc, v2, v5, vcc
	v_mov_b32_e32 v9, 0x400
	v_mov_b32_e32 v2, s11
	v_add_co_u32_e32 v6, vcc, s10, v6
	v_lshlrev_b32_e32 v12, 2, v0
	v_lshl_add_u32 v13, v1, 5, v9
	v_addc_co_u32_e32 v7, vcc, v2, v7, vcc
	s_mov_b64 s[6:7], 0
	v_mov_b32_e32 v2, v3
	v_mov_b32_e32 v8, v3
	;; [unrolled: 1-line block ×3, first 2 shown]
.LBB1404_2:                             ; =>This Inner Loop Header: Depth=1
	flat_load_dword v14, v[4:5]
	s_add_u32 s6, s6, 8
	s_addc_u32 s7, s7, 0
	v_add_co_u32_e64 v4, s[0:1], 32, v4
	v_addc_co_u32_e64 v5, s[0:1], 0, v5, s[0:1]
	s_waitcnt vmcnt(0) lgkmcnt(0)
	ds_write_b32 v10, v14
	flat_load_dword v14, v[6:7]
	v_add_co_u32_e64 v6, s[0:1], 32, v6
	v_addc_co_u32_e64 v7, s[0:1], 0, v7, s[0:1]
	s_waitcnt vmcnt(0) lgkmcnt(0)
	ds_write_b32 v11, v14
	s_waitcnt lgkmcnt(0)
	s_barrier
	ds_read2_b32 v[26:27], v12 offset1:16
	ds_read_b128 v[14:17], v13
	ds_read2_b32 v[28:29], v12 offset0:32 offset1:48
	ds_read2_b32 v[30:31], v12 offset0:64 offset1:80
	ds_read_b128 v[18:21], v13 offset:16
	ds_read2_b32 v[32:33], v12 offset0:96 offset1:112
	s_waitcnt lgkmcnt(4)
	v_fmac_f32_e32 v9, v26, v14
	v_fmac_f32_e32 v8, v27, v14
	s_waitcnt lgkmcnt(3)
	v_fmac_f32_e32 v9, v28, v15
	v_fmac_f32_e32 v8, v29, v15
	v_mov_b32_e32 v15, s7
	s_waitcnt lgkmcnt(2)
	v_fmac_f32_e32 v9, v30, v16
	v_fmac_f32_e32 v8, v31, v16
	v_mov_b32_e32 v14, s6
	s_waitcnt lgkmcnt(0)
	v_fmac_f32_e32 v9, v32, v17
	v_fmac_f32_e32 v8, v33, v17
	v_cmp_le_u64_e32 vcc, s[12:13], v[14:15]
	ds_read_b128 v[14:17], v13 offset:512
	ds_read_b128 v[22:25], v13 offset:528
	s_and_b64 vcc, exec, vcc
	s_waitcnt lgkmcnt(1)
	v_fmac_f32_e32 v2, v26, v14
	v_fmac_f32_e32 v3, v27, v14
	;; [unrolled: 1-line block ×8, first 2 shown]
	ds_read2_b32 v[14:15], v12 offset0:128 offset1:144
	ds_read2_b32 v[16:17], v12 offset0:160 offset1:176
	;; [unrolled: 1-line block ×3, first 2 shown]
	s_waitcnt lgkmcnt(2)
	v_fmac_f32_e32 v9, v14, v18
	v_fmac_f32_e32 v8, v15, v18
	;; [unrolled: 1-line block ×4, first 2 shown]
	ds_read2_b32 v[14:15], v12 offset0:224 offset1:240
	s_waitcnt lgkmcnt(2)
	v_fmac_f32_e32 v9, v16, v19
	v_fmac_f32_e32 v8, v17, v19
	v_fmac_f32_e32 v2, v16, v23
	v_fmac_f32_e32 v3, v17, v23
	s_waitcnt lgkmcnt(1)
	v_fmac_f32_e32 v9, v26, v20
	v_fmac_f32_e32 v8, v27, v20
	v_fmac_f32_e32 v2, v26, v24
	v_fmac_f32_e32 v3, v27, v24
	;; [unrolled: 5-line block ×3, first 2 shown]
	s_barrier
	s_cbranch_vccz .LBB1404_2
	s_branch .LBB1404_4
.LBB1404_3:
	v_mov_b32_e32 v9, 0
	v_mov_b32_e32 v8, 0
	;; [unrolled: 1-line block ×4, first 2 shown]
.LBB1404_4:
	v_add_u32_e32 v6, s17, v1
	v_ashrrev_i32_e32 v1, 31, v6
	v_mul_lo_u32 v1, s2, v1
	v_mul_lo_u32 v7, s3, v6
	v_mad_u64_u32 v[4:5], s[0:1], s2, v6, 0
	s_load_dword s6, s[4:5], 0x0
	v_add_u32_e32 v0, s16, v0
	v_add3_u32 v5, v5, v1, v7
	v_lshlrev_b64 v[4:5], 2, v[4:5]
	s_waitcnt lgkmcnt(0)
	v_mov_b32_e32 v1, s9
	v_add_co_u32_e64 v7, s[0:1], s8, v4
	v_addc_co_u32_e64 v10, s[0:1], v1, v5, s[0:1]
	v_cmp_gt_i32_e32 vcc, s6, v6
	v_cmp_le_i32_e64 s[0:1], v0, v6
	s_and_b64 s[0:1], vcc, s[0:1]
	s_and_saveexec_b64 s[4:5], s[0:1]
	s_cbranch_execz .LBB1404_6
; %bb.5:
	v_ashrrev_i32_e32 v1, 31, v0
	v_lshlrev_b64 v[4:5], 2, v[0:1]
	v_add_co_u32_e64 v4, s[0:1], v7, v4
	v_addc_co_u32_e64 v5, s[0:1], v10, v5, s[0:1]
	flat_store_dword v[4:5], v9
.LBB1404_6:
	s_or_b64 exec, exec, s[4:5]
	v_add_u32_e32 v4, 16, v0
	v_cmp_le_i32_e64 s[0:1], v4, v6
	s_and_b64 s[4:5], vcc, s[0:1]
	s_and_saveexec_b64 s[0:1], s[4:5]
	s_cbranch_execz .LBB1404_8
; %bb.7:
	v_ashrrev_i32_e32 v5, 31, v4
	v_lshlrev_b64 v[11:12], 2, v[4:5]
	v_add_co_u32_e32 v9, vcc, v7, v11
	v_addc_co_u32_e32 v10, vcc, v10, v12, vcc
	flat_store_dword v[9:10], v8
.LBB1404_8:
	s_or_b64 exec, exec, s[0:1]
	v_add_u32_e32 v5, 16, v6
	v_ashrrev_i32_e32 v1, 31, v5
	v_mul_lo_u32 v1, s2, v1
	v_mul_lo_u32 v8, s3, v5
	v_mad_u64_u32 v[6:7], s[0:1], s2, v5, 0
	v_cmp_gt_i32_e32 vcc, s6, v5
	v_add3_u32 v7, v7, v1, v8
	v_lshlrev_b64 v[6:7], 2, v[6:7]
	v_mov_b32_e32 v1, s9
	v_add_co_u32_e64 v6, s[0:1], s8, v6
	v_addc_co_u32_e64 v7, s[0:1], v1, v7, s[0:1]
	v_cmp_le_i32_e64 s[0:1], v0, v5
	s_and_b64 s[0:1], vcc, s[0:1]
	s_and_saveexec_b64 s[2:3], s[0:1]
	s_cbranch_execz .LBB1404_10
; %bb.9:
	v_ashrrev_i32_e32 v1, 31, v0
	v_lshlrev_b64 v[0:1], 2, v[0:1]
	v_add_co_u32_e64 v0, s[0:1], v6, v0
	v_addc_co_u32_e64 v1, s[0:1], v7, v1, s[0:1]
	flat_store_dword v[0:1], v2
.LBB1404_10:
	s_or_b64 exec, exec, s[2:3]
	v_cmp_le_i32_e64 s[0:1], v4, v5
	s_and_b64 s[0:1], vcc, s[0:1]
	s_and_saveexec_b64 s[2:3], s[0:1]
	s_cbranch_execz .LBB1404_12
; %bb.11:
	v_ashrrev_i32_e32 v5, 31, v4
	v_lshlrev_b64 v[0:1], 2, v[4:5]
	v_add_co_u32_e32 v0, vcc, v6, v0
	v_addc_co_u32_e32 v1, vcc, v7, v1, vcc
	flat_store_dword v[0:1], v3
.LBB1404_12:
	s_endpgm
	.section	.rodata,"a",@progbits
	.p2align	6, 0x0
	.amdhsa_kernel _ZL37rocblas_syrkx_herkx_restricted_kernelIlfLi16ELi32ELi8ELi1ELi0ELb0ELc67ELc85EKPKfKPfEviT_PT9_S5_lS7_S5_lPT10_S5_li
		.amdhsa_group_segment_fixed_size 2048
		.amdhsa_private_segment_fixed_size 0
		.amdhsa_kernarg_size 92
		.amdhsa_user_sgpr_count 6
		.amdhsa_user_sgpr_private_segment_buffer 1
		.amdhsa_user_sgpr_dispatch_ptr 0
		.amdhsa_user_sgpr_queue_ptr 0
		.amdhsa_user_sgpr_kernarg_segment_ptr 1
		.amdhsa_user_sgpr_dispatch_id 0
		.amdhsa_user_sgpr_flat_scratch_init 0
		.amdhsa_user_sgpr_private_segment_size 0
		.amdhsa_uses_dynamic_stack 0
		.amdhsa_system_sgpr_private_segment_wavefront_offset 0
		.amdhsa_system_sgpr_workgroup_id_x 1
		.amdhsa_system_sgpr_workgroup_id_y 1
		.amdhsa_system_sgpr_workgroup_id_z 1
		.amdhsa_system_sgpr_workgroup_info 0
		.amdhsa_system_vgpr_workitem_id 1
		.amdhsa_next_free_vgpr 34
		.amdhsa_next_free_sgpr 24
		.amdhsa_reserve_vcc 1
		.amdhsa_reserve_flat_scratch 0
		.amdhsa_float_round_mode_32 0
		.amdhsa_float_round_mode_16_64 0
		.amdhsa_float_denorm_mode_32 3
		.amdhsa_float_denorm_mode_16_64 3
		.amdhsa_dx10_clamp 1
		.amdhsa_ieee_mode 1
		.amdhsa_fp16_overflow 0
		.amdhsa_exception_fp_ieee_invalid_op 0
		.amdhsa_exception_fp_denorm_src 0
		.amdhsa_exception_fp_ieee_div_zero 0
		.amdhsa_exception_fp_ieee_overflow 0
		.amdhsa_exception_fp_ieee_underflow 0
		.amdhsa_exception_fp_ieee_inexact 0
		.amdhsa_exception_int_div_zero 0
	.end_amdhsa_kernel
	.section	.text._ZL37rocblas_syrkx_herkx_restricted_kernelIlfLi16ELi32ELi8ELi1ELi0ELb0ELc67ELc85EKPKfKPfEviT_PT9_S5_lS7_S5_lPT10_S5_li,"axG",@progbits,_ZL37rocblas_syrkx_herkx_restricted_kernelIlfLi16ELi32ELi8ELi1ELi0ELb0ELc67ELc85EKPKfKPfEviT_PT9_S5_lS7_S5_lPT10_S5_li,comdat
.Lfunc_end1404:
	.size	_ZL37rocblas_syrkx_herkx_restricted_kernelIlfLi16ELi32ELi8ELi1ELi0ELb0ELc67ELc85EKPKfKPfEviT_PT9_S5_lS7_S5_lPT10_S5_li, .Lfunc_end1404-_ZL37rocblas_syrkx_herkx_restricted_kernelIlfLi16ELi32ELi8ELi1ELi0ELb0ELc67ELc85EKPKfKPfEviT_PT9_S5_lS7_S5_lPT10_S5_li
                                        ; -- End function
	.set _ZL37rocblas_syrkx_herkx_restricted_kernelIlfLi16ELi32ELi8ELi1ELi0ELb0ELc67ELc85EKPKfKPfEviT_PT9_S5_lS7_S5_lPT10_S5_li.num_vgpr, 34
	.set _ZL37rocblas_syrkx_herkx_restricted_kernelIlfLi16ELi32ELi8ELi1ELi0ELb0ELc67ELc85EKPKfKPfEviT_PT9_S5_lS7_S5_lPT10_S5_li.num_agpr, 0
	.set _ZL37rocblas_syrkx_herkx_restricted_kernelIlfLi16ELi32ELi8ELi1ELi0ELb0ELc67ELc85EKPKfKPfEviT_PT9_S5_lS7_S5_lPT10_S5_li.numbered_sgpr, 24
	.set _ZL37rocblas_syrkx_herkx_restricted_kernelIlfLi16ELi32ELi8ELi1ELi0ELb0ELc67ELc85EKPKfKPfEviT_PT9_S5_lS7_S5_lPT10_S5_li.num_named_barrier, 0
	.set _ZL37rocblas_syrkx_herkx_restricted_kernelIlfLi16ELi32ELi8ELi1ELi0ELb0ELc67ELc85EKPKfKPfEviT_PT9_S5_lS7_S5_lPT10_S5_li.private_seg_size, 0
	.set _ZL37rocblas_syrkx_herkx_restricted_kernelIlfLi16ELi32ELi8ELi1ELi0ELb0ELc67ELc85EKPKfKPfEviT_PT9_S5_lS7_S5_lPT10_S5_li.uses_vcc, 1
	.set _ZL37rocblas_syrkx_herkx_restricted_kernelIlfLi16ELi32ELi8ELi1ELi0ELb0ELc67ELc85EKPKfKPfEviT_PT9_S5_lS7_S5_lPT10_S5_li.uses_flat_scratch, 0
	.set _ZL37rocblas_syrkx_herkx_restricted_kernelIlfLi16ELi32ELi8ELi1ELi0ELb0ELc67ELc85EKPKfKPfEviT_PT9_S5_lS7_S5_lPT10_S5_li.has_dyn_sized_stack, 0
	.set _ZL37rocblas_syrkx_herkx_restricted_kernelIlfLi16ELi32ELi8ELi1ELi0ELb0ELc67ELc85EKPKfKPfEviT_PT9_S5_lS7_S5_lPT10_S5_li.has_recursion, 0
	.set _ZL37rocblas_syrkx_herkx_restricted_kernelIlfLi16ELi32ELi8ELi1ELi0ELb0ELc67ELc85EKPKfKPfEviT_PT9_S5_lS7_S5_lPT10_S5_li.has_indirect_call, 0
	.section	.AMDGPU.csdata,"",@progbits
; Kernel info:
; codeLenInByte = 1124
; TotalNumSgprs: 28
; NumVgprs: 34
; ScratchSize: 0
; MemoryBound: 0
; FloatMode: 240
; IeeeMode: 1
; LDSByteSize: 2048 bytes/workgroup (compile time only)
; SGPRBlocks: 3
; VGPRBlocks: 8
; NumSGPRsForWavesPerEU: 28
; NumVGPRsForWavesPerEU: 34
; Occupancy: 7
; WaveLimiterHint : 1
; COMPUTE_PGM_RSRC2:SCRATCH_EN: 0
; COMPUTE_PGM_RSRC2:USER_SGPR: 6
; COMPUTE_PGM_RSRC2:TRAP_HANDLER: 0
; COMPUTE_PGM_RSRC2:TGID_X_EN: 1
; COMPUTE_PGM_RSRC2:TGID_Y_EN: 1
; COMPUTE_PGM_RSRC2:TGID_Z_EN: 1
; COMPUTE_PGM_RSRC2:TIDIG_COMP_CNT: 1
	.section	.text._ZL37rocblas_syrkx_herkx_restricted_kernelIlfLi16ELi32ELi8ELi1ELi0ELb0ELc78ELc85EKPKfKPfEviT_PT9_S5_lS7_S5_lPT10_S5_li,"axG",@progbits,_ZL37rocblas_syrkx_herkx_restricted_kernelIlfLi16ELi32ELi8ELi1ELi0ELb0ELc78ELc85EKPKfKPfEviT_PT9_S5_lS7_S5_lPT10_S5_li,comdat
	.globl	_ZL37rocblas_syrkx_herkx_restricted_kernelIlfLi16ELi32ELi8ELi1ELi0ELb0ELc78ELc85EKPKfKPfEviT_PT9_S5_lS7_S5_lPT10_S5_li ; -- Begin function _ZL37rocblas_syrkx_herkx_restricted_kernelIlfLi16ELi32ELi8ELi1ELi0ELb0ELc78ELc85EKPKfKPfEviT_PT9_S5_lS7_S5_lPT10_S5_li
	.p2align	8
	.type	_ZL37rocblas_syrkx_herkx_restricted_kernelIlfLi16ELi32ELi8ELi1ELi0ELb0ELc78ELc85EKPKfKPfEviT_PT9_S5_lS7_S5_lPT10_S5_li,@function
_ZL37rocblas_syrkx_herkx_restricted_kernelIlfLi16ELi32ELi8ELi1ELi0ELb0ELc78ELc85EKPKfKPfEviT_PT9_S5_lS7_S5_lPT10_S5_li: ; @_ZL37rocblas_syrkx_herkx_restricted_kernelIlfLi16ELi32ELi8ELi1ELi0ELb0ELc78ELc85EKPKfKPfEviT_PT9_S5_lS7_S5_lPT10_S5_li
; %bb.0:
	s_load_dwordx4 s[0:3], s[4:5], 0x40
	s_load_dwordx4 s[12:15], s[4:5], 0x8
	s_mov_b32 s9, 0
	s_lshl_b64 s[18:19], s[8:9], 3
	s_waitcnt lgkmcnt(0)
	s_add_u32 s0, s0, s18
	s_addc_u32 s1, s1, s19
	s_load_dwordx2 s[16:17], s[0:1], 0x0
	v_cmp_lt_i64_e64 s[0:1], s[12:13], 1
	s_lshl_b32 s20, s6, 5
	s_lshl_b32 s21, s7, 5
	s_and_b64 vcc, exec, s[0:1]
	s_cbranch_vccnz .LBB1405_3
; %bb.1:
	s_load_dwordx2 s[0:1], s[4:5], 0x18
	s_load_dwordx4 s[8:11], s[4:5], 0x28
	v_lshl_add_u32 v7, v1, 4, v0
	v_lshrrev_b32_e32 v8, 3, v7
	v_add_u32_e32 v2, s21, v8
	v_and_b32_e32 v6, 7, v0
	v_ashrrev_i32_e32 v3, 31, v2
	s_waitcnt lgkmcnt(0)
	v_mad_u64_u32 v[4:5], s[6:7], s10, v6, v[2:3]
	s_add_u32 s6, s14, s18
	s_addc_u32 s7, s15, s19
	v_mov_b32_e32 v2, v5
	v_mad_u64_u32 v[2:3], s[14:15], s11, v6, v[2:3]
	v_lshrrev_b32_e32 v9, 5, v7
	v_lshlrev_b32_e32 v6, 2, v6
	v_mov_b32_e32 v5, v2
	v_and_b32_e32 v2, 31, v7
	v_lshlrev_b32_e32 v3, 2, v2
	v_add_u32_e32 v2, s20, v2
	v_lshl_or_b32 v10, v9, 7, v3
	v_ashrrev_i32_e32 v3, 31, v2
	v_mad_u64_u32 v[2:3], s[14:15], s0, v9, v[2:3]
	v_lshl_or_b32 v6, v8, 5, v6
	v_add_u32_e32 v11, 0x400, v6
	v_mad_u64_u32 v[6:7], s[14:15], s1, v9, v[3:4]
	s_load_dwordx2 s[6:7], s[6:7], 0x0
	s_add_u32 s8, s8, s18
	s_addc_u32 s9, s9, s19
	v_mov_b32_e32 v3, 0x400
	s_load_dwordx2 s[8:9], s[8:9], 0x0
	v_lshl_add_u32 v13, v1, 5, v3
	v_mov_b32_e32 v3, v6
	v_lshlrev_b64 v[2:3], 2, v[2:3]
	s_waitcnt lgkmcnt(0)
	v_mov_b32_e32 v6, s7
	v_add_co_u32_e32 v2, vcc, s6, v2
	v_lshlrev_b64 v[4:5], 2, v[4:5]
	v_addc_co_u32_e32 v3, vcc, v6, v3, vcc
	v_mov_b32_e32 v6, s9
	v_add_co_u32_e32 v4, vcc, s8, v4
	v_lshlrev_b32_e32 v12, 2, v0
	s_lshl_b64 s[6:7], s[0:1], 5
	v_addc_co_u32_e32 v5, vcc, v6, v5, vcc
	s_lshl_b64 s[8:9], s[10:11], 5
	v_mov_b32_e32 v6, 0
	s_mov_b64 s[10:11], 0
	v_mov_b32_e32 v7, 0
	v_mov_b32_e32 v8, 0
	;; [unrolled: 1-line block ×3, first 2 shown]
.LBB1405_2:                             ; =>This Inner Loop Header: Depth=1
	flat_load_dword v14, v[2:3]
	s_add_u32 s10, s10, 8
	s_addc_u32 s11, s11, 0
	v_add_co_u32_e64 v2, s[0:1], s6, v2
	s_waitcnt vmcnt(0) lgkmcnt(0)
	ds_write_b32 v10, v14
	flat_load_dword v16, v[4:5]
	v_mov_b32_e32 v15, s11
	v_mov_b32_e32 v14, s10
	v_cmp_le_u64_e32 vcc, s[12:13], v[14:15]
	s_and_b64 vcc, exec, vcc
	s_waitcnt vmcnt(0) lgkmcnt(0)
	ds_write_b32 v11, v16
	s_waitcnt lgkmcnt(0)
	s_barrier
	ds_read2_b32 v[26:27], v12 offset1:16
	ds_read_b128 v[14:17], v13
	ds_read2_b32 v[28:29], v12 offset0:32 offset1:48
	ds_read2_b32 v[30:31], v12 offset0:64 offset1:80
	;; [unrolled: 1-line block ×3, first 2 shown]
	ds_read_b128 v[18:21], v13 offset:16
	s_waitcnt lgkmcnt(4)
	v_fmac_f32_e32 v9, v26, v14
	v_fmac_f32_e32 v8, v27, v14
	s_waitcnt lgkmcnt(3)
	v_fmac_f32_e32 v9, v28, v15
	v_fmac_f32_e32 v8, v29, v15
	s_waitcnt lgkmcnt(2)
	v_fmac_f32_e32 v9, v30, v16
	v_fmac_f32_e32 v8, v31, v16
	s_waitcnt lgkmcnt(1)
	v_fmac_f32_e32 v9, v32, v17
	v_fmac_f32_e32 v8, v33, v17
	ds_read_b128 v[14:17], v13 offset:512
	ds_read_b128 v[22:25], v13 offset:528
	s_waitcnt lgkmcnt(1)
	v_fmac_f32_e32 v7, v26, v14
	v_fmac_f32_e32 v6, v27, v14
	v_mov_b32_e32 v14, s7
	v_addc_co_u32_e64 v3, s[0:1], v3, v14, s[0:1]
	v_mov_b32_e32 v14, s9
	v_add_co_u32_e64 v4, s[0:1], s8, v4
	v_fmac_f32_e32 v7, v28, v15
	v_fmac_f32_e32 v6, v29, v15
	v_addc_co_u32_e64 v5, s[0:1], v5, v14, s[0:1]
	ds_read2_b32 v[14:15], v12 offset0:128 offset1:144
	v_fmac_f32_e32 v7, v30, v16
	v_fmac_f32_e32 v6, v31, v16
	;; [unrolled: 1-line block ×4, first 2 shown]
	ds_read2_b32 v[16:17], v12 offset0:160 offset1:176
	ds_read2_b32 v[26:27], v12 offset0:192 offset1:208
	;; [unrolled: 1-line block ×3, first 2 shown]
	s_waitcnt lgkmcnt(3)
	v_fmac_f32_e32 v9, v14, v18
	v_fmac_f32_e32 v8, v15, v18
	v_fmac_f32_e32 v7, v14, v22
	v_fmac_f32_e32 v6, v15, v22
	s_waitcnt lgkmcnt(2)
	v_fmac_f32_e32 v9, v16, v19
	v_fmac_f32_e32 v8, v17, v19
	v_fmac_f32_e32 v7, v16, v23
	v_fmac_f32_e32 v6, v17, v23
	;; [unrolled: 5-line block ×4, first 2 shown]
	s_barrier
	s_cbranch_vccz .LBB1405_2
	s_branch .LBB1405_4
.LBB1405_3:
	v_mov_b32_e32 v9, 0
	v_mov_b32_e32 v8, 0
	;; [unrolled: 1-line block ×4, first 2 shown]
.LBB1405_4:
	v_add_u32_e32 v4, s21, v1
	v_ashrrev_i32_e32 v1, 31, v4
	v_mul_lo_u32 v3, s2, v1
	v_mul_lo_u32 v5, s3, v4
	v_mad_u64_u32 v[1:2], s[0:1], s2, v4, 0
	s_load_dword s6, s[4:5], 0x0
	v_add_u32_e32 v0, s20, v0
	v_add3_u32 v2, v2, v3, v5
	v_lshlrev_b64 v[1:2], 2, v[1:2]
	s_waitcnt lgkmcnt(0)
	v_mov_b32_e32 v3, s17
	v_add_co_u32_e64 v5, s[0:1], s16, v1
	v_addc_co_u32_e64 v10, s[0:1], v3, v2, s[0:1]
	v_cmp_gt_i32_e32 vcc, s6, v4
	v_cmp_le_i32_e64 s[0:1], v0, v4
	s_and_b64 s[0:1], vcc, s[0:1]
	s_and_saveexec_b64 s[4:5], s[0:1]
	s_cbranch_execz .LBB1405_6
; %bb.5:
	v_ashrrev_i32_e32 v1, 31, v0
	v_lshlrev_b64 v[1:2], 2, v[0:1]
	v_add_co_u32_e64 v1, s[0:1], v5, v1
	v_addc_co_u32_e64 v2, s[0:1], v10, v2, s[0:1]
	flat_store_dword v[1:2], v9
.LBB1405_6:
	s_or_b64 exec, exec, s[4:5]
	v_add_u32_e32 v2, 16, v0
	v_cmp_le_i32_e64 s[0:1], v2, v4
	s_and_b64 s[4:5], vcc, s[0:1]
	s_and_saveexec_b64 s[0:1], s[4:5]
	s_cbranch_execz .LBB1405_8
; %bb.7:
	v_ashrrev_i32_e32 v3, 31, v2
	v_lshlrev_b64 v[11:12], 2, v[2:3]
	v_add_co_u32_e32 v9, vcc, v5, v11
	v_addc_co_u32_e32 v10, vcc, v10, v12, vcc
	flat_store_dword v[9:10], v8
.LBB1405_8:
	s_or_b64 exec, exec, s[0:1]
	v_add_u32_e32 v3, 16, v4
	v_ashrrev_i32_e32 v1, 31, v3
	v_mul_lo_u32 v1, s2, v1
	v_mul_lo_u32 v8, s3, v3
	v_mad_u64_u32 v[4:5], s[0:1], s2, v3, 0
	v_cmp_gt_i32_e32 vcc, s6, v3
	v_add3_u32 v5, v5, v1, v8
	v_lshlrev_b64 v[4:5], 2, v[4:5]
	v_mov_b32_e32 v1, s17
	v_add_co_u32_e64 v4, s[0:1], s16, v4
	v_addc_co_u32_e64 v5, s[0:1], v1, v5, s[0:1]
	v_cmp_le_i32_e64 s[0:1], v0, v3
	s_and_b64 s[0:1], vcc, s[0:1]
	s_and_saveexec_b64 s[2:3], s[0:1]
	s_cbranch_execz .LBB1405_10
; %bb.9:
	v_ashrrev_i32_e32 v1, 31, v0
	v_lshlrev_b64 v[0:1], 2, v[0:1]
	v_add_co_u32_e64 v0, s[0:1], v4, v0
	v_addc_co_u32_e64 v1, s[0:1], v5, v1, s[0:1]
	flat_store_dword v[0:1], v7
.LBB1405_10:
	s_or_b64 exec, exec, s[2:3]
	v_cmp_le_i32_e64 s[0:1], v2, v3
	s_and_b64 s[0:1], vcc, s[0:1]
	s_and_saveexec_b64 s[2:3], s[0:1]
	s_cbranch_execz .LBB1405_12
; %bb.11:
	v_ashrrev_i32_e32 v3, 31, v2
	v_lshlrev_b64 v[0:1], 2, v[2:3]
	v_add_co_u32_e32 v0, vcc, v4, v0
	v_addc_co_u32_e32 v1, vcc, v5, v1, vcc
	flat_store_dword v[0:1], v6
.LBB1405_12:
	s_endpgm
	.section	.rodata,"a",@progbits
	.p2align	6, 0x0
	.amdhsa_kernel _ZL37rocblas_syrkx_herkx_restricted_kernelIlfLi16ELi32ELi8ELi1ELi0ELb0ELc78ELc85EKPKfKPfEviT_PT9_S5_lS7_S5_lPT10_S5_li
		.amdhsa_group_segment_fixed_size 2048
		.amdhsa_private_segment_fixed_size 0
		.amdhsa_kernarg_size 92
		.amdhsa_user_sgpr_count 6
		.amdhsa_user_sgpr_private_segment_buffer 1
		.amdhsa_user_sgpr_dispatch_ptr 0
		.amdhsa_user_sgpr_queue_ptr 0
		.amdhsa_user_sgpr_kernarg_segment_ptr 1
		.amdhsa_user_sgpr_dispatch_id 0
		.amdhsa_user_sgpr_flat_scratch_init 0
		.amdhsa_user_sgpr_private_segment_size 0
		.amdhsa_uses_dynamic_stack 0
		.amdhsa_system_sgpr_private_segment_wavefront_offset 0
		.amdhsa_system_sgpr_workgroup_id_x 1
		.amdhsa_system_sgpr_workgroup_id_y 1
		.amdhsa_system_sgpr_workgroup_id_z 1
		.amdhsa_system_sgpr_workgroup_info 0
		.amdhsa_system_vgpr_workitem_id 1
		.amdhsa_next_free_vgpr 34
		.amdhsa_next_free_sgpr 22
		.amdhsa_reserve_vcc 1
		.amdhsa_reserve_flat_scratch 0
		.amdhsa_float_round_mode_32 0
		.amdhsa_float_round_mode_16_64 0
		.amdhsa_float_denorm_mode_32 3
		.amdhsa_float_denorm_mode_16_64 3
		.amdhsa_dx10_clamp 1
		.amdhsa_ieee_mode 1
		.amdhsa_fp16_overflow 0
		.amdhsa_exception_fp_ieee_invalid_op 0
		.amdhsa_exception_fp_denorm_src 0
		.amdhsa_exception_fp_ieee_div_zero 0
		.amdhsa_exception_fp_ieee_overflow 0
		.amdhsa_exception_fp_ieee_underflow 0
		.amdhsa_exception_fp_ieee_inexact 0
		.amdhsa_exception_int_div_zero 0
	.end_amdhsa_kernel
	.section	.text._ZL37rocblas_syrkx_herkx_restricted_kernelIlfLi16ELi32ELi8ELi1ELi0ELb0ELc78ELc85EKPKfKPfEviT_PT9_S5_lS7_S5_lPT10_S5_li,"axG",@progbits,_ZL37rocblas_syrkx_herkx_restricted_kernelIlfLi16ELi32ELi8ELi1ELi0ELb0ELc78ELc85EKPKfKPfEviT_PT9_S5_lS7_S5_lPT10_S5_li,comdat
.Lfunc_end1405:
	.size	_ZL37rocblas_syrkx_herkx_restricted_kernelIlfLi16ELi32ELi8ELi1ELi0ELb0ELc78ELc85EKPKfKPfEviT_PT9_S5_lS7_S5_lPT10_S5_li, .Lfunc_end1405-_ZL37rocblas_syrkx_herkx_restricted_kernelIlfLi16ELi32ELi8ELi1ELi0ELb0ELc78ELc85EKPKfKPfEviT_PT9_S5_lS7_S5_lPT10_S5_li
                                        ; -- End function
	.set _ZL37rocblas_syrkx_herkx_restricted_kernelIlfLi16ELi32ELi8ELi1ELi0ELb0ELc78ELc85EKPKfKPfEviT_PT9_S5_lS7_S5_lPT10_S5_li.num_vgpr, 34
	.set _ZL37rocblas_syrkx_herkx_restricted_kernelIlfLi16ELi32ELi8ELi1ELi0ELb0ELc78ELc85EKPKfKPfEviT_PT9_S5_lS7_S5_lPT10_S5_li.num_agpr, 0
	.set _ZL37rocblas_syrkx_herkx_restricted_kernelIlfLi16ELi32ELi8ELi1ELi0ELb0ELc78ELc85EKPKfKPfEviT_PT9_S5_lS7_S5_lPT10_S5_li.numbered_sgpr, 22
	.set _ZL37rocblas_syrkx_herkx_restricted_kernelIlfLi16ELi32ELi8ELi1ELi0ELb0ELc78ELc85EKPKfKPfEviT_PT9_S5_lS7_S5_lPT10_S5_li.num_named_barrier, 0
	.set _ZL37rocblas_syrkx_herkx_restricted_kernelIlfLi16ELi32ELi8ELi1ELi0ELb0ELc78ELc85EKPKfKPfEviT_PT9_S5_lS7_S5_lPT10_S5_li.private_seg_size, 0
	.set _ZL37rocblas_syrkx_herkx_restricted_kernelIlfLi16ELi32ELi8ELi1ELi0ELb0ELc78ELc85EKPKfKPfEviT_PT9_S5_lS7_S5_lPT10_S5_li.uses_vcc, 1
	.set _ZL37rocblas_syrkx_herkx_restricted_kernelIlfLi16ELi32ELi8ELi1ELi0ELb0ELc78ELc85EKPKfKPfEviT_PT9_S5_lS7_S5_lPT10_S5_li.uses_flat_scratch, 0
	.set _ZL37rocblas_syrkx_herkx_restricted_kernelIlfLi16ELi32ELi8ELi1ELi0ELb0ELc78ELc85EKPKfKPfEviT_PT9_S5_lS7_S5_lPT10_S5_li.has_dyn_sized_stack, 0
	.set _ZL37rocblas_syrkx_herkx_restricted_kernelIlfLi16ELi32ELi8ELi1ELi0ELb0ELc78ELc85EKPKfKPfEviT_PT9_S5_lS7_S5_lPT10_S5_li.has_recursion, 0
	.set _ZL37rocblas_syrkx_herkx_restricted_kernelIlfLi16ELi32ELi8ELi1ELi0ELb0ELc78ELc85EKPKfKPfEviT_PT9_S5_lS7_S5_lPT10_S5_li.has_indirect_call, 0
	.section	.AMDGPU.csdata,"",@progbits
; Kernel info:
; codeLenInByte = 1116
; TotalNumSgprs: 26
; NumVgprs: 34
; ScratchSize: 0
; MemoryBound: 0
; FloatMode: 240
; IeeeMode: 1
; LDSByteSize: 2048 bytes/workgroup (compile time only)
; SGPRBlocks: 3
; VGPRBlocks: 8
; NumSGPRsForWavesPerEU: 26
; NumVGPRsForWavesPerEU: 34
; Occupancy: 7
; WaveLimiterHint : 1
; COMPUTE_PGM_RSRC2:SCRATCH_EN: 0
; COMPUTE_PGM_RSRC2:USER_SGPR: 6
; COMPUTE_PGM_RSRC2:TRAP_HANDLER: 0
; COMPUTE_PGM_RSRC2:TGID_X_EN: 1
; COMPUTE_PGM_RSRC2:TGID_Y_EN: 1
; COMPUTE_PGM_RSRC2:TGID_Z_EN: 1
; COMPUTE_PGM_RSRC2:TIDIG_COMP_CNT: 1
	.section	.text._ZL37rocblas_syrkx_herkx_restricted_kernelIlfLi16ELi32ELi8ELin1ELi0ELb0ELc84ELc76EKPKfKPfEviT_PT9_S5_lS7_S5_lPT10_S5_li,"axG",@progbits,_ZL37rocblas_syrkx_herkx_restricted_kernelIlfLi16ELi32ELi8ELin1ELi0ELb0ELc84ELc76EKPKfKPfEviT_PT9_S5_lS7_S5_lPT10_S5_li,comdat
	.globl	_ZL37rocblas_syrkx_herkx_restricted_kernelIlfLi16ELi32ELi8ELin1ELi0ELb0ELc84ELc76EKPKfKPfEviT_PT9_S5_lS7_S5_lPT10_S5_li ; -- Begin function _ZL37rocblas_syrkx_herkx_restricted_kernelIlfLi16ELi32ELi8ELin1ELi0ELb0ELc84ELc76EKPKfKPfEviT_PT9_S5_lS7_S5_lPT10_S5_li
	.p2align	8
	.type	_ZL37rocblas_syrkx_herkx_restricted_kernelIlfLi16ELi32ELi8ELin1ELi0ELb0ELc84ELc76EKPKfKPfEviT_PT9_S5_lS7_S5_lPT10_S5_li,@function
_ZL37rocblas_syrkx_herkx_restricted_kernelIlfLi16ELi32ELi8ELin1ELi0ELb0ELc84ELc76EKPKfKPfEviT_PT9_S5_lS7_S5_lPT10_S5_li: ; @_ZL37rocblas_syrkx_herkx_restricted_kernelIlfLi16ELi32ELi8ELin1ELi0ELb0ELc84ELc76EKPKfKPfEviT_PT9_S5_lS7_S5_lPT10_S5_li
; %bb.0:
	s_load_dwordx4 s[12:15], s[4:5], 0x40
	s_load_dwordx4 s[16:19], s[4:5], 0x8
	s_mov_b32 s9, 0
	s_lshl_b64 s[0:1], s[8:9], 3
	s_waitcnt lgkmcnt(0)
	s_add_u32 s2, s12, s0
	s_addc_u32 s3, s13, s1
	s_load_dwordx2 s[8:9], s[2:3], 0x0
	v_cmp_lt_i64_e64 s[2:3], s[16:17], 1
	s_lshl_b32 s6, s6, 5
	s_lshl_b32 s7, s7, 5
	s_and_b64 vcc, exec, s[2:3]
	s_cbranch_vccnz .LBB1406_3
; %bb.1:
	s_load_dwordx2 s[2:3], s[4:5], 0x18
	s_load_dwordx4 s[20:23], s[4:5], 0x28
	v_lshl_add_u32 v4, v1, 4, v0
	v_lshrrev_b32_e32 v8, 3, v4
	v_add_u32_e32 v5, s7, v8
	v_ashrrev_i32_e32 v6, 31, v5
	v_and_b32_e32 v2, 7, v0
	v_mov_b32_e32 v3, 0
	s_waitcnt lgkmcnt(0)
	v_mul_lo_u32 v9, s22, v6
	v_mul_lo_u32 v10, s23, v5
	v_mad_u64_u32 v[6:7], s[12:13], s22, v5, v[2:3]
	v_lshlrev_b32_e32 v2, 2, v2
	v_lshl_or_b32 v2, v8, 5, v2
	v_add3_u32 v7, v10, v7, v9
	v_and_b32_e32 v9, 31, v4
	v_add_u32_e32 v11, 0x400, v2
	v_add_u32_e32 v2, s6, v9
	v_lshrrev_b32_e32 v4, 5, v4
	v_mov_b32_e32 v5, v3
	v_lshlrev_b32_e32 v10, 2, v9
	v_ashrrev_i32_e32 v8, 31, v2
	s_add_u32 s10, s18, s0
	v_lshl_or_b32 v10, v4, 7, v10
	v_mul_lo_u32 v8, s2, v8
	v_mad_u64_u32 v[4:5], s[12:13], s2, v2, v[4:5]
	v_mul_lo_u32 v2, s3, v2
	s_addc_u32 s11, s19, s1
	s_load_dwordx2 s[10:11], s[10:11], 0x0
	s_add_u32 s0, s20, s0
	s_addc_u32 s1, s21, s1
	s_load_dwordx2 s[0:1], s[0:1], 0x0
	v_add3_u32 v5, v2, v5, v8
	v_lshlrev_b64 v[4:5], 2, v[4:5]
	s_waitcnt lgkmcnt(0)
	v_mov_b32_e32 v2, s11
	v_add_co_u32_e32 v4, vcc, s10, v4
	v_lshlrev_b64 v[6:7], 2, v[6:7]
	v_addc_co_u32_e32 v5, vcc, v2, v5, vcc
	v_mov_b32_e32 v9, 0x400
	v_mov_b32_e32 v2, s1
	v_add_co_u32_e32 v6, vcc, s0, v6
	v_lshlrev_b32_e32 v12, 2, v0
	v_lshl_add_u32 v13, v1, 5, v9
	v_addc_co_u32_e32 v7, vcc, v2, v7, vcc
	s_mov_b64 s[2:3], 0
	v_mov_b32_e32 v2, v3
	v_mov_b32_e32 v8, v3
	;; [unrolled: 1-line block ×3, first 2 shown]
.LBB1406_2:                             ; =>This Inner Loop Header: Depth=1
	flat_load_dword v14, v[4:5]
	s_add_u32 s2, s2, 8
	s_addc_u32 s3, s3, 0
	v_add_co_u32_e64 v4, s[0:1], 32, v4
	v_addc_co_u32_e64 v5, s[0:1], 0, v5, s[0:1]
	s_waitcnt vmcnt(0) lgkmcnt(0)
	ds_write_b32 v10, v14
	flat_load_dword v14, v[6:7]
	v_add_co_u32_e64 v6, s[0:1], 32, v6
	v_addc_co_u32_e64 v7, s[0:1], 0, v7, s[0:1]
	s_waitcnt vmcnt(0) lgkmcnt(0)
	ds_write_b32 v11, v14
	s_waitcnt lgkmcnt(0)
	s_barrier
	ds_read2_b32 v[26:27], v12 offset1:16
	ds_read_b128 v[14:17], v13
	ds_read2_b32 v[28:29], v12 offset0:32 offset1:48
	ds_read2_b32 v[30:31], v12 offset0:64 offset1:80
	ds_read_b128 v[18:21], v13 offset:16
	ds_read2_b32 v[32:33], v12 offset0:96 offset1:112
	s_waitcnt lgkmcnt(4)
	v_fmac_f32_e32 v9, v26, v14
	v_fmac_f32_e32 v8, v27, v14
	s_waitcnt lgkmcnt(3)
	v_fmac_f32_e32 v9, v28, v15
	v_fmac_f32_e32 v8, v29, v15
	v_mov_b32_e32 v15, s3
	s_waitcnt lgkmcnt(2)
	v_fmac_f32_e32 v9, v30, v16
	v_fmac_f32_e32 v8, v31, v16
	v_mov_b32_e32 v14, s2
	s_waitcnt lgkmcnt(0)
	v_fmac_f32_e32 v9, v32, v17
	v_fmac_f32_e32 v8, v33, v17
	v_cmp_le_u64_e32 vcc, s[16:17], v[14:15]
	ds_read_b128 v[14:17], v13 offset:512
	ds_read_b128 v[22:25], v13 offset:528
	s_and_b64 vcc, exec, vcc
	s_waitcnt lgkmcnt(1)
	v_fmac_f32_e32 v2, v26, v14
	v_fmac_f32_e32 v3, v27, v14
	;; [unrolled: 1-line block ×8, first 2 shown]
	ds_read2_b32 v[14:15], v12 offset0:128 offset1:144
	ds_read2_b32 v[16:17], v12 offset0:160 offset1:176
	;; [unrolled: 1-line block ×3, first 2 shown]
	s_waitcnt lgkmcnt(2)
	v_fmac_f32_e32 v9, v14, v18
	v_fmac_f32_e32 v8, v15, v18
	;; [unrolled: 1-line block ×4, first 2 shown]
	ds_read2_b32 v[14:15], v12 offset0:224 offset1:240
	s_waitcnt lgkmcnt(2)
	v_fmac_f32_e32 v9, v16, v19
	v_fmac_f32_e32 v8, v17, v19
	v_fmac_f32_e32 v2, v16, v23
	v_fmac_f32_e32 v3, v17, v23
	s_waitcnt lgkmcnt(1)
	v_fmac_f32_e32 v9, v26, v20
	v_fmac_f32_e32 v8, v27, v20
	v_fmac_f32_e32 v2, v26, v24
	v_fmac_f32_e32 v3, v27, v24
	;; [unrolled: 5-line block ×3, first 2 shown]
	s_barrier
	s_cbranch_vccz .LBB1406_2
	s_branch .LBB1406_4
.LBB1406_3:
	v_mov_b32_e32 v9, 0
	v_mov_b32_e32 v8, 0
	;; [unrolled: 1-line block ×4, first 2 shown]
.LBB1406_4:
	v_add_u32_e32 v6, s7, v1
	v_ashrrev_i32_e32 v1, 31, v6
	v_mul_lo_u32 v1, s14, v1
	v_mul_lo_u32 v7, s15, v6
	v_mad_u64_u32 v[4:5], s[0:1], s14, v6, 0
	s_load_dword s4, s[4:5], 0x0
	v_add_u32_e32 v0, s6, v0
	v_add3_u32 v5, v5, v1, v7
	v_lshlrev_b64 v[4:5], 2, v[4:5]
	s_waitcnt lgkmcnt(0)
	v_mov_b32_e32 v1, s9
	v_add_co_u32_e32 v7, vcc, s8, v4
	v_addc_co_u32_e32 v10, vcc, v1, v5, vcc
	v_cmp_le_i32_e64 s[0:1], v6, v0
	v_cmp_gt_i32_e32 vcc, s4, v0
	s_and_b64 s[0:1], s[0:1], vcc
	s_and_saveexec_b64 s[2:3], s[0:1]
	s_cbranch_execz .LBB1406_6
; %bb.5:
	v_ashrrev_i32_e32 v1, 31, v0
	v_lshlrev_b64 v[4:5], 2, v[0:1]
	v_xor_b32_e32 v9, 0x80000000, v9
	v_add_co_u32_e64 v4, s[0:1], v7, v4
	v_addc_co_u32_e64 v5, s[0:1], v10, v5, s[0:1]
	flat_store_dword v[4:5], v9
.LBB1406_6:
	s_or_b64 exec, exec, s[2:3]
	v_add_u32_e32 v4, 16, v0
	v_cmp_le_i32_e64 s[2:3], v6, v4
	v_cmp_gt_i32_e64 s[0:1], s4, v4
	s_and_b64 s[2:3], s[2:3], s[0:1]
	s_and_saveexec_b64 s[4:5], s[2:3]
	s_cbranch_execz .LBB1406_8
; %bb.7:
	v_ashrrev_i32_e32 v5, 31, v4
	v_xor_b32_e32 v1, 0x80000000, v8
	v_lshlrev_b64 v[8:9], 2, v[4:5]
	v_add_co_u32_e64 v7, s[2:3], v7, v8
	v_addc_co_u32_e64 v8, s[2:3], v10, v9, s[2:3]
	flat_store_dword v[7:8], v1
.LBB1406_8:
	s_or_b64 exec, exec, s[4:5]
	v_add_u32_e32 v5, 16, v6
	v_ashrrev_i32_e32 v1, 31, v5
	v_mul_lo_u32 v8, s15, v5
	v_mad_u64_u32 v[6:7], s[2:3], s14, v5, 0
	v_mul_lo_u32 v1, s14, v1
	v_add3_u32 v7, v7, v1, v8
	v_lshlrev_b64 v[6:7], 2, v[6:7]
	v_mov_b32_e32 v1, s9
	v_add_co_u32_e64 v6, s[2:3], s8, v6
	v_addc_co_u32_e64 v7, s[2:3], v1, v7, s[2:3]
	v_cmp_le_i32_e64 s[2:3], v5, v0
	s_and_b64 s[4:5], s[2:3], vcc
	s_and_saveexec_b64 s[2:3], s[4:5]
	s_cbranch_execz .LBB1406_10
; %bb.9:
	v_ashrrev_i32_e32 v1, 31, v0
	v_lshlrev_b64 v[0:1], 2, v[0:1]
	v_xor_b32_e32 v2, 0x80000000, v2
	v_add_co_u32_e32 v0, vcc, v6, v0
	v_addc_co_u32_e32 v1, vcc, v7, v1, vcc
	flat_store_dword v[0:1], v2
.LBB1406_10:
	s_or_b64 exec, exec, s[2:3]
	v_cmp_le_i32_e32 vcc, v5, v4
	s_and_b64 s[0:1], vcc, s[0:1]
	s_and_saveexec_b64 s[2:3], s[0:1]
	s_cbranch_execz .LBB1406_12
; %bb.11:
	v_ashrrev_i32_e32 v5, 31, v4
	v_lshlrev_b64 v[0:1], 2, v[4:5]
	v_xor_b32_e32 v2, 0x80000000, v3
	v_add_co_u32_e32 v0, vcc, v6, v0
	v_addc_co_u32_e32 v1, vcc, v7, v1, vcc
	flat_store_dword v[0:1], v2
.LBB1406_12:
	s_endpgm
	.section	.rodata,"a",@progbits
	.p2align	6, 0x0
	.amdhsa_kernel _ZL37rocblas_syrkx_herkx_restricted_kernelIlfLi16ELi32ELi8ELin1ELi0ELb0ELc84ELc76EKPKfKPfEviT_PT9_S5_lS7_S5_lPT10_S5_li
		.amdhsa_group_segment_fixed_size 2048
		.amdhsa_private_segment_fixed_size 0
		.amdhsa_kernarg_size 92
		.amdhsa_user_sgpr_count 6
		.amdhsa_user_sgpr_private_segment_buffer 1
		.amdhsa_user_sgpr_dispatch_ptr 0
		.amdhsa_user_sgpr_queue_ptr 0
		.amdhsa_user_sgpr_kernarg_segment_ptr 1
		.amdhsa_user_sgpr_dispatch_id 0
		.amdhsa_user_sgpr_flat_scratch_init 0
		.amdhsa_user_sgpr_private_segment_size 0
		.amdhsa_uses_dynamic_stack 0
		.amdhsa_system_sgpr_private_segment_wavefront_offset 0
		.amdhsa_system_sgpr_workgroup_id_x 1
		.amdhsa_system_sgpr_workgroup_id_y 1
		.amdhsa_system_sgpr_workgroup_id_z 1
		.amdhsa_system_sgpr_workgroup_info 0
		.amdhsa_system_vgpr_workitem_id 1
		.amdhsa_next_free_vgpr 34
		.amdhsa_next_free_sgpr 24
		.amdhsa_reserve_vcc 1
		.amdhsa_reserve_flat_scratch 0
		.amdhsa_float_round_mode_32 0
		.amdhsa_float_round_mode_16_64 0
		.amdhsa_float_denorm_mode_32 3
		.amdhsa_float_denorm_mode_16_64 3
		.amdhsa_dx10_clamp 1
		.amdhsa_ieee_mode 1
		.amdhsa_fp16_overflow 0
		.amdhsa_exception_fp_ieee_invalid_op 0
		.amdhsa_exception_fp_denorm_src 0
		.amdhsa_exception_fp_ieee_div_zero 0
		.amdhsa_exception_fp_ieee_overflow 0
		.amdhsa_exception_fp_ieee_underflow 0
		.amdhsa_exception_fp_ieee_inexact 0
		.amdhsa_exception_int_div_zero 0
	.end_amdhsa_kernel
	.section	.text._ZL37rocblas_syrkx_herkx_restricted_kernelIlfLi16ELi32ELi8ELin1ELi0ELb0ELc84ELc76EKPKfKPfEviT_PT9_S5_lS7_S5_lPT10_S5_li,"axG",@progbits,_ZL37rocblas_syrkx_herkx_restricted_kernelIlfLi16ELi32ELi8ELin1ELi0ELb0ELc84ELc76EKPKfKPfEviT_PT9_S5_lS7_S5_lPT10_S5_li,comdat
.Lfunc_end1406:
	.size	_ZL37rocblas_syrkx_herkx_restricted_kernelIlfLi16ELi32ELi8ELin1ELi0ELb0ELc84ELc76EKPKfKPfEviT_PT9_S5_lS7_S5_lPT10_S5_li, .Lfunc_end1406-_ZL37rocblas_syrkx_herkx_restricted_kernelIlfLi16ELi32ELi8ELin1ELi0ELb0ELc84ELc76EKPKfKPfEviT_PT9_S5_lS7_S5_lPT10_S5_li
                                        ; -- End function
	.set _ZL37rocblas_syrkx_herkx_restricted_kernelIlfLi16ELi32ELi8ELin1ELi0ELb0ELc84ELc76EKPKfKPfEviT_PT9_S5_lS7_S5_lPT10_S5_li.num_vgpr, 34
	.set _ZL37rocblas_syrkx_herkx_restricted_kernelIlfLi16ELi32ELi8ELin1ELi0ELb0ELc84ELc76EKPKfKPfEviT_PT9_S5_lS7_S5_lPT10_S5_li.num_agpr, 0
	.set _ZL37rocblas_syrkx_herkx_restricted_kernelIlfLi16ELi32ELi8ELin1ELi0ELb0ELc84ELc76EKPKfKPfEviT_PT9_S5_lS7_S5_lPT10_S5_li.numbered_sgpr, 24
	.set _ZL37rocblas_syrkx_herkx_restricted_kernelIlfLi16ELi32ELi8ELin1ELi0ELb0ELc84ELc76EKPKfKPfEviT_PT9_S5_lS7_S5_lPT10_S5_li.num_named_barrier, 0
	.set _ZL37rocblas_syrkx_herkx_restricted_kernelIlfLi16ELi32ELi8ELin1ELi0ELb0ELc84ELc76EKPKfKPfEviT_PT9_S5_lS7_S5_lPT10_S5_li.private_seg_size, 0
	.set _ZL37rocblas_syrkx_herkx_restricted_kernelIlfLi16ELi32ELi8ELin1ELi0ELb0ELc84ELc76EKPKfKPfEviT_PT9_S5_lS7_S5_lPT10_S5_li.uses_vcc, 1
	.set _ZL37rocblas_syrkx_herkx_restricted_kernelIlfLi16ELi32ELi8ELin1ELi0ELb0ELc84ELc76EKPKfKPfEviT_PT9_S5_lS7_S5_lPT10_S5_li.uses_flat_scratch, 0
	.set _ZL37rocblas_syrkx_herkx_restricted_kernelIlfLi16ELi32ELi8ELin1ELi0ELb0ELc84ELc76EKPKfKPfEviT_PT9_S5_lS7_S5_lPT10_S5_li.has_dyn_sized_stack, 0
	.set _ZL37rocblas_syrkx_herkx_restricted_kernelIlfLi16ELi32ELi8ELin1ELi0ELb0ELc84ELc76EKPKfKPfEviT_PT9_S5_lS7_S5_lPT10_S5_li.has_recursion, 0
	.set _ZL37rocblas_syrkx_herkx_restricted_kernelIlfLi16ELi32ELi8ELin1ELi0ELb0ELc84ELc76EKPKfKPfEviT_PT9_S5_lS7_S5_lPT10_S5_li.has_indirect_call, 0
	.section	.AMDGPU.csdata,"",@progbits
; Kernel info:
; codeLenInByte = 1148
; TotalNumSgprs: 28
; NumVgprs: 34
; ScratchSize: 0
; MemoryBound: 0
; FloatMode: 240
; IeeeMode: 1
; LDSByteSize: 2048 bytes/workgroup (compile time only)
; SGPRBlocks: 3
; VGPRBlocks: 8
; NumSGPRsForWavesPerEU: 28
; NumVGPRsForWavesPerEU: 34
; Occupancy: 7
; WaveLimiterHint : 1
; COMPUTE_PGM_RSRC2:SCRATCH_EN: 0
; COMPUTE_PGM_RSRC2:USER_SGPR: 6
; COMPUTE_PGM_RSRC2:TRAP_HANDLER: 0
; COMPUTE_PGM_RSRC2:TGID_X_EN: 1
; COMPUTE_PGM_RSRC2:TGID_Y_EN: 1
; COMPUTE_PGM_RSRC2:TGID_Z_EN: 1
; COMPUTE_PGM_RSRC2:TIDIG_COMP_CNT: 1
	.section	.text._ZL37rocblas_syrkx_herkx_restricted_kernelIlfLi16ELi32ELi8ELin1ELi0ELb0ELc67ELc76EKPKfKPfEviT_PT9_S5_lS7_S5_lPT10_S5_li,"axG",@progbits,_ZL37rocblas_syrkx_herkx_restricted_kernelIlfLi16ELi32ELi8ELin1ELi0ELb0ELc67ELc76EKPKfKPfEviT_PT9_S5_lS7_S5_lPT10_S5_li,comdat
	.globl	_ZL37rocblas_syrkx_herkx_restricted_kernelIlfLi16ELi32ELi8ELin1ELi0ELb0ELc67ELc76EKPKfKPfEviT_PT9_S5_lS7_S5_lPT10_S5_li ; -- Begin function _ZL37rocblas_syrkx_herkx_restricted_kernelIlfLi16ELi32ELi8ELin1ELi0ELb0ELc67ELc76EKPKfKPfEviT_PT9_S5_lS7_S5_lPT10_S5_li
	.p2align	8
	.type	_ZL37rocblas_syrkx_herkx_restricted_kernelIlfLi16ELi32ELi8ELin1ELi0ELb0ELc67ELc76EKPKfKPfEviT_PT9_S5_lS7_S5_lPT10_S5_li,@function
_ZL37rocblas_syrkx_herkx_restricted_kernelIlfLi16ELi32ELi8ELin1ELi0ELb0ELc67ELc76EKPKfKPfEviT_PT9_S5_lS7_S5_lPT10_S5_li: ; @_ZL37rocblas_syrkx_herkx_restricted_kernelIlfLi16ELi32ELi8ELin1ELi0ELb0ELc67ELc76EKPKfKPfEviT_PT9_S5_lS7_S5_lPT10_S5_li
; %bb.0:
	s_load_dwordx4 s[12:15], s[4:5], 0x40
	s_load_dwordx4 s[16:19], s[4:5], 0x8
	s_mov_b32 s9, 0
	s_lshl_b64 s[0:1], s[8:9], 3
	s_waitcnt lgkmcnt(0)
	s_add_u32 s2, s12, s0
	s_addc_u32 s3, s13, s1
	s_load_dwordx2 s[8:9], s[2:3], 0x0
	v_cmp_lt_i64_e64 s[2:3], s[16:17], 1
	s_lshl_b32 s6, s6, 5
	s_lshl_b32 s7, s7, 5
	s_and_b64 vcc, exec, s[2:3]
	s_cbranch_vccnz .LBB1407_3
; %bb.1:
	s_load_dwordx2 s[2:3], s[4:5], 0x18
	s_load_dwordx4 s[20:23], s[4:5], 0x28
	v_lshl_add_u32 v4, v1, 4, v0
	v_lshrrev_b32_e32 v8, 3, v4
	v_add_u32_e32 v5, s7, v8
	v_ashrrev_i32_e32 v6, 31, v5
	v_and_b32_e32 v2, 7, v0
	v_mov_b32_e32 v3, 0
	s_waitcnt lgkmcnt(0)
	v_mul_lo_u32 v9, s22, v6
	v_mul_lo_u32 v10, s23, v5
	v_mad_u64_u32 v[6:7], s[12:13], s22, v5, v[2:3]
	v_lshlrev_b32_e32 v2, 2, v2
	v_lshl_or_b32 v2, v8, 5, v2
	v_add3_u32 v7, v10, v7, v9
	v_and_b32_e32 v9, 31, v4
	v_add_u32_e32 v11, 0x400, v2
	v_add_u32_e32 v2, s6, v9
	v_lshrrev_b32_e32 v4, 5, v4
	v_mov_b32_e32 v5, v3
	v_lshlrev_b32_e32 v10, 2, v9
	v_ashrrev_i32_e32 v8, 31, v2
	s_add_u32 s10, s18, s0
	v_lshl_or_b32 v10, v4, 7, v10
	v_mul_lo_u32 v8, s2, v8
	v_mad_u64_u32 v[4:5], s[12:13], s2, v2, v[4:5]
	v_mul_lo_u32 v2, s3, v2
	s_addc_u32 s11, s19, s1
	s_load_dwordx2 s[10:11], s[10:11], 0x0
	s_add_u32 s0, s20, s0
	s_addc_u32 s1, s21, s1
	s_load_dwordx2 s[0:1], s[0:1], 0x0
	v_add3_u32 v5, v2, v5, v8
	v_lshlrev_b64 v[4:5], 2, v[4:5]
	s_waitcnt lgkmcnt(0)
	v_mov_b32_e32 v2, s11
	v_add_co_u32_e32 v4, vcc, s10, v4
	v_lshlrev_b64 v[6:7], 2, v[6:7]
	v_addc_co_u32_e32 v5, vcc, v2, v5, vcc
	v_mov_b32_e32 v9, 0x400
	v_mov_b32_e32 v2, s1
	v_add_co_u32_e32 v6, vcc, s0, v6
	v_lshlrev_b32_e32 v12, 2, v0
	v_lshl_add_u32 v13, v1, 5, v9
	v_addc_co_u32_e32 v7, vcc, v2, v7, vcc
	s_mov_b64 s[2:3], 0
	v_mov_b32_e32 v2, v3
	v_mov_b32_e32 v8, v3
	;; [unrolled: 1-line block ×3, first 2 shown]
.LBB1407_2:                             ; =>This Inner Loop Header: Depth=1
	flat_load_dword v14, v[4:5]
	s_add_u32 s2, s2, 8
	s_addc_u32 s3, s3, 0
	v_add_co_u32_e64 v4, s[0:1], 32, v4
	v_addc_co_u32_e64 v5, s[0:1], 0, v5, s[0:1]
	s_waitcnt vmcnt(0) lgkmcnt(0)
	ds_write_b32 v10, v14
	flat_load_dword v14, v[6:7]
	v_add_co_u32_e64 v6, s[0:1], 32, v6
	v_addc_co_u32_e64 v7, s[0:1], 0, v7, s[0:1]
	s_waitcnt vmcnt(0) lgkmcnt(0)
	ds_write_b32 v11, v14
	s_waitcnt lgkmcnt(0)
	s_barrier
	ds_read2_b32 v[26:27], v12 offset1:16
	ds_read_b128 v[14:17], v13
	ds_read2_b32 v[28:29], v12 offset0:32 offset1:48
	ds_read2_b32 v[30:31], v12 offset0:64 offset1:80
	ds_read_b128 v[18:21], v13 offset:16
	ds_read2_b32 v[32:33], v12 offset0:96 offset1:112
	s_waitcnt lgkmcnt(4)
	v_fmac_f32_e32 v9, v26, v14
	v_fmac_f32_e32 v8, v27, v14
	s_waitcnt lgkmcnt(3)
	v_fmac_f32_e32 v9, v28, v15
	v_fmac_f32_e32 v8, v29, v15
	v_mov_b32_e32 v15, s3
	s_waitcnt lgkmcnt(2)
	v_fmac_f32_e32 v9, v30, v16
	v_fmac_f32_e32 v8, v31, v16
	v_mov_b32_e32 v14, s2
	s_waitcnt lgkmcnt(0)
	v_fmac_f32_e32 v9, v32, v17
	v_fmac_f32_e32 v8, v33, v17
	v_cmp_le_u64_e32 vcc, s[16:17], v[14:15]
	ds_read_b128 v[14:17], v13 offset:512
	ds_read_b128 v[22:25], v13 offset:528
	s_and_b64 vcc, exec, vcc
	s_waitcnt lgkmcnt(1)
	v_fmac_f32_e32 v2, v26, v14
	v_fmac_f32_e32 v3, v27, v14
	;; [unrolled: 1-line block ×8, first 2 shown]
	ds_read2_b32 v[14:15], v12 offset0:128 offset1:144
	ds_read2_b32 v[16:17], v12 offset0:160 offset1:176
	;; [unrolled: 1-line block ×3, first 2 shown]
	s_waitcnt lgkmcnt(2)
	v_fmac_f32_e32 v9, v14, v18
	v_fmac_f32_e32 v8, v15, v18
	;; [unrolled: 1-line block ×4, first 2 shown]
	ds_read2_b32 v[14:15], v12 offset0:224 offset1:240
	s_waitcnt lgkmcnt(2)
	v_fmac_f32_e32 v9, v16, v19
	v_fmac_f32_e32 v8, v17, v19
	v_fmac_f32_e32 v2, v16, v23
	v_fmac_f32_e32 v3, v17, v23
	s_waitcnt lgkmcnt(1)
	v_fmac_f32_e32 v9, v26, v20
	v_fmac_f32_e32 v8, v27, v20
	v_fmac_f32_e32 v2, v26, v24
	v_fmac_f32_e32 v3, v27, v24
	;; [unrolled: 5-line block ×3, first 2 shown]
	s_barrier
	s_cbranch_vccz .LBB1407_2
	s_branch .LBB1407_4
.LBB1407_3:
	v_mov_b32_e32 v9, 0
	v_mov_b32_e32 v8, 0
	v_mov_b32_e32 v2, 0
	v_mov_b32_e32 v3, 0
.LBB1407_4:
	v_add_u32_e32 v6, s7, v1
	v_ashrrev_i32_e32 v1, 31, v6
	v_mul_lo_u32 v1, s14, v1
	v_mul_lo_u32 v7, s15, v6
	v_mad_u64_u32 v[4:5], s[0:1], s14, v6, 0
	s_load_dword s4, s[4:5], 0x0
	v_add_u32_e32 v0, s6, v0
	v_add3_u32 v5, v5, v1, v7
	v_lshlrev_b64 v[4:5], 2, v[4:5]
	s_waitcnt lgkmcnt(0)
	v_mov_b32_e32 v1, s9
	v_add_co_u32_e32 v7, vcc, s8, v4
	v_addc_co_u32_e32 v10, vcc, v1, v5, vcc
	v_cmp_le_i32_e64 s[0:1], v6, v0
	v_cmp_gt_i32_e32 vcc, s4, v0
	s_and_b64 s[0:1], s[0:1], vcc
	s_and_saveexec_b64 s[2:3], s[0:1]
	s_cbranch_execz .LBB1407_6
; %bb.5:
	v_ashrrev_i32_e32 v1, 31, v0
	v_lshlrev_b64 v[4:5], 2, v[0:1]
	v_xor_b32_e32 v9, 0x80000000, v9
	v_add_co_u32_e64 v4, s[0:1], v7, v4
	v_addc_co_u32_e64 v5, s[0:1], v10, v5, s[0:1]
	flat_store_dword v[4:5], v9
.LBB1407_6:
	s_or_b64 exec, exec, s[2:3]
	v_add_u32_e32 v4, 16, v0
	v_cmp_le_i32_e64 s[2:3], v6, v4
	v_cmp_gt_i32_e64 s[0:1], s4, v4
	s_and_b64 s[2:3], s[2:3], s[0:1]
	s_and_saveexec_b64 s[4:5], s[2:3]
	s_cbranch_execz .LBB1407_8
; %bb.7:
	v_ashrrev_i32_e32 v5, 31, v4
	v_xor_b32_e32 v1, 0x80000000, v8
	v_lshlrev_b64 v[8:9], 2, v[4:5]
	v_add_co_u32_e64 v7, s[2:3], v7, v8
	v_addc_co_u32_e64 v8, s[2:3], v10, v9, s[2:3]
	flat_store_dword v[7:8], v1
.LBB1407_8:
	s_or_b64 exec, exec, s[4:5]
	v_add_u32_e32 v5, 16, v6
	v_ashrrev_i32_e32 v1, 31, v5
	v_mul_lo_u32 v8, s15, v5
	v_mad_u64_u32 v[6:7], s[2:3], s14, v5, 0
	v_mul_lo_u32 v1, s14, v1
	v_add3_u32 v7, v7, v1, v8
	v_lshlrev_b64 v[6:7], 2, v[6:7]
	v_mov_b32_e32 v1, s9
	v_add_co_u32_e64 v6, s[2:3], s8, v6
	v_addc_co_u32_e64 v7, s[2:3], v1, v7, s[2:3]
	v_cmp_le_i32_e64 s[2:3], v5, v0
	s_and_b64 s[4:5], s[2:3], vcc
	s_and_saveexec_b64 s[2:3], s[4:5]
	s_cbranch_execz .LBB1407_10
; %bb.9:
	v_ashrrev_i32_e32 v1, 31, v0
	v_lshlrev_b64 v[0:1], 2, v[0:1]
	v_xor_b32_e32 v2, 0x80000000, v2
	v_add_co_u32_e32 v0, vcc, v6, v0
	v_addc_co_u32_e32 v1, vcc, v7, v1, vcc
	flat_store_dword v[0:1], v2
.LBB1407_10:
	s_or_b64 exec, exec, s[2:3]
	v_cmp_le_i32_e32 vcc, v5, v4
	s_and_b64 s[0:1], vcc, s[0:1]
	s_and_saveexec_b64 s[2:3], s[0:1]
	s_cbranch_execz .LBB1407_12
; %bb.11:
	v_ashrrev_i32_e32 v5, 31, v4
	v_lshlrev_b64 v[0:1], 2, v[4:5]
	v_xor_b32_e32 v2, 0x80000000, v3
	v_add_co_u32_e32 v0, vcc, v6, v0
	v_addc_co_u32_e32 v1, vcc, v7, v1, vcc
	flat_store_dword v[0:1], v2
.LBB1407_12:
	s_endpgm
	.section	.rodata,"a",@progbits
	.p2align	6, 0x0
	.amdhsa_kernel _ZL37rocblas_syrkx_herkx_restricted_kernelIlfLi16ELi32ELi8ELin1ELi0ELb0ELc67ELc76EKPKfKPfEviT_PT9_S5_lS7_S5_lPT10_S5_li
		.amdhsa_group_segment_fixed_size 2048
		.amdhsa_private_segment_fixed_size 0
		.amdhsa_kernarg_size 92
		.amdhsa_user_sgpr_count 6
		.amdhsa_user_sgpr_private_segment_buffer 1
		.amdhsa_user_sgpr_dispatch_ptr 0
		.amdhsa_user_sgpr_queue_ptr 0
		.amdhsa_user_sgpr_kernarg_segment_ptr 1
		.amdhsa_user_sgpr_dispatch_id 0
		.amdhsa_user_sgpr_flat_scratch_init 0
		.amdhsa_user_sgpr_private_segment_size 0
		.amdhsa_uses_dynamic_stack 0
		.amdhsa_system_sgpr_private_segment_wavefront_offset 0
		.amdhsa_system_sgpr_workgroup_id_x 1
		.amdhsa_system_sgpr_workgroup_id_y 1
		.amdhsa_system_sgpr_workgroup_id_z 1
		.amdhsa_system_sgpr_workgroup_info 0
		.amdhsa_system_vgpr_workitem_id 1
		.amdhsa_next_free_vgpr 34
		.amdhsa_next_free_sgpr 24
		.amdhsa_reserve_vcc 1
		.amdhsa_reserve_flat_scratch 0
		.amdhsa_float_round_mode_32 0
		.amdhsa_float_round_mode_16_64 0
		.amdhsa_float_denorm_mode_32 3
		.amdhsa_float_denorm_mode_16_64 3
		.amdhsa_dx10_clamp 1
		.amdhsa_ieee_mode 1
		.amdhsa_fp16_overflow 0
		.amdhsa_exception_fp_ieee_invalid_op 0
		.amdhsa_exception_fp_denorm_src 0
		.amdhsa_exception_fp_ieee_div_zero 0
		.amdhsa_exception_fp_ieee_overflow 0
		.amdhsa_exception_fp_ieee_underflow 0
		.amdhsa_exception_fp_ieee_inexact 0
		.amdhsa_exception_int_div_zero 0
	.end_amdhsa_kernel
	.section	.text._ZL37rocblas_syrkx_herkx_restricted_kernelIlfLi16ELi32ELi8ELin1ELi0ELb0ELc67ELc76EKPKfKPfEviT_PT9_S5_lS7_S5_lPT10_S5_li,"axG",@progbits,_ZL37rocblas_syrkx_herkx_restricted_kernelIlfLi16ELi32ELi8ELin1ELi0ELb0ELc67ELc76EKPKfKPfEviT_PT9_S5_lS7_S5_lPT10_S5_li,comdat
.Lfunc_end1407:
	.size	_ZL37rocblas_syrkx_herkx_restricted_kernelIlfLi16ELi32ELi8ELin1ELi0ELb0ELc67ELc76EKPKfKPfEviT_PT9_S5_lS7_S5_lPT10_S5_li, .Lfunc_end1407-_ZL37rocblas_syrkx_herkx_restricted_kernelIlfLi16ELi32ELi8ELin1ELi0ELb0ELc67ELc76EKPKfKPfEviT_PT9_S5_lS7_S5_lPT10_S5_li
                                        ; -- End function
	.set _ZL37rocblas_syrkx_herkx_restricted_kernelIlfLi16ELi32ELi8ELin1ELi0ELb0ELc67ELc76EKPKfKPfEviT_PT9_S5_lS7_S5_lPT10_S5_li.num_vgpr, 34
	.set _ZL37rocblas_syrkx_herkx_restricted_kernelIlfLi16ELi32ELi8ELin1ELi0ELb0ELc67ELc76EKPKfKPfEviT_PT9_S5_lS7_S5_lPT10_S5_li.num_agpr, 0
	.set _ZL37rocblas_syrkx_herkx_restricted_kernelIlfLi16ELi32ELi8ELin1ELi0ELb0ELc67ELc76EKPKfKPfEviT_PT9_S5_lS7_S5_lPT10_S5_li.numbered_sgpr, 24
	.set _ZL37rocblas_syrkx_herkx_restricted_kernelIlfLi16ELi32ELi8ELin1ELi0ELb0ELc67ELc76EKPKfKPfEviT_PT9_S5_lS7_S5_lPT10_S5_li.num_named_barrier, 0
	.set _ZL37rocblas_syrkx_herkx_restricted_kernelIlfLi16ELi32ELi8ELin1ELi0ELb0ELc67ELc76EKPKfKPfEviT_PT9_S5_lS7_S5_lPT10_S5_li.private_seg_size, 0
	.set _ZL37rocblas_syrkx_herkx_restricted_kernelIlfLi16ELi32ELi8ELin1ELi0ELb0ELc67ELc76EKPKfKPfEviT_PT9_S5_lS7_S5_lPT10_S5_li.uses_vcc, 1
	.set _ZL37rocblas_syrkx_herkx_restricted_kernelIlfLi16ELi32ELi8ELin1ELi0ELb0ELc67ELc76EKPKfKPfEviT_PT9_S5_lS7_S5_lPT10_S5_li.uses_flat_scratch, 0
	.set _ZL37rocblas_syrkx_herkx_restricted_kernelIlfLi16ELi32ELi8ELin1ELi0ELb0ELc67ELc76EKPKfKPfEviT_PT9_S5_lS7_S5_lPT10_S5_li.has_dyn_sized_stack, 0
	.set _ZL37rocblas_syrkx_herkx_restricted_kernelIlfLi16ELi32ELi8ELin1ELi0ELb0ELc67ELc76EKPKfKPfEviT_PT9_S5_lS7_S5_lPT10_S5_li.has_recursion, 0
	.set _ZL37rocblas_syrkx_herkx_restricted_kernelIlfLi16ELi32ELi8ELin1ELi0ELb0ELc67ELc76EKPKfKPfEviT_PT9_S5_lS7_S5_lPT10_S5_li.has_indirect_call, 0
	.section	.AMDGPU.csdata,"",@progbits
; Kernel info:
; codeLenInByte = 1148
; TotalNumSgprs: 28
; NumVgprs: 34
; ScratchSize: 0
; MemoryBound: 0
; FloatMode: 240
; IeeeMode: 1
; LDSByteSize: 2048 bytes/workgroup (compile time only)
; SGPRBlocks: 3
; VGPRBlocks: 8
; NumSGPRsForWavesPerEU: 28
; NumVGPRsForWavesPerEU: 34
; Occupancy: 7
; WaveLimiterHint : 1
; COMPUTE_PGM_RSRC2:SCRATCH_EN: 0
; COMPUTE_PGM_RSRC2:USER_SGPR: 6
; COMPUTE_PGM_RSRC2:TRAP_HANDLER: 0
; COMPUTE_PGM_RSRC2:TGID_X_EN: 1
; COMPUTE_PGM_RSRC2:TGID_Y_EN: 1
; COMPUTE_PGM_RSRC2:TGID_Z_EN: 1
; COMPUTE_PGM_RSRC2:TIDIG_COMP_CNT: 1
	.section	.text._ZL37rocblas_syrkx_herkx_restricted_kernelIlfLi16ELi32ELi8ELin1ELi0ELb0ELc78ELc76EKPKfKPfEviT_PT9_S5_lS7_S5_lPT10_S5_li,"axG",@progbits,_ZL37rocblas_syrkx_herkx_restricted_kernelIlfLi16ELi32ELi8ELin1ELi0ELb0ELc78ELc76EKPKfKPfEviT_PT9_S5_lS7_S5_lPT10_S5_li,comdat
	.globl	_ZL37rocblas_syrkx_herkx_restricted_kernelIlfLi16ELi32ELi8ELin1ELi0ELb0ELc78ELc76EKPKfKPfEviT_PT9_S5_lS7_S5_lPT10_S5_li ; -- Begin function _ZL37rocblas_syrkx_herkx_restricted_kernelIlfLi16ELi32ELi8ELin1ELi0ELb0ELc78ELc76EKPKfKPfEviT_PT9_S5_lS7_S5_lPT10_S5_li
	.p2align	8
	.type	_ZL37rocblas_syrkx_herkx_restricted_kernelIlfLi16ELi32ELi8ELin1ELi0ELb0ELc78ELc76EKPKfKPfEviT_PT9_S5_lS7_S5_lPT10_S5_li,@function
_ZL37rocblas_syrkx_herkx_restricted_kernelIlfLi16ELi32ELi8ELin1ELi0ELb0ELc78ELc76EKPKfKPfEviT_PT9_S5_lS7_S5_lPT10_S5_li: ; @_ZL37rocblas_syrkx_herkx_restricted_kernelIlfLi16ELi32ELi8ELin1ELi0ELb0ELc78ELc76EKPKfKPfEviT_PT9_S5_lS7_S5_lPT10_S5_li
; %bb.0:
	s_load_dwordx4 s[12:15], s[4:5], 0x40
	s_load_dwordx4 s[16:19], s[4:5], 0x8
	s_mov_b32 s9, 0
	s_lshl_b64 s[10:11], s[8:9], 3
	s_waitcnt lgkmcnt(0)
	s_add_u32 s0, s12, s10
	s_addc_u32 s1, s13, s11
	s_load_dwordx2 s[8:9], s[0:1], 0x0
	v_cmp_lt_i64_e64 s[0:1], s[16:17], 1
	s_lshl_b32 s12, s6, 5
	s_lshl_b32 s13, s7, 5
	s_and_b64 vcc, exec, s[0:1]
	s_cbranch_vccnz .LBB1408_3
; %bb.1:
	s_load_dwordx2 s[6:7], s[4:5], 0x18
	s_load_dwordx4 s[0:3], s[4:5], 0x28
	v_lshl_add_u32 v7, v1, 4, v0
	v_lshrrev_b32_e32 v8, 3, v7
	v_add_u32_e32 v2, s13, v8
	v_and_b32_e32 v6, 7, v0
	v_ashrrev_i32_e32 v3, 31, v2
	s_waitcnt lgkmcnt(0)
	v_mad_u64_u32 v[4:5], s[20:21], s2, v6, v[2:3]
	s_add_u32 s18, s18, s10
	s_addc_u32 s19, s19, s11
	v_mov_b32_e32 v2, v5
	v_mad_u64_u32 v[2:3], s[20:21], s3, v6, v[2:3]
	v_lshrrev_b32_e32 v10, 5, v7
	s_add_u32 s0, s0, s10
	v_mov_b32_e32 v5, v2
	v_and_b32_e32 v2, 31, v7
	v_lshlrev_b32_e32 v3, 2, v2
	v_add_u32_e32 v2, s12, v2
	v_lshl_or_b32 v9, v10, 7, v3
	v_ashrrev_i32_e32 v3, 31, v2
	s_addc_u32 s1, s1, s11
	v_mad_u64_u32 v[2:3], s[10:11], s6, v10, v[2:3]
	v_lshlrev_b32_e32 v6, 2, v6
	v_lshl_or_b32 v6, v8, 5, v6
	v_add_u32_e32 v11, 0x400, v6
	v_mad_u64_u32 v[6:7], s[10:11], s7, v10, v[3:4]
	s_load_dwordx2 s[18:19], s[18:19], 0x0
	v_mov_b32_e32 v3, 0x400
	s_load_dwordx2 s[0:1], s[0:1], 0x0
	v_lshl_add_u32 v13, v1, 5, v3
	v_mov_b32_e32 v3, v6
	v_lshlrev_b64 v[2:3], 2, v[2:3]
	s_waitcnt lgkmcnt(0)
	v_mov_b32_e32 v6, s19
	v_add_co_u32_e32 v2, vcc, s18, v2
	v_lshlrev_b64 v[4:5], 2, v[4:5]
	v_addc_co_u32_e32 v3, vcc, v6, v3, vcc
	v_mov_b32_e32 v6, s1
	v_add_co_u32_e32 v4, vcc, s0, v4
	v_lshlrev_b32_e32 v12, 2, v0
	s_lshl_b64 s[6:7], s[6:7], 5
	v_addc_co_u32_e32 v5, vcc, v6, v5, vcc
	s_lshl_b64 s[2:3], s[2:3], 5
	v_mov_b32_e32 v6, 0
	s_mov_b64 s[10:11], 0
	v_mov_b32_e32 v7, 0
	v_mov_b32_e32 v8, 0
	;; [unrolled: 1-line block ×3, first 2 shown]
.LBB1408_2:                             ; =>This Inner Loop Header: Depth=1
	flat_load_dword v14, v[2:3]
	s_add_u32 s10, s10, 8
	s_addc_u32 s11, s11, 0
	v_add_co_u32_e64 v2, s[0:1], s6, v2
	s_waitcnt vmcnt(0) lgkmcnt(0)
	ds_write_b32 v9, v14
	flat_load_dword v16, v[4:5]
	v_mov_b32_e32 v15, s11
	v_mov_b32_e32 v14, s10
	v_cmp_le_u64_e32 vcc, s[16:17], v[14:15]
	s_and_b64 vcc, exec, vcc
	s_waitcnt vmcnt(0) lgkmcnt(0)
	ds_write_b32 v11, v16
	s_waitcnt lgkmcnt(0)
	s_barrier
	ds_read2_b32 v[26:27], v12 offset1:16
	ds_read_b128 v[14:17], v13
	ds_read2_b32 v[28:29], v12 offset0:32 offset1:48
	ds_read2_b32 v[30:31], v12 offset0:64 offset1:80
	;; [unrolled: 1-line block ×3, first 2 shown]
	ds_read_b128 v[18:21], v13 offset:16
	s_waitcnt lgkmcnt(4)
	v_fmac_f32_e32 v10, v26, v14
	v_fmac_f32_e32 v8, v27, v14
	s_waitcnt lgkmcnt(3)
	v_fmac_f32_e32 v10, v28, v15
	v_fmac_f32_e32 v8, v29, v15
	;; [unrolled: 3-line block ×4, first 2 shown]
	ds_read_b128 v[14:17], v13 offset:512
	ds_read_b128 v[22:25], v13 offset:528
	s_waitcnt lgkmcnt(1)
	v_fmac_f32_e32 v7, v26, v14
	v_fmac_f32_e32 v6, v27, v14
	v_mov_b32_e32 v14, s7
	v_addc_co_u32_e64 v3, s[0:1], v3, v14, s[0:1]
	v_mov_b32_e32 v14, s3
	v_add_co_u32_e64 v4, s[0:1], s2, v4
	v_fmac_f32_e32 v7, v28, v15
	v_fmac_f32_e32 v6, v29, v15
	v_addc_co_u32_e64 v5, s[0:1], v5, v14, s[0:1]
	ds_read2_b32 v[14:15], v12 offset0:128 offset1:144
	v_fmac_f32_e32 v7, v30, v16
	v_fmac_f32_e32 v6, v31, v16
	;; [unrolled: 1-line block ×4, first 2 shown]
	ds_read2_b32 v[16:17], v12 offset0:160 offset1:176
	ds_read2_b32 v[26:27], v12 offset0:192 offset1:208
	;; [unrolled: 1-line block ×3, first 2 shown]
	s_waitcnt lgkmcnt(3)
	v_fmac_f32_e32 v10, v14, v18
	v_fmac_f32_e32 v8, v15, v18
	v_fmac_f32_e32 v7, v14, v22
	v_fmac_f32_e32 v6, v15, v22
	s_waitcnt lgkmcnt(2)
	v_fmac_f32_e32 v10, v16, v19
	v_fmac_f32_e32 v8, v17, v19
	v_fmac_f32_e32 v7, v16, v23
	v_fmac_f32_e32 v6, v17, v23
	;; [unrolled: 5-line block ×4, first 2 shown]
	s_barrier
	s_cbranch_vccz .LBB1408_2
	s_branch .LBB1408_4
.LBB1408_3:
	v_mov_b32_e32 v10, 0
	v_mov_b32_e32 v8, 0
	v_mov_b32_e32 v7, 0
	v_mov_b32_e32 v6, 0
.LBB1408_4:
	v_add_u32_e32 v4, s13, v1
	v_ashrrev_i32_e32 v1, 31, v4
	v_mul_lo_u32 v3, s14, v1
	v_mul_lo_u32 v5, s15, v4
	v_mad_u64_u32 v[1:2], s[0:1], s14, v4, 0
	s_load_dword s4, s[4:5], 0x0
	v_add_u32_e32 v0, s12, v0
	v_add3_u32 v2, v2, v3, v5
	v_lshlrev_b64 v[1:2], 2, v[1:2]
	s_waitcnt lgkmcnt(0)
	v_mov_b32_e32 v3, s9
	v_add_co_u32_e32 v5, vcc, s8, v1
	v_addc_co_u32_e32 v9, vcc, v3, v2, vcc
	v_cmp_le_i32_e64 s[0:1], v4, v0
	v_cmp_gt_i32_e32 vcc, s4, v0
	s_and_b64 s[0:1], s[0:1], vcc
	s_and_saveexec_b64 s[2:3], s[0:1]
	s_cbranch_execz .LBB1408_6
; %bb.5:
	v_ashrrev_i32_e32 v1, 31, v0
	v_lshlrev_b64 v[1:2], 2, v[0:1]
	v_xor_b32_e32 v3, 0x80000000, v10
	v_add_co_u32_e64 v1, s[0:1], v5, v1
	v_addc_co_u32_e64 v2, s[0:1], v9, v2, s[0:1]
	flat_store_dword v[1:2], v3
.LBB1408_6:
	s_or_b64 exec, exec, s[2:3]
	v_add_u32_e32 v2, 16, v0
	v_cmp_le_i32_e64 s[2:3], v4, v2
	v_cmp_gt_i32_e64 s[0:1], s4, v2
	s_and_b64 s[2:3], s[2:3], s[0:1]
	s_and_saveexec_b64 s[4:5], s[2:3]
	s_cbranch_execz .LBB1408_8
; %bb.7:
	v_ashrrev_i32_e32 v3, 31, v2
	v_lshlrev_b64 v[10:11], 2, v[2:3]
	v_xor_b32_e32 v1, 0x80000000, v8
	v_add_co_u32_e64 v8, s[2:3], v5, v10
	v_addc_co_u32_e64 v9, s[2:3], v9, v11, s[2:3]
	flat_store_dword v[8:9], v1
.LBB1408_8:
	s_or_b64 exec, exec, s[4:5]
	v_add_u32_e32 v3, 16, v4
	v_ashrrev_i32_e32 v1, 31, v3
	v_mul_lo_u32 v8, s15, v3
	v_mad_u64_u32 v[4:5], s[2:3], s14, v3, 0
	v_mul_lo_u32 v1, s14, v1
	v_add3_u32 v5, v5, v1, v8
	v_lshlrev_b64 v[4:5], 2, v[4:5]
	v_mov_b32_e32 v1, s9
	v_add_co_u32_e64 v4, s[2:3], s8, v4
	v_addc_co_u32_e64 v5, s[2:3], v1, v5, s[2:3]
	v_cmp_le_i32_e64 s[2:3], v3, v0
	s_and_b64 s[4:5], s[2:3], vcc
	s_and_saveexec_b64 s[2:3], s[4:5]
	s_cbranch_execz .LBB1408_10
; %bb.9:
	v_ashrrev_i32_e32 v1, 31, v0
	v_lshlrev_b64 v[0:1], 2, v[0:1]
	v_xor_b32_e32 v7, 0x80000000, v7
	v_add_co_u32_e32 v0, vcc, v4, v0
	v_addc_co_u32_e32 v1, vcc, v5, v1, vcc
	flat_store_dword v[0:1], v7
.LBB1408_10:
	s_or_b64 exec, exec, s[2:3]
	v_cmp_le_i32_e32 vcc, v3, v2
	s_and_b64 s[0:1], vcc, s[0:1]
	s_and_saveexec_b64 s[2:3], s[0:1]
	s_cbranch_execz .LBB1408_12
; %bb.11:
	v_ashrrev_i32_e32 v3, 31, v2
	v_lshlrev_b64 v[0:1], 2, v[2:3]
	v_xor_b32_e32 v6, 0x80000000, v6
	v_add_co_u32_e32 v0, vcc, v4, v0
	v_addc_co_u32_e32 v1, vcc, v5, v1, vcc
	flat_store_dword v[0:1], v6
.LBB1408_12:
	s_endpgm
	.section	.rodata,"a",@progbits
	.p2align	6, 0x0
	.amdhsa_kernel _ZL37rocblas_syrkx_herkx_restricted_kernelIlfLi16ELi32ELi8ELin1ELi0ELb0ELc78ELc76EKPKfKPfEviT_PT9_S5_lS7_S5_lPT10_S5_li
		.amdhsa_group_segment_fixed_size 2048
		.amdhsa_private_segment_fixed_size 0
		.amdhsa_kernarg_size 92
		.amdhsa_user_sgpr_count 6
		.amdhsa_user_sgpr_private_segment_buffer 1
		.amdhsa_user_sgpr_dispatch_ptr 0
		.amdhsa_user_sgpr_queue_ptr 0
		.amdhsa_user_sgpr_kernarg_segment_ptr 1
		.amdhsa_user_sgpr_dispatch_id 0
		.amdhsa_user_sgpr_flat_scratch_init 0
		.amdhsa_user_sgpr_private_segment_size 0
		.amdhsa_uses_dynamic_stack 0
		.amdhsa_system_sgpr_private_segment_wavefront_offset 0
		.amdhsa_system_sgpr_workgroup_id_x 1
		.amdhsa_system_sgpr_workgroup_id_y 1
		.amdhsa_system_sgpr_workgroup_id_z 1
		.amdhsa_system_sgpr_workgroup_info 0
		.amdhsa_system_vgpr_workitem_id 1
		.amdhsa_next_free_vgpr 34
		.amdhsa_next_free_sgpr 22
		.amdhsa_reserve_vcc 1
		.amdhsa_reserve_flat_scratch 0
		.amdhsa_float_round_mode_32 0
		.amdhsa_float_round_mode_16_64 0
		.amdhsa_float_denorm_mode_32 3
		.amdhsa_float_denorm_mode_16_64 3
		.amdhsa_dx10_clamp 1
		.amdhsa_ieee_mode 1
		.amdhsa_fp16_overflow 0
		.amdhsa_exception_fp_ieee_invalid_op 0
		.amdhsa_exception_fp_denorm_src 0
		.amdhsa_exception_fp_ieee_div_zero 0
		.amdhsa_exception_fp_ieee_overflow 0
		.amdhsa_exception_fp_ieee_underflow 0
		.amdhsa_exception_fp_ieee_inexact 0
		.amdhsa_exception_int_div_zero 0
	.end_amdhsa_kernel
	.section	.text._ZL37rocblas_syrkx_herkx_restricted_kernelIlfLi16ELi32ELi8ELin1ELi0ELb0ELc78ELc76EKPKfKPfEviT_PT9_S5_lS7_S5_lPT10_S5_li,"axG",@progbits,_ZL37rocblas_syrkx_herkx_restricted_kernelIlfLi16ELi32ELi8ELin1ELi0ELb0ELc78ELc76EKPKfKPfEviT_PT9_S5_lS7_S5_lPT10_S5_li,comdat
.Lfunc_end1408:
	.size	_ZL37rocblas_syrkx_herkx_restricted_kernelIlfLi16ELi32ELi8ELin1ELi0ELb0ELc78ELc76EKPKfKPfEviT_PT9_S5_lS7_S5_lPT10_S5_li, .Lfunc_end1408-_ZL37rocblas_syrkx_herkx_restricted_kernelIlfLi16ELi32ELi8ELin1ELi0ELb0ELc78ELc76EKPKfKPfEviT_PT9_S5_lS7_S5_lPT10_S5_li
                                        ; -- End function
	.set _ZL37rocblas_syrkx_herkx_restricted_kernelIlfLi16ELi32ELi8ELin1ELi0ELb0ELc78ELc76EKPKfKPfEviT_PT9_S5_lS7_S5_lPT10_S5_li.num_vgpr, 34
	.set _ZL37rocblas_syrkx_herkx_restricted_kernelIlfLi16ELi32ELi8ELin1ELi0ELb0ELc78ELc76EKPKfKPfEviT_PT9_S5_lS7_S5_lPT10_S5_li.num_agpr, 0
	.set _ZL37rocblas_syrkx_herkx_restricted_kernelIlfLi16ELi32ELi8ELin1ELi0ELb0ELc78ELc76EKPKfKPfEviT_PT9_S5_lS7_S5_lPT10_S5_li.numbered_sgpr, 22
	.set _ZL37rocblas_syrkx_herkx_restricted_kernelIlfLi16ELi32ELi8ELin1ELi0ELb0ELc78ELc76EKPKfKPfEviT_PT9_S5_lS7_S5_lPT10_S5_li.num_named_barrier, 0
	.set _ZL37rocblas_syrkx_herkx_restricted_kernelIlfLi16ELi32ELi8ELin1ELi0ELb0ELc78ELc76EKPKfKPfEviT_PT9_S5_lS7_S5_lPT10_S5_li.private_seg_size, 0
	.set _ZL37rocblas_syrkx_herkx_restricted_kernelIlfLi16ELi32ELi8ELin1ELi0ELb0ELc78ELc76EKPKfKPfEviT_PT9_S5_lS7_S5_lPT10_S5_li.uses_vcc, 1
	.set _ZL37rocblas_syrkx_herkx_restricted_kernelIlfLi16ELi32ELi8ELin1ELi0ELb0ELc78ELc76EKPKfKPfEviT_PT9_S5_lS7_S5_lPT10_S5_li.uses_flat_scratch, 0
	.set _ZL37rocblas_syrkx_herkx_restricted_kernelIlfLi16ELi32ELi8ELin1ELi0ELb0ELc78ELc76EKPKfKPfEviT_PT9_S5_lS7_S5_lPT10_S5_li.has_dyn_sized_stack, 0
	.set _ZL37rocblas_syrkx_herkx_restricted_kernelIlfLi16ELi32ELi8ELin1ELi0ELb0ELc78ELc76EKPKfKPfEviT_PT9_S5_lS7_S5_lPT10_S5_li.has_recursion, 0
	.set _ZL37rocblas_syrkx_herkx_restricted_kernelIlfLi16ELi32ELi8ELin1ELi0ELb0ELc78ELc76EKPKfKPfEviT_PT9_S5_lS7_S5_lPT10_S5_li.has_indirect_call, 0
	.section	.AMDGPU.csdata,"",@progbits
; Kernel info:
; codeLenInByte = 1140
; TotalNumSgprs: 26
; NumVgprs: 34
; ScratchSize: 0
; MemoryBound: 0
; FloatMode: 240
; IeeeMode: 1
; LDSByteSize: 2048 bytes/workgroup (compile time only)
; SGPRBlocks: 3
; VGPRBlocks: 8
; NumSGPRsForWavesPerEU: 26
; NumVGPRsForWavesPerEU: 34
; Occupancy: 7
; WaveLimiterHint : 1
; COMPUTE_PGM_RSRC2:SCRATCH_EN: 0
; COMPUTE_PGM_RSRC2:USER_SGPR: 6
; COMPUTE_PGM_RSRC2:TRAP_HANDLER: 0
; COMPUTE_PGM_RSRC2:TGID_X_EN: 1
; COMPUTE_PGM_RSRC2:TGID_Y_EN: 1
; COMPUTE_PGM_RSRC2:TGID_Z_EN: 1
; COMPUTE_PGM_RSRC2:TIDIG_COMP_CNT: 1
	.section	.text._ZL37rocblas_syrkx_herkx_restricted_kernelIlfLi16ELi32ELi8ELin1ELi0ELb0ELc84ELc85EKPKfKPfEviT_PT9_S5_lS7_S5_lPT10_S5_li,"axG",@progbits,_ZL37rocblas_syrkx_herkx_restricted_kernelIlfLi16ELi32ELi8ELin1ELi0ELb0ELc84ELc85EKPKfKPfEviT_PT9_S5_lS7_S5_lPT10_S5_li,comdat
	.globl	_ZL37rocblas_syrkx_herkx_restricted_kernelIlfLi16ELi32ELi8ELin1ELi0ELb0ELc84ELc85EKPKfKPfEviT_PT9_S5_lS7_S5_lPT10_S5_li ; -- Begin function _ZL37rocblas_syrkx_herkx_restricted_kernelIlfLi16ELi32ELi8ELin1ELi0ELb0ELc84ELc85EKPKfKPfEviT_PT9_S5_lS7_S5_lPT10_S5_li
	.p2align	8
	.type	_ZL37rocblas_syrkx_herkx_restricted_kernelIlfLi16ELi32ELi8ELin1ELi0ELb0ELc84ELc85EKPKfKPfEviT_PT9_S5_lS7_S5_lPT10_S5_li,@function
_ZL37rocblas_syrkx_herkx_restricted_kernelIlfLi16ELi32ELi8ELin1ELi0ELb0ELc84ELc85EKPKfKPfEviT_PT9_S5_lS7_S5_lPT10_S5_li: ; @_ZL37rocblas_syrkx_herkx_restricted_kernelIlfLi16ELi32ELi8ELin1ELi0ELb0ELc84ELc85EKPKfKPfEviT_PT9_S5_lS7_S5_lPT10_S5_li
; %bb.0:
	s_load_dwordx4 s[0:3], s[4:5], 0x40
	s_load_dwordx4 s[12:15], s[4:5], 0x8
	s_mov_b32 s9, 0
	s_lshl_b64 s[10:11], s[8:9], 3
	s_waitcnt lgkmcnt(0)
	s_add_u32 s0, s0, s10
	s_addc_u32 s1, s1, s11
	s_load_dwordx2 s[8:9], s[0:1], 0x0
	v_cmp_lt_i64_e64 s[0:1], s[12:13], 1
	s_lshl_b32 s16, s6, 5
	s_lshl_b32 s17, s7, 5
	s_and_b64 vcc, exec, s[0:1]
	s_cbranch_vccnz .LBB1409_3
; %bb.1:
	s_load_dwordx2 s[0:1], s[4:5], 0x18
	s_load_dwordx4 s[20:23], s[4:5], 0x28
	v_lshl_add_u32 v4, v1, 4, v0
	v_lshrrev_b32_e32 v8, 3, v4
	v_add_u32_e32 v5, s17, v8
	s_add_u32 s6, s14, s10
	v_ashrrev_i32_e32 v6, 31, v5
	v_and_b32_e32 v2, 7, v0
	v_mov_b32_e32 v3, 0
	s_addc_u32 s7, s15, s11
	s_waitcnt lgkmcnt(0)
	v_mul_lo_u32 v9, s22, v6
	v_mul_lo_u32 v10, s23, v5
	v_mad_u64_u32 v[6:7], s[14:15], s22, v5, v[2:3]
	v_lshlrev_b32_e32 v2, 2, v2
	v_lshl_or_b32 v2, v8, 5, v2
	v_add3_u32 v7, v10, v7, v9
	v_and_b32_e32 v9, 31, v4
	v_add_u32_e32 v11, 0x400, v2
	v_add_u32_e32 v2, s16, v9
	v_lshrrev_b32_e32 v4, 5, v4
	v_mov_b32_e32 v5, v3
	v_lshlrev_b32_e32 v10, 2, v9
	v_ashrrev_i32_e32 v8, 31, v2
	v_lshl_or_b32 v10, v4, 7, v10
	v_mul_lo_u32 v8, s0, v8
	v_mad_u64_u32 v[4:5], s[14:15], s0, v2, v[4:5]
	v_mul_lo_u32 v2, s1, v2
	s_load_dwordx2 s[6:7], s[6:7], 0x0
	s_add_u32 s10, s20, s10
	s_addc_u32 s11, s21, s11
	s_load_dwordx2 s[10:11], s[10:11], 0x0
	v_add3_u32 v5, v2, v5, v8
	v_lshlrev_b64 v[4:5], 2, v[4:5]
	s_waitcnt lgkmcnt(0)
	v_mov_b32_e32 v2, s7
	v_add_co_u32_e32 v4, vcc, s6, v4
	v_lshlrev_b64 v[6:7], 2, v[6:7]
	v_addc_co_u32_e32 v5, vcc, v2, v5, vcc
	v_mov_b32_e32 v9, 0x400
	v_mov_b32_e32 v2, s11
	v_add_co_u32_e32 v6, vcc, s10, v6
	v_lshlrev_b32_e32 v12, 2, v0
	v_lshl_add_u32 v13, v1, 5, v9
	v_addc_co_u32_e32 v7, vcc, v2, v7, vcc
	s_mov_b64 s[6:7], 0
	v_mov_b32_e32 v2, v3
	v_mov_b32_e32 v8, v3
	;; [unrolled: 1-line block ×3, first 2 shown]
.LBB1409_2:                             ; =>This Inner Loop Header: Depth=1
	flat_load_dword v14, v[4:5]
	s_add_u32 s6, s6, 8
	s_addc_u32 s7, s7, 0
	v_add_co_u32_e64 v4, s[0:1], 32, v4
	v_addc_co_u32_e64 v5, s[0:1], 0, v5, s[0:1]
	s_waitcnt vmcnt(0) lgkmcnt(0)
	ds_write_b32 v10, v14
	flat_load_dword v14, v[6:7]
	v_add_co_u32_e64 v6, s[0:1], 32, v6
	v_addc_co_u32_e64 v7, s[0:1], 0, v7, s[0:1]
	s_waitcnt vmcnt(0) lgkmcnt(0)
	ds_write_b32 v11, v14
	s_waitcnt lgkmcnt(0)
	s_barrier
	ds_read2_b32 v[26:27], v12 offset1:16
	ds_read_b128 v[14:17], v13
	ds_read2_b32 v[28:29], v12 offset0:32 offset1:48
	ds_read2_b32 v[30:31], v12 offset0:64 offset1:80
	ds_read_b128 v[18:21], v13 offset:16
	ds_read2_b32 v[32:33], v12 offset0:96 offset1:112
	s_waitcnt lgkmcnt(4)
	v_fmac_f32_e32 v9, v26, v14
	v_fmac_f32_e32 v8, v27, v14
	s_waitcnt lgkmcnt(3)
	v_fmac_f32_e32 v9, v28, v15
	v_fmac_f32_e32 v8, v29, v15
	v_mov_b32_e32 v15, s7
	s_waitcnt lgkmcnt(2)
	v_fmac_f32_e32 v9, v30, v16
	v_fmac_f32_e32 v8, v31, v16
	v_mov_b32_e32 v14, s6
	s_waitcnt lgkmcnt(0)
	v_fmac_f32_e32 v9, v32, v17
	v_fmac_f32_e32 v8, v33, v17
	v_cmp_le_u64_e32 vcc, s[12:13], v[14:15]
	ds_read_b128 v[14:17], v13 offset:512
	ds_read_b128 v[22:25], v13 offset:528
	s_and_b64 vcc, exec, vcc
	s_waitcnt lgkmcnt(1)
	v_fmac_f32_e32 v2, v26, v14
	v_fmac_f32_e32 v3, v27, v14
	;; [unrolled: 1-line block ×8, first 2 shown]
	ds_read2_b32 v[14:15], v12 offset0:128 offset1:144
	ds_read2_b32 v[16:17], v12 offset0:160 offset1:176
	;; [unrolled: 1-line block ×3, first 2 shown]
	s_waitcnt lgkmcnt(2)
	v_fmac_f32_e32 v9, v14, v18
	v_fmac_f32_e32 v8, v15, v18
	;; [unrolled: 1-line block ×4, first 2 shown]
	ds_read2_b32 v[14:15], v12 offset0:224 offset1:240
	s_waitcnt lgkmcnt(2)
	v_fmac_f32_e32 v9, v16, v19
	v_fmac_f32_e32 v8, v17, v19
	v_fmac_f32_e32 v2, v16, v23
	v_fmac_f32_e32 v3, v17, v23
	s_waitcnt lgkmcnt(1)
	v_fmac_f32_e32 v9, v26, v20
	v_fmac_f32_e32 v8, v27, v20
	v_fmac_f32_e32 v2, v26, v24
	v_fmac_f32_e32 v3, v27, v24
	;; [unrolled: 5-line block ×3, first 2 shown]
	s_barrier
	s_cbranch_vccz .LBB1409_2
	s_branch .LBB1409_4
.LBB1409_3:
	v_mov_b32_e32 v9, 0
	v_mov_b32_e32 v8, 0
	;; [unrolled: 1-line block ×4, first 2 shown]
.LBB1409_4:
	v_add_u32_e32 v6, s17, v1
	v_ashrrev_i32_e32 v1, 31, v6
	v_mul_lo_u32 v1, s2, v1
	v_mul_lo_u32 v7, s3, v6
	v_mad_u64_u32 v[4:5], s[0:1], s2, v6, 0
	s_load_dword s6, s[4:5], 0x0
	v_add_u32_e32 v0, s16, v0
	v_add3_u32 v5, v5, v1, v7
	v_lshlrev_b64 v[4:5], 2, v[4:5]
	s_waitcnt lgkmcnt(0)
	v_mov_b32_e32 v1, s9
	v_add_co_u32_e64 v7, s[0:1], s8, v4
	v_addc_co_u32_e64 v10, s[0:1], v1, v5, s[0:1]
	v_cmp_gt_i32_e32 vcc, s6, v6
	v_cmp_le_i32_e64 s[0:1], v0, v6
	s_and_b64 s[0:1], vcc, s[0:1]
	s_and_saveexec_b64 s[4:5], s[0:1]
	s_cbranch_execz .LBB1409_6
; %bb.5:
	v_ashrrev_i32_e32 v1, 31, v0
	v_lshlrev_b64 v[4:5], 2, v[0:1]
	v_xor_b32_e32 v9, 0x80000000, v9
	v_add_co_u32_e64 v4, s[0:1], v7, v4
	v_addc_co_u32_e64 v5, s[0:1], v10, v5, s[0:1]
	flat_store_dword v[4:5], v9
.LBB1409_6:
	s_or_b64 exec, exec, s[4:5]
	v_add_u32_e32 v4, 16, v0
	v_cmp_le_i32_e64 s[0:1], v4, v6
	s_and_b64 s[4:5], vcc, s[0:1]
	s_and_saveexec_b64 s[0:1], s[4:5]
	s_cbranch_execz .LBB1409_8
; %bb.7:
	v_ashrrev_i32_e32 v5, 31, v4
	v_xor_b32_e32 v1, 0x80000000, v8
	v_lshlrev_b64 v[8:9], 2, v[4:5]
	v_add_co_u32_e32 v7, vcc, v7, v8
	v_addc_co_u32_e32 v8, vcc, v10, v9, vcc
	flat_store_dword v[7:8], v1
.LBB1409_8:
	s_or_b64 exec, exec, s[0:1]
	v_add_u32_e32 v5, 16, v6
	v_ashrrev_i32_e32 v1, 31, v5
	v_mul_lo_u32 v1, s2, v1
	v_mul_lo_u32 v8, s3, v5
	v_mad_u64_u32 v[6:7], s[0:1], s2, v5, 0
	v_cmp_gt_i32_e32 vcc, s6, v5
	v_add3_u32 v7, v7, v1, v8
	v_lshlrev_b64 v[6:7], 2, v[6:7]
	v_mov_b32_e32 v1, s9
	v_add_co_u32_e64 v6, s[0:1], s8, v6
	v_addc_co_u32_e64 v7, s[0:1], v1, v7, s[0:1]
	v_cmp_le_i32_e64 s[0:1], v0, v5
	s_and_b64 s[0:1], vcc, s[0:1]
	s_and_saveexec_b64 s[2:3], s[0:1]
	s_cbranch_execz .LBB1409_10
; %bb.9:
	v_ashrrev_i32_e32 v1, 31, v0
	v_lshlrev_b64 v[0:1], 2, v[0:1]
	v_xor_b32_e32 v2, 0x80000000, v2
	v_add_co_u32_e64 v0, s[0:1], v6, v0
	v_addc_co_u32_e64 v1, s[0:1], v7, v1, s[0:1]
	flat_store_dword v[0:1], v2
.LBB1409_10:
	s_or_b64 exec, exec, s[2:3]
	v_cmp_le_i32_e64 s[0:1], v4, v5
	s_and_b64 s[0:1], vcc, s[0:1]
	s_and_saveexec_b64 s[2:3], s[0:1]
	s_cbranch_execz .LBB1409_12
; %bb.11:
	v_ashrrev_i32_e32 v5, 31, v4
	v_lshlrev_b64 v[0:1], 2, v[4:5]
	v_xor_b32_e32 v2, 0x80000000, v3
	v_add_co_u32_e32 v0, vcc, v6, v0
	v_addc_co_u32_e32 v1, vcc, v7, v1, vcc
	flat_store_dword v[0:1], v2
.LBB1409_12:
	s_endpgm
	.section	.rodata,"a",@progbits
	.p2align	6, 0x0
	.amdhsa_kernel _ZL37rocblas_syrkx_herkx_restricted_kernelIlfLi16ELi32ELi8ELin1ELi0ELb0ELc84ELc85EKPKfKPfEviT_PT9_S5_lS7_S5_lPT10_S5_li
		.amdhsa_group_segment_fixed_size 2048
		.amdhsa_private_segment_fixed_size 0
		.amdhsa_kernarg_size 92
		.amdhsa_user_sgpr_count 6
		.amdhsa_user_sgpr_private_segment_buffer 1
		.amdhsa_user_sgpr_dispatch_ptr 0
		.amdhsa_user_sgpr_queue_ptr 0
		.amdhsa_user_sgpr_kernarg_segment_ptr 1
		.amdhsa_user_sgpr_dispatch_id 0
		.amdhsa_user_sgpr_flat_scratch_init 0
		.amdhsa_user_sgpr_private_segment_size 0
		.amdhsa_uses_dynamic_stack 0
		.amdhsa_system_sgpr_private_segment_wavefront_offset 0
		.amdhsa_system_sgpr_workgroup_id_x 1
		.amdhsa_system_sgpr_workgroup_id_y 1
		.amdhsa_system_sgpr_workgroup_id_z 1
		.amdhsa_system_sgpr_workgroup_info 0
		.amdhsa_system_vgpr_workitem_id 1
		.amdhsa_next_free_vgpr 34
		.amdhsa_next_free_sgpr 24
		.amdhsa_reserve_vcc 1
		.amdhsa_reserve_flat_scratch 0
		.amdhsa_float_round_mode_32 0
		.amdhsa_float_round_mode_16_64 0
		.amdhsa_float_denorm_mode_32 3
		.amdhsa_float_denorm_mode_16_64 3
		.amdhsa_dx10_clamp 1
		.amdhsa_ieee_mode 1
		.amdhsa_fp16_overflow 0
		.amdhsa_exception_fp_ieee_invalid_op 0
		.amdhsa_exception_fp_denorm_src 0
		.amdhsa_exception_fp_ieee_div_zero 0
		.amdhsa_exception_fp_ieee_overflow 0
		.amdhsa_exception_fp_ieee_underflow 0
		.amdhsa_exception_fp_ieee_inexact 0
		.amdhsa_exception_int_div_zero 0
	.end_amdhsa_kernel
	.section	.text._ZL37rocblas_syrkx_herkx_restricted_kernelIlfLi16ELi32ELi8ELin1ELi0ELb0ELc84ELc85EKPKfKPfEviT_PT9_S5_lS7_S5_lPT10_S5_li,"axG",@progbits,_ZL37rocblas_syrkx_herkx_restricted_kernelIlfLi16ELi32ELi8ELin1ELi0ELb0ELc84ELc85EKPKfKPfEviT_PT9_S5_lS7_S5_lPT10_S5_li,comdat
.Lfunc_end1409:
	.size	_ZL37rocblas_syrkx_herkx_restricted_kernelIlfLi16ELi32ELi8ELin1ELi0ELb0ELc84ELc85EKPKfKPfEviT_PT9_S5_lS7_S5_lPT10_S5_li, .Lfunc_end1409-_ZL37rocblas_syrkx_herkx_restricted_kernelIlfLi16ELi32ELi8ELin1ELi0ELb0ELc84ELc85EKPKfKPfEviT_PT9_S5_lS7_S5_lPT10_S5_li
                                        ; -- End function
	.set _ZL37rocblas_syrkx_herkx_restricted_kernelIlfLi16ELi32ELi8ELin1ELi0ELb0ELc84ELc85EKPKfKPfEviT_PT9_S5_lS7_S5_lPT10_S5_li.num_vgpr, 34
	.set _ZL37rocblas_syrkx_herkx_restricted_kernelIlfLi16ELi32ELi8ELin1ELi0ELb0ELc84ELc85EKPKfKPfEviT_PT9_S5_lS7_S5_lPT10_S5_li.num_agpr, 0
	.set _ZL37rocblas_syrkx_herkx_restricted_kernelIlfLi16ELi32ELi8ELin1ELi0ELb0ELc84ELc85EKPKfKPfEviT_PT9_S5_lS7_S5_lPT10_S5_li.numbered_sgpr, 24
	.set _ZL37rocblas_syrkx_herkx_restricted_kernelIlfLi16ELi32ELi8ELin1ELi0ELb0ELc84ELc85EKPKfKPfEviT_PT9_S5_lS7_S5_lPT10_S5_li.num_named_barrier, 0
	.set _ZL37rocblas_syrkx_herkx_restricted_kernelIlfLi16ELi32ELi8ELin1ELi0ELb0ELc84ELc85EKPKfKPfEviT_PT9_S5_lS7_S5_lPT10_S5_li.private_seg_size, 0
	.set _ZL37rocblas_syrkx_herkx_restricted_kernelIlfLi16ELi32ELi8ELin1ELi0ELb0ELc84ELc85EKPKfKPfEviT_PT9_S5_lS7_S5_lPT10_S5_li.uses_vcc, 1
	.set _ZL37rocblas_syrkx_herkx_restricted_kernelIlfLi16ELi32ELi8ELin1ELi0ELb0ELc84ELc85EKPKfKPfEviT_PT9_S5_lS7_S5_lPT10_S5_li.uses_flat_scratch, 0
	.set _ZL37rocblas_syrkx_herkx_restricted_kernelIlfLi16ELi32ELi8ELin1ELi0ELb0ELc84ELc85EKPKfKPfEviT_PT9_S5_lS7_S5_lPT10_S5_li.has_dyn_sized_stack, 0
	.set _ZL37rocblas_syrkx_herkx_restricted_kernelIlfLi16ELi32ELi8ELin1ELi0ELb0ELc84ELc85EKPKfKPfEviT_PT9_S5_lS7_S5_lPT10_S5_li.has_recursion, 0
	.set _ZL37rocblas_syrkx_herkx_restricted_kernelIlfLi16ELi32ELi8ELin1ELi0ELb0ELc84ELc85EKPKfKPfEviT_PT9_S5_lS7_S5_lPT10_S5_li.has_indirect_call, 0
	.section	.AMDGPU.csdata,"",@progbits
; Kernel info:
; codeLenInByte = 1156
; TotalNumSgprs: 28
; NumVgprs: 34
; ScratchSize: 0
; MemoryBound: 0
; FloatMode: 240
; IeeeMode: 1
; LDSByteSize: 2048 bytes/workgroup (compile time only)
; SGPRBlocks: 3
; VGPRBlocks: 8
; NumSGPRsForWavesPerEU: 28
; NumVGPRsForWavesPerEU: 34
; Occupancy: 7
; WaveLimiterHint : 1
; COMPUTE_PGM_RSRC2:SCRATCH_EN: 0
; COMPUTE_PGM_RSRC2:USER_SGPR: 6
; COMPUTE_PGM_RSRC2:TRAP_HANDLER: 0
; COMPUTE_PGM_RSRC2:TGID_X_EN: 1
; COMPUTE_PGM_RSRC2:TGID_Y_EN: 1
; COMPUTE_PGM_RSRC2:TGID_Z_EN: 1
; COMPUTE_PGM_RSRC2:TIDIG_COMP_CNT: 1
	.section	.text._ZL37rocblas_syrkx_herkx_restricted_kernelIlfLi16ELi32ELi8ELin1ELi0ELb0ELc67ELc85EKPKfKPfEviT_PT9_S5_lS7_S5_lPT10_S5_li,"axG",@progbits,_ZL37rocblas_syrkx_herkx_restricted_kernelIlfLi16ELi32ELi8ELin1ELi0ELb0ELc67ELc85EKPKfKPfEviT_PT9_S5_lS7_S5_lPT10_S5_li,comdat
	.globl	_ZL37rocblas_syrkx_herkx_restricted_kernelIlfLi16ELi32ELi8ELin1ELi0ELb0ELc67ELc85EKPKfKPfEviT_PT9_S5_lS7_S5_lPT10_S5_li ; -- Begin function _ZL37rocblas_syrkx_herkx_restricted_kernelIlfLi16ELi32ELi8ELin1ELi0ELb0ELc67ELc85EKPKfKPfEviT_PT9_S5_lS7_S5_lPT10_S5_li
	.p2align	8
	.type	_ZL37rocblas_syrkx_herkx_restricted_kernelIlfLi16ELi32ELi8ELin1ELi0ELb0ELc67ELc85EKPKfKPfEviT_PT9_S5_lS7_S5_lPT10_S5_li,@function
_ZL37rocblas_syrkx_herkx_restricted_kernelIlfLi16ELi32ELi8ELin1ELi0ELb0ELc67ELc85EKPKfKPfEviT_PT9_S5_lS7_S5_lPT10_S5_li: ; @_ZL37rocblas_syrkx_herkx_restricted_kernelIlfLi16ELi32ELi8ELin1ELi0ELb0ELc67ELc85EKPKfKPfEviT_PT9_S5_lS7_S5_lPT10_S5_li
; %bb.0:
	s_load_dwordx4 s[0:3], s[4:5], 0x40
	s_load_dwordx4 s[12:15], s[4:5], 0x8
	s_mov_b32 s9, 0
	s_lshl_b64 s[10:11], s[8:9], 3
	s_waitcnt lgkmcnt(0)
	s_add_u32 s0, s0, s10
	s_addc_u32 s1, s1, s11
	s_load_dwordx2 s[8:9], s[0:1], 0x0
	v_cmp_lt_i64_e64 s[0:1], s[12:13], 1
	s_lshl_b32 s16, s6, 5
	s_lshl_b32 s17, s7, 5
	s_and_b64 vcc, exec, s[0:1]
	s_cbranch_vccnz .LBB1410_3
; %bb.1:
	s_load_dwordx2 s[0:1], s[4:5], 0x18
	s_load_dwordx4 s[20:23], s[4:5], 0x28
	v_lshl_add_u32 v4, v1, 4, v0
	v_lshrrev_b32_e32 v8, 3, v4
	v_add_u32_e32 v5, s17, v8
	s_add_u32 s6, s14, s10
	v_ashrrev_i32_e32 v6, 31, v5
	v_and_b32_e32 v2, 7, v0
	v_mov_b32_e32 v3, 0
	s_addc_u32 s7, s15, s11
	s_waitcnt lgkmcnt(0)
	v_mul_lo_u32 v9, s22, v6
	v_mul_lo_u32 v10, s23, v5
	v_mad_u64_u32 v[6:7], s[14:15], s22, v5, v[2:3]
	v_lshlrev_b32_e32 v2, 2, v2
	v_lshl_or_b32 v2, v8, 5, v2
	v_add3_u32 v7, v10, v7, v9
	v_and_b32_e32 v9, 31, v4
	v_add_u32_e32 v11, 0x400, v2
	v_add_u32_e32 v2, s16, v9
	v_lshrrev_b32_e32 v4, 5, v4
	v_mov_b32_e32 v5, v3
	v_lshlrev_b32_e32 v10, 2, v9
	v_ashrrev_i32_e32 v8, 31, v2
	v_lshl_or_b32 v10, v4, 7, v10
	v_mul_lo_u32 v8, s0, v8
	v_mad_u64_u32 v[4:5], s[14:15], s0, v2, v[4:5]
	v_mul_lo_u32 v2, s1, v2
	s_load_dwordx2 s[6:7], s[6:7], 0x0
	s_add_u32 s10, s20, s10
	s_addc_u32 s11, s21, s11
	s_load_dwordx2 s[10:11], s[10:11], 0x0
	v_add3_u32 v5, v2, v5, v8
	v_lshlrev_b64 v[4:5], 2, v[4:5]
	s_waitcnt lgkmcnt(0)
	v_mov_b32_e32 v2, s7
	v_add_co_u32_e32 v4, vcc, s6, v4
	v_lshlrev_b64 v[6:7], 2, v[6:7]
	v_addc_co_u32_e32 v5, vcc, v2, v5, vcc
	v_mov_b32_e32 v9, 0x400
	v_mov_b32_e32 v2, s11
	v_add_co_u32_e32 v6, vcc, s10, v6
	v_lshlrev_b32_e32 v12, 2, v0
	v_lshl_add_u32 v13, v1, 5, v9
	v_addc_co_u32_e32 v7, vcc, v2, v7, vcc
	s_mov_b64 s[6:7], 0
	v_mov_b32_e32 v2, v3
	v_mov_b32_e32 v8, v3
	;; [unrolled: 1-line block ×3, first 2 shown]
.LBB1410_2:                             ; =>This Inner Loop Header: Depth=1
	flat_load_dword v14, v[4:5]
	s_add_u32 s6, s6, 8
	s_addc_u32 s7, s7, 0
	v_add_co_u32_e64 v4, s[0:1], 32, v4
	v_addc_co_u32_e64 v5, s[0:1], 0, v5, s[0:1]
	s_waitcnt vmcnt(0) lgkmcnt(0)
	ds_write_b32 v10, v14
	flat_load_dword v14, v[6:7]
	v_add_co_u32_e64 v6, s[0:1], 32, v6
	v_addc_co_u32_e64 v7, s[0:1], 0, v7, s[0:1]
	s_waitcnt vmcnt(0) lgkmcnt(0)
	ds_write_b32 v11, v14
	s_waitcnt lgkmcnt(0)
	s_barrier
	ds_read2_b32 v[26:27], v12 offset1:16
	ds_read_b128 v[14:17], v13
	ds_read2_b32 v[28:29], v12 offset0:32 offset1:48
	ds_read2_b32 v[30:31], v12 offset0:64 offset1:80
	ds_read_b128 v[18:21], v13 offset:16
	ds_read2_b32 v[32:33], v12 offset0:96 offset1:112
	s_waitcnt lgkmcnt(4)
	v_fmac_f32_e32 v9, v26, v14
	v_fmac_f32_e32 v8, v27, v14
	s_waitcnt lgkmcnt(3)
	v_fmac_f32_e32 v9, v28, v15
	v_fmac_f32_e32 v8, v29, v15
	v_mov_b32_e32 v15, s7
	s_waitcnt lgkmcnt(2)
	v_fmac_f32_e32 v9, v30, v16
	v_fmac_f32_e32 v8, v31, v16
	v_mov_b32_e32 v14, s6
	s_waitcnt lgkmcnt(0)
	v_fmac_f32_e32 v9, v32, v17
	v_fmac_f32_e32 v8, v33, v17
	v_cmp_le_u64_e32 vcc, s[12:13], v[14:15]
	ds_read_b128 v[14:17], v13 offset:512
	ds_read_b128 v[22:25], v13 offset:528
	s_and_b64 vcc, exec, vcc
	s_waitcnt lgkmcnt(1)
	v_fmac_f32_e32 v2, v26, v14
	v_fmac_f32_e32 v3, v27, v14
	;; [unrolled: 1-line block ×8, first 2 shown]
	ds_read2_b32 v[14:15], v12 offset0:128 offset1:144
	ds_read2_b32 v[16:17], v12 offset0:160 offset1:176
	;; [unrolled: 1-line block ×3, first 2 shown]
	s_waitcnt lgkmcnt(2)
	v_fmac_f32_e32 v9, v14, v18
	v_fmac_f32_e32 v8, v15, v18
	;; [unrolled: 1-line block ×4, first 2 shown]
	ds_read2_b32 v[14:15], v12 offset0:224 offset1:240
	s_waitcnt lgkmcnt(2)
	v_fmac_f32_e32 v9, v16, v19
	v_fmac_f32_e32 v8, v17, v19
	v_fmac_f32_e32 v2, v16, v23
	v_fmac_f32_e32 v3, v17, v23
	s_waitcnt lgkmcnt(1)
	v_fmac_f32_e32 v9, v26, v20
	v_fmac_f32_e32 v8, v27, v20
	v_fmac_f32_e32 v2, v26, v24
	v_fmac_f32_e32 v3, v27, v24
	;; [unrolled: 5-line block ×3, first 2 shown]
	s_barrier
	s_cbranch_vccz .LBB1410_2
	s_branch .LBB1410_4
.LBB1410_3:
	v_mov_b32_e32 v9, 0
	v_mov_b32_e32 v8, 0
	;; [unrolled: 1-line block ×4, first 2 shown]
.LBB1410_4:
	v_add_u32_e32 v6, s17, v1
	v_ashrrev_i32_e32 v1, 31, v6
	v_mul_lo_u32 v1, s2, v1
	v_mul_lo_u32 v7, s3, v6
	v_mad_u64_u32 v[4:5], s[0:1], s2, v6, 0
	s_load_dword s6, s[4:5], 0x0
	v_add_u32_e32 v0, s16, v0
	v_add3_u32 v5, v5, v1, v7
	v_lshlrev_b64 v[4:5], 2, v[4:5]
	s_waitcnt lgkmcnt(0)
	v_mov_b32_e32 v1, s9
	v_add_co_u32_e64 v7, s[0:1], s8, v4
	v_addc_co_u32_e64 v10, s[0:1], v1, v5, s[0:1]
	v_cmp_gt_i32_e32 vcc, s6, v6
	v_cmp_le_i32_e64 s[0:1], v0, v6
	s_and_b64 s[0:1], vcc, s[0:1]
	s_and_saveexec_b64 s[4:5], s[0:1]
	s_cbranch_execz .LBB1410_6
; %bb.5:
	v_ashrrev_i32_e32 v1, 31, v0
	v_lshlrev_b64 v[4:5], 2, v[0:1]
	v_xor_b32_e32 v9, 0x80000000, v9
	v_add_co_u32_e64 v4, s[0:1], v7, v4
	v_addc_co_u32_e64 v5, s[0:1], v10, v5, s[0:1]
	flat_store_dword v[4:5], v9
.LBB1410_6:
	s_or_b64 exec, exec, s[4:5]
	v_add_u32_e32 v4, 16, v0
	v_cmp_le_i32_e64 s[0:1], v4, v6
	s_and_b64 s[4:5], vcc, s[0:1]
	s_and_saveexec_b64 s[0:1], s[4:5]
	s_cbranch_execz .LBB1410_8
; %bb.7:
	v_ashrrev_i32_e32 v5, 31, v4
	v_xor_b32_e32 v1, 0x80000000, v8
	v_lshlrev_b64 v[8:9], 2, v[4:5]
	v_add_co_u32_e32 v7, vcc, v7, v8
	v_addc_co_u32_e32 v8, vcc, v10, v9, vcc
	flat_store_dword v[7:8], v1
.LBB1410_8:
	s_or_b64 exec, exec, s[0:1]
	v_add_u32_e32 v5, 16, v6
	v_ashrrev_i32_e32 v1, 31, v5
	v_mul_lo_u32 v1, s2, v1
	v_mul_lo_u32 v8, s3, v5
	v_mad_u64_u32 v[6:7], s[0:1], s2, v5, 0
	v_cmp_gt_i32_e32 vcc, s6, v5
	v_add3_u32 v7, v7, v1, v8
	v_lshlrev_b64 v[6:7], 2, v[6:7]
	v_mov_b32_e32 v1, s9
	v_add_co_u32_e64 v6, s[0:1], s8, v6
	v_addc_co_u32_e64 v7, s[0:1], v1, v7, s[0:1]
	v_cmp_le_i32_e64 s[0:1], v0, v5
	s_and_b64 s[0:1], vcc, s[0:1]
	s_and_saveexec_b64 s[2:3], s[0:1]
	s_cbranch_execz .LBB1410_10
; %bb.9:
	v_ashrrev_i32_e32 v1, 31, v0
	v_lshlrev_b64 v[0:1], 2, v[0:1]
	v_xor_b32_e32 v2, 0x80000000, v2
	v_add_co_u32_e64 v0, s[0:1], v6, v0
	v_addc_co_u32_e64 v1, s[0:1], v7, v1, s[0:1]
	flat_store_dword v[0:1], v2
.LBB1410_10:
	s_or_b64 exec, exec, s[2:3]
	v_cmp_le_i32_e64 s[0:1], v4, v5
	s_and_b64 s[0:1], vcc, s[0:1]
	s_and_saveexec_b64 s[2:3], s[0:1]
	s_cbranch_execz .LBB1410_12
; %bb.11:
	v_ashrrev_i32_e32 v5, 31, v4
	v_lshlrev_b64 v[0:1], 2, v[4:5]
	v_xor_b32_e32 v2, 0x80000000, v3
	v_add_co_u32_e32 v0, vcc, v6, v0
	v_addc_co_u32_e32 v1, vcc, v7, v1, vcc
	flat_store_dword v[0:1], v2
.LBB1410_12:
	s_endpgm
	.section	.rodata,"a",@progbits
	.p2align	6, 0x0
	.amdhsa_kernel _ZL37rocblas_syrkx_herkx_restricted_kernelIlfLi16ELi32ELi8ELin1ELi0ELb0ELc67ELc85EKPKfKPfEviT_PT9_S5_lS7_S5_lPT10_S5_li
		.amdhsa_group_segment_fixed_size 2048
		.amdhsa_private_segment_fixed_size 0
		.amdhsa_kernarg_size 92
		.amdhsa_user_sgpr_count 6
		.amdhsa_user_sgpr_private_segment_buffer 1
		.amdhsa_user_sgpr_dispatch_ptr 0
		.amdhsa_user_sgpr_queue_ptr 0
		.amdhsa_user_sgpr_kernarg_segment_ptr 1
		.amdhsa_user_sgpr_dispatch_id 0
		.amdhsa_user_sgpr_flat_scratch_init 0
		.amdhsa_user_sgpr_private_segment_size 0
		.amdhsa_uses_dynamic_stack 0
		.amdhsa_system_sgpr_private_segment_wavefront_offset 0
		.amdhsa_system_sgpr_workgroup_id_x 1
		.amdhsa_system_sgpr_workgroup_id_y 1
		.amdhsa_system_sgpr_workgroup_id_z 1
		.amdhsa_system_sgpr_workgroup_info 0
		.amdhsa_system_vgpr_workitem_id 1
		.amdhsa_next_free_vgpr 34
		.amdhsa_next_free_sgpr 24
		.amdhsa_reserve_vcc 1
		.amdhsa_reserve_flat_scratch 0
		.amdhsa_float_round_mode_32 0
		.amdhsa_float_round_mode_16_64 0
		.amdhsa_float_denorm_mode_32 3
		.amdhsa_float_denorm_mode_16_64 3
		.amdhsa_dx10_clamp 1
		.amdhsa_ieee_mode 1
		.amdhsa_fp16_overflow 0
		.amdhsa_exception_fp_ieee_invalid_op 0
		.amdhsa_exception_fp_denorm_src 0
		.amdhsa_exception_fp_ieee_div_zero 0
		.amdhsa_exception_fp_ieee_overflow 0
		.amdhsa_exception_fp_ieee_underflow 0
		.amdhsa_exception_fp_ieee_inexact 0
		.amdhsa_exception_int_div_zero 0
	.end_amdhsa_kernel
	.section	.text._ZL37rocblas_syrkx_herkx_restricted_kernelIlfLi16ELi32ELi8ELin1ELi0ELb0ELc67ELc85EKPKfKPfEviT_PT9_S5_lS7_S5_lPT10_S5_li,"axG",@progbits,_ZL37rocblas_syrkx_herkx_restricted_kernelIlfLi16ELi32ELi8ELin1ELi0ELb0ELc67ELc85EKPKfKPfEviT_PT9_S5_lS7_S5_lPT10_S5_li,comdat
.Lfunc_end1410:
	.size	_ZL37rocblas_syrkx_herkx_restricted_kernelIlfLi16ELi32ELi8ELin1ELi0ELb0ELc67ELc85EKPKfKPfEviT_PT9_S5_lS7_S5_lPT10_S5_li, .Lfunc_end1410-_ZL37rocblas_syrkx_herkx_restricted_kernelIlfLi16ELi32ELi8ELin1ELi0ELb0ELc67ELc85EKPKfKPfEviT_PT9_S5_lS7_S5_lPT10_S5_li
                                        ; -- End function
	.set _ZL37rocblas_syrkx_herkx_restricted_kernelIlfLi16ELi32ELi8ELin1ELi0ELb0ELc67ELc85EKPKfKPfEviT_PT9_S5_lS7_S5_lPT10_S5_li.num_vgpr, 34
	.set _ZL37rocblas_syrkx_herkx_restricted_kernelIlfLi16ELi32ELi8ELin1ELi0ELb0ELc67ELc85EKPKfKPfEviT_PT9_S5_lS7_S5_lPT10_S5_li.num_agpr, 0
	.set _ZL37rocblas_syrkx_herkx_restricted_kernelIlfLi16ELi32ELi8ELin1ELi0ELb0ELc67ELc85EKPKfKPfEviT_PT9_S5_lS7_S5_lPT10_S5_li.numbered_sgpr, 24
	.set _ZL37rocblas_syrkx_herkx_restricted_kernelIlfLi16ELi32ELi8ELin1ELi0ELb0ELc67ELc85EKPKfKPfEviT_PT9_S5_lS7_S5_lPT10_S5_li.num_named_barrier, 0
	.set _ZL37rocblas_syrkx_herkx_restricted_kernelIlfLi16ELi32ELi8ELin1ELi0ELb0ELc67ELc85EKPKfKPfEviT_PT9_S5_lS7_S5_lPT10_S5_li.private_seg_size, 0
	.set _ZL37rocblas_syrkx_herkx_restricted_kernelIlfLi16ELi32ELi8ELin1ELi0ELb0ELc67ELc85EKPKfKPfEviT_PT9_S5_lS7_S5_lPT10_S5_li.uses_vcc, 1
	.set _ZL37rocblas_syrkx_herkx_restricted_kernelIlfLi16ELi32ELi8ELin1ELi0ELb0ELc67ELc85EKPKfKPfEviT_PT9_S5_lS7_S5_lPT10_S5_li.uses_flat_scratch, 0
	.set _ZL37rocblas_syrkx_herkx_restricted_kernelIlfLi16ELi32ELi8ELin1ELi0ELb0ELc67ELc85EKPKfKPfEviT_PT9_S5_lS7_S5_lPT10_S5_li.has_dyn_sized_stack, 0
	.set _ZL37rocblas_syrkx_herkx_restricted_kernelIlfLi16ELi32ELi8ELin1ELi0ELb0ELc67ELc85EKPKfKPfEviT_PT9_S5_lS7_S5_lPT10_S5_li.has_recursion, 0
	.set _ZL37rocblas_syrkx_herkx_restricted_kernelIlfLi16ELi32ELi8ELin1ELi0ELb0ELc67ELc85EKPKfKPfEviT_PT9_S5_lS7_S5_lPT10_S5_li.has_indirect_call, 0
	.section	.AMDGPU.csdata,"",@progbits
; Kernel info:
; codeLenInByte = 1156
; TotalNumSgprs: 28
; NumVgprs: 34
; ScratchSize: 0
; MemoryBound: 0
; FloatMode: 240
; IeeeMode: 1
; LDSByteSize: 2048 bytes/workgroup (compile time only)
; SGPRBlocks: 3
; VGPRBlocks: 8
; NumSGPRsForWavesPerEU: 28
; NumVGPRsForWavesPerEU: 34
; Occupancy: 7
; WaveLimiterHint : 1
; COMPUTE_PGM_RSRC2:SCRATCH_EN: 0
; COMPUTE_PGM_RSRC2:USER_SGPR: 6
; COMPUTE_PGM_RSRC2:TRAP_HANDLER: 0
; COMPUTE_PGM_RSRC2:TGID_X_EN: 1
; COMPUTE_PGM_RSRC2:TGID_Y_EN: 1
; COMPUTE_PGM_RSRC2:TGID_Z_EN: 1
; COMPUTE_PGM_RSRC2:TIDIG_COMP_CNT: 1
	.section	.text._ZL37rocblas_syrkx_herkx_restricted_kernelIlfLi16ELi32ELi8ELin1ELi0ELb0ELc78ELc85EKPKfKPfEviT_PT9_S5_lS7_S5_lPT10_S5_li,"axG",@progbits,_ZL37rocblas_syrkx_herkx_restricted_kernelIlfLi16ELi32ELi8ELin1ELi0ELb0ELc78ELc85EKPKfKPfEviT_PT9_S5_lS7_S5_lPT10_S5_li,comdat
	.globl	_ZL37rocblas_syrkx_herkx_restricted_kernelIlfLi16ELi32ELi8ELin1ELi0ELb0ELc78ELc85EKPKfKPfEviT_PT9_S5_lS7_S5_lPT10_S5_li ; -- Begin function _ZL37rocblas_syrkx_herkx_restricted_kernelIlfLi16ELi32ELi8ELin1ELi0ELb0ELc78ELc85EKPKfKPfEviT_PT9_S5_lS7_S5_lPT10_S5_li
	.p2align	8
	.type	_ZL37rocblas_syrkx_herkx_restricted_kernelIlfLi16ELi32ELi8ELin1ELi0ELb0ELc78ELc85EKPKfKPfEviT_PT9_S5_lS7_S5_lPT10_S5_li,@function
_ZL37rocblas_syrkx_herkx_restricted_kernelIlfLi16ELi32ELi8ELin1ELi0ELb0ELc78ELc85EKPKfKPfEviT_PT9_S5_lS7_S5_lPT10_S5_li: ; @_ZL37rocblas_syrkx_herkx_restricted_kernelIlfLi16ELi32ELi8ELin1ELi0ELb0ELc78ELc85EKPKfKPfEviT_PT9_S5_lS7_S5_lPT10_S5_li
; %bb.0:
	s_load_dwordx4 s[0:3], s[4:5], 0x40
	s_load_dwordx4 s[12:15], s[4:5], 0x8
	s_mov_b32 s9, 0
	s_lshl_b64 s[18:19], s[8:9], 3
	s_waitcnt lgkmcnt(0)
	s_add_u32 s0, s0, s18
	s_addc_u32 s1, s1, s19
	s_load_dwordx2 s[16:17], s[0:1], 0x0
	v_cmp_lt_i64_e64 s[0:1], s[12:13], 1
	s_lshl_b32 s20, s6, 5
	s_lshl_b32 s21, s7, 5
	s_and_b64 vcc, exec, s[0:1]
	s_cbranch_vccnz .LBB1411_3
; %bb.1:
	s_load_dwordx2 s[0:1], s[4:5], 0x18
	s_load_dwordx4 s[8:11], s[4:5], 0x28
	v_lshl_add_u32 v7, v1, 4, v0
	v_lshrrev_b32_e32 v8, 3, v7
	v_add_u32_e32 v2, s21, v8
	v_and_b32_e32 v6, 7, v0
	v_ashrrev_i32_e32 v3, 31, v2
	s_waitcnt lgkmcnt(0)
	v_mad_u64_u32 v[4:5], s[6:7], s10, v6, v[2:3]
	s_add_u32 s6, s14, s18
	s_addc_u32 s7, s15, s19
	v_mov_b32_e32 v2, v5
	v_mad_u64_u32 v[2:3], s[14:15], s11, v6, v[2:3]
	v_lshrrev_b32_e32 v10, 5, v7
	v_lshlrev_b32_e32 v6, 2, v6
	v_mov_b32_e32 v5, v2
	v_and_b32_e32 v2, 31, v7
	v_lshlrev_b32_e32 v3, 2, v2
	v_add_u32_e32 v2, s20, v2
	v_lshl_or_b32 v9, v10, 7, v3
	v_ashrrev_i32_e32 v3, 31, v2
	v_mad_u64_u32 v[2:3], s[14:15], s0, v10, v[2:3]
	v_lshl_or_b32 v6, v8, 5, v6
	v_add_u32_e32 v11, 0x400, v6
	v_mad_u64_u32 v[6:7], s[14:15], s1, v10, v[3:4]
	s_load_dwordx2 s[6:7], s[6:7], 0x0
	s_add_u32 s8, s8, s18
	s_addc_u32 s9, s9, s19
	v_mov_b32_e32 v3, 0x400
	s_load_dwordx2 s[8:9], s[8:9], 0x0
	v_lshl_add_u32 v13, v1, 5, v3
	v_mov_b32_e32 v3, v6
	v_lshlrev_b64 v[2:3], 2, v[2:3]
	s_waitcnt lgkmcnt(0)
	v_mov_b32_e32 v6, s7
	v_add_co_u32_e32 v2, vcc, s6, v2
	v_lshlrev_b64 v[4:5], 2, v[4:5]
	v_addc_co_u32_e32 v3, vcc, v6, v3, vcc
	v_mov_b32_e32 v6, s9
	v_add_co_u32_e32 v4, vcc, s8, v4
	v_lshlrev_b32_e32 v12, 2, v0
	s_lshl_b64 s[6:7], s[0:1], 5
	v_addc_co_u32_e32 v5, vcc, v6, v5, vcc
	s_lshl_b64 s[8:9], s[10:11], 5
	v_mov_b32_e32 v6, 0
	s_mov_b64 s[10:11], 0
	v_mov_b32_e32 v7, 0
	v_mov_b32_e32 v8, 0
	;; [unrolled: 1-line block ×3, first 2 shown]
.LBB1411_2:                             ; =>This Inner Loop Header: Depth=1
	flat_load_dword v14, v[2:3]
	s_add_u32 s10, s10, 8
	s_addc_u32 s11, s11, 0
	v_add_co_u32_e64 v2, s[0:1], s6, v2
	s_waitcnt vmcnt(0) lgkmcnt(0)
	ds_write_b32 v9, v14
	flat_load_dword v16, v[4:5]
	v_mov_b32_e32 v15, s11
	v_mov_b32_e32 v14, s10
	v_cmp_le_u64_e32 vcc, s[12:13], v[14:15]
	s_and_b64 vcc, exec, vcc
	s_waitcnt vmcnt(0) lgkmcnt(0)
	ds_write_b32 v11, v16
	s_waitcnt lgkmcnt(0)
	s_barrier
	ds_read2_b32 v[26:27], v12 offset1:16
	ds_read_b128 v[14:17], v13
	ds_read2_b32 v[28:29], v12 offset0:32 offset1:48
	ds_read2_b32 v[30:31], v12 offset0:64 offset1:80
	;; [unrolled: 1-line block ×3, first 2 shown]
	ds_read_b128 v[18:21], v13 offset:16
	s_waitcnt lgkmcnt(4)
	v_fmac_f32_e32 v10, v26, v14
	v_fmac_f32_e32 v8, v27, v14
	s_waitcnt lgkmcnt(3)
	v_fmac_f32_e32 v10, v28, v15
	v_fmac_f32_e32 v8, v29, v15
	;; [unrolled: 3-line block ×4, first 2 shown]
	ds_read_b128 v[14:17], v13 offset:512
	ds_read_b128 v[22:25], v13 offset:528
	s_waitcnt lgkmcnt(1)
	v_fmac_f32_e32 v7, v26, v14
	v_fmac_f32_e32 v6, v27, v14
	v_mov_b32_e32 v14, s7
	v_addc_co_u32_e64 v3, s[0:1], v3, v14, s[0:1]
	v_mov_b32_e32 v14, s9
	v_add_co_u32_e64 v4, s[0:1], s8, v4
	v_fmac_f32_e32 v7, v28, v15
	v_fmac_f32_e32 v6, v29, v15
	v_addc_co_u32_e64 v5, s[0:1], v5, v14, s[0:1]
	ds_read2_b32 v[14:15], v12 offset0:128 offset1:144
	v_fmac_f32_e32 v7, v30, v16
	v_fmac_f32_e32 v6, v31, v16
	;; [unrolled: 1-line block ×4, first 2 shown]
	ds_read2_b32 v[16:17], v12 offset0:160 offset1:176
	ds_read2_b32 v[26:27], v12 offset0:192 offset1:208
	;; [unrolled: 1-line block ×3, first 2 shown]
	s_waitcnt lgkmcnt(3)
	v_fmac_f32_e32 v10, v14, v18
	v_fmac_f32_e32 v8, v15, v18
	v_fmac_f32_e32 v7, v14, v22
	v_fmac_f32_e32 v6, v15, v22
	s_waitcnt lgkmcnt(2)
	v_fmac_f32_e32 v10, v16, v19
	v_fmac_f32_e32 v8, v17, v19
	v_fmac_f32_e32 v7, v16, v23
	v_fmac_f32_e32 v6, v17, v23
	;; [unrolled: 5-line block ×4, first 2 shown]
	s_barrier
	s_cbranch_vccz .LBB1411_2
	s_branch .LBB1411_4
.LBB1411_3:
	v_mov_b32_e32 v10, 0
	v_mov_b32_e32 v8, 0
	;; [unrolled: 1-line block ×4, first 2 shown]
.LBB1411_4:
	v_add_u32_e32 v4, s21, v1
	v_ashrrev_i32_e32 v1, 31, v4
	v_mul_lo_u32 v3, s2, v1
	v_mul_lo_u32 v5, s3, v4
	v_mad_u64_u32 v[1:2], s[0:1], s2, v4, 0
	s_load_dword s6, s[4:5], 0x0
	v_add_u32_e32 v0, s20, v0
	v_add3_u32 v2, v2, v3, v5
	v_lshlrev_b64 v[1:2], 2, v[1:2]
	s_waitcnt lgkmcnt(0)
	v_mov_b32_e32 v3, s17
	v_add_co_u32_e64 v5, s[0:1], s16, v1
	v_addc_co_u32_e64 v9, s[0:1], v3, v2, s[0:1]
	v_cmp_gt_i32_e32 vcc, s6, v4
	v_cmp_le_i32_e64 s[0:1], v0, v4
	s_and_b64 s[0:1], vcc, s[0:1]
	s_and_saveexec_b64 s[4:5], s[0:1]
	s_cbranch_execz .LBB1411_6
; %bb.5:
	v_ashrrev_i32_e32 v1, 31, v0
	v_lshlrev_b64 v[1:2], 2, v[0:1]
	v_xor_b32_e32 v3, 0x80000000, v10
	v_add_co_u32_e64 v1, s[0:1], v5, v1
	v_addc_co_u32_e64 v2, s[0:1], v9, v2, s[0:1]
	flat_store_dword v[1:2], v3
.LBB1411_6:
	s_or_b64 exec, exec, s[4:5]
	v_add_u32_e32 v2, 16, v0
	v_cmp_le_i32_e64 s[0:1], v2, v4
	s_and_b64 s[4:5], vcc, s[0:1]
	s_and_saveexec_b64 s[0:1], s[4:5]
	s_cbranch_execz .LBB1411_8
; %bb.7:
	v_ashrrev_i32_e32 v3, 31, v2
	v_lshlrev_b64 v[10:11], 2, v[2:3]
	v_xor_b32_e32 v1, 0x80000000, v8
	v_add_co_u32_e32 v8, vcc, v5, v10
	v_addc_co_u32_e32 v9, vcc, v9, v11, vcc
	flat_store_dword v[8:9], v1
.LBB1411_8:
	s_or_b64 exec, exec, s[0:1]
	v_add_u32_e32 v3, 16, v4
	v_ashrrev_i32_e32 v1, 31, v3
	v_mul_lo_u32 v1, s2, v1
	v_mul_lo_u32 v8, s3, v3
	v_mad_u64_u32 v[4:5], s[0:1], s2, v3, 0
	v_cmp_gt_i32_e32 vcc, s6, v3
	v_add3_u32 v5, v5, v1, v8
	v_lshlrev_b64 v[4:5], 2, v[4:5]
	v_mov_b32_e32 v1, s17
	v_add_co_u32_e64 v4, s[0:1], s16, v4
	v_addc_co_u32_e64 v5, s[0:1], v1, v5, s[0:1]
	v_cmp_le_i32_e64 s[0:1], v0, v3
	s_and_b64 s[0:1], vcc, s[0:1]
	s_and_saveexec_b64 s[2:3], s[0:1]
	s_cbranch_execz .LBB1411_10
; %bb.9:
	v_ashrrev_i32_e32 v1, 31, v0
	v_lshlrev_b64 v[0:1], 2, v[0:1]
	v_xor_b32_e32 v7, 0x80000000, v7
	v_add_co_u32_e64 v0, s[0:1], v4, v0
	v_addc_co_u32_e64 v1, s[0:1], v5, v1, s[0:1]
	flat_store_dword v[0:1], v7
.LBB1411_10:
	s_or_b64 exec, exec, s[2:3]
	v_cmp_le_i32_e64 s[0:1], v2, v3
	s_and_b64 s[0:1], vcc, s[0:1]
	s_and_saveexec_b64 s[2:3], s[0:1]
	s_cbranch_execz .LBB1411_12
; %bb.11:
	v_ashrrev_i32_e32 v3, 31, v2
	v_lshlrev_b64 v[0:1], 2, v[2:3]
	v_xor_b32_e32 v6, 0x80000000, v6
	v_add_co_u32_e32 v0, vcc, v4, v0
	v_addc_co_u32_e32 v1, vcc, v5, v1, vcc
	flat_store_dword v[0:1], v6
.LBB1411_12:
	s_endpgm
	.section	.rodata,"a",@progbits
	.p2align	6, 0x0
	.amdhsa_kernel _ZL37rocblas_syrkx_herkx_restricted_kernelIlfLi16ELi32ELi8ELin1ELi0ELb0ELc78ELc85EKPKfKPfEviT_PT9_S5_lS7_S5_lPT10_S5_li
		.amdhsa_group_segment_fixed_size 2048
		.amdhsa_private_segment_fixed_size 0
		.amdhsa_kernarg_size 92
		.amdhsa_user_sgpr_count 6
		.amdhsa_user_sgpr_private_segment_buffer 1
		.amdhsa_user_sgpr_dispatch_ptr 0
		.amdhsa_user_sgpr_queue_ptr 0
		.amdhsa_user_sgpr_kernarg_segment_ptr 1
		.amdhsa_user_sgpr_dispatch_id 0
		.amdhsa_user_sgpr_flat_scratch_init 0
		.amdhsa_user_sgpr_private_segment_size 0
		.amdhsa_uses_dynamic_stack 0
		.amdhsa_system_sgpr_private_segment_wavefront_offset 0
		.amdhsa_system_sgpr_workgroup_id_x 1
		.amdhsa_system_sgpr_workgroup_id_y 1
		.amdhsa_system_sgpr_workgroup_id_z 1
		.amdhsa_system_sgpr_workgroup_info 0
		.amdhsa_system_vgpr_workitem_id 1
		.amdhsa_next_free_vgpr 34
		.amdhsa_next_free_sgpr 22
		.amdhsa_reserve_vcc 1
		.amdhsa_reserve_flat_scratch 0
		.amdhsa_float_round_mode_32 0
		.amdhsa_float_round_mode_16_64 0
		.amdhsa_float_denorm_mode_32 3
		.amdhsa_float_denorm_mode_16_64 3
		.amdhsa_dx10_clamp 1
		.amdhsa_ieee_mode 1
		.amdhsa_fp16_overflow 0
		.amdhsa_exception_fp_ieee_invalid_op 0
		.amdhsa_exception_fp_denorm_src 0
		.amdhsa_exception_fp_ieee_div_zero 0
		.amdhsa_exception_fp_ieee_overflow 0
		.amdhsa_exception_fp_ieee_underflow 0
		.amdhsa_exception_fp_ieee_inexact 0
		.amdhsa_exception_int_div_zero 0
	.end_amdhsa_kernel
	.section	.text._ZL37rocblas_syrkx_herkx_restricted_kernelIlfLi16ELi32ELi8ELin1ELi0ELb0ELc78ELc85EKPKfKPfEviT_PT9_S5_lS7_S5_lPT10_S5_li,"axG",@progbits,_ZL37rocblas_syrkx_herkx_restricted_kernelIlfLi16ELi32ELi8ELin1ELi0ELb0ELc78ELc85EKPKfKPfEviT_PT9_S5_lS7_S5_lPT10_S5_li,comdat
.Lfunc_end1411:
	.size	_ZL37rocblas_syrkx_herkx_restricted_kernelIlfLi16ELi32ELi8ELin1ELi0ELb0ELc78ELc85EKPKfKPfEviT_PT9_S5_lS7_S5_lPT10_S5_li, .Lfunc_end1411-_ZL37rocblas_syrkx_herkx_restricted_kernelIlfLi16ELi32ELi8ELin1ELi0ELb0ELc78ELc85EKPKfKPfEviT_PT9_S5_lS7_S5_lPT10_S5_li
                                        ; -- End function
	.set _ZL37rocblas_syrkx_herkx_restricted_kernelIlfLi16ELi32ELi8ELin1ELi0ELb0ELc78ELc85EKPKfKPfEviT_PT9_S5_lS7_S5_lPT10_S5_li.num_vgpr, 34
	.set _ZL37rocblas_syrkx_herkx_restricted_kernelIlfLi16ELi32ELi8ELin1ELi0ELb0ELc78ELc85EKPKfKPfEviT_PT9_S5_lS7_S5_lPT10_S5_li.num_agpr, 0
	.set _ZL37rocblas_syrkx_herkx_restricted_kernelIlfLi16ELi32ELi8ELin1ELi0ELb0ELc78ELc85EKPKfKPfEviT_PT9_S5_lS7_S5_lPT10_S5_li.numbered_sgpr, 22
	.set _ZL37rocblas_syrkx_herkx_restricted_kernelIlfLi16ELi32ELi8ELin1ELi0ELb0ELc78ELc85EKPKfKPfEviT_PT9_S5_lS7_S5_lPT10_S5_li.num_named_barrier, 0
	.set _ZL37rocblas_syrkx_herkx_restricted_kernelIlfLi16ELi32ELi8ELin1ELi0ELb0ELc78ELc85EKPKfKPfEviT_PT9_S5_lS7_S5_lPT10_S5_li.private_seg_size, 0
	.set _ZL37rocblas_syrkx_herkx_restricted_kernelIlfLi16ELi32ELi8ELin1ELi0ELb0ELc78ELc85EKPKfKPfEviT_PT9_S5_lS7_S5_lPT10_S5_li.uses_vcc, 1
	.set _ZL37rocblas_syrkx_herkx_restricted_kernelIlfLi16ELi32ELi8ELin1ELi0ELb0ELc78ELc85EKPKfKPfEviT_PT9_S5_lS7_S5_lPT10_S5_li.uses_flat_scratch, 0
	.set _ZL37rocblas_syrkx_herkx_restricted_kernelIlfLi16ELi32ELi8ELin1ELi0ELb0ELc78ELc85EKPKfKPfEviT_PT9_S5_lS7_S5_lPT10_S5_li.has_dyn_sized_stack, 0
	.set _ZL37rocblas_syrkx_herkx_restricted_kernelIlfLi16ELi32ELi8ELin1ELi0ELb0ELc78ELc85EKPKfKPfEviT_PT9_S5_lS7_S5_lPT10_S5_li.has_recursion, 0
	.set _ZL37rocblas_syrkx_herkx_restricted_kernelIlfLi16ELi32ELi8ELin1ELi0ELb0ELc78ELc85EKPKfKPfEviT_PT9_S5_lS7_S5_lPT10_S5_li.has_indirect_call, 0
	.section	.AMDGPU.csdata,"",@progbits
; Kernel info:
; codeLenInByte = 1148
; TotalNumSgprs: 26
; NumVgprs: 34
; ScratchSize: 0
; MemoryBound: 0
; FloatMode: 240
; IeeeMode: 1
; LDSByteSize: 2048 bytes/workgroup (compile time only)
; SGPRBlocks: 3
; VGPRBlocks: 8
; NumSGPRsForWavesPerEU: 26
; NumVGPRsForWavesPerEU: 34
; Occupancy: 7
; WaveLimiterHint : 1
; COMPUTE_PGM_RSRC2:SCRATCH_EN: 0
; COMPUTE_PGM_RSRC2:USER_SGPR: 6
; COMPUTE_PGM_RSRC2:TRAP_HANDLER: 0
; COMPUTE_PGM_RSRC2:TGID_X_EN: 1
; COMPUTE_PGM_RSRC2:TGID_Y_EN: 1
; COMPUTE_PGM_RSRC2:TGID_Z_EN: 1
; COMPUTE_PGM_RSRC2:TIDIG_COMP_CNT: 1
	.section	.text._ZL37rocblas_syrkx_herkx_restricted_kernelIlfLi16ELi32ELi8ELb1ELb0ELc84ELc76EKPKfKPfEviT_T0_PT8_S5_lS8_S5_lS6_PT9_S5_li,"axG",@progbits,_ZL37rocblas_syrkx_herkx_restricted_kernelIlfLi16ELi32ELi8ELb1ELb0ELc84ELc76EKPKfKPfEviT_T0_PT8_S5_lS8_S5_lS6_PT9_S5_li,comdat
	.globl	_ZL37rocblas_syrkx_herkx_restricted_kernelIlfLi16ELi32ELi8ELb1ELb0ELc84ELc76EKPKfKPfEviT_T0_PT8_S5_lS8_S5_lS6_PT9_S5_li ; -- Begin function _ZL37rocblas_syrkx_herkx_restricted_kernelIlfLi16ELi32ELi8ELb1ELb0ELc84ELc76EKPKfKPfEviT_T0_PT8_S5_lS8_S5_lS6_PT9_S5_li
	.p2align	8
	.type	_ZL37rocblas_syrkx_herkx_restricted_kernelIlfLi16ELi32ELi8ELb1ELb0ELc84ELc76EKPKfKPfEviT_T0_PT8_S5_lS8_S5_lS6_PT9_S5_li,@function
_ZL37rocblas_syrkx_herkx_restricted_kernelIlfLi16ELi32ELi8ELb1ELb0ELc84ELc76EKPKfKPfEviT_T0_PT8_S5_lS8_S5_lS6_PT9_S5_li: ; @_ZL37rocblas_syrkx_herkx_restricted_kernelIlfLi16ELi32ELi8ELb1ELb0ELc84ELc76EKPKfKPfEviT_T0_PT8_S5_lS8_S5_lS6_PT9_S5_li
; %bb.0:
	s_load_dwordx4 s[12:15], s[4:5], 0x50
	s_load_dwordx2 s[10:11], s[4:5], 0x8
	s_mov_b32 s9, 0
	s_lshl_b64 s[16:17], s[8:9], 3
	s_waitcnt lgkmcnt(0)
	s_add_u32 s0, s12, s16
	s_addc_u32 s1, s13, s17
	s_load_dwordx2 s[8:9], s[0:1], 0x0
	v_cmp_lt_i64_e64 s[0:1], s[10:11], 1
	s_lshl_b32 s6, s6, 5
	s_lshl_b32 s7, s7, 5
	s_and_b64 vcc, exec, s[0:1]
	s_cbranch_vccnz .LBB1412_3
; %bb.1:
	s_load_dwordx4 s[0:3], s[4:5], 0x18
	s_load_dwordx4 s[20:23], s[4:5], 0x30
	v_lshl_add_u32 v3, v1, 4, v0
	v_lshrrev_b32_e32 v6, 3, v3
	v_and_b32_e32 v2, 7, v0
	s_waitcnt lgkmcnt(0)
	s_add_u32 s0, s0, s16
	s_addc_u32 s1, s1, s17
	v_add_u32_e32 v7, s7, v6
	v_lshlrev_b32_e32 v11, 2, v2
	s_add_u32 s12, s20, s16
	v_lshrrev_b32_e32 v4, 5, v3
	v_and_b32_e32 v8, 31, v3
	v_ashrrev_i32_e32 v9, 31, v7
	v_mov_b32_e32 v3, 0
	v_lshl_or_b32 v6, v6, 5, v11
	s_addc_u32 s13, s21, s17
	v_add_u32_e32 v11, 0x400, v6
	v_mul_lo_u32 v9, s22, v9
	v_mul_lo_u32 v14, s23, v7
	v_mad_u64_u32 v[6:7], s[16:17], s22, v7, v[2:3]
	s_load_dwordx2 s[12:13], s[12:13], 0x0
	v_mov_b32_e32 v5, v3
	v_add3_u32 v7, v14, v7, v9
	v_add_u32_e32 v14, s6, v8
	v_lshlrev_b32_e32 v10, 2, v8
	v_ashrrev_i32_e32 v8, 31, v14
	v_mul_lo_u32 v15, s2, v8
	v_mad_u64_u32 v[8:9], s[16:17], s2, v14, v[4:5]
	v_mul_lo_u32 v14, s3, v14
	s_load_dwordx2 s[0:1], s[0:1], 0x0
	v_lshlrev_b64 v[6:7], 2, v[6:7]
	v_mov_b32_e32 v2, 0x400
	v_lshl_or_b32 v10, v4, 7, v10
	v_lshl_add_u32 v13, v1, 5, v2
	s_waitcnt lgkmcnt(0)
	v_mov_b32_e32 v2, s13
	v_add_co_u32_e32 v4, vcc, s12, v6
	v_add3_u32 v9, v14, v9, v15
	v_addc_co_u32_e32 v5, vcc, v2, v7, vcc
	v_lshlrev_b64 v[6:7], 2, v[8:9]
	v_mov_b32_e32 v2, s1
	v_add_co_u32_e32 v6, vcc, s0, v6
	v_lshlrev_b32_e32 v12, 2, v0
	v_addc_co_u32_e32 v7, vcc, v2, v7, vcc
	s_mov_b64 s[2:3], 0
	v_mov_b32_e32 v2, v3
	v_mov_b32_e32 v8, v3
	;; [unrolled: 1-line block ×3, first 2 shown]
.LBB1412_2:                             ; =>This Inner Loop Header: Depth=1
	flat_load_dword v14, v[6:7]
	s_add_u32 s2, s2, 8
	s_addc_u32 s3, s3, 0
	v_add_co_u32_e64 v6, s[0:1], 32, v6
	v_addc_co_u32_e64 v7, s[0:1], 0, v7, s[0:1]
	s_waitcnt vmcnt(0) lgkmcnt(0)
	ds_write_b32 v10, v14
	flat_load_dword v14, v[4:5]
	v_add_co_u32_e64 v4, s[0:1], 32, v4
	v_addc_co_u32_e64 v5, s[0:1], 0, v5, s[0:1]
	s_waitcnt vmcnt(0) lgkmcnt(0)
	ds_write_b32 v11, v14
	s_waitcnt lgkmcnt(0)
	s_barrier
	ds_read2_b32 v[26:27], v12 offset1:16
	ds_read_b128 v[14:17], v13
	ds_read2_b32 v[28:29], v12 offset0:32 offset1:48
	ds_read2_b32 v[30:31], v12 offset0:64 offset1:80
	ds_read_b128 v[18:21], v13 offset:16
	ds_read2_b32 v[32:33], v12 offset0:96 offset1:112
	s_waitcnt lgkmcnt(4)
	v_fmac_f32_e32 v9, v26, v14
	v_fmac_f32_e32 v8, v27, v14
	s_waitcnt lgkmcnt(3)
	v_fmac_f32_e32 v9, v28, v15
	v_fmac_f32_e32 v8, v29, v15
	v_mov_b32_e32 v15, s3
	s_waitcnt lgkmcnt(2)
	v_fmac_f32_e32 v9, v30, v16
	v_fmac_f32_e32 v8, v31, v16
	v_mov_b32_e32 v14, s2
	s_waitcnt lgkmcnt(0)
	v_fmac_f32_e32 v9, v32, v17
	v_fmac_f32_e32 v8, v33, v17
	v_cmp_le_u64_e32 vcc, s[10:11], v[14:15]
	ds_read_b128 v[14:17], v13 offset:512
	ds_read_b128 v[22:25], v13 offset:528
	s_and_b64 vcc, exec, vcc
	s_waitcnt lgkmcnt(1)
	v_fmac_f32_e32 v2, v26, v14
	v_fmac_f32_e32 v3, v27, v14
	;; [unrolled: 1-line block ×8, first 2 shown]
	ds_read2_b32 v[14:15], v12 offset0:128 offset1:144
	ds_read2_b32 v[16:17], v12 offset0:160 offset1:176
	;; [unrolled: 1-line block ×3, first 2 shown]
	s_waitcnt lgkmcnt(2)
	v_fmac_f32_e32 v9, v14, v18
	v_fmac_f32_e32 v8, v15, v18
	v_fmac_f32_e32 v2, v14, v22
	v_fmac_f32_e32 v3, v15, v22
	ds_read2_b32 v[14:15], v12 offset0:224 offset1:240
	s_waitcnt lgkmcnt(2)
	v_fmac_f32_e32 v9, v16, v19
	v_fmac_f32_e32 v8, v17, v19
	v_fmac_f32_e32 v2, v16, v23
	v_fmac_f32_e32 v3, v17, v23
	s_waitcnt lgkmcnt(1)
	v_fmac_f32_e32 v9, v26, v20
	v_fmac_f32_e32 v8, v27, v20
	v_fmac_f32_e32 v2, v26, v24
	v_fmac_f32_e32 v3, v27, v24
	;; [unrolled: 5-line block ×3, first 2 shown]
	s_barrier
	s_cbranch_vccz .LBB1412_2
	s_branch .LBB1412_4
.LBB1412_3:
	v_mov_b32_e32 v9, 0
	v_mov_b32_e32 v8, 0
	v_mov_b32_e32 v2, 0
	v_mov_b32_e32 v3, 0
.LBB1412_4:
	v_add_u32_e32 v6, s7, v1
	v_ashrrev_i32_e32 v1, 31, v6
	v_mul_lo_u32 v1, s14, v1
	v_mul_lo_u32 v7, s15, v6
	v_mad_u64_u32 v[4:5], s[0:1], s14, v6, 0
	s_load_dword s10, s[4:5], 0x0
	s_load_dword s7, s[4:5], 0x10
	v_add_u32_e32 v0, s6, v0
	v_add3_u32 v5, v5, v1, v7
	v_lshlrev_b64 v[4:5], 2, v[4:5]
	s_waitcnt lgkmcnt(0)
	v_mov_b32_e32 v1, s9
	v_add_co_u32_e32 v7, vcc, s8, v4
	v_addc_co_u32_e32 v10, vcc, v1, v5, vcc
	v_cmp_le_i32_e64 s[0:1], v6, v0
	v_cmp_gt_i32_e32 vcc, s10, v0
	s_and_b64 s[0:1], s[0:1], vcc
	s_and_saveexec_b64 s[2:3], s[0:1]
	s_cbranch_execz .LBB1412_6
; %bb.5:
	v_ashrrev_i32_e32 v1, 31, v0
	v_lshlrev_b64 v[4:5], 2, v[0:1]
	v_mul_f32_e32 v9, s7, v9
	v_add_co_u32_e64 v4, s[0:1], v7, v4
	v_addc_co_u32_e64 v5, s[0:1], v10, v5, s[0:1]
	flat_store_dword v[4:5], v9
.LBB1412_6:
	s_or_b64 exec, exec, s[2:3]
	v_add_u32_e32 v4, 16, v0
	v_cmp_le_i32_e64 s[2:3], v6, v4
	v_cmp_gt_i32_e64 s[0:1], s10, v4
	s_and_b64 s[2:3], s[2:3], s[0:1]
	s_and_saveexec_b64 s[4:5], s[2:3]
	s_cbranch_execz .LBB1412_8
; %bb.7:
	v_ashrrev_i32_e32 v5, 31, v4
	v_mul_f32_e32 v1, s7, v8
	v_lshlrev_b64 v[8:9], 2, v[4:5]
	v_add_co_u32_e64 v7, s[2:3], v7, v8
	v_addc_co_u32_e64 v8, s[2:3], v10, v9, s[2:3]
	flat_store_dword v[7:8], v1
.LBB1412_8:
	s_or_b64 exec, exec, s[4:5]
	v_add_u32_e32 v5, 16, v6
	v_ashrrev_i32_e32 v1, 31, v5
	v_mul_lo_u32 v8, s15, v5
	v_mad_u64_u32 v[6:7], s[2:3], s14, v5, 0
	v_mul_lo_u32 v1, s14, v1
	v_add3_u32 v7, v7, v1, v8
	v_lshlrev_b64 v[6:7], 2, v[6:7]
	v_mov_b32_e32 v1, s9
	v_add_co_u32_e64 v6, s[2:3], s8, v6
	v_addc_co_u32_e64 v7, s[2:3], v1, v7, s[2:3]
	v_cmp_le_i32_e64 s[2:3], v5, v0
	s_and_b64 s[4:5], s[2:3], vcc
	s_and_saveexec_b64 s[2:3], s[4:5]
	s_cbranch_execz .LBB1412_10
; %bb.9:
	v_ashrrev_i32_e32 v1, 31, v0
	v_lshlrev_b64 v[0:1], 2, v[0:1]
	v_mul_f32_e32 v2, s7, v2
	v_add_co_u32_e32 v0, vcc, v6, v0
	v_addc_co_u32_e32 v1, vcc, v7, v1, vcc
	flat_store_dword v[0:1], v2
.LBB1412_10:
	s_or_b64 exec, exec, s[2:3]
	v_cmp_le_i32_e32 vcc, v5, v4
	s_and_b64 s[0:1], vcc, s[0:1]
	s_and_saveexec_b64 s[2:3], s[0:1]
	s_cbranch_execz .LBB1412_12
; %bb.11:
	v_ashrrev_i32_e32 v5, 31, v4
	v_lshlrev_b64 v[0:1], 2, v[4:5]
	v_mul_f32_e32 v2, s7, v3
	v_add_co_u32_e32 v0, vcc, v6, v0
	v_addc_co_u32_e32 v1, vcc, v7, v1, vcc
	flat_store_dword v[0:1], v2
.LBB1412_12:
	s_endpgm
	.section	.rodata,"a",@progbits
	.p2align	6, 0x0
	.amdhsa_kernel _ZL37rocblas_syrkx_herkx_restricted_kernelIlfLi16ELi32ELi8ELb1ELb0ELc84ELc76EKPKfKPfEviT_T0_PT8_S5_lS8_S5_lS6_PT9_S5_li
		.amdhsa_group_segment_fixed_size 2048
		.amdhsa_private_segment_fixed_size 0
		.amdhsa_kernarg_size 108
		.amdhsa_user_sgpr_count 6
		.amdhsa_user_sgpr_private_segment_buffer 1
		.amdhsa_user_sgpr_dispatch_ptr 0
		.amdhsa_user_sgpr_queue_ptr 0
		.amdhsa_user_sgpr_kernarg_segment_ptr 1
		.amdhsa_user_sgpr_dispatch_id 0
		.amdhsa_user_sgpr_flat_scratch_init 0
		.amdhsa_user_sgpr_private_segment_size 0
		.amdhsa_uses_dynamic_stack 0
		.amdhsa_system_sgpr_private_segment_wavefront_offset 0
		.amdhsa_system_sgpr_workgroup_id_x 1
		.amdhsa_system_sgpr_workgroup_id_y 1
		.amdhsa_system_sgpr_workgroup_id_z 1
		.amdhsa_system_sgpr_workgroup_info 0
		.amdhsa_system_vgpr_workitem_id 1
		.amdhsa_next_free_vgpr 34
		.amdhsa_next_free_sgpr 24
		.amdhsa_reserve_vcc 1
		.amdhsa_reserve_flat_scratch 0
		.amdhsa_float_round_mode_32 0
		.amdhsa_float_round_mode_16_64 0
		.amdhsa_float_denorm_mode_32 3
		.amdhsa_float_denorm_mode_16_64 3
		.amdhsa_dx10_clamp 1
		.amdhsa_ieee_mode 1
		.amdhsa_fp16_overflow 0
		.amdhsa_exception_fp_ieee_invalid_op 0
		.amdhsa_exception_fp_denorm_src 0
		.amdhsa_exception_fp_ieee_div_zero 0
		.amdhsa_exception_fp_ieee_overflow 0
		.amdhsa_exception_fp_ieee_underflow 0
		.amdhsa_exception_fp_ieee_inexact 0
		.amdhsa_exception_int_div_zero 0
	.end_amdhsa_kernel
	.section	.text._ZL37rocblas_syrkx_herkx_restricted_kernelIlfLi16ELi32ELi8ELb1ELb0ELc84ELc76EKPKfKPfEviT_T0_PT8_S5_lS8_S5_lS6_PT9_S5_li,"axG",@progbits,_ZL37rocblas_syrkx_herkx_restricted_kernelIlfLi16ELi32ELi8ELb1ELb0ELc84ELc76EKPKfKPfEviT_T0_PT8_S5_lS8_S5_lS6_PT9_S5_li,comdat
.Lfunc_end1412:
	.size	_ZL37rocblas_syrkx_herkx_restricted_kernelIlfLi16ELi32ELi8ELb1ELb0ELc84ELc76EKPKfKPfEviT_T0_PT8_S5_lS8_S5_lS6_PT9_S5_li, .Lfunc_end1412-_ZL37rocblas_syrkx_herkx_restricted_kernelIlfLi16ELi32ELi8ELb1ELb0ELc84ELc76EKPKfKPfEviT_T0_PT8_S5_lS8_S5_lS6_PT9_S5_li
                                        ; -- End function
	.set _ZL37rocblas_syrkx_herkx_restricted_kernelIlfLi16ELi32ELi8ELb1ELb0ELc84ELc76EKPKfKPfEviT_T0_PT8_S5_lS8_S5_lS6_PT9_S5_li.num_vgpr, 34
	.set _ZL37rocblas_syrkx_herkx_restricted_kernelIlfLi16ELi32ELi8ELb1ELb0ELc84ELc76EKPKfKPfEviT_T0_PT8_S5_lS8_S5_lS6_PT9_S5_li.num_agpr, 0
	.set _ZL37rocblas_syrkx_herkx_restricted_kernelIlfLi16ELi32ELi8ELb1ELb0ELc84ELc76EKPKfKPfEviT_T0_PT8_S5_lS8_S5_lS6_PT9_S5_li.numbered_sgpr, 24
	.set _ZL37rocblas_syrkx_herkx_restricted_kernelIlfLi16ELi32ELi8ELb1ELb0ELc84ELc76EKPKfKPfEviT_T0_PT8_S5_lS8_S5_lS6_PT9_S5_li.num_named_barrier, 0
	.set _ZL37rocblas_syrkx_herkx_restricted_kernelIlfLi16ELi32ELi8ELb1ELb0ELc84ELc76EKPKfKPfEviT_T0_PT8_S5_lS8_S5_lS6_PT9_S5_li.private_seg_size, 0
	.set _ZL37rocblas_syrkx_herkx_restricted_kernelIlfLi16ELi32ELi8ELb1ELb0ELc84ELc76EKPKfKPfEviT_T0_PT8_S5_lS8_S5_lS6_PT9_S5_li.uses_vcc, 1
	.set _ZL37rocblas_syrkx_herkx_restricted_kernelIlfLi16ELi32ELi8ELb1ELb0ELc84ELc76EKPKfKPfEviT_T0_PT8_S5_lS8_S5_lS6_PT9_S5_li.uses_flat_scratch, 0
	.set _ZL37rocblas_syrkx_herkx_restricted_kernelIlfLi16ELi32ELi8ELb1ELb0ELc84ELc76EKPKfKPfEviT_T0_PT8_S5_lS8_S5_lS6_PT9_S5_li.has_dyn_sized_stack, 0
	.set _ZL37rocblas_syrkx_herkx_restricted_kernelIlfLi16ELi32ELi8ELb1ELb0ELc84ELc76EKPKfKPfEviT_T0_PT8_S5_lS8_S5_lS6_PT9_S5_li.has_recursion, 0
	.set _ZL37rocblas_syrkx_herkx_restricted_kernelIlfLi16ELi32ELi8ELb1ELb0ELc84ELc76EKPKfKPfEviT_T0_PT8_S5_lS8_S5_lS6_PT9_S5_li.has_indirect_call, 0
	.section	.AMDGPU.csdata,"",@progbits
; Kernel info:
; codeLenInByte = 1140
; TotalNumSgprs: 28
; NumVgprs: 34
; ScratchSize: 0
; MemoryBound: 0
; FloatMode: 240
; IeeeMode: 1
; LDSByteSize: 2048 bytes/workgroup (compile time only)
; SGPRBlocks: 3
; VGPRBlocks: 8
; NumSGPRsForWavesPerEU: 28
; NumVGPRsForWavesPerEU: 34
; Occupancy: 7
; WaveLimiterHint : 1
; COMPUTE_PGM_RSRC2:SCRATCH_EN: 0
; COMPUTE_PGM_RSRC2:USER_SGPR: 6
; COMPUTE_PGM_RSRC2:TRAP_HANDLER: 0
; COMPUTE_PGM_RSRC2:TGID_X_EN: 1
; COMPUTE_PGM_RSRC2:TGID_Y_EN: 1
; COMPUTE_PGM_RSRC2:TGID_Z_EN: 1
; COMPUTE_PGM_RSRC2:TIDIG_COMP_CNT: 1
	.section	.text._ZL37rocblas_syrkx_herkx_restricted_kernelIlfLi16ELi32ELi8ELb1ELb0ELc67ELc76EKPKfKPfEviT_T0_PT8_S5_lS8_S5_lS6_PT9_S5_li,"axG",@progbits,_ZL37rocblas_syrkx_herkx_restricted_kernelIlfLi16ELi32ELi8ELb1ELb0ELc67ELc76EKPKfKPfEviT_T0_PT8_S5_lS8_S5_lS6_PT9_S5_li,comdat
	.globl	_ZL37rocblas_syrkx_herkx_restricted_kernelIlfLi16ELi32ELi8ELb1ELb0ELc67ELc76EKPKfKPfEviT_T0_PT8_S5_lS8_S5_lS6_PT9_S5_li ; -- Begin function _ZL37rocblas_syrkx_herkx_restricted_kernelIlfLi16ELi32ELi8ELb1ELb0ELc67ELc76EKPKfKPfEviT_T0_PT8_S5_lS8_S5_lS6_PT9_S5_li
	.p2align	8
	.type	_ZL37rocblas_syrkx_herkx_restricted_kernelIlfLi16ELi32ELi8ELb1ELb0ELc67ELc76EKPKfKPfEviT_T0_PT8_S5_lS8_S5_lS6_PT9_S5_li,@function
_ZL37rocblas_syrkx_herkx_restricted_kernelIlfLi16ELi32ELi8ELb1ELb0ELc67ELc76EKPKfKPfEviT_T0_PT8_S5_lS8_S5_lS6_PT9_S5_li: ; @_ZL37rocblas_syrkx_herkx_restricted_kernelIlfLi16ELi32ELi8ELb1ELb0ELc67ELc76EKPKfKPfEviT_T0_PT8_S5_lS8_S5_lS6_PT9_S5_li
; %bb.0:
	s_load_dwordx4 s[12:15], s[4:5], 0x50
	s_load_dwordx2 s[10:11], s[4:5], 0x8
	s_mov_b32 s9, 0
	s_lshl_b64 s[16:17], s[8:9], 3
	s_waitcnt lgkmcnt(0)
	s_add_u32 s0, s12, s16
	s_addc_u32 s1, s13, s17
	s_load_dwordx2 s[8:9], s[0:1], 0x0
	v_cmp_lt_i64_e64 s[0:1], s[10:11], 1
	s_lshl_b32 s6, s6, 5
	s_lshl_b32 s7, s7, 5
	s_and_b64 vcc, exec, s[0:1]
	s_cbranch_vccnz .LBB1413_3
; %bb.1:
	s_load_dwordx4 s[0:3], s[4:5], 0x18
	s_load_dwordx4 s[20:23], s[4:5], 0x30
	v_lshl_add_u32 v3, v1, 4, v0
	v_lshrrev_b32_e32 v6, 3, v3
	v_and_b32_e32 v2, 7, v0
	s_waitcnt lgkmcnt(0)
	s_add_u32 s0, s0, s16
	s_addc_u32 s1, s1, s17
	v_add_u32_e32 v7, s7, v6
	v_lshlrev_b32_e32 v11, 2, v2
	s_add_u32 s12, s20, s16
	v_lshrrev_b32_e32 v4, 5, v3
	v_and_b32_e32 v8, 31, v3
	v_ashrrev_i32_e32 v9, 31, v7
	v_mov_b32_e32 v3, 0
	v_lshl_or_b32 v6, v6, 5, v11
	s_addc_u32 s13, s21, s17
	v_add_u32_e32 v11, 0x400, v6
	v_mul_lo_u32 v9, s22, v9
	v_mul_lo_u32 v14, s23, v7
	v_mad_u64_u32 v[6:7], s[16:17], s22, v7, v[2:3]
	s_load_dwordx2 s[12:13], s[12:13], 0x0
	v_mov_b32_e32 v5, v3
	v_add3_u32 v7, v14, v7, v9
	v_add_u32_e32 v14, s6, v8
	v_lshlrev_b32_e32 v10, 2, v8
	v_ashrrev_i32_e32 v8, 31, v14
	v_mul_lo_u32 v15, s2, v8
	v_mad_u64_u32 v[8:9], s[16:17], s2, v14, v[4:5]
	v_mul_lo_u32 v14, s3, v14
	s_load_dwordx2 s[0:1], s[0:1], 0x0
	v_lshlrev_b64 v[6:7], 2, v[6:7]
	v_mov_b32_e32 v2, 0x400
	v_lshl_or_b32 v10, v4, 7, v10
	v_lshl_add_u32 v13, v1, 5, v2
	s_waitcnt lgkmcnt(0)
	v_mov_b32_e32 v2, s13
	v_add_co_u32_e32 v4, vcc, s12, v6
	v_add3_u32 v9, v14, v9, v15
	v_addc_co_u32_e32 v5, vcc, v2, v7, vcc
	v_lshlrev_b64 v[6:7], 2, v[8:9]
	v_mov_b32_e32 v2, s1
	v_add_co_u32_e32 v6, vcc, s0, v6
	v_lshlrev_b32_e32 v12, 2, v0
	v_addc_co_u32_e32 v7, vcc, v2, v7, vcc
	s_mov_b64 s[2:3], 0
	v_mov_b32_e32 v2, v3
	v_mov_b32_e32 v8, v3
	;; [unrolled: 1-line block ×3, first 2 shown]
.LBB1413_2:                             ; =>This Inner Loop Header: Depth=1
	flat_load_dword v14, v[6:7]
	s_add_u32 s2, s2, 8
	s_addc_u32 s3, s3, 0
	v_add_co_u32_e64 v6, s[0:1], 32, v6
	v_addc_co_u32_e64 v7, s[0:1], 0, v7, s[0:1]
	s_waitcnt vmcnt(0) lgkmcnt(0)
	ds_write_b32 v10, v14
	flat_load_dword v14, v[4:5]
	v_add_co_u32_e64 v4, s[0:1], 32, v4
	v_addc_co_u32_e64 v5, s[0:1], 0, v5, s[0:1]
	s_waitcnt vmcnt(0) lgkmcnt(0)
	ds_write_b32 v11, v14
	s_waitcnt lgkmcnt(0)
	s_barrier
	ds_read2_b32 v[26:27], v12 offset1:16
	ds_read_b128 v[14:17], v13
	ds_read2_b32 v[28:29], v12 offset0:32 offset1:48
	ds_read2_b32 v[30:31], v12 offset0:64 offset1:80
	ds_read_b128 v[18:21], v13 offset:16
	ds_read2_b32 v[32:33], v12 offset0:96 offset1:112
	s_waitcnt lgkmcnt(4)
	v_fmac_f32_e32 v9, v26, v14
	v_fmac_f32_e32 v8, v27, v14
	s_waitcnt lgkmcnt(3)
	v_fmac_f32_e32 v9, v28, v15
	v_fmac_f32_e32 v8, v29, v15
	v_mov_b32_e32 v15, s3
	s_waitcnt lgkmcnt(2)
	v_fmac_f32_e32 v9, v30, v16
	v_fmac_f32_e32 v8, v31, v16
	v_mov_b32_e32 v14, s2
	s_waitcnt lgkmcnt(0)
	v_fmac_f32_e32 v9, v32, v17
	v_fmac_f32_e32 v8, v33, v17
	v_cmp_le_u64_e32 vcc, s[10:11], v[14:15]
	ds_read_b128 v[14:17], v13 offset:512
	ds_read_b128 v[22:25], v13 offset:528
	s_and_b64 vcc, exec, vcc
	s_waitcnt lgkmcnt(1)
	v_fmac_f32_e32 v2, v26, v14
	v_fmac_f32_e32 v3, v27, v14
	;; [unrolled: 1-line block ×8, first 2 shown]
	ds_read2_b32 v[14:15], v12 offset0:128 offset1:144
	ds_read2_b32 v[16:17], v12 offset0:160 offset1:176
	;; [unrolled: 1-line block ×3, first 2 shown]
	s_waitcnt lgkmcnt(2)
	v_fmac_f32_e32 v9, v14, v18
	v_fmac_f32_e32 v8, v15, v18
	;; [unrolled: 1-line block ×4, first 2 shown]
	ds_read2_b32 v[14:15], v12 offset0:224 offset1:240
	s_waitcnt lgkmcnt(2)
	v_fmac_f32_e32 v9, v16, v19
	v_fmac_f32_e32 v8, v17, v19
	v_fmac_f32_e32 v2, v16, v23
	v_fmac_f32_e32 v3, v17, v23
	s_waitcnt lgkmcnt(1)
	v_fmac_f32_e32 v9, v26, v20
	v_fmac_f32_e32 v8, v27, v20
	v_fmac_f32_e32 v2, v26, v24
	v_fmac_f32_e32 v3, v27, v24
	;; [unrolled: 5-line block ×3, first 2 shown]
	s_barrier
	s_cbranch_vccz .LBB1413_2
	s_branch .LBB1413_4
.LBB1413_3:
	v_mov_b32_e32 v9, 0
	v_mov_b32_e32 v8, 0
	;; [unrolled: 1-line block ×4, first 2 shown]
.LBB1413_4:
	v_add_u32_e32 v6, s7, v1
	v_ashrrev_i32_e32 v1, 31, v6
	v_mul_lo_u32 v1, s14, v1
	v_mul_lo_u32 v7, s15, v6
	v_mad_u64_u32 v[4:5], s[0:1], s14, v6, 0
	s_load_dword s10, s[4:5], 0x0
	s_load_dword s7, s[4:5], 0x10
	v_add_u32_e32 v0, s6, v0
	v_add3_u32 v5, v5, v1, v7
	v_lshlrev_b64 v[4:5], 2, v[4:5]
	s_waitcnt lgkmcnt(0)
	v_mov_b32_e32 v1, s9
	v_add_co_u32_e32 v7, vcc, s8, v4
	v_addc_co_u32_e32 v10, vcc, v1, v5, vcc
	v_cmp_le_i32_e64 s[0:1], v6, v0
	v_cmp_gt_i32_e32 vcc, s10, v0
	s_and_b64 s[0:1], s[0:1], vcc
	s_and_saveexec_b64 s[2:3], s[0:1]
	s_cbranch_execz .LBB1413_6
; %bb.5:
	v_ashrrev_i32_e32 v1, 31, v0
	v_lshlrev_b64 v[4:5], 2, v[0:1]
	v_mul_f32_e32 v9, s7, v9
	v_add_co_u32_e64 v4, s[0:1], v7, v4
	v_addc_co_u32_e64 v5, s[0:1], v10, v5, s[0:1]
	flat_store_dword v[4:5], v9
.LBB1413_6:
	s_or_b64 exec, exec, s[2:3]
	v_add_u32_e32 v4, 16, v0
	v_cmp_le_i32_e64 s[2:3], v6, v4
	v_cmp_gt_i32_e64 s[0:1], s10, v4
	s_and_b64 s[2:3], s[2:3], s[0:1]
	s_and_saveexec_b64 s[4:5], s[2:3]
	s_cbranch_execz .LBB1413_8
; %bb.7:
	v_ashrrev_i32_e32 v5, 31, v4
	v_mul_f32_e32 v1, s7, v8
	v_lshlrev_b64 v[8:9], 2, v[4:5]
	v_add_co_u32_e64 v7, s[2:3], v7, v8
	v_addc_co_u32_e64 v8, s[2:3], v10, v9, s[2:3]
	flat_store_dword v[7:8], v1
.LBB1413_8:
	s_or_b64 exec, exec, s[4:5]
	v_add_u32_e32 v5, 16, v6
	v_ashrrev_i32_e32 v1, 31, v5
	v_mul_lo_u32 v8, s15, v5
	v_mad_u64_u32 v[6:7], s[2:3], s14, v5, 0
	v_mul_lo_u32 v1, s14, v1
	v_add3_u32 v7, v7, v1, v8
	v_lshlrev_b64 v[6:7], 2, v[6:7]
	v_mov_b32_e32 v1, s9
	v_add_co_u32_e64 v6, s[2:3], s8, v6
	v_addc_co_u32_e64 v7, s[2:3], v1, v7, s[2:3]
	v_cmp_le_i32_e64 s[2:3], v5, v0
	s_and_b64 s[4:5], s[2:3], vcc
	s_and_saveexec_b64 s[2:3], s[4:5]
	s_cbranch_execz .LBB1413_10
; %bb.9:
	v_ashrrev_i32_e32 v1, 31, v0
	v_lshlrev_b64 v[0:1], 2, v[0:1]
	v_mul_f32_e32 v2, s7, v2
	v_add_co_u32_e32 v0, vcc, v6, v0
	v_addc_co_u32_e32 v1, vcc, v7, v1, vcc
	flat_store_dword v[0:1], v2
.LBB1413_10:
	s_or_b64 exec, exec, s[2:3]
	v_cmp_le_i32_e32 vcc, v5, v4
	s_and_b64 s[0:1], vcc, s[0:1]
	s_and_saveexec_b64 s[2:3], s[0:1]
	s_cbranch_execz .LBB1413_12
; %bb.11:
	v_ashrrev_i32_e32 v5, 31, v4
	v_lshlrev_b64 v[0:1], 2, v[4:5]
	v_mul_f32_e32 v2, s7, v3
	v_add_co_u32_e32 v0, vcc, v6, v0
	v_addc_co_u32_e32 v1, vcc, v7, v1, vcc
	flat_store_dword v[0:1], v2
.LBB1413_12:
	s_endpgm
	.section	.rodata,"a",@progbits
	.p2align	6, 0x0
	.amdhsa_kernel _ZL37rocblas_syrkx_herkx_restricted_kernelIlfLi16ELi32ELi8ELb1ELb0ELc67ELc76EKPKfKPfEviT_T0_PT8_S5_lS8_S5_lS6_PT9_S5_li
		.amdhsa_group_segment_fixed_size 2048
		.amdhsa_private_segment_fixed_size 0
		.amdhsa_kernarg_size 108
		.amdhsa_user_sgpr_count 6
		.amdhsa_user_sgpr_private_segment_buffer 1
		.amdhsa_user_sgpr_dispatch_ptr 0
		.amdhsa_user_sgpr_queue_ptr 0
		.amdhsa_user_sgpr_kernarg_segment_ptr 1
		.amdhsa_user_sgpr_dispatch_id 0
		.amdhsa_user_sgpr_flat_scratch_init 0
		.amdhsa_user_sgpr_private_segment_size 0
		.amdhsa_uses_dynamic_stack 0
		.amdhsa_system_sgpr_private_segment_wavefront_offset 0
		.amdhsa_system_sgpr_workgroup_id_x 1
		.amdhsa_system_sgpr_workgroup_id_y 1
		.amdhsa_system_sgpr_workgroup_id_z 1
		.amdhsa_system_sgpr_workgroup_info 0
		.amdhsa_system_vgpr_workitem_id 1
		.amdhsa_next_free_vgpr 34
		.amdhsa_next_free_sgpr 24
		.amdhsa_reserve_vcc 1
		.amdhsa_reserve_flat_scratch 0
		.amdhsa_float_round_mode_32 0
		.amdhsa_float_round_mode_16_64 0
		.amdhsa_float_denorm_mode_32 3
		.amdhsa_float_denorm_mode_16_64 3
		.amdhsa_dx10_clamp 1
		.amdhsa_ieee_mode 1
		.amdhsa_fp16_overflow 0
		.amdhsa_exception_fp_ieee_invalid_op 0
		.amdhsa_exception_fp_denorm_src 0
		.amdhsa_exception_fp_ieee_div_zero 0
		.amdhsa_exception_fp_ieee_overflow 0
		.amdhsa_exception_fp_ieee_underflow 0
		.amdhsa_exception_fp_ieee_inexact 0
		.amdhsa_exception_int_div_zero 0
	.end_amdhsa_kernel
	.section	.text._ZL37rocblas_syrkx_herkx_restricted_kernelIlfLi16ELi32ELi8ELb1ELb0ELc67ELc76EKPKfKPfEviT_T0_PT8_S5_lS8_S5_lS6_PT9_S5_li,"axG",@progbits,_ZL37rocblas_syrkx_herkx_restricted_kernelIlfLi16ELi32ELi8ELb1ELb0ELc67ELc76EKPKfKPfEviT_T0_PT8_S5_lS8_S5_lS6_PT9_S5_li,comdat
.Lfunc_end1413:
	.size	_ZL37rocblas_syrkx_herkx_restricted_kernelIlfLi16ELi32ELi8ELb1ELb0ELc67ELc76EKPKfKPfEviT_T0_PT8_S5_lS8_S5_lS6_PT9_S5_li, .Lfunc_end1413-_ZL37rocblas_syrkx_herkx_restricted_kernelIlfLi16ELi32ELi8ELb1ELb0ELc67ELc76EKPKfKPfEviT_T0_PT8_S5_lS8_S5_lS6_PT9_S5_li
                                        ; -- End function
	.set _ZL37rocblas_syrkx_herkx_restricted_kernelIlfLi16ELi32ELi8ELb1ELb0ELc67ELc76EKPKfKPfEviT_T0_PT8_S5_lS8_S5_lS6_PT9_S5_li.num_vgpr, 34
	.set _ZL37rocblas_syrkx_herkx_restricted_kernelIlfLi16ELi32ELi8ELb1ELb0ELc67ELc76EKPKfKPfEviT_T0_PT8_S5_lS8_S5_lS6_PT9_S5_li.num_agpr, 0
	.set _ZL37rocblas_syrkx_herkx_restricted_kernelIlfLi16ELi32ELi8ELb1ELb0ELc67ELc76EKPKfKPfEviT_T0_PT8_S5_lS8_S5_lS6_PT9_S5_li.numbered_sgpr, 24
	.set _ZL37rocblas_syrkx_herkx_restricted_kernelIlfLi16ELi32ELi8ELb1ELb0ELc67ELc76EKPKfKPfEviT_T0_PT8_S5_lS8_S5_lS6_PT9_S5_li.num_named_barrier, 0
	.set _ZL37rocblas_syrkx_herkx_restricted_kernelIlfLi16ELi32ELi8ELb1ELb0ELc67ELc76EKPKfKPfEviT_T0_PT8_S5_lS8_S5_lS6_PT9_S5_li.private_seg_size, 0
	.set _ZL37rocblas_syrkx_herkx_restricted_kernelIlfLi16ELi32ELi8ELb1ELb0ELc67ELc76EKPKfKPfEviT_T0_PT8_S5_lS8_S5_lS6_PT9_S5_li.uses_vcc, 1
	.set _ZL37rocblas_syrkx_herkx_restricted_kernelIlfLi16ELi32ELi8ELb1ELb0ELc67ELc76EKPKfKPfEviT_T0_PT8_S5_lS8_S5_lS6_PT9_S5_li.uses_flat_scratch, 0
	.set _ZL37rocblas_syrkx_herkx_restricted_kernelIlfLi16ELi32ELi8ELb1ELb0ELc67ELc76EKPKfKPfEviT_T0_PT8_S5_lS8_S5_lS6_PT9_S5_li.has_dyn_sized_stack, 0
	.set _ZL37rocblas_syrkx_herkx_restricted_kernelIlfLi16ELi32ELi8ELb1ELb0ELc67ELc76EKPKfKPfEviT_T0_PT8_S5_lS8_S5_lS6_PT9_S5_li.has_recursion, 0
	.set _ZL37rocblas_syrkx_herkx_restricted_kernelIlfLi16ELi32ELi8ELb1ELb0ELc67ELc76EKPKfKPfEviT_T0_PT8_S5_lS8_S5_lS6_PT9_S5_li.has_indirect_call, 0
	.section	.AMDGPU.csdata,"",@progbits
; Kernel info:
; codeLenInByte = 1140
; TotalNumSgprs: 28
; NumVgprs: 34
; ScratchSize: 0
; MemoryBound: 0
; FloatMode: 240
; IeeeMode: 1
; LDSByteSize: 2048 bytes/workgroup (compile time only)
; SGPRBlocks: 3
; VGPRBlocks: 8
; NumSGPRsForWavesPerEU: 28
; NumVGPRsForWavesPerEU: 34
; Occupancy: 7
; WaveLimiterHint : 1
; COMPUTE_PGM_RSRC2:SCRATCH_EN: 0
; COMPUTE_PGM_RSRC2:USER_SGPR: 6
; COMPUTE_PGM_RSRC2:TRAP_HANDLER: 0
; COMPUTE_PGM_RSRC2:TGID_X_EN: 1
; COMPUTE_PGM_RSRC2:TGID_Y_EN: 1
; COMPUTE_PGM_RSRC2:TGID_Z_EN: 1
; COMPUTE_PGM_RSRC2:TIDIG_COMP_CNT: 1
	.section	.text._ZL37rocblas_syrkx_herkx_restricted_kernelIlfLi16ELi32ELi8ELb1ELb0ELc78ELc76EKPKfKPfEviT_T0_PT8_S5_lS8_S5_lS6_PT9_S5_li,"axG",@progbits,_ZL37rocblas_syrkx_herkx_restricted_kernelIlfLi16ELi32ELi8ELb1ELb0ELc78ELc76EKPKfKPfEviT_T0_PT8_S5_lS8_S5_lS6_PT9_S5_li,comdat
	.globl	_ZL37rocblas_syrkx_herkx_restricted_kernelIlfLi16ELi32ELi8ELb1ELb0ELc78ELc76EKPKfKPfEviT_T0_PT8_S5_lS8_S5_lS6_PT9_S5_li ; -- Begin function _ZL37rocblas_syrkx_herkx_restricted_kernelIlfLi16ELi32ELi8ELb1ELb0ELc78ELc76EKPKfKPfEviT_T0_PT8_S5_lS8_S5_lS6_PT9_S5_li
	.p2align	8
	.type	_ZL37rocblas_syrkx_herkx_restricted_kernelIlfLi16ELi32ELi8ELb1ELb0ELc78ELc76EKPKfKPfEviT_T0_PT8_S5_lS8_S5_lS6_PT9_S5_li,@function
_ZL37rocblas_syrkx_herkx_restricted_kernelIlfLi16ELi32ELi8ELb1ELb0ELc78ELc76EKPKfKPfEviT_T0_PT8_S5_lS8_S5_lS6_PT9_S5_li: ; @_ZL37rocblas_syrkx_herkx_restricted_kernelIlfLi16ELi32ELi8ELb1ELb0ELc78ELc76EKPKfKPfEviT_T0_PT8_S5_lS8_S5_lS6_PT9_S5_li
; %bb.0:
	s_load_dwordx4 s[12:15], s[4:5], 0x50
	s_load_dwordx2 s[16:17], s[4:5], 0x8
	s_mov_b32 s9, 0
	s_lshl_b64 s[18:19], s[8:9], 3
	s_waitcnt lgkmcnt(0)
	s_add_u32 s0, s12, s18
	s_addc_u32 s1, s13, s19
	s_load_dwordx2 s[12:13], s[0:1], 0x0
	v_cmp_lt_i64_e64 s[0:1], s[16:17], 1
	s_lshl_b32 s20, s6, 5
	s_lshl_b32 s21, s7, 5
	s_and_b64 vcc, exec, s[0:1]
	s_cbranch_vccnz .LBB1414_3
; %bb.1:
	s_load_dwordx4 s[0:3], s[4:5], 0x18
	s_load_dwordx4 s[8:11], s[4:5], 0x30
	v_lshl_add_u32 v2, v1, 4, v0
	v_lshrrev_b32_e32 v4, 3, v2
	v_lshrrev_b32_e32 v6, 5, v2
	s_waitcnt lgkmcnt(0)
	s_add_u32 s0, s0, s18
	s_addc_u32 s1, s1, s19
	v_and_b32_e32 v7, 31, v2
	v_add_u32_e32 v2, s21, v4
	s_add_u32 s6, s8, s18
	v_and_b32_e32 v5, 7, v0
	v_ashrrev_i32_e32 v3, 31, v2
	s_addc_u32 s7, s9, s19
	v_lshlrev_b32_e32 v8, 2, v7
	v_mad_u64_u32 v[2:3], s[8:9], s10, v5, v[2:3]
	v_lshl_or_b32 v9, v6, 7, v8
	v_lshlrev_b32_e32 v8, 2, v5
	v_lshl_or_b32 v4, v4, 5, v8
	v_add_u32_e32 v10, 0x400, v4
	v_mov_b32_e32 v4, 0x400
	v_lshl_add_u32 v13, v1, 5, v4
	v_mad_u64_u32 v[3:4], s[8:9], s11, v5, v[3:4]
	v_add_u32_e32 v4, s20, v7
	v_ashrrev_i32_e32 v5, 31, v4
	v_mad_u64_u32 v[4:5], s[8:9], s2, v6, v[4:5]
	s_load_dwordx2 s[6:7], s[6:7], 0x0
	v_lshlrev_b64 v[2:3], 2, v[2:3]
	v_mad_u64_u32 v[5:6], s[8:9], s3, v6, v[5:6]
	s_load_dwordx2 s[0:1], s[0:1], 0x0
	s_waitcnt lgkmcnt(0)
	v_mov_b32_e32 v7, s7
	v_add_co_u32_e32 v2, vcc, s6, v2
	v_lshlrev_b64 v[4:5], 2, v[4:5]
	v_addc_co_u32_e32 v3, vcc, v7, v3, vcc
	v_mov_b32_e32 v6, s1
	v_add_co_u32_e32 v4, vcc, s0, v4
	v_lshlrev_b32_e32 v12, 2, v0
	s_lshl_b64 s[6:7], s[10:11], 5
	v_addc_co_u32_e32 v5, vcc, v6, v5, vcc
	s_lshl_b64 s[2:3], s[2:3], 5
	v_mov_b32_e32 v6, 0
	s_mov_b64 s[8:9], 0
	v_mov_b32_e32 v7, 0
	v_mov_b32_e32 v8, 0
	;; [unrolled: 1-line block ×3, first 2 shown]
.LBB1414_2:                             ; =>This Inner Loop Header: Depth=1
	flat_load_dword v14, v[4:5]
	s_add_u32 s8, s8, 8
	s_addc_u32 s9, s9, 0
	v_add_co_u32_e64 v4, s[0:1], s2, v4
	s_waitcnt vmcnt(0) lgkmcnt(0)
	ds_write_b32 v9, v14
	flat_load_dword v16, v[2:3]
	v_mov_b32_e32 v15, s9
	v_mov_b32_e32 v14, s8
	v_cmp_le_u64_e32 vcc, s[16:17], v[14:15]
	s_and_b64 vcc, exec, vcc
	s_waitcnt vmcnt(0) lgkmcnt(0)
	ds_write_b32 v10, v16
	s_waitcnt lgkmcnt(0)
	s_barrier
	ds_read2_b32 v[26:27], v12 offset1:16
	ds_read_b128 v[14:17], v13
	ds_read2_b32 v[28:29], v12 offset0:32 offset1:48
	ds_read2_b32 v[30:31], v12 offset0:64 offset1:80
	ds_read2_b32 v[32:33], v12 offset0:96 offset1:112
	ds_read_b128 v[18:21], v13 offset:16
	s_waitcnt lgkmcnt(4)
	v_fmac_f32_e32 v11, v26, v14
	v_fmac_f32_e32 v8, v27, v14
	s_waitcnt lgkmcnt(3)
	v_fmac_f32_e32 v11, v28, v15
	v_fmac_f32_e32 v8, v29, v15
	;; [unrolled: 3-line block ×4, first 2 shown]
	ds_read_b128 v[14:17], v13 offset:512
	ds_read_b128 v[22:25], v13 offset:528
	s_waitcnt lgkmcnt(1)
	v_fmac_f32_e32 v7, v26, v14
	v_fmac_f32_e32 v6, v27, v14
	v_mov_b32_e32 v14, s3
	v_addc_co_u32_e64 v5, s[0:1], v5, v14, s[0:1]
	v_mov_b32_e32 v14, s7
	v_add_co_u32_e64 v2, s[0:1], s6, v2
	v_fmac_f32_e32 v7, v28, v15
	v_fmac_f32_e32 v6, v29, v15
	v_addc_co_u32_e64 v3, s[0:1], v3, v14, s[0:1]
	ds_read2_b32 v[14:15], v12 offset0:128 offset1:144
	v_fmac_f32_e32 v7, v30, v16
	v_fmac_f32_e32 v6, v31, v16
	;; [unrolled: 1-line block ×4, first 2 shown]
	ds_read2_b32 v[16:17], v12 offset0:160 offset1:176
	ds_read2_b32 v[26:27], v12 offset0:192 offset1:208
	ds_read2_b32 v[28:29], v12 offset0:224 offset1:240
	s_waitcnt lgkmcnt(3)
	v_fmac_f32_e32 v11, v14, v18
	v_fmac_f32_e32 v8, v15, v18
	v_fmac_f32_e32 v7, v14, v22
	v_fmac_f32_e32 v6, v15, v22
	s_waitcnt lgkmcnt(2)
	v_fmac_f32_e32 v11, v16, v19
	v_fmac_f32_e32 v8, v17, v19
	v_fmac_f32_e32 v7, v16, v23
	v_fmac_f32_e32 v6, v17, v23
	;; [unrolled: 5-line block ×4, first 2 shown]
	s_barrier
	s_cbranch_vccz .LBB1414_2
	s_branch .LBB1414_4
.LBB1414_3:
	v_mov_b32_e32 v11, 0
	v_mov_b32_e32 v8, 0
	;; [unrolled: 1-line block ×4, first 2 shown]
.LBB1414_4:
	v_add_u32_e32 v4, s21, v1
	v_ashrrev_i32_e32 v1, 31, v4
	v_mul_lo_u32 v3, s14, v1
	v_mul_lo_u32 v5, s15, v4
	v_mad_u64_u32 v[1:2], s[0:1], s14, v4, 0
	s_load_dword s7, s[4:5], 0x0
	s_load_dword s6, s[4:5], 0x10
	v_add_u32_e32 v0, s20, v0
	v_add3_u32 v2, v2, v3, v5
	v_lshlrev_b64 v[1:2], 2, v[1:2]
	s_waitcnt lgkmcnt(0)
	v_mov_b32_e32 v3, s13
	v_add_co_u32_e32 v5, vcc, s12, v1
	v_addc_co_u32_e32 v9, vcc, v3, v2, vcc
	v_cmp_le_i32_e64 s[0:1], v4, v0
	v_cmp_gt_i32_e32 vcc, s7, v0
	s_and_b64 s[0:1], s[0:1], vcc
	s_and_saveexec_b64 s[2:3], s[0:1]
	s_cbranch_execz .LBB1414_6
; %bb.5:
	v_ashrrev_i32_e32 v1, 31, v0
	v_lshlrev_b64 v[1:2], 2, v[0:1]
	v_mul_f32_e32 v3, s6, v11
	v_add_co_u32_e64 v1, s[0:1], v5, v1
	v_addc_co_u32_e64 v2, s[0:1], v9, v2, s[0:1]
	flat_store_dword v[1:2], v3
.LBB1414_6:
	s_or_b64 exec, exec, s[2:3]
	v_add_u32_e32 v2, 16, v0
	v_cmp_le_i32_e64 s[2:3], v4, v2
	v_cmp_gt_i32_e64 s[0:1], s7, v2
	s_and_b64 s[2:3], s[2:3], s[0:1]
	s_and_saveexec_b64 s[4:5], s[2:3]
	s_cbranch_execz .LBB1414_8
; %bb.7:
	v_ashrrev_i32_e32 v3, 31, v2
	v_lshlrev_b64 v[10:11], 2, v[2:3]
	v_mul_f32_e32 v1, s6, v8
	v_add_co_u32_e64 v8, s[2:3], v5, v10
	v_addc_co_u32_e64 v9, s[2:3], v9, v11, s[2:3]
	flat_store_dword v[8:9], v1
.LBB1414_8:
	s_or_b64 exec, exec, s[4:5]
	v_add_u32_e32 v3, 16, v4
	v_ashrrev_i32_e32 v1, 31, v3
	v_mul_lo_u32 v8, s15, v3
	v_mad_u64_u32 v[4:5], s[2:3], s14, v3, 0
	v_mul_lo_u32 v1, s14, v1
	v_add3_u32 v5, v5, v1, v8
	v_lshlrev_b64 v[4:5], 2, v[4:5]
	v_mov_b32_e32 v1, s13
	v_add_co_u32_e64 v4, s[2:3], s12, v4
	v_addc_co_u32_e64 v5, s[2:3], v1, v5, s[2:3]
	v_cmp_le_i32_e64 s[2:3], v3, v0
	s_and_b64 s[4:5], s[2:3], vcc
	s_and_saveexec_b64 s[2:3], s[4:5]
	s_cbranch_execz .LBB1414_10
; %bb.9:
	v_ashrrev_i32_e32 v1, 31, v0
	v_lshlrev_b64 v[0:1], 2, v[0:1]
	v_mul_f32_e32 v7, s6, v7
	v_add_co_u32_e32 v0, vcc, v4, v0
	v_addc_co_u32_e32 v1, vcc, v5, v1, vcc
	flat_store_dword v[0:1], v7
.LBB1414_10:
	s_or_b64 exec, exec, s[2:3]
	v_cmp_le_i32_e32 vcc, v3, v2
	s_and_b64 s[0:1], vcc, s[0:1]
	s_and_saveexec_b64 s[2:3], s[0:1]
	s_cbranch_execz .LBB1414_12
; %bb.11:
	v_ashrrev_i32_e32 v3, 31, v2
	v_lshlrev_b64 v[0:1], 2, v[2:3]
	v_mul_f32_e32 v6, s6, v6
	v_add_co_u32_e32 v0, vcc, v4, v0
	v_addc_co_u32_e32 v1, vcc, v5, v1, vcc
	flat_store_dword v[0:1], v6
.LBB1414_12:
	s_endpgm
	.section	.rodata,"a",@progbits
	.p2align	6, 0x0
	.amdhsa_kernel _ZL37rocblas_syrkx_herkx_restricted_kernelIlfLi16ELi32ELi8ELb1ELb0ELc78ELc76EKPKfKPfEviT_T0_PT8_S5_lS8_S5_lS6_PT9_S5_li
		.amdhsa_group_segment_fixed_size 2048
		.amdhsa_private_segment_fixed_size 0
		.amdhsa_kernarg_size 108
		.amdhsa_user_sgpr_count 6
		.amdhsa_user_sgpr_private_segment_buffer 1
		.amdhsa_user_sgpr_dispatch_ptr 0
		.amdhsa_user_sgpr_queue_ptr 0
		.amdhsa_user_sgpr_kernarg_segment_ptr 1
		.amdhsa_user_sgpr_dispatch_id 0
		.amdhsa_user_sgpr_flat_scratch_init 0
		.amdhsa_user_sgpr_private_segment_size 0
		.amdhsa_uses_dynamic_stack 0
		.amdhsa_system_sgpr_private_segment_wavefront_offset 0
		.amdhsa_system_sgpr_workgroup_id_x 1
		.amdhsa_system_sgpr_workgroup_id_y 1
		.amdhsa_system_sgpr_workgroup_id_z 1
		.amdhsa_system_sgpr_workgroup_info 0
		.amdhsa_system_vgpr_workitem_id 1
		.amdhsa_next_free_vgpr 34
		.amdhsa_next_free_sgpr 22
		.amdhsa_reserve_vcc 1
		.amdhsa_reserve_flat_scratch 0
		.amdhsa_float_round_mode_32 0
		.amdhsa_float_round_mode_16_64 0
		.amdhsa_float_denorm_mode_32 3
		.amdhsa_float_denorm_mode_16_64 3
		.amdhsa_dx10_clamp 1
		.amdhsa_ieee_mode 1
		.amdhsa_fp16_overflow 0
		.amdhsa_exception_fp_ieee_invalid_op 0
		.amdhsa_exception_fp_denorm_src 0
		.amdhsa_exception_fp_ieee_div_zero 0
		.amdhsa_exception_fp_ieee_overflow 0
		.amdhsa_exception_fp_ieee_underflow 0
		.amdhsa_exception_fp_ieee_inexact 0
		.amdhsa_exception_int_div_zero 0
	.end_amdhsa_kernel
	.section	.text._ZL37rocblas_syrkx_herkx_restricted_kernelIlfLi16ELi32ELi8ELb1ELb0ELc78ELc76EKPKfKPfEviT_T0_PT8_S5_lS8_S5_lS6_PT9_S5_li,"axG",@progbits,_ZL37rocblas_syrkx_herkx_restricted_kernelIlfLi16ELi32ELi8ELb1ELb0ELc78ELc76EKPKfKPfEviT_T0_PT8_S5_lS8_S5_lS6_PT9_S5_li,comdat
.Lfunc_end1414:
	.size	_ZL37rocblas_syrkx_herkx_restricted_kernelIlfLi16ELi32ELi8ELb1ELb0ELc78ELc76EKPKfKPfEviT_T0_PT8_S5_lS8_S5_lS6_PT9_S5_li, .Lfunc_end1414-_ZL37rocblas_syrkx_herkx_restricted_kernelIlfLi16ELi32ELi8ELb1ELb0ELc78ELc76EKPKfKPfEviT_T0_PT8_S5_lS8_S5_lS6_PT9_S5_li
                                        ; -- End function
	.set _ZL37rocblas_syrkx_herkx_restricted_kernelIlfLi16ELi32ELi8ELb1ELb0ELc78ELc76EKPKfKPfEviT_T0_PT8_S5_lS8_S5_lS6_PT9_S5_li.num_vgpr, 34
	.set _ZL37rocblas_syrkx_herkx_restricted_kernelIlfLi16ELi32ELi8ELb1ELb0ELc78ELc76EKPKfKPfEviT_T0_PT8_S5_lS8_S5_lS6_PT9_S5_li.num_agpr, 0
	.set _ZL37rocblas_syrkx_herkx_restricted_kernelIlfLi16ELi32ELi8ELb1ELb0ELc78ELc76EKPKfKPfEviT_T0_PT8_S5_lS8_S5_lS6_PT9_S5_li.numbered_sgpr, 22
	.set _ZL37rocblas_syrkx_herkx_restricted_kernelIlfLi16ELi32ELi8ELb1ELb0ELc78ELc76EKPKfKPfEviT_T0_PT8_S5_lS8_S5_lS6_PT9_S5_li.num_named_barrier, 0
	.set _ZL37rocblas_syrkx_herkx_restricted_kernelIlfLi16ELi32ELi8ELb1ELb0ELc78ELc76EKPKfKPfEviT_T0_PT8_S5_lS8_S5_lS6_PT9_S5_li.private_seg_size, 0
	.set _ZL37rocblas_syrkx_herkx_restricted_kernelIlfLi16ELi32ELi8ELb1ELb0ELc78ELc76EKPKfKPfEviT_T0_PT8_S5_lS8_S5_lS6_PT9_S5_li.uses_vcc, 1
	.set _ZL37rocblas_syrkx_herkx_restricted_kernelIlfLi16ELi32ELi8ELb1ELb0ELc78ELc76EKPKfKPfEviT_T0_PT8_S5_lS8_S5_lS6_PT9_S5_li.uses_flat_scratch, 0
	.set _ZL37rocblas_syrkx_herkx_restricted_kernelIlfLi16ELi32ELi8ELb1ELb0ELc78ELc76EKPKfKPfEviT_T0_PT8_S5_lS8_S5_lS6_PT9_S5_li.has_dyn_sized_stack, 0
	.set _ZL37rocblas_syrkx_herkx_restricted_kernelIlfLi16ELi32ELi8ELb1ELb0ELc78ELc76EKPKfKPfEviT_T0_PT8_S5_lS8_S5_lS6_PT9_S5_li.has_recursion, 0
	.set _ZL37rocblas_syrkx_herkx_restricted_kernelIlfLi16ELi32ELi8ELb1ELb0ELc78ELc76EKPKfKPfEviT_T0_PT8_S5_lS8_S5_lS6_PT9_S5_li.has_indirect_call, 0
	.section	.AMDGPU.csdata,"",@progbits
; Kernel info:
; codeLenInByte = 1120
; TotalNumSgprs: 26
; NumVgprs: 34
; ScratchSize: 0
; MemoryBound: 0
; FloatMode: 240
; IeeeMode: 1
; LDSByteSize: 2048 bytes/workgroup (compile time only)
; SGPRBlocks: 3
; VGPRBlocks: 8
; NumSGPRsForWavesPerEU: 26
; NumVGPRsForWavesPerEU: 34
; Occupancy: 7
; WaveLimiterHint : 1
; COMPUTE_PGM_RSRC2:SCRATCH_EN: 0
; COMPUTE_PGM_RSRC2:USER_SGPR: 6
; COMPUTE_PGM_RSRC2:TRAP_HANDLER: 0
; COMPUTE_PGM_RSRC2:TGID_X_EN: 1
; COMPUTE_PGM_RSRC2:TGID_Y_EN: 1
; COMPUTE_PGM_RSRC2:TGID_Z_EN: 1
; COMPUTE_PGM_RSRC2:TIDIG_COMP_CNT: 1
	.section	.text._ZL37rocblas_syrkx_herkx_restricted_kernelIlfLi16ELi32ELi8ELb1ELb0ELc84ELc85EKPKfKPfEviT_T0_PT8_S5_lS8_S5_lS6_PT9_S5_li,"axG",@progbits,_ZL37rocblas_syrkx_herkx_restricted_kernelIlfLi16ELi32ELi8ELb1ELb0ELc84ELc85EKPKfKPfEviT_T0_PT8_S5_lS8_S5_lS6_PT9_S5_li,comdat
	.globl	_ZL37rocblas_syrkx_herkx_restricted_kernelIlfLi16ELi32ELi8ELb1ELb0ELc84ELc85EKPKfKPfEviT_T0_PT8_S5_lS8_S5_lS6_PT9_S5_li ; -- Begin function _ZL37rocblas_syrkx_herkx_restricted_kernelIlfLi16ELi32ELi8ELb1ELb0ELc84ELc85EKPKfKPfEviT_T0_PT8_S5_lS8_S5_lS6_PT9_S5_li
	.p2align	8
	.type	_ZL37rocblas_syrkx_herkx_restricted_kernelIlfLi16ELi32ELi8ELb1ELb0ELc84ELc85EKPKfKPfEviT_T0_PT8_S5_lS8_S5_lS6_PT9_S5_li,@function
_ZL37rocblas_syrkx_herkx_restricted_kernelIlfLi16ELi32ELi8ELb1ELb0ELc84ELc85EKPKfKPfEviT_T0_PT8_S5_lS8_S5_lS6_PT9_S5_li: ; @_ZL37rocblas_syrkx_herkx_restricted_kernelIlfLi16ELi32ELi8ELb1ELb0ELc84ELc85EKPKfKPfEviT_T0_PT8_S5_lS8_S5_lS6_PT9_S5_li
; %bb.0:
	s_load_dwordx4 s[0:3], s[4:5], 0x50
	s_load_dwordx2 s[14:15], s[4:5], 0x8
	s_mov_b32 s9, 0
	s_lshl_b64 s[16:17], s[8:9], 3
	s_waitcnt lgkmcnt(0)
	s_add_u32 s0, s0, s16
	s_addc_u32 s1, s1, s17
	s_load_dwordx2 s[12:13], s[0:1], 0x0
	v_cmp_lt_i64_e64 s[0:1], s[14:15], 1
	s_lshl_b32 s18, s6, 5
	s_lshl_b32 s19, s7, 5
	s_and_b64 vcc, exec, s[0:1]
	s_cbranch_vccnz .LBB1415_3
; %bb.1:
	s_load_dwordx4 s[8:11], s[4:5], 0x18
	s_load_dwordx4 s[20:23], s[4:5], 0x30
	v_lshl_add_u32 v3, v1, 4, v0
	v_lshrrev_b32_e32 v6, 3, v3
	v_and_b32_e32 v2, 7, v0
	v_add_u32_e32 v7, s19, v6
	v_lshlrev_b32_e32 v11, 2, v2
	s_waitcnt lgkmcnt(0)
	s_add_u32 s0, s8, s16
	v_lshrrev_b32_e32 v4, 5, v3
	v_and_b32_e32 v8, 31, v3
	v_ashrrev_i32_e32 v9, 31, v7
	v_mov_b32_e32 v3, 0
	v_lshl_or_b32 v6, v6, 5, v11
	s_addc_u32 s1, s9, s17
	v_add_u32_e32 v11, 0x400, v6
	v_mul_lo_u32 v9, s22, v9
	v_mul_lo_u32 v14, s23, v7
	v_mad_u64_u32 v[6:7], s[8:9], s22, v7, v[2:3]
	s_add_u32 s6, s20, s16
	s_addc_u32 s7, s21, s17
	v_add3_u32 v7, v14, v7, v9
	v_add_u32_e32 v14, s18, v8
	s_load_dwordx2 s[6:7], s[6:7], 0x0
	v_mov_b32_e32 v5, v3
	v_lshlrev_b32_e32 v10, 2, v8
	v_ashrrev_i32_e32 v8, 31, v14
	v_mul_lo_u32 v15, s10, v8
	v_mad_u64_u32 v[8:9], s[8:9], s10, v14, v[4:5]
	v_mul_lo_u32 v14, s11, v14
	s_load_dwordx2 s[0:1], s[0:1], 0x0
	v_lshlrev_b64 v[6:7], 2, v[6:7]
	v_mov_b32_e32 v2, 0x400
	v_lshl_or_b32 v10, v4, 7, v10
	v_lshl_add_u32 v13, v1, 5, v2
	s_waitcnt lgkmcnt(0)
	v_mov_b32_e32 v2, s7
	v_add_co_u32_e32 v4, vcc, s6, v6
	v_add3_u32 v9, v14, v9, v15
	v_addc_co_u32_e32 v5, vcc, v2, v7, vcc
	v_lshlrev_b64 v[6:7], 2, v[8:9]
	v_mov_b32_e32 v2, s1
	v_add_co_u32_e32 v6, vcc, s0, v6
	v_lshlrev_b32_e32 v12, 2, v0
	v_addc_co_u32_e32 v7, vcc, v2, v7, vcc
	s_mov_b64 s[6:7], 0
	v_mov_b32_e32 v2, v3
	v_mov_b32_e32 v8, v3
	;; [unrolled: 1-line block ×3, first 2 shown]
.LBB1415_2:                             ; =>This Inner Loop Header: Depth=1
	flat_load_dword v14, v[6:7]
	s_add_u32 s6, s6, 8
	s_addc_u32 s7, s7, 0
	v_add_co_u32_e64 v6, s[0:1], 32, v6
	v_addc_co_u32_e64 v7, s[0:1], 0, v7, s[0:1]
	s_waitcnt vmcnt(0) lgkmcnt(0)
	ds_write_b32 v10, v14
	flat_load_dword v14, v[4:5]
	v_add_co_u32_e64 v4, s[0:1], 32, v4
	v_addc_co_u32_e64 v5, s[0:1], 0, v5, s[0:1]
	s_waitcnt vmcnt(0) lgkmcnt(0)
	ds_write_b32 v11, v14
	s_waitcnt lgkmcnt(0)
	s_barrier
	ds_read2_b32 v[26:27], v12 offset1:16
	ds_read_b128 v[14:17], v13
	ds_read2_b32 v[28:29], v12 offset0:32 offset1:48
	ds_read2_b32 v[30:31], v12 offset0:64 offset1:80
	ds_read_b128 v[18:21], v13 offset:16
	ds_read2_b32 v[32:33], v12 offset0:96 offset1:112
	s_waitcnt lgkmcnt(4)
	v_fmac_f32_e32 v9, v26, v14
	v_fmac_f32_e32 v8, v27, v14
	s_waitcnt lgkmcnt(3)
	v_fmac_f32_e32 v9, v28, v15
	v_fmac_f32_e32 v8, v29, v15
	v_mov_b32_e32 v15, s7
	s_waitcnt lgkmcnt(2)
	v_fmac_f32_e32 v9, v30, v16
	v_fmac_f32_e32 v8, v31, v16
	v_mov_b32_e32 v14, s6
	s_waitcnt lgkmcnt(0)
	v_fmac_f32_e32 v9, v32, v17
	v_fmac_f32_e32 v8, v33, v17
	v_cmp_le_u64_e32 vcc, s[14:15], v[14:15]
	ds_read_b128 v[14:17], v13 offset:512
	ds_read_b128 v[22:25], v13 offset:528
	s_and_b64 vcc, exec, vcc
	s_waitcnt lgkmcnt(1)
	v_fmac_f32_e32 v2, v26, v14
	v_fmac_f32_e32 v3, v27, v14
	;; [unrolled: 1-line block ×8, first 2 shown]
	ds_read2_b32 v[14:15], v12 offset0:128 offset1:144
	ds_read2_b32 v[16:17], v12 offset0:160 offset1:176
	;; [unrolled: 1-line block ×3, first 2 shown]
	s_waitcnt lgkmcnt(2)
	v_fmac_f32_e32 v9, v14, v18
	v_fmac_f32_e32 v8, v15, v18
	v_fmac_f32_e32 v2, v14, v22
	v_fmac_f32_e32 v3, v15, v22
	ds_read2_b32 v[14:15], v12 offset0:224 offset1:240
	s_waitcnt lgkmcnt(2)
	v_fmac_f32_e32 v9, v16, v19
	v_fmac_f32_e32 v8, v17, v19
	v_fmac_f32_e32 v2, v16, v23
	v_fmac_f32_e32 v3, v17, v23
	s_waitcnt lgkmcnt(1)
	v_fmac_f32_e32 v9, v26, v20
	v_fmac_f32_e32 v8, v27, v20
	v_fmac_f32_e32 v2, v26, v24
	v_fmac_f32_e32 v3, v27, v24
	;; [unrolled: 5-line block ×3, first 2 shown]
	s_barrier
	s_cbranch_vccz .LBB1415_2
	s_branch .LBB1415_4
.LBB1415_3:
	v_mov_b32_e32 v9, 0
	v_mov_b32_e32 v8, 0
	;; [unrolled: 1-line block ×4, first 2 shown]
.LBB1415_4:
	v_add_u32_e32 v6, s19, v1
	v_ashrrev_i32_e32 v1, 31, v6
	v_mul_lo_u32 v1, s2, v1
	v_mul_lo_u32 v7, s3, v6
	v_mad_u64_u32 v[4:5], s[0:1], s2, v6, 0
	s_load_dword s7, s[4:5], 0x0
	s_load_dword s6, s[4:5], 0x10
	v_add3_u32 v5, v5, v1, v7
	v_lshlrev_b64 v[4:5], 2, v[4:5]
	s_waitcnt lgkmcnt(0)
	v_mov_b32_e32 v1, s13
	v_add_co_u32_e64 v7, s[0:1], s12, v4
	v_add_u32_e32 v0, s18, v0
	v_addc_co_u32_e64 v10, s[0:1], v1, v5, s[0:1]
	v_cmp_gt_i32_e32 vcc, s7, v6
	v_cmp_le_i32_e64 s[0:1], v0, v6
	s_and_b64 s[0:1], vcc, s[0:1]
	s_and_saveexec_b64 s[4:5], s[0:1]
	s_cbranch_execz .LBB1415_6
; %bb.5:
	v_ashrrev_i32_e32 v1, 31, v0
	v_lshlrev_b64 v[4:5], 2, v[0:1]
	v_mul_f32_e32 v9, s6, v9
	v_add_co_u32_e64 v4, s[0:1], v7, v4
	v_addc_co_u32_e64 v5, s[0:1], v10, v5, s[0:1]
	flat_store_dword v[4:5], v9
.LBB1415_6:
	s_or_b64 exec, exec, s[4:5]
	v_add_u32_e32 v4, 16, v0
	v_cmp_le_i32_e64 s[0:1], v4, v6
	s_and_b64 s[4:5], vcc, s[0:1]
	s_and_saveexec_b64 s[0:1], s[4:5]
	s_cbranch_execz .LBB1415_8
; %bb.7:
	v_ashrrev_i32_e32 v5, 31, v4
	v_mul_f32_e32 v1, s6, v8
	v_lshlrev_b64 v[8:9], 2, v[4:5]
	v_add_co_u32_e32 v7, vcc, v7, v8
	v_addc_co_u32_e32 v8, vcc, v10, v9, vcc
	flat_store_dword v[7:8], v1
.LBB1415_8:
	s_or_b64 exec, exec, s[0:1]
	v_add_u32_e32 v5, 16, v6
	v_ashrrev_i32_e32 v1, 31, v5
	v_mul_lo_u32 v1, s2, v1
	v_mul_lo_u32 v8, s3, v5
	v_mad_u64_u32 v[6:7], s[0:1], s2, v5, 0
	v_cmp_gt_i32_e32 vcc, s7, v5
	v_add3_u32 v7, v7, v1, v8
	v_lshlrev_b64 v[6:7], 2, v[6:7]
	v_mov_b32_e32 v1, s13
	v_add_co_u32_e64 v6, s[0:1], s12, v6
	v_addc_co_u32_e64 v7, s[0:1], v1, v7, s[0:1]
	v_cmp_le_i32_e64 s[0:1], v0, v5
	s_and_b64 s[0:1], vcc, s[0:1]
	s_and_saveexec_b64 s[2:3], s[0:1]
	s_cbranch_execz .LBB1415_10
; %bb.9:
	v_ashrrev_i32_e32 v1, 31, v0
	v_lshlrev_b64 v[0:1], 2, v[0:1]
	v_mul_f32_e32 v2, s6, v2
	v_add_co_u32_e64 v0, s[0:1], v6, v0
	v_addc_co_u32_e64 v1, s[0:1], v7, v1, s[0:1]
	flat_store_dword v[0:1], v2
.LBB1415_10:
	s_or_b64 exec, exec, s[2:3]
	v_cmp_le_i32_e64 s[0:1], v4, v5
	s_and_b64 s[0:1], vcc, s[0:1]
	s_and_saveexec_b64 s[2:3], s[0:1]
	s_cbranch_execz .LBB1415_12
; %bb.11:
	v_ashrrev_i32_e32 v5, 31, v4
	v_lshlrev_b64 v[0:1], 2, v[4:5]
	v_mul_f32_e32 v2, s6, v3
	v_add_co_u32_e32 v0, vcc, v6, v0
	v_addc_co_u32_e32 v1, vcc, v7, v1, vcc
	flat_store_dword v[0:1], v2
.LBB1415_12:
	s_endpgm
	.section	.rodata,"a",@progbits
	.p2align	6, 0x0
	.amdhsa_kernel _ZL37rocblas_syrkx_herkx_restricted_kernelIlfLi16ELi32ELi8ELb1ELb0ELc84ELc85EKPKfKPfEviT_T0_PT8_S5_lS8_S5_lS6_PT9_S5_li
		.amdhsa_group_segment_fixed_size 2048
		.amdhsa_private_segment_fixed_size 0
		.amdhsa_kernarg_size 108
		.amdhsa_user_sgpr_count 6
		.amdhsa_user_sgpr_private_segment_buffer 1
		.amdhsa_user_sgpr_dispatch_ptr 0
		.amdhsa_user_sgpr_queue_ptr 0
		.amdhsa_user_sgpr_kernarg_segment_ptr 1
		.amdhsa_user_sgpr_dispatch_id 0
		.amdhsa_user_sgpr_flat_scratch_init 0
		.amdhsa_user_sgpr_private_segment_size 0
		.amdhsa_uses_dynamic_stack 0
		.amdhsa_system_sgpr_private_segment_wavefront_offset 0
		.amdhsa_system_sgpr_workgroup_id_x 1
		.amdhsa_system_sgpr_workgroup_id_y 1
		.amdhsa_system_sgpr_workgroup_id_z 1
		.amdhsa_system_sgpr_workgroup_info 0
		.amdhsa_system_vgpr_workitem_id 1
		.amdhsa_next_free_vgpr 34
		.amdhsa_next_free_sgpr 24
		.amdhsa_reserve_vcc 1
		.amdhsa_reserve_flat_scratch 0
		.amdhsa_float_round_mode_32 0
		.amdhsa_float_round_mode_16_64 0
		.amdhsa_float_denorm_mode_32 3
		.amdhsa_float_denorm_mode_16_64 3
		.amdhsa_dx10_clamp 1
		.amdhsa_ieee_mode 1
		.amdhsa_fp16_overflow 0
		.amdhsa_exception_fp_ieee_invalid_op 0
		.amdhsa_exception_fp_denorm_src 0
		.amdhsa_exception_fp_ieee_div_zero 0
		.amdhsa_exception_fp_ieee_overflow 0
		.amdhsa_exception_fp_ieee_underflow 0
		.amdhsa_exception_fp_ieee_inexact 0
		.amdhsa_exception_int_div_zero 0
	.end_amdhsa_kernel
	.section	.text._ZL37rocblas_syrkx_herkx_restricted_kernelIlfLi16ELi32ELi8ELb1ELb0ELc84ELc85EKPKfKPfEviT_T0_PT8_S5_lS8_S5_lS6_PT9_S5_li,"axG",@progbits,_ZL37rocblas_syrkx_herkx_restricted_kernelIlfLi16ELi32ELi8ELb1ELb0ELc84ELc85EKPKfKPfEviT_T0_PT8_S5_lS8_S5_lS6_PT9_S5_li,comdat
.Lfunc_end1415:
	.size	_ZL37rocblas_syrkx_herkx_restricted_kernelIlfLi16ELi32ELi8ELb1ELb0ELc84ELc85EKPKfKPfEviT_T0_PT8_S5_lS8_S5_lS6_PT9_S5_li, .Lfunc_end1415-_ZL37rocblas_syrkx_herkx_restricted_kernelIlfLi16ELi32ELi8ELb1ELb0ELc84ELc85EKPKfKPfEviT_T0_PT8_S5_lS8_S5_lS6_PT9_S5_li
                                        ; -- End function
	.set _ZL37rocblas_syrkx_herkx_restricted_kernelIlfLi16ELi32ELi8ELb1ELb0ELc84ELc85EKPKfKPfEviT_T0_PT8_S5_lS8_S5_lS6_PT9_S5_li.num_vgpr, 34
	.set _ZL37rocblas_syrkx_herkx_restricted_kernelIlfLi16ELi32ELi8ELb1ELb0ELc84ELc85EKPKfKPfEviT_T0_PT8_S5_lS8_S5_lS6_PT9_S5_li.num_agpr, 0
	.set _ZL37rocblas_syrkx_herkx_restricted_kernelIlfLi16ELi32ELi8ELb1ELb0ELc84ELc85EKPKfKPfEviT_T0_PT8_S5_lS8_S5_lS6_PT9_S5_li.numbered_sgpr, 24
	.set _ZL37rocblas_syrkx_herkx_restricted_kernelIlfLi16ELi32ELi8ELb1ELb0ELc84ELc85EKPKfKPfEviT_T0_PT8_S5_lS8_S5_lS6_PT9_S5_li.num_named_barrier, 0
	.set _ZL37rocblas_syrkx_herkx_restricted_kernelIlfLi16ELi32ELi8ELb1ELb0ELc84ELc85EKPKfKPfEviT_T0_PT8_S5_lS8_S5_lS6_PT9_S5_li.private_seg_size, 0
	.set _ZL37rocblas_syrkx_herkx_restricted_kernelIlfLi16ELi32ELi8ELb1ELb0ELc84ELc85EKPKfKPfEviT_T0_PT8_S5_lS8_S5_lS6_PT9_S5_li.uses_vcc, 1
	.set _ZL37rocblas_syrkx_herkx_restricted_kernelIlfLi16ELi32ELi8ELb1ELb0ELc84ELc85EKPKfKPfEviT_T0_PT8_S5_lS8_S5_lS6_PT9_S5_li.uses_flat_scratch, 0
	.set _ZL37rocblas_syrkx_herkx_restricted_kernelIlfLi16ELi32ELi8ELb1ELb0ELc84ELc85EKPKfKPfEviT_T0_PT8_S5_lS8_S5_lS6_PT9_S5_li.has_dyn_sized_stack, 0
	.set _ZL37rocblas_syrkx_herkx_restricted_kernelIlfLi16ELi32ELi8ELb1ELb0ELc84ELc85EKPKfKPfEviT_T0_PT8_S5_lS8_S5_lS6_PT9_S5_li.has_recursion, 0
	.set _ZL37rocblas_syrkx_herkx_restricted_kernelIlfLi16ELi32ELi8ELb1ELb0ELc84ELc85EKPKfKPfEviT_T0_PT8_S5_lS8_S5_lS6_PT9_S5_li.has_indirect_call, 0
	.section	.AMDGPU.csdata,"",@progbits
; Kernel info:
; codeLenInByte = 1148
; TotalNumSgprs: 28
; NumVgprs: 34
; ScratchSize: 0
; MemoryBound: 0
; FloatMode: 240
; IeeeMode: 1
; LDSByteSize: 2048 bytes/workgroup (compile time only)
; SGPRBlocks: 3
; VGPRBlocks: 8
; NumSGPRsForWavesPerEU: 28
; NumVGPRsForWavesPerEU: 34
; Occupancy: 7
; WaveLimiterHint : 1
; COMPUTE_PGM_RSRC2:SCRATCH_EN: 0
; COMPUTE_PGM_RSRC2:USER_SGPR: 6
; COMPUTE_PGM_RSRC2:TRAP_HANDLER: 0
; COMPUTE_PGM_RSRC2:TGID_X_EN: 1
; COMPUTE_PGM_RSRC2:TGID_Y_EN: 1
; COMPUTE_PGM_RSRC2:TGID_Z_EN: 1
; COMPUTE_PGM_RSRC2:TIDIG_COMP_CNT: 1
	.section	.text._ZL37rocblas_syrkx_herkx_restricted_kernelIlfLi16ELi32ELi8ELb1ELb0ELc67ELc85EKPKfKPfEviT_T0_PT8_S5_lS8_S5_lS6_PT9_S5_li,"axG",@progbits,_ZL37rocblas_syrkx_herkx_restricted_kernelIlfLi16ELi32ELi8ELb1ELb0ELc67ELc85EKPKfKPfEviT_T0_PT8_S5_lS8_S5_lS6_PT9_S5_li,comdat
	.globl	_ZL37rocblas_syrkx_herkx_restricted_kernelIlfLi16ELi32ELi8ELb1ELb0ELc67ELc85EKPKfKPfEviT_T0_PT8_S5_lS8_S5_lS6_PT9_S5_li ; -- Begin function _ZL37rocblas_syrkx_herkx_restricted_kernelIlfLi16ELi32ELi8ELb1ELb0ELc67ELc85EKPKfKPfEviT_T0_PT8_S5_lS8_S5_lS6_PT9_S5_li
	.p2align	8
	.type	_ZL37rocblas_syrkx_herkx_restricted_kernelIlfLi16ELi32ELi8ELb1ELb0ELc67ELc85EKPKfKPfEviT_T0_PT8_S5_lS8_S5_lS6_PT9_S5_li,@function
_ZL37rocblas_syrkx_herkx_restricted_kernelIlfLi16ELi32ELi8ELb1ELb0ELc67ELc85EKPKfKPfEviT_T0_PT8_S5_lS8_S5_lS6_PT9_S5_li: ; @_ZL37rocblas_syrkx_herkx_restricted_kernelIlfLi16ELi32ELi8ELb1ELb0ELc67ELc85EKPKfKPfEviT_T0_PT8_S5_lS8_S5_lS6_PT9_S5_li
; %bb.0:
	s_load_dwordx4 s[0:3], s[4:5], 0x50
	s_load_dwordx2 s[14:15], s[4:5], 0x8
	s_mov_b32 s9, 0
	s_lshl_b64 s[16:17], s[8:9], 3
	s_waitcnt lgkmcnt(0)
	s_add_u32 s0, s0, s16
	s_addc_u32 s1, s1, s17
	s_load_dwordx2 s[12:13], s[0:1], 0x0
	v_cmp_lt_i64_e64 s[0:1], s[14:15], 1
	s_lshl_b32 s18, s6, 5
	s_lshl_b32 s19, s7, 5
	s_and_b64 vcc, exec, s[0:1]
	s_cbranch_vccnz .LBB1416_3
; %bb.1:
	s_load_dwordx4 s[8:11], s[4:5], 0x18
	s_load_dwordx4 s[20:23], s[4:5], 0x30
	v_lshl_add_u32 v3, v1, 4, v0
	v_lshrrev_b32_e32 v6, 3, v3
	v_and_b32_e32 v2, 7, v0
	v_add_u32_e32 v7, s19, v6
	v_lshlrev_b32_e32 v11, 2, v2
	s_waitcnt lgkmcnt(0)
	s_add_u32 s0, s8, s16
	v_lshrrev_b32_e32 v4, 5, v3
	v_and_b32_e32 v8, 31, v3
	v_ashrrev_i32_e32 v9, 31, v7
	v_mov_b32_e32 v3, 0
	v_lshl_or_b32 v6, v6, 5, v11
	s_addc_u32 s1, s9, s17
	v_add_u32_e32 v11, 0x400, v6
	v_mul_lo_u32 v9, s22, v9
	v_mul_lo_u32 v14, s23, v7
	v_mad_u64_u32 v[6:7], s[8:9], s22, v7, v[2:3]
	s_add_u32 s6, s20, s16
	s_addc_u32 s7, s21, s17
	v_add3_u32 v7, v14, v7, v9
	v_add_u32_e32 v14, s18, v8
	s_load_dwordx2 s[6:7], s[6:7], 0x0
	v_mov_b32_e32 v5, v3
	v_lshlrev_b32_e32 v10, 2, v8
	v_ashrrev_i32_e32 v8, 31, v14
	v_mul_lo_u32 v15, s10, v8
	v_mad_u64_u32 v[8:9], s[8:9], s10, v14, v[4:5]
	v_mul_lo_u32 v14, s11, v14
	s_load_dwordx2 s[0:1], s[0:1], 0x0
	v_lshlrev_b64 v[6:7], 2, v[6:7]
	v_mov_b32_e32 v2, 0x400
	v_lshl_or_b32 v10, v4, 7, v10
	v_lshl_add_u32 v13, v1, 5, v2
	s_waitcnt lgkmcnt(0)
	v_mov_b32_e32 v2, s7
	v_add_co_u32_e32 v4, vcc, s6, v6
	v_add3_u32 v9, v14, v9, v15
	v_addc_co_u32_e32 v5, vcc, v2, v7, vcc
	v_lshlrev_b64 v[6:7], 2, v[8:9]
	v_mov_b32_e32 v2, s1
	v_add_co_u32_e32 v6, vcc, s0, v6
	v_lshlrev_b32_e32 v12, 2, v0
	v_addc_co_u32_e32 v7, vcc, v2, v7, vcc
	s_mov_b64 s[6:7], 0
	v_mov_b32_e32 v2, v3
	v_mov_b32_e32 v8, v3
	;; [unrolled: 1-line block ×3, first 2 shown]
.LBB1416_2:                             ; =>This Inner Loop Header: Depth=1
	flat_load_dword v14, v[6:7]
	s_add_u32 s6, s6, 8
	s_addc_u32 s7, s7, 0
	v_add_co_u32_e64 v6, s[0:1], 32, v6
	v_addc_co_u32_e64 v7, s[0:1], 0, v7, s[0:1]
	s_waitcnt vmcnt(0) lgkmcnt(0)
	ds_write_b32 v10, v14
	flat_load_dword v14, v[4:5]
	v_add_co_u32_e64 v4, s[0:1], 32, v4
	v_addc_co_u32_e64 v5, s[0:1], 0, v5, s[0:1]
	s_waitcnt vmcnt(0) lgkmcnt(0)
	ds_write_b32 v11, v14
	s_waitcnt lgkmcnt(0)
	s_barrier
	ds_read2_b32 v[26:27], v12 offset1:16
	ds_read_b128 v[14:17], v13
	ds_read2_b32 v[28:29], v12 offset0:32 offset1:48
	ds_read2_b32 v[30:31], v12 offset0:64 offset1:80
	ds_read_b128 v[18:21], v13 offset:16
	ds_read2_b32 v[32:33], v12 offset0:96 offset1:112
	s_waitcnt lgkmcnt(4)
	v_fmac_f32_e32 v9, v26, v14
	v_fmac_f32_e32 v8, v27, v14
	s_waitcnt lgkmcnt(3)
	v_fmac_f32_e32 v9, v28, v15
	v_fmac_f32_e32 v8, v29, v15
	v_mov_b32_e32 v15, s7
	s_waitcnt lgkmcnt(2)
	v_fmac_f32_e32 v9, v30, v16
	v_fmac_f32_e32 v8, v31, v16
	v_mov_b32_e32 v14, s6
	s_waitcnt lgkmcnt(0)
	v_fmac_f32_e32 v9, v32, v17
	v_fmac_f32_e32 v8, v33, v17
	v_cmp_le_u64_e32 vcc, s[14:15], v[14:15]
	ds_read_b128 v[14:17], v13 offset:512
	ds_read_b128 v[22:25], v13 offset:528
	s_and_b64 vcc, exec, vcc
	s_waitcnt lgkmcnt(1)
	v_fmac_f32_e32 v2, v26, v14
	v_fmac_f32_e32 v3, v27, v14
	;; [unrolled: 1-line block ×8, first 2 shown]
	ds_read2_b32 v[14:15], v12 offset0:128 offset1:144
	ds_read2_b32 v[16:17], v12 offset0:160 offset1:176
	;; [unrolled: 1-line block ×3, first 2 shown]
	s_waitcnt lgkmcnt(2)
	v_fmac_f32_e32 v9, v14, v18
	v_fmac_f32_e32 v8, v15, v18
	;; [unrolled: 1-line block ×4, first 2 shown]
	ds_read2_b32 v[14:15], v12 offset0:224 offset1:240
	s_waitcnt lgkmcnt(2)
	v_fmac_f32_e32 v9, v16, v19
	v_fmac_f32_e32 v8, v17, v19
	v_fmac_f32_e32 v2, v16, v23
	v_fmac_f32_e32 v3, v17, v23
	s_waitcnt lgkmcnt(1)
	v_fmac_f32_e32 v9, v26, v20
	v_fmac_f32_e32 v8, v27, v20
	v_fmac_f32_e32 v2, v26, v24
	v_fmac_f32_e32 v3, v27, v24
	;; [unrolled: 5-line block ×3, first 2 shown]
	s_barrier
	s_cbranch_vccz .LBB1416_2
	s_branch .LBB1416_4
.LBB1416_3:
	v_mov_b32_e32 v9, 0
	v_mov_b32_e32 v8, 0
	v_mov_b32_e32 v2, 0
	v_mov_b32_e32 v3, 0
.LBB1416_4:
	v_add_u32_e32 v6, s19, v1
	v_ashrrev_i32_e32 v1, 31, v6
	v_mul_lo_u32 v1, s2, v1
	v_mul_lo_u32 v7, s3, v6
	v_mad_u64_u32 v[4:5], s[0:1], s2, v6, 0
	s_load_dword s7, s[4:5], 0x0
	s_load_dword s6, s[4:5], 0x10
	v_add3_u32 v5, v5, v1, v7
	v_lshlrev_b64 v[4:5], 2, v[4:5]
	s_waitcnt lgkmcnt(0)
	v_mov_b32_e32 v1, s13
	v_add_co_u32_e64 v7, s[0:1], s12, v4
	v_add_u32_e32 v0, s18, v0
	v_addc_co_u32_e64 v10, s[0:1], v1, v5, s[0:1]
	v_cmp_gt_i32_e32 vcc, s7, v6
	v_cmp_le_i32_e64 s[0:1], v0, v6
	s_and_b64 s[0:1], vcc, s[0:1]
	s_and_saveexec_b64 s[4:5], s[0:1]
	s_cbranch_execz .LBB1416_6
; %bb.5:
	v_ashrrev_i32_e32 v1, 31, v0
	v_lshlrev_b64 v[4:5], 2, v[0:1]
	v_mul_f32_e32 v9, s6, v9
	v_add_co_u32_e64 v4, s[0:1], v7, v4
	v_addc_co_u32_e64 v5, s[0:1], v10, v5, s[0:1]
	flat_store_dword v[4:5], v9
.LBB1416_6:
	s_or_b64 exec, exec, s[4:5]
	v_add_u32_e32 v4, 16, v0
	v_cmp_le_i32_e64 s[0:1], v4, v6
	s_and_b64 s[4:5], vcc, s[0:1]
	s_and_saveexec_b64 s[0:1], s[4:5]
	s_cbranch_execz .LBB1416_8
; %bb.7:
	v_ashrrev_i32_e32 v5, 31, v4
	v_mul_f32_e32 v1, s6, v8
	v_lshlrev_b64 v[8:9], 2, v[4:5]
	v_add_co_u32_e32 v7, vcc, v7, v8
	v_addc_co_u32_e32 v8, vcc, v10, v9, vcc
	flat_store_dword v[7:8], v1
.LBB1416_8:
	s_or_b64 exec, exec, s[0:1]
	v_add_u32_e32 v5, 16, v6
	v_ashrrev_i32_e32 v1, 31, v5
	v_mul_lo_u32 v1, s2, v1
	v_mul_lo_u32 v8, s3, v5
	v_mad_u64_u32 v[6:7], s[0:1], s2, v5, 0
	v_cmp_gt_i32_e32 vcc, s7, v5
	v_add3_u32 v7, v7, v1, v8
	v_lshlrev_b64 v[6:7], 2, v[6:7]
	v_mov_b32_e32 v1, s13
	v_add_co_u32_e64 v6, s[0:1], s12, v6
	v_addc_co_u32_e64 v7, s[0:1], v1, v7, s[0:1]
	v_cmp_le_i32_e64 s[0:1], v0, v5
	s_and_b64 s[0:1], vcc, s[0:1]
	s_and_saveexec_b64 s[2:3], s[0:1]
	s_cbranch_execz .LBB1416_10
; %bb.9:
	v_ashrrev_i32_e32 v1, 31, v0
	v_lshlrev_b64 v[0:1], 2, v[0:1]
	v_mul_f32_e32 v2, s6, v2
	v_add_co_u32_e64 v0, s[0:1], v6, v0
	v_addc_co_u32_e64 v1, s[0:1], v7, v1, s[0:1]
	flat_store_dword v[0:1], v2
.LBB1416_10:
	s_or_b64 exec, exec, s[2:3]
	v_cmp_le_i32_e64 s[0:1], v4, v5
	s_and_b64 s[0:1], vcc, s[0:1]
	s_and_saveexec_b64 s[2:3], s[0:1]
	s_cbranch_execz .LBB1416_12
; %bb.11:
	v_ashrrev_i32_e32 v5, 31, v4
	v_lshlrev_b64 v[0:1], 2, v[4:5]
	v_mul_f32_e32 v2, s6, v3
	v_add_co_u32_e32 v0, vcc, v6, v0
	v_addc_co_u32_e32 v1, vcc, v7, v1, vcc
	flat_store_dword v[0:1], v2
.LBB1416_12:
	s_endpgm
	.section	.rodata,"a",@progbits
	.p2align	6, 0x0
	.amdhsa_kernel _ZL37rocblas_syrkx_herkx_restricted_kernelIlfLi16ELi32ELi8ELb1ELb0ELc67ELc85EKPKfKPfEviT_T0_PT8_S5_lS8_S5_lS6_PT9_S5_li
		.amdhsa_group_segment_fixed_size 2048
		.amdhsa_private_segment_fixed_size 0
		.amdhsa_kernarg_size 108
		.amdhsa_user_sgpr_count 6
		.amdhsa_user_sgpr_private_segment_buffer 1
		.amdhsa_user_sgpr_dispatch_ptr 0
		.amdhsa_user_sgpr_queue_ptr 0
		.amdhsa_user_sgpr_kernarg_segment_ptr 1
		.amdhsa_user_sgpr_dispatch_id 0
		.amdhsa_user_sgpr_flat_scratch_init 0
		.amdhsa_user_sgpr_private_segment_size 0
		.amdhsa_uses_dynamic_stack 0
		.amdhsa_system_sgpr_private_segment_wavefront_offset 0
		.amdhsa_system_sgpr_workgroup_id_x 1
		.amdhsa_system_sgpr_workgroup_id_y 1
		.amdhsa_system_sgpr_workgroup_id_z 1
		.amdhsa_system_sgpr_workgroup_info 0
		.amdhsa_system_vgpr_workitem_id 1
		.amdhsa_next_free_vgpr 34
		.amdhsa_next_free_sgpr 24
		.amdhsa_reserve_vcc 1
		.amdhsa_reserve_flat_scratch 0
		.amdhsa_float_round_mode_32 0
		.amdhsa_float_round_mode_16_64 0
		.amdhsa_float_denorm_mode_32 3
		.amdhsa_float_denorm_mode_16_64 3
		.amdhsa_dx10_clamp 1
		.amdhsa_ieee_mode 1
		.amdhsa_fp16_overflow 0
		.amdhsa_exception_fp_ieee_invalid_op 0
		.amdhsa_exception_fp_denorm_src 0
		.amdhsa_exception_fp_ieee_div_zero 0
		.amdhsa_exception_fp_ieee_overflow 0
		.amdhsa_exception_fp_ieee_underflow 0
		.amdhsa_exception_fp_ieee_inexact 0
		.amdhsa_exception_int_div_zero 0
	.end_amdhsa_kernel
	.section	.text._ZL37rocblas_syrkx_herkx_restricted_kernelIlfLi16ELi32ELi8ELb1ELb0ELc67ELc85EKPKfKPfEviT_T0_PT8_S5_lS8_S5_lS6_PT9_S5_li,"axG",@progbits,_ZL37rocblas_syrkx_herkx_restricted_kernelIlfLi16ELi32ELi8ELb1ELb0ELc67ELc85EKPKfKPfEviT_T0_PT8_S5_lS8_S5_lS6_PT9_S5_li,comdat
.Lfunc_end1416:
	.size	_ZL37rocblas_syrkx_herkx_restricted_kernelIlfLi16ELi32ELi8ELb1ELb0ELc67ELc85EKPKfKPfEviT_T0_PT8_S5_lS8_S5_lS6_PT9_S5_li, .Lfunc_end1416-_ZL37rocblas_syrkx_herkx_restricted_kernelIlfLi16ELi32ELi8ELb1ELb0ELc67ELc85EKPKfKPfEviT_T0_PT8_S5_lS8_S5_lS6_PT9_S5_li
                                        ; -- End function
	.set _ZL37rocblas_syrkx_herkx_restricted_kernelIlfLi16ELi32ELi8ELb1ELb0ELc67ELc85EKPKfKPfEviT_T0_PT8_S5_lS8_S5_lS6_PT9_S5_li.num_vgpr, 34
	.set _ZL37rocblas_syrkx_herkx_restricted_kernelIlfLi16ELi32ELi8ELb1ELb0ELc67ELc85EKPKfKPfEviT_T0_PT8_S5_lS8_S5_lS6_PT9_S5_li.num_agpr, 0
	.set _ZL37rocblas_syrkx_herkx_restricted_kernelIlfLi16ELi32ELi8ELb1ELb0ELc67ELc85EKPKfKPfEviT_T0_PT8_S5_lS8_S5_lS6_PT9_S5_li.numbered_sgpr, 24
	.set _ZL37rocblas_syrkx_herkx_restricted_kernelIlfLi16ELi32ELi8ELb1ELb0ELc67ELc85EKPKfKPfEviT_T0_PT8_S5_lS8_S5_lS6_PT9_S5_li.num_named_barrier, 0
	.set _ZL37rocblas_syrkx_herkx_restricted_kernelIlfLi16ELi32ELi8ELb1ELb0ELc67ELc85EKPKfKPfEviT_T0_PT8_S5_lS8_S5_lS6_PT9_S5_li.private_seg_size, 0
	.set _ZL37rocblas_syrkx_herkx_restricted_kernelIlfLi16ELi32ELi8ELb1ELb0ELc67ELc85EKPKfKPfEviT_T0_PT8_S5_lS8_S5_lS6_PT9_S5_li.uses_vcc, 1
	.set _ZL37rocblas_syrkx_herkx_restricted_kernelIlfLi16ELi32ELi8ELb1ELb0ELc67ELc85EKPKfKPfEviT_T0_PT8_S5_lS8_S5_lS6_PT9_S5_li.uses_flat_scratch, 0
	.set _ZL37rocblas_syrkx_herkx_restricted_kernelIlfLi16ELi32ELi8ELb1ELb0ELc67ELc85EKPKfKPfEviT_T0_PT8_S5_lS8_S5_lS6_PT9_S5_li.has_dyn_sized_stack, 0
	.set _ZL37rocblas_syrkx_herkx_restricted_kernelIlfLi16ELi32ELi8ELb1ELb0ELc67ELc85EKPKfKPfEviT_T0_PT8_S5_lS8_S5_lS6_PT9_S5_li.has_recursion, 0
	.set _ZL37rocblas_syrkx_herkx_restricted_kernelIlfLi16ELi32ELi8ELb1ELb0ELc67ELc85EKPKfKPfEviT_T0_PT8_S5_lS8_S5_lS6_PT9_S5_li.has_indirect_call, 0
	.section	.AMDGPU.csdata,"",@progbits
; Kernel info:
; codeLenInByte = 1148
; TotalNumSgprs: 28
; NumVgprs: 34
; ScratchSize: 0
; MemoryBound: 0
; FloatMode: 240
; IeeeMode: 1
; LDSByteSize: 2048 bytes/workgroup (compile time only)
; SGPRBlocks: 3
; VGPRBlocks: 8
; NumSGPRsForWavesPerEU: 28
; NumVGPRsForWavesPerEU: 34
; Occupancy: 7
; WaveLimiterHint : 1
; COMPUTE_PGM_RSRC2:SCRATCH_EN: 0
; COMPUTE_PGM_RSRC2:USER_SGPR: 6
; COMPUTE_PGM_RSRC2:TRAP_HANDLER: 0
; COMPUTE_PGM_RSRC2:TGID_X_EN: 1
; COMPUTE_PGM_RSRC2:TGID_Y_EN: 1
; COMPUTE_PGM_RSRC2:TGID_Z_EN: 1
; COMPUTE_PGM_RSRC2:TIDIG_COMP_CNT: 1
	.section	.text._ZL37rocblas_syrkx_herkx_restricted_kernelIlfLi16ELi32ELi8ELb1ELb0ELc78ELc85EKPKfKPfEviT_T0_PT8_S5_lS8_S5_lS6_PT9_S5_li,"axG",@progbits,_ZL37rocblas_syrkx_herkx_restricted_kernelIlfLi16ELi32ELi8ELb1ELb0ELc78ELc85EKPKfKPfEviT_T0_PT8_S5_lS8_S5_lS6_PT9_S5_li,comdat
	.globl	_ZL37rocblas_syrkx_herkx_restricted_kernelIlfLi16ELi32ELi8ELb1ELb0ELc78ELc85EKPKfKPfEviT_T0_PT8_S5_lS8_S5_lS6_PT9_S5_li ; -- Begin function _ZL37rocblas_syrkx_herkx_restricted_kernelIlfLi16ELi32ELi8ELb1ELb0ELc78ELc85EKPKfKPfEviT_T0_PT8_S5_lS8_S5_lS6_PT9_S5_li
	.p2align	8
	.type	_ZL37rocblas_syrkx_herkx_restricted_kernelIlfLi16ELi32ELi8ELb1ELb0ELc78ELc85EKPKfKPfEviT_T0_PT8_S5_lS8_S5_lS6_PT9_S5_li,@function
_ZL37rocblas_syrkx_herkx_restricted_kernelIlfLi16ELi32ELi8ELb1ELb0ELc78ELc85EKPKfKPfEviT_T0_PT8_S5_lS8_S5_lS6_PT9_S5_li: ; @_ZL37rocblas_syrkx_herkx_restricted_kernelIlfLi16ELi32ELi8ELb1ELb0ELc78ELc85EKPKfKPfEviT_T0_PT8_S5_lS8_S5_lS6_PT9_S5_li
; %bb.0:
	s_load_dwordx4 s[0:3], s[4:5], 0x50
	s_load_dwordx2 s[18:19], s[4:5], 0x8
	s_mov_b32 s9, 0
	s_lshl_b64 s[20:21], s[8:9], 3
	s_waitcnt lgkmcnt(0)
	s_add_u32 s0, s0, s20
	s_addc_u32 s1, s1, s21
	s_load_dwordx2 s[16:17], s[0:1], 0x0
	v_cmp_lt_i64_e64 s[0:1], s[18:19], 1
	s_lshl_b32 s22, s6, 5
	s_lshl_b32 s23, s7, 5
	s_and_b64 vcc, exec, s[0:1]
	s_cbranch_vccnz .LBB1417_3
; %bb.1:
	s_load_dwordx4 s[8:11], s[4:5], 0x18
	s_load_dwordx4 s[12:15], s[4:5], 0x30
	v_lshl_add_u32 v2, v1, 4, v0
	v_lshrrev_b32_e32 v4, 3, v2
	v_lshrrev_b32_e32 v6, 5, v2
	v_and_b32_e32 v7, 31, v2
	v_add_u32_e32 v2, s23, v4
	s_waitcnt lgkmcnt(0)
	s_add_u32 s0, s8, s20
	v_and_b32_e32 v5, 7, v0
	v_ashrrev_i32_e32 v3, 31, v2
	s_addc_u32 s1, s9, s21
	v_lshlrev_b32_e32 v8, 2, v7
	v_mad_u64_u32 v[2:3], s[8:9], s14, v5, v[2:3]
	v_lshl_or_b32 v9, v6, 7, v8
	v_lshlrev_b32_e32 v8, 2, v5
	v_lshl_or_b32 v4, v4, 5, v8
	v_add_u32_e32 v10, 0x400, v4
	v_mov_b32_e32 v4, 0x400
	v_lshl_add_u32 v13, v1, 5, v4
	v_mad_u64_u32 v[3:4], s[8:9], s15, v5, v[3:4]
	v_add_u32_e32 v4, s22, v7
	v_ashrrev_i32_e32 v5, 31, v4
	v_mad_u64_u32 v[4:5], s[8:9], s10, v6, v[4:5]
	s_add_u32 s6, s12, s20
	s_addc_u32 s7, s13, s21
	s_load_dwordx2 s[6:7], s[6:7], 0x0
	v_mad_u64_u32 v[5:6], s[8:9], s11, v6, v[5:6]
	s_load_dwordx2 s[0:1], s[0:1], 0x0
	v_lshlrev_b64 v[2:3], 2, v[2:3]
	s_waitcnt lgkmcnt(0)
	v_mov_b32_e32 v7, s7
	v_add_co_u32_e32 v2, vcc, s6, v2
	v_lshlrev_b64 v[4:5], 2, v[4:5]
	v_addc_co_u32_e32 v3, vcc, v7, v3, vcc
	v_mov_b32_e32 v6, s1
	v_add_co_u32_e32 v4, vcc, s0, v4
	v_lshlrev_b32_e32 v12, 2, v0
	s_lshl_b64 s[6:7], s[14:15], 5
	v_addc_co_u32_e32 v5, vcc, v6, v5, vcc
	s_lshl_b64 s[8:9], s[10:11], 5
	v_mov_b32_e32 v6, 0
	s_mov_b64 s[10:11], 0
	v_mov_b32_e32 v7, 0
	v_mov_b32_e32 v8, 0
	;; [unrolled: 1-line block ×3, first 2 shown]
.LBB1417_2:                             ; =>This Inner Loop Header: Depth=1
	flat_load_dword v14, v[4:5]
	s_add_u32 s10, s10, 8
	s_addc_u32 s11, s11, 0
	v_add_co_u32_e64 v4, s[0:1], s8, v4
	s_waitcnt vmcnt(0) lgkmcnt(0)
	ds_write_b32 v9, v14
	flat_load_dword v16, v[2:3]
	v_mov_b32_e32 v15, s11
	v_mov_b32_e32 v14, s10
	v_cmp_le_u64_e32 vcc, s[18:19], v[14:15]
	s_and_b64 vcc, exec, vcc
	s_waitcnt vmcnt(0) lgkmcnt(0)
	ds_write_b32 v10, v16
	s_waitcnt lgkmcnt(0)
	s_barrier
	ds_read2_b32 v[26:27], v12 offset1:16
	ds_read_b128 v[14:17], v13
	ds_read2_b32 v[28:29], v12 offset0:32 offset1:48
	ds_read2_b32 v[30:31], v12 offset0:64 offset1:80
	;; [unrolled: 1-line block ×3, first 2 shown]
	ds_read_b128 v[18:21], v13 offset:16
	s_waitcnt lgkmcnt(4)
	v_fmac_f32_e32 v11, v26, v14
	v_fmac_f32_e32 v8, v27, v14
	s_waitcnt lgkmcnt(3)
	v_fmac_f32_e32 v11, v28, v15
	v_fmac_f32_e32 v8, v29, v15
	;; [unrolled: 3-line block ×4, first 2 shown]
	ds_read_b128 v[14:17], v13 offset:512
	ds_read_b128 v[22:25], v13 offset:528
	s_waitcnt lgkmcnt(1)
	v_fmac_f32_e32 v7, v26, v14
	v_fmac_f32_e32 v6, v27, v14
	v_mov_b32_e32 v14, s9
	v_addc_co_u32_e64 v5, s[0:1], v5, v14, s[0:1]
	v_mov_b32_e32 v14, s7
	v_add_co_u32_e64 v2, s[0:1], s6, v2
	v_fmac_f32_e32 v7, v28, v15
	v_fmac_f32_e32 v6, v29, v15
	v_addc_co_u32_e64 v3, s[0:1], v3, v14, s[0:1]
	ds_read2_b32 v[14:15], v12 offset0:128 offset1:144
	v_fmac_f32_e32 v7, v30, v16
	v_fmac_f32_e32 v6, v31, v16
	;; [unrolled: 1-line block ×4, first 2 shown]
	ds_read2_b32 v[16:17], v12 offset0:160 offset1:176
	ds_read2_b32 v[26:27], v12 offset0:192 offset1:208
	ds_read2_b32 v[28:29], v12 offset0:224 offset1:240
	s_waitcnt lgkmcnt(3)
	v_fmac_f32_e32 v11, v14, v18
	v_fmac_f32_e32 v8, v15, v18
	v_fmac_f32_e32 v7, v14, v22
	v_fmac_f32_e32 v6, v15, v22
	s_waitcnt lgkmcnt(2)
	v_fmac_f32_e32 v11, v16, v19
	v_fmac_f32_e32 v8, v17, v19
	v_fmac_f32_e32 v7, v16, v23
	v_fmac_f32_e32 v6, v17, v23
	;; [unrolled: 5-line block ×4, first 2 shown]
	s_barrier
	s_cbranch_vccz .LBB1417_2
	s_branch .LBB1417_4
.LBB1417_3:
	v_mov_b32_e32 v11, 0
	v_mov_b32_e32 v8, 0
	;; [unrolled: 1-line block ×4, first 2 shown]
.LBB1417_4:
	v_add_u32_e32 v4, s23, v1
	v_ashrrev_i32_e32 v1, 31, v4
	v_mul_lo_u32 v3, s2, v1
	v_mul_lo_u32 v5, s3, v4
	v_mad_u64_u32 v[1:2], s[0:1], s2, v4, 0
	s_load_dword s7, s[4:5], 0x0
	s_load_dword s6, s[4:5], 0x10
	v_add3_u32 v2, v2, v3, v5
	v_lshlrev_b64 v[1:2], 2, v[1:2]
	s_waitcnt lgkmcnt(0)
	v_mov_b32_e32 v3, s17
	v_add_co_u32_e64 v5, s[0:1], s16, v1
	v_add_u32_e32 v0, s22, v0
	v_addc_co_u32_e64 v9, s[0:1], v3, v2, s[0:1]
	v_cmp_gt_i32_e32 vcc, s7, v4
	v_cmp_le_i32_e64 s[0:1], v0, v4
	s_and_b64 s[0:1], vcc, s[0:1]
	s_and_saveexec_b64 s[4:5], s[0:1]
	s_cbranch_execz .LBB1417_6
; %bb.5:
	v_ashrrev_i32_e32 v1, 31, v0
	v_lshlrev_b64 v[1:2], 2, v[0:1]
	v_mul_f32_e32 v3, s6, v11
	v_add_co_u32_e64 v1, s[0:1], v5, v1
	v_addc_co_u32_e64 v2, s[0:1], v9, v2, s[0:1]
	flat_store_dword v[1:2], v3
.LBB1417_6:
	s_or_b64 exec, exec, s[4:5]
	v_add_u32_e32 v2, 16, v0
	v_cmp_le_i32_e64 s[0:1], v2, v4
	s_and_b64 s[4:5], vcc, s[0:1]
	s_and_saveexec_b64 s[0:1], s[4:5]
	s_cbranch_execz .LBB1417_8
; %bb.7:
	v_ashrrev_i32_e32 v3, 31, v2
	v_lshlrev_b64 v[10:11], 2, v[2:3]
	v_mul_f32_e32 v1, s6, v8
	v_add_co_u32_e32 v8, vcc, v5, v10
	v_addc_co_u32_e32 v9, vcc, v9, v11, vcc
	flat_store_dword v[8:9], v1
.LBB1417_8:
	s_or_b64 exec, exec, s[0:1]
	v_add_u32_e32 v3, 16, v4
	v_ashrrev_i32_e32 v1, 31, v3
	v_mul_lo_u32 v1, s2, v1
	v_mul_lo_u32 v8, s3, v3
	v_mad_u64_u32 v[4:5], s[0:1], s2, v3, 0
	v_cmp_gt_i32_e32 vcc, s7, v3
	v_add3_u32 v5, v5, v1, v8
	v_lshlrev_b64 v[4:5], 2, v[4:5]
	v_mov_b32_e32 v1, s17
	v_add_co_u32_e64 v4, s[0:1], s16, v4
	v_addc_co_u32_e64 v5, s[0:1], v1, v5, s[0:1]
	v_cmp_le_i32_e64 s[0:1], v0, v3
	s_and_b64 s[0:1], vcc, s[0:1]
	s_and_saveexec_b64 s[2:3], s[0:1]
	s_cbranch_execz .LBB1417_10
; %bb.9:
	v_ashrrev_i32_e32 v1, 31, v0
	v_lshlrev_b64 v[0:1], 2, v[0:1]
	v_mul_f32_e32 v7, s6, v7
	v_add_co_u32_e64 v0, s[0:1], v4, v0
	v_addc_co_u32_e64 v1, s[0:1], v5, v1, s[0:1]
	flat_store_dword v[0:1], v7
.LBB1417_10:
	s_or_b64 exec, exec, s[2:3]
	v_cmp_le_i32_e64 s[0:1], v2, v3
	s_and_b64 s[0:1], vcc, s[0:1]
	s_and_saveexec_b64 s[2:3], s[0:1]
	s_cbranch_execz .LBB1417_12
; %bb.11:
	v_ashrrev_i32_e32 v3, 31, v2
	v_lshlrev_b64 v[0:1], 2, v[2:3]
	v_mul_f32_e32 v6, s6, v6
	v_add_co_u32_e32 v0, vcc, v4, v0
	v_addc_co_u32_e32 v1, vcc, v5, v1, vcc
	flat_store_dword v[0:1], v6
.LBB1417_12:
	s_endpgm
	.section	.rodata,"a",@progbits
	.p2align	6, 0x0
	.amdhsa_kernel _ZL37rocblas_syrkx_herkx_restricted_kernelIlfLi16ELi32ELi8ELb1ELb0ELc78ELc85EKPKfKPfEviT_T0_PT8_S5_lS8_S5_lS6_PT9_S5_li
		.amdhsa_group_segment_fixed_size 2048
		.amdhsa_private_segment_fixed_size 0
		.amdhsa_kernarg_size 108
		.amdhsa_user_sgpr_count 6
		.amdhsa_user_sgpr_private_segment_buffer 1
		.amdhsa_user_sgpr_dispatch_ptr 0
		.amdhsa_user_sgpr_queue_ptr 0
		.amdhsa_user_sgpr_kernarg_segment_ptr 1
		.amdhsa_user_sgpr_dispatch_id 0
		.amdhsa_user_sgpr_flat_scratch_init 0
		.amdhsa_user_sgpr_private_segment_size 0
		.amdhsa_uses_dynamic_stack 0
		.amdhsa_system_sgpr_private_segment_wavefront_offset 0
		.amdhsa_system_sgpr_workgroup_id_x 1
		.amdhsa_system_sgpr_workgroup_id_y 1
		.amdhsa_system_sgpr_workgroup_id_z 1
		.amdhsa_system_sgpr_workgroup_info 0
		.amdhsa_system_vgpr_workitem_id 1
		.amdhsa_next_free_vgpr 34
		.amdhsa_next_free_sgpr 24
		.amdhsa_reserve_vcc 1
		.amdhsa_reserve_flat_scratch 0
		.amdhsa_float_round_mode_32 0
		.amdhsa_float_round_mode_16_64 0
		.amdhsa_float_denorm_mode_32 3
		.amdhsa_float_denorm_mode_16_64 3
		.amdhsa_dx10_clamp 1
		.amdhsa_ieee_mode 1
		.amdhsa_fp16_overflow 0
		.amdhsa_exception_fp_ieee_invalid_op 0
		.amdhsa_exception_fp_denorm_src 0
		.amdhsa_exception_fp_ieee_div_zero 0
		.amdhsa_exception_fp_ieee_overflow 0
		.amdhsa_exception_fp_ieee_underflow 0
		.amdhsa_exception_fp_ieee_inexact 0
		.amdhsa_exception_int_div_zero 0
	.end_amdhsa_kernel
	.section	.text._ZL37rocblas_syrkx_herkx_restricted_kernelIlfLi16ELi32ELi8ELb1ELb0ELc78ELc85EKPKfKPfEviT_T0_PT8_S5_lS8_S5_lS6_PT9_S5_li,"axG",@progbits,_ZL37rocblas_syrkx_herkx_restricted_kernelIlfLi16ELi32ELi8ELb1ELb0ELc78ELc85EKPKfKPfEviT_T0_PT8_S5_lS8_S5_lS6_PT9_S5_li,comdat
.Lfunc_end1417:
	.size	_ZL37rocblas_syrkx_herkx_restricted_kernelIlfLi16ELi32ELi8ELb1ELb0ELc78ELc85EKPKfKPfEviT_T0_PT8_S5_lS8_S5_lS6_PT9_S5_li, .Lfunc_end1417-_ZL37rocblas_syrkx_herkx_restricted_kernelIlfLi16ELi32ELi8ELb1ELb0ELc78ELc85EKPKfKPfEviT_T0_PT8_S5_lS8_S5_lS6_PT9_S5_li
                                        ; -- End function
	.set _ZL37rocblas_syrkx_herkx_restricted_kernelIlfLi16ELi32ELi8ELb1ELb0ELc78ELc85EKPKfKPfEviT_T0_PT8_S5_lS8_S5_lS6_PT9_S5_li.num_vgpr, 34
	.set _ZL37rocblas_syrkx_herkx_restricted_kernelIlfLi16ELi32ELi8ELb1ELb0ELc78ELc85EKPKfKPfEviT_T0_PT8_S5_lS8_S5_lS6_PT9_S5_li.num_agpr, 0
	.set _ZL37rocblas_syrkx_herkx_restricted_kernelIlfLi16ELi32ELi8ELb1ELb0ELc78ELc85EKPKfKPfEviT_T0_PT8_S5_lS8_S5_lS6_PT9_S5_li.numbered_sgpr, 24
	.set _ZL37rocblas_syrkx_herkx_restricted_kernelIlfLi16ELi32ELi8ELb1ELb0ELc78ELc85EKPKfKPfEviT_T0_PT8_S5_lS8_S5_lS6_PT9_S5_li.num_named_barrier, 0
	.set _ZL37rocblas_syrkx_herkx_restricted_kernelIlfLi16ELi32ELi8ELb1ELb0ELc78ELc85EKPKfKPfEviT_T0_PT8_S5_lS8_S5_lS6_PT9_S5_li.private_seg_size, 0
	.set _ZL37rocblas_syrkx_herkx_restricted_kernelIlfLi16ELi32ELi8ELb1ELb0ELc78ELc85EKPKfKPfEviT_T0_PT8_S5_lS8_S5_lS6_PT9_S5_li.uses_vcc, 1
	.set _ZL37rocblas_syrkx_herkx_restricted_kernelIlfLi16ELi32ELi8ELb1ELb0ELc78ELc85EKPKfKPfEviT_T0_PT8_S5_lS8_S5_lS6_PT9_S5_li.uses_flat_scratch, 0
	.set _ZL37rocblas_syrkx_herkx_restricted_kernelIlfLi16ELi32ELi8ELb1ELb0ELc78ELc85EKPKfKPfEviT_T0_PT8_S5_lS8_S5_lS6_PT9_S5_li.has_dyn_sized_stack, 0
	.set _ZL37rocblas_syrkx_herkx_restricted_kernelIlfLi16ELi32ELi8ELb1ELb0ELc78ELc85EKPKfKPfEviT_T0_PT8_S5_lS8_S5_lS6_PT9_S5_li.has_recursion, 0
	.set _ZL37rocblas_syrkx_herkx_restricted_kernelIlfLi16ELi32ELi8ELb1ELb0ELc78ELc85EKPKfKPfEviT_T0_PT8_S5_lS8_S5_lS6_PT9_S5_li.has_indirect_call, 0
	.section	.AMDGPU.csdata,"",@progbits
; Kernel info:
; codeLenInByte = 1128
; TotalNumSgprs: 28
; NumVgprs: 34
; ScratchSize: 0
; MemoryBound: 0
; FloatMode: 240
; IeeeMode: 1
; LDSByteSize: 2048 bytes/workgroup (compile time only)
; SGPRBlocks: 3
; VGPRBlocks: 8
; NumSGPRsForWavesPerEU: 28
; NumVGPRsForWavesPerEU: 34
; Occupancy: 7
; WaveLimiterHint : 1
; COMPUTE_PGM_RSRC2:SCRATCH_EN: 0
; COMPUTE_PGM_RSRC2:USER_SGPR: 6
; COMPUTE_PGM_RSRC2:TRAP_HANDLER: 0
; COMPUTE_PGM_RSRC2:TGID_X_EN: 1
; COMPUTE_PGM_RSRC2:TGID_Y_EN: 1
; COMPUTE_PGM_RSRC2:TGID_Z_EN: 1
; COMPUTE_PGM_RSRC2:TIDIG_COMP_CNT: 1
	.section	.text._ZL37rocblas_syrkx_herkx_restricted_kernelIlfLi16ELi32ELi8ELb0ELb0ELc84ELc76EKPKfKPfEviT_T0_PT8_S5_lS8_S5_lS6_PT9_S5_li,"axG",@progbits,_ZL37rocblas_syrkx_herkx_restricted_kernelIlfLi16ELi32ELi8ELb0ELb0ELc84ELc76EKPKfKPfEviT_T0_PT8_S5_lS8_S5_lS6_PT9_S5_li,comdat
	.globl	_ZL37rocblas_syrkx_herkx_restricted_kernelIlfLi16ELi32ELi8ELb0ELb0ELc84ELc76EKPKfKPfEviT_T0_PT8_S5_lS8_S5_lS6_PT9_S5_li ; -- Begin function _ZL37rocblas_syrkx_herkx_restricted_kernelIlfLi16ELi32ELi8ELb0ELb0ELc84ELc76EKPKfKPfEviT_T0_PT8_S5_lS8_S5_lS6_PT9_S5_li
	.p2align	8
	.type	_ZL37rocblas_syrkx_herkx_restricted_kernelIlfLi16ELi32ELi8ELb0ELb0ELc84ELc76EKPKfKPfEviT_T0_PT8_S5_lS8_S5_lS6_PT9_S5_li,@function
_ZL37rocblas_syrkx_herkx_restricted_kernelIlfLi16ELi32ELi8ELb0ELb0ELc84ELc76EKPKfKPfEviT_T0_PT8_S5_lS8_S5_lS6_PT9_S5_li: ; @_ZL37rocblas_syrkx_herkx_restricted_kernelIlfLi16ELi32ELi8ELb0ELb0ELc84ELc76EKPKfKPfEviT_T0_PT8_S5_lS8_S5_lS6_PT9_S5_li
; %bb.0:
	s_load_dwordx4 s[12:15], s[4:5], 0x50
	s_load_dwordx2 s[10:11], s[4:5], 0x8
	s_mov_b32 s9, 0
	s_lshl_b64 s[16:17], s[8:9], 3
	s_waitcnt lgkmcnt(0)
	s_add_u32 s0, s12, s16
	s_addc_u32 s1, s13, s17
	s_load_dwordx2 s[8:9], s[0:1], 0x0
	v_cmp_lt_i64_e64 s[0:1], s[10:11], 1
	s_lshl_b32 s6, s6, 5
	s_lshl_b32 s7, s7, 5
	s_and_b64 vcc, exec, s[0:1]
	s_cbranch_vccnz .LBB1418_3
; %bb.1:
	s_load_dwordx4 s[0:3], s[4:5], 0x18
	s_load_dwordx4 s[20:23], s[4:5], 0x30
	v_lshl_add_u32 v3, v1, 4, v0
	v_lshrrev_b32_e32 v6, 3, v3
	v_and_b32_e32 v2, 7, v0
	s_waitcnt lgkmcnt(0)
	s_add_u32 s0, s0, s16
	s_addc_u32 s1, s1, s17
	v_add_u32_e32 v7, s7, v6
	v_lshlrev_b32_e32 v11, 2, v2
	s_add_u32 s12, s20, s16
	v_lshrrev_b32_e32 v4, 5, v3
	v_and_b32_e32 v8, 31, v3
	v_ashrrev_i32_e32 v9, 31, v7
	v_mov_b32_e32 v3, 0
	v_lshl_or_b32 v6, v6, 5, v11
	s_addc_u32 s13, s21, s17
	v_add_u32_e32 v11, 0x400, v6
	v_mul_lo_u32 v9, s22, v9
	v_mul_lo_u32 v14, s23, v7
	v_mad_u64_u32 v[6:7], s[16:17], s22, v7, v[2:3]
	s_load_dwordx2 s[12:13], s[12:13], 0x0
	v_mov_b32_e32 v5, v3
	v_add3_u32 v7, v14, v7, v9
	v_add_u32_e32 v14, s6, v8
	v_lshlrev_b32_e32 v10, 2, v8
	v_ashrrev_i32_e32 v8, 31, v14
	v_mul_lo_u32 v15, s2, v8
	v_mad_u64_u32 v[8:9], s[16:17], s2, v14, v[4:5]
	v_mul_lo_u32 v14, s3, v14
	s_load_dwordx2 s[0:1], s[0:1], 0x0
	v_lshlrev_b64 v[6:7], 2, v[6:7]
	v_mov_b32_e32 v2, 0x400
	v_lshl_or_b32 v10, v4, 7, v10
	v_lshl_add_u32 v13, v1, 5, v2
	s_waitcnt lgkmcnt(0)
	v_mov_b32_e32 v2, s13
	v_add_co_u32_e32 v4, vcc, s12, v6
	v_add3_u32 v9, v14, v9, v15
	v_addc_co_u32_e32 v5, vcc, v2, v7, vcc
	v_lshlrev_b64 v[6:7], 2, v[8:9]
	v_mov_b32_e32 v2, s1
	v_add_co_u32_e32 v6, vcc, s0, v6
	v_lshlrev_b32_e32 v12, 2, v0
	v_addc_co_u32_e32 v7, vcc, v2, v7, vcc
	s_mov_b64 s[2:3], 0
	v_mov_b32_e32 v2, v3
	v_mov_b32_e32 v8, v3
	;; [unrolled: 1-line block ×3, first 2 shown]
.LBB1418_2:                             ; =>This Inner Loop Header: Depth=1
	flat_load_dword v14, v[6:7]
	s_add_u32 s2, s2, 8
	s_addc_u32 s3, s3, 0
	v_add_co_u32_e64 v6, s[0:1], 32, v6
	v_addc_co_u32_e64 v7, s[0:1], 0, v7, s[0:1]
	s_waitcnt vmcnt(0) lgkmcnt(0)
	ds_write_b32 v10, v14
	flat_load_dword v14, v[4:5]
	v_add_co_u32_e64 v4, s[0:1], 32, v4
	v_addc_co_u32_e64 v5, s[0:1], 0, v5, s[0:1]
	s_waitcnt vmcnt(0) lgkmcnt(0)
	ds_write_b32 v11, v14
	s_waitcnt lgkmcnt(0)
	s_barrier
	ds_read2_b32 v[26:27], v12 offset1:16
	ds_read_b128 v[14:17], v13
	ds_read2_b32 v[28:29], v12 offset0:32 offset1:48
	ds_read2_b32 v[30:31], v12 offset0:64 offset1:80
	ds_read_b128 v[18:21], v13 offset:16
	ds_read2_b32 v[32:33], v12 offset0:96 offset1:112
	s_waitcnt lgkmcnt(4)
	v_fmac_f32_e32 v9, v26, v14
	v_fmac_f32_e32 v8, v27, v14
	s_waitcnt lgkmcnt(3)
	v_fmac_f32_e32 v9, v28, v15
	v_fmac_f32_e32 v8, v29, v15
	v_mov_b32_e32 v15, s3
	s_waitcnt lgkmcnt(2)
	v_fmac_f32_e32 v9, v30, v16
	v_fmac_f32_e32 v8, v31, v16
	v_mov_b32_e32 v14, s2
	s_waitcnt lgkmcnt(0)
	v_fmac_f32_e32 v9, v32, v17
	v_fmac_f32_e32 v8, v33, v17
	v_cmp_le_u64_e32 vcc, s[10:11], v[14:15]
	ds_read_b128 v[14:17], v13 offset:512
	ds_read_b128 v[22:25], v13 offset:528
	s_and_b64 vcc, exec, vcc
	s_waitcnt lgkmcnt(1)
	v_fmac_f32_e32 v2, v26, v14
	v_fmac_f32_e32 v3, v27, v14
	;; [unrolled: 1-line block ×8, first 2 shown]
	ds_read2_b32 v[14:15], v12 offset0:128 offset1:144
	ds_read2_b32 v[16:17], v12 offset0:160 offset1:176
	;; [unrolled: 1-line block ×3, first 2 shown]
	s_waitcnt lgkmcnt(2)
	v_fmac_f32_e32 v9, v14, v18
	v_fmac_f32_e32 v8, v15, v18
	;; [unrolled: 1-line block ×4, first 2 shown]
	ds_read2_b32 v[14:15], v12 offset0:224 offset1:240
	s_waitcnt lgkmcnt(2)
	v_fmac_f32_e32 v9, v16, v19
	v_fmac_f32_e32 v8, v17, v19
	v_fmac_f32_e32 v2, v16, v23
	v_fmac_f32_e32 v3, v17, v23
	s_waitcnt lgkmcnt(1)
	v_fmac_f32_e32 v9, v26, v20
	v_fmac_f32_e32 v8, v27, v20
	v_fmac_f32_e32 v2, v26, v24
	v_fmac_f32_e32 v3, v27, v24
	;; [unrolled: 5-line block ×3, first 2 shown]
	s_barrier
	s_cbranch_vccz .LBB1418_2
	s_branch .LBB1418_4
.LBB1418_3:
	v_mov_b32_e32 v9, 0
	v_mov_b32_e32 v8, 0
	;; [unrolled: 1-line block ×4, first 2 shown]
.LBB1418_4:
	v_add_u32_e32 v6, s7, v1
	v_ashrrev_i32_e32 v1, 31, v6
	v_mul_lo_u32 v1, s14, v1
	v_mul_lo_u32 v7, s15, v6
	v_mad_u64_u32 v[4:5], s[0:1], s14, v6, 0
	s_load_dword s11, s[4:5], 0x0
	s_load_dword s7, s[4:5], 0x10
	;; [unrolled: 1-line block ×3, first 2 shown]
	v_add_u32_e32 v0, s6, v0
	v_add3_u32 v5, v5, v1, v7
	v_lshlrev_b64 v[4:5], 2, v[4:5]
	s_waitcnt lgkmcnt(0)
	v_mov_b32_e32 v1, s9
	v_add_co_u32_e32 v7, vcc, s8, v4
	v_addc_co_u32_e32 v10, vcc, v1, v5, vcc
	v_cmp_le_i32_e64 s[0:1], v6, v0
	v_cmp_gt_i32_e32 vcc, s11, v0
	s_and_b64 s[0:1], s[0:1], vcc
	s_and_saveexec_b64 s[2:3], s[0:1]
	s_cbranch_execz .LBB1418_6
; %bb.5:
	v_ashrrev_i32_e32 v1, 31, v0
	v_lshlrev_b64 v[4:5], 2, v[0:1]
	v_add_co_u32_e64 v4, s[0:1], v7, v4
	v_addc_co_u32_e64 v5, s[0:1], v10, v5, s[0:1]
	flat_load_dword v1, v[4:5]
	s_waitcnt vmcnt(0) lgkmcnt(0)
	v_mul_f32_e32 v1, s10, v1
	v_fmac_f32_e32 v1, s7, v9
	flat_store_dword v[4:5], v1
.LBB1418_6:
	s_or_b64 exec, exec, s[2:3]
	v_add_u32_e32 v4, 16, v0
	v_cmp_le_i32_e64 s[2:3], v6, v4
	v_cmp_gt_i32_e64 s[0:1], s11, v4
	s_and_b64 s[2:3], s[2:3], s[0:1]
	s_and_saveexec_b64 s[4:5], s[2:3]
	s_cbranch_execz .LBB1418_8
; %bb.7:
	v_ashrrev_i32_e32 v5, 31, v4
	v_lshlrev_b64 v[11:12], 2, v[4:5]
	v_add_co_u32_e64 v9, s[2:3], v7, v11
	v_addc_co_u32_e64 v10, s[2:3], v10, v12, s[2:3]
	flat_load_dword v1, v[9:10]
	s_waitcnt vmcnt(0) lgkmcnt(0)
	v_mul_f32_e32 v1, s10, v1
	v_fmac_f32_e32 v1, s7, v8
	flat_store_dword v[9:10], v1
.LBB1418_8:
	s_or_b64 exec, exec, s[4:5]
	v_add_u32_e32 v5, 16, v6
	v_ashrrev_i32_e32 v1, 31, v5
	v_mul_lo_u32 v8, s15, v5
	v_mad_u64_u32 v[6:7], s[2:3], s14, v5, 0
	v_mul_lo_u32 v1, s14, v1
	v_add3_u32 v7, v7, v1, v8
	v_lshlrev_b64 v[6:7], 2, v[6:7]
	v_mov_b32_e32 v1, s9
	v_add_co_u32_e64 v6, s[2:3], s8, v6
	v_addc_co_u32_e64 v7, s[2:3], v1, v7, s[2:3]
	v_cmp_le_i32_e64 s[2:3], v5, v0
	s_and_b64 s[4:5], s[2:3], vcc
	s_and_saveexec_b64 s[2:3], s[4:5]
	s_cbranch_execz .LBB1418_10
; %bb.9:
	v_ashrrev_i32_e32 v1, 31, v0
	v_lshlrev_b64 v[0:1], 2, v[0:1]
	v_add_co_u32_e32 v0, vcc, v6, v0
	v_addc_co_u32_e32 v1, vcc, v7, v1, vcc
	flat_load_dword v8, v[0:1]
	s_waitcnt vmcnt(0) lgkmcnt(0)
	v_mul_f32_e32 v8, s10, v8
	v_fmac_f32_e32 v8, s7, v2
	flat_store_dword v[0:1], v8
.LBB1418_10:
	s_or_b64 exec, exec, s[2:3]
	v_cmp_le_i32_e32 vcc, v5, v4
	s_and_b64 s[0:1], vcc, s[0:1]
	s_and_saveexec_b64 s[2:3], s[0:1]
	s_cbranch_execz .LBB1418_12
; %bb.11:
	v_ashrrev_i32_e32 v5, 31, v4
	v_lshlrev_b64 v[0:1], 2, v[4:5]
	v_add_co_u32_e32 v0, vcc, v6, v0
	v_addc_co_u32_e32 v1, vcc, v7, v1, vcc
	flat_load_dword v2, v[0:1]
	s_waitcnt vmcnt(0) lgkmcnt(0)
	v_mul_f32_e32 v2, s10, v2
	v_fmac_f32_e32 v2, s7, v3
	flat_store_dword v[0:1], v2
.LBB1418_12:
	s_endpgm
	.section	.rodata,"a",@progbits
	.p2align	6, 0x0
	.amdhsa_kernel _ZL37rocblas_syrkx_herkx_restricted_kernelIlfLi16ELi32ELi8ELb0ELb0ELc84ELc76EKPKfKPfEviT_T0_PT8_S5_lS8_S5_lS6_PT9_S5_li
		.amdhsa_group_segment_fixed_size 2048
		.amdhsa_private_segment_fixed_size 0
		.amdhsa_kernarg_size 108
		.amdhsa_user_sgpr_count 6
		.amdhsa_user_sgpr_private_segment_buffer 1
		.amdhsa_user_sgpr_dispatch_ptr 0
		.amdhsa_user_sgpr_queue_ptr 0
		.amdhsa_user_sgpr_kernarg_segment_ptr 1
		.amdhsa_user_sgpr_dispatch_id 0
		.amdhsa_user_sgpr_flat_scratch_init 0
		.amdhsa_user_sgpr_private_segment_size 0
		.amdhsa_uses_dynamic_stack 0
		.amdhsa_system_sgpr_private_segment_wavefront_offset 0
		.amdhsa_system_sgpr_workgroup_id_x 1
		.amdhsa_system_sgpr_workgroup_id_y 1
		.amdhsa_system_sgpr_workgroup_id_z 1
		.amdhsa_system_sgpr_workgroup_info 0
		.amdhsa_system_vgpr_workitem_id 1
		.amdhsa_next_free_vgpr 34
		.amdhsa_next_free_sgpr 24
		.amdhsa_reserve_vcc 1
		.amdhsa_reserve_flat_scratch 0
		.amdhsa_float_round_mode_32 0
		.amdhsa_float_round_mode_16_64 0
		.amdhsa_float_denorm_mode_32 3
		.amdhsa_float_denorm_mode_16_64 3
		.amdhsa_dx10_clamp 1
		.amdhsa_ieee_mode 1
		.amdhsa_fp16_overflow 0
		.amdhsa_exception_fp_ieee_invalid_op 0
		.amdhsa_exception_fp_denorm_src 0
		.amdhsa_exception_fp_ieee_div_zero 0
		.amdhsa_exception_fp_ieee_overflow 0
		.amdhsa_exception_fp_ieee_underflow 0
		.amdhsa_exception_fp_ieee_inexact 0
		.amdhsa_exception_int_div_zero 0
	.end_amdhsa_kernel
	.section	.text._ZL37rocblas_syrkx_herkx_restricted_kernelIlfLi16ELi32ELi8ELb0ELb0ELc84ELc76EKPKfKPfEviT_T0_PT8_S5_lS8_S5_lS6_PT9_S5_li,"axG",@progbits,_ZL37rocblas_syrkx_herkx_restricted_kernelIlfLi16ELi32ELi8ELb0ELb0ELc84ELc76EKPKfKPfEviT_T0_PT8_S5_lS8_S5_lS6_PT9_S5_li,comdat
.Lfunc_end1418:
	.size	_ZL37rocblas_syrkx_herkx_restricted_kernelIlfLi16ELi32ELi8ELb0ELb0ELc84ELc76EKPKfKPfEviT_T0_PT8_S5_lS8_S5_lS6_PT9_S5_li, .Lfunc_end1418-_ZL37rocblas_syrkx_herkx_restricted_kernelIlfLi16ELi32ELi8ELb0ELb0ELc84ELc76EKPKfKPfEviT_T0_PT8_S5_lS8_S5_lS6_PT9_S5_li
                                        ; -- End function
	.set _ZL37rocblas_syrkx_herkx_restricted_kernelIlfLi16ELi32ELi8ELb0ELb0ELc84ELc76EKPKfKPfEviT_T0_PT8_S5_lS8_S5_lS6_PT9_S5_li.num_vgpr, 34
	.set _ZL37rocblas_syrkx_herkx_restricted_kernelIlfLi16ELi32ELi8ELb0ELb0ELc84ELc76EKPKfKPfEviT_T0_PT8_S5_lS8_S5_lS6_PT9_S5_li.num_agpr, 0
	.set _ZL37rocblas_syrkx_herkx_restricted_kernelIlfLi16ELi32ELi8ELb0ELb0ELc84ELc76EKPKfKPfEviT_T0_PT8_S5_lS8_S5_lS6_PT9_S5_li.numbered_sgpr, 24
	.set _ZL37rocblas_syrkx_herkx_restricted_kernelIlfLi16ELi32ELi8ELb0ELb0ELc84ELc76EKPKfKPfEviT_T0_PT8_S5_lS8_S5_lS6_PT9_S5_li.num_named_barrier, 0
	.set _ZL37rocblas_syrkx_herkx_restricted_kernelIlfLi16ELi32ELi8ELb0ELb0ELc84ELc76EKPKfKPfEviT_T0_PT8_S5_lS8_S5_lS6_PT9_S5_li.private_seg_size, 0
	.set _ZL37rocblas_syrkx_herkx_restricted_kernelIlfLi16ELi32ELi8ELb0ELb0ELc84ELc76EKPKfKPfEviT_T0_PT8_S5_lS8_S5_lS6_PT9_S5_li.uses_vcc, 1
	.set _ZL37rocblas_syrkx_herkx_restricted_kernelIlfLi16ELi32ELi8ELb0ELb0ELc84ELc76EKPKfKPfEviT_T0_PT8_S5_lS8_S5_lS6_PT9_S5_li.uses_flat_scratch, 0
	.set _ZL37rocblas_syrkx_herkx_restricted_kernelIlfLi16ELi32ELi8ELb0ELb0ELc84ELc76EKPKfKPfEviT_T0_PT8_S5_lS8_S5_lS6_PT9_S5_li.has_dyn_sized_stack, 0
	.set _ZL37rocblas_syrkx_herkx_restricted_kernelIlfLi16ELi32ELi8ELb0ELb0ELc84ELc76EKPKfKPfEviT_T0_PT8_S5_lS8_S5_lS6_PT9_S5_li.has_recursion, 0
	.set _ZL37rocblas_syrkx_herkx_restricted_kernelIlfLi16ELi32ELi8ELb0ELb0ELc84ELc76EKPKfKPfEviT_T0_PT8_S5_lS8_S5_lS6_PT9_S5_li.has_indirect_call, 0
	.section	.AMDGPU.csdata,"",@progbits
; Kernel info:
; codeLenInByte = 1212
; TotalNumSgprs: 28
; NumVgprs: 34
; ScratchSize: 0
; MemoryBound: 0
; FloatMode: 240
; IeeeMode: 1
; LDSByteSize: 2048 bytes/workgroup (compile time only)
; SGPRBlocks: 3
; VGPRBlocks: 8
; NumSGPRsForWavesPerEU: 28
; NumVGPRsForWavesPerEU: 34
; Occupancy: 7
; WaveLimiterHint : 1
; COMPUTE_PGM_RSRC2:SCRATCH_EN: 0
; COMPUTE_PGM_RSRC2:USER_SGPR: 6
; COMPUTE_PGM_RSRC2:TRAP_HANDLER: 0
; COMPUTE_PGM_RSRC2:TGID_X_EN: 1
; COMPUTE_PGM_RSRC2:TGID_Y_EN: 1
; COMPUTE_PGM_RSRC2:TGID_Z_EN: 1
; COMPUTE_PGM_RSRC2:TIDIG_COMP_CNT: 1
	.section	.text._ZL37rocblas_syrkx_herkx_restricted_kernelIlfLi16ELi32ELi8ELb0ELb0ELc67ELc76EKPKfKPfEviT_T0_PT8_S5_lS8_S5_lS6_PT9_S5_li,"axG",@progbits,_ZL37rocblas_syrkx_herkx_restricted_kernelIlfLi16ELi32ELi8ELb0ELb0ELc67ELc76EKPKfKPfEviT_T0_PT8_S5_lS8_S5_lS6_PT9_S5_li,comdat
	.globl	_ZL37rocblas_syrkx_herkx_restricted_kernelIlfLi16ELi32ELi8ELb0ELb0ELc67ELc76EKPKfKPfEviT_T0_PT8_S5_lS8_S5_lS6_PT9_S5_li ; -- Begin function _ZL37rocblas_syrkx_herkx_restricted_kernelIlfLi16ELi32ELi8ELb0ELb0ELc67ELc76EKPKfKPfEviT_T0_PT8_S5_lS8_S5_lS6_PT9_S5_li
	.p2align	8
	.type	_ZL37rocblas_syrkx_herkx_restricted_kernelIlfLi16ELi32ELi8ELb0ELb0ELc67ELc76EKPKfKPfEviT_T0_PT8_S5_lS8_S5_lS6_PT9_S5_li,@function
_ZL37rocblas_syrkx_herkx_restricted_kernelIlfLi16ELi32ELi8ELb0ELb0ELc67ELc76EKPKfKPfEviT_T0_PT8_S5_lS8_S5_lS6_PT9_S5_li: ; @_ZL37rocblas_syrkx_herkx_restricted_kernelIlfLi16ELi32ELi8ELb0ELb0ELc67ELc76EKPKfKPfEviT_T0_PT8_S5_lS8_S5_lS6_PT9_S5_li
; %bb.0:
	s_load_dwordx4 s[12:15], s[4:5], 0x50
	s_load_dwordx2 s[10:11], s[4:5], 0x8
	s_mov_b32 s9, 0
	s_lshl_b64 s[16:17], s[8:9], 3
	s_waitcnt lgkmcnt(0)
	s_add_u32 s0, s12, s16
	s_addc_u32 s1, s13, s17
	s_load_dwordx2 s[8:9], s[0:1], 0x0
	v_cmp_lt_i64_e64 s[0:1], s[10:11], 1
	s_lshl_b32 s6, s6, 5
	s_lshl_b32 s7, s7, 5
	s_and_b64 vcc, exec, s[0:1]
	s_cbranch_vccnz .LBB1419_3
; %bb.1:
	s_load_dwordx4 s[0:3], s[4:5], 0x18
	s_load_dwordx4 s[20:23], s[4:5], 0x30
	v_lshl_add_u32 v3, v1, 4, v0
	v_lshrrev_b32_e32 v6, 3, v3
	v_and_b32_e32 v2, 7, v0
	s_waitcnt lgkmcnt(0)
	s_add_u32 s0, s0, s16
	s_addc_u32 s1, s1, s17
	v_add_u32_e32 v7, s7, v6
	v_lshlrev_b32_e32 v11, 2, v2
	s_add_u32 s12, s20, s16
	v_lshrrev_b32_e32 v4, 5, v3
	v_and_b32_e32 v8, 31, v3
	v_ashrrev_i32_e32 v9, 31, v7
	v_mov_b32_e32 v3, 0
	v_lshl_or_b32 v6, v6, 5, v11
	s_addc_u32 s13, s21, s17
	v_add_u32_e32 v11, 0x400, v6
	v_mul_lo_u32 v9, s22, v9
	v_mul_lo_u32 v14, s23, v7
	v_mad_u64_u32 v[6:7], s[16:17], s22, v7, v[2:3]
	s_load_dwordx2 s[12:13], s[12:13], 0x0
	v_mov_b32_e32 v5, v3
	v_add3_u32 v7, v14, v7, v9
	v_add_u32_e32 v14, s6, v8
	v_lshlrev_b32_e32 v10, 2, v8
	v_ashrrev_i32_e32 v8, 31, v14
	v_mul_lo_u32 v15, s2, v8
	v_mad_u64_u32 v[8:9], s[16:17], s2, v14, v[4:5]
	v_mul_lo_u32 v14, s3, v14
	s_load_dwordx2 s[0:1], s[0:1], 0x0
	v_lshlrev_b64 v[6:7], 2, v[6:7]
	v_mov_b32_e32 v2, 0x400
	v_lshl_or_b32 v10, v4, 7, v10
	v_lshl_add_u32 v13, v1, 5, v2
	s_waitcnt lgkmcnt(0)
	v_mov_b32_e32 v2, s13
	v_add_co_u32_e32 v4, vcc, s12, v6
	v_add3_u32 v9, v14, v9, v15
	v_addc_co_u32_e32 v5, vcc, v2, v7, vcc
	v_lshlrev_b64 v[6:7], 2, v[8:9]
	v_mov_b32_e32 v2, s1
	v_add_co_u32_e32 v6, vcc, s0, v6
	v_lshlrev_b32_e32 v12, 2, v0
	v_addc_co_u32_e32 v7, vcc, v2, v7, vcc
	s_mov_b64 s[2:3], 0
	v_mov_b32_e32 v2, v3
	v_mov_b32_e32 v8, v3
	;; [unrolled: 1-line block ×3, first 2 shown]
.LBB1419_2:                             ; =>This Inner Loop Header: Depth=1
	flat_load_dword v14, v[6:7]
	s_add_u32 s2, s2, 8
	s_addc_u32 s3, s3, 0
	v_add_co_u32_e64 v6, s[0:1], 32, v6
	v_addc_co_u32_e64 v7, s[0:1], 0, v7, s[0:1]
	s_waitcnt vmcnt(0) lgkmcnt(0)
	ds_write_b32 v10, v14
	flat_load_dword v14, v[4:5]
	v_add_co_u32_e64 v4, s[0:1], 32, v4
	v_addc_co_u32_e64 v5, s[0:1], 0, v5, s[0:1]
	s_waitcnt vmcnt(0) lgkmcnt(0)
	ds_write_b32 v11, v14
	s_waitcnt lgkmcnt(0)
	s_barrier
	ds_read2_b32 v[26:27], v12 offset1:16
	ds_read_b128 v[14:17], v13
	ds_read2_b32 v[28:29], v12 offset0:32 offset1:48
	ds_read2_b32 v[30:31], v12 offset0:64 offset1:80
	ds_read_b128 v[18:21], v13 offset:16
	ds_read2_b32 v[32:33], v12 offset0:96 offset1:112
	s_waitcnt lgkmcnt(4)
	v_fmac_f32_e32 v9, v26, v14
	v_fmac_f32_e32 v8, v27, v14
	s_waitcnt lgkmcnt(3)
	v_fmac_f32_e32 v9, v28, v15
	v_fmac_f32_e32 v8, v29, v15
	v_mov_b32_e32 v15, s3
	s_waitcnt lgkmcnt(2)
	v_fmac_f32_e32 v9, v30, v16
	v_fmac_f32_e32 v8, v31, v16
	v_mov_b32_e32 v14, s2
	s_waitcnt lgkmcnt(0)
	v_fmac_f32_e32 v9, v32, v17
	v_fmac_f32_e32 v8, v33, v17
	v_cmp_le_u64_e32 vcc, s[10:11], v[14:15]
	ds_read_b128 v[14:17], v13 offset:512
	ds_read_b128 v[22:25], v13 offset:528
	s_and_b64 vcc, exec, vcc
	s_waitcnt lgkmcnt(1)
	v_fmac_f32_e32 v2, v26, v14
	v_fmac_f32_e32 v3, v27, v14
	v_fmac_f32_e32 v2, v28, v15
	v_fmac_f32_e32 v3, v29, v15
	v_fmac_f32_e32 v2, v30, v16
	v_fmac_f32_e32 v3, v31, v16
	v_fmac_f32_e32 v2, v32, v17
	v_fmac_f32_e32 v3, v33, v17
	ds_read2_b32 v[14:15], v12 offset0:128 offset1:144
	ds_read2_b32 v[16:17], v12 offset0:160 offset1:176
	;; [unrolled: 1-line block ×3, first 2 shown]
	s_waitcnt lgkmcnt(2)
	v_fmac_f32_e32 v9, v14, v18
	v_fmac_f32_e32 v8, v15, v18
	;; [unrolled: 1-line block ×4, first 2 shown]
	ds_read2_b32 v[14:15], v12 offset0:224 offset1:240
	s_waitcnt lgkmcnt(2)
	v_fmac_f32_e32 v9, v16, v19
	v_fmac_f32_e32 v8, v17, v19
	v_fmac_f32_e32 v2, v16, v23
	v_fmac_f32_e32 v3, v17, v23
	s_waitcnt lgkmcnt(1)
	v_fmac_f32_e32 v9, v26, v20
	v_fmac_f32_e32 v8, v27, v20
	v_fmac_f32_e32 v2, v26, v24
	v_fmac_f32_e32 v3, v27, v24
	;; [unrolled: 5-line block ×3, first 2 shown]
	s_barrier
	s_cbranch_vccz .LBB1419_2
	s_branch .LBB1419_4
.LBB1419_3:
	v_mov_b32_e32 v9, 0
	v_mov_b32_e32 v8, 0
	v_mov_b32_e32 v2, 0
	v_mov_b32_e32 v3, 0
.LBB1419_4:
	v_add_u32_e32 v6, s7, v1
	v_ashrrev_i32_e32 v1, 31, v6
	v_mul_lo_u32 v1, s14, v1
	v_mul_lo_u32 v7, s15, v6
	v_mad_u64_u32 v[4:5], s[0:1], s14, v6, 0
	s_load_dword s11, s[4:5], 0x0
	s_load_dword s7, s[4:5], 0x10
	;; [unrolled: 1-line block ×3, first 2 shown]
	v_add_u32_e32 v0, s6, v0
	v_add3_u32 v5, v5, v1, v7
	v_lshlrev_b64 v[4:5], 2, v[4:5]
	s_waitcnt lgkmcnt(0)
	v_mov_b32_e32 v1, s9
	v_add_co_u32_e32 v7, vcc, s8, v4
	v_addc_co_u32_e32 v10, vcc, v1, v5, vcc
	v_cmp_le_i32_e64 s[0:1], v6, v0
	v_cmp_gt_i32_e32 vcc, s11, v0
	s_and_b64 s[0:1], s[0:1], vcc
	s_and_saveexec_b64 s[2:3], s[0:1]
	s_cbranch_execz .LBB1419_6
; %bb.5:
	v_ashrrev_i32_e32 v1, 31, v0
	v_lshlrev_b64 v[4:5], 2, v[0:1]
	v_add_co_u32_e64 v4, s[0:1], v7, v4
	v_addc_co_u32_e64 v5, s[0:1], v10, v5, s[0:1]
	flat_load_dword v1, v[4:5]
	s_waitcnt vmcnt(0) lgkmcnt(0)
	v_mul_f32_e32 v1, s10, v1
	v_fmac_f32_e32 v1, s7, v9
	flat_store_dword v[4:5], v1
.LBB1419_6:
	s_or_b64 exec, exec, s[2:3]
	v_add_u32_e32 v4, 16, v0
	v_cmp_le_i32_e64 s[2:3], v6, v4
	v_cmp_gt_i32_e64 s[0:1], s11, v4
	s_and_b64 s[2:3], s[2:3], s[0:1]
	s_and_saveexec_b64 s[4:5], s[2:3]
	s_cbranch_execz .LBB1419_8
; %bb.7:
	v_ashrrev_i32_e32 v5, 31, v4
	v_lshlrev_b64 v[11:12], 2, v[4:5]
	v_add_co_u32_e64 v9, s[2:3], v7, v11
	v_addc_co_u32_e64 v10, s[2:3], v10, v12, s[2:3]
	flat_load_dword v1, v[9:10]
	s_waitcnt vmcnt(0) lgkmcnt(0)
	v_mul_f32_e32 v1, s10, v1
	v_fmac_f32_e32 v1, s7, v8
	flat_store_dword v[9:10], v1
.LBB1419_8:
	s_or_b64 exec, exec, s[4:5]
	v_add_u32_e32 v5, 16, v6
	v_ashrrev_i32_e32 v1, 31, v5
	v_mul_lo_u32 v8, s15, v5
	v_mad_u64_u32 v[6:7], s[2:3], s14, v5, 0
	v_mul_lo_u32 v1, s14, v1
	v_add3_u32 v7, v7, v1, v8
	v_lshlrev_b64 v[6:7], 2, v[6:7]
	v_mov_b32_e32 v1, s9
	v_add_co_u32_e64 v6, s[2:3], s8, v6
	v_addc_co_u32_e64 v7, s[2:3], v1, v7, s[2:3]
	v_cmp_le_i32_e64 s[2:3], v5, v0
	s_and_b64 s[4:5], s[2:3], vcc
	s_and_saveexec_b64 s[2:3], s[4:5]
	s_cbranch_execz .LBB1419_10
; %bb.9:
	v_ashrrev_i32_e32 v1, 31, v0
	v_lshlrev_b64 v[0:1], 2, v[0:1]
	v_add_co_u32_e32 v0, vcc, v6, v0
	v_addc_co_u32_e32 v1, vcc, v7, v1, vcc
	flat_load_dword v8, v[0:1]
	s_waitcnt vmcnt(0) lgkmcnt(0)
	v_mul_f32_e32 v8, s10, v8
	v_fmac_f32_e32 v8, s7, v2
	flat_store_dword v[0:1], v8
.LBB1419_10:
	s_or_b64 exec, exec, s[2:3]
	v_cmp_le_i32_e32 vcc, v5, v4
	s_and_b64 s[0:1], vcc, s[0:1]
	s_and_saveexec_b64 s[2:3], s[0:1]
	s_cbranch_execz .LBB1419_12
; %bb.11:
	v_ashrrev_i32_e32 v5, 31, v4
	v_lshlrev_b64 v[0:1], 2, v[4:5]
	v_add_co_u32_e32 v0, vcc, v6, v0
	v_addc_co_u32_e32 v1, vcc, v7, v1, vcc
	flat_load_dword v2, v[0:1]
	s_waitcnt vmcnt(0) lgkmcnt(0)
	v_mul_f32_e32 v2, s10, v2
	v_fmac_f32_e32 v2, s7, v3
	flat_store_dword v[0:1], v2
.LBB1419_12:
	s_endpgm
	.section	.rodata,"a",@progbits
	.p2align	6, 0x0
	.amdhsa_kernel _ZL37rocblas_syrkx_herkx_restricted_kernelIlfLi16ELi32ELi8ELb0ELb0ELc67ELc76EKPKfKPfEviT_T0_PT8_S5_lS8_S5_lS6_PT9_S5_li
		.amdhsa_group_segment_fixed_size 2048
		.amdhsa_private_segment_fixed_size 0
		.amdhsa_kernarg_size 108
		.amdhsa_user_sgpr_count 6
		.amdhsa_user_sgpr_private_segment_buffer 1
		.amdhsa_user_sgpr_dispatch_ptr 0
		.amdhsa_user_sgpr_queue_ptr 0
		.amdhsa_user_sgpr_kernarg_segment_ptr 1
		.amdhsa_user_sgpr_dispatch_id 0
		.amdhsa_user_sgpr_flat_scratch_init 0
		.amdhsa_user_sgpr_private_segment_size 0
		.amdhsa_uses_dynamic_stack 0
		.amdhsa_system_sgpr_private_segment_wavefront_offset 0
		.amdhsa_system_sgpr_workgroup_id_x 1
		.amdhsa_system_sgpr_workgroup_id_y 1
		.amdhsa_system_sgpr_workgroup_id_z 1
		.amdhsa_system_sgpr_workgroup_info 0
		.amdhsa_system_vgpr_workitem_id 1
		.amdhsa_next_free_vgpr 34
		.amdhsa_next_free_sgpr 24
		.amdhsa_reserve_vcc 1
		.amdhsa_reserve_flat_scratch 0
		.amdhsa_float_round_mode_32 0
		.amdhsa_float_round_mode_16_64 0
		.amdhsa_float_denorm_mode_32 3
		.amdhsa_float_denorm_mode_16_64 3
		.amdhsa_dx10_clamp 1
		.amdhsa_ieee_mode 1
		.amdhsa_fp16_overflow 0
		.amdhsa_exception_fp_ieee_invalid_op 0
		.amdhsa_exception_fp_denorm_src 0
		.amdhsa_exception_fp_ieee_div_zero 0
		.amdhsa_exception_fp_ieee_overflow 0
		.amdhsa_exception_fp_ieee_underflow 0
		.amdhsa_exception_fp_ieee_inexact 0
		.amdhsa_exception_int_div_zero 0
	.end_amdhsa_kernel
	.section	.text._ZL37rocblas_syrkx_herkx_restricted_kernelIlfLi16ELi32ELi8ELb0ELb0ELc67ELc76EKPKfKPfEviT_T0_PT8_S5_lS8_S5_lS6_PT9_S5_li,"axG",@progbits,_ZL37rocblas_syrkx_herkx_restricted_kernelIlfLi16ELi32ELi8ELb0ELb0ELc67ELc76EKPKfKPfEviT_T0_PT8_S5_lS8_S5_lS6_PT9_S5_li,comdat
.Lfunc_end1419:
	.size	_ZL37rocblas_syrkx_herkx_restricted_kernelIlfLi16ELi32ELi8ELb0ELb0ELc67ELc76EKPKfKPfEviT_T0_PT8_S5_lS8_S5_lS6_PT9_S5_li, .Lfunc_end1419-_ZL37rocblas_syrkx_herkx_restricted_kernelIlfLi16ELi32ELi8ELb0ELb0ELc67ELc76EKPKfKPfEviT_T0_PT8_S5_lS8_S5_lS6_PT9_S5_li
                                        ; -- End function
	.set _ZL37rocblas_syrkx_herkx_restricted_kernelIlfLi16ELi32ELi8ELb0ELb0ELc67ELc76EKPKfKPfEviT_T0_PT8_S5_lS8_S5_lS6_PT9_S5_li.num_vgpr, 34
	.set _ZL37rocblas_syrkx_herkx_restricted_kernelIlfLi16ELi32ELi8ELb0ELb0ELc67ELc76EKPKfKPfEviT_T0_PT8_S5_lS8_S5_lS6_PT9_S5_li.num_agpr, 0
	.set _ZL37rocblas_syrkx_herkx_restricted_kernelIlfLi16ELi32ELi8ELb0ELb0ELc67ELc76EKPKfKPfEviT_T0_PT8_S5_lS8_S5_lS6_PT9_S5_li.numbered_sgpr, 24
	.set _ZL37rocblas_syrkx_herkx_restricted_kernelIlfLi16ELi32ELi8ELb0ELb0ELc67ELc76EKPKfKPfEviT_T0_PT8_S5_lS8_S5_lS6_PT9_S5_li.num_named_barrier, 0
	.set _ZL37rocblas_syrkx_herkx_restricted_kernelIlfLi16ELi32ELi8ELb0ELb0ELc67ELc76EKPKfKPfEviT_T0_PT8_S5_lS8_S5_lS6_PT9_S5_li.private_seg_size, 0
	.set _ZL37rocblas_syrkx_herkx_restricted_kernelIlfLi16ELi32ELi8ELb0ELb0ELc67ELc76EKPKfKPfEviT_T0_PT8_S5_lS8_S5_lS6_PT9_S5_li.uses_vcc, 1
	.set _ZL37rocblas_syrkx_herkx_restricted_kernelIlfLi16ELi32ELi8ELb0ELb0ELc67ELc76EKPKfKPfEviT_T0_PT8_S5_lS8_S5_lS6_PT9_S5_li.uses_flat_scratch, 0
	.set _ZL37rocblas_syrkx_herkx_restricted_kernelIlfLi16ELi32ELi8ELb0ELb0ELc67ELc76EKPKfKPfEviT_T0_PT8_S5_lS8_S5_lS6_PT9_S5_li.has_dyn_sized_stack, 0
	.set _ZL37rocblas_syrkx_herkx_restricted_kernelIlfLi16ELi32ELi8ELb0ELb0ELc67ELc76EKPKfKPfEviT_T0_PT8_S5_lS8_S5_lS6_PT9_S5_li.has_recursion, 0
	.set _ZL37rocblas_syrkx_herkx_restricted_kernelIlfLi16ELi32ELi8ELb0ELb0ELc67ELc76EKPKfKPfEviT_T0_PT8_S5_lS8_S5_lS6_PT9_S5_li.has_indirect_call, 0
	.section	.AMDGPU.csdata,"",@progbits
; Kernel info:
; codeLenInByte = 1212
; TotalNumSgprs: 28
; NumVgprs: 34
; ScratchSize: 0
; MemoryBound: 0
; FloatMode: 240
; IeeeMode: 1
; LDSByteSize: 2048 bytes/workgroup (compile time only)
; SGPRBlocks: 3
; VGPRBlocks: 8
; NumSGPRsForWavesPerEU: 28
; NumVGPRsForWavesPerEU: 34
; Occupancy: 7
; WaveLimiterHint : 1
; COMPUTE_PGM_RSRC2:SCRATCH_EN: 0
; COMPUTE_PGM_RSRC2:USER_SGPR: 6
; COMPUTE_PGM_RSRC2:TRAP_HANDLER: 0
; COMPUTE_PGM_RSRC2:TGID_X_EN: 1
; COMPUTE_PGM_RSRC2:TGID_Y_EN: 1
; COMPUTE_PGM_RSRC2:TGID_Z_EN: 1
; COMPUTE_PGM_RSRC2:TIDIG_COMP_CNT: 1
	.section	.text._ZL37rocblas_syrkx_herkx_restricted_kernelIlfLi16ELi32ELi8ELb0ELb0ELc78ELc76EKPKfKPfEviT_T0_PT8_S5_lS8_S5_lS6_PT9_S5_li,"axG",@progbits,_ZL37rocblas_syrkx_herkx_restricted_kernelIlfLi16ELi32ELi8ELb0ELb0ELc78ELc76EKPKfKPfEviT_T0_PT8_S5_lS8_S5_lS6_PT9_S5_li,comdat
	.globl	_ZL37rocblas_syrkx_herkx_restricted_kernelIlfLi16ELi32ELi8ELb0ELb0ELc78ELc76EKPKfKPfEviT_T0_PT8_S5_lS8_S5_lS6_PT9_S5_li ; -- Begin function _ZL37rocblas_syrkx_herkx_restricted_kernelIlfLi16ELi32ELi8ELb0ELb0ELc78ELc76EKPKfKPfEviT_T0_PT8_S5_lS8_S5_lS6_PT9_S5_li
	.p2align	8
	.type	_ZL37rocblas_syrkx_herkx_restricted_kernelIlfLi16ELi32ELi8ELb0ELb0ELc78ELc76EKPKfKPfEviT_T0_PT8_S5_lS8_S5_lS6_PT9_S5_li,@function
_ZL37rocblas_syrkx_herkx_restricted_kernelIlfLi16ELi32ELi8ELb0ELb0ELc78ELc76EKPKfKPfEviT_T0_PT8_S5_lS8_S5_lS6_PT9_S5_li: ; @_ZL37rocblas_syrkx_herkx_restricted_kernelIlfLi16ELi32ELi8ELb0ELb0ELc78ELc76EKPKfKPfEviT_T0_PT8_S5_lS8_S5_lS6_PT9_S5_li
; %bb.0:
	s_load_dwordx4 s[12:15], s[4:5], 0x50
	s_load_dwordx2 s[16:17], s[4:5], 0x8
	s_mov_b32 s9, 0
	s_lshl_b64 s[18:19], s[8:9], 3
	s_waitcnt lgkmcnt(0)
	s_add_u32 s0, s12, s18
	s_addc_u32 s1, s13, s19
	s_load_dwordx2 s[12:13], s[0:1], 0x0
	v_cmp_lt_i64_e64 s[0:1], s[16:17], 1
	s_lshl_b32 s20, s6, 5
	s_lshl_b32 s21, s7, 5
	s_and_b64 vcc, exec, s[0:1]
	s_cbranch_vccnz .LBB1420_3
; %bb.1:
	s_load_dwordx4 s[0:3], s[4:5], 0x18
	s_load_dwordx4 s[8:11], s[4:5], 0x30
	v_lshl_add_u32 v2, v1, 4, v0
	v_lshrrev_b32_e32 v4, 3, v2
	v_lshrrev_b32_e32 v6, 5, v2
	s_waitcnt lgkmcnt(0)
	s_add_u32 s0, s0, s18
	s_addc_u32 s1, s1, s19
	v_and_b32_e32 v7, 31, v2
	v_add_u32_e32 v2, s21, v4
	s_add_u32 s6, s8, s18
	v_and_b32_e32 v5, 7, v0
	v_ashrrev_i32_e32 v3, 31, v2
	s_addc_u32 s7, s9, s19
	v_lshlrev_b32_e32 v8, 2, v7
	v_mad_u64_u32 v[2:3], s[8:9], s10, v5, v[2:3]
	v_lshl_or_b32 v10, v6, 7, v8
	v_lshlrev_b32_e32 v8, 2, v5
	v_lshl_or_b32 v4, v4, 5, v8
	v_add_u32_e32 v11, 0x400, v4
	v_mov_b32_e32 v4, 0x400
	v_lshl_add_u32 v13, v1, 5, v4
	v_mad_u64_u32 v[3:4], s[8:9], s11, v5, v[3:4]
	v_add_u32_e32 v4, s20, v7
	v_ashrrev_i32_e32 v5, 31, v4
	v_mad_u64_u32 v[4:5], s[8:9], s2, v6, v[4:5]
	s_load_dwordx2 s[6:7], s[6:7], 0x0
	v_lshlrev_b64 v[2:3], 2, v[2:3]
	v_mad_u64_u32 v[5:6], s[8:9], s3, v6, v[5:6]
	s_load_dwordx2 s[0:1], s[0:1], 0x0
	s_waitcnt lgkmcnt(0)
	v_mov_b32_e32 v7, s7
	v_add_co_u32_e32 v2, vcc, s6, v2
	v_lshlrev_b64 v[4:5], 2, v[4:5]
	v_addc_co_u32_e32 v3, vcc, v7, v3, vcc
	v_mov_b32_e32 v6, s1
	v_add_co_u32_e32 v4, vcc, s0, v4
	v_lshlrev_b32_e32 v12, 2, v0
	s_lshl_b64 s[6:7], s[10:11], 5
	v_addc_co_u32_e32 v5, vcc, v6, v5, vcc
	s_lshl_b64 s[2:3], s[2:3], 5
	v_mov_b32_e32 v6, 0
	s_mov_b64 s[8:9], 0
	v_mov_b32_e32 v7, 0
	v_mov_b32_e32 v8, 0
	;; [unrolled: 1-line block ×3, first 2 shown]
.LBB1420_2:                             ; =>This Inner Loop Header: Depth=1
	flat_load_dword v14, v[4:5]
	s_add_u32 s8, s8, 8
	s_addc_u32 s9, s9, 0
	v_add_co_u32_e64 v4, s[0:1], s2, v4
	s_waitcnt vmcnt(0) lgkmcnt(0)
	ds_write_b32 v10, v14
	flat_load_dword v16, v[2:3]
	v_mov_b32_e32 v15, s9
	v_mov_b32_e32 v14, s8
	v_cmp_le_u64_e32 vcc, s[16:17], v[14:15]
	s_and_b64 vcc, exec, vcc
	s_waitcnt vmcnt(0) lgkmcnt(0)
	ds_write_b32 v11, v16
	s_waitcnt lgkmcnt(0)
	s_barrier
	ds_read2_b32 v[26:27], v12 offset1:16
	ds_read_b128 v[14:17], v13
	ds_read2_b32 v[28:29], v12 offset0:32 offset1:48
	ds_read2_b32 v[30:31], v12 offset0:64 offset1:80
	;; [unrolled: 1-line block ×3, first 2 shown]
	ds_read_b128 v[18:21], v13 offset:16
	s_waitcnt lgkmcnt(4)
	v_fmac_f32_e32 v9, v26, v14
	v_fmac_f32_e32 v8, v27, v14
	s_waitcnt lgkmcnt(3)
	v_fmac_f32_e32 v9, v28, v15
	v_fmac_f32_e32 v8, v29, v15
	;; [unrolled: 3-line block ×4, first 2 shown]
	ds_read_b128 v[14:17], v13 offset:512
	ds_read_b128 v[22:25], v13 offset:528
	s_waitcnt lgkmcnt(1)
	v_fmac_f32_e32 v7, v26, v14
	v_fmac_f32_e32 v6, v27, v14
	v_mov_b32_e32 v14, s3
	v_addc_co_u32_e64 v5, s[0:1], v5, v14, s[0:1]
	v_mov_b32_e32 v14, s7
	v_add_co_u32_e64 v2, s[0:1], s6, v2
	v_fmac_f32_e32 v7, v28, v15
	v_fmac_f32_e32 v6, v29, v15
	v_addc_co_u32_e64 v3, s[0:1], v3, v14, s[0:1]
	ds_read2_b32 v[14:15], v12 offset0:128 offset1:144
	v_fmac_f32_e32 v7, v30, v16
	v_fmac_f32_e32 v6, v31, v16
	;; [unrolled: 1-line block ×4, first 2 shown]
	ds_read2_b32 v[16:17], v12 offset0:160 offset1:176
	ds_read2_b32 v[26:27], v12 offset0:192 offset1:208
	;; [unrolled: 1-line block ×3, first 2 shown]
	s_waitcnt lgkmcnt(3)
	v_fmac_f32_e32 v9, v14, v18
	v_fmac_f32_e32 v8, v15, v18
	v_fmac_f32_e32 v7, v14, v22
	v_fmac_f32_e32 v6, v15, v22
	s_waitcnt lgkmcnt(2)
	v_fmac_f32_e32 v9, v16, v19
	v_fmac_f32_e32 v8, v17, v19
	v_fmac_f32_e32 v7, v16, v23
	v_fmac_f32_e32 v6, v17, v23
	;; [unrolled: 5-line block ×4, first 2 shown]
	s_barrier
	s_cbranch_vccz .LBB1420_2
	s_branch .LBB1420_4
.LBB1420_3:
	v_mov_b32_e32 v9, 0
	v_mov_b32_e32 v8, 0
	;; [unrolled: 1-line block ×4, first 2 shown]
.LBB1420_4:
	v_add_u32_e32 v4, s21, v1
	v_ashrrev_i32_e32 v1, 31, v4
	v_mul_lo_u32 v3, s14, v1
	v_mul_lo_u32 v5, s15, v4
	v_mad_u64_u32 v[1:2], s[0:1], s14, v4, 0
	s_load_dword s8, s[4:5], 0x0
	s_load_dword s6, s[4:5], 0x10
	;; [unrolled: 1-line block ×3, first 2 shown]
	v_add_u32_e32 v0, s20, v0
	v_add3_u32 v2, v2, v3, v5
	v_lshlrev_b64 v[1:2], 2, v[1:2]
	s_waitcnt lgkmcnt(0)
	v_mov_b32_e32 v3, s13
	v_add_co_u32_e32 v5, vcc, s12, v1
	v_addc_co_u32_e32 v10, vcc, v3, v2, vcc
	v_cmp_le_i32_e64 s[0:1], v4, v0
	v_cmp_gt_i32_e32 vcc, s8, v0
	s_and_b64 s[0:1], s[0:1], vcc
	s_and_saveexec_b64 s[2:3], s[0:1]
	s_cbranch_execz .LBB1420_6
; %bb.5:
	v_ashrrev_i32_e32 v1, 31, v0
	v_lshlrev_b64 v[1:2], 2, v[0:1]
	v_add_co_u32_e64 v1, s[0:1], v5, v1
	v_addc_co_u32_e64 v2, s[0:1], v10, v2, s[0:1]
	flat_load_dword v3, v[1:2]
	s_waitcnt vmcnt(0) lgkmcnt(0)
	v_mul_f32_e32 v3, s7, v3
	v_fmac_f32_e32 v3, s6, v9
	flat_store_dword v[1:2], v3
.LBB1420_6:
	s_or_b64 exec, exec, s[2:3]
	v_add_u32_e32 v2, 16, v0
	v_cmp_le_i32_e64 s[2:3], v4, v2
	v_cmp_gt_i32_e64 s[0:1], s8, v2
	s_and_b64 s[2:3], s[2:3], s[0:1]
	s_and_saveexec_b64 s[4:5], s[2:3]
	s_cbranch_execz .LBB1420_8
; %bb.7:
	v_ashrrev_i32_e32 v3, 31, v2
	v_lshlrev_b64 v[11:12], 2, v[2:3]
	v_add_co_u32_e64 v9, s[2:3], v5, v11
	v_addc_co_u32_e64 v10, s[2:3], v10, v12, s[2:3]
	flat_load_dword v1, v[9:10]
	s_waitcnt vmcnt(0) lgkmcnt(0)
	v_mul_f32_e32 v1, s7, v1
	v_fmac_f32_e32 v1, s6, v8
	flat_store_dword v[9:10], v1
.LBB1420_8:
	s_or_b64 exec, exec, s[4:5]
	v_add_u32_e32 v3, 16, v4
	v_ashrrev_i32_e32 v1, 31, v3
	v_mul_lo_u32 v8, s15, v3
	v_mad_u64_u32 v[4:5], s[2:3], s14, v3, 0
	v_mul_lo_u32 v1, s14, v1
	v_add3_u32 v5, v5, v1, v8
	v_lshlrev_b64 v[4:5], 2, v[4:5]
	v_mov_b32_e32 v1, s13
	v_add_co_u32_e64 v4, s[2:3], s12, v4
	v_addc_co_u32_e64 v5, s[2:3], v1, v5, s[2:3]
	v_cmp_le_i32_e64 s[2:3], v3, v0
	s_and_b64 s[4:5], s[2:3], vcc
	s_and_saveexec_b64 s[2:3], s[4:5]
	s_cbranch_execz .LBB1420_10
; %bb.9:
	v_ashrrev_i32_e32 v1, 31, v0
	v_lshlrev_b64 v[0:1], 2, v[0:1]
	v_add_co_u32_e32 v0, vcc, v4, v0
	v_addc_co_u32_e32 v1, vcc, v5, v1, vcc
	flat_load_dword v8, v[0:1]
	s_waitcnt vmcnt(0) lgkmcnt(0)
	v_mul_f32_e32 v8, s7, v8
	v_fmac_f32_e32 v8, s6, v7
	flat_store_dword v[0:1], v8
.LBB1420_10:
	s_or_b64 exec, exec, s[2:3]
	v_cmp_le_i32_e32 vcc, v3, v2
	s_and_b64 s[0:1], vcc, s[0:1]
	s_and_saveexec_b64 s[2:3], s[0:1]
	s_cbranch_execz .LBB1420_12
; %bb.11:
	v_ashrrev_i32_e32 v3, 31, v2
	v_lshlrev_b64 v[0:1], 2, v[2:3]
	v_add_co_u32_e32 v0, vcc, v4, v0
	v_addc_co_u32_e32 v1, vcc, v5, v1, vcc
	flat_load_dword v2, v[0:1]
	s_waitcnt vmcnt(0) lgkmcnt(0)
	v_mul_f32_e32 v2, s7, v2
	v_fmac_f32_e32 v2, s6, v6
	flat_store_dword v[0:1], v2
.LBB1420_12:
	s_endpgm
	.section	.rodata,"a",@progbits
	.p2align	6, 0x0
	.amdhsa_kernel _ZL37rocblas_syrkx_herkx_restricted_kernelIlfLi16ELi32ELi8ELb0ELb0ELc78ELc76EKPKfKPfEviT_T0_PT8_S5_lS8_S5_lS6_PT9_S5_li
		.amdhsa_group_segment_fixed_size 2048
		.amdhsa_private_segment_fixed_size 0
		.amdhsa_kernarg_size 108
		.amdhsa_user_sgpr_count 6
		.amdhsa_user_sgpr_private_segment_buffer 1
		.amdhsa_user_sgpr_dispatch_ptr 0
		.amdhsa_user_sgpr_queue_ptr 0
		.amdhsa_user_sgpr_kernarg_segment_ptr 1
		.amdhsa_user_sgpr_dispatch_id 0
		.amdhsa_user_sgpr_flat_scratch_init 0
		.amdhsa_user_sgpr_private_segment_size 0
		.amdhsa_uses_dynamic_stack 0
		.amdhsa_system_sgpr_private_segment_wavefront_offset 0
		.amdhsa_system_sgpr_workgroup_id_x 1
		.amdhsa_system_sgpr_workgroup_id_y 1
		.amdhsa_system_sgpr_workgroup_id_z 1
		.amdhsa_system_sgpr_workgroup_info 0
		.amdhsa_system_vgpr_workitem_id 1
		.amdhsa_next_free_vgpr 34
		.amdhsa_next_free_sgpr 22
		.amdhsa_reserve_vcc 1
		.amdhsa_reserve_flat_scratch 0
		.amdhsa_float_round_mode_32 0
		.amdhsa_float_round_mode_16_64 0
		.amdhsa_float_denorm_mode_32 3
		.amdhsa_float_denorm_mode_16_64 3
		.amdhsa_dx10_clamp 1
		.amdhsa_ieee_mode 1
		.amdhsa_fp16_overflow 0
		.amdhsa_exception_fp_ieee_invalid_op 0
		.amdhsa_exception_fp_denorm_src 0
		.amdhsa_exception_fp_ieee_div_zero 0
		.amdhsa_exception_fp_ieee_overflow 0
		.amdhsa_exception_fp_ieee_underflow 0
		.amdhsa_exception_fp_ieee_inexact 0
		.amdhsa_exception_int_div_zero 0
	.end_amdhsa_kernel
	.section	.text._ZL37rocblas_syrkx_herkx_restricted_kernelIlfLi16ELi32ELi8ELb0ELb0ELc78ELc76EKPKfKPfEviT_T0_PT8_S5_lS8_S5_lS6_PT9_S5_li,"axG",@progbits,_ZL37rocblas_syrkx_herkx_restricted_kernelIlfLi16ELi32ELi8ELb0ELb0ELc78ELc76EKPKfKPfEviT_T0_PT8_S5_lS8_S5_lS6_PT9_S5_li,comdat
.Lfunc_end1420:
	.size	_ZL37rocblas_syrkx_herkx_restricted_kernelIlfLi16ELi32ELi8ELb0ELb0ELc78ELc76EKPKfKPfEviT_T0_PT8_S5_lS8_S5_lS6_PT9_S5_li, .Lfunc_end1420-_ZL37rocblas_syrkx_herkx_restricted_kernelIlfLi16ELi32ELi8ELb0ELb0ELc78ELc76EKPKfKPfEviT_T0_PT8_S5_lS8_S5_lS6_PT9_S5_li
                                        ; -- End function
	.set _ZL37rocblas_syrkx_herkx_restricted_kernelIlfLi16ELi32ELi8ELb0ELb0ELc78ELc76EKPKfKPfEviT_T0_PT8_S5_lS8_S5_lS6_PT9_S5_li.num_vgpr, 34
	.set _ZL37rocblas_syrkx_herkx_restricted_kernelIlfLi16ELi32ELi8ELb0ELb0ELc78ELc76EKPKfKPfEviT_T0_PT8_S5_lS8_S5_lS6_PT9_S5_li.num_agpr, 0
	.set _ZL37rocblas_syrkx_herkx_restricted_kernelIlfLi16ELi32ELi8ELb0ELb0ELc78ELc76EKPKfKPfEviT_T0_PT8_S5_lS8_S5_lS6_PT9_S5_li.numbered_sgpr, 22
	.set _ZL37rocblas_syrkx_herkx_restricted_kernelIlfLi16ELi32ELi8ELb0ELb0ELc78ELc76EKPKfKPfEviT_T0_PT8_S5_lS8_S5_lS6_PT9_S5_li.num_named_barrier, 0
	.set _ZL37rocblas_syrkx_herkx_restricted_kernelIlfLi16ELi32ELi8ELb0ELb0ELc78ELc76EKPKfKPfEviT_T0_PT8_S5_lS8_S5_lS6_PT9_S5_li.private_seg_size, 0
	.set _ZL37rocblas_syrkx_herkx_restricted_kernelIlfLi16ELi32ELi8ELb0ELb0ELc78ELc76EKPKfKPfEviT_T0_PT8_S5_lS8_S5_lS6_PT9_S5_li.uses_vcc, 1
	.set _ZL37rocblas_syrkx_herkx_restricted_kernelIlfLi16ELi32ELi8ELb0ELb0ELc78ELc76EKPKfKPfEviT_T0_PT8_S5_lS8_S5_lS6_PT9_S5_li.uses_flat_scratch, 0
	.set _ZL37rocblas_syrkx_herkx_restricted_kernelIlfLi16ELi32ELi8ELb0ELb0ELc78ELc76EKPKfKPfEviT_T0_PT8_S5_lS8_S5_lS6_PT9_S5_li.has_dyn_sized_stack, 0
	.set _ZL37rocblas_syrkx_herkx_restricted_kernelIlfLi16ELi32ELi8ELb0ELb0ELc78ELc76EKPKfKPfEviT_T0_PT8_S5_lS8_S5_lS6_PT9_S5_li.has_recursion, 0
	.set _ZL37rocblas_syrkx_herkx_restricted_kernelIlfLi16ELi32ELi8ELb0ELb0ELc78ELc76EKPKfKPfEviT_T0_PT8_S5_lS8_S5_lS6_PT9_S5_li.has_indirect_call, 0
	.section	.AMDGPU.csdata,"",@progbits
; Kernel info:
; codeLenInByte = 1192
; TotalNumSgprs: 26
; NumVgprs: 34
; ScratchSize: 0
; MemoryBound: 0
; FloatMode: 240
; IeeeMode: 1
; LDSByteSize: 2048 bytes/workgroup (compile time only)
; SGPRBlocks: 3
; VGPRBlocks: 8
; NumSGPRsForWavesPerEU: 26
; NumVGPRsForWavesPerEU: 34
; Occupancy: 7
; WaveLimiterHint : 1
; COMPUTE_PGM_RSRC2:SCRATCH_EN: 0
; COMPUTE_PGM_RSRC2:USER_SGPR: 6
; COMPUTE_PGM_RSRC2:TRAP_HANDLER: 0
; COMPUTE_PGM_RSRC2:TGID_X_EN: 1
; COMPUTE_PGM_RSRC2:TGID_Y_EN: 1
; COMPUTE_PGM_RSRC2:TGID_Z_EN: 1
; COMPUTE_PGM_RSRC2:TIDIG_COMP_CNT: 1
	.section	.text._ZL37rocblas_syrkx_herkx_restricted_kernelIlfLi16ELi32ELi8ELb0ELb0ELc84ELc85EKPKfKPfEviT_T0_PT8_S5_lS8_S5_lS6_PT9_S5_li,"axG",@progbits,_ZL37rocblas_syrkx_herkx_restricted_kernelIlfLi16ELi32ELi8ELb0ELb0ELc84ELc85EKPKfKPfEviT_T0_PT8_S5_lS8_S5_lS6_PT9_S5_li,comdat
	.globl	_ZL37rocblas_syrkx_herkx_restricted_kernelIlfLi16ELi32ELi8ELb0ELb0ELc84ELc85EKPKfKPfEviT_T0_PT8_S5_lS8_S5_lS6_PT9_S5_li ; -- Begin function _ZL37rocblas_syrkx_herkx_restricted_kernelIlfLi16ELi32ELi8ELb0ELb0ELc84ELc85EKPKfKPfEviT_T0_PT8_S5_lS8_S5_lS6_PT9_S5_li
	.p2align	8
	.type	_ZL37rocblas_syrkx_herkx_restricted_kernelIlfLi16ELi32ELi8ELb0ELb0ELc84ELc85EKPKfKPfEviT_T0_PT8_S5_lS8_S5_lS6_PT9_S5_li,@function
_ZL37rocblas_syrkx_herkx_restricted_kernelIlfLi16ELi32ELi8ELb0ELb0ELc84ELc85EKPKfKPfEviT_T0_PT8_S5_lS8_S5_lS6_PT9_S5_li: ; @_ZL37rocblas_syrkx_herkx_restricted_kernelIlfLi16ELi32ELi8ELb0ELb0ELc84ELc85EKPKfKPfEviT_T0_PT8_S5_lS8_S5_lS6_PT9_S5_li
; %bb.0:
	s_load_dwordx4 s[0:3], s[4:5], 0x50
	s_load_dwordx2 s[14:15], s[4:5], 0x8
	s_mov_b32 s9, 0
	s_lshl_b64 s[16:17], s[8:9], 3
	s_waitcnt lgkmcnt(0)
	s_add_u32 s0, s0, s16
	s_addc_u32 s1, s1, s17
	s_load_dwordx2 s[12:13], s[0:1], 0x0
	v_cmp_lt_i64_e64 s[0:1], s[14:15], 1
	s_lshl_b32 s18, s6, 5
	s_lshl_b32 s19, s7, 5
	s_and_b64 vcc, exec, s[0:1]
	s_cbranch_vccnz .LBB1421_3
; %bb.1:
	s_load_dwordx4 s[8:11], s[4:5], 0x18
	s_load_dwordx4 s[20:23], s[4:5], 0x30
	v_lshl_add_u32 v3, v1, 4, v0
	v_lshrrev_b32_e32 v6, 3, v3
	v_and_b32_e32 v2, 7, v0
	v_add_u32_e32 v7, s19, v6
	v_lshlrev_b32_e32 v11, 2, v2
	s_waitcnt lgkmcnt(0)
	s_add_u32 s0, s8, s16
	v_lshrrev_b32_e32 v4, 5, v3
	v_and_b32_e32 v8, 31, v3
	v_ashrrev_i32_e32 v9, 31, v7
	v_mov_b32_e32 v3, 0
	v_lshl_or_b32 v6, v6, 5, v11
	s_addc_u32 s1, s9, s17
	v_add_u32_e32 v11, 0x400, v6
	v_mul_lo_u32 v9, s22, v9
	v_mul_lo_u32 v14, s23, v7
	v_mad_u64_u32 v[6:7], s[8:9], s22, v7, v[2:3]
	s_add_u32 s6, s20, s16
	s_addc_u32 s7, s21, s17
	v_add3_u32 v7, v14, v7, v9
	v_add_u32_e32 v14, s18, v8
	s_load_dwordx2 s[6:7], s[6:7], 0x0
	v_mov_b32_e32 v5, v3
	v_lshlrev_b32_e32 v10, 2, v8
	v_ashrrev_i32_e32 v8, 31, v14
	v_mul_lo_u32 v15, s10, v8
	v_mad_u64_u32 v[8:9], s[8:9], s10, v14, v[4:5]
	v_mul_lo_u32 v14, s11, v14
	s_load_dwordx2 s[0:1], s[0:1], 0x0
	v_lshlrev_b64 v[6:7], 2, v[6:7]
	v_mov_b32_e32 v2, 0x400
	v_lshl_or_b32 v10, v4, 7, v10
	v_lshl_add_u32 v13, v1, 5, v2
	s_waitcnt lgkmcnt(0)
	v_mov_b32_e32 v2, s7
	v_add_co_u32_e32 v4, vcc, s6, v6
	v_add3_u32 v9, v14, v9, v15
	v_addc_co_u32_e32 v5, vcc, v2, v7, vcc
	v_lshlrev_b64 v[6:7], 2, v[8:9]
	v_mov_b32_e32 v2, s1
	v_add_co_u32_e32 v6, vcc, s0, v6
	v_lshlrev_b32_e32 v12, 2, v0
	v_addc_co_u32_e32 v7, vcc, v2, v7, vcc
	s_mov_b64 s[6:7], 0
	v_mov_b32_e32 v2, v3
	v_mov_b32_e32 v8, v3
	;; [unrolled: 1-line block ×3, first 2 shown]
.LBB1421_2:                             ; =>This Inner Loop Header: Depth=1
	flat_load_dword v14, v[6:7]
	s_add_u32 s6, s6, 8
	s_addc_u32 s7, s7, 0
	v_add_co_u32_e64 v6, s[0:1], 32, v6
	v_addc_co_u32_e64 v7, s[0:1], 0, v7, s[0:1]
	s_waitcnt vmcnt(0) lgkmcnt(0)
	ds_write_b32 v10, v14
	flat_load_dword v14, v[4:5]
	v_add_co_u32_e64 v4, s[0:1], 32, v4
	v_addc_co_u32_e64 v5, s[0:1], 0, v5, s[0:1]
	s_waitcnt vmcnt(0) lgkmcnt(0)
	ds_write_b32 v11, v14
	s_waitcnt lgkmcnt(0)
	s_barrier
	ds_read2_b32 v[26:27], v12 offset1:16
	ds_read_b128 v[14:17], v13
	ds_read2_b32 v[28:29], v12 offset0:32 offset1:48
	ds_read2_b32 v[30:31], v12 offset0:64 offset1:80
	ds_read_b128 v[18:21], v13 offset:16
	ds_read2_b32 v[32:33], v12 offset0:96 offset1:112
	s_waitcnt lgkmcnt(4)
	v_fmac_f32_e32 v9, v26, v14
	v_fmac_f32_e32 v8, v27, v14
	s_waitcnt lgkmcnt(3)
	v_fmac_f32_e32 v9, v28, v15
	v_fmac_f32_e32 v8, v29, v15
	v_mov_b32_e32 v15, s7
	s_waitcnt lgkmcnt(2)
	v_fmac_f32_e32 v9, v30, v16
	v_fmac_f32_e32 v8, v31, v16
	v_mov_b32_e32 v14, s6
	s_waitcnt lgkmcnt(0)
	v_fmac_f32_e32 v9, v32, v17
	v_fmac_f32_e32 v8, v33, v17
	v_cmp_le_u64_e32 vcc, s[14:15], v[14:15]
	ds_read_b128 v[14:17], v13 offset:512
	ds_read_b128 v[22:25], v13 offset:528
	s_and_b64 vcc, exec, vcc
	s_waitcnt lgkmcnt(1)
	v_fmac_f32_e32 v2, v26, v14
	v_fmac_f32_e32 v3, v27, v14
	;; [unrolled: 1-line block ×8, first 2 shown]
	ds_read2_b32 v[14:15], v12 offset0:128 offset1:144
	ds_read2_b32 v[16:17], v12 offset0:160 offset1:176
	;; [unrolled: 1-line block ×3, first 2 shown]
	s_waitcnt lgkmcnt(2)
	v_fmac_f32_e32 v9, v14, v18
	v_fmac_f32_e32 v8, v15, v18
	;; [unrolled: 1-line block ×4, first 2 shown]
	ds_read2_b32 v[14:15], v12 offset0:224 offset1:240
	s_waitcnt lgkmcnt(2)
	v_fmac_f32_e32 v9, v16, v19
	v_fmac_f32_e32 v8, v17, v19
	v_fmac_f32_e32 v2, v16, v23
	v_fmac_f32_e32 v3, v17, v23
	s_waitcnt lgkmcnt(1)
	v_fmac_f32_e32 v9, v26, v20
	v_fmac_f32_e32 v8, v27, v20
	v_fmac_f32_e32 v2, v26, v24
	v_fmac_f32_e32 v3, v27, v24
	;; [unrolled: 5-line block ×3, first 2 shown]
	s_barrier
	s_cbranch_vccz .LBB1421_2
	s_branch .LBB1421_4
.LBB1421_3:
	v_mov_b32_e32 v9, 0
	v_mov_b32_e32 v8, 0
	;; [unrolled: 1-line block ×4, first 2 shown]
.LBB1421_4:
	v_add_u32_e32 v6, s19, v1
	v_ashrrev_i32_e32 v1, 31, v6
	v_mul_lo_u32 v1, s2, v1
	v_mul_lo_u32 v7, s3, v6
	v_mad_u64_u32 v[4:5], s[0:1], s2, v6, 0
	s_load_dword s8, s[4:5], 0x0
	s_load_dword s6, s[4:5], 0x10
	;; [unrolled: 1-line block ×3, first 2 shown]
	v_add3_u32 v5, v5, v1, v7
	v_lshlrev_b64 v[4:5], 2, v[4:5]
	s_waitcnt lgkmcnt(0)
	v_mov_b32_e32 v1, s13
	v_add_co_u32_e64 v7, s[0:1], s12, v4
	v_add_u32_e32 v0, s18, v0
	v_addc_co_u32_e64 v10, s[0:1], v1, v5, s[0:1]
	v_cmp_gt_i32_e32 vcc, s8, v6
	v_cmp_le_i32_e64 s[0:1], v0, v6
	s_and_b64 s[0:1], vcc, s[0:1]
	s_and_saveexec_b64 s[4:5], s[0:1]
	s_cbranch_execz .LBB1421_6
; %bb.5:
	v_ashrrev_i32_e32 v1, 31, v0
	v_lshlrev_b64 v[4:5], 2, v[0:1]
	v_add_co_u32_e64 v4, s[0:1], v7, v4
	v_addc_co_u32_e64 v5, s[0:1], v10, v5, s[0:1]
	flat_load_dword v1, v[4:5]
	s_waitcnt vmcnt(0) lgkmcnt(0)
	v_mul_f32_e32 v1, s7, v1
	v_fmac_f32_e32 v1, s6, v9
	flat_store_dword v[4:5], v1
.LBB1421_6:
	s_or_b64 exec, exec, s[4:5]
	v_add_u32_e32 v4, 16, v0
	v_cmp_le_i32_e64 s[0:1], v4, v6
	s_and_b64 s[4:5], vcc, s[0:1]
	s_and_saveexec_b64 s[0:1], s[4:5]
	s_cbranch_execz .LBB1421_8
; %bb.7:
	v_ashrrev_i32_e32 v5, 31, v4
	v_lshlrev_b64 v[11:12], 2, v[4:5]
	v_add_co_u32_e32 v9, vcc, v7, v11
	v_addc_co_u32_e32 v10, vcc, v10, v12, vcc
	flat_load_dword v1, v[9:10]
	s_waitcnt vmcnt(0) lgkmcnt(0)
	v_mul_f32_e32 v1, s7, v1
	v_fmac_f32_e32 v1, s6, v8
	flat_store_dword v[9:10], v1
.LBB1421_8:
	s_or_b64 exec, exec, s[0:1]
	v_add_u32_e32 v5, 16, v6
	v_ashrrev_i32_e32 v1, 31, v5
	v_mul_lo_u32 v1, s2, v1
	v_mul_lo_u32 v8, s3, v5
	v_mad_u64_u32 v[6:7], s[0:1], s2, v5, 0
	v_cmp_gt_i32_e32 vcc, s8, v5
	v_add3_u32 v7, v7, v1, v8
	v_lshlrev_b64 v[6:7], 2, v[6:7]
	v_mov_b32_e32 v1, s13
	v_add_co_u32_e64 v6, s[0:1], s12, v6
	v_addc_co_u32_e64 v7, s[0:1], v1, v7, s[0:1]
	v_cmp_le_i32_e64 s[0:1], v0, v5
	s_and_b64 s[0:1], vcc, s[0:1]
	s_and_saveexec_b64 s[2:3], s[0:1]
	s_cbranch_execz .LBB1421_10
; %bb.9:
	v_ashrrev_i32_e32 v1, 31, v0
	v_lshlrev_b64 v[0:1], 2, v[0:1]
	v_add_co_u32_e64 v0, s[0:1], v6, v0
	v_addc_co_u32_e64 v1, s[0:1], v7, v1, s[0:1]
	flat_load_dword v8, v[0:1]
	s_waitcnt vmcnt(0) lgkmcnt(0)
	v_mul_f32_e32 v8, s7, v8
	v_fmac_f32_e32 v8, s6, v2
	flat_store_dword v[0:1], v8
.LBB1421_10:
	s_or_b64 exec, exec, s[2:3]
	v_cmp_le_i32_e64 s[0:1], v4, v5
	s_and_b64 s[0:1], vcc, s[0:1]
	s_and_saveexec_b64 s[2:3], s[0:1]
	s_cbranch_execz .LBB1421_12
; %bb.11:
	v_ashrrev_i32_e32 v5, 31, v4
	v_lshlrev_b64 v[0:1], 2, v[4:5]
	v_add_co_u32_e32 v0, vcc, v6, v0
	v_addc_co_u32_e32 v1, vcc, v7, v1, vcc
	flat_load_dword v2, v[0:1]
	s_waitcnt vmcnt(0) lgkmcnt(0)
	v_mul_f32_e32 v2, s7, v2
	v_fmac_f32_e32 v2, s6, v3
	flat_store_dword v[0:1], v2
.LBB1421_12:
	s_endpgm
	.section	.rodata,"a",@progbits
	.p2align	6, 0x0
	.amdhsa_kernel _ZL37rocblas_syrkx_herkx_restricted_kernelIlfLi16ELi32ELi8ELb0ELb0ELc84ELc85EKPKfKPfEviT_T0_PT8_S5_lS8_S5_lS6_PT9_S5_li
		.amdhsa_group_segment_fixed_size 2048
		.amdhsa_private_segment_fixed_size 0
		.amdhsa_kernarg_size 108
		.amdhsa_user_sgpr_count 6
		.amdhsa_user_sgpr_private_segment_buffer 1
		.amdhsa_user_sgpr_dispatch_ptr 0
		.amdhsa_user_sgpr_queue_ptr 0
		.amdhsa_user_sgpr_kernarg_segment_ptr 1
		.amdhsa_user_sgpr_dispatch_id 0
		.amdhsa_user_sgpr_flat_scratch_init 0
		.amdhsa_user_sgpr_private_segment_size 0
		.amdhsa_uses_dynamic_stack 0
		.amdhsa_system_sgpr_private_segment_wavefront_offset 0
		.amdhsa_system_sgpr_workgroup_id_x 1
		.amdhsa_system_sgpr_workgroup_id_y 1
		.amdhsa_system_sgpr_workgroup_id_z 1
		.amdhsa_system_sgpr_workgroup_info 0
		.amdhsa_system_vgpr_workitem_id 1
		.amdhsa_next_free_vgpr 34
		.amdhsa_next_free_sgpr 24
		.amdhsa_reserve_vcc 1
		.amdhsa_reserve_flat_scratch 0
		.amdhsa_float_round_mode_32 0
		.amdhsa_float_round_mode_16_64 0
		.amdhsa_float_denorm_mode_32 3
		.amdhsa_float_denorm_mode_16_64 3
		.amdhsa_dx10_clamp 1
		.amdhsa_ieee_mode 1
		.amdhsa_fp16_overflow 0
		.amdhsa_exception_fp_ieee_invalid_op 0
		.amdhsa_exception_fp_denorm_src 0
		.amdhsa_exception_fp_ieee_div_zero 0
		.amdhsa_exception_fp_ieee_overflow 0
		.amdhsa_exception_fp_ieee_underflow 0
		.amdhsa_exception_fp_ieee_inexact 0
		.amdhsa_exception_int_div_zero 0
	.end_amdhsa_kernel
	.section	.text._ZL37rocblas_syrkx_herkx_restricted_kernelIlfLi16ELi32ELi8ELb0ELb0ELc84ELc85EKPKfKPfEviT_T0_PT8_S5_lS8_S5_lS6_PT9_S5_li,"axG",@progbits,_ZL37rocblas_syrkx_herkx_restricted_kernelIlfLi16ELi32ELi8ELb0ELb0ELc84ELc85EKPKfKPfEviT_T0_PT8_S5_lS8_S5_lS6_PT9_S5_li,comdat
.Lfunc_end1421:
	.size	_ZL37rocblas_syrkx_herkx_restricted_kernelIlfLi16ELi32ELi8ELb0ELb0ELc84ELc85EKPKfKPfEviT_T0_PT8_S5_lS8_S5_lS6_PT9_S5_li, .Lfunc_end1421-_ZL37rocblas_syrkx_herkx_restricted_kernelIlfLi16ELi32ELi8ELb0ELb0ELc84ELc85EKPKfKPfEviT_T0_PT8_S5_lS8_S5_lS6_PT9_S5_li
                                        ; -- End function
	.set _ZL37rocblas_syrkx_herkx_restricted_kernelIlfLi16ELi32ELi8ELb0ELb0ELc84ELc85EKPKfKPfEviT_T0_PT8_S5_lS8_S5_lS6_PT9_S5_li.num_vgpr, 34
	.set _ZL37rocblas_syrkx_herkx_restricted_kernelIlfLi16ELi32ELi8ELb0ELb0ELc84ELc85EKPKfKPfEviT_T0_PT8_S5_lS8_S5_lS6_PT9_S5_li.num_agpr, 0
	.set _ZL37rocblas_syrkx_herkx_restricted_kernelIlfLi16ELi32ELi8ELb0ELb0ELc84ELc85EKPKfKPfEviT_T0_PT8_S5_lS8_S5_lS6_PT9_S5_li.numbered_sgpr, 24
	.set _ZL37rocblas_syrkx_herkx_restricted_kernelIlfLi16ELi32ELi8ELb0ELb0ELc84ELc85EKPKfKPfEviT_T0_PT8_S5_lS8_S5_lS6_PT9_S5_li.num_named_barrier, 0
	.set _ZL37rocblas_syrkx_herkx_restricted_kernelIlfLi16ELi32ELi8ELb0ELb0ELc84ELc85EKPKfKPfEviT_T0_PT8_S5_lS8_S5_lS6_PT9_S5_li.private_seg_size, 0
	.set _ZL37rocblas_syrkx_herkx_restricted_kernelIlfLi16ELi32ELi8ELb0ELb0ELc84ELc85EKPKfKPfEviT_T0_PT8_S5_lS8_S5_lS6_PT9_S5_li.uses_vcc, 1
	.set _ZL37rocblas_syrkx_herkx_restricted_kernelIlfLi16ELi32ELi8ELb0ELb0ELc84ELc85EKPKfKPfEviT_T0_PT8_S5_lS8_S5_lS6_PT9_S5_li.uses_flat_scratch, 0
	.set _ZL37rocblas_syrkx_herkx_restricted_kernelIlfLi16ELi32ELi8ELb0ELb0ELc84ELc85EKPKfKPfEviT_T0_PT8_S5_lS8_S5_lS6_PT9_S5_li.has_dyn_sized_stack, 0
	.set _ZL37rocblas_syrkx_herkx_restricted_kernelIlfLi16ELi32ELi8ELb0ELb0ELc84ELc85EKPKfKPfEviT_T0_PT8_S5_lS8_S5_lS6_PT9_S5_li.has_recursion, 0
	.set _ZL37rocblas_syrkx_herkx_restricted_kernelIlfLi16ELi32ELi8ELb0ELb0ELc84ELc85EKPKfKPfEviT_T0_PT8_S5_lS8_S5_lS6_PT9_S5_li.has_indirect_call, 0
	.section	.AMDGPU.csdata,"",@progbits
; Kernel info:
; codeLenInByte = 1220
; TotalNumSgprs: 28
; NumVgprs: 34
; ScratchSize: 0
; MemoryBound: 0
; FloatMode: 240
; IeeeMode: 1
; LDSByteSize: 2048 bytes/workgroup (compile time only)
; SGPRBlocks: 3
; VGPRBlocks: 8
; NumSGPRsForWavesPerEU: 28
; NumVGPRsForWavesPerEU: 34
; Occupancy: 7
; WaveLimiterHint : 1
; COMPUTE_PGM_RSRC2:SCRATCH_EN: 0
; COMPUTE_PGM_RSRC2:USER_SGPR: 6
; COMPUTE_PGM_RSRC2:TRAP_HANDLER: 0
; COMPUTE_PGM_RSRC2:TGID_X_EN: 1
; COMPUTE_PGM_RSRC2:TGID_Y_EN: 1
; COMPUTE_PGM_RSRC2:TGID_Z_EN: 1
; COMPUTE_PGM_RSRC2:TIDIG_COMP_CNT: 1
	.section	.text._ZL37rocblas_syrkx_herkx_restricted_kernelIlfLi16ELi32ELi8ELb0ELb0ELc67ELc85EKPKfKPfEviT_T0_PT8_S5_lS8_S5_lS6_PT9_S5_li,"axG",@progbits,_ZL37rocblas_syrkx_herkx_restricted_kernelIlfLi16ELi32ELi8ELb0ELb0ELc67ELc85EKPKfKPfEviT_T0_PT8_S5_lS8_S5_lS6_PT9_S5_li,comdat
	.globl	_ZL37rocblas_syrkx_herkx_restricted_kernelIlfLi16ELi32ELi8ELb0ELb0ELc67ELc85EKPKfKPfEviT_T0_PT8_S5_lS8_S5_lS6_PT9_S5_li ; -- Begin function _ZL37rocblas_syrkx_herkx_restricted_kernelIlfLi16ELi32ELi8ELb0ELb0ELc67ELc85EKPKfKPfEviT_T0_PT8_S5_lS8_S5_lS6_PT9_S5_li
	.p2align	8
	.type	_ZL37rocblas_syrkx_herkx_restricted_kernelIlfLi16ELi32ELi8ELb0ELb0ELc67ELc85EKPKfKPfEviT_T0_PT8_S5_lS8_S5_lS6_PT9_S5_li,@function
_ZL37rocblas_syrkx_herkx_restricted_kernelIlfLi16ELi32ELi8ELb0ELb0ELc67ELc85EKPKfKPfEviT_T0_PT8_S5_lS8_S5_lS6_PT9_S5_li: ; @_ZL37rocblas_syrkx_herkx_restricted_kernelIlfLi16ELi32ELi8ELb0ELb0ELc67ELc85EKPKfKPfEviT_T0_PT8_S5_lS8_S5_lS6_PT9_S5_li
; %bb.0:
	s_load_dwordx4 s[0:3], s[4:5], 0x50
	s_load_dwordx2 s[14:15], s[4:5], 0x8
	s_mov_b32 s9, 0
	s_lshl_b64 s[16:17], s[8:9], 3
	s_waitcnt lgkmcnt(0)
	s_add_u32 s0, s0, s16
	s_addc_u32 s1, s1, s17
	s_load_dwordx2 s[12:13], s[0:1], 0x0
	v_cmp_lt_i64_e64 s[0:1], s[14:15], 1
	s_lshl_b32 s18, s6, 5
	s_lshl_b32 s19, s7, 5
	s_and_b64 vcc, exec, s[0:1]
	s_cbranch_vccnz .LBB1422_3
; %bb.1:
	s_load_dwordx4 s[8:11], s[4:5], 0x18
	s_load_dwordx4 s[20:23], s[4:5], 0x30
	v_lshl_add_u32 v3, v1, 4, v0
	v_lshrrev_b32_e32 v6, 3, v3
	v_and_b32_e32 v2, 7, v0
	v_add_u32_e32 v7, s19, v6
	v_lshlrev_b32_e32 v11, 2, v2
	s_waitcnt lgkmcnt(0)
	s_add_u32 s0, s8, s16
	v_lshrrev_b32_e32 v4, 5, v3
	v_and_b32_e32 v8, 31, v3
	v_ashrrev_i32_e32 v9, 31, v7
	v_mov_b32_e32 v3, 0
	v_lshl_or_b32 v6, v6, 5, v11
	s_addc_u32 s1, s9, s17
	v_add_u32_e32 v11, 0x400, v6
	v_mul_lo_u32 v9, s22, v9
	v_mul_lo_u32 v14, s23, v7
	v_mad_u64_u32 v[6:7], s[8:9], s22, v7, v[2:3]
	s_add_u32 s6, s20, s16
	s_addc_u32 s7, s21, s17
	v_add3_u32 v7, v14, v7, v9
	v_add_u32_e32 v14, s18, v8
	s_load_dwordx2 s[6:7], s[6:7], 0x0
	v_mov_b32_e32 v5, v3
	v_lshlrev_b32_e32 v10, 2, v8
	v_ashrrev_i32_e32 v8, 31, v14
	v_mul_lo_u32 v15, s10, v8
	v_mad_u64_u32 v[8:9], s[8:9], s10, v14, v[4:5]
	v_mul_lo_u32 v14, s11, v14
	s_load_dwordx2 s[0:1], s[0:1], 0x0
	v_lshlrev_b64 v[6:7], 2, v[6:7]
	v_mov_b32_e32 v2, 0x400
	v_lshl_or_b32 v10, v4, 7, v10
	v_lshl_add_u32 v13, v1, 5, v2
	s_waitcnt lgkmcnt(0)
	v_mov_b32_e32 v2, s7
	v_add_co_u32_e32 v4, vcc, s6, v6
	v_add3_u32 v9, v14, v9, v15
	v_addc_co_u32_e32 v5, vcc, v2, v7, vcc
	v_lshlrev_b64 v[6:7], 2, v[8:9]
	v_mov_b32_e32 v2, s1
	v_add_co_u32_e32 v6, vcc, s0, v6
	v_lshlrev_b32_e32 v12, 2, v0
	v_addc_co_u32_e32 v7, vcc, v2, v7, vcc
	s_mov_b64 s[6:7], 0
	v_mov_b32_e32 v2, v3
	v_mov_b32_e32 v8, v3
	;; [unrolled: 1-line block ×3, first 2 shown]
.LBB1422_2:                             ; =>This Inner Loop Header: Depth=1
	flat_load_dword v14, v[6:7]
	s_add_u32 s6, s6, 8
	s_addc_u32 s7, s7, 0
	v_add_co_u32_e64 v6, s[0:1], 32, v6
	v_addc_co_u32_e64 v7, s[0:1], 0, v7, s[0:1]
	s_waitcnt vmcnt(0) lgkmcnt(0)
	ds_write_b32 v10, v14
	flat_load_dword v14, v[4:5]
	v_add_co_u32_e64 v4, s[0:1], 32, v4
	v_addc_co_u32_e64 v5, s[0:1], 0, v5, s[0:1]
	s_waitcnt vmcnt(0) lgkmcnt(0)
	ds_write_b32 v11, v14
	s_waitcnt lgkmcnt(0)
	s_barrier
	ds_read2_b32 v[26:27], v12 offset1:16
	ds_read_b128 v[14:17], v13
	ds_read2_b32 v[28:29], v12 offset0:32 offset1:48
	ds_read2_b32 v[30:31], v12 offset0:64 offset1:80
	ds_read_b128 v[18:21], v13 offset:16
	ds_read2_b32 v[32:33], v12 offset0:96 offset1:112
	s_waitcnt lgkmcnt(4)
	v_fmac_f32_e32 v9, v26, v14
	v_fmac_f32_e32 v8, v27, v14
	s_waitcnt lgkmcnt(3)
	v_fmac_f32_e32 v9, v28, v15
	v_fmac_f32_e32 v8, v29, v15
	v_mov_b32_e32 v15, s7
	s_waitcnt lgkmcnt(2)
	v_fmac_f32_e32 v9, v30, v16
	v_fmac_f32_e32 v8, v31, v16
	v_mov_b32_e32 v14, s6
	s_waitcnt lgkmcnt(0)
	v_fmac_f32_e32 v9, v32, v17
	v_fmac_f32_e32 v8, v33, v17
	v_cmp_le_u64_e32 vcc, s[14:15], v[14:15]
	ds_read_b128 v[14:17], v13 offset:512
	ds_read_b128 v[22:25], v13 offset:528
	s_and_b64 vcc, exec, vcc
	s_waitcnt lgkmcnt(1)
	v_fmac_f32_e32 v2, v26, v14
	v_fmac_f32_e32 v3, v27, v14
	;; [unrolled: 1-line block ×8, first 2 shown]
	ds_read2_b32 v[14:15], v12 offset0:128 offset1:144
	ds_read2_b32 v[16:17], v12 offset0:160 offset1:176
	;; [unrolled: 1-line block ×3, first 2 shown]
	s_waitcnt lgkmcnt(2)
	v_fmac_f32_e32 v9, v14, v18
	v_fmac_f32_e32 v8, v15, v18
	v_fmac_f32_e32 v2, v14, v22
	v_fmac_f32_e32 v3, v15, v22
	ds_read2_b32 v[14:15], v12 offset0:224 offset1:240
	s_waitcnt lgkmcnt(2)
	v_fmac_f32_e32 v9, v16, v19
	v_fmac_f32_e32 v8, v17, v19
	v_fmac_f32_e32 v2, v16, v23
	v_fmac_f32_e32 v3, v17, v23
	s_waitcnt lgkmcnt(1)
	v_fmac_f32_e32 v9, v26, v20
	v_fmac_f32_e32 v8, v27, v20
	v_fmac_f32_e32 v2, v26, v24
	v_fmac_f32_e32 v3, v27, v24
	;; [unrolled: 5-line block ×3, first 2 shown]
	s_barrier
	s_cbranch_vccz .LBB1422_2
	s_branch .LBB1422_4
.LBB1422_3:
	v_mov_b32_e32 v9, 0
	v_mov_b32_e32 v8, 0
	;; [unrolled: 1-line block ×4, first 2 shown]
.LBB1422_4:
	v_add_u32_e32 v6, s19, v1
	v_ashrrev_i32_e32 v1, 31, v6
	v_mul_lo_u32 v1, s2, v1
	v_mul_lo_u32 v7, s3, v6
	v_mad_u64_u32 v[4:5], s[0:1], s2, v6, 0
	s_load_dword s8, s[4:5], 0x0
	s_load_dword s6, s[4:5], 0x10
	;; [unrolled: 1-line block ×3, first 2 shown]
	v_add3_u32 v5, v5, v1, v7
	v_lshlrev_b64 v[4:5], 2, v[4:5]
	s_waitcnt lgkmcnt(0)
	v_mov_b32_e32 v1, s13
	v_add_co_u32_e64 v7, s[0:1], s12, v4
	v_add_u32_e32 v0, s18, v0
	v_addc_co_u32_e64 v10, s[0:1], v1, v5, s[0:1]
	v_cmp_gt_i32_e32 vcc, s8, v6
	v_cmp_le_i32_e64 s[0:1], v0, v6
	s_and_b64 s[0:1], vcc, s[0:1]
	s_and_saveexec_b64 s[4:5], s[0:1]
	s_cbranch_execz .LBB1422_6
; %bb.5:
	v_ashrrev_i32_e32 v1, 31, v0
	v_lshlrev_b64 v[4:5], 2, v[0:1]
	v_add_co_u32_e64 v4, s[0:1], v7, v4
	v_addc_co_u32_e64 v5, s[0:1], v10, v5, s[0:1]
	flat_load_dword v1, v[4:5]
	s_waitcnt vmcnt(0) lgkmcnt(0)
	v_mul_f32_e32 v1, s7, v1
	v_fmac_f32_e32 v1, s6, v9
	flat_store_dword v[4:5], v1
.LBB1422_6:
	s_or_b64 exec, exec, s[4:5]
	v_add_u32_e32 v4, 16, v0
	v_cmp_le_i32_e64 s[0:1], v4, v6
	s_and_b64 s[4:5], vcc, s[0:1]
	s_and_saveexec_b64 s[0:1], s[4:5]
	s_cbranch_execz .LBB1422_8
; %bb.7:
	v_ashrrev_i32_e32 v5, 31, v4
	v_lshlrev_b64 v[11:12], 2, v[4:5]
	v_add_co_u32_e32 v9, vcc, v7, v11
	v_addc_co_u32_e32 v10, vcc, v10, v12, vcc
	flat_load_dword v1, v[9:10]
	s_waitcnt vmcnt(0) lgkmcnt(0)
	v_mul_f32_e32 v1, s7, v1
	v_fmac_f32_e32 v1, s6, v8
	flat_store_dword v[9:10], v1
.LBB1422_8:
	s_or_b64 exec, exec, s[0:1]
	v_add_u32_e32 v5, 16, v6
	v_ashrrev_i32_e32 v1, 31, v5
	v_mul_lo_u32 v1, s2, v1
	v_mul_lo_u32 v8, s3, v5
	v_mad_u64_u32 v[6:7], s[0:1], s2, v5, 0
	v_cmp_gt_i32_e32 vcc, s8, v5
	v_add3_u32 v7, v7, v1, v8
	v_lshlrev_b64 v[6:7], 2, v[6:7]
	v_mov_b32_e32 v1, s13
	v_add_co_u32_e64 v6, s[0:1], s12, v6
	v_addc_co_u32_e64 v7, s[0:1], v1, v7, s[0:1]
	v_cmp_le_i32_e64 s[0:1], v0, v5
	s_and_b64 s[0:1], vcc, s[0:1]
	s_and_saveexec_b64 s[2:3], s[0:1]
	s_cbranch_execz .LBB1422_10
; %bb.9:
	v_ashrrev_i32_e32 v1, 31, v0
	v_lshlrev_b64 v[0:1], 2, v[0:1]
	v_add_co_u32_e64 v0, s[0:1], v6, v0
	v_addc_co_u32_e64 v1, s[0:1], v7, v1, s[0:1]
	flat_load_dword v8, v[0:1]
	s_waitcnt vmcnt(0) lgkmcnt(0)
	v_mul_f32_e32 v8, s7, v8
	v_fmac_f32_e32 v8, s6, v2
	flat_store_dword v[0:1], v8
.LBB1422_10:
	s_or_b64 exec, exec, s[2:3]
	v_cmp_le_i32_e64 s[0:1], v4, v5
	s_and_b64 s[0:1], vcc, s[0:1]
	s_and_saveexec_b64 s[2:3], s[0:1]
	s_cbranch_execz .LBB1422_12
; %bb.11:
	v_ashrrev_i32_e32 v5, 31, v4
	v_lshlrev_b64 v[0:1], 2, v[4:5]
	v_add_co_u32_e32 v0, vcc, v6, v0
	v_addc_co_u32_e32 v1, vcc, v7, v1, vcc
	flat_load_dword v2, v[0:1]
	s_waitcnt vmcnt(0) lgkmcnt(0)
	v_mul_f32_e32 v2, s7, v2
	v_fmac_f32_e32 v2, s6, v3
	flat_store_dword v[0:1], v2
.LBB1422_12:
	s_endpgm
	.section	.rodata,"a",@progbits
	.p2align	6, 0x0
	.amdhsa_kernel _ZL37rocblas_syrkx_herkx_restricted_kernelIlfLi16ELi32ELi8ELb0ELb0ELc67ELc85EKPKfKPfEviT_T0_PT8_S5_lS8_S5_lS6_PT9_S5_li
		.amdhsa_group_segment_fixed_size 2048
		.amdhsa_private_segment_fixed_size 0
		.amdhsa_kernarg_size 108
		.amdhsa_user_sgpr_count 6
		.amdhsa_user_sgpr_private_segment_buffer 1
		.amdhsa_user_sgpr_dispatch_ptr 0
		.amdhsa_user_sgpr_queue_ptr 0
		.amdhsa_user_sgpr_kernarg_segment_ptr 1
		.amdhsa_user_sgpr_dispatch_id 0
		.amdhsa_user_sgpr_flat_scratch_init 0
		.amdhsa_user_sgpr_private_segment_size 0
		.amdhsa_uses_dynamic_stack 0
		.amdhsa_system_sgpr_private_segment_wavefront_offset 0
		.amdhsa_system_sgpr_workgroup_id_x 1
		.amdhsa_system_sgpr_workgroup_id_y 1
		.amdhsa_system_sgpr_workgroup_id_z 1
		.amdhsa_system_sgpr_workgroup_info 0
		.amdhsa_system_vgpr_workitem_id 1
		.amdhsa_next_free_vgpr 34
		.amdhsa_next_free_sgpr 24
		.amdhsa_reserve_vcc 1
		.amdhsa_reserve_flat_scratch 0
		.amdhsa_float_round_mode_32 0
		.amdhsa_float_round_mode_16_64 0
		.amdhsa_float_denorm_mode_32 3
		.amdhsa_float_denorm_mode_16_64 3
		.amdhsa_dx10_clamp 1
		.amdhsa_ieee_mode 1
		.amdhsa_fp16_overflow 0
		.amdhsa_exception_fp_ieee_invalid_op 0
		.amdhsa_exception_fp_denorm_src 0
		.amdhsa_exception_fp_ieee_div_zero 0
		.amdhsa_exception_fp_ieee_overflow 0
		.amdhsa_exception_fp_ieee_underflow 0
		.amdhsa_exception_fp_ieee_inexact 0
		.amdhsa_exception_int_div_zero 0
	.end_amdhsa_kernel
	.section	.text._ZL37rocblas_syrkx_herkx_restricted_kernelIlfLi16ELi32ELi8ELb0ELb0ELc67ELc85EKPKfKPfEviT_T0_PT8_S5_lS8_S5_lS6_PT9_S5_li,"axG",@progbits,_ZL37rocblas_syrkx_herkx_restricted_kernelIlfLi16ELi32ELi8ELb0ELb0ELc67ELc85EKPKfKPfEviT_T0_PT8_S5_lS8_S5_lS6_PT9_S5_li,comdat
.Lfunc_end1422:
	.size	_ZL37rocblas_syrkx_herkx_restricted_kernelIlfLi16ELi32ELi8ELb0ELb0ELc67ELc85EKPKfKPfEviT_T0_PT8_S5_lS8_S5_lS6_PT9_S5_li, .Lfunc_end1422-_ZL37rocblas_syrkx_herkx_restricted_kernelIlfLi16ELi32ELi8ELb0ELb0ELc67ELc85EKPKfKPfEviT_T0_PT8_S5_lS8_S5_lS6_PT9_S5_li
                                        ; -- End function
	.set _ZL37rocblas_syrkx_herkx_restricted_kernelIlfLi16ELi32ELi8ELb0ELb0ELc67ELc85EKPKfKPfEviT_T0_PT8_S5_lS8_S5_lS6_PT9_S5_li.num_vgpr, 34
	.set _ZL37rocblas_syrkx_herkx_restricted_kernelIlfLi16ELi32ELi8ELb0ELb0ELc67ELc85EKPKfKPfEviT_T0_PT8_S5_lS8_S5_lS6_PT9_S5_li.num_agpr, 0
	.set _ZL37rocblas_syrkx_herkx_restricted_kernelIlfLi16ELi32ELi8ELb0ELb0ELc67ELc85EKPKfKPfEviT_T0_PT8_S5_lS8_S5_lS6_PT9_S5_li.numbered_sgpr, 24
	.set _ZL37rocblas_syrkx_herkx_restricted_kernelIlfLi16ELi32ELi8ELb0ELb0ELc67ELc85EKPKfKPfEviT_T0_PT8_S5_lS8_S5_lS6_PT9_S5_li.num_named_barrier, 0
	.set _ZL37rocblas_syrkx_herkx_restricted_kernelIlfLi16ELi32ELi8ELb0ELb0ELc67ELc85EKPKfKPfEviT_T0_PT8_S5_lS8_S5_lS6_PT9_S5_li.private_seg_size, 0
	.set _ZL37rocblas_syrkx_herkx_restricted_kernelIlfLi16ELi32ELi8ELb0ELb0ELc67ELc85EKPKfKPfEviT_T0_PT8_S5_lS8_S5_lS6_PT9_S5_li.uses_vcc, 1
	.set _ZL37rocblas_syrkx_herkx_restricted_kernelIlfLi16ELi32ELi8ELb0ELb0ELc67ELc85EKPKfKPfEviT_T0_PT8_S5_lS8_S5_lS6_PT9_S5_li.uses_flat_scratch, 0
	.set _ZL37rocblas_syrkx_herkx_restricted_kernelIlfLi16ELi32ELi8ELb0ELb0ELc67ELc85EKPKfKPfEviT_T0_PT8_S5_lS8_S5_lS6_PT9_S5_li.has_dyn_sized_stack, 0
	.set _ZL37rocblas_syrkx_herkx_restricted_kernelIlfLi16ELi32ELi8ELb0ELb0ELc67ELc85EKPKfKPfEviT_T0_PT8_S5_lS8_S5_lS6_PT9_S5_li.has_recursion, 0
	.set _ZL37rocblas_syrkx_herkx_restricted_kernelIlfLi16ELi32ELi8ELb0ELb0ELc67ELc85EKPKfKPfEviT_T0_PT8_S5_lS8_S5_lS6_PT9_S5_li.has_indirect_call, 0
	.section	.AMDGPU.csdata,"",@progbits
; Kernel info:
; codeLenInByte = 1220
; TotalNumSgprs: 28
; NumVgprs: 34
; ScratchSize: 0
; MemoryBound: 0
; FloatMode: 240
; IeeeMode: 1
; LDSByteSize: 2048 bytes/workgroup (compile time only)
; SGPRBlocks: 3
; VGPRBlocks: 8
; NumSGPRsForWavesPerEU: 28
; NumVGPRsForWavesPerEU: 34
; Occupancy: 7
; WaveLimiterHint : 1
; COMPUTE_PGM_RSRC2:SCRATCH_EN: 0
; COMPUTE_PGM_RSRC2:USER_SGPR: 6
; COMPUTE_PGM_RSRC2:TRAP_HANDLER: 0
; COMPUTE_PGM_RSRC2:TGID_X_EN: 1
; COMPUTE_PGM_RSRC2:TGID_Y_EN: 1
; COMPUTE_PGM_RSRC2:TGID_Z_EN: 1
; COMPUTE_PGM_RSRC2:TIDIG_COMP_CNT: 1
	.section	.text._ZL37rocblas_syrkx_herkx_restricted_kernelIlfLi16ELi32ELi8ELb0ELb0ELc78ELc85EKPKfKPfEviT_T0_PT8_S5_lS8_S5_lS6_PT9_S5_li,"axG",@progbits,_ZL37rocblas_syrkx_herkx_restricted_kernelIlfLi16ELi32ELi8ELb0ELb0ELc78ELc85EKPKfKPfEviT_T0_PT8_S5_lS8_S5_lS6_PT9_S5_li,comdat
	.globl	_ZL37rocblas_syrkx_herkx_restricted_kernelIlfLi16ELi32ELi8ELb0ELb0ELc78ELc85EKPKfKPfEviT_T0_PT8_S5_lS8_S5_lS6_PT9_S5_li ; -- Begin function _ZL37rocblas_syrkx_herkx_restricted_kernelIlfLi16ELi32ELi8ELb0ELb0ELc78ELc85EKPKfKPfEviT_T0_PT8_S5_lS8_S5_lS6_PT9_S5_li
	.p2align	8
	.type	_ZL37rocblas_syrkx_herkx_restricted_kernelIlfLi16ELi32ELi8ELb0ELb0ELc78ELc85EKPKfKPfEviT_T0_PT8_S5_lS8_S5_lS6_PT9_S5_li,@function
_ZL37rocblas_syrkx_herkx_restricted_kernelIlfLi16ELi32ELi8ELb0ELb0ELc78ELc85EKPKfKPfEviT_T0_PT8_S5_lS8_S5_lS6_PT9_S5_li: ; @_ZL37rocblas_syrkx_herkx_restricted_kernelIlfLi16ELi32ELi8ELb0ELb0ELc78ELc85EKPKfKPfEviT_T0_PT8_S5_lS8_S5_lS6_PT9_S5_li
; %bb.0:
	s_load_dwordx4 s[0:3], s[4:5], 0x50
	s_load_dwordx2 s[18:19], s[4:5], 0x8
	s_mov_b32 s9, 0
	s_lshl_b64 s[20:21], s[8:9], 3
	s_waitcnt lgkmcnt(0)
	s_add_u32 s0, s0, s20
	s_addc_u32 s1, s1, s21
	s_load_dwordx2 s[16:17], s[0:1], 0x0
	v_cmp_lt_i64_e64 s[0:1], s[18:19], 1
	s_lshl_b32 s22, s6, 5
	s_lshl_b32 s23, s7, 5
	s_and_b64 vcc, exec, s[0:1]
	s_cbranch_vccnz .LBB1423_3
; %bb.1:
	s_load_dwordx4 s[8:11], s[4:5], 0x18
	s_load_dwordx4 s[12:15], s[4:5], 0x30
	v_lshl_add_u32 v2, v1, 4, v0
	v_lshrrev_b32_e32 v4, 3, v2
	v_lshrrev_b32_e32 v6, 5, v2
	v_and_b32_e32 v7, 31, v2
	v_add_u32_e32 v2, s23, v4
	s_waitcnt lgkmcnt(0)
	s_add_u32 s0, s8, s20
	v_and_b32_e32 v5, 7, v0
	v_ashrrev_i32_e32 v3, 31, v2
	s_addc_u32 s1, s9, s21
	v_lshlrev_b32_e32 v8, 2, v7
	v_mad_u64_u32 v[2:3], s[8:9], s14, v5, v[2:3]
	v_lshl_or_b32 v10, v6, 7, v8
	v_lshlrev_b32_e32 v8, 2, v5
	v_lshl_or_b32 v4, v4, 5, v8
	v_add_u32_e32 v11, 0x400, v4
	v_mov_b32_e32 v4, 0x400
	v_lshl_add_u32 v13, v1, 5, v4
	v_mad_u64_u32 v[3:4], s[8:9], s15, v5, v[3:4]
	v_add_u32_e32 v4, s22, v7
	v_ashrrev_i32_e32 v5, 31, v4
	v_mad_u64_u32 v[4:5], s[8:9], s10, v6, v[4:5]
	s_add_u32 s6, s12, s20
	s_addc_u32 s7, s13, s21
	s_load_dwordx2 s[6:7], s[6:7], 0x0
	v_mad_u64_u32 v[5:6], s[8:9], s11, v6, v[5:6]
	s_load_dwordx2 s[0:1], s[0:1], 0x0
	v_lshlrev_b64 v[2:3], 2, v[2:3]
	s_waitcnt lgkmcnt(0)
	v_mov_b32_e32 v7, s7
	v_add_co_u32_e32 v2, vcc, s6, v2
	v_lshlrev_b64 v[4:5], 2, v[4:5]
	v_addc_co_u32_e32 v3, vcc, v7, v3, vcc
	v_mov_b32_e32 v6, s1
	v_add_co_u32_e32 v4, vcc, s0, v4
	v_lshlrev_b32_e32 v12, 2, v0
	s_lshl_b64 s[6:7], s[14:15], 5
	v_addc_co_u32_e32 v5, vcc, v6, v5, vcc
	s_lshl_b64 s[8:9], s[10:11], 5
	v_mov_b32_e32 v6, 0
	s_mov_b64 s[10:11], 0
	v_mov_b32_e32 v7, 0
	v_mov_b32_e32 v8, 0
	v_mov_b32_e32 v9, 0
.LBB1423_2:                             ; =>This Inner Loop Header: Depth=1
	flat_load_dword v14, v[4:5]
	s_add_u32 s10, s10, 8
	s_addc_u32 s11, s11, 0
	v_add_co_u32_e64 v4, s[0:1], s8, v4
	s_waitcnt vmcnt(0) lgkmcnt(0)
	ds_write_b32 v10, v14
	flat_load_dword v16, v[2:3]
	v_mov_b32_e32 v15, s11
	v_mov_b32_e32 v14, s10
	v_cmp_le_u64_e32 vcc, s[18:19], v[14:15]
	s_and_b64 vcc, exec, vcc
	s_waitcnt vmcnt(0) lgkmcnt(0)
	ds_write_b32 v11, v16
	s_waitcnt lgkmcnt(0)
	s_barrier
	ds_read2_b32 v[26:27], v12 offset1:16
	ds_read_b128 v[14:17], v13
	ds_read2_b32 v[28:29], v12 offset0:32 offset1:48
	ds_read2_b32 v[30:31], v12 offset0:64 offset1:80
	;; [unrolled: 1-line block ×3, first 2 shown]
	ds_read_b128 v[18:21], v13 offset:16
	s_waitcnt lgkmcnt(4)
	v_fmac_f32_e32 v9, v26, v14
	v_fmac_f32_e32 v8, v27, v14
	s_waitcnt lgkmcnt(3)
	v_fmac_f32_e32 v9, v28, v15
	v_fmac_f32_e32 v8, v29, v15
	;; [unrolled: 3-line block ×4, first 2 shown]
	ds_read_b128 v[14:17], v13 offset:512
	ds_read_b128 v[22:25], v13 offset:528
	s_waitcnt lgkmcnt(1)
	v_fmac_f32_e32 v7, v26, v14
	v_fmac_f32_e32 v6, v27, v14
	v_mov_b32_e32 v14, s9
	v_addc_co_u32_e64 v5, s[0:1], v5, v14, s[0:1]
	v_mov_b32_e32 v14, s7
	v_add_co_u32_e64 v2, s[0:1], s6, v2
	v_fmac_f32_e32 v7, v28, v15
	v_fmac_f32_e32 v6, v29, v15
	v_addc_co_u32_e64 v3, s[0:1], v3, v14, s[0:1]
	ds_read2_b32 v[14:15], v12 offset0:128 offset1:144
	v_fmac_f32_e32 v7, v30, v16
	v_fmac_f32_e32 v6, v31, v16
	;; [unrolled: 1-line block ×4, first 2 shown]
	ds_read2_b32 v[16:17], v12 offset0:160 offset1:176
	ds_read2_b32 v[26:27], v12 offset0:192 offset1:208
	;; [unrolled: 1-line block ×3, first 2 shown]
	s_waitcnt lgkmcnt(3)
	v_fmac_f32_e32 v9, v14, v18
	v_fmac_f32_e32 v8, v15, v18
	v_fmac_f32_e32 v7, v14, v22
	v_fmac_f32_e32 v6, v15, v22
	s_waitcnt lgkmcnt(2)
	v_fmac_f32_e32 v9, v16, v19
	v_fmac_f32_e32 v8, v17, v19
	v_fmac_f32_e32 v7, v16, v23
	v_fmac_f32_e32 v6, v17, v23
	;; [unrolled: 5-line block ×4, first 2 shown]
	s_barrier
	s_cbranch_vccz .LBB1423_2
	s_branch .LBB1423_4
.LBB1423_3:
	v_mov_b32_e32 v9, 0
	v_mov_b32_e32 v8, 0
	;; [unrolled: 1-line block ×4, first 2 shown]
.LBB1423_4:
	v_add_u32_e32 v4, s23, v1
	v_ashrrev_i32_e32 v1, 31, v4
	v_mul_lo_u32 v3, s2, v1
	v_mul_lo_u32 v5, s3, v4
	v_mad_u64_u32 v[1:2], s[0:1], s2, v4, 0
	s_load_dword s8, s[4:5], 0x0
	s_load_dword s6, s[4:5], 0x10
	;; [unrolled: 1-line block ×3, first 2 shown]
	v_add3_u32 v2, v2, v3, v5
	v_lshlrev_b64 v[1:2], 2, v[1:2]
	s_waitcnt lgkmcnt(0)
	v_mov_b32_e32 v3, s17
	v_add_co_u32_e64 v5, s[0:1], s16, v1
	v_add_u32_e32 v0, s22, v0
	v_addc_co_u32_e64 v10, s[0:1], v3, v2, s[0:1]
	v_cmp_gt_i32_e32 vcc, s8, v4
	v_cmp_le_i32_e64 s[0:1], v0, v4
	s_and_b64 s[0:1], vcc, s[0:1]
	s_and_saveexec_b64 s[4:5], s[0:1]
	s_cbranch_execz .LBB1423_6
; %bb.5:
	v_ashrrev_i32_e32 v1, 31, v0
	v_lshlrev_b64 v[1:2], 2, v[0:1]
	v_add_co_u32_e64 v1, s[0:1], v5, v1
	v_addc_co_u32_e64 v2, s[0:1], v10, v2, s[0:1]
	flat_load_dword v3, v[1:2]
	s_waitcnt vmcnt(0) lgkmcnt(0)
	v_mul_f32_e32 v3, s7, v3
	v_fmac_f32_e32 v3, s6, v9
	flat_store_dword v[1:2], v3
.LBB1423_6:
	s_or_b64 exec, exec, s[4:5]
	v_add_u32_e32 v2, 16, v0
	v_cmp_le_i32_e64 s[0:1], v2, v4
	s_and_b64 s[4:5], vcc, s[0:1]
	s_and_saveexec_b64 s[0:1], s[4:5]
	s_cbranch_execz .LBB1423_8
; %bb.7:
	v_ashrrev_i32_e32 v3, 31, v2
	v_lshlrev_b64 v[11:12], 2, v[2:3]
	v_add_co_u32_e32 v9, vcc, v5, v11
	v_addc_co_u32_e32 v10, vcc, v10, v12, vcc
	flat_load_dword v1, v[9:10]
	s_waitcnt vmcnt(0) lgkmcnt(0)
	v_mul_f32_e32 v1, s7, v1
	v_fmac_f32_e32 v1, s6, v8
	flat_store_dword v[9:10], v1
.LBB1423_8:
	s_or_b64 exec, exec, s[0:1]
	v_add_u32_e32 v3, 16, v4
	v_ashrrev_i32_e32 v1, 31, v3
	v_mul_lo_u32 v1, s2, v1
	v_mul_lo_u32 v8, s3, v3
	v_mad_u64_u32 v[4:5], s[0:1], s2, v3, 0
	v_cmp_gt_i32_e32 vcc, s8, v3
	v_add3_u32 v5, v5, v1, v8
	v_lshlrev_b64 v[4:5], 2, v[4:5]
	v_mov_b32_e32 v1, s17
	v_add_co_u32_e64 v4, s[0:1], s16, v4
	v_addc_co_u32_e64 v5, s[0:1], v1, v5, s[0:1]
	v_cmp_le_i32_e64 s[0:1], v0, v3
	s_and_b64 s[0:1], vcc, s[0:1]
	s_and_saveexec_b64 s[2:3], s[0:1]
	s_cbranch_execz .LBB1423_10
; %bb.9:
	v_ashrrev_i32_e32 v1, 31, v0
	v_lshlrev_b64 v[0:1], 2, v[0:1]
	v_add_co_u32_e64 v0, s[0:1], v4, v0
	v_addc_co_u32_e64 v1, s[0:1], v5, v1, s[0:1]
	flat_load_dword v8, v[0:1]
	s_waitcnt vmcnt(0) lgkmcnt(0)
	v_mul_f32_e32 v8, s7, v8
	v_fmac_f32_e32 v8, s6, v7
	flat_store_dword v[0:1], v8
.LBB1423_10:
	s_or_b64 exec, exec, s[2:3]
	v_cmp_le_i32_e64 s[0:1], v2, v3
	s_and_b64 s[0:1], vcc, s[0:1]
	s_and_saveexec_b64 s[2:3], s[0:1]
	s_cbranch_execz .LBB1423_12
; %bb.11:
	v_ashrrev_i32_e32 v3, 31, v2
	v_lshlrev_b64 v[0:1], 2, v[2:3]
	v_add_co_u32_e32 v0, vcc, v4, v0
	v_addc_co_u32_e32 v1, vcc, v5, v1, vcc
	flat_load_dword v2, v[0:1]
	s_waitcnt vmcnt(0) lgkmcnt(0)
	v_mul_f32_e32 v2, s7, v2
	v_fmac_f32_e32 v2, s6, v6
	flat_store_dword v[0:1], v2
.LBB1423_12:
	s_endpgm
	.section	.rodata,"a",@progbits
	.p2align	6, 0x0
	.amdhsa_kernel _ZL37rocblas_syrkx_herkx_restricted_kernelIlfLi16ELi32ELi8ELb0ELb0ELc78ELc85EKPKfKPfEviT_T0_PT8_S5_lS8_S5_lS6_PT9_S5_li
		.amdhsa_group_segment_fixed_size 2048
		.amdhsa_private_segment_fixed_size 0
		.amdhsa_kernarg_size 108
		.amdhsa_user_sgpr_count 6
		.amdhsa_user_sgpr_private_segment_buffer 1
		.amdhsa_user_sgpr_dispatch_ptr 0
		.amdhsa_user_sgpr_queue_ptr 0
		.amdhsa_user_sgpr_kernarg_segment_ptr 1
		.amdhsa_user_sgpr_dispatch_id 0
		.amdhsa_user_sgpr_flat_scratch_init 0
		.amdhsa_user_sgpr_private_segment_size 0
		.amdhsa_uses_dynamic_stack 0
		.amdhsa_system_sgpr_private_segment_wavefront_offset 0
		.amdhsa_system_sgpr_workgroup_id_x 1
		.amdhsa_system_sgpr_workgroup_id_y 1
		.amdhsa_system_sgpr_workgroup_id_z 1
		.amdhsa_system_sgpr_workgroup_info 0
		.amdhsa_system_vgpr_workitem_id 1
		.amdhsa_next_free_vgpr 34
		.amdhsa_next_free_sgpr 24
		.amdhsa_reserve_vcc 1
		.amdhsa_reserve_flat_scratch 0
		.amdhsa_float_round_mode_32 0
		.amdhsa_float_round_mode_16_64 0
		.amdhsa_float_denorm_mode_32 3
		.amdhsa_float_denorm_mode_16_64 3
		.amdhsa_dx10_clamp 1
		.amdhsa_ieee_mode 1
		.amdhsa_fp16_overflow 0
		.amdhsa_exception_fp_ieee_invalid_op 0
		.amdhsa_exception_fp_denorm_src 0
		.amdhsa_exception_fp_ieee_div_zero 0
		.amdhsa_exception_fp_ieee_overflow 0
		.amdhsa_exception_fp_ieee_underflow 0
		.amdhsa_exception_fp_ieee_inexact 0
		.amdhsa_exception_int_div_zero 0
	.end_amdhsa_kernel
	.section	.text._ZL37rocblas_syrkx_herkx_restricted_kernelIlfLi16ELi32ELi8ELb0ELb0ELc78ELc85EKPKfKPfEviT_T0_PT8_S5_lS8_S5_lS6_PT9_S5_li,"axG",@progbits,_ZL37rocblas_syrkx_herkx_restricted_kernelIlfLi16ELi32ELi8ELb0ELb0ELc78ELc85EKPKfKPfEviT_T0_PT8_S5_lS8_S5_lS6_PT9_S5_li,comdat
.Lfunc_end1423:
	.size	_ZL37rocblas_syrkx_herkx_restricted_kernelIlfLi16ELi32ELi8ELb0ELb0ELc78ELc85EKPKfKPfEviT_T0_PT8_S5_lS8_S5_lS6_PT9_S5_li, .Lfunc_end1423-_ZL37rocblas_syrkx_herkx_restricted_kernelIlfLi16ELi32ELi8ELb0ELb0ELc78ELc85EKPKfKPfEviT_T0_PT8_S5_lS8_S5_lS6_PT9_S5_li
                                        ; -- End function
	.set _ZL37rocblas_syrkx_herkx_restricted_kernelIlfLi16ELi32ELi8ELb0ELb0ELc78ELc85EKPKfKPfEviT_T0_PT8_S5_lS8_S5_lS6_PT9_S5_li.num_vgpr, 34
	.set _ZL37rocblas_syrkx_herkx_restricted_kernelIlfLi16ELi32ELi8ELb0ELb0ELc78ELc85EKPKfKPfEviT_T0_PT8_S5_lS8_S5_lS6_PT9_S5_li.num_agpr, 0
	.set _ZL37rocblas_syrkx_herkx_restricted_kernelIlfLi16ELi32ELi8ELb0ELb0ELc78ELc85EKPKfKPfEviT_T0_PT8_S5_lS8_S5_lS6_PT9_S5_li.numbered_sgpr, 24
	.set _ZL37rocblas_syrkx_herkx_restricted_kernelIlfLi16ELi32ELi8ELb0ELb0ELc78ELc85EKPKfKPfEviT_T0_PT8_S5_lS8_S5_lS6_PT9_S5_li.num_named_barrier, 0
	.set _ZL37rocblas_syrkx_herkx_restricted_kernelIlfLi16ELi32ELi8ELb0ELb0ELc78ELc85EKPKfKPfEviT_T0_PT8_S5_lS8_S5_lS6_PT9_S5_li.private_seg_size, 0
	.set _ZL37rocblas_syrkx_herkx_restricted_kernelIlfLi16ELi32ELi8ELb0ELb0ELc78ELc85EKPKfKPfEviT_T0_PT8_S5_lS8_S5_lS6_PT9_S5_li.uses_vcc, 1
	.set _ZL37rocblas_syrkx_herkx_restricted_kernelIlfLi16ELi32ELi8ELb0ELb0ELc78ELc85EKPKfKPfEviT_T0_PT8_S5_lS8_S5_lS6_PT9_S5_li.uses_flat_scratch, 0
	.set _ZL37rocblas_syrkx_herkx_restricted_kernelIlfLi16ELi32ELi8ELb0ELb0ELc78ELc85EKPKfKPfEviT_T0_PT8_S5_lS8_S5_lS6_PT9_S5_li.has_dyn_sized_stack, 0
	.set _ZL37rocblas_syrkx_herkx_restricted_kernelIlfLi16ELi32ELi8ELb0ELb0ELc78ELc85EKPKfKPfEviT_T0_PT8_S5_lS8_S5_lS6_PT9_S5_li.has_recursion, 0
	.set _ZL37rocblas_syrkx_herkx_restricted_kernelIlfLi16ELi32ELi8ELb0ELb0ELc78ELc85EKPKfKPfEviT_T0_PT8_S5_lS8_S5_lS6_PT9_S5_li.has_indirect_call, 0
	.section	.AMDGPU.csdata,"",@progbits
; Kernel info:
; codeLenInByte = 1200
; TotalNumSgprs: 28
; NumVgprs: 34
; ScratchSize: 0
; MemoryBound: 0
; FloatMode: 240
; IeeeMode: 1
; LDSByteSize: 2048 bytes/workgroup (compile time only)
; SGPRBlocks: 3
; VGPRBlocks: 8
; NumSGPRsForWavesPerEU: 28
; NumVGPRsForWavesPerEU: 34
; Occupancy: 7
; WaveLimiterHint : 1
; COMPUTE_PGM_RSRC2:SCRATCH_EN: 0
; COMPUTE_PGM_RSRC2:USER_SGPR: 6
; COMPUTE_PGM_RSRC2:TRAP_HANDLER: 0
; COMPUTE_PGM_RSRC2:TGID_X_EN: 1
; COMPUTE_PGM_RSRC2:TGID_Y_EN: 1
; COMPUTE_PGM_RSRC2:TGID_Z_EN: 1
; COMPUTE_PGM_RSRC2:TIDIG_COMP_CNT: 1
	.section	.text._ZL41rocblas_syrkx_herkx_small_restrict_kernelIlfLi16ELb1ELb0ELc84ELc76EKPKfKPfEviT_T0_PT6_S5_lS8_S5_lS6_PT7_S5_li,"axG",@progbits,_ZL41rocblas_syrkx_herkx_small_restrict_kernelIlfLi16ELb1ELb0ELc84ELc76EKPKfKPfEviT_T0_PT6_S5_lS8_S5_lS6_PT7_S5_li,comdat
	.globl	_ZL41rocblas_syrkx_herkx_small_restrict_kernelIlfLi16ELb1ELb0ELc84ELc76EKPKfKPfEviT_T0_PT6_S5_lS8_S5_lS6_PT7_S5_li ; -- Begin function _ZL41rocblas_syrkx_herkx_small_restrict_kernelIlfLi16ELb1ELb0ELc84ELc76EKPKfKPfEviT_T0_PT6_S5_lS8_S5_lS6_PT7_S5_li
	.p2align	8
	.type	_ZL41rocblas_syrkx_herkx_small_restrict_kernelIlfLi16ELb1ELb0ELc84ELc76EKPKfKPfEviT_T0_PT6_S5_lS8_S5_lS6_PT7_S5_li,@function
_ZL41rocblas_syrkx_herkx_small_restrict_kernelIlfLi16ELb1ELb0ELc84ELc76EKPKfKPfEviT_T0_PT6_S5_lS8_S5_lS6_PT7_S5_li: ; @_ZL41rocblas_syrkx_herkx_small_restrict_kernelIlfLi16ELb1ELb0ELc84ELc76EKPKfKPfEviT_T0_PT6_S5_lS8_S5_lS6_PT7_S5_li
; %bb.0:
	s_load_dwordx4 s[0:3], s[4:5], 0x50
	s_load_dwordx2 s[10:11], s[4:5], 0x8
	s_mov_b32 s9, 0
	s_lshl_b64 s[12:13], s[8:9], 3
	v_lshl_add_u32 v2, s6, 4, v0
	s_waitcnt lgkmcnt(0)
	s_add_u32 s0, s0, s12
	s_addc_u32 s1, s1, s13
	s_load_dwordx2 s[8:9], s[0:1], 0x0
	v_cmp_lt_i64_e64 s[0:1], s[10:11], 1
	v_lshl_add_u32 v8, s7, 4, v1
	s_and_b64 vcc, exec, s[0:1]
	v_ashrrev_i32_e32 v3, 31, v2
	v_ashrrev_i32_e32 v9, 31, v8
	s_cbranch_vccnz .LBB1424_6
; %bb.1:
	s_load_dwordx4 s[16:19], s[4:5], 0x30
	s_load_dwordx4 s[20:23], s[4:5], 0x18
	v_lshlrev_b32_e32 v11, 2, v0
	v_lshlrev_b32_e32 v15, 6, v1
	v_mov_b32_e32 v10, 0
	s_waitcnt lgkmcnt(0)
	s_add_u32 s0, s16, s12
	s_addc_u32 s1, s17, s13
	s_add_u32 s6, s20, s12
	v_mul_lo_u32 v6, s23, v2
	v_mul_lo_u32 v7, s22, v3
	v_mad_u64_u32 v[4:5], s[14:15], s22, v2, 0
	s_addc_u32 s7, s21, s13
	s_load_dwordx2 s[12:13], s[6:7], 0x0
	s_load_dwordx2 s[14:15], s[0:1], 0x0
	v_add3_u32 v5, v5, v7, v6
	v_lshlrev_b32_e32 v6, 2, v1
	v_lshlrev_b64 v[4:5], 2, v[4:5]
	s_waitcnt lgkmcnt(0)
	v_mov_b32_e32 v7, s13
	v_add_co_u32_e32 v6, vcc, s12, v6
	v_addc_co_u32_e32 v7, vcc, 0, v7, vcc
	v_add_co_u32_e32 v4, vcc, v6, v4
	v_addc_co_u32_e32 v5, vcc, v7, v5, vcc
	v_mul_lo_u32 v13, s19, v8
	v_mul_lo_u32 v14, s18, v9
	v_mad_u64_u32 v[6:7], s[0:1], s18, v8, 0
	v_mov_b32_e32 v0, s15
	v_add_u32_e32 v12, v11, v15
	v_add3_u32 v7, v7, v14, v13
	v_add_co_u32_e32 v13, vcc, s14, v11
	v_addc_co_u32_e32 v14, vcc, 0, v0, vcc
	v_lshlrev_b64 v[0:1], 2, v[6:7]
	v_mov_b32_e32 v6, s10
	v_add_co_u32_e32 v0, vcc, v13, v0
	v_add_u32_e32 v13, 0x400, v15
	v_addc_co_u32_e32 v1, vcc, v14, v1, vcc
	v_add_u32_e32 v14, v13, v11
	s_mov_b64 s[6:7], 0
	v_mov_b32_e32 v7, s11
.LBB1424_2:                             ; =>This Inner Loop Header: Depth=1
	flat_load_dword v15, v[4:5]
	s_add_u32 s6, s6, 16
	v_add_co_u32_e32 v4, vcc, 64, v4
	v_addc_co_u32_e32 v5, vcc, 0, v5, vcc
	s_addc_u32 s7, s7, 0
	v_cmp_lt_i64_e32 vcc, s[6:7], v[6:7]
	s_and_b64 vcc, exec, vcc
	s_waitcnt vmcnt(0) lgkmcnt(0)
	ds_write_b32 v12, v15
	flat_load_dword v15, v[0:1]
	v_add_co_u32_e64 v0, s[0:1], 64, v0
	v_addc_co_u32_e64 v1, s[0:1], 0, v1, s[0:1]
	s_waitcnt vmcnt(0) lgkmcnt(0)
	ds_write_b32 v14, v15
	s_waitcnt lgkmcnt(0)
	s_barrier
	ds_read2_b32 v[19:20], v11 offset1:16
	ds_read_b128 v[15:18], v13
	s_waitcnt lgkmcnt(0)
	v_fmac_f32_e32 v10, v19, v15
	v_fmac_f32_e32 v10, v20, v16
	ds_read2_b32 v[15:16], v11 offset0:32 offset1:48
	s_waitcnt lgkmcnt(0)
	v_fmac_f32_e32 v10, v15, v17
	v_fmac_f32_e32 v10, v16, v18
	ds_read2_b32 v[19:20], v11 offset0:64 offset1:80
	ds_read_b128 v[15:18], v13 offset:16
	s_waitcnt lgkmcnt(0)
	v_fmac_f32_e32 v10, v19, v15
	v_fmac_f32_e32 v10, v20, v16
	ds_read2_b32 v[15:16], v11 offset0:96 offset1:112
	s_waitcnt lgkmcnt(0)
	v_fmac_f32_e32 v10, v15, v17
	v_fmac_f32_e32 v10, v16, v18
	ds_read2_b32 v[19:20], v11 offset0:128 offset1:144
	ds_read_b128 v[15:18], v13 offset:32
	;; [unrolled: 9-line block ×3, first 2 shown]
	s_waitcnt lgkmcnt(0)
	v_fmac_f32_e32 v10, v19, v15
	v_fmac_f32_e32 v10, v20, v16
	ds_read2_b32 v[15:16], v11 offset0:224 offset1:240
	s_waitcnt lgkmcnt(0)
	s_barrier
	v_fmac_f32_e32 v10, v15, v17
	v_fmac_f32_e32 v10, v16, v18
	s_cbranch_vccnz .LBB1424_2
; %bb.3:
	v_cmp_le_i32_e32 vcc, v8, v2
	s_and_saveexec_b64 s[0:1], vcc
	s_cbranch_execz .LBB1424_5
.LBB1424_4:
	v_mul_lo_u32 v4, s3, v8
	v_mul_lo_u32 v5, s2, v9
	v_mad_u64_u32 v[0:1], s[0:1], s2, v8, 0
	s_load_dword s4, s[4:5], 0x10
	v_add3_u32 v1, v1, v5, v4
	v_lshlrev_b64 v[0:1], 2, v[0:1]
	s_waitcnt lgkmcnt(0)
	v_mov_b32_e32 v4, s9
	v_add_co_u32_e32 v5, vcc, s8, v0
	v_addc_co_u32_e32 v4, vcc, v4, v1, vcc
	v_lshlrev_b64 v[0:1], 2, v[2:3]
	v_mul_f32_e32 v6, s4, v10
	v_add_co_u32_e32 v0, vcc, v5, v0
	v_addc_co_u32_e32 v1, vcc, v4, v1, vcc
	flat_store_dword v[0:1], v6
.LBB1424_5:
	s_endpgm
.LBB1424_6:
	v_mov_b32_e32 v10, 0
	v_cmp_le_i32_e32 vcc, v8, v2
	s_and_saveexec_b64 s[0:1], vcc
	s_cbranch_execnz .LBB1424_4
	s_branch .LBB1424_5
	.section	.rodata,"a",@progbits
	.p2align	6, 0x0
	.amdhsa_kernel _ZL41rocblas_syrkx_herkx_small_restrict_kernelIlfLi16ELb1ELb0ELc84ELc76EKPKfKPfEviT_T0_PT6_S5_lS8_S5_lS6_PT7_S5_li
		.amdhsa_group_segment_fixed_size 2048
		.amdhsa_private_segment_fixed_size 0
		.amdhsa_kernarg_size 108
		.amdhsa_user_sgpr_count 6
		.amdhsa_user_sgpr_private_segment_buffer 1
		.amdhsa_user_sgpr_dispatch_ptr 0
		.amdhsa_user_sgpr_queue_ptr 0
		.amdhsa_user_sgpr_kernarg_segment_ptr 1
		.amdhsa_user_sgpr_dispatch_id 0
		.amdhsa_user_sgpr_flat_scratch_init 0
		.amdhsa_user_sgpr_private_segment_size 0
		.amdhsa_uses_dynamic_stack 0
		.amdhsa_system_sgpr_private_segment_wavefront_offset 0
		.amdhsa_system_sgpr_workgroup_id_x 1
		.amdhsa_system_sgpr_workgroup_id_y 1
		.amdhsa_system_sgpr_workgroup_id_z 1
		.amdhsa_system_sgpr_workgroup_info 0
		.amdhsa_system_vgpr_workitem_id 1
		.amdhsa_next_free_vgpr 21
		.amdhsa_next_free_sgpr 24
		.amdhsa_reserve_vcc 1
		.amdhsa_reserve_flat_scratch 0
		.amdhsa_float_round_mode_32 0
		.amdhsa_float_round_mode_16_64 0
		.amdhsa_float_denorm_mode_32 3
		.amdhsa_float_denorm_mode_16_64 3
		.amdhsa_dx10_clamp 1
		.amdhsa_ieee_mode 1
		.amdhsa_fp16_overflow 0
		.amdhsa_exception_fp_ieee_invalid_op 0
		.amdhsa_exception_fp_denorm_src 0
		.amdhsa_exception_fp_ieee_div_zero 0
		.amdhsa_exception_fp_ieee_overflow 0
		.amdhsa_exception_fp_ieee_underflow 0
		.amdhsa_exception_fp_ieee_inexact 0
		.amdhsa_exception_int_div_zero 0
	.end_amdhsa_kernel
	.section	.text._ZL41rocblas_syrkx_herkx_small_restrict_kernelIlfLi16ELb1ELb0ELc84ELc76EKPKfKPfEviT_T0_PT6_S5_lS8_S5_lS6_PT7_S5_li,"axG",@progbits,_ZL41rocblas_syrkx_herkx_small_restrict_kernelIlfLi16ELb1ELb0ELc84ELc76EKPKfKPfEviT_T0_PT6_S5_lS8_S5_lS6_PT7_S5_li,comdat
.Lfunc_end1424:
	.size	_ZL41rocblas_syrkx_herkx_small_restrict_kernelIlfLi16ELb1ELb0ELc84ELc76EKPKfKPfEviT_T0_PT6_S5_lS8_S5_lS6_PT7_S5_li, .Lfunc_end1424-_ZL41rocblas_syrkx_herkx_small_restrict_kernelIlfLi16ELb1ELb0ELc84ELc76EKPKfKPfEviT_T0_PT6_S5_lS8_S5_lS6_PT7_S5_li
                                        ; -- End function
	.set _ZL41rocblas_syrkx_herkx_small_restrict_kernelIlfLi16ELb1ELb0ELc84ELc76EKPKfKPfEviT_T0_PT6_S5_lS8_S5_lS6_PT7_S5_li.num_vgpr, 21
	.set _ZL41rocblas_syrkx_herkx_small_restrict_kernelIlfLi16ELb1ELb0ELc84ELc76EKPKfKPfEviT_T0_PT6_S5_lS8_S5_lS6_PT7_S5_li.num_agpr, 0
	.set _ZL41rocblas_syrkx_herkx_small_restrict_kernelIlfLi16ELb1ELb0ELc84ELc76EKPKfKPfEviT_T0_PT6_S5_lS8_S5_lS6_PT7_S5_li.numbered_sgpr, 24
	.set _ZL41rocblas_syrkx_herkx_small_restrict_kernelIlfLi16ELb1ELb0ELc84ELc76EKPKfKPfEviT_T0_PT6_S5_lS8_S5_lS6_PT7_S5_li.num_named_barrier, 0
	.set _ZL41rocblas_syrkx_herkx_small_restrict_kernelIlfLi16ELb1ELb0ELc84ELc76EKPKfKPfEviT_T0_PT6_S5_lS8_S5_lS6_PT7_S5_li.private_seg_size, 0
	.set _ZL41rocblas_syrkx_herkx_small_restrict_kernelIlfLi16ELb1ELb0ELc84ELc76EKPKfKPfEviT_T0_PT6_S5_lS8_S5_lS6_PT7_S5_li.uses_vcc, 1
	.set _ZL41rocblas_syrkx_herkx_small_restrict_kernelIlfLi16ELb1ELb0ELc84ELc76EKPKfKPfEviT_T0_PT6_S5_lS8_S5_lS6_PT7_S5_li.uses_flat_scratch, 0
	.set _ZL41rocblas_syrkx_herkx_small_restrict_kernelIlfLi16ELb1ELb0ELc84ELc76EKPKfKPfEviT_T0_PT6_S5_lS8_S5_lS6_PT7_S5_li.has_dyn_sized_stack, 0
	.set _ZL41rocblas_syrkx_herkx_small_restrict_kernelIlfLi16ELb1ELb0ELc84ELc76EKPKfKPfEviT_T0_PT6_S5_lS8_S5_lS6_PT7_S5_li.has_recursion, 0
	.set _ZL41rocblas_syrkx_herkx_small_restrict_kernelIlfLi16ELb1ELb0ELc84ELc76EKPKfKPfEviT_T0_PT6_S5_lS8_S5_lS6_PT7_S5_li.has_indirect_call, 0
	.section	.AMDGPU.csdata,"",@progbits
; Kernel info:
; codeLenInByte = 720
; TotalNumSgprs: 28
; NumVgprs: 21
; ScratchSize: 0
; MemoryBound: 0
; FloatMode: 240
; IeeeMode: 1
; LDSByteSize: 2048 bytes/workgroup (compile time only)
; SGPRBlocks: 3
; VGPRBlocks: 5
; NumSGPRsForWavesPerEU: 28
; NumVGPRsForWavesPerEU: 21
; Occupancy: 10
; WaveLimiterHint : 1
; COMPUTE_PGM_RSRC2:SCRATCH_EN: 0
; COMPUTE_PGM_RSRC2:USER_SGPR: 6
; COMPUTE_PGM_RSRC2:TRAP_HANDLER: 0
; COMPUTE_PGM_RSRC2:TGID_X_EN: 1
; COMPUTE_PGM_RSRC2:TGID_Y_EN: 1
; COMPUTE_PGM_RSRC2:TGID_Z_EN: 1
; COMPUTE_PGM_RSRC2:TIDIG_COMP_CNT: 1
	.section	.text._ZL41rocblas_syrkx_herkx_small_restrict_kernelIlfLi16ELb1ELb0ELc67ELc76EKPKfKPfEviT_T0_PT6_S5_lS8_S5_lS6_PT7_S5_li,"axG",@progbits,_ZL41rocblas_syrkx_herkx_small_restrict_kernelIlfLi16ELb1ELb0ELc67ELc76EKPKfKPfEviT_T0_PT6_S5_lS8_S5_lS6_PT7_S5_li,comdat
	.globl	_ZL41rocblas_syrkx_herkx_small_restrict_kernelIlfLi16ELb1ELb0ELc67ELc76EKPKfKPfEviT_T0_PT6_S5_lS8_S5_lS6_PT7_S5_li ; -- Begin function _ZL41rocblas_syrkx_herkx_small_restrict_kernelIlfLi16ELb1ELb0ELc67ELc76EKPKfKPfEviT_T0_PT6_S5_lS8_S5_lS6_PT7_S5_li
	.p2align	8
	.type	_ZL41rocblas_syrkx_herkx_small_restrict_kernelIlfLi16ELb1ELb0ELc67ELc76EKPKfKPfEviT_T0_PT6_S5_lS8_S5_lS6_PT7_S5_li,@function
_ZL41rocblas_syrkx_herkx_small_restrict_kernelIlfLi16ELb1ELb0ELc67ELc76EKPKfKPfEviT_T0_PT6_S5_lS8_S5_lS6_PT7_S5_li: ; @_ZL41rocblas_syrkx_herkx_small_restrict_kernelIlfLi16ELb1ELb0ELc67ELc76EKPKfKPfEviT_T0_PT6_S5_lS8_S5_lS6_PT7_S5_li
; %bb.0:
	s_load_dwordx4 s[0:3], s[4:5], 0x50
	s_load_dwordx2 s[10:11], s[4:5], 0x8
	s_mov_b32 s9, 0
	s_lshl_b64 s[12:13], s[8:9], 3
	v_lshl_add_u32 v2, s6, 4, v0
	s_waitcnt lgkmcnt(0)
	s_add_u32 s0, s0, s12
	s_addc_u32 s1, s1, s13
	s_load_dwordx2 s[8:9], s[0:1], 0x0
	v_cmp_lt_i64_e64 s[0:1], s[10:11], 1
	v_lshl_add_u32 v8, s7, 4, v1
	s_and_b64 vcc, exec, s[0:1]
	v_ashrrev_i32_e32 v3, 31, v2
	v_ashrrev_i32_e32 v9, 31, v8
	s_cbranch_vccnz .LBB1425_6
; %bb.1:
	s_load_dwordx4 s[16:19], s[4:5], 0x30
	s_load_dwordx4 s[20:23], s[4:5], 0x18
	v_lshlrev_b32_e32 v11, 2, v0
	v_lshlrev_b32_e32 v15, 6, v1
	v_mov_b32_e32 v10, 0
	s_waitcnt lgkmcnt(0)
	s_add_u32 s0, s16, s12
	s_addc_u32 s1, s17, s13
	s_add_u32 s6, s20, s12
	v_mul_lo_u32 v6, s23, v2
	v_mul_lo_u32 v7, s22, v3
	v_mad_u64_u32 v[4:5], s[14:15], s22, v2, 0
	s_addc_u32 s7, s21, s13
	s_load_dwordx2 s[12:13], s[6:7], 0x0
	s_load_dwordx2 s[14:15], s[0:1], 0x0
	v_add3_u32 v5, v5, v7, v6
	v_lshlrev_b32_e32 v6, 2, v1
	v_lshlrev_b64 v[4:5], 2, v[4:5]
	s_waitcnt lgkmcnt(0)
	v_mov_b32_e32 v7, s13
	v_add_co_u32_e32 v6, vcc, s12, v6
	v_addc_co_u32_e32 v7, vcc, 0, v7, vcc
	v_add_co_u32_e32 v4, vcc, v6, v4
	v_addc_co_u32_e32 v5, vcc, v7, v5, vcc
	v_mul_lo_u32 v13, s19, v8
	v_mul_lo_u32 v14, s18, v9
	v_mad_u64_u32 v[6:7], s[0:1], s18, v8, 0
	v_mov_b32_e32 v0, s15
	v_add_u32_e32 v12, v11, v15
	v_add3_u32 v7, v7, v14, v13
	v_add_co_u32_e32 v13, vcc, s14, v11
	v_addc_co_u32_e32 v14, vcc, 0, v0, vcc
	v_lshlrev_b64 v[0:1], 2, v[6:7]
	v_mov_b32_e32 v6, s10
	v_add_co_u32_e32 v0, vcc, v13, v0
	v_add_u32_e32 v13, 0x400, v15
	v_addc_co_u32_e32 v1, vcc, v14, v1, vcc
	v_add_u32_e32 v14, v13, v11
	s_mov_b64 s[6:7], 0
	v_mov_b32_e32 v7, s11
.LBB1425_2:                             ; =>This Inner Loop Header: Depth=1
	flat_load_dword v15, v[4:5]
	s_add_u32 s6, s6, 16
	v_add_co_u32_e32 v4, vcc, 64, v4
	v_addc_co_u32_e32 v5, vcc, 0, v5, vcc
	s_addc_u32 s7, s7, 0
	v_cmp_lt_i64_e32 vcc, s[6:7], v[6:7]
	s_and_b64 vcc, exec, vcc
	s_waitcnt vmcnt(0) lgkmcnt(0)
	ds_write_b32 v12, v15
	flat_load_dword v15, v[0:1]
	v_add_co_u32_e64 v0, s[0:1], 64, v0
	v_addc_co_u32_e64 v1, s[0:1], 0, v1, s[0:1]
	s_waitcnt vmcnt(0) lgkmcnt(0)
	ds_write_b32 v14, v15
	s_waitcnt lgkmcnt(0)
	s_barrier
	ds_read2_b32 v[19:20], v11 offset1:16
	ds_read_b128 v[15:18], v13
	s_waitcnt lgkmcnt(0)
	v_fmac_f32_e32 v10, v19, v15
	v_fmac_f32_e32 v10, v20, v16
	ds_read2_b32 v[15:16], v11 offset0:32 offset1:48
	s_waitcnt lgkmcnt(0)
	v_fmac_f32_e32 v10, v15, v17
	v_fmac_f32_e32 v10, v16, v18
	ds_read2_b32 v[19:20], v11 offset0:64 offset1:80
	ds_read_b128 v[15:18], v13 offset:16
	s_waitcnt lgkmcnt(0)
	v_fmac_f32_e32 v10, v19, v15
	v_fmac_f32_e32 v10, v20, v16
	ds_read2_b32 v[15:16], v11 offset0:96 offset1:112
	s_waitcnt lgkmcnt(0)
	v_fmac_f32_e32 v10, v15, v17
	v_fmac_f32_e32 v10, v16, v18
	ds_read2_b32 v[19:20], v11 offset0:128 offset1:144
	ds_read_b128 v[15:18], v13 offset:32
	;; [unrolled: 9-line block ×3, first 2 shown]
	s_waitcnt lgkmcnt(0)
	v_fmac_f32_e32 v10, v19, v15
	v_fmac_f32_e32 v10, v20, v16
	ds_read2_b32 v[15:16], v11 offset0:224 offset1:240
	s_waitcnt lgkmcnt(0)
	s_barrier
	v_fmac_f32_e32 v10, v15, v17
	v_fmac_f32_e32 v10, v16, v18
	s_cbranch_vccnz .LBB1425_2
; %bb.3:
	v_cmp_le_i32_e32 vcc, v8, v2
	s_and_saveexec_b64 s[0:1], vcc
	s_cbranch_execz .LBB1425_5
.LBB1425_4:
	v_mul_lo_u32 v4, s3, v8
	v_mul_lo_u32 v5, s2, v9
	v_mad_u64_u32 v[0:1], s[0:1], s2, v8, 0
	s_load_dword s4, s[4:5], 0x10
	v_add3_u32 v1, v1, v5, v4
	v_lshlrev_b64 v[0:1], 2, v[0:1]
	s_waitcnt lgkmcnt(0)
	v_mov_b32_e32 v4, s9
	v_add_co_u32_e32 v5, vcc, s8, v0
	v_addc_co_u32_e32 v4, vcc, v4, v1, vcc
	v_lshlrev_b64 v[0:1], 2, v[2:3]
	v_mul_f32_e32 v6, s4, v10
	v_add_co_u32_e32 v0, vcc, v5, v0
	v_addc_co_u32_e32 v1, vcc, v4, v1, vcc
	flat_store_dword v[0:1], v6
.LBB1425_5:
	s_endpgm
.LBB1425_6:
	v_mov_b32_e32 v10, 0
	v_cmp_le_i32_e32 vcc, v8, v2
	s_and_saveexec_b64 s[0:1], vcc
	s_cbranch_execnz .LBB1425_4
	s_branch .LBB1425_5
	.section	.rodata,"a",@progbits
	.p2align	6, 0x0
	.amdhsa_kernel _ZL41rocblas_syrkx_herkx_small_restrict_kernelIlfLi16ELb1ELb0ELc67ELc76EKPKfKPfEviT_T0_PT6_S5_lS8_S5_lS6_PT7_S5_li
		.amdhsa_group_segment_fixed_size 2048
		.amdhsa_private_segment_fixed_size 0
		.amdhsa_kernarg_size 108
		.amdhsa_user_sgpr_count 6
		.amdhsa_user_sgpr_private_segment_buffer 1
		.amdhsa_user_sgpr_dispatch_ptr 0
		.amdhsa_user_sgpr_queue_ptr 0
		.amdhsa_user_sgpr_kernarg_segment_ptr 1
		.amdhsa_user_sgpr_dispatch_id 0
		.amdhsa_user_sgpr_flat_scratch_init 0
		.amdhsa_user_sgpr_private_segment_size 0
		.amdhsa_uses_dynamic_stack 0
		.amdhsa_system_sgpr_private_segment_wavefront_offset 0
		.amdhsa_system_sgpr_workgroup_id_x 1
		.amdhsa_system_sgpr_workgroup_id_y 1
		.amdhsa_system_sgpr_workgroup_id_z 1
		.amdhsa_system_sgpr_workgroup_info 0
		.amdhsa_system_vgpr_workitem_id 1
		.amdhsa_next_free_vgpr 21
		.amdhsa_next_free_sgpr 24
		.amdhsa_reserve_vcc 1
		.amdhsa_reserve_flat_scratch 0
		.amdhsa_float_round_mode_32 0
		.amdhsa_float_round_mode_16_64 0
		.amdhsa_float_denorm_mode_32 3
		.amdhsa_float_denorm_mode_16_64 3
		.amdhsa_dx10_clamp 1
		.amdhsa_ieee_mode 1
		.amdhsa_fp16_overflow 0
		.amdhsa_exception_fp_ieee_invalid_op 0
		.amdhsa_exception_fp_denorm_src 0
		.amdhsa_exception_fp_ieee_div_zero 0
		.amdhsa_exception_fp_ieee_overflow 0
		.amdhsa_exception_fp_ieee_underflow 0
		.amdhsa_exception_fp_ieee_inexact 0
		.amdhsa_exception_int_div_zero 0
	.end_amdhsa_kernel
	.section	.text._ZL41rocblas_syrkx_herkx_small_restrict_kernelIlfLi16ELb1ELb0ELc67ELc76EKPKfKPfEviT_T0_PT6_S5_lS8_S5_lS6_PT7_S5_li,"axG",@progbits,_ZL41rocblas_syrkx_herkx_small_restrict_kernelIlfLi16ELb1ELb0ELc67ELc76EKPKfKPfEviT_T0_PT6_S5_lS8_S5_lS6_PT7_S5_li,comdat
.Lfunc_end1425:
	.size	_ZL41rocblas_syrkx_herkx_small_restrict_kernelIlfLi16ELb1ELb0ELc67ELc76EKPKfKPfEviT_T0_PT6_S5_lS8_S5_lS6_PT7_S5_li, .Lfunc_end1425-_ZL41rocblas_syrkx_herkx_small_restrict_kernelIlfLi16ELb1ELb0ELc67ELc76EKPKfKPfEviT_T0_PT6_S5_lS8_S5_lS6_PT7_S5_li
                                        ; -- End function
	.set _ZL41rocblas_syrkx_herkx_small_restrict_kernelIlfLi16ELb1ELb0ELc67ELc76EKPKfKPfEviT_T0_PT6_S5_lS8_S5_lS6_PT7_S5_li.num_vgpr, 21
	.set _ZL41rocblas_syrkx_herkx_small_restrict_kernelIlfLi16ELb1ELb0ELc67ELc76EKPKfKPfEviT_T0_PT6_S5_lS8_S5_lS6_PT7_S5_li.num_agpr, 0
	.set _ZL41rocblas_syrkx_herkx_small_restrict_kernelIlfLi16ELb1ELb0ELc67ELc76EKPKfKPfEviT_T0_PT6_S5_lS8_S5_lS6_PT7_S5_li.numbered_sgpr, 24
	.set _ZL41rocblas_syrkx_herkx_small_restrict_kernelIlfLi16ELb1ELb0ELc67ELc76EKPKfKPfEviT_T0_PT6_S5_lS8_S5_lS6_PT7_S5_li.num_named_barrier, 0
	.set _ZL41rocblas_syrkx_herkx_small_restrict_kernelIlfLi16ELb1ELb0ELc67ELc76EKPKfKPfEviT_T0_PT6_S5_lS8_S5_lS6_PT7_S5_li.private_seg_size, 0
	.set _ZL41rocblas_syrkx_herkx_small_restrict_kernelIlfLi16ELb1ELb0ELc67ELc76EKPKfKPfEviT_T0_PT6_S5_lS8_S5_lS6_PT7_S5_li.uses_vcc, 1
	.set _ZL41rocblas_syrkx_herkx_small_restrict_kernelIlfLi16ELb1ELb0ELc67ELc76EKPKfKPfEviT_T0_PT6_S5_lS8_S5_lS6_PT7_S5_li.uses_flat_scratch, 0
	.set _ZL41rocblas_syrkx_herkx_small_restrict_kernelIlfLi16ELb1ELb0ELc67ELc76EKPKfKPfEviT_T0_PT6_S5_lS8_S5_lS6_PT7_S5_li.has_dyn_sized_stack, 0
	.set _ZL41rocblas_syrkx_herkx_small_restrict_kernelIlfLi16ELb1ELb0ELc67ELc76EKPKfKPfEviT_T0_PT6_S5_lS8_S5_lS6_PT7_S5_li.has_recursion, 0
	.set _ZL41rocblas_syrkx_herkx_small_restrict_kernelIlfLi16ELb1ELb0ELc67ELc76EKPKfKPfEviT_T0_PT6_S5_lS8_S5_lS6_PT7_S5_li.has_indirect_call, 0
	.section	.AMDGPU.csdata,"",@progbits
; Kernel info:
; codeLenInByte = 720
; TotalNumSgprs: 28
; NumVgprs: 21
; ScratchSize: 0
; MemoryBound: 0
; FloatMode: 240
; IeeeMode: 1
; LDSByteSize: 2048 bytes/workgroup (compile time only)
; SGPRBlocks: 3
; VGPRBlocks: 5
; NumSGPRsForWavesPerEU: 28
; NumVGPRsForWavesPerEU: 21
; Occupancy: 10
; WaveLimiterHint : 1
; COMPUTE_PGM_RSRC2:SCRATCH_EN: 0
; COMPUTE_PGM_RSRC2:USER_SGPR: 6
; COMPUTE_PGM_RSRC2:TRAP_HANDLER: 0
; COMPUTE_PGM_RSRC2:TGID_X_EN: 1
; COMPUTE_PGM_RSRC2:TGID_Y_EN: 1
; COMPUTE_PGM_RSRC2:TGID_Z_EN: 1
; COMPUTE_PGM_RSRC2:TIDIG_COMP_CNT: 1
	.section	.text._ZL41rocblas_syrkx_herkx_small_restrict_kernelIlfLi16ELb1ELb0ELc78ELc76EKPKfKPfEviT_T0_PT6_S5_lS8_S5_lS6_PT7_S5_li,"axG",@progbits,_ZL41rocblas_syrkx_herkx_small_restrict_kernelIlfLi16ELb1ELb0ELc78ELc76EKPKfKPfEviT_T0_PT6_S5_lS8_S5_lS6_PT7_S5_li,comdat
	.globl	_ZL41rocblas_syrkx_herkx_small_restrict_kernelIlfLi16ELb1ELb0ELc78ELc76EKPKfKPfEviT_T0_PT6_S5_lS8_S5_lS6_PT7_S5_li ; -- Begin function _ZL41rocblas_syrkx_herkx_small_restrict_kernelIlfLi16ELb1ELb0ELc78ELc76EKPKfKPfEviT_T0_PT6_S5_lS8_S5_lS6_PT7_S5_li
	.p2align	8
	.type	_ZL41rocblas_syrkx_herkx_small_restrict_kernelIlfLi16ELb1ELb0ELc78ELc76EKPKfKPfEviT_T0_PT6_S5_lS8_S5_lS6_PT7_S5_li,@function
_ZL41rocblas_syrkx_herkx_small_restrict_kernelIlfLi16ELb1ELb0ELc78ELc76EKPKfKPfEviT_T0_PT6_S5_lS8_S5_lS6_PT7_S5_li: ; @_ZL41rocblas_syrkx_herkx_small_restrict_kernelIlfLi16ELb1ELb0ELc78ELc76EKPKfKPfEviT_T0_PT6_S5_lS8_S5_lS6_PT7_S5_li
; %bb.0:
	s_load_dwordx4 s[0:3], s[4:5], 0x50
	s_load_dwordx2 s[18:19], s[4:5], 0x8
	s_mov_b32 s9, 0
	s_lshl_b64 s[20:21], s[8:9], 3
	v_lshl_add_u32 v2, s6, 4, v0
	s_waitcnt lgkmcnt(0)
	s_add_u32 s0, s0, s20
	s_addc_u32 s1, s1, s21
	s_load_dwordx2 s[16:17], s[0:1], 0x0
	v_cmp_lt_i64_e64 s[0:1], s[18:19], 1
	v_lshl_add_u32 v4, s7, 4, v1
	s_and_b64 vcc, exec, s[0:1]
	v_ashrrev_i32_e32 v3, 31, v2
	v_ashrrev_i32_e32 v5, 31, v4
	s_cbranch_vccnz .LBB1426_6
; %bb.1:
	s_load_dwordx4 s[12:15], s[4:5], 0x30
	s_load_dwordx4 s[8:11], s[4:5], 0x18
	v_lshlrev_b32_e32 v8, 2, v0
	v_lshlrev_b32_e32 v10, 6, v1
	v_add_u32_e32 v9, v8, v10
	s_waitcnt lgkmcnt(0)
	s_add_u32 s0, s12, s20
	v_mad_u64_u32 v[6:7], s[6:7], s14, v0, 0
	s_addc_u32 s1, s13, s21
	s_add_u32 s6, s8, s20
	s_addc_u32 s7, s9, s21
	s_load_dwordx2 s[8:9], s[6:7], 0x0
	v_mad_u64_u32 v[12:13], s[6:7], s15, v0, v[7:8]
	v_mad_u64_u32 v[14:15], s[6:7], s10, v1, 0
	v_mov_b32_e32 v7, v12
	v_lshlrev_b64 v[6:7], 2, v[6:7]
	v_lshlrev_b64 v[12:13], 2, v[4:5]
	s_load_dwordx2 s[0:1], s[0:1], 0x0
	v_add_co_u32_e32 v12, vcc, v6, v12
	v_mov_b32_e32 v0, v15
	v_addc_co_u32_e32 v13, vcc, v7, v13, vcc
	v_mad_u64_u32 v[6:7], s[6:7], s11, v1, v[0:1]
	s_waitcnt lgkmcnt(0)
	v_mov_b32_e32 v16, s1
	v_add_co_u32_e32 v0, vcc, s0, v12
	v_mov_b32_e32 v15, v6
	v_addc_co_u32_e32 v1, vcc, v16, v13, vcc
	v_lshlrev_b64 v[6:7], 2, v[14:15]
	v_lshlrev_b64 v[12:13], 2, v[2:3]
	v_add_u32_e32 v10, 0x400, v10
	v_add_co_u32_e32 v6, vcc, v6, v12
	v_addc_co_u32_e32 v7, vcc, v7, v13, vcc
	v_mov_b32_e32 v12, s9
	v_add_co_u32_e32 v6, vcc, s8, v6
	v_add_u32_e32 v11, v10, v8
	s_lshl_b64 s[6:7], s[14:15], 6
	v_addc_co_u32_e32 v7, vcc, v12, v7, vcc
	s_lshl_b64 s[8:9], s[10:11], 6
	v_mov_b32_e32 v12, 0
	s_mov_b64 s[10:11], 0
.LBB1426_2:                             ; =>This Inner Loop Header: Depth=1
	flat_load_dword v13, v[6:7]
	s_add_u32 s10, s10, 16
	v_mov_b32_e32 v17, s9
	v_add_co_u32_e32 v6, vcc, s8, v6
	v_mov_b32_e32 v16, s7
	s_addc_u32 s11, s11, 0
	v_addc_co_u32_e32 v7, vcc, v7, v17, vcc
	s_waitcnt vmcnt(0) lgkmcnt(0)
	ds_write_b32 v9, v13
	flat_load_dword v15, v[0:1]
	v_mov_b32_e32 v13, s18
	v_mov_b32_e32 v14, s19
	v_add_co_u32_e64 v0, s[0:1], s6, v0
	v_cmp_lt_i64_e32 vcc, s[10:11], v[13:14]
	v_addc_co_u32_e64 v1, s[0:1], v1, v16, s[0:1]
	s_and_b64 vcc, exec, vcc
	s_waitcnt vmcnt(0) lgkmcnt(0)
	ds_write_b32 v11, v15
	s_waitcnt lgkmcnt(0)
	s_barrier
	ds_read2_b32 v[21:22], v8 offset1:16
	ds_read_b128 v[13:16], v10
	ds_read_b128 v[17:20], v10 offset:16
	s_waitcnt lgkmcnt(1)
	v_fmac_f32_e32 v12, v21, v13
	v_fmac_f32_e32 v12, v22, v14
	ds_read2_b32 v[13:14], v8 offset0:32 offset1:48
	s_waitcnt lgkmcnt(0)
	v_fmac_f32_e32 v12, v13, v15
	v_fmac_f32_e32 v12, v14, v16
	ds_read2_b32 v[13:14], v8 offset0:64 offset1:80
	ds_read2_b32 v[15:16], v8 offset0:96 offset1:112
	;; [unrolled: 1-line block ×3, first 2 shown]
	s_waitcnt lgkmcnt(2)
	v_fmac_f32_e32 v12, v13, v17
	v_fmac_f32_e32 v12, v14, v18
	s_waitcnt lgkmcnt(1)
	v_fmac_f32_e32 v12, v15, v19
	v_fmac_f32_e32 v12, v16, v20
	ds_read_b128 v[13:16], v10 offset:32
	ds_read_b128 v[17:20], v10 offset:48
	s_waitcnt lgkmcnt(1)
	v_fmac_f32_e32 v12, v21, v13
	v_fmac_f32_e32 v12, v22, v14
	ds_read2_b32 v[13:14], v8 offset0:160 offset1:176
	s_waitcnt lgkmcnt(0)
	v_fmac_f32_e32 v12, v13, v15
	v_fmac_f32_e32 v12, v14, v16
	ds_read2_b32 v[13:14], v8 offset0:192 offset1:208
	ds_read2_b32 v[15:16], v8 offset0:224 offset1:240
	s_waitcnt lgkmcnt(0)
	s_barrier
	v_fmac_f32_e32 v12, v13, v17
	v_fmac_f32_e32 v12, v14, v18
	;; [unrolled: 1-line block ×4, first 2 shown]
	s_cbranch_vccnz .LBB1426_2
; %bb.3:
	v_cmp_le_i32_e32 vcc, v4, v2
	s_and_saveexec_b64 s[0:1], vcc
	s_cbranch_execz .LBB1426_5
.LBB1426_4:
	v_mul_lo_u32 v6, s3, v4
	v_mul_lo_u32 v5, s2, v5
	v_mad_u64_u32 v[0:1], s[0:1], s2, v4, 0
	s_load_dword s4, s[4:5], 0x10
	v_add3_u32 v1, v1, v5, v6
	v_lshlrev_b64 v[0:1], 2, v[0:1]
	s_waitcnt lgkmcnt(0)
	v_mov_b32_e32 v5, s17
	v_add_co_u32_e32 v6, vcc, s16, v0
	v_addc_co_u32_e32 v5, vcc, v5, v1, vcc
	v_lshlrev_b64 v[0:1], 2, v[2:3]
	v_mul_f32_e32 v4, s4, v12
	v_add_co_u32_e32 v0, vcc, v6, v0
	v_addc_co_u32_e32 v1, vcc, v5, v1, vcc
	flat_store_dword v[0:1], v4
.LBB1426_5:
	s_endpgm
.LBB1426_6:
	v_mov_b32_e32 v12, 0
	v_cmp_le_i32_e32 vcc, v4, v2
	s_and_saveexec_b64 s[0:1], vcc
	s_cbranch_execnz .LBB1426_4
	s_branch .LBB1426_5
	.section	.rodata,"a",@progbits
	.p2align	6, 0x0
	.amdhsa_kernel _ZL41rocblas_syrkx_herkx_small_restrict_kernelIlfLi16ELb1ELb0ELc78ELc76EKPKfKPfEviT_T0_PT6_S5_lS8_S5_lS6_PT7_S5_li
		.amdhsa_group_segment_fixed_size 2048
		.amdhsa_private_segment_fixed_size 0
		.amdhsa_kernarg_size 108
		.amdhsa_user_sgpr_count 6
		.amdhsa_user_sgpr_private_segment_buffer 1
		.amdhsa_user_sgpr_dispatch_ptr 0
		.amdhsa_user_sgpr_queue_ptr 0
		.amdhsa_user_sgpr_kernarg_segment_ptr 1
		.amdhsa_user_sgpr_dispatch_id 0
		.amdhsa_user_sgpr_flat_scratch_init 0
		.amdhsa_user_sgpr_private_segment_size 0
		.amdhsa_uses_dynamic_stack 0
		.amdhsa_system_sgpr_private_segment_wavefront_offset 0
		.amdhsa_system_sgpr_workgroup_id_x 1
		.amdhsa_system_sgpr_workgroup_id_y 1
		.amdhsa_system_sgpr_workgroup_id_z 1
		.amdhsa_system_sgpr_workgroup_info 0
		.amdhsa_system_vgpr_workitem_id 1
		.amdhsa_next_free_vgpr 23
		.amdhsa_next_free_sgpr 22
		.amdhsa_reserve_vcc 1
		.amdhsa_reserve_flat_scratch 0
		.amdhsa_float_round_mode_32 0
		.amdhsa_float_round_mode_16_64 0
		.amdhsa_float_denorm_mode_32 3
		.amdhsa_float_denorm_mode_16_64 3
		.amdhsa_dx10_clamp 1
		.amdhsa_ieee_mode 1
		.amdhsa_fp16_overflow 0
		.amdhsa_exception_fp_ieee_invalid_op 0
		.amdhsa_exception_fp_denorm_src 0
		.amdhsa_exception_fp_ieee_div_zero 0
		.amdhsa_exception_fp_ieee_overflow 0
		.amdhsa_exception_fp_ieee_underflow 0
		.amdhsa_exception_fp_ieee_inexact 0
		.amdhsa_exception_int_div_zero 0
	.end_amdhsa_kernel
	.section	.text._ZL41rocblas_syrkx_herkx_small_restrict_kernelIlfLi16ELb1ELb0ELc78ELc76EKPKfKPfEviT_T0_PT6_S5_lS8_S5_lS6_PT7_S5_li,"axG",@progbits,_ZL41rocblas_syrkx_herkx_small_restrict_kernelIlfLi16ELb1ELb0ELc78ELc76EKPKfKPfEviT_T0_PT6_S5_lS8_S5_lS6_PT7_S5_li,comdat
.Lfunc_end1426:
	.size	_ZL41rocblas_syrkx_herkx_small_restrict_kernelIlfLi16ELb1ELb0ELc78ELc76EKPKfKPfEviT_T0_PT6_S5_lS8_S5_lS6_PT7_S5_li, .Lfunc_end1426-_ZL41rocblas_syrkx_herkx_small_restrict_kernelIlfLi16ELb1ELb0ELc78ELc76EKPKfKPfEviT_T0_PT6_S5_lS8_S5_lS6_PT7_S5_li
                                        ; -- End function
	.set _ZL41rocblas_syrkx_herkx_small_restrict_kernelIlfLi16ELb1ELb0ELc78ELc76EKPKfKPfEviT_T0_PT6_S5_lS8_S5_lS6_PT7_S5_li.num_vgpr, 23
	.set _ZL41rocblas_syrkx_herkx_small_restrict_kernelIlfLi16ELb1ELb0ELc78ELc76EKPKfKPfEviT_T0_PT6_S5_lS8_S5_lS6_PT7_S5_li.num_agpr, 0
	.set _ZL41rocblas_syrkx_herkx_small_restrict_kernelIlfLi16ELb1ELb0ELc78ELc76EKPKfKPfEviT_T0_PT6_S5_lS8_S5_lS6_PT7_S5_li.numbered_sgpr, 22
	.set _ZL41rocblas_syrkx_herkx_small_restrict_kernelIlfLi16ELb1ELb0ELc78ELc76EKPKfKPfEviT_T0_PT6_S5_lS8_S5_lS6_PT7_S5_li.num_named_barrier, 0
	.set _ZL41rocblas_syrkx_herkx_small_restrict_kernelIlfLi16ELb1ELb0ELc78ELc76EKPKfKPfEviT_T0_PT6_S5_lS8_S5_lS6_PT7_S5_li.private_seg_size, 0
	.set _ZL41rocblas_syrkx_herkx_small_restrict_kernelIlfLi16ELb1ELb0ELc78ELc76EKPKfKPfEviT_T0_PT6_S5_lS8_S5_lS6_PT7_S5_li.uses_vcc, 1
	.set _ZL41rocblas_syrkx_herkx_small_restrict_kernelIlfLi16ELb1ELb0ELc78ELc76EKPKfKPfEviT_T0_PT6_S5_lS8_S5_lS6_PT7_S5_li.uses_flat_scratch, 0
	.set _ZL41rocblas_syrkx_herkx_small_restrict_kernelIlfLi16ELb1ELb0ELc78ELc76EKPKfKPfEviT_T0_PT6_S5_lS8_S5_lS6_PT7_S5_li.has_dyn_sized_stack, 0
	.set _ZL41rocblas_syrkx_herkx_small_restrict_kernelIlfLi16ELb1ELb0ELc78ELc76EKPKfKPfEviT_T0_PT6_S5_lS8_S5_lS6_PT7_S5_li.has_recursion, 0
	.set _ZL41rocblas_syrkx_herkx_small_restrict_kernelIlfLi16ELb1ELb0ELc78ELc76EKPKfKPfEviT_T0_PT6_S5_lS8_S5_lS6_PT7_S5_li.has_indirect_call, 0
	.section	.AMDGPU.csdata,"",@progbits
; Kernel info:
; codeLenInByte = 724
; TotalNumSgprs: 26
; NumVgprs: 23
; ScratchSize: 0
; MemoryBound: 0
; FloatMode: 240
; IeeeMode: 1
; LDSByteSize: 2048 bytes/workgroup (compile time only)
; SGPRBlocks: 3
; VGPRBlocks: 5
; NumSGPRsForWavesPerEU: 26
; NumVGPRsForWavesPerEU: 23
; Occupancy: 10
; WaveLimiterHint : 1
; COMPUTE_PGM_RSRC2:SCRATCH_EN: 0
; COMPUTE_PGM_RSRC2:USER_SGPR: 6
; COMPUTE_PGM_RSRC2:TRAP_HANDLER: 0
; COMPUTE_PGM_RSRC2:TGID_X_EN: 1
; COMPUTE_PGM_RSRC2:TGID_Y_EN: 1
; COMPUTE_PGM_RSRC2:TGID_Z_EN: 1
; COMPUTE_PGM_RSRC2:TIDIG_COMP_CNT: 1
	.section	.text._ZL41rocblas_syrkx_herkx_small_restrict_kernelIlfLi16ELb1ELb0ELc84ELc85EKPKfKPfEviT_T0_PT6_S5_lS8_S5_lS6_PT7_S5_li,"axG",@progbits,_ZL41rocblas_syrkx_herkx_small_restrict_kernelIlfLi16ELb1ELb0ELc84ELc85EKPKfKPfEviT_T0_PT6_S5_lS8_S5_lS6_PT7_S5_li,comdat
	.globl	_ZL41rocblas_syrkx_herkx_small_restrict_kernelIlfLi16ELb1ELb0ELc84ELc85EKPKfKPfEviT_T0_PT6_S5_lS8_S5_lS6_PT7_S5_li ; -- Begin function _ZL41rocblas_syrkx_herkx_small_restrict_kernelIlfLi16ELb1ELb0ELc84ELc85EKPKfKPfEviT_T0_PT6_S5_lS8_S5_lS6_PT7_S5_li
	.p2align	8
	.type	_ZL41rocblas_syrkx_herkx_small_restrict_kernelIlfLi16ELb1ELb0ELc84ELc85EKPKfKPfEviT_T0_PT6_S5_lS8_S5_lS6_PT7_S5_li,@function
_ZL41rocblas_syrkx_herkx_small_restrict_kernelIlfLi16ELb1ELb0ELc84ELc85EKPKfKPfEviT_T0_PT6_S5_lS8_S5_lS6_PT7_S5_li: ; @_ZL41rocblas_syrkx_herkx_small_restrict_kernelIlfLi16ELb1ELb0ELc84ELc85EKPKfKPfEviT_T0_PT6_S5_lS8_S5_lS6_PT7_S5_li
; %bb.0:
	s_load_dwordx4 s[0:3], s[4:5], 0x50
	s_load_dwordx2 s[10:11], s[4:5], 0x8
	s_mov_b32 s9, 0
	s_lshl_b64 s[12:13], s[8:9], 3
	v_lshl_add_u32 v2, s6, 4, v0
	s_waitcnt lgkmcnt(0)
	s_add_u32 s0, s0, s12
	s_addc_u32 s1, s1, s13
	s_load_dwordx2 s[8:9], s[0:1], 0x0
	v_cmp_lt_i64_e64 s[0:1], s[10:11], 1
	v_lshl_add_u32 v8, s7, 4, v1
	s_and_b64 vcc, exec, s[0:1]
	v_ashrrev_i32_e32 v3, 31, v2
	v_ashrrev_i32_e32 v9, 31, v8
	s_cbranch_vccnz .LBB1427_6
; %bb.1:
	s_load_dwordx4 s[16:19], s[4:5], 0x30
	s_load_dwordx4 s[20:23], s[4:5], 0x18
	v_lshlrev_b32_e32 v11, 2, v0
	v_lshlrev_b32_e32 v15, 6, v1
	v_mov_b32_e32 v10, 0
	s_waitcnt lgkmcnt(0)
	s_add_u32 s0, s16, s12
	s_addc_u32 s1, s17, s13
	s_add_u32 s6, s20, s12
	v_mul_lo_u32 v6, s23, v2
	v_mul_lo_u32 v7, s22, v3
	v_mad_u64_u32 v[4:5], s[14:15], s22, v2, 0
	s_addc_u32 s7, s21, s13
	s_load_dwordx2 s[12:13], s[6:7], 0x0
	s_load_dwordx2 s[14:15], s[0:1], 0x0
	v_add3_u32 v5, v5, v7, v6
	v_lshlrev_b32_e32 v6, 2, v1
	v_lshlrev_b64 v[4:5], 2, v[4:5]
	s_waitcnt lgkmcnt(0)
	v_mov_b32_e32 v7, s13
	v_add_co_u32_e32 v6, vcc, s12, v6
	v_addc_co_u32_e32 v7, vcc, 0, v7, vcc
	v_add_co_u32_e32 v4, vcc, v6, v4
	v_addc_co_u32_e32 v5, vcc, v7, v5, vcc
	v_mul_lo_u32 v13, s19, v8
	v_mul_lo_u32 v14, s18, v9
	v_mad_u64_u32 v[6:7], s[0:1], s18, v8, 0
	v_mov_b32_e32 v0, s15
	v_add_u32_e32 v12, v11, v15
	v_add3_u32 v7, v7, v14, v13
	v_add_co_u32_e32 v13, vcc, s14, v11
	v_addc_co_u32_e32 v14, vcc, 0, v0, vcc
	v_lshlrev_b64 v[0:1], 2, v[6:7]
	v_mov_b32_e32 v6, s10
	v_add_co_u32_e32 v0, vcc, v13, v0
	v_add_u32_e32 v13, 0x400, v15
	v_addc_co_u32_e32 v1, vcc, v14, v1, vcc
	v_add_u32_e32 v14, v13, v11
	s_mov_b64 s[6:7], 0
	v_mov_b32_e32 v7, s11
.LBB1427_2:                             ; =>This Inner Loop Header: Depth=1
	flat_load_dword v15, v[4:5]
	s_add_u32 s6, s6, 16
	v_add_co_u32_e32 v4, vcc, 64, v4
	v_addc_co_u32_e32 v5, vcc, 0, v5, vcc
	s_addc_u32 s7, s7, 0
	v_cmp_lt_i64_e32 vcc, s[6:7], v[6:7]
	s_and_b64 vcc, exec, vcc
	s_waitcnt vmcnt(0) lgkmcnt(0)
	ds_write_b32 v12, v15
	flat_load_dword v15, v[0:1]
	v_add_co_u32_e64 v0, s[0:1], 64, v0
	v_addc_co_u32_e64 v1, s[0:1], 0, v1, s[0:1]
	s_waitcnt vmcnt(0) lgkmcnt(0)
	ds_write_b32 v14, v15
	s_waitcnt lgkmcnt(0)
	s_barrier
	ds_read2_b32 v[19:20], v11 offset1:16
	ds_read_b128 v[15:18], v13
	s_waitcnt lgkmcnt(0)
	v_fmac_f32_e32 v10, v19, v15
	v_fmac_f32_e32 v10, v20, v16
	ds_read2_b32 v[15:16], v11 offset0:32 offset1:48
	s_waitcnt lgkmcnt(0)
	v_fmac_f32_e32 v10, v15, v17
	v_fmac_f32_e32 v10, v16, v18
	ds_read2_b32 v[19:20], v11 offset0:64 offset1:80
	ds_read_b128 v[15:18], v13 offset:16
	s_waitcnt lgkmcnt(0)
	v_fmac_f32_e32 v10, v19, v15
	v_fmac_f32_e32 v10, v20, v16
	ds_read2_b32 v[15:16], v11 offset0:96 offset1:112
	s_waitcnt lgkmcnt(0)
	v_fmac_f32_e32 v10, v15, v17
	v_fmac_f32_e32 v10, v16, v18
	ds_read2_b32 v[19:20], v11 offset0:128 offset1:144
	ds_read_b128 v[15:18], v13 offset:32
	;; [unrolled: 9-line block ×3, first 2 shown]
	s_waitcnt lgkmcnt(0)
	v_fmac_f32_e32 v10, v19, v15
	v_fmac_f32_e32 v10, v20, v16
	ds_read2_b32 v[15:16], v11 offset0:224 offset1:240
	s_waitcnt lgkmcnt(0)
	s_barrier
	v_fmac_f32_e32 v10, v15, v17
	v_fmac_f32_e32 v10, v16, v18
	s_cbranch_vccnz .LBB1427_2
; %bb.3:
	v_cmp_le_i32_e32 vcc, v2, v8
	s_and_saveexec_b64 s[0:1], vcc
	s_cbranch_execz .LBB1427_5
.LBB1427_4:
	v_mul_lo_u32 v4, s3, v8
	v_mul_lo_u32 v5, s2, v9
	v_mad_u64_u32 v[0:1], s[0:1], s2, v8, 0
	s_load_dword s4, s[4:5], 0x10
	v_add3_u32 v1, v1, v5, v4
	v_lshlrev_b64 v[0:1], 2, v[0:1]
	s_waitcnt lgkmcnt(0)
	v_mov_b32_e32 v4, s9
	v_add_co_u32_e32 v5, vcc, s8, v0
	v_addc_co_u32_e32 v4, vcc, v4, v1, vcc
	v_lshlrev_b64 v[0:1], 2, v[2:3]
	v_mul_f32_e32 v6, s4, v10
	v_add_co_u32_e32 v0, vcc, v5, v0
	v_addc_co_u32_e32 v1, vcc, v4, v1, vcc
	flat_store_dword v[0:1], v6
.LBB1427_5:
	s_endpgm
.LBB1427_6:
	v_mov_b32_e32 v10, 0
	v_cmp_le_i32_e32 vcc, v2, v8
	s_and_saveexec_b64 s[0:1], vcc
	s_cbranch_execnz .LBB1427_4
	s_branch .LBB1427_5
	.section	.rodata,"a",@progbits
	.p2align	6, 0x0
	.amdhsa_kernel _ZL41rocblas_syrkx_herkx_small_restrict_kernelIlfLi16ELb1ELb0ELc84ELc85EKPKfKPfEviT_T0_PT6_S5_lS8_S5_lS6_PT7_S5_li
		.amdhsa_group_segment_fixed_size 2048
		.amdhsa_private_segment_fixed_size 0
		.amdhsa_kernarg_size 108
		.amdhsa_user_sgpr_count 6
		.amdhsa_user_sgpr_private_segment_buffer 1
		.amdhsa_user_sgpr_dispatch_ptr 0
		.amdhsa_user_sgpr_queue_ptr 0
		.amdhsa_user_sgpr_kernarg_segment_ptr 1
		.amdhsa_user_sgpr_dispatch_id 0
		.amdhsa_user_sgpr_flat_scratch_init 0
		.amdhsa_user_sgpr_private_segment_size 0
		.amdhsa_uses_dynamic_stack 0
		.amdhsa_system_sgpr_private_segment_wavefront_offset 0
		.amdhsa_system_sgpr_workgroup_id_x 1
		.amdhsa_system_sgpr_workgroup_id_y 1
		.amdhsa_system_sgpr_workgroup_id_z 1
		.amdhsa_system_sgpr_workgroup_info 0
		.amdhsa_system_vgpr_workitem_id 1
		.amdhsa_next_free_vgpr 21
		.amdhsa_next_free_sgpr 24
		.amdhsa_reserve_vcc 1
		.amdhsa_reserve_flat_scratch 0
		.amdhsa_float_round_mode_32 0
		.amdhsa_float_round_mode_16_64 0
		.amdhsa_float_denorm_mode_32 3
		.amdhsa_float_denorm_mode_16_64 3
		.amdhsa_dx10_clamp 1
		.amdhsa_ieee_mode 1
		.amdhsa_fp16_overflow 0
		.amdhsa_exception_fp_ieee_invalid_op 0
		.amdhsa_exception_fp_denorm_src 0
		.amdhsa_exception_fp_ieee_div_zero 0
		.amdhsa_exception_fp_ieee_overflow 0
		.amdhsa_exception_fp_ieee_underflow 0
		.amdhsa_exception_fp_ieee_inexact 0
		.amdhsa_exception_int_div_zero 0
	.end_amdhsa_kernel
	.section	.text._ZL41rocblas_syrkx_herkx_small_restrict_kernelIlfLi16ELb1ELb0ELc84ELc85EKPKfKPfEviT_T0_PT6_S5_lS8_S5_lS6_PT7_S5_li,"axG",@progbits,_ZL41rocblas_syrkx_herkx_small_restrict_kernelIlfLi16ELb1ELb0ELc84ELc85EKPKfKPfEviT_T0_PT6_S5_lS8_S5_lS6_PT7_S5_li,comdat
.Lfunc_end1427:
	.size	_ZL41rocblas_syrkx_herkx_small_restrict_kernelIlfLi16ELb1ELb0ELc84ELc85EKPKfKPfEviT_T0_PT6_S5_lS8_S5_lS6_PT7_S5_li, .Lfunc_end1427-_ZL41rocblas_syrkx_herkx_small_restrict_kernelIlfLi16ELb1ELb0ELc84ELc85EKPKfKPfEviT_T0_PT6_S5_lS8_S5_lS6_PT7_S5_li
                                        ; -- End function
	.set _ZL41rocblas_syrkx_herkx_small_restrict_kernelIlfLi16ELb1ELb0ELc84ELc85EKPKfKPfEviT_T0_PT6_S5_lS8_S5_lS6_PT7_S5_li.num_vgpr, 21
	.set _ZL41rocblas_syrkx_herkx_small_restrict_kernelIlfLi16ELb1ELb0ELc84ELc85EKPKfKPfEviT_T0_PT6_S5_lS8_S5_lS6_PT7_S5_li.num_agpr, 0
	.set _ZL41rocblas_syrkx_herkx_small_restrict_kernelIlfLi16ELb1ELb0ELc84ELc85EKPKfKPfEviT_T0_PT6_S5_lS8_S5_lS6_PT7_S5_li.numbered_sgpr, 24
	.set _ZL41rocblas_syrkx_herkx_small_restrict_kernelIlfLi16ELb1ELb0ELc84ELc85EKPKfKPfEviT_T0_PT6_S5_lS8_S5_lS6_PT7_S5_li.num_named_barrier, 0
	.set _ZL41rocblas_syrkx_herkx_small_restrict_kernelIlfLi16ELb1ELb0ELc84ELc85EKPKfKPfEviT_T0_PT6_S5_lS8_S5_lS6_PT7_S5_li.private_seg_size, 0
	.set _ZL41rocblas_syrkx_herkx_small_restrict_kernelIlfLi16ELb1ELb0ELc84ELc85EKPKfKPfEviT_T0_PT6_S5_lS8_S5_lS6_PT7_S5_li.uses_vcc, 1
	.set _ZL41rocblas_syrkx_herkx_small_restrict_kernelIlfLi16ELb1ELb0ELc84ELc85EKPKfKPfEviT_T0_PT6_S5_lS8_S5_lS6_PT7_S5_li.uses_flat_scratch, 0
	.set _ZL41rocblas_syrkx_herkx_small_restrict_kernelIlfLi16ELb1ELb0ELc84ELc85EKPKfKPfEviT_T0_PT6_S5_lS8_S5_lS6_PT7_S5_li.has_dyn_sized_stack, 0
	.set _ZL41rocblas_syrkx_herkx_small_restrict_kernelIlfLi16ELb1ELb0ELc84ELc85EKPKfKPfEviT_T0_PT6_S5_lS8_S5_lS6_PT7_S5_li.has_recursion, 0
	.set _ZL41rocblas_syrkx_herkx_small_restrict_kernelIlfLi16ELb1ELb0ELc84ELc85EKPKfKPfEviT_T0_PT6_S5_lS8_S5_lS6_PT7_S5_li.has_indirect_call, 0
	.section	.AMDGPU.csdata,"",@progbits
; Kernel info:
; codeLenInByte = 720
; TotalNumSgprs: 28
; NumVgprs: 21
; ScratchSize: 0
; MemoryBound: 0
; FloatMode: 240
; IeeeMode: 1
; LDSByteSize: 2048 bytes/workgroup (compile time only)
; SGPRBlocks: 3
; VGPRBlocks: 5
; NumSGPRsForWavesPerEU: 28
; NumVGPRsForWavesPerEU: 21
; Occupancy: 10
; WaveLimiterHint : 1
; COMPUTE_PGM_RSRC2:SCRATCH_EN: 0
; COMPUTE_PGM_RSRC2:USER_SGPR: 6
; COMPUTE_PGM_RSRC2:TRAP_HANDLER: 0
; COMPUTE_PGM_RSRC2:TGID_X_EN: 1
; COMPUTE_PGM_RSRC2:TGID_Y_EN: 1
; COMPUTE_PGM_RSRC2:TGID_Z_EN: 1
; COMPUTE_PGM_RSRC2:TIDIG_COMP_CNT: 1
	.section	.text._ZL41rocblas_syrkx_herkx_small_restrict_kernelIlfLi16ELb1ELb0ELc67ELc85EKPKfKPfEviT_T0_PT6_S5_lS8_S5_lS6_PT7_S5_li,"axG",@progbits,_ZL41rocblas_syrkx_herkx_small_restrict_kernelIlfLi16ELb1ELb0ELc67ELc85EKPKfKPfEviT_T0_PT6_S5_lS8_S5_lS6_PT7_S5_li,comdat
	.globl	_ZL41rocblas_syrkx_herkx_small_restrict_kernelIlfLi16ELb1ELb0ELc67ELc85EKPKfKPfEviT_T0_PT6_S5_lS8_S5_lS6_PT7_S5_li ; -- Begin function _ZL41rocblas_syrkx_herkx_small_restrict_kernelIlfLi16ELb1ELb0ELc67ELc85EKPKfKPfEviT_T0_PT6_S5_lS8_S5_lS6_PT7_S5_li
	.p2align	8
	.type	_ZL41rocblas_syrkx_herkx_small_restrict_kernelIlfLi16ELb1ELb0ELc67ELc85EKPKfKPfEviT_T0_PT6_S5_lS8_S5_lS6_PT7_S5_li,@function
_ZL41rocblas_syrkx_herkx_small_restrict_kernelIlfLi16ELb1ELb0ELc67ELc85EKPKfKPfEviT_T0_PT6_S5_lS8_S5_lS6_PT7_S5_li: ; @_ZL41rocblas_syrkx_herkx_small_restrict_kernelIlfLi16ELb1ELb0ELc67ELc85EKPKfKPfEviT_T0_PT6_S5_lS8_S5_lS6_PT7_S5_li
; %bb.0:
	s_load_dwordx4 s[0:3], s[4:5], 0x50
	s_load_dwordx2 s[10:11], s[4:5], 0x8
	s_mov_b32 s9, 0
	s_lshl_b64 s[12:13], s[8:9], 3
	v_lshl_add_u32 v2, s6, 4, v0
	s_waitcnt lgkmcnt(0)
	s_add_u32 s0, s0, s12
	s_addc_u32 s1, s1, s13
	s_load_dwordx2 s[8:9], s[0:1], 0x0
	v_cmp_lt_i64_e64 s[0:1], s[10:11], 1
	v_lshl_add_u32 v8, s7, 4, v1
	s_and_b64 vcc, exec, s[0:1]
	v_ashrrev_i32_e32 v3, 31, v2
	v_ashrrev_i32_e32 v9, 31, v8
	s_cbranch_vccnz .LBB1428_6
; %bb.1:
	s_load_dwordx4 s[16:19], s[4:5], 0x30
	s_load_dwordx4 s[20:23], s[4:5], 0x18
	v_lshlrev_b32_e32 v11, 2, v0
	v_lshlrev_b32_e32 v15, 6, v1
	v_mov_b32_e32 v10, 0
	s_waitcnt lgkmcnt(0)
	s_add_u32 s0, s16, s12
	s_addc_u32 s1, s17, s13
	s_add_u32 s6, s20, s12
	v_mul_lo_u32 v6, s23, v2
	v_mul_lo_u32 v7, s22, v3
	v_mad_u64_u32 v[4:5], s[14:15], s22, v2, 0
	s_addc_u32 s7, s21, s13
	s_load_dwordx2 s[12:13], s[6:7], 0x0
	s_load_dwordx2 s[14:15], s[0:1], 0x0
	v_add3_u32 v5, v5, v7, v6
	v_lshlrev_b32_e32 v6, 2, v1
	v_lshlrev_b64 v[4:5], 2, v[4:5]
	s_waitcnt lgkmcnt(0)
	v_mov_b32_e32 v7, s13
	v_add_co_u32_e32 v6, vcc, s12, v6
	v_addc_co_u32_e32 v7, vcc, 0, v7, vcc
	v_add_co_u32_e32 v4, vcc, v6, v4
	v_addc_co_u32_e32 v5, vcc, v7, v5, vcc
	v_mul_lo_u32 v13, s19, v8
	v_mul_lo_u32 v14, s18, v9
	v_mad_u64_u32 v[6:7], s[0:1], s18, v8, 0
	v_mov_b32_e32 v0, s15
	v_add_u32_e32 v12, v11, v15
	v_add3_u32 v7, v7, v14, v13
	v_add_co_u32_e32 v13, vcc, s14, v11
	v_addc_co_u32_e32 v14, vcc, 0, v0, vcc
	v_lshlrev_b64 v[0:1], 2, v[6:7]
	v_mov_b32_e32 v6, s10
	v_add_co_u32_e32 v0, vcc, v13, v0
	v_add_u32_e32 v13, 0x400, v15
	v_addc_co_u32_e32 v1, vcc, v14, v1, vcc
	v_add_u32_e32 v14, v13, v11
	s_mov_b64 s[6:7], 0
	v_mov_b32_e32 v7, s11
.LBB1428_2:                             ; =>This Inner Loop Header: Depth=1
	flat_load_dword v15, v[4:5]
	s_add_u32 s6, s6, 16
	v_add_co_u32_e32 v4, vcc, 64, v4
	v_addc_co_u32_e32 v5, vcc, 0, v5, vcc
	s_addc_u32 s7, s7, 0
	v_cmp_lt_i64_e32 vcc, s[6:7], v[6:7]
	s_and_b64 vcc, exec, vcc
	s_waitcnt vmcnt(0) lgkmcnt(0)
	ds_write_b32 v12, v15
	flat_load_dword v15, v[0:1]
	v_add_co_u32_e64 v0, s[0:1], 64, v0
	v_addc_co_u32_e64 v1, s[0:1], 0, v1, s[0:1]
	s_waitcnt vmcnt(0) lgkmcnt(0)
	ds_write_b32 v14, v15
	s_waitcnt lgkmcnt(0)
	s_barrier
	ds_read2_b32 v[19:20], v11 offset1:16
	ds_read_b128 v[15:18], v13
	s_waitcnt lgkmcnt(0)
	v_fmac_f32_e32 v10, v19, v15
	v_fmac_f32_e32 v10, v20, v16
	ds_read2_b32 v[15:16], v11 offset0:32 offset1:48
	s_waitcnt lgkmcnt(0)
	v_fmac_f32_e32 v10, v15, v17
	v_fmac_f32_e32 v10, v16, v18
	ds_read2_b32 v[19:20], v11 offset0:64 offset1:80
	ds_read_b128 v[15:18], v13 offset:16
	s_waitcnt lgkmcnt(0)
	v_fmac_f32_e32 v10, v19, v15
	v_fmac_f32_e32 v10, v20, v16
	ds_read2_b32 v[15:16], v11 offset0:96 offset1:112
	s_waitcnt lgkmcnt(0)
	v_fmac_f32_e32 v10, v15, v17
	v_fmac_f32_e32 v10, v16, v18
	ds_read2_b32 v[19:20], v11 offset0:128 offset1:144
	ds_read_b128 v[15:18], v13 offset:32
	;; [unrolled: 9-line block ×3, first 2 shown]
	s_waitcnt lgkmcnt(0)
	v_fmac_f32_e32 v10, v19, v15
	v_fmac_f32_e32 v10, v20, v16
	ds_read2_b32 v[15:16], v11 offset0:224 offset1:240
	s_waitcnt lgkmcnt(0)
	s_barrier
	v_fmac_f32_e32 v10, v15, v17
	v_fmac_f32_e32 v10, v16, v18
	s_cbranch_vccnz .LBB1428_2
; %bb.3:
	v_cmp_le_i32_e32 vcc, v2, v8
	s_and_saveexec_b64 s[0:1], vcc
	s_cbranch_execz .LBB1428_5
.LBB1428_4:
	v_mul_lo_u32 v4, s3, v8
	v_mul_lo_u32 v5, s2, v9
	v_mad_u64_u32 v[0:1], s[0:1], s2, v8, 0
	s_load_dword s4, s[4:5], 0x10
	v_add3_u32 v1, v1, v5, v4
	v_lshlrev_b64 v[0:1], 2, v[0:1]
	s_waitcnt lgkmcnt(0)
	v_mov_b32_e32 v4, s9
	v_add_co_u32_e32 v5, vcc, s8, v0
	v_addc_co_u32_e32 v4, vcc, v4, v1, vcc
	v_lshlrev_b64 v[0:1], 2, v[2:3]
	v_mul_f32_e32 v6, s4, v10
	v_add_co_u32_e32 v0, vcc, v5, v0
	v_addc_co_u32_e32 v1, vcc, v4, v1, vcc
	flat_store_dword v[0:1], v6
.LBB1428_5:
	s_endpgm
.LBB1428_6:
	v_mov_b32_e32 v10, 0
	v_cmp_le_i32_e32 vcc, v2, v8
	s_and_saveexec_b64 s[0:1], vcc
	s_cbranch_execnz .LBB1428_4
	s_branch .LBB1428_5
	.section	.rodata,"a",@progbits
	.p2align	6, 0x0
	.amdhsa_kernel _ZL41rocblas_syrkx_herkx_small_restrict_kernelIlfLi16ELb1ELb0ELc67ELc85EKPKfKPfEviT_T0_PT6_S5_lS8_S5_lS6_PT7_S5_li
		.amdhsa_group_segment_fixed_size 2048
		.amdhsa_private_segment_fixed_size 0
		.amdhsa_kernarg_size 108
		.amdhsa_user_sgpr_count 6
		.amdhsa_user_sgpr_private_segment_buffer 1
		.amdhsa_user_sgpr_dispatch_ptr 0
		.amdhsa_user_sgpr_queue_ptr 0
		.amdhsa_user_sgpr_kernarg_segment_ptr 1
		.amdhsa_user_sgpr_dispatch_id 0
		.amdhsa_user_sgpr_flat_scratch_init 0
		.amdhsa_user_sgpr_private_segment_size 0
		.amdhsa_uses_dynamic_stack 0
		.amdhsa_system_sgpr_private_segment_wavefront_offset 0
		.amdhsa_system_sgpr_workgroup_id_x 1
		.amdhsa_system_sgpr_workgroup_id_y 1
		.amdhsa_system_sgpr_workgroup_id_z 1
		.amdhsa_system_sgpr_workgroup_info 0
		.amdhsa_system_vgpr_workitem_id 1
		.amdhsa_next_free_vgpr 21
		.amdhsa_next_free_sgpr 24
		.amdhsa_reserve_vcc 1
		.amdhsa_reserve_flat_scratch 0
		.amdhsa_float_round_mode_32 0
		.amdhsa_float_round_mode_16_64 0
		.amdhsa_float_denorm_mode_32 3
		.amdhsa_float_denorm_mode_16_64 3
		.amdhsa_dx10_clamp 1
		.amdhsa_ieee_mode 1
		.amdhsa_fp16_overflow 0
		.amdhsa_exception_fp_ieee_invalid_op 0
		.amdhsa_exception_fp_denorm_src 0
		.amdhsa_exception_fp_ieee_div_zero 0
		.amdhsa_exception_fp_ieee_overflow 0
		.amdhsa_exception_fp_ieee_underflow 0
		.amdhsa_exception_fp_ieee_inexact 0
		.amdhsa_exception_int_div_zero 0
	.end_amdhsa_kernel
	.section	.text._ZL41rocblas_syrkx_herkx_small_restrict_kernelIlfLi16ELb1ELb0ELc67ELc85EKPKfKPfEviT_T0_PT6_S5_lS8_S5_lS6_PT7_S5_li,"axG",@progbits,_ZL41rocblas_syrkx_herkx_small_restrict_kernelIlfLi16ELb1ELb0ELc67ELc85EKPKfKPfEviT_T0_PT6_S5_lS8_S5_lS6_PT7_S5_li,comdat
.Lfunc_end1428:
	.size	_ZL41rocblas_syrkx_herkx_small_restrict_kernelIlfLi16ELb1ELb0ELc67ELc85EKPKfKPfEviT_T0_PT6_S5_lS8_S5_lS6_PT7_S5_li, .Lfunc_end1428-_ZL41rocblas_syrkx_herkx_small_restrict_kernelIlfLi16ELb1ELb0ELc67ELc85EKPKfKPfEviT_T0_PT6_S5_lS8_S5_lS6_PT7_S5_li
                                        ; -- End function
	.set _ZL41rocblas_syrkx_herkx_small_restrict_kernelIlfLi16ELb1ELb0ELc67ELc85EKPKfKPfEviT_T0_PT6_S5_lS8_S5_lS6_PT7_S5_li.num_vgpr, 21
	.set _ZL41rocblas_syrkx_herkx_small_restrict_kernelIlfLi16ELb1ELb0ELc67ELc85EKPKfKPfEviT_T0_PT6_S5_lS8_S5_lS6_PT7_S5_li.num_agpr, 0
	.set _ZL41rocblas_syrkx_herkx_small_restrict_kernelIlfLi16ELb1ELb0ELc67ELc85EKPKfKPfEviT_T0_PT6_S5_lS8_S5_lS6_PT7_S5_li.numbered_sgpr, 24
	.set _ZL41rocblas_syrkx_herkx_small_restrict_kernelIlfLi16ELb1ELb0ELc67ELc85EKPKfKPfEviT_T0_PT6_S5_lS8_S5_lS6_PT7_S5_li.num_named_barrier, 0
	.set _ZL41rocblas_syrkx_herkx_small_restrict_kernelIlfLi16ELb1ELb0ELc67ELc85EKPKfKPfEviT_T0_PT6_S5_lS8_S5_lS6_PT7_S5_li.private_seg_size, 0
	.set _ZL41rocblas_syrkx_herkx_small_restrict_kernelIlfLi16ELb1ELb0ELc67ELc85EKPKfKPfEviT_T0_PT6_S5_lS8_S5_lS6_PT7_S5_li.uses_vcc, 1
	.set _ZL41rocblas_syrkx_herkx_small_restrict_kernelIlfLi16ELb1ELb0ELc67ELc85EKPKfKPfEviT_T0_PT6_S5_lS8_S5_lS6_PT7_S5_li.uses_flat_scratch, 0
	.set _ZL41rocblas_syrkx_herkx_small_restrict_kernelIlfLi16ELb1ELb0ELc67ELc85EKPKfKPfEviT_T0_PT6_S5_lS8_S5_lS6_PT7_S5_li.has_dyn_sized_stack, 0
	.set _ZL41rocblas_syrkx_herkx_small_restrict_kernelIlfLi16ELb1ELb0ELc67ELc85EKPKfKPfEviT_T0_PT6_S5_lS8_S5_lS6_PT7_S5_li.has_recursion, 0
	.set _ZL41rocblas_syrkx_herkx_small_restrict_kernelIlfLi16ELb1ELb0ELc67ELc85EKPKfKPfEviT_T0_PT6_S5_lS8_S5_lS6_PT7_S5_li.has_indirect_call, 0
	.section	.AMDGPU.csdata,"",@progbits
; Kernel info:
; codeLenInByte = 720
; TotalNumSgprs: 28
; NumVgprs: 21
; ScratchSize: 0
; MemoryBound: 0
; FloatMode: 240
; IeeeMode: 1
; LDSByteSize: 2048 bytes/workgroup (compile time only)
; SGPRBlocks: 3
; VGPRBlocks: 5
; NumSGPRsForWavesPerEU: 28
; NumVGPRsForWavesPerEU: 21
; Occupancy: 10
; WaveLimiterHint : 1
; COMPUTE_PGM_RSRC2:SCRATCH_EN: 0
; COMPUTE_PGM_RSRC2:USER_SGPR: 6
; COMPUTE_PGM_RSRC2:TRAP_HANDLER: 0
; COMPUTE_PGM_RSRC2:TGID_X_EN: 1
; COMPUTE_PGM_RSRC2:TGID_Y_EN: 1
; COMPUTE_PGM_RSRC2:TGID_Z_EN: 1
; COMPUTE_PGM_RSRC2:TIDIG_COMP_CNT: 1
	.section	.text._ZL41rocblas_syrkx_herkx_small_restrict_kernelIlfLi16ELb1ELb0ELc78ELc85EKPKfKPfEviT_T0_PT6_S5_lS8_S5_lS6_PT7_S5_li,"axG",@progbits,_ZL41rocblas_syrkx_herkx_small_restrict_kernelIlfLi16ELb1ELb0ELc78ELc85EKPKfKPfEviT_T0_PT6_S5_lS8_S5_lS6_PT7_S5_li,comdat
	.globl	_ZL41rocblas_syrkx_herkx_small_restrict_kernelIlfLi16ELb1ELb0ELc78ELc85EKPKfKPfEviT_T0_PT6_S5_lS8_S5_lS6_PT7_S5_li ; -- Begin function _ZL41rocblas_syrkx_herkx_small_restrict_kernelIlfLi16ELb1ELb0ELc78ELc85EKPKfKPfEviT_T0_PT6_S5_lS8_S5_lS6_PT7_S5_li
	.p2align	8
	.type	_ZL41rocblas_syrkx_herkx_small_restrict_kernelIlfLi16ELb1ELb0ELc78ELc85EKPKfKPfEviT_T0_PT6_S5_lS8_S5_lS6_PT7_S5_li,@function
_ZL41rocblas_syrkx_herkx_small_restrict_kernelIlfLi16ELb1ELb0ELc78ELc85EKPKfKPfEviT_T0_PT6_S5_lS8_S5_lS6_PT7_S5_li: ; @_ZL41rocblas_syrkx_herkx_small_restrict_kernelIlfLi16ELb1ELb0ELc78ELc85EKPKfKPfEviT_T0_PT6_S5_lS8_S5_lS6_PT7_S5_li
; %bb.0:
	s_load_dwordx4 s[0:3], s[4:5], 0x50
	s_load_dwordx2 s[18:19], s[4:5], 0x8
	s_mov_b32 s9, 0
	s_lshl_b64 s[20:21], s[8:9], 3
	v_lshl_add_u32 v2, s6, 4, v0
	s_waitcnt lgkmcnt(0)
	s_add_u32 s0, s0, s20
	s_addc_u32 s1, s1, s21
	s_load_dwordx2 s[16:17], s[0:1], 0x0
	v_cmp_lt_i64_e64 s[0:1], s[18:19], 1
	v_lshl_add_u32 v4, s7, 4, v1
	s_and_b64 vcc, exec, s[0:1]
	v_ashrrev_i32_e32 v3, 31, v2
	v_ashrrev_i32_e32 v5, 31, v4
	s_cbranch_vccnz .LBB1429_6
; %bb.1:
	s_load_dwordx4 s[12:15], s[4:5], 0x30
	s_load_dwordx4 s[8:11], s[4:5], 0x18
	v_lshlrev_b32_e32 v8, 2, v0
	v_lshlrev_b32_e32 v10, 6, v1
	v_add_u32_e32 v9, v8, v10
	s_waitcnt lgkmcnt(0)
	s_add_u32 s0, s12, s20
	v_mad_u64_u32 v[6:7], s[6:7], s14, v0, 0
	s_addc_u32 s1, s13, s21
	s_add_u32 s6, s8, s20
	s_addc_u32 s7, s9, s21
	s_load_dwordx2 s[8:9], s[6:7], 0x0
	v_mad_u64_u32 v[12:13], s[6:7], s15, v0, v[7:8]
	v_mad_u64_u32 v[14:15], s[6:7], s10, v1, 0
	v_mov_b32_e32 v7, v12
	v_lshlrev_b64 v[6:7], 2, v[6:7]
	v_lshlrev_b64 v[12:13], 2, v[4:5]
	s_load_dwordx2 s[0:1], s[0:1], 0x0
	v_add_co_u32_e32 v12, vcc, v6, v12
	v_mov_b32_e32 v0, v15
	v_addc_co_u32_e32 v13, vcc, v7, v13, vcc
	v_mad_u64_u32 v[6:7], s[6:7], s11, v1, v[0:1]
	s_waitcnt lgkmcnt(0)
	v_mov_b32_e32 v16, s1
	v_add_co_u32_e32 v0, vcc, s0, v12
	v_mov_b32_e32 v15, v6
	v_addc_co_u32_e32 v1, vcc, v16, v13, vcc
	v_lshlrev_b64 v[6:7], 2, v[14:15]
	v_lshlrev_b64 v[12:13], 2, v[2:3]
	v_add_u32_e32 v10, 0x400, v10
	v_add_co_u32_e32 v6, vcc, v6, v12
	v_addc_co_u32_e32 v7, vcc, v7, v13, vcc
	v_mov_b32_e32 v12, s9
	v_add_co_u32_e32 v6, vcc, s8, v6
	v_add_u32_e32 v11, v10, v8
	s_lshl_b64 s[6:7], s[14:15], 6
	v_addc_co_u32_e32 v7, vcc, v12, v7, vcc
	s_lshl_b64 s[8:9], s[10:11], 6
	v_mov_b32_e32 v12, 0
	s_mov_b64 s[10:11], 0
.LBB1429_2:                             ; =>This Inner Loop Header: Depth=1
	flat_load_dword v13, v[6:7]
	s_add_u32 s10, s10, 16
	v_mov_b32_e32 v17, s9
	v_add_co_u32_e32 v6, vcc, s8, v6
	v_mov_b32_e32 v16, s7
	s_addc_u32 s11, s11, 0
	v_addc_co_u32_e32 v7, vcc, v7, v17, vcc
	s_waitcnt vmcnt(0) lgkmcnt(0)
	ds_write_b32 v9, v13
	flat_load_dword v15, v[0:1]
	v_mov_b32_e32 v13, s18
	v_mov_b32_e32 v14, s19
	v_add_co_u32_e64 v0, s[0:1], s6, v0
	v_cmp_lt_i64_e32 vcc, s[10:11], v[13:14]
	v_addc_co_u32_e64 v1, s[0:1], v1, v16, s[0:1]
	s_and_b64 vcc, exec, vcc
	s_waitcnt vmcnt(0) lgkmcnt(0)
	ds_write_b32 v11, v15
	s_waitcnt lgkmcnt(0)
	s_barrier
	ds_read2_b32 v[21:22], v8 offset1:16
	ds_read_b128 v[13:16], v10
	ds_read_b128 v[17:20], v10 offset:16
	s_waitcnt lgkmcnt(1)
	v_fmac_f32_e32 v12, v21, v13
	v_fmac_f32_e32 v12, v22, v14
	ds_read2_b32 v[13:14], v8 offset0:32 offset1:48
	s_waitcnt lgkmcnt(0)
	v_fmac_f32_e32 v12, v13, v15
	v_fmac_f32_e32 v12, v14, v16
	ds_read2_b32 v[13:14], v8 offset0:64 offset1:80
	ds_read2_b32 v[15:16], v8 offset0:96 offset1:112
	;; [unrolled: 1-line block ×3, first 2 shown]
	s_waitcnt lgkmcnt(2)
	v_fmac_f32_e32 v12, v13, v17
	v_fmac_f32_e32 v12, v14, v18
	s_waitcnt lgkmcnt(1)
	v_fmac_f32_e32 v12, v15, v19
	v_fmac_f32_e32 v12, v16, v20
	ds_read_b128 v[13:16], v10 offset:32
	ds_read_b128 v[17:20], v10 offset:48
	s_waitcnt lgkmcnt(1)
	v_fmac_f32_e32 v12, v21, v13
	v_fmac_f32_e32 v12, v22, v14
	ds_read2_b32 v[13:14], v8 offset0:160 offset1:176
	s_waitcnt lgkmcnt(0)
	v_fmac_f32_e32 v12, v13, v15
	v_fmac_f32_e32 v12, v14, v16
	ds_read2_b32 v[13:14], v8 offset0:192 offset1:208
	ds_read2_b32 v[15:16], v8 offset0:224 offset1:240
	s_waitcnt lgkmcnt(0)
	s_barrier
	v_fmac_f32_e32 v12, v13, v17
	v_fmac_f32_e32 v12, v14, v18
	v_fmac_f32_e32 v12, v15, v19
	v_fmac_f32_e32 v12, v16, v20
	s_cbranch_vccnz .LBB1429_2
; %bb.3:
	v_cmp_le_i32_e32 vcc, v2, v4
	s_and_saveexec_b64 s[0:1], vcc
	s_cbranch_execz .LBB1429_5
.LBB1429_4:
	v_mul_lo_u32 v6, s3, v4
	v_mul_lo_u32 v5, s2, v5
	v_mad_u64_u32 v[0:1], s[0:1], s2, v4, 0
	s_load_dword s4, s[4:5], 0x10
	v_add3_u32 v1, v1, v5, v6
	v_lshlrev_b64 v[0:1], 2, v[0:1]
	s_waitcnt lgkmcnt(0)
	v_mov_b32_e32 v5, s17
	v_add_co_u32_e32 v6, vcc, s16, v0
	v_addc_co_u32_e32 v5, vcc, v5, v1, vcc
	v_lshlrev_b64 v[0:1], 2, v[2:3]
	v_mul_f32_e32 v4, s4, v12
	v_add_co_u32_e32 v0, vcc, v6, v0
	v_addc_co_u32_e32 v1, vcc, v5, v1, vcc
	flat_store_dword v[0:1], v4
.LBB1429_5:
	s_endpgm
.LBB1429_6:
	v_mov_b32_e32 v12, 0
	v_cmp_le_i32_e32 vcc, v2, v4
	s_and_saveexec_b64 s[0:1], vcc
	s_cbranch_execnz .LBB1429_4
	s_branch .LBB1429_5
	.section	.rodata,"a",@progbits
	.p2align	6, 0x0
	.amdhsa_kernel _ZL41rocblas_syrkx_herkx_small_restrict_kernelIlfLi16ELb1ELb0ELc78ELc85EKPKfKPfEviT_T0_PT6_S5_lS8_S5_lS6_PT7_S5_li
		.amdhsa_group_segment_fixed_size 2048
		.amdhsa_private_segment_fixed_size 0
		.amdhsa_kernarg_size 108
		.amdhsa_user_sgpr_count 6
		.amdhsa_user_sgpr_private_segment_buffer 1
		.amdhsa_user_sgpr_dispatch_ptr 0
		.amdhsa_user_sgpr_queue_ptr 0
		.amdhsa_user_sgpr_kernarg_segment_ptr 1
		.amdhsa_user_sgpr_dispatch_id 0
		.amdhsa_user_sgpr_flat_scratch_init 0
		.amdhsa_user_sgpr_private_segment_size 0
		.amdhsa_uses_dynamic_stack 0
		.amdhsa_system_sgpr_private_segment_wavefront_offset 0
		.amdhsa_system_sgpr_workgroup_id_x 1
		.amdhsa_system_sgpr_workgroup_id_y 1
		.amdhsa_system_sgpr_workgroup_id_z 1
		.amdhsa_system_sgpr_workgroup_info 0
		.amdhsa_system_vgpr_workitem_id 1
		.amdhsa_next_free_vgpr 23
		.amdhsa_next_free_sgpr 22
		.amdhsa_reserve_vcc 1
		.amdhsa_reserve_flat_scratch 0
		.amdhsa_float_round_mode_32 0
		.amdhsa_float_round_mode_16_64 0
		.amdhsa_float_denorm_mode_32 3
		.amdhsa_float_denorm_mode_16_64 3
		.amdhsa_dx10_clamp 1
		.amdhsa_ieee_mode 1
		.amdhsa_fp16_overflow 0
		.amdhsa_exception_fp_ieee_invalid_op 0
		.amdhsa_exception_fp_denorm_src 0
		.amdhsa_exception_fp_ieee_div_zero 0
		.amdhsa_exception_fp_ieee_overflow 0
		.amdhsa_exception_fp_ieee_underflow 0
		.amdhsa_exception_fp_ieee_inexact 0
		.amdhsa_exception_int_div_zero 0
	.end_amdhsa_kernel
	.section	.text._ZL41rocblas_syrkx_herkx_small_restrict_kernelIlfLi16ELb1ELb0ELc78ELc85EKPKfKPfEviT_T0_PT6_S5_lS8_S5_lS6_PT7_S5_li,"axG",@progbits,_ZL41rocblas_syrkx_herkx_small_restrict_kernelIlfLi16ELb1ELb0ELc78ELc85EKPKfKPfEviT_T0_PT6_S5_lS8_S5_lS6_PT7_S5_li,comdat
.Lfunc_end1429:
	.size	_ZL41rocblas_syrkx_herkx_small_restrict_kernelIlfLi16ELb1ELb0ELc78ELc85EKPKfKPfEviT_T0_PT6_S5_lS8_S5_lS6_PT7_S5_li, .Lfunc_end1429-_ZL41rocblas_syrkx_herkx_small_restrict_kernelIlfLi16ELb1ELb0ELc78ELc85EKPKfKPfEviT_T0_PT6_S5_lS8_S5_lS6_PT7_S5_li
                                        ; -- End function
	.set _ZL41rocblas_syrkx_herkx_small_restrict_kernelIlfLi16ELb1ELb0ELc78ELc85EKPKfKPfEviT_T0_PT6_S5_lS8_S5_lS6_PT7_S5_li.num_vgpr, 23
	.set _ZL41rocblas_syrkx_herkx_small_restrict_kernelIlfLi16ELb1ELb0ELc78ELc85EKPKfKPfEviT_T0_PT6_S5_lS8_S5_lS6_PT7_S5_li.num_agpr, 0
	.set _ZL41rocblas_syrkx_herkx_small_restrict_kernelIlfLi16ELb1ELb0ELc78ELc85EKPKfKPfEviT_T0_PT6_S5_lS8_S5_lS6_PT7_S5_li.numbered_sgpr, 22
	.set _ZL41rocblas_syrkx_herkx_small_restrict_kernelIlfLi16ELb1ELb0ELc78ELc85EKPKfKPfEviT_T0_PT6_S5_lS8_S5_lS6_PT7_S5_li.num_named_barrier, 0
	.set _ZL41rocblas_syrkx_herkx_small_restrict_kernelIlfLi16ELb1ELb0ELc78ELc85EKPKfKPfEviT_T0_PT6_S5_lS8_S5_lS6_PT7_S5_li.private_seg_size, 0
	.set _ZL41rocblas_syrkx_herkx_small_restrict_kernelIlfLi16ELb1ELb0ELc78ELc85EKPKfKPfEviT_T0_PT6_S5_lS8_S5_lS6_PT7_S5_li.uses_vcc, 1
	.set _ZL41rocblas_syrkx_herkx_small_restrict_kernelIlfLi16ELb1ELb0ELc78ELc85EKPKfKPfEviT_T0_PT6_S5_lS8_S5_lS6_PT7_S5_li.uses_flat_scratch, 0
	.set _ZL41rocblas_syrkx_herkx_small_restrict_kernelIlfLi16ELb1ELb0ELc78ELc85EKPKfKPfEviT_T0_PT6_S5_lS8_S5_lS6_PT7_S5_li.has_dyn_sized_stack, 0
	.set _ZL41rocblas_syrkx_herkx_small_restrict_kernelIlfLi16ELb1ELb0ELc78ELc85EKPKfKPfEviT_T0_PT6_S5_lS8_S5_lS6_PT7_S5_li.has_recursion, 0
	.set _ZL41rocblas_syrkx_herkx_small_restrict_kernelIlfLi16ELb1ELb0ELc78ELc85EKPKfKPfEviT_T0_PT6_S5_lS8_S5_lS6_PT7_S5_li.has_indirect_call, 0
	.section	.AMDGPU.csdata,"",@progbits
; Kernel info:
; codeLenInByte = 724
; TotalNumSgprs: 26
; NumVgprs: 23
; ScratchSize: 0
; MemoryBound: 0
; FloatMode: 240
; IeeeMode: 1
; LDSByteSize: 2048 bytes/workgroup (compile time only)
; SGPRBlocks: 3
; VGPRBlocks: 5
; NumSGPRsForWavesPerEU: 26
; NumVGPRsForWavesPerEU: 23
; Occupancy: 10
; WaveLimiterHint : 1
; COMPUTE_PGM_RSRC2:SCRATCH_EN: 0
; COMPUTE_PGM_RSRC2:USER_SGPR: 6
; COMPUTE_PGM_RSRC2:TRAP_HANDLER: 0
; COMPUTE_PGM_RSRC2:TGID_X_EN: 1
; COMPUTE_PGM_RSRC2:TGID_Y_EN: 1
; COMPUTE_PGM_RSRC2:TGID_Z_EN: 1
; COMPUTE_PGM_RSRC2:TIDIG_COMP_CNT: 1
	.section	.text._ZL41rocblas_syrkx_herkx_small_restrict_kernelIlfLi16ELb0ELb0ELc84ELc76EKPKfKPfEviT_T0_PT6_S5_lS8_S5_lS6_PT7_S5_li,"axG",@progbits,_ZL41rocblas_syrkx_herkx_small_restrict_kernelIlfLi16ELb0ELb0ELc84ELc76EKPKfKPfEviT_T0_PT6_S5_lS8_S5_lS6_PT7_S5_li,comdat
	.globl	_ZL41rocblas_syrkx_herkx_small_restrict_kernelIlfLi16ELb0ELb0ELc84ELc76EKPKfKPfEviT_T0_PT6_S5_lS8_S5_lS6_PT7_S5_li ; -- Begin function _ZL41rocblas_syrkx_herkx_small_restrict_kernelIlfLi16ELb0ELb0ELc84ELc76EKPKfKPfEviT_T0_PT6_S5_lS8_S5_lS6_PT7_S5_li
	.p2align	8
	.type	_ZL41rocblas_syrkx_herkx_small_restrict_kernelIlfLi16ELb0ELb0ELc84ELc76EKPKfKPfEviT_T0_PT6_S5_lS8_S5_lS6_PT7_S5_li,@function
_ZL41rocblas_syrkx_herkx_small_restrict_kernelIlfLi16ELb0ELb0ELc84ELc76EKPKfKPfEviT_T0_PT6_S5_lS8_S5_lS6_PT7_S5_li: ; @_ZL41rocblas_syrkx_herkx_small_restrict_kernelIlfLi16ELb0ELb0ELc84ELc76EKPKfKPfEviT_T0_PT6_S5_lS8_S5_lS6_PT7_S5_li
; %bb.0:
	s_load_dwordx4 s[0:3], s[4:5], 0x50
	s_load_dwordx2 s[10:11], s[4:5], 0x8
	s_mov_b32 s9, 0
	s_lshl_b64 s[12:13], s[8:9], 3
	v_lshl_add_u32 v2, s6, 4, v0
	s_waitcnt lgkmcnt(0)
	s_add_u32 s0, s0, s12
	s_addc_u32 s1, s1, s13
	s_load_dwordx2 s[8:9], s[0:1], 0x0
	v_cmp_lt_i64_e64 s[0:1], s[10:11], 1
	v_lshl_add_u32 v8, s7, 4, v1
	s_and_b64 vcc, exec, s[0:1]
	v_ashrrev_i32_e32 v3, 31, v2
	v_ashrrev_i32_e32 v9, 31, v8
	s_cbranch_vccnz .LBB1430_6
; %bb.1:
	s_load_dwordx4 s[16:19], s[4:5], 0x30
	s_load_dwordx4 s[20:23], s[4:5], 0x18
	v_lshlrev_b32_e32 v11, 2, v0
	v_lshlrev_b32_e32 v15, 6, v1
	v_mov_b32_e32 v10, 0
	s_waitcnt lgkmcnt(0)
	s_add_u32 s0, s16, s12
	s_addc_u32 s1, s17, s13
	s_add_u32 s6, s20, s12
	v_mul_lo_u32 v6, s23, v2
	v_mul_lo_u32 v7, s22, v3
	v_mad_u64_u32 v[4:5], s[14:15], s22, v2, 0
	s_addc_u32 s7, s21, s13
	s_load_dwordx2 s[12:13], s[6:7], 0x0
	s_load_dwordx2 s[14:15], s[0:1], 0x0
	v_add3_u32 v5, v5, v7, v6
	v_lshlrev_b32_e32 v6, 2, v1
	v_lshlrev_b64 v[4:5], 2, v[4:5]
	s_waitcnt lgkmcnt(0)
	v_mov_b32_e32 v7, s13
	v_add_co_u32_e32 v6, vcc, s12, v6
	v_addc_co_u32_e32 v7, vcc, 0, v7, vcc
	v_add_co_u32_e32 v4, vcc, v6, v4
	v_addc_co_u32_e32 v5, vcc, v7, v5, vcc
	v_mul_lo_u32 v13, s19, v8
	v_mul_lo_u32 v14, s18, v9
	v_mad_u64_u32 v[6:7], s[0:1], s18, v8, 0
	v_mov_b32_e32 v0, s15
	v_add_u32_e32 v12, v11, v15
	v_add3_u32 v7, v7, v14, v13
	v_add_co_u32_e32 v13, vcc, s14, v11
	v_addc_co_u32_e32 v14, vcc, 0, v0, vcc
	v_lshlrev_b64 v[0:1], 2, v[6:7]
	v_mov_b32_e32 v6, s10
	v_add_co_u32_e32 v0, vcc, v13, v0
	v_add_u32_e32 v13, 0x400, v15
	v_addc_co_u32_e32 v1, vcc, v14, v1, vcc
	v_add_u32_e32 v14, v13, v11
	s_mov_b64 s[6:7], 0
	v_mov_b32_e32 v7, s11
.LBB1430_2:                             ; =>This Inner Loop Header: Depth=1
	flat_load_dword v15, v[4:5]
	s_add_u32 s6, s6, 16
	v_add_co_u32_e32 v4, vcc, 64, v4
	v_addc_co_u32_e32 v5, vcc, 0, v5, vcc
	s_addc_u32 s7, s7, 0
	v_cmp_lt_i64_e32 vcc, s[6:7], v[6:7]
	s_and_b64 vcc, exec, vcc
	s_waitcnt vmcnt(0) lgkmcnt(0)
	ds_write_b32 v12, v15
	flat_load_dword v15, v[0:1]
	v_add_co_u32_e64 v0, s[0:1], 64, v0
	v_addc_co_u32_e64 v1, s[0:1], 0, v1, s[0:1]
	s_waitcnt vmcnt(0) lgkmcnt(0)
	ds_write_b32 v14, v15
	s_waitcnt lgkmcnt(0)
	s_barrier
	ds_read2_b32 v[19:20], v11 offset1:16
	ds_read_b128 v[15:18], v13
	s_waitcnt lgkmcnt(0)
	v_fmac_f32_e32 v10, v19, v15
	v_fmac_f32_e32 v10, v20, v16
	ds_read2_b32 v[15:16], v11 offset0:32 offset1:48
	s_waitcnt lgkmcnt(0)
	v_fmac_f32_e32 v10, v15, v17
	v_fmac_f32_e32 v10, v16, v18
	ds_read2_b32 v[19:20], v11 offset0:64 offset1:80
	ds_read_b128 v[15:18], v13 offset:16
	s_waitcnt lgkmcnt(0)
	v_fmac_f32_e32 v10, v19, v15
	v_fmac_f32_e32 v10, v20, v16
	ds_read2_b32 v[15:16], v11 offset0:96 offset1:112
	s_waitcnt lgkmcnt(0)
	v_fmac_f32_e32 v10, v15, v17
	v_fmac_f32_e32 v10, v16, v18
	ds_read2_b32 v[19:20], v11 offset0:128 offset1:144
	ds_read_b128 v[15:18], v13 offset:32
	;; [unrolled: 9-line block ×3, first 2 shown]
	s_waitcnt lgkmcnt(0)
	v_fmac_f32_e32 v10, v19, v15
	v_fmac_f32_e32 v10, v20, v16
	ds_read2_b32 v[15:16], v11 offset0:224 offset1:240
	s_waitcnt lgkmcnt(0)
	s_barrier
	v_fmac_f32_e32 v10, v15, v17
	v_fmac_f32_e32 v10, v16, v18
	s_cbranch_vccnz .LBB1430_2
; %bb.3:
	v_cmp_le_i32_e32 vcc, v8, v2
	s_and_saveexec_b64 s[0:1], vcc
	s_cbranch_execz .LBB1430_5
.LBB1430_4:
	v_mul_lo_u32 v4, s3, v8
	v_mul_lo_u32 v5, s2, v9
	v_mad_u64_u32 v[0:1], s[0:1], s2, v8, 0
	v_add3_u32 v1, v1, v5, v4
	v_lshlrev_b64 v[0:1], 2, v[0:1]
	s_waitcnt lgkmcnt(0)
	v_mov_b32_e32 v4, s9
	v_add_co_u32_e32 v5, vcc, s8, v0
	v_addc_co_u32_e32 v4, vcc, v4, v1, vcc
	v_lshlrev_b64 v[0:1], 2, v[2:3]
	v_add_co_u32_e32 v0, vcc, v5, v0
	v_addc_co_u32_e32 v1, vcc, v4, v1, vcc
	flat_load_dword v2, v[0:1]
	s_load_dword s0, s[4:5], 0x48
	s_load_dword s1, s[4:5], 0x10
	s_waitcnt vmcnt(0) lgkmcnt(0)
	v_mul_f32_e32 v2, s0, v2
	v_fmac_f32_e32 v2, s1, v10
	flat_store_dword v[0:1], v2
.LBB1430_5:
	s_endpgm
.LBB1430_6:
	v_mov_b32_e32 v10, 0
	v_cmp_le_i32_e32 vcc, v8, v2
	s_and_saveexec_b64 s[0:1], vcc
	s_cbranch_execnz .LBB1430_4
	s_branch .LBB1430_5
	.section	.rodata,"a",@progbits
	.p2align	6, 0x0
	.amdhsa_kernel _ZL41rocblas_syrkx_herkx_small_restrict_kernelIlfLi16ELb0ELb0ELc84ELc76EKPKfKPfEviT_T0_PT6_S5_lS8_S5_lS6_PT7_S5_li
		.amdhsa_group_segment_fixed_size 2048
		.amdhsa_private_segment_fixed_size 0
		.amdhsa_kernarg_size 108
		.amdhsa_user_sgpr_count 6
		.amdhsa_user_sgpr_private_segment_buffer 1
		.amdhsa_user_sgpr_dispatch_ptr 0
		.amdhsa_user_sgpr_queue_ptr 0
		.amdhsa_user_sgpr_kernarg_segment_ptr 1
		.amdhsa_user_sgpr_dispatch_id 0
		.amdhsa_user_sgpr_flat_scratch_init 0
		.amdhsa_user_sgpr_private_segment_size 0
		.amdhsa_uses_dynamic_stack 0
		.amdhsa_system_sgpr_private_segment_wavefront_offset 0
		.amdhsa_system_sgpr_workgroup_id_x 1
		.amdhsa_system_sgpr_workgroup_id_y 1
		.amdhsa_system_sgpr_workgroup_id_z 1
		.amdhsa_system_sgpr_workgroup_info 0
		.amdhsa_system_vgpr_workitem_id 1
		.amdhsa_next_free_vgpr 21
		.amdhsa_next_free_sgpr 24
		.amdhsa_reserve_vcc 1
		.amdhsa_reserve_flat_scratch 0
		.amdhsa_float_round_mode_32 0
		.amdhsa_float_round_mode_16_64 0
		.amdhsa_float_denorm_mode_32 3
		.amdhsa_float_denorm_mode_16_64 3
		.amdhsa_dx10_clamp 1
		.amdhsa_ieee_mode 1
		.amdhsa_fp16_overflow 0
		.amdhsa_exception_fp_ieee_invalid_op 0
		.amdhsa_exception_fp_denorm_src 0
		.amdhsa_exception_fp_ieee_div_zero 0
		.amdhsa_exception_fp_ieee_overflow 0
		.amdhsa_exception_fp_ieee_underflow 0
		.amdhsa_exception_fp_ieee_inexact 0
		.amdhsa_exception_int_div_zero 0
	.end_amdhsa_kernel
	.section	.text._ZL41rocblas_syrkx_herkx_small_restrict_kernelIlfLi16ELb0ELb0ELc84ELc76EKPKfKPfEviT_T0_PT6_S5_lS8_S5_lS6_PT7_S5_li,"axG",@progbits,_ZL41rocblas_syrkx_herkx_small_restrict_kernelIlfLi16ELb0ELb0ELc84ELc76EKPKfKPfEviT_T0_PT6_S5_lS8_S5_lS6_PT7_S5_li,comdat
.Lfunc_end1430:
	.size	_ZL41rocblas_syrkx_herkx_small_restrict_kernelIlfLi16ELb0ELb0ELc84ELc76EKPKfKPfEviT_T0_PT6_S5_lS8_S5_lS6_PT7_S5_li, .Lfunc_end1430-_ZL41rocblas_syrkx_herkx_small_restrict_kernelIlfLi16ELb0ELb0ELc84ELc76EKPKfKPfEviT_T0_PT6_S5_lS8_S5_lS6_PT7_S5_li
                                        ; -- End function
	.set _ZL41rocblas_syrkx_herkx_small_restrict_kernelIlfLi16ELb0ELb0ELc84ELc76EKPKfKPfEviT_T0_PT6_S5_lS8_S5_lS6_PT7_S5_li.num_vgpr, 21
	.set _ZL41rocblas_syrkx_herkx_small_restrict_kernelIlfLi16ELb0ELb0ELc84ELc76EKPKfKPfEviT_T0_PT6_S5_lS8_S5_lS6_PT7_S5_li.num_agpr, 0
	.set _ZL41rocblas_syrkx_herkx_small_restrict_kernelIlfLi16ELb0ELb0ELc84ELc76EKPKfKPfEviT_T0_PT6_S5_lS8_S5_lS6_PT7_S5_li.numbered_sgpr, 24
	.set _ZL41rocblas_syrkx_herkx_small_restrict_kernelIlfLi16ELb0ELb0ELc84ELc76EKPKfKPfEviT_T0_PT6_S5_lS8_S5_lS6_PT7_S5_li.num_named_barrier, 0
	.set _ZL41rocblas_syrkx_herkx_small_restrict_kernelIlfLi16ELb0ELb0ELc84ELc76EKPKfKPfEviT_T0_PT6_S5_lS8_S5_lS6_PT7_S5_li.private_seg_size, 0
	.set _ZL41rocblas_syrkx_herkx_small_restrict_kernelIlfLi16ELb0ELb0ELc84ELc76EKPKfKPfEviT_T0_PT6_S5_lS8_S5_lS6_PT7_S5_li.uses_vcc, 1
	.set _ZL41rocblas_syrkx_herkx_small_restrict_kernelIlfLi16ELb0ELb0ELc84ELc76EKPKfKPfEviT_T0_PT6_S5_lS8_S5_lS6_PT7_S5_li.uses_flat_scratch, 0
	.set _ZL41rocblas_syrkx_herkx_small_restrict_kernelIlfLi16ELb0ELb0ELc84ELc76EKPKfKPfEviT_T0_PT6_S5_lS8_S5_lS6_PT7_S5_li.has_dyn_sized_stack, 0
	.set _ZL41rocblas_syrkx_herkx_small_restrict_kernelIlfLi16ELb0ELb0ELc84ELc76EKPKfKPfEviT_T0_PT6_S5_lS8_S5_lS6_PT7_S5_li.has_recursion, 0
	.set _ZL41rocblas_syrkx_herkx_small_restrict_kernelIlfLi16ELb0ELb0ELc84ELc76EKPKfKPfEviT_T0_PT6_S5_lS8_S5_lS6_PT7_S5_li.has_indirect_call, 0
	.section	.AMDGPU.csdata,"",@progbits
; Kernel info:
; codeLenInByte = 744
; TotalNumSgprs: 28
; NumVgprs: 21
; ScratchSize: 0
; MemoryBound: 0
; FloatMode: 240
; IeeeMode: 1
; LDSByteSize: 2048 bytes/workgroup (compile time only)
; SGPRBlocks: 3
; VGPRBlocks: 5
; NumSGPRsForWavesPerEU: 28
; NumVGPRsForWavesPerEU: 21
; Occupancy: 10
; WaveLimiterHint : 1
; COMPUTE_PGM_RSRC2:SCRATCH_EN: 0
; COMPUTE_PGM_RSRC2:USER_SGPR: 6
; COMPUTE_PGM_RSRC2:TRAP_HANDLER: 0
; COMPUTE_PGM_RSRC2:TGID_X_EN: 1
; COMPUTE_PGM_RSRC2:TGID_Y_EN: 1
; COMPUTE_PGM_RSRC2:TGID_Z_EN: 1
; COMPUTE_PGM_RSRC2:TIDIG_COMP_CNT: 1
	.section	.text._ZL41rocblas_syrkx_herkx_small_restrict_kernelIlfLi16ELb0ELb0ELc67ELc76EKPKfKPfEviT_T0_PT6_S5_lS8_S5_lS6_PT7_S5_li,"axG",@progbits,_ZL41rocblas_syrkx_herkx_small_restrict_kernelIlfLi16ELb0ELb0ELc67ELc76EKPKfKPfEviT_T0_PT6_S5_lS8_S5_lS6_PT7_S5_li,comdat
	.globl	_ZL41rocblas_syrkx_herkx_small_restrict_kernelIlfLi16ELb0ELb0ELc67ELc76EKPKfKPfEviT_T0_PT6_S5_lS8_S5_lS6_PT7_S5_li ; -- Begin function _ZL41rocblas_syrkx_herkx_small_restrict_kernelIlfLi16ELb0ELb0ELc67ELc76EKPKfKPfEviT_T0_PT6_S5_lS8_S5_lS6_PT7_S5_li
	.p2align	8
	.type	_ZL41rocblas_syrkx_herkx_small_restrict_kernelIlfLi16ELb0ELb0ELc67ELc76EKPKfKPfEviT_T0_PT6_S5_lS8_S5_lS6_PT7_S5_li,@function
_ZL41rocblas_syrkx_herkx_small_restrict_kernelIlfLi16ELb0ELb0ELc67ELc76EKPKfKPfEviT_T0_PT6_S5_lS8_S5_lS6_PT7_S5_li: ; @_ZL41rocblas_syrkx_herkx_small_restrict_kernelIlfLi16ELb0ELb0ELc67ELc76EKPKfKPfEviT_T0_PT6_S5_lS8_S5_lS6_PT7_S5_li
; %bb.0:
	s_load_dwordx4 s[0:3], s[4:5], 0x50
	s_load_dwordx2 s[10:11], s[4:5], 0x8
	s_mov_b32 s9, 0
	s_lshl_b64 s[12:13], s[8:9], 3
	v_lshl_add_u32 v2, s6, 4, v0
	s_waitcnt lgkmcnt(0)
	s_add_u32 s0, s0, s12
	s_addc_u32 s1, s1, s13
	s_load_dwordx2 s[8:9], s[0:1], 0x0
	v_cmp_lt_i64_e64 s[0:1], s[10:11], 1
	v_lshl_add_u32 v8, s7, 4, v1
	s_and_b64 vcc, exec, s[0:1]
	v_ashrrev_i32_e32 v3, 31, v2
	v_ashrrev_i32_e32 v9, 31, v8
	s_cbranch_vccnz .LBB1431_6
; %bb.1:
	s_load_dwordx4 s[16:19], s[4:5], 0x30
	s_load_dwordx4 s[20:23], s[4:5], 0x18
	v_lshlrev_b32_e32 v11, 2, v0
	v_lshlrev_b32_e32 v15, 6, v1
	v_mov_b32_e32 v10, 0
	s_waitcnt lgkmcnt(0)
	s_add_u32 s0, s16, s12
	s_addc_u32 s1, s17, s13
	s_add_u32 s6, s20, s12
	v_mul_lo_u32 v6, s23, v2
	v_mul_lo_u32 v7, s22, v3
	v_mad_u64_u32 v[4:5], s[14:15], s22, v2, 0
	s_addc_u32 s7, s21, s13
	s_load_dwordx2 s[12:13], s[6:7], 0x0
	s_load_dwordx2 s[14:15], s[0:1], 0x0
	v_add3_u32 v5, v5, v7, v6
	v_lshlrev_b32_e32 v6, 2, v1
	v_lshlrev_b64 v[4:5], 2, v[4:5]
	s_waitcnt lgkmcnt(0)
	v_mov_b32_e32 v7, s13
	v_add_co_u32_e32 v6, vcc, s12, v6
	v_addc_co_u32_e32 v7, vcc, 0, v7, vcc
	v_add_co_u32_e32 v4, vcc, v6, v4
	v_addc_co_u32_e32 v5, vcc, v7, v5, vcc
	v_mul_lo_u32 v13, s19, v8
	v_mul_lo_u32 v14, s18, v9
	v_mad_u64_u32 v[6:7], s[0:1], s18, v8, 0
	v_mov_b32_e32 v0, s15
	v_add_u32_e32 v12, v11, v15
	v_add3_u32 v7, v7, v14, v13
	v_add_co_u32_e32 v13, vcc, s14, v11
	v_addc_co_u32_e32 v14, vcc, 0, v0, vcc
	v_lshlrev_b64 v[0:1], 2, v[6:7]
	v_mov_b32_e32 v6, s10
	v_add_co_u32_e32 v0, vcc, v13, v0
	v_add_u32_e32 v13, 0x400, v15
	v_addc_co_u32_e32 v1, vcc, v14, v1, vcc
	v_add_u32_e32 v14, v13, v11
	s_mov_b64 s[6:7], 0
	v_mov_b32_e32 v7, s11
.LBB1431_2:                             ; =>This Inner Loop Header: Depth=1
	flat_load_dword v15, v[4:5]
	s_add_u32 s6, s6, 16
	v_add_co_u32_e32 v4, vcc, 64, v4
	v_addc_co_u32_e32 v5, vcc, 0, v5, vcc
	s_addc_u32 s7, s7, 0
	v_cmp_lt_i64_e32 vcc, s[6:7], v[6:7]
	s_and_b64 vcc, exec, vcc
	s_waitcnt vmcnt(0) lgkmcnt(0)
	ds_write_b32 v12, v15
	flat_load_dword v15, v[0:1]
	v_add_co_u32_e64 v0, s[0:1], 64, v0
	v_addc_co_u32_e64 v1, s[0:1], 0, v1, s[0:1]
	s_waitcnt vmcnt(0) lgkmcnt(0)
	ds_write_b32 v14, v15
	s_waitcnt lgkmcnt(0)
	s_barrier
	ds_read2_b32 v[19:20], v11 offset1:16
	ds_read_b128 v[15:18], v13
	s_waitcnt lgkmcnt(0)
	v_fmac_f32_e32 v10, v19, v15
	v_fmac_f32_e32 v10, v20, v16
	ds_read2_b32 v[15:16], v11 offset0:32 offset1:48
	s_waitcnt lgkmcnt(0)
	v_fmac_f32_e32 v10, v15, v17
	v_fmac_f32_e32 v10, v16, v18
	ds_read2_b32 v[19:20], v11 offset0:64 offset1:80
	ds_read_b128 v[15:18], v13 offset:16
	s_waitcnt lgkmcnt(0)
	v_fmac_f32_e32 v10, v19, v15
	v_fmac_f32_e32 v10, v20, v16
	ds_read2_b32 v[15:16], v11 offset0:96 offset1:112
	s_waitcnt lgkmcnt(0)
	v_fmac_f32_e32 v10, v15, v17
	v_fmac_f32_e32 v10, v16, v18
	ds_read2_b32 v[19:20], v11 offset0:128 offset1:144
	ds_read_b128 v[15:18], v13 offset:32
	;; [unrolled: 9-line block ×3, first 2 shown]
	s_waitcnt lgkmcnt(0)
	v_fmac_f32_e32 v10, v19, v15
	v_fmac_f32_e32 v10, v20, v16
	ds_read2_b32 v[15:16], v11 offset0:224 offset1:240
	s_waitcnt lgkmcnt(0)
	s_barrier
	v_fmac_f32_e32 v10, v15, v17
	v_fmac_f32_e32 v10, v16, v18
	s_cbranch_vccnz .LBB1431_2
; %bb.3:
	v_cmp_le_i32_e32 vcc, v8, v2
	s_and_saveexec_b64 s[0:1], vcc
	s_cbranch_execz .LBB1431_5
.LBB1431_4:
	v_mul_lo_u32 v4, s3, v8
	v_mul_lo_u32 v5, s2, v9
	v_mad_u64_u32 v[0:1], s[0:1], s2, v8, 0
	v_add3_u32 v1, v1, v5, v4
	v_lshlrev_b64 v[0:1], 2, v[0:1]
	s_waitcnt lgkmcnt(0)
	v_mov_b32_e32 v4, s9
	v_add_co_u32_e32 v5, vcc, s8, v0
	v_addc_co_u32_e32 v4, vcc, v4, v1, vcc
	v_lshlrev_b64 v[0:1], 2, v[2:3]
	v_add_co_u32_e32 v0, vcc, v5, v0
	v_addc_co_u32_e32 v1, vcc, v4, v1, vcc
	flat_load_dword v2, v[0:1]
	s_load_dword s0, s[4:5], 0x48
	s_load_dword s1, s[4:5], 0x10
	s_waitcnt vmcnt(0) lgkmcnt(0)
	v_mul_f32_e32 v2, s0, v2
	v_fmac_f32_e32 v2, s1, v10
	flat_store_dword v[0:1], v2
.LBB1431_5:
	s_endpgm
.LBB1431_6:
	v_mov_b32_e32 v10, 0
	v_cmp_le_i32_e32 vcc, v8, v2
	s_and_saveexec_b64 s[0:1], vcc
	s_cbranch_execnz .LBB1431_4
	s_branch .LBB1431_5
	.section	.rodata,"a",@progbits
	.p2align	6, 0x0
	.amdhsa_kernel _ZL41rocblas_syrkx_herkx_small_restrict_kernelIlfLi16ELb0ELb0ELc67ELc76EKPKfKPfEviT_T0_PT6_S5_lS8_S5_lS6_PT7_S5_li
		.amdhsa_group_segment_fixed_size 2048
		.amdhsa_private_segment_fixed_size 0
		.amdhsa_kernarg_size 108
		.amdhsa_user_sgpr_count 6
		.amdhsa_user_sgpr_private_segment_buffer 1
		.amdhsa_user_sgpr_dispatch_ptr 0
		.amdhsa_user_sgpr_queue_ptr 0
		.amdhsa_user_sgpr_kernarg_segment_ptr 1
		.amdhsa_user_sgpr_dispatch_id 0
		.amdhsa_user_sgpr_flat_scratch_init 0
		.amdhsa_user_sgpr_private_segment_size 0
		.amdhsa_uses_dynamic_stack 0
		.amdhsa_system_sgpr_private_segment_wavefront_offset 0
		.amdhsa_system_sgpr_workgroup_id_x 1
		.amdhsa_system_sgpr_workgroup_id_y 1
		.amdhsa_system_sgpr_workgroup_id_z 1
		.amdhsa_system_sgpr_workgroup_info 0
		.amdhsa_system_vgpr_workitem_id 1
		.amdhsa_next_free_vgpr 21
		.amdhsa_next_free_sgpr 24
		.amdhsa_reserve_vcc 1
		.amdhsa_reserve_flat_scratch 0
		.amdhsa_float_round_mode_32 0
		.amdhsa_float_round_mode_16_64 0
		.amdhsa_float_denorm_mode_32 3
		.amdhsa_float_denorm_mode_16_64 3
		.amdhsa_dx10_clamp 1
		.amdhsa_ieee_mode 1
		.amdhsa_fp16_overflow 0
		.amdhsa_exception_fp_ieee_invalid_op 0
		.amdhsa_exception_fp_denorm_src 0
		.amdhsa_exception_fp_ieee_div_zero 0
		.amdhsa_exception_fp_ieee_overflow 0
		.amdhsa_exception_fp_ieee_underflow 0
		.amdhsa_exception_fp_ieee_inexact 0
		.amdhsa_exception_int_div_zero 0
	.end_amdhsa_kernel
	.section	.text._ZL41rocblas_syrkx_herkx_small_restrict_kernelIlfLi16ELb0ELb0ELc67ELc76EKPKfKPfEviT_T0_PT6_S5_lS8_S5_lS6_PT7_S5_li,"axG",@progbits,_ZL41rocblas_syrkx_herkx_small_restrict_kernelIlfLi16ELb0ELb0ELc67ELc76EKPKfKPfEviT_T0_PT6_S5_lS8_S5_lS6_PT7_S5_li,comdat
.Lfunc_end1431:
	.size	_ZL41rocblas_syrkx_herkx_small_restrict_kernelIlfLi16ELb0ELb0ELc67ELc76EKPKfKPfEviT_T0_PT6_S5_lS8_S5_lS6_PT7_S5_li, .Lfunc_end1431-_ZL41rocblas_syrkx_herkx_small_restrict_kernelIlfLi16ELb0ELb0ELc67ELc76EKPKfKPfEviT_T0_PT6_S5_lS8_S5_lS6_PT7_S5_li
                                        ; -- End function
	.set _ZL41rocblas_syrkx_herkx_small_restrict_kernelIlfLi16ELb0ELb0ELc67ELc76EKPKfKPfEviT_T0_PT6_S5_lS8_S5_lS6_PT7_S5_li.num_vgpr, 21
	.set _ZL41rocblas_syrkx_herkx_small_restrict_kernelIlfLi16ELb0ELb0ELc67ELc76EKPKfKPfEviT_T0_PT6_S5_lS8_S5_lS6_PT7_S5_li.num_agpr, 0
	.set _ZL41rocblas_syrkx_herkx_small_restrict_kernelIlfLi16ELb0ELb0ELc67ELc76EKPKfKPfEviT_T0_PT6_S5_lS8_S5_lS6_PT7_S5_li.numbered_sgpr, 24
	.set _ZL41rocblas_syrkx_herkx_small_restrict_kernelIlfLi16ELb0ELb0ELc67ELc76EKPKfKPfEviT_T0_PT6_S5_lS8_S5_lS6_PT7_S5_li.num_named_barrier, 0
	.set _ZL41rocblas_syrkx_herkx_small_restrict_kernelIlfLi16ELb0ELb0ELc67ELc76EKPKfKPfEviT_T0_PT6_S5_lS8_S5_lS6_PT7_S5_li.private_seg_size, 0
	.set _ZL41rocblas_syrkx_herkx_small_restrict_kernelIlfLi16ELb0ELb0ELc67ELc76EKPKfKPfEviT_T0_PT6_S5_lS8_S5_lS6_PT7_S5_li.uses_vcc, 1
	.set _ZL41rocblas_syrkx_herkx_small_restrict_kernelIlfLi16ELb0ELb0ELc67ELc76EKPKfKPfEviT_T0_PT6_S5_lS8_S5_lS6_PT7_S5_li.uses_flat_scratch, 0
	.set _ZL41rocblas_syrkx_herkx_small_restrict_kernelIlfLi16ELb0ELb0ELc67ELc76EKPKfKPfEviT_T0_PT6_S5_lS8_S5_lS6_PT7_S5_li.has_dyn_sized_stack, 0
	.set _ZL41rocblas_syrkx_herkx_small_restrict_kernelIlfLi16ELb0ELb0ELc67ELc76EKPKfKPfEviT_T0_PT6_S5_lS8_S5_lS6_PT7_S5_li.has_recursion, 0
	.set _ZL41rocblas_syrkx_herkx_small_restrict_kernelIlfLi16ELb0ELb0ELc67ELc76EKPKfKPfEviT_T0_PT6_S5_lS8_S5_lS6_PT7_S5_li.has_indirect_call, 0
	.section	.AMDGPU.csdata,"",@progbits
; Kernel info:
; codeLenInByte = 744
; TotalNumSgprs: 28
; NumVgprs: 21
; ScratchSize: 0
; MemoryBound: 0
; FloatMode: 240
; IeeeMode: 1
; LDSByteSize: 2048 bytes/workgroup (compile time only)
; SGPRBlocks: 3
; VGPRBlocks: 5
; NumSGPRsForWavesPerEU: 28
; NumVGPRsForWavesPerEU: 21
; Occupancy: 10
; WaveLimiterHint : 1
; COMPUTE_PGM_RSRC2:SCRATCH_EN: 0
; COMPUTE_PGM_RSRC2:USER_SGPR: 6
; COMPUTE_PGM_RSRC2:TRAP_HANDLER: 0
; COMPUTE_PGM_RSRC2:TGID_X_EN: 1
; COMPUTE_PGM_RSRC2:TGID_Y_EN: 1
; COMPUTE_PGM_RSRC2:TGID_Z_EN: 1
; COMPUTE_PGM_RSRC2:TIDIG_COMP_CNT: 1
	.section	.text._ZL41rocblas_syrkx_herkx_small_restrict_kernelIlfLi16ELb0ELb0ELc78ELc76EKPKfKPfEviT_T0_PT6_S5_lS8_S5_lS6_PT7_S5_li,"axG",@progbits,_ZL41rocblas_syrkx_herkx_small_restrict_kernelIlfLi16ELb0ELb0ELc78ELc76EKPKfKPfEviT_T0_PT6_S5_lS8_S5_lS6_PT7_S5_li,comdat
	.globl	_ZL41rocblas_syrkx_herkx_small_restrict_kernelIlfLi16ELb0ELb0ELc78ELc76EKPKfKPfEviT_T0_PT6_S5_lS8_S5_lS6_PT7_S5_li ; -- Begin function _ZL41rocblas_syrkx_herkx_small_restrict_kernelIlfLi16ELb0ELb0ELc78ELc76EKPKfKPfEviT_T0_PT6_S5_lS8_S5_lS6_PT7_S5_li
	.p2align	8
	.type	_ZL41rocblas_syrkx_herkx_small_restrict_kernelIlfLi16ELb0ELb0ELc78ELc76EKPKfKPfEviT_T0_PT6_S5_lS8_S5_lS6_PT7_S5_li,@function
_ZL41rocblas_syrkx_herkx_small_restrict_kernelIlfLi16ELb0ELb0ELc78ELc76EKPKfKPfEviT_T0_PT6_S5_lS8_S5_lS6_PT7_S5_li: ; @_ZL41rocblas_syrkx_herkx_small_restrict_kernelIlfLi16ELb0ELb0ELc78ELc76EKPKfKPfEviT_T0_PT6_S5_lS8_S5_lS6_PT7_S5_li
; %bb.0:
	s_load_dwordx4 s[0:3], s[4:5], 0x50
	s_load_dwordx2 s[18:19], s[4:5], 0x8
	s_mov_b32 s9, 0
	s_lshl_b64 s[20:21], s[8:9], 3
	v_lshl_add_u32 v2, s6, 4, v0
	s_waitcnt lgkmcnt(0)
	s_add_u32 s0, s0, s20
	s_addc_u32 s1, s1, s21
	s_load_dwordx2 s[16:17], s[0:1], 0x0
	v_cmp_lt_i64_e64 s[0:1], s[18:19], 1
	v_lshl_add_u32 v4, s7, 4, v1
	s_and_b64 vcc, exec, s[0:1]
	v_ashrrev_i32_e32 v3, 31, v2
	v_ashrrev_i32_e32 v5, 31, v4
	s_cbranch_vccnz .LBB1432_6
; %bb.1:
	s_load_dwordx4 s[12:15], s[4:5], 0x30
	s_load_dwordx4 s[8:11], s[4:5], 0x18
	v_lshlrev_b64 v[13:14], 2, v[4:5]
	v_lshlrev_b32_e32 v9, 2, v0
	v_lshlrev_b32_e32 v11, 6, v1
	s_waitcnt lgkmcnt(0)
	s_add_u32 s0, s12, s20
	v_mad_u64_u32 v[6:7], s[6:7], s14, v0, 0
	s_addc_u32 s1, s13, s21
	s_add_u32 s6, s8, s20
	s_addc_u32 s7, s9, s21
	s_load_dwordx2 s[8:9], s[6:7], 0x0
	v_mad_u64_u32 v[7:8], s[6:7], s15, v0, v[7:8]
	v_mad_u64_u32 v[15:16], s[6:7], s10, v1, 0
	v_lshlrev_b64 v[6:7], 2, v[6:7]
	s_load_dwordx2 s[0:1], s[0:1], 0x0
	v_add_co_u32_e32 v8, vcc, v6, v13
	v_mov_b32_e32 v0, v16
	v_addc_co_u32_e32 v13, vcc, v7, v14, vcc
	v_mad_u64_u32 v[6:7], s[6:7], s11, v1, v[0:1]
	s_waitcnt lgkmcnt(0)
	v_mov_b32_e32 v14, s1
	v_add_co_u32_e32 v0, vcc, s0, v8
	v_mov_b32_e32 v16, v6
	v_addc_co_u32_e32 v1, vcc, v14, v13, vcc
	v_lshlrev_b64 v[6:7], 2, v[15:16]
	v_lshlrev_b64 v[13:14], 2, v[2:3]
	v_add_u32_e32 v10, v9, v11
	v_add_co_u32_e32 v6, vcc, v6, v13
	v_addc_co_u32_e32 v7, vcc, v7, v14, vcc
	v_add_u32_e32 v11, 0x400, v11
	v_mov_b32_e32 v8, s9
	v_add_co_u32_e32 v6, vcc, s8, v6
	v_add_u32_e32 v12, v11, v9
	s_lshl_b64 s[6:7], s[14:15], 6
	v_addc_co_u32_e32 v7, vcc, v8, v7, vcc
	s_lshl_b64 s[8:9], s[10:11], 6
	v_mov_b32_e32 v8, 0
	s_mov_b64 s[10:11], 0
.LBB1432_2:                             ; =>This Inner Loop Header: Depth=1
	flat_load_dword v13, v[6:7]
	s_add_u32 s10, s10, 16
	v_mov_b32_e32 v17, s9
	v_add_co_u32_e32 v6, vcc, s8, v6
	v_mov_b32_e32 v16, s7
	s_addc_u32 s11, s11, 0
	v_addc_co_u32_e32 v7, vcc, v7, v17, vcc
	s_waitcnt vmcnt(0) lgkmcnt(0)
	ds_write_b32 v10, v13
	flat_load_dword v15, v[0:1]
	v_mov_b32_e32 v13, s18
	v_mov_b32_e32 v14, s19
	v_add_co_u32_e64 v0, s[0:1], s6, v0
	v_cmp_lt_i64_e32 vcc, s[10:11], v[13:14]
	v_addc_co_u32_e64 v1, s[0:1], v1, v16, s[0:1]
	s_and_b64 vcc, exec, vcc
	s_waitcnt vmcnt(0) lgkmcnt(0)
	ds_write_b32 v12, v15
	s_waitcnt lgkmcnt(0)
	s_barrier
	ds_read2_b32 v[21:22], v9 offset1:16
	ds_read_b128 v[13:16], v11
	ds_read_b128 v[17:20], v11 offset:16
	s_waitcnt lgkmcnt(1)
	v_fmac_f32_e32 v8, v21, v13
	v_fmac_f32_e32 v8, v22, v14
	ds_read2_b32 v[13:14], v9 offset0:32 offset1:48
	s_waitcnt lgkmcnt(0)
	v_fmac_f32_e32 v8, v13, v15
	v_fmac_f32_e32 v8, v14, v16
	ds_read2_b32 v[13:14], v9 offset0:64 offset1:80
	ds_read2_b32 v[15:16], v9 offset0:96 offset1:112
	;; [unrolled: 1-line block ×3, first 2 shown]
	s_waitcnt lgkmcnt(2)
	v_fmac_f32_e32 v8, v13, v17
	v_fmac_f32_e32 v8, v14, v18
	s_waitcnt lgkmcnt(1)
	v_fmac_f32_e32 v8, v15, v19
	v_fmac_f32_e32 v8, v16, v20
	ds_read_b128 v[13:16], v11 offset:32
	ds_read_b128 v[17:20], v11 offset:48
	s_waitcnt lgkmcnt(1)
	v_fmac_f32_e32 v8, v21, v13
	v_fmac_f32_e32 v8, v22, v14
	ds_read2_b32 v[13:14], v9 offset0:160 offset1:176
	s_waitcnt lgkmcnt(0)
	v_fmac_f32_e32 v8, v13, v15
	v_fmac_f32_e32 v8, v14, v16
	ds_read2_b32 v[13:14], v9 offset0:192 offset1:208
	ds_read2_b32 v[15:16], v9 offset0:224 offset1:240
	s_waitcnt lgkmcnt(0)
	s_barrier
	v_fmac_f32_e32 v8, v13, v17
	v_fmac_f32_e32 v8, v14, v18
	;; [unrolled: 1-line block ×4, first 2 shown]
	s_cbranch_vccnz .LBB1432_2
; %bb.3:
	v_cmp_le_i32_e32 vcc, v4, v2
	s_and_saveexec_b64 s[0:1], vcc
	s_cbranch_execz .LBB1432_5
.LBB1432_4:
	v_mul_lo_u32 v6, s3, v4
	v_mul_lo_u32 v5, s2, v5
	v_mad_u64_u32 v[0:1], s[0:1], s2, v4, 0
	s_waitcnt lgkmcnt(0)
	v_mov_b32_e32 v4, s17
	v_add3_u32 v1, v1, v5, v6
	v_lshlrev_b64 v[0:1], 2, v[0:1]
	v_add_co_u32_e32 v5, vcc, s16, v0
	v_addc_co_u32_e32 v4, vcc, v4, v1, vcc
	v_lshlrev_b64 v[0:1], 2, v[2:3]
	v_add_co_u32_e32 v0, vcc, v5, v0
	v_addc_co_u32_e32 v1, vcc, v4, v1, vcc
	flat_load_dword v2, v[0:1]
	s_load_dword s0, s[4:5], 0x48
	s_load_dword s1, s[4:5], 0x10
	s_waitcnt vmcnt(0) lgkmcnt(0)
	v_mul_f32_e32 v2, s0, v2
	v_fmac_f32_e32 v2, s1, v8
	flat_store_dword v[0:1], v2
.LBB1432_5:
	s_endpgm
.LBB1432_6:
	v_mov_b32_e32 v8, 0
	v_cmp_le_i32_e32 vcc, v4, v2
	s_and_saveexec_b64 s[0:1], vcc
	s_cbranch_execnz .LBB1432_4
	s_branch .LBB1432_5
	.section	.rodata,"a",@progbits
	.p2align	6, 0x0
	.amdhsa_kernel _ZL41rocblas_syrkx_herkx_small_restrict_kernelIlfLi16ELb0ELb0ELc78ELc76EKPKfKPfEviT_T0_PT6_S5_lS8_S5_lS6_PT7_S5_li
		.amdhsa_group_segment_fixed_size 2048
		.amdhsa_private_segment_fixed_size 0
		.amdhsa_kernarg_size 108
		.amdhsa_user_sgpr_count 6
		.amdhsa_user_sgpr_private_segment_buffer 1
		.amdhsa_user_sgpr_dispatch_ptr 0
		.amdhsa_user_sgpr_queue_ptr 0
		.amdhsa_user_sgpr_kernarg_segment_ptr 1
		.amdhsa_user_sgpr_dispatch_id 0
		.amdhsa_user_sgpr_flat_scratch_init 0
		.amdhsa_user_sgpr_private_segment_size 0
		.amdhsa_uses_dynamic_stack 0
		.amdhsa_system_sgpr_private_segment_wavefront_offset 0
		.amdhsa_system_sgpr_workgroup_id_x 1
		.amdhsa_system_sgpr_workgroup_id_y 1
		.amdhsa_system_sgpr_workgroup_id_z 1
		.amdhsa_system_sgpr_workgroup_info 0
		.amdhsa_system_vgpr_workitem_id 1
		.amdhsa_next_free_vgpr 23
		.amdhsa_next_free_sgpr 22
		.amdhsa_reserve_vcc 1
		.amdhsa_reserve_flat_scratch 0
		.amdhsa_float_round_mode_32 0
		.amdhsa_float_round_mode_16_64 0
		.amdhsa_float_denorm_mode_32 3
		.amdhsa_float_denorm_mode_16_64 3
		.amdhsa_dx10_clamp 1
		.amdhsa_ieee_mode 1
		.amdhsa_fp16_overflow 0
		.amdhsa_exception_fp_ieee_invalid_op 0
		.amdhsa_exception_fp_denorm_src 0
		.amdhsa_exception_fp_ieee_div_zero 0
		.amdhsa_exception_fp_ieee_overflow 0
		.amdhsa_exception_fp_ieee_underflow 0
		.amdhsa_exception_fp_ieee_inexact 0
		.amdhsa_exception_int_div_zero 0
	.end_amdhsa_kernel
	.section	.text._ZL41rocblas_syrkx_herkx_small_restrict_kernelIlfLi16ELb0ELb0ELc78ELc76EKPKfKPfEviT_T0_PT6_S5_lS8_S5_lS6_PT7_S5_li,"axG",@progbits,_ZL41rocblas_syrkx_herkx_small_restrict_kernelIlfLi16ELb0ELb0ELc78ELc76EKPKfKPfEviT_T0_PT6_S5_lS8_S5_lS6_PT7_S5_li,comdat
.Lfunc_end1432:
	.size	_ZL41rocblas_syrkx_herkx_small_restrict_kernelIlfLi16ELb0ELb0ELc78ELc76EKPKfKPfEviT_T0_PT6_S5_lS8_S5_lS6_PT7_S5_li, .Lfunc_end1432-_ZL41rocblas_syrkx_herkx_small_restrict_kernelIlfLi16ELb0ELb0ELc78ELc76EKPKfKPfEviT_T0_PT6_S5_lS8_S5_lS6_PT7_S5_li
                                        ; -- End function
	.set _ZL41rocblas_syrkx_herkx_small_restrict_kernelIlfLi16ELb0ELb0ELc78ELc76EKPKfKPfEviT_T0_PT6_S5_lS8_S5_lS6_PT7_S5_li.num_vgpr, 23
	.set _ZL41rocblas_syrkx_herkx_small_restrict_kernelIlfLi16ELb0ELb0ELc78ELc76EKPKfKPfEviT_T0_PT6_S5_lS8_S5_lS6_PT7_S5_li.num_agpr, 0
	.set _ZL41rocblas_syrkx_herkx_small_restrict_kernelIlfLi16ELb0ELb0ELc78ELc76EKPKfKPfEviT_T0_PT6_S5_lS8_S5_lS6_PT7_S5_li.numbered_sgpr, 22
	.set _ZL41rocblas_syrkx_herkx_small_restrict_kernelIlfLi16ELb0ELb0ELc78ELc76EKPKfKPfEviT_T0_PT6_S5_lS8_S5_lS6_PT7_S5_li.num_named_barrier, 0
	.set _ZL41rocblas_syrkx_herkx_small_restrict_kernelIlfLi16ELb0ELb0ELc78ELc76EKPKfKPfEviT_T0_PT6_S5_lS8_S5_lS6_PT7_S5_li.private_seg_size, 0
	.set _ZL41rocblas_syrkx_herkx_small_restrict_kernelIlfLi16ELb0ELb0ELc78ELc76EKPKfKPfEviT_T0_PT6_S5_lS8_S5_lS6_PT7_S5_li.uses_vcc, 1
	.set _ZL41rocblas_syrkx_herkx_small_restrict_kernelIlfLi16ELb0ELb0ELc78ELc76EKPKfKPfEviT_T0_PT6_S5_lS8_S5_lS6_PT7_S5_li.uses_flat_scratch, 0
	.set _ZL41rocblas_syrkx_herkx_small_restrict_kernelIlfLi16ELb0ELb0ELc78ELc76EKPKfKPfEviT_T0_PT6_S5_lS8_S5_lS6_PT7_S5_li.has_dyn_sized_stack, 0
	.set _ZL41rocblas_syrkx_herkx_small_restrict_kernelIlfLi16ELb0ELb0ELc78ELc76EKPKfKPfEviT_T0_PT6_S5_lS8_S5_lS6_PT7_S5_li.has_recursion, 0
	.set _ZL41rocblas_syrkx_herkx_small_restrict_kernelIlfLi16ELb0ELb0ELc78ELc76EKPKfKPfEviT_T0_PT6_S5_lS8_S5_lS6_PT7_S5_li.has_indirect_call, 0
	.section	.AMDGPU.csdata,"",@progbits
; Kernel info:
; codeLenInByte = 744
; TotalNumSgprs: 26
; NumVgprs: 23
; ScratchSize: 0
; MemoryBound: 0
; FloatMode: 240
; IeeeMode: 1
; LDSByteSize: 2048 bytes/workgroup (compile time only)
; SGPRBlocks: 3
; VGPRBlocks: 5
; NumSGPRsForWavesPerEU: 26
; NumVGPRsForWavesPerEU: 23
; Occupancy: 10
; WaveLimiterHint : 1
; COMPUTE_PGM_RSRC2:SCRATCH_EN: 0
; COMPUTE_PGM_RSRC2:USER_SGPR: 6
; COMPUTE_PGM_RSRC2:TRAP_HANDLER: 0
; COMPUTE_PGM_RSRC2:TGID_X_EN: 1
; COMPUTE_PGM_RSRC2:TGID_Y_EN: 1
; COMPUTE_PGM_RSRC2:TGID_Z_EN: 1
; COMPUTE_PGM_RSRC2:TIDIG_COMP_CNT: 1
	.section	.text._ZL41rocblas_syrkx_herkx_small_restrict_kernelIlfLi16ELb0ELb0ELc84ELc85EKPKfKPfEviT_T0_PT6_S5_lS8_S5_lS6_PT7_S5_li,"axG",@progbits,_ZL41rocblas_syrkx_herkx_small_restrict_kernelIlfLi16ELb0ELb0ELc84ELc85EKPKfKPfEviT_T0_PT6_S5_lS8_S5_lS6_PT7_S5_li,comdat
	.globl	_ZL41rocblas_syrkx_herkx_small_restrict_kernelIlfLi16ELb0ELb0ELc84ELc85EKPKfKPfEviT_T0_PT6_S5_lS8_S5_lS6_PT7_S5_li ; -- Begin function _ZL41rocblas_syrkx_herkx_small_restrict_kernelIlfLi16ELb0ELb0ELc84ELc85EKPKfKPfEviT_T0_PT6_S5_lS8_S5_lS6_PT7_S5_li
	.p2align	8
	.type	_ZL41rocblas_syrkx_herkx_small_restrict_kernelIlfLi16ELb0ELb0ELc84ELc85EKPKfKPfEviT_T0_PT6_S5_lS8_S5_lS6_PT7_S5_li,@function
_ZL41rocblas_syrkx_herkx_small_restrict_kernelIlfLi16ELb0ELb0ELc84ELc85EKPKfKPfEviT_T0_PT6_S5_lS8_S5_lS6_PT7_S5_li: ; @_ZL41rocblas_syrkx_herkx_small_restrict_kernelIlfLi16ELb0ELb0ELc84ELc85EKPKfKPfEviT_T0_PT6_S5_lS8_S5_lS6_PT7_S5_li
; %bb.0:
	s_load_dwordx4 s[0:3], s[4:5], 0x50
	s_load_dwordx2 s[10:11], s[4:5], 0x8
	s_mov_b32 s9, 0
	s_lshl_b64 s[12:13], s[8:9], 3
	v_lshl_add_u32 v2, s6, 4, v0
	s_waitcnt lgkmcnt(0)
	s_add_u32 s0, s0, s12
	s_addc_u32 s1, s1, s13
	s_load_dwordx2 s[8:9], s[0:1], 0x0
	v_cmp_lt_i64_e64 s[0:1], s[10:11], 1
	v_lshl_add_u32 v8, s7, 4, v1
	s_and_b64 vcc, exec, s[0:1]
	v_ashrrev_i32_e32 v3, 31, v2
	v_ashrrev_i32_e32 v9, 31, v8
	s_cbranch_vccnz .LBB1433_6
; %bb.1:
	s_load_dwordx4 s[16:19], s[4:5], 0x30
	s_load_dwordx4 s[20:23], s[4:5], 0x18
	v_lshlrev_b32_e32 v11, 2, v0
	v_lshlrev_b32_e32 v15, 6, v1
	v_mov_b32_e32 v10, 0
	s_waitcnt lgkmcnt(0)
	s_add_u32 s0, s16, s12
	s_addc_u32 s1, s17, s13
	s_add_u32 s6, s20, s12
	v_mul_lo_u32 v6, s23, v2
	v_mul_lo_u32 v7, s22, v3
	v_mad_u64_u32 v[4:5], s[14:15], s22, v2, 0
	s_addc_u32 s7, s21, s13
	s_load_dwordx2 s[12:13], s[6:7], 0x0
	s_load_dwordx2 s[14:15], s[0:1], 0x0
	v_add3_u32 v5, v5, v7, v6
	v_lshlrev_b32_e32 v6, 2, v1
	v_lshlrev_b64 v[4:5], 2, v[4:5]
	s_waitcnt lgkmcnt(0)
	v_mov_b32_e32 v7, s13
	v_add_co_u32_e32 v6, vcc, s12, v6
	v_addc_co_u32_e32 v7, vcc, 0, v7, vcc
	v_add_co_u32_e32 v4, vcc, v6, v4
	v_addc_co_u32_e32 v5, vcc, v7, v5, vcc
	v_mul_lo_u32 v13, s19, v8
	v_mul_lo_u32 v14, s18, v9
	v_mad_u64_u32 v[6:7], s[0:1], s18, v8, 0
	v_mov_b32_e32 v0, s15
	v_add_u32_e32 v12, v11, v15
	v_add3_u32 v7, v7, v14, v13
	v_add_co_u32_e32 v13, vcc, s14, v11
	v_addc_co_u32_e32 v14, vcc, 0, v0, vcc
	v_lshlrev_b64 v[0:1], 2, v[6:7]
	v_mov_b32_e32 v6, s10
	v_add_co_u32_e32 v0, vcc, v13, v0
	v_add_u32_e32 v13, 0x400, v15
	v_addc_co_u32_e32 v1, vcc, v14, v1, vcc
	v_add_u32_e32 v14, v13, v11
	s_mov_b64 s[6:7], 0
	v_mov_b32_e32 v7, s11
.LBB1433_2:                             ; =>This Inner Loop Header: Depth=1
	flat_load_dword v15, v[4:5]
	s_add_u32 s6, s6, 16
	v_add_co_u32_e32 v4, vcc, 64, v4
	v_addc_co_u32_e32 v5, vcc, 0, v5, vcc
	s_addc_u32 s7, s7, 0
	v_cmp_lt_i64_e32 vcc, s[6:7], v[6:7]
	s_and_b64 vcc, exec, vcc
	s_waitcnt vmcnt(0) lgkmcnt(0)
	ds_write_b32 v12, v15
	flat_load_dword v15, v[0:1]
	v_add_co_u32_e64 v0, s[0:1], 64, v0
	v_addc_co_u32_e64 v1, s[0:1], 0, v1, s[0:1]
	s_waitcnt vmcnt(0) lgkmcnt(0)
	ds_write_b32 v14, v15
	s_waitcnt lgkmcnt(0)
	s_barrier
	ds_read2_b32 v[19:20], v11 offset1:16
	ds_read_b128 v[15:18], v13
	s_waitcnt lgkmcnt(0)
	v_fmac_f32_e32 v10, v19, v15
	v_fmac_f32_e32 v10, v20, v16
	ds_read2_b32 v[15:16], v11 offset0:32 offset1:48
	s_waitcnt lgkmcnt(0)
	v_fmac_f32_e32 v10, v15, v17
	v_fmac_f32_e32 v10, v16, v18
	ds_read2_b32 v[19:20], v11 offset0:64 offset1:80
	ds_read_b128 v[15:18], v13 offset:16
	s_waitcnt lgkmcnt(0)
	v_fmac_f32_e32 v10, v19, v15
	v_fmac_f32_e32 v10, v20, v16
	ds_read2_b32 v[15:16], v11 offset0:96 offset1:112
	s_waitcnt lgkmcnt(0)
	v_fmac_f32_e32 v10, v15, v17
	v_fmac_f32_e32 v10, v16, v18
	ds_read2_b32 v[19:20], v11 offset0:128 offset1:144
	ds_read_b128 v[15:18], v13 offset:32
	;; [unrolled: 9-line block ×3, first 2 shown]
	s_waitcnt lgkmcnt(0)
	v_fmac_f32_e32 v10, v19, v15
	v_fmac_f32_e32 v10, v20, v16
	ds_read2_b32 v[15:16], v11 offset0:224 offset1:240
	s_waitcnt lgkmcnt(0)
	s_barrier
	v_fmac_f32_e32 v10, v15, v17
	v_fmac_f32_e32 v10, v16, v18
	s_cbranch_vccnz .LBB1433_2
; %bb.3:
	v_cmp_le_i32_e32 vcc, v2, v8
	s_and_saveexec_b64 s[0:1], vcc
	s_cbranch_execz .LBB1433_5
.LBB1433_4:
	v_mul_lo_u32 v4, s3, v8
	v_mul_lo_u32 v5, s2, v9
	v_mad_u64_u32 v[0:1], s[0:1], s2, v8, 0
	v_add3_u32 v1, v1, v5, v4
	v_lshlrev_b64 v[0:1], 2, v[0:1]
	s_waitcnt lgkmcnt(0)
	v_mov_b32_e32 v4, s9
	v_add_co_u32_e32 v5, vcc, s8, v0
	v_addc_co_u32_e32 v4, vcc, v4, v1, vcc
	v_lshlrev_b64 v[0:1], 2, v[2:3]
	v_add_co_u32_e32 v0, vcc, v5, v0
	v_addc_co_u32_e32 v1, vcc, v4, v1, vcc
	flat_load_dword v2, v[0:1]
	s_load_dword s0, s[4:5], 0x48
	s_load_dword s1, s[4:5], 0x10
	s_waitcnt vmcnt(0) lgkmcnt(0)
	v_mul_f32_e32 v2, s0, v2
	v_fmac_f32_e32 v2, s1, v10
	flat_store_dword v[0:1], v2
.LBB1433_5:
	s_endpgm
.LBB1433_6:
	v_mov_b32_e32 v10, 0
	v_cmp_le_i32_e32 vcc, v2, v8
	s_and_saveexec_b64 s[0:1], vcc
	s_cbranch_execnz .LBB1433_4
	s_branch .LBB1433_5
	.section	.rodata,"a",@progbits
	.p2align	6, 0x0
	.amdhsa_kernel _ZL41rocblas_syrkx_herkx_small_restrict_kernelIlfLi16ELb0ELb0ELc84ELc85EKPKfKPfEviT_T0_PT6_S5_lS8_S5_lS6_PT7_S5_li
		.amdhsa_group_segment_fixed_size 2048
		.amdhsa_private_segment_fixed_size 0
		.amdhsa_kernarg_size 108
		.amdhsa_user_sgpr_count 6
		.amdhsa_user_sgpr_private_segment_buffer 1
		.amdhsa_user_sgpr_dispatch_ptr 0
		.amdhsa_user_sgpr_queue_ptr 0
		.amdhsa_user_sgpr_kernarg_segment_ptr 1
		.amdhsa_user_sgpr_dispatch_id 0
		.amdhsa_user_sgpr_flat_scratch_init 0
		.amdhsa_user_sgpr_private_segment_size 0
		.amdhsa_uses_dynamic_stack 0
		.amdhsa_system_sgpr_private_segment_wavefront_offset 0
		.amdhsa_system_sgpr_workgroup_id_x 1
		.amdhsa_system_sgpr_workgroup_id_y 1
		.amdhsa_system_sgpr_workgroup_id_z 1
		.amdhsa_system_sgpr_workgroup_info 0
		.amdhsa_system_vgpr_workitem_id 1
		.amdhsa_next_free_vgpr 21
		.amdhsa_next_free_sgpr 24
		.amdhsa_reserve_vcc 1
		.amdhsa_reserve_flat_scratch 0
		.amdhsa_float_round_mode_32 0
		.amdhsa_float_round_mode_16_64 0
		.amdhsa_float_denorm_mode_32 3
		.amdhsa_float_denorm_mode_16_64 3
		.amdhsa_dx10_clamp 1
		.amdhsa_ieee_mode 1
		.amdhsa_fp16_overflow 0
		.amdhsa_exception_fp_ieee_invalid_op 0
		.amdhsa_exception_fp_denorm_src 0
		.amdhsa_exception_fp_ieee_div_zero 0
		.amdhsa_exception_fp_ieee_overflow 0
		.amdhsa_exception_fp_ieee_underflow 0
		.amdhsa_exception_fp_ieee_inexact 0
		.amdhsa_exception_int_div_zero 0
	.end_amdhsa_kernel
	.section	.text._ZL41rocblas_syrkx_herkx_small_restrict_kernelIlfLi16ELb0ELb0ELc84ELc85EKPKfKPfEviT_T0_PT6_S5_lS8_S5_lS6_PT7_S5_li,"axG",@progbits,_ZL41rocblas_syrkx_herkx_small_restrict_kernelIlfLi16ELb0ELb0ELc84ELc85EKPKfKPfEviT_T0_PT6_S5_lS8_S5_lS6_PT7_S5_li,comdat
.Lfunc_end1433:
	.size	_ZL41rocblas_syrkx_herkx_small_restrict_kernelIlfLi16ELb0ELb0ELc84ELc85EKPKfKPfEviT_T0_PT6_S5_lS8_S5_lS6_PT7_S5_li, .Lfunc_end1433-_ZL41rocblas_syrkx_herkx_small_restrict_kernelIlfLi16ELb0ELb0ELc84ELc85EKPKfKPfEviT_T0_PT6_S5_lS8_S5_lS6_PT7_S5_li
                                        ; -- End function
	.set _ZL41rocblas_syrkx_herkx_small_restrict_kernelIlfLi16ELb0ELb0ELc84ELc85EKPKfKPfEviT_T0_PT6_S5_lS8_S5_lS6_PT7_S5_li.num_vgpr, 21
	.set _ZL41rocblas_syrkx_herkx_small_restrict_kernelIlfLi16ELb0ELb0ELc84ELc85EKPKfKPfEviT_T0_PT6_S5_lS8_S5_lS6_PT7_S5_li.num_agpr, 0
	.set _ZL41rocblas_syrkx_herkx_small_restrict_kernelIlfLi16ELb0ELb0ELc84ELc85EKPKfKPfEviT_T0_PT6_S5_lS8_S5_lS6_PT7_S5_li.numbered_sgpr, 24
	.set _ZL41rocblas_syrkx_herkx_small_restrict_kernelIlfLi16ELb0ELb0ELc84ELc85EKPKfKPfEviT_T0_PT6_S5_lS8_S5_lS6_PT7_S5_li.num_named_barrier, 0
	.set _ZL41rocblas_syrkx_herkx_small_restrict_kernelIlfLi16ELb0ELb0ELc84ELc85EKPKfKPfEviT_T0_PT6_S5_lS8_S5_lS6_PT7_S5_li.private_seg_size, 0
	.set _ZL41rocblas_syrkx_herkx_small_restrict_kernelIlfLi16ELb0ELb0ELc84ELc85EKPKfKPfEviT_T0_PT6_S5_lS8_S5_lS6_PT7_S5_li.uses_vcc, 1
	.set _ZL41rocblas_syrkx_herkx_small_restrict_kernelIlfLi16ELb0ELb0ELc84ELc85EKPKfKPfEviT_T0_PT6_S5_lS8_S5_lS6_PT7_S5_li.uses_flat_scratch, 0
	.set _ZL41rocblas_syrkx_herkx_small_restrict_kernelIlfLi16ELb0ELb0ELc84ELc85EKPKfKPfEviT_T0_PT6_S5_lS8_S5_lS6_PT7_S5_li.has_dyn_sized_stack, 0
	.set _ZL41rocblas_syrkx_herkx_small_restrict_kernelIlfLi16ELb0ELb0ELc84ELc85EKPKfKPfEviT_T0_PT6_S5_lS8_S5_lS6_PT7_S5_li.has_recursion, 0
	.set _ZL41rocblas_syrkx_herkx_small_restrict_kernelIlfLi16ELb0ELb0ELc84ELc85EKPKfKPfEviT_T0_PT6_S5_lS8_S5_lS6_PT7_S5_li.has_indirect_call, 0
	.section	.AMDGPU.csdata,"",@progbits
; Kernel info:
; codeLenInByte = 744
; TotalNumSgprs: 28
; NumVgprs: 21
; ScratchSize: 0
; MemoryBound: 0
; FloatMode: 240
; IeeeMode: 1
; LDSByteSize: 2048 bytes/workgroup (compile time only)
; SGPRBlocks: 3
; VGPRBlocks: 5
; NumSGPRsForWavesPerEU: 28
; NumVGPRsForWavesPerEU: 21
; Occupancy: 10
; WaveLimiterHint : 1
; COMPUTE_PGM_RSRC2:SCRATCH_EN: 0
; COMPUTE_PGM_RSRC2:USER_SGPR: 6
; COMPUTE_PGM_RSRC2:TRAP_HANDLER: 0
; COMPUTE_PGM_RSRC2:TGID_X_EN: 1
; COMPUTE_PGM_RSRC2:TGID_Y_EN: 1
; COMPUTE_PGM_RSRC2:TGID_Z_EN: 1
; COMPUTE_PGM_RSRC2:TIDIG_COMP_CNT: 1
	.section	.text._ZL41rocblas_syrkx_herkx_small_restrict_kernelIlfLi16ELb0ELb0ELc67ELc85EKPKfKPfEviT_T0_PT6_S5_lS8_S5_lS6_PT7_S5_li,"axG",@progbits,_ZL41rocblas_syrkx_herkx_small_restrict_kernelIlfLi16ELb0ELb0ELc67ELc85EKPKfKPfEviT_T0_PT6_S5_lS8_S5_lS6_PT7_S5_li,comdat
	.globl	_ZL41rocblas_syrkx_herkx_small_restrict_kernelIlfLi16ELb0ELb0ELc67ELc85EKPKfKPfEviT_T0_PT6_S5_lS8_S5_lS6_PT7_S5_li ; -- Begin function _ZL41rocblas_syrkx_herkx_small_restrict_kernelIlfLi16ELb0ELb0ELc67ELc85EKPKfKPfEviT_T0_PT6_S5_lS8_S5_lS6_PT7_S5_li
	.p2align	8
	.type	_ZL41rocblas_syrkx_herkx_small_restrict_kernelIlfLi16ELb0ELb0ELc67ELc85EKPKfKPfEviT_T0_PT6_S5_lS8_S5_lS6_PT7_S5_li,@function
_ZL41rocblas_syrkx_herkx_small_restrict_kernelIlfLi16ELb0ELb0ELc67ELc85EKPKfKPfEviT_T0_PT6_S5_lS8_S5_lS6_PT7_S5_li: ; @_ZL41rocblas_syrkx_herkx_small_restrict_kernelIlfLi16ELb0ELb0ELc67ELc85EKPKfKPfEviT_T0_PT6_S5_lS8_S5_lS6_PT7_S5_li
; %bb.0:
	s_load_dwordx4 s[0:3], s[4:5], 0x50
	s_load_dwordx2 s[10:11], s[4:5], 0x8
	s_mov_b32 s9, 0
	s_lshl_b64 s[12:13], s[8:9], 3
	v_lshl_add_u32 v2, s6, 4, v0
	s_waitcnt lgkmcnt(0)
	s_add_u32 s0, s0, s12
	s_addc_u32 s1, s1, s13
	s_load_dwordx2 s[8:9], s[0:1], 0x0
	v_cmp_lt_i64_e64 s[0:1], s[10:11], 1
	v_lshl_add_u32 v8, s7, 4, v1
	s_and_b64 vcc, exec, s[0:1]
	v_ashrrev_i32_e32 v3, 31, v2
	v_ashrrev_i32_e32 v9, 31, v8
	s_cbranch_vccnz .LBB1434_6
; %bb.1:
	s_load_dwordx4 s[16:19], s[4:5], 0x30
	s_load_dwordx4 s[20:23], s[4:5], 0x18
	v_lshlrev_b32_e32 v11, 2, v0
	v_lshlrev_b32_e32 v15, 6, v1
	v_mov_b32_e32 v10, 0
	s_waitcnt lgkmcnt(0)
	s_add_u32 s0, s16, s12
	s_addc_u32 s1, s17, s13
	s_add_u32 s6, s20, s12
	v_mul_lo_u32 v6, s23, v2
	v_mul_lo_u32 v7, s22, v3
	v_mad_u64_u32 v[4:5], s[14:15], s22, v2, 0
	s_addc_u32 s7, s21, s13
	s_load_dwordx2 s[12:13], s[6:7], 0x0
	s_load_dwordx2 s[14:15], s[0:1], 0x0
	v_add3_u32 v5, v5, v7, v6
	v_lshlrev_b32_e32 v6, 2, v1
	v_lshlrev_b64 v[4:5], 2, v[4:5]
	s_waitcnt lgkmcnt(0)
	v_mov_b32_e32 v7, s13
	v_add_co_u32_e32 v6, vcc, s12, v6
	v_addc_co_u32_e32 v7, vcc, 0, v7, vcc
	v_add_co_u32_e32 v4, vcc, v6, v4
	v_addc_co_u32_e32 v5, vcc, v7, v5, vcc
	v_mul_lo_u32 v13, s19, v8
	v_mul_lo_u32 v14, s18, v9
	v_mad_u64_u32 v[6:7], s[0:1], s18, v8, 0
	v_mov_b32_e32 v0, s15
	v_add_u32_e32 v12, v11, v15
	v_add3_u32 v7, v7, v14, v13
	v_add_co_u32_e32 v13, vcc, s14, v11
	v_addc_co_u32_e32 v14, vcc, 0, v0, vcc
	v_lshlrev_b64 v[0:1], 2, v[6:7]
	v_mov_b32_e32 v6, s10
	v_add_co_u32_e32 v0, vcc, v13, v0
	v_add_u32_e32 v13, 0x400, v15
	v_addc_co_u32_e32 v1, vcc, v14, v1, vcc
	v_add_u32_e32 v14, v13, v11
	s_mov_b64 s[6:7], 0
	v_mov_b32_e32 v7, s11
.LBB1434_2:                             ; =>This Inner Loop Header: Depth=1
	flat_load_dword v15, v[4:5]
	s_add_u32 s6, s6, 16
	v_add_co_u32_e32 v4, vcc, 64, v4
	v_addc_co_u32_e32 v5, vcc, 0, v5, vcc
	s_addc_u32 s7, s7, 0
	v_cmp_lt_i64_e32 vcc, s[6:7], v[6:7]
	s_and_b64 vcc, exec, vcc
	s_waitcnt vmcnt(0) lgkmcnt(0)
	ds_write_b32 v12, v15
	flat_load_dword v15, v[0:1]
	v_add_co_u32_e64 v0, s[0:1], 64, v0
	v_addc_co_u32_e64 v1, s[0:1], 0, v1, s[0:1]
	s_waitcnt vmcnt(0) lgkmcnt(0)
	ds_write_b32 v14, v15
	s_waitcnt lgkmcnt(0)
	s_barrier
	ds_read2_b32 v[19:20], v11 offset1:16
	ds_read_b128 v[15:18], v13
	s_waitcnt lgkmcnt(0)
	v_fmac_f32_e32 v10, v19, v15
	v_fmac_f32_e32 v10, v20, v16
	ds_read2_b32 v[15:16], v11 offset0:32 offset1:48
	s_waitcnt lgkmcnt(0)
	v_fmac_f32_e32 v10, v15, v17
	v_fmac_f32_e32 v10, v16, v18
	ds_read2_b32 v[19:20], v11 offset0:64 offset1:80
	ds_read_b128 v[15:18], v13 offset:16
	s_waitcnt lgkmcnt(0)
	v_fmac_f32_e32 v10, v19, v15
	v_fmac_f32_e32 v10, v20, v16
	ds_read2_b32 v[15:16], v11 offset0:96 offset1:112
	s_waitcnt lgkmcnt(0)
	v_fmac_f32_e32 v10, v15, v17
	v_fmac_f32_e32 v10, v16, v18
	ds_read2_b32 v[19:20], v11 offset0:128 offset1:144
	ds_read_b128 v[15:18], v13 offset:32
	;; [unrolled: 9-line block ×3, first 2 shown]
	s_waitcnt lgkmcnt(0)
	v_fmac_f32_e32 v10, v19, v15
	v_fmac_f32_e32 v10, v20, v16
	ds_read2_b32 v[15:16], v11 offset0:224 offset1:240
	s_waitcnt lgkmcnt(0)
	s_barrier
	v_fmac_f32_e32 v10, v15, v17
	v_fmac_f32_e32 v10, v16, v18
	s_cbranch_vccnz .LBB1434_2
; %bb.3:
	v_cmp_le_i32_e32 vcc, v2, v8
	s_and_saveexec_b64 s[0:1], vcc
	s_cbranch_execz .LBB1434_5
.LBB1434_4:
	v_mul_lo_u32 v4, s3, v8
	v_mul_lo_u32 v5, s2, v9
	v_mad_u64_u32 v[0:1], s[0:1], s2, v8, 0
	v_add3_u32 v1, v1, v5, v4
	v_lshlrev_b64 v[0:1], 2, v[0:1]
	s_waitcnt lgkmcnt(0)
	v_mov_b32_e32 v4, s9
	v_add_co_u32_e32 v5, vcc, s8, v0
	v_addc_co_u32_e32 v4, vcc, v4, v1, vcc
	v_lshlrev_b64 v[0:1], 2, v[2:3]
	v_add_co_u32_e32 v0, vcc, v5, v0
	v_addc_co_u32_e32 v1, vcc, v4, v1, vcc
	flat_load_dword v2, v[0:1]
	s_load_dword s0, s[4:5], 0x48
	s_load_dword s1, s[4:5], 0x10
	s_waitcnt vmcnt(0) lgkmcnt(0)
	v_mul_f32_e32 v2, s0, v2
	v_fmac_f32_e32 v2, s1, v10
	flat_store_dword v[0:1], v2
.LBB1434_5:
	s_endpgm
.LBB1434_6:
	v_mov_b32_e32 v10, 0
	v_cmp_le_i32_e32 vcc, v2, v8
	s_and_saveexec_b64 s[0:1], vcc
	s_cbranch_execnz .LBB1434_4
	s_branch .LBB1434_5
	.section	.rodata,"a",@progbits
	.p2align	6, 0x0
	.amdhsa_kernel _ZL41rocblas_syrkx_herkx_small_restrict_kernelIlfLi16ELb0ELb0ELc67ELc85EKPKfKPfEviT_T0_PT6_S5_lS8_S5_lS6_PT7_S5_li
		.amdhsa_group_segment_fixed_size 2048
		.amdhsa_private_segment_fixed_size 0
		.amdhsa_kernarg_size 108
		.amdhsa_user_sgpr_count 6
		.amdhsa_user_sgpr_private_segment_buffer 1
		.amdhsa_user_sgpr_dispatch_ptr 0
		.amdhsa_user_sgpr_queue_ptr 0
		.amdhsa_user_sgpr_kernarg_segment_ptr 1
		.amdhsa_user_sgpr_dispatch_id 0
		.amdhsa_user_sgpr_flat_scratch_init 0
		.amdhsa_user_sgpr_private_segment_size 0
		.amdhsa_uses_dynamic_stack 0
		.amdhsa_system_sgpr_private_segment_wavefront_offset 0
		.amdhsa_system_sgpr_workgroup_id_x 1
		.amdhsa_system_sgpr_workgroup_id_y 1
		.amdhsa_system_sgpr_workgroup_id_z 1
		.amdhsa_system_sgpr_workgroup_info 0
		.amdhsa_system_vgpr_workitem_id 1
		.amdhsa_next_free_vgpr 21
		.amdhsa_next_free_sgpr 24
		.amdhsa_reserve_vcc 1
		.amdhsa_reserve_flat_scratch 0
		.amdhsa_float_round_mode_32 0
		.amdhsa_float_round_mode_16_64 0
		.amdhsa_float_denorm_mode_32 3
		.amdhsa_float_denorm_mode_16_64 3
		.amdhsa_dx10_clamp 1
		.amdhsa_ieee_mode 1
		.amdhsa_fp16_overflow 0
		.amdhsa_exception_fp_ieee_invalid_op 0
		.amdhsa_exception_fp_denorm_src 0
		.amdhsa_exception_fp_ieee_div_zero 0
		.amdhsa_exception_fp_ieee_overflow 0
		.amdhsa_exception_fp_ieee_underflow 0
		.amdhsa_exception_fp_ieee_inexact 0
		.amdhsa_exception_int_div_zero 0
	.end_amdhsa_kernel
	.section	.text._ZL41rocblas_syrkx_herkx_small_restrict_kernelIlfLi16ELb0ELb0ELc67ELc85EKPKfKPfEviT_T0_PT6_S5_lS8_S5_lS6_PT7_S5_li,"axG",@progbits,_ZL41rocblas_syrkx_herkx_small_restrict_kernelIlfLi16ELb0ELb0ELc67ELc85EKPKfKPfEviT_T0_PT6_S5_lS8_S5_lS6_PT7_S5_li,comdat
.Lfunc_end1434:
	.size	_ZL41rocblas_syrkx_herkx_small_restrict_kernelIlfLi16ELb0ELb0ELc67ELc85EKPKfKPfEviT_T0_PT6_S5_lS8_S5_lS6_PT7_S5_li, .Lfunc_end1434-_ZL41rocblas_syrkx_herkx_small_restrict_kernelIlfLi16ELb0ELb0ELc67ELc85EKPKfKPfEviT_T0_PT6_S5_lS8_S5_lS6_PT7_S5_li
                                        ; -- End function
	.set _ZL41rocblas_syrkx_herkx_small_restrict_kernelIlfLi16ELb0ELb0ELc67ELc85EKPKfKPfEviT_T0_PT6_S5_lS8_S5_lS6_PT7_S5_li.num_vgpr, 21
	.set _ZL41rocblas_syrkx_herkx_small_restrict_kernelIlfLi16ELb0ELb0ELc67ELc85EKPKfKPfEviT_T0_PT6_S5_lS8_S5_lS6_PT7_S5_li.num_agpr, 0
	.set _ZL41rocblas_syrkx_herkx_small_restrict_kernelIlfLi16ELb0ELb0ELc67ELc85EKPKfKPfEviT_T0_PT6_S5_lS8_S5_lS6_PT7_S5_li.numbered_sgpr, 24
	.set _ZL41rocblas_syrkx_herkx_small_restrict_kernelIlfLi16ELb0ELb0ELc67ELc85EKPKfKPfEviT_T0_PT6_S5_lS8_S5_lS6_PT7_S5_li.num_named_barrier, 0
	.set _ZL41rocblas_syrkx_herkx_small_restrict_kernelIlfLi16ELb0ELb0ELc67ELc85EKPKfKPfEviT_T0_PT6_S5_lS8_S5_lS6_PT7_S5_li.private_seg_size, 0
	.set _ZL41rocblas_syrkx_herkx_small_restrict_kernelIlfLi16ELb0ELb0ELc67ELc85EKPKfKPfEviT_T0_PT6_S5_lS8_S5_lS6_PT7_S5_li.uses_vcc, 1
	.set _ZL41rocblas_syrkx_herkx_small_restrict_kernelIlfLi16ELb0ELb0ELc67ELc85EKPKfKPfEviT_T0_PT6_S5_lS8_S5_lS6_PT7_S5_li.uses_flat_scratch, 0
	.set _ZL41rocblas_syrkx_herkx_small_restrict_kernelIlfLi16ELb0ELb0ELc67ELc85EKPKfKPfEviT_T0_PT6_S5_lS8_S5_lS6_PT7_S5_li.has_dyn_sized_stack, 0
	.set _ZL41rocblas_syrkx_herkx_small_restrict_kernelIlfLi16ELb0ELb0ELc67ELc85EKPKfKPfEviT_T0_PT6_S5_lS8_S5_lS6_PT7_S5_li.has_recursion, 0
	.set _ZL41rocblas_syrkx_herkx_small_restrict_kernelIlfLi16ELb0ELb0ELc67ELc85EKPKfKPfEviT_T0_PT6_S5_lS8_S5_lS6_PT7_S5_li.has_indirect_call, 0
	.section	.AMDGPU.csdata,"",@progbits
; Kernel info:
; codeLenInByte = 744
; TotalNumSgprs: 28
; NumVgprs: 21
; ScratchSize: 0
; MemoryBound: 0
; FloatMode: 240
; IeeeMode: 1
; LDSByteSize: 2048 bytes/workgroup (compile time only)
; SGPRBlocks: 3
; VGPRBlocks: 5
; NumSGPRsForWavesPerEU: 28
; NumVGPRsForWavesPerEU: 21
; Occupancy: 10
; WaveLimiterHint : 1
; COMPUTE_PGM_RSRC2:SCRATCH_EN: 0
; COMPUTE_PGM_RSRC2:USER_SGPR: 6
; COMPUTE_PGM_RSRC2:TRAP_HANDLER: 0
; COMPUTE_PGM_RSRC2:TGID_X_EN: 1
; COMPUTE_PGM_RSRC2:TGID_Y_EN: 1
; COMPUTE_PGM_RSRC2:TGID_Z_EN: 1
; COMPUTE_PGM_RSRC2:TIDIG_COMP_CNT: 1
	.section	.text._ZL41rocblas_syrkx_herkx_small_restrict_kernelIlfLi16ELb0ELb0ELc78ELc85EKPKfKPfEviT_T0_PT6_S5_lS8_S5_lS6_PT7_S5_li,"axG",@progbits,_ZL41rocblas_syrkx_herkx_small_restrict_kernelIlfLi16ELb0ELb0ELc78ELc85EKPKfKPfEviT_T0_PT6_S5_lS8_S5_lS6_PT7_S5_li,comdat
	.globl	_ZL41rocblas_syrkx_herkx_small_restrict_kernelIlfLi16ELb0ELb0ELc78ELc85EKPKfKPfEviT_T0_PT6_S5_lS8_S5_lS6_PT7_S5_li ; -- Begin function _ZL41rocblas_syrkx_herkx_small_restrict_kernelIlfLi16ELb0ELb0ELc78ELc85EKPKfKPfEviT_T0_PT6_S5_lS8_S5_lS6_PT7_S5_li
	.p2align	8
	.type	_ZL41rocblas_syrkx_herkx_small_restrict_kernelIlfLi16ELb0ELb0ELc78ELc85EKPKfKPfEviT_T0_PT6_S5_lS8_S5_lS6_PT7_S5_li,@function
_ZL41rocblas_syrkx_herkx_small_restrict_kernelIlfLi16ELb0ELb0ELc78ELc85EKPKfKPfEviT_T0_PT6_S5_lS8_S5_lS6_PT7_S5_li: ; @_ZL41rocblas_syrkx_herkx_small_restrict_kernelIlfLi16ELb0ELb0ELc78ELc85EKPKfKPfEviT_T0_PT6_S5_lS8_S5_lS6_PT7_S5_li
; %bb.0:
	s_load_dwordx4 s[0:3], s[4:5], 0x50
	s_load_dwordx2 s[18:19], s[4:5], 0x8
	s_mov_b32 s9, 0
	s_lshl_b64 s[20:21], s[8:9], 3
	v_lshl_add_u32 v2, s6, 4, v0
	s_waitcnt lgkmcnt(0)
	s_add_u32 s0, s0, s20
	s_addc_u32 s1, s1, s21
	s_load_dwordx2 s[16:17], s[0:1], 0x0
	v_cmp_lt_i64_e64 s[0:1], s[18:19], 1
	v_lshl_add_u32 v4, s7, 4, v1
	s_and_b64 vcc, exec, s[0:1]
	v_ashrrev_i32_e32 v3, 31, v2
	v_ashrrev_i32_e32 v5, 31, v4
	s_cbranch_vccnz .LBB1435_6
; %bb.1:
	s_load_dwordx4 s[12:15], s[4:5], 0x30
	s_load_dwordx4 s[8:11], s[4:5], 0x18
	v_lshlrev_b64 v[13:14], 2, v[4:5]
	v_lshlrev_b32_e32 v9, 2, v0
	v_lshlrev_b32_e32 v11, 6, v1
	s_waitcnt lgkmcnt(0)
	s_add_u32 s0, s12, s20
	v_mad_u64_u32 v[6:7], s[6:7], s14, v0, 0
	s_addc_u32 s1, s13, s21
	s_add_u32 s6, s8, s20
	s_addc_u32 s7, s9, s21
	s_load_dwordx2 s[8:9], s[6:7], 0x0
	v_mad_u64_u32 v[7:8], s[6:7], s15, v0, v[7:8]
	v_mad_u64_u32 v[15:16], s[6:7], s10, v1, 0
	v_lshlrev_b64 v[6:7], 2, v[6:7]
	s_load_dwordx2 s[0:1], s[0:1], 0x0
	v_add_co_u32_e32 v8, vcc, v6, v13
	v_mov_b32_e32 v0, v16
	v_addc_co_u32_e32 v13, vcc, v7, v14, vcc
	v_mad_u64_u32 v[6:7], s[6:7], s11, v1, v[0:1]
	s_waitcnt lgkmcnt(0)
	v_mov_b32_e32 v14, s1
	v_add_co_u32_e32 v0, vcc, s0, v8
	v_mov_b32_e32 v16, v6
	v_addc_co_u32_e32 v1, vcc, v14, v13, vcc
	v_lshlrev_b64 v[6:7], 2, v[15:16]
	v_lshlrev_b64 v[13:14], 2, v[2:3]
	v_add_u32_e32 v10, v9, v11
	v_add_co_u32_e32 v6, vcc, v6, v13
	v_addc_co_u32_e32 v7, vcc, v7, v14, vcc
	v_add_u32_e32 v11, 0x400, v11
	v_mov_b32_e32 v8, s9
	v_add_co_u32_e32 v6, vcc, s8, v6
	v_add_u32_e32 v12, v11, v9
	s_lshl_b64 s[6:7], s[14:15], 6
	v_addc_co_u32_e32 v7, vcc, v8, v7, vcc
	s_lshl_b64 s[8:9], s[10:11], 6
	v_mov_b32_e32 v8, 0
	s_mov_b64 s[10:11], 0
.LBB1435_2:                             ; =>This Inner Loop Header: Depth=1
	flat_load_dword v13, v[6:7]
	s_add_u32 s10, s10, 16
	v_mov_b32_e32 v17, s9
	v_add_co_u32_e32 v6, vcc, s8, v6
	v_mov_b32_e32 v16, s7
	s_addc_u32 s11, s11, 0
	v_addc_co_u32_e32 v7, vcc, v7, v17, vcc
	s_waitcnt vmcnt(0) lgkmcnt(0)
	ds_write_b32 v10, v13
	flat_load_dword v15, v[0:1]
	v_mov_b32_e32 v13, s18
	v_mov_b32_e32 v14, s19
	v_add_co_u32_e64 v0, s[0:1], s6, v0
	v_cmp_lt_i64_e32 vcc, s[10:11], v[13:14]
	v_addc_co_u32_e64 v1, s[0:1], v1, v16, s[0:1]
	s_and_b64 vcc, exec, vcc
	s_waitcnt vmcnt(0) lgkmcnt(0)
	ds_write_b32 v12, v15
	s_waitcnt lgkmcnt(0)
	s_barrier
	ds_read2_b32 v[21:22], v9 offset1:16
	ds_read_b128 v[13:16], v11
	ds_read_b128 v[17:20], v11 offset:16
	s_waitcnt lgkmcnt(1)
	v_fmac_f32_e32 v8, v21, v13
	v_fmac_f32_e32 v8, v22, v14
	ds_read2_b32 v[13:14], v9 offset0:32 offset1:48
	s_waitcnt lgkmcnt(0)
	v_fmac_f32_e32 v8, v13, v15
	v_fmac_f32_e32 v8, v14, v16
	ds_read2_b32 v[13:14], v9 offset0:64 offset1:80
	ds_read2_b32 v[15:16], v9 offset0:96 offset1:112
	;; [unrolled: 1-line block ×3, first 2 shown]
	s_waitcnt lgkmcnt(2)
	v_fmac_f32_e32 v8, v13, v17
	v_fmac_f32_e32 v8, v14, v18
	s_waitcnt lgkmcnt(1)
	v_fmac_f32_e32 v8, v15, v19
	v_fmac_f32_e32 v8, v16, v20
	ds_read_b128 v[13:16], v11 offset:32
	ds_read_b128 v[17:20], v11 offset:48
	s_waitcnt lgkmcnt(1)
	v_fmac_f32_e32 v8, v21, v13
	v_fmac_f32_e32 v8, v22, v14
	ds_read2_b32 v[13:14], v9 offset0:160 offset1:176
	s_waitcnt lgkmcnt(0)
	v_fmac_f32_e32 v8, v13, v15
	v_fmac_f32_e32 v8, v14, v16
	ds_read2_b32 v[13:14], v9 offset0:192 offset1:208
	ds_read2_b32 v[15:16], v9 offset0:224 offset1:240
	s_waitcnt lgkmcnt(0)
	s_barrier
	v_fmac_f32_e32 v8, v13, v17
	v_fmac_f32_e32 v8, v14, v18
	;; [unrolled: 1-line block ×4, first 2 shown]
	s_cbranch_vccnz .LBB1435_2
; %bb.3:
	v_cmp_le_i32_e32 vcc, v2, v4
	s_and_saveexec_b64 s[0:1], vcc
	s_cbranch_execz .LBB1435_5
.LBB1435_4:
	v_mul_lo_u32 v6, s3, v4
	v_mul_lo_u32 v5, s2, v5
	v_mad_u64_u32 v[0:1], s[0:1], s2, v4, 0
	s_waitcnt lgkmcnt(0)
	v_mov_b32_e32 v4, s17
	v_add3_u32 v1, v1, v5, v6
	v_lshlrev_b64 v[0:1], 2, v[0:1]
	v_add_co_u32_e32 v5, vcc, s16, v0
	v_addc_co_u32_e32 v4, vcc, v4, v1, vcc
	v_lshlrev_b64 v[0:1], 2, v[2:3]
	v_add_co_u32_e32 v0, vcc, v5, v0
	v_addc_co_u32_e32 v1, vcc, v4, v1, vcc
	flat_load_dword v2, v[0:1]
	s_load_dword s0, s[4:5], 0x48
	s_load_dword s1, s[4:5], 0x10
	s_waitcnt vmcnt(0) lgkmcnt(0)
	v_mul_f32_e32 v2, s0, v2
	v_fmac_f32_e32 v2, s1, v8
	flat_store_dword v[0:1], v2
.LBB1435_5:
	s_endpgm
.LBB1435_6:
	v_mov_b32_e32 v8, 0
	v_cmp_le_i32_e32 vcc, v2, v4
	s_and_saveexec_b64 s[0:1], vcc
	s_cbranch_execnz .LBB1435_4
	s_branch .LBB1435_5
	.section	.rodata,"a",@progbits
	.p2align	6, 0x0
	.amdhsa_kernel _ZL41rocblas_syrkx_herkx_small_restrict_kernelIlfLi16ELb0ELb0ELc78ELc85EKPKfKPfEviT_T0_PT6_S5_lS8_S5_lS6_PT7_S5_li
		.amdhsa_group_segment_fixed_size 2048
		.amdhsa_private_segment_fixed_size 0
		.amdhsa_kernarg_size 108
		.amdhsa_user_sgpr_count 6
		.amdhsa_user_sgpr_private_segment_buffer 1
		.amdhsa_user_sgpr_dispatch_ptr 0
		.amdhsa_user_sgpr_queue_ptr 0
		.amdhsa_user_sgpr_kernarg_segment_ptr 1
		.amdhsa_user_sgpr_dispatch_id 0
		.amdhsa_user_sgpr_flat_scratch_init 0
		.amdhsa_user_sgpr_private_segment_size 0
		.amdhsa_uses_dynamic_stack 0
		.amdhsa_system_sgpr_private_segment_wavefront_offset 0
		.amdhsa_system_sgpr_workgroup_id_x 1
		.amdhsa_system_sgpr_workgroup_id_y 1
		.amdhsa_system_sgpr_workgroup_id_z 1
		.amdhsa_system_sgpr_workgroup_info 0
		.amdhsa_system_vgpr_workitem_id 1
		.amdhsa_next_free_vgpr 23
		.amdhsa_next_free_sgpr 22
		.amdhsa_reserve_vcc 1
		.amdhsa_reserve_flat_scratch 0
		.amdhsa_float_round_mode_32 0
		.amdhsa_float_round_mode_16_64 0
		.amdhsa_float_denorm_mode_32 3
		.amdhsa_float_denorm_mode_16_64 3
		.amdhsa_dx10_clamp 1
		.amdhsa_ieee_mode 1
		.amdhsa_fp16_overflow 0
		.amdhsa_exception_fp_ieee_invalid_op 0
		.amdhsa_exception_fp_denorm_src 0
		.amdhsa_exception_fp_ieee_div_zero 0
		.amdhsa_exception_fp_ieee_overflow 0
		.amdhsa_exception_fp_ieee_underflow 0
		.amdhsa_exception_fp_ieee_inexact 0
		.amdhsa_exception_int_div_zero 0
	.end_amdhsa_kernel
	.section	.text._ZL41rocblas_syrkx_herkx_small_restrict_kernelIlfLi16ELb0ELb0ELc78ELc85EKPKfKPfEviT_T0_PT6_S5_lS8_S5_lS6_PT7_S5_li,"axG",@progbits,_ZL41rocblas_syrkx_herkx_small_restrict_kernelIlfLi16ELb0ELb0ELc78ELc85EKPKfKPfEviT_T0_PT6_S5_lS8_S5_lS6_PT7_S5_li,comdat
.Lfunc_end1435:
	.size	_ZL41rocblas_syrkx_herkx_small_restrict_kernelIlfLi16ELb0ELb0ELc78ELc85EKPKfKPfEviT_T0_PT6_S5_lS8_S5_lS6_PT7_S5_li, .Lfunc_end1435-_ZL41rocblas_syrkx_herkx_small_restrict_kernelIlfLi16ELb0ELb0ELc78ELc85EKPKfKPfEviT_T0_PT6_S5_lS8_S5_lS6_PT7_S5_li
                                        ; -- End function
	.set _ZL41rocblas_syrkx_herkx_small_restrict_kernelIlfLi16ELb0ELb0ELc78ELc85EKPKfKPfEviT_T0_PT6_S5_lS8_S5_lS6_PT7_S5_li.num_vgpr, 23
	.set _ZL41rocblas_syrkx_herkx_small_restrict_kernelIlfLi16ELb0ELb0ELc78ELc85EKPKfKPfEviT_T0_PT6_S5_lS8_S5_lS6_PT7_S5_li.num_agpr, 0
	.set _ZL41rocblas_syrkx_herkx_small_restrict_kernelIlfLi16ELb0ELb0ELc78ELc85EKPKfKPfEviT_T0_PT6_S5_lS8_S5_lS6_PT7_S5_li.numbered_sgpr, 22
	.set _ZL41rocblas_syrkx_herkx_small_restrict_kernelIlfLi16ELb0ELb0ELc78ELc85EKPKfKPfEviT_T0_PT6_S5_lS8_S5_lS6_PT7_S5_li.num_named_barrier, 0
	.set _ZL41rocblas_syrkx_herkx_small_restrict_kernelIlfLi16ELb0ELb0ELc78ELc85EKPKfKPfEviT_T0_PT6_S5_lS8_S5_lS6_PT7_S5_li.private_seg_size, 0
	.set _ZL41rocblas_syrkx_herkx_small_restrict_kernelIlfLi16ELb0ELb0ELc78ELc85EKPKfKPfEviT_T0_PT6_S5_lS8_S5_lS6_PT7_S5_li.uses_vcc, 1
	.set _ZL41rocblas_syrkx_herkx_small_restrict_kernelIlfLi16ELb0ELb0ELc78ELc85EKPKfKPfEviT_T0_PT6_S5_lS8_S5_lS6_PT7_S5_li.uses_flat_scratch, 0
	.set _ZL41rocblas_syrkx_herkx_small_restrict_kernelIlfLi16ELb0ELb0ELc78ELc85EKPKfKPfEviT_T0_PT6_S5_lS8_S5_lS6_PT7_S5_li.has_dyn_sized_stack, 0
	.set _ZL41rocblas_syrkx_herkx_small_restrict_kernelIlfLi16ELb0ELb0ELc78ELc85EKPKfKPfEviT_T0_PT6_S5_lS8_S5_lS6_PT7_S5_li.has_recursion, 0
	.set _ZL41rocblas_syrkx_herkx_small_restrict_kernelIlfLi16ELb0ELb0ELc78ELc85EKPKfKPfEviT_T0_PT6_S5_lS8_S5_lS6_PT7_S5_li.has_indirect_call, 0
	.section	.AMDGPU.csdata,"",@progbits
; Kernel info:
; codeLenInByte = 744
; TotalNumSgprs: 26
; NumVgprs: 23
; ScratchSize: 0
; MemoryBound: 0
; FloatMode: 240
; IeeeMode: 1
; LDSByteSize: 2048 bytes/workgroup (compile time only)
; SGPRBlocks: 3
; VGPRBlocks: 5
; NumSGPRsForWavesPerEU: 26
; NumVGPRsForWavesPerEU: 23
; Occupancy: 10
; WaveLimiterHint : 1
; COMPUTE_PGM_RSRC2:SCRATCH_EN: 0
; COMPUTE_PGM_RSRC2:USER_SGPR: 6
; COMPUTE_PGM_RSRC2:TRAP_HANDLER: 0
; COMPUTE_PGM_RSRC2:TGID_X_EN: 1
; COMPUTE_PGM_RSRC2:TGID_Y_EN: 1
; COMPUTE_PGM_RSRC2:TGID_Z_EN: 1
; COMPUTE_PGM_RSRC2:TIDIG_COMP_CNT: 1
	.section	.text._ZL32rocblas_syrkx_herkx_small_kernelIlfLi16ELb1ELb0ELc84ELc76EKPKfKPfEviT_T0_PT6_S5_lS8_S5_lS6_PT7_S5_li,"axG",@progbits,_ZL32rocblas_syrkx_herkx_small_kernelIlfLi16ELb1ELb0ELc84ELc76EKPKfKPfEviT_T0_PT6_S5_lS8_S5_lS6_PT7_S5_li,comdat
	.globl	_ZL32rocblas_syrkx_herkx_small_kernelIlfLi16ELb1ELb0ELc84ELc76EKPKfKPfEviT_T0_PT6_S5_lS8_S5_lS6_PT7_S5_li ; -- Begin function _ZL32rocblas_syrkx_herkx_small_kernelIlfLi16ELb1ELb0ELc84ELc76EKPKfKPfEviT_T0_PT6_S5_lS8_S5_lS6_PT7_S5_li
	.p2align	8
	.type	_ZL32rocblas_syrkx_herkx_small_kernelIlfLi16ELb1ELb0ELc84ELc76EKPKfKPfEviT_T0_PT6_S5_lS8_S5_lS6_PT7_S5_li,@function
_ZL32rocblas_syrkx_herkx_small_kernelIlfLi16ELb1ELb0ELc84ELc76EKPKfKPfEviT_T0_PT6_S5_lS8_S5_lS6_PT7_S5_li: ; @_ZL32rocblas_syrkx_herkx_small_kernelIlfLi16ELb1ELb0ELc84ELc76EKPKfKPfEviT_T0_PT6_S5_lS8_S5_lS6_PT7_S5_li
; %bb.0:
	s_load_dwordx4 s[12:15], s[4:5], 0x50
	s_load_dword s16, s[4:5], 0x0
	s_load_dwordx2 s[10:11], s[4:5], 0x8
	s_mov_b32 s9, 0
	s_lshl_b64 s[2:3], s[8:9], 3
	s_waitcnt lgkmcnt(0)
	s_add_u32 s0, s12, s2
	s_addc_u32 s1, s13, s3
	s_load_dwordx2 s[8:9], s[0:1], 0x0
	v_cmp_lt_i64_e64 s[0:1], s[10:11], 1
	v_lshl_add_u32 v2, s6, 4, v0
	v_lshl_add_u32 v8, s7, 4, v1
	s_and_b64 vcc, exec, s[0:1]
	v_cmp_gt_i32_e64 s[0:1], s16, v2
	v_ashrrev_i32_e32 v3, 31, v2
	v_ashrrev_i32_e32 v9, 31, v8
	s_cbranch_vccnz .LBB1436_7
; %bb.1:
	s_load_dwordx4 s[20:23], s[4:5], 0x30
	s_load_dwordx4 s[24:27], s[4:5], 0x18
	v_lshlrev_b32_e32 v6, 6, v1
	v_lshlrev_b32_e32 v11, 2, v0
	v_add_u32_e32 v12, v11, v6
	s_waitcnt lgkmcnt(0)
	s_add_u32 s6, s20, s2
	s_addc_u32 s7, s21, s3
	s_add_u32 s2, s24, s2
	s_addc_u32 s3, s25, s3
	s_load_dwordx2 s[12:13], s[2:3], 0x0
	v_mul_lo_u32 v7, s23, v8
	v_mul_lo_u32 v15, s22, v9
	v_mad_u64_u32 v[4:5], s[2:3], s22, v8, 0
	s_load_dwordx2 s[6:7], s[6:7], 0x0
	v_add_u32_e32 v13, 0x400, v6
	v_add3_u32 v5, v5, v15, v7
	v_mul_lo_u32 v16, s27, v2
	v_mul_lo_u32 v17, s26, v3
	v_mad_u64_u32 v[6:7], s[18:19], s26, v2, 0
	v_lshlrev_b64 v[4:5], 2, v[4:5]
	s_waitcnt lgkmcnt(0)
	v_mov_b32_e32 v15, s7
	v_add_co_u32_e32 v4, vcc, v4, v11
	v_addc_co_u32_e32 v5, vcc, 0, v5, vcc
	v_add3_u32 v7, v7, v17, v16
	v_add_co_u32_e32 v4, vcc, s6, v4
	v_lshlrev_b64 v[6:7], 2, v[6:7]
	v_addc_co_u32_e32 v5, vcc, v15, v5, vcc
	v_lshlrev_b32_e32 v15, 2, v1
	v_add_co_u32_e32 v6, vcc, v6, v15
	v_addc_co_u32_e32 v7, vcc, 0, v7, vcc
	v_mov_b32_e32 v15, s13
	v_add_co_u32_e32 v6, vcc, s12, v6
	v_mov_b32_e32 v10, 0
	v_cmp_gt_i32_e64 s[2:3], s16, v8
	v_add_u32_e32 v14, v13, v11
	v_addc_co_u32_e32 v7, vcc, v15, v7, vcc
	s_mov_b64 s[12:13], 0
	s_branch .LBB1436_3
.LBB1436_2:                             ;   in Loop: Header=BB1436_3 Depth=1
	s_or_b64 exec, exec, s[6:7]
	s_waitcnt vmcnt(0) lgkmcnt(0)
	ds_write_b32 v14, v15
	s_waitcnt lgkmcnt(0)
	s_barrier
	ds_read2_b32 v[23:24], v11 offset1:16
	ds_read_b128 v[15:18], v13
	ds_read2_b32 v[25:26], v11 offset0:32 offset1:48
	ds_read_b128 v[19:22], v13 offset:16
	s_add_u32 s12, s12, 16
	v_add_co_u32_e32 v4, vcc, 64, v4
	s_waitcnt lgkmcnt(2)
	v_fmac_f32_e32 v10, v23, v15
	v_fmac_f32_e32 v10, v24, v16
	ds_read2_b32 v[23:24], v11 offset0:64 offset1:80
	s_waitcnt lgkmcnt(2)
	v_fmac_f32_e32 v10, v25, v17
	v_fmac_f32_e32 v10, v26, v18
	ds_read2_b32 v[25:26], v11 offset0:96 offset1:112
	ds_read_b128 v[15:18], v13 offset:32
	s_addc_u32 s13, s13, 0
	s_waitcnt lgkmcnt(2)
	v_fmac_f32_e32 v10, v23, v19
	v_fmac_f32_e32 v10, v24, v20
	ds_read2_b32 v[23:24], v11 offset0:128 offset1:144
	s_waitcnt lgkmcnt(2)
	v_fmac_f32_e32 v10, v25, v21
	v_fmac_f32_e32 v10, v26, v22
	ds_read2_b32 v[25:26], v11 offset0:160 offset1:176
	ds_read_b128 v[19:22], v13 offset:48
	v_addc_co_u32_e32 v5, vcc, 0, v5, vcc
	s_waitcnt lgkmcnt(2)
	v_fmac_f32_e32 v10, v23, v15
	v_fmac_f32_e32 v10, v24, v16
	ds_read2_b32 v[15:16], v11 offset0:192 offset1:208
	s_waitcnt lgkmcnt(2)
	v_fmac_f32_e32 v10, v25, v17
	v_fmac_f32_e32 v10, v26, v18
	ds_read2_b32 v[17:18], v11 offset0:224 offset1:240
	v_add_co_u32_e64 v6, s[6:7], 64, v6
	s_waitcnt lgkmcnt(1)
	v_fmac_f32_e32 v10, v15, v19
	v_fmac_f32_e32 v10, v16, v20
	v_mov_b32_e32 v16, s11
	v_mov_b32_e32 v15, s10
	v_cmp_ge_i64_e32 vcc, s[12:13], v[15:16]
	s_waitcnt lgkmcnt(0)
	v_fmac_f32_e32 v10, v17, v21
	v_fmac_f32_e32 v10, v18, v22
	v_addc_co_u32_e64 v7, s[6:7], 0, v7, s[6:7]
	s_barrier
	s_cbranch_vccnz .LBB1436_8
.LBB1436_3:                             ; =>This Inner Loop Header: Depth=1
	v_mov_b32_e32 v16, s13
	v_add_co_u32_e32 v15, vcc, s12, v1
	v_addc_co_u32_e32 v16, vcc, 0, v16, vcc
	v_cmp_gt_i64_e32 vcc, s[10:11], v[15:16]
	v_mov_b32_e32 v15, 0
	s_and_b64 s[18:19], s[0:1], vcc
	s_and_saveexec_b64 s[6:7], s[18:19]
	s_cbranch_execz .LBB1436_5
; %bb.4:                                ;   in Loop: Header=BB1436_3 Depth=1
	flat_load_dword v15, v[6:7]
.LBB1436_5:                             ;   in Loop: Header=BB1436_3 Depth=1
	s_or_b64 exec, exec, s[6:7]
	v_mov_b32_e32 v17, s13
	v_add_co_u32_e32 v16, vcc, s12, v0
	v_addc_co_u32_e32 v17, vcc, 0, v17, vcc
	v_cmp_gt_i64_e32 vcc, s[10:11], v[16:17]
	s_waitcnt vmcnt(0) lgkmcnt(0)
	ds_write_b32 v12, v15
	s_and_b64 s[18:19], s[2:3], vcc
	v_mov_b32_e32 v15, 0
	s_and_saveexec_b64 s[6:7], s[18:19]
	s_cbranch_execz .LBB1436_2
; %bb.6:                                ;   in Loop: Header=BB1436_3 Depth=1
	flat_load_dword v15, v[4:5]
	s_branch .LBB1436_2
.LBB1436_7:
	v_mov_b32_e32 v10, 0
.LBB1436_8:
	v_cmp_le_i32_e32 vcc, v8, v2
	v_cmp_gt_i32_e64 s[0:1], s16, v2
	s_and_b64 s[0:1], vcc, s[0:1]
	s_and_saveexec_b64 s[2:3], s[0:1]
	s_cbranch_execz .LBB1436_10
; %bb.9:
	v_mul_lo_u32 v4, s15, v8
	v_mul_lo_u32 v5, s14, v9
	v_mad_u64_u32 v[0:1], s[0:1], s14, v8, 0
	s_load_dword s2, s[4:5], 0x10
	v_add3_u32 v1, v1, v5, v4
	v_lshlrev_b64 v[0:1], 2, v[0:1]
	s_waitcnt lgkmcnt(0)
	v_mov_b32_e32 v4, s9
	v_add_co_u32_e32 v5, vcc, s8, v0
	v_addc_co_u32_e32 v4, vcc, v4, v1, vcc
	v_lshlrev_b64 v[0:1], 2, v[2:3]
	v_mul_f32_e32 v6, s2, v10
	v_add_co_u32_e32 v0, vcc, v5, v0
	v_addc_co_u32_e32 v1, vcc, v4, v1, vcc
	flat_store_dword v[0:1], v6
.LBB1436_10:
	s_endpgm
	.section	.rodata,"a",@progbits
	.p2align	6, 0x0
	.amdhsa_kernel _ZL32rocblas_syrkx_herkx_small_kernelIlfLi16ELb1ELb0ELc84ELc76EKPKfKPfEviT_T0_PT6_S5_lS8_S5_lS6_PT7_S5_li
		.amdhsa_group_segment_fixed_size 2048
		.amdhsa_private_segment_fixed_size 0
		.amdhsa_kernarg_size 108
		.amdhsa_user_sgpr_count 6
		.amdhsa_user_sgpr_private_segment_buffer 1
		.amdhsa_user_sgpr_dispatch_ptr 0
		.amdhsa_user_sgpr_queue_ptr 0
		.amdhsa_user_sgpr_kernarg_segment_ptr 1
		.amdhsa_user_sgpr_dispatch_id 0
		.amdhsa_user_sgpr_flat_scratch_init 0
		.amdhsa_user_sgpr_private_segment_size 0
		.amdhsa_uses_dynamic_stack 0
		.amdhsa_system_sgpr_private_segment_wavefront_offset 0
		.amdhsa_system_sgpr_workgroup_id_x 1
		.amdhsa_system_sgpr_workgroup_id_y 1
		.amdhsa_system_sgpr_workgroup_id_z 1
		.amdhsa_system_sgpr_workgroup_info 0
		.amdhsa_system_vgpr_workitem_id 1
		.amdhsa_next_free_vgpr 27
		.amdhsa_next_free_sgpr 28
		.amdhsa_reserve_vcc 1
		.amdhsa_reserve_flat_scratch 0
		.amdhsa_float_round_mode_32 0
		.amdhsa_float_round_mode_16_64 0
		.amdhsa_float_denorm_mode_32 3
		.amdhsa_float_denorm_mode_16_64 3
		.amdhsa_dx10_clamp 1
		.amdhsa_ieee_mode 1
		.amdhsa_fp16_overflow 0
		.amdhsa_exception_fp_ieee_invalid_op 0
		.amdhsa_exception_fp_denorm_src 0
		.amdhsa_exception_fp_ieee_div_zero 0
		.amdhsa_exception_fp_ieee_overflow 0
		.amdhsa_exception_fp_ieee_underflow 0
		.amdhsa_exception_fp_ieee_inexact 0
		.amdhsa_exception_int_div_zero 0
	.end_amdhsa_kernel
	.section	.text._ZL32rocblas_syrkx_herkx_small_kernelIlfLi16ELb1ELb0ELc84ELc76EKPKfKPfEviT_T0_PT6_S5_lS8_S5_lS6_PT7_S5_li,"axG",@progbits,_ZL32rocblas_syrkx_herkx_small_kernelIlfLi16ELb1ELb0ELc84ELc76EKPKfKPfEviT_T0_PT6_S5_lS8_S5_lS6_PT7_S5_li,comdat
.Lfunc_end1436:
	.size	_ZL32rocblas_syrkx_herkx_small_kernelIlfLi16ELb1ELb0ELc84ELc76EKPKfKPfEviT_T0_PT6_S5_lS8_S5_lS6_PT7_S5_li, .Lfunc_end1436-_ZL32rocblas_syrkx_herkx_small_kernelIlfLi16ELb1ELb0ELc84ELc76EKPKfKPfEviT_T0_PT6_S5_lS8_S5_lS6_PT7_S5_li
                                        ; -- End function
	.set _ZL32rocblas_syrkx_herkx_small_kernelIlfLi16ELb1ELb0ELc84ELc76EKPKfKPfEviT_T0_PT6_S5_lS8_S5_lS6_PT7_S5_li.num_vgpr, 27
	.set _ZL32rocblas_syrkx_herkx_small_kernelIlfLi16ELb1ELb0ELc84ELc76EKPKfKPfEviT_T0_PT6_S5_lS8_S5_lS6_PT7_S5_li.num_agpr, 0
	.set _ZL32rocblas_syrkx_herkx_small_kernelIlfLi16ELb1ELb0ELc84ELc76EKPKfKPfEviT_T0_PT6_S5_lS8_S5_lS6_PT7_S5_li.numbered_sgpr, 28
	.set _ZL32rocblas_syrkx_herkx_small_kernelIlfLi16ELb1ELb0ELc84ELc76EKPKfKPfEviT_T0_PT6_S5_lS8_S5_lS6_PT7_S5_li.num_named_barrier, 0
	.set _ZL32rocblas_syrkx_herkx_small_kernelIlfLi16ELb1ELb0ELc84ELc76EKPKfKPfEviT_T0_PT6_S5_lS8_S5_lS6_PT7_S5_li.private_seg_size, 0
	.set _ZL32rocblas_syrkx_herkx_small_kernelIlfLi16ELb1ELb0ELc84ELc76EKPKfKPfEviT_T0_PT6_S5_lS8_S5_lS6_PT7_S5_li.uses_vcc, 1
	.set _ZL32rocblas_syrkx_herkx_small_kernelIlfLi16ELb1ELb0ELc84ELc76EKPKfKPfEviT_T0_PT6_S5_lS8_S5_lS6_PT7_S5_li.uses_flat_scratch, 0
	.set _ZL32rocblas_syrkx_herkx_small_kernelIlfLi16ELb1ELb0ELc84ELc76EKPKfKPfEviT_T0_PT6_S5_lS8_S5_lS6_PT7_S5_li.has_dyn_sized_stack, 0
	.set _ZL32rocblas_syrkx_herkx_small_kernelIlfLi16ELb1ELb0ELc84ELc76EKPKfKPfEviT_T0_PT6_S5_lS8_S5_lS6_PT7_S5_li.has_recursion, 0
	.set _ZL32rocblas_syrkx_herkx_small_kernelIlfLi16ELb1ELb0ELc84ELc76EKPKfKPfEviT_T0_PT6_S5_lS8_S5_lS6_PT7_S5_li.has_indirect_call, 0
	.section	.AMDGPU.csdata,"",@progbits
; Kernel info:
; codeLenInByte = 816
; TotalNumSgprs: 32
; NumVgprs: 27
; ScratchSize: 0
; MemoryBound: 0
; FloatMode: 240
; IeeeMode: 1
; LDSByteSize: 2048 bytes/workgroup (compile time only)
; SGPRBlocks: 3
; VGPRBlocks: 6
; NumSGPRsForWavesPerEU: 32
; NumVGPRsForWavesPerEU: 27
; Occupancy: 9
; WaveLimiterHint : 1
; COMPUTE_PGM_RSRC2:SCRATCH_EN: 0
; COMPUTE_PGM_RSRC2:USER_SGPR: 6
; COMPUTE_PGM_RSRC2:TRAP_HANDLER: 0
; COMPUTE_PGM_RSRC2:TGID_X_EN: 1
; COMPUTE_PGM_RSRC2:TGID_Y_EN: 1
; COMPUTE_PGM_RSRC2:TGID_Z_EN: 1
; COMPUTE_PGM_RSRC2:TIDIG_COMP_CNT: 1
	.section	.text._ZL32rocblas_syrkx_herkx_small_kernelIlfLi16ELb1ELb0ELc67ELc76EKPKfKPfEviT_T0_PT6_S5_lS8_S5_lS6_PT7_S5_li,"axG",@progbits,_ZL32rocblas_syrkx_herkx_small_kernelIlfLi16ELb1ELb0ELc67ELc76EKPKfKPfEviT_T0_PT6_S5_lS8_S5_lS6_PT7_S5_li,comdat
	.globl	_ZL32rocblas_syrkx_herkx_small_kernelIlfLi16ELb1ELb0ELc67ELc76EKPKfKPfEviT_T0_PT6_S5_lS8_S5_lS6_PT7_S5_li ; -- Begin function _ZL32rocblas_syrkx_herkx_small_kernelIlfLi16ELb1ELb0ELc67ELc76EKPKfKPfEviT_T0_PT6_S5_lS8_S5_lS6_PT7_S5_li
	.p2align	8
	.type	_ZL32rocblas_syrkx_herkx_small_kernelIlfLi16ELb1ELb0ELc67ELc76EKPKfKPfEviT_T0_PT6_S5_lS8_S5_lS6_PT7_S5_li,@function
_ZL32rocblas_syrkx_herkx_small_kernelIlfLi16ELb1ELb0ELc67ELc76EKPKfKPfEviT_T0_PT6_S5_lS8_S5_lS6_PT7_S5_li: ; @_ZL32rocblas_syrkx_herkx_small_kernelIlfLi16ELb1ELb0ELc67ELc76EKPKfKPfEviT_T0_PT6_S5_lS8_S5_lS6_PT7_S5_li
; %bb.0:
	s_load_dwordx4 s[12:15], s[4:5], 0x50
	s_load_dword s16, s[4:5], 0x0
	s_load_dwordx2 s[10:11], s[4:5], 0x8
	s_mov_b32 s9, 0
	s_lshl_b64 s[2:3], s[8:9], 3
	s_waitcnt lgkmcnt(0)
	s_add_u32 s0, s12, s2
	s_addc_u32 s1, s13, s3
	s_load_dwordx2 s[8:9], s[0:1], 0x0
	v_cmp_lt_i64_e64 s[0:1], s[10:11], 1
	v_lshl_add_u32 v2, s6, 4, v0
	v_lshl_add_u32 v8, s7, 4, v1
	s_and_b64 vcc, exec, s[0:1]
	v_cmp_gt_i32_e64 s[0:1], s16, v2
	v_ashrrev_i32_e32 v3, 31, v2
	v_ashrrev_i32_e32 v9, 31, v8
	s_cbranch_vccnz .LBB1437_7
; %bb.1:
	s_load_dwordx4 s[20:23], s[4:5], 0x30
	s_load_dwordx4 s[24:27], s[4:5], 0x18
	v_lshlrev_b32_e32 v6, 6, v1
	v_lshlrev_b32_e32 v11, 2, v0
	v_add_u32_e32 v12, v11, v6
	s_waitcnt lgkmcnt(0)
	s_add_u32 s6, s20, s2
	s_addc_u32 s7, s21, s3
	s_add_u32 s2, s24, s2
	s_addc_u32 s3, s25, s3
	s_load_dwordx2 s[12:13], s[2:3], 0x0
	v_mul_lo_u32 v7, s23, v8
	v_mul_lo_u32 v15, s22, v9
	v_mad_u64_u32 v[4:5], s[2:3], s22, v8, 0
	s_load_dwordx2 s[6:7], s[6:7], 0x0
	v_add_u32_e32 v13, 0x400, v6
	v_add3_u32 v5, v5, v15, v7
	v_mul_lo_u32 v16, s27, v2
	v_mul_lo_u32 v17, s26, v3
	v_mad_u64_u32 v[6:7], s[18:19], s26, v2, 0
	v_lshlrev_b64 v[4:5], 2, v[4:5]
	s_waitcnt lgkmcnt(0)
	v_mov_b32_e32 v15, s7
	v_add_co_u32_e32 v4, vcc, v4, v11
	v_addc_co_u32_e32 v5, vcc, 0, v5, vcc
	v_add3_u32 v7, v7, v17, v16
	v_add_co_u32_e32 v4, vcc, s6, v4
	v_lshlrev_b64 v[6:7], 2, v[6:7]
	v_addc_co_u32_e32 v5, vcc, v15, v5, vcc
	v_lshlrev_b32_e32 v15, 2, v1
	v_add_co_u32_e32 v6, vcc, v6, v15
	v_addc_co_u32_e32 v7, vcc, 0, v7, vcc
	v_mov_b32_e32 v15, s13
	v_add_co_u32_e32 v6, vcc, s12, v6
	v_mov_b32_e32 v10, 0
	v_cmp_gt_i32_e64 s[2:3], s16, v8
	v_add_u32_e32 v14, v13, v11
	v_addc_co_u32_e32 v7, vcc, v15, v7, vcc
	s_mov_b64 s[12:13], 0
	s_branch .LBB1437_3
.LBB1437_2:                             ;   in Loop: Header=BB1437_3 Depth=1
	s_or_b64 exec, exec, s[6:7]
	s_waitcnt vmcnt(0) lgkmcnt(0)
	ds_write_b32 v14, v15
	s_waitcnt lgkmcnt(0)
	s_barrier
	ds_read2_b32 v[23:24], v11 offset1:16
	ds_read_b128 v[15:18], v13
	ds_read2_b32 v[25:26], v11 offset0:32 offset1:48
	ds_read_b128 v[19:22], v13 offset:16
	s_add_u32 s12, s12, 16
	v_add_co_u32_e32 v4, vcc, 64, v4
	s_waitcnt lgkmcnt(2)
	v_fmac_f32_e32 v10, v23, v15
	v_fmac_f32_e32 v10, v24, v16
	ds_read2_b32 v[23:24], v11 offset0:64 offset1:80
	s_waitcnt lgkmcnt(2)
	v_fmac_f32_e32 v10, v25, v17
	v_fmac_f32_e32 v10, v26, v18
	ds_read2_b32 v[25:26], v11 offset0:96 offset1:112
	ds_read_b128 v[15:18], v13 offset:32
	s_addc_u32 s13, s13, 0
	s_waitcnt lgkmcnt(2)
	v_fmac_f32_e32 v10, v23, v19
	v_fmac_f32_e32 v10, v24, v20
	ds_read2_b32 v[23:24], v11 offset0:128 offset1:144
	s_waitcnt lgkmcnt(2)
	v_fmac_f32_e32 v10, v25, v21
	v_fmac_f32_e32 v10, v26, v22
	ds_read2_b32 v[25:26], v11 offset0:160 offset1:176
	ds_read_b128 v[19:22], v13 offset:48
	v_addc_co_u32_e32 v5, vcc, 0, v5, vcc
	s_waitcnt lgkmcnt(2)
	v_fmac_f32_e32 v10, v23, v15
	v_fmac_f32_e32 v10, v24, v16
	ds_read2_b32 v[15:16], v11 offset0:192 offset1:208
	s_waitcnt lgkmcnt(2)
	v_fmac_f32_e32 v10, v25, v17
	v_fmac_f32_e32 v10, v26, v18
	ds_read2_b32 v[17:18], v11 offset0:224 offset1:240
	v_add_co_u32_e64 v6, s[6:7], 64, v6
	s_waitcnt lgkmcnt(1)
	v_fmac_f32_e32 v10, v15, v19
	v_fmac_f32_e32 v10, v16, v20
	v_mov_b32_e32 v16, s11
	v_mov_b32_e32 v15, s10
	v_cmp_ge_i64_e32 vcc, s[12:13], v[15:16]
	s_waitcnt lgkmcnt(0)
	v_fmac_f32_e32 v10, v17, v21
	v_fmac_f32_e32 v10, v18, v22
	v_addc_co_u32_e64 v7, s[6:7], 0, v7, s[6:7]
	s_barrier
	s_cbranch_vccnz .LBB1437_8
.LBB1437_3:                             ; =>This Inner Loop Header: Depth=1
	v_mov_b32_e32 v16, s13
	v_add_co_u32_e32 v15, vcc, s12, v1
	v_addc_co_u32_e32 v16, vcc, 0, v16, vcc
	v_cmp_gt_i64_e32 vcc, s[10:11], v[15:16]
	v_mov_b32_e32 v15, 0
	s_and_b64 s[18:19], s[0:1], vcc
	s_and_saveexec_b64 s[6:7], s[18:19]
	s_cbranch_execz .LBB1437_5
; %bb.4:                                ;   in Loop: Header=BB1437_3 Depth=1
	flat_load_dword v15, v[6:7]
.LBB1437_5:                             ;   in Loop: Header=BB1437_3 Depth=1
	s_or_b64 exec, exec, s[6:7]
	v_mov_b32_e32 v17, s13
	v_add_co_u32_e32 v16, vcc, s12, v0
	v_addc_co_u32_e32 v17, vcc, 0, v17, vcc
	v_cmp_gt_i64_e32 vcc, s[10:11], v[16:17]
	s_waitcnt vmcnt(0) lgkmcnt(0)
	ds_write_b32 v12, v15
	s_and_b64 s[18:19], s[2:3], vcc
	v_mov_b32_e32 v15, 0
	s_and_saveexec_b64 s[6:7], s[18:19]
	s_cbranch_execz .LBB1437_2
; %bb.6:                                ;   in Loop: Header=BB1437_3 Depth=1
	flat_load_dword v15, v[4:5]
	s_branch .LBB1437_2
.LBB1437_7:
	v_mov_b32_e32 v10, 0
.LBB1437_8:
	v_cmp_le_i32_e32 vcc, v8, v2
	v_cmp_gt_i32_e64 s[0:1], s16, v2
	s_and_b64 s[0:1], vcc, s[0:1]
	s_and_saveexec_b64 s[2:3], s[0:1]
	s_cbranch_execz .LBB1437_10
; %bb.9:
	v_mul_lo_u32 v4, s15, v8
	v_mul_lo_u32 v5, s14, v9
	v_mad_u64_u32 v[0:1], s[0:1], s14, v8, 0
	s_load_dword s2, s[4:5], 0x10
	v_add3_u32 v1, v1, v5, v4
	v_lshlrev_b64 v[0:1], 2, v[0:1]
	s_waitcnt lgkmcnt(0)
	v_mov_b32_e32 v4, s9
	v_add_co_u32_e32 v5, vcc, s8, v0
	v_addc_co_u32_e32 v4, vcc, v4, v1, vcc
	v_lshlrev_b64 v[0:1], 2, v[2:3]
	v_mul_f32_e32 v6, s2, v10
	v_add_co_u32_e32 v0, vcc, v5, v0
	v_addc_co_u32_e32 v1, vcc, v4, v1, vcc
	flat_store_dword v[0:1], v6
.LBB1437_10:
	s_endpgm
	.section	.rodata,"a",@progbits
	.p2align	6, 0x0
	.amdhsa_kernel _ZL32rocblas_syrkx_herkx_small_kernelIlfLi16ELb1ELb0ELc67ELc76EKPKfKPfEviT_T0_PT6_S5_lS8_S5_lS6_PT7_S5_li
		.amdhsa_group_segment_fixed_size 2048
		.amdhsa_private_segment_fixed_size 0
		.amdhsa_kernarg_size 108
		.amdhsa_user_sgpr_count 6
		.amdhsa_user_sgpr_private_segment_buffer 1
		.amdhsa_user_sgpr_dispatch_ptr 0
		.amdhsa_user_sgpr_queue_ptr 0
		.amdhsa_user_sgpr_kernarg_segment_ptr 1
		.amdhsa_user_sgpr_dispatch_id 0
		.amdhsa_user_sgpr_flat_scratch_init 0
		.amdhsa_user_sgpr_private_segment_size 0
		.amdhsa_uses_dynamic_stack 0
		.amdhsa_system_sgpr_private_segment_wavefront_offset 0
		.amdhsa_system_sgpr_workgroup_id_x 1
		.amdhsa_system_sgpr_workgroup_id_y 1
		.amdhsa_system_sgpr_workgroup_id_z 1
		.amdhsa_system_sgpr_workgroup_info 0
		.amdhsa_system_vgpr_workitem_id 1
		.amdhsa_next_free_vgpr 27
		.amdhsa_next_free_sgpr 28
		.amdhsa_reserve_vcc 1
		.amdhsa_reserve_flat_scratch 0
		.amdhsa_float_round_mode_32 0
		.amdhsa_float_round_mode_16_64 0
		.amdhsa_float_denorm_mode_32 3
		.amdhsa_float_denorm_mode_16_64 3
		.amdhsa_dx10_clamp 1
		.amdhsa_ieee_mode 1
		.amdhsa_fp16_overflow 0
		.amdhsa_exception_fp_ieee_invalid_op 0
		.amdhsa_exception_fp_denorm_src 0
		.amdhsa_exception_fp_ieee_div_zero 0
		.amdhsa_exception_fp_ieee_overflow 0
		.amdhsa_exception_fp_ieee_underflow 0
		.amdhsa_exception_fp_ieee_inexact 0
		.amdhsa_exception_int_div_zero 0
	.end_amdhsa_kernel
	.section	.text._ZL32rocblas_syrkx_herkx_small_kernelIlfLi16ELb1ELb0ELc67ELc76EKPKfKPfEviT_T0_PT6_S5_lS8_S5_lS6_PT7_S5_li,"axG",@progbits,_ZL32rocblas_syrkx_herkx_small_kernelIlfLi16ELb1ELb0ELc67ELc76EKPKfKPfEviT_T0_PT6_S5_lS8_S5_lS6_PT7_S5_li,comdat
.Lfunc_end1437:
	.size	_ZL32rocblas_syrkx_herkx_small_kernelIlfLi16ELb1ELb0ELc67ELc76EKPKfKPfEviT_T0_PT6_S5_lS8_S5_lS6_PT7_S5_li, .Lfunc_end1437-_ZL32rocblas_syrkx_herkx_small_kernelIlfLi16ELb1ELb0ELc67ELc76EKPKfKPfEviT_T0_PT6_S5_lS8_S5_lS6_PT7_S5_li
                                        ; -- End function
	.set _ZL32rocblas_syrkx_herkx_small_kernelIlfLi16ELb1ELb0ELc67ELc76EKPKfKPfEviT_T0_PT6_S5_lS8_S5_lS6_PT7_S5_li.num_vgpr, 27
	.set _ZL32rocblas_syrkx_herkx_small_kernelIlfLi16ELb1ELb0ELc67ELc76EKPKfKPfEviT_T0_PT6_S5_lS8_S5_lS6_PT7_S5_li.num_agpr, 0
	.set _ZL32rocblas_syrkx_herkx_small_kernelIlfLi16ELb1ELb0ELc67ELc76EKPKfKPfEviT_T0_PT6_S5_lS8_S5_lS6_PT7_S5_li.numbered_sgpr, 28
	.set _ZL32rocblas_syrkx_herkx_small_kernelIlfLi16ELb1ELb0ELc67ELc76EKPKfKPfEviT_T0_PT6_S5_lS8_S5_lS6_PT7_S5_li.num_named_barrier, 0
	.set _ZL32rocblas_syrkx_herkx_small_kernelIlfLi16ELb1ELb0ELc67ELc76EKPKfKPfEviT_T0_PT6_S5_lS8_S5_lS6_PT7_S5_li.private_seg_size, 0
	.set _ZL32rocblas_syrkx_herkx_small_kernelIlfLi16ELb1ELb0ELc67ELc76EKPKfKPfEviT_T0_PT6_S5_lS8_S5_lS6_PT7_S5_li.uses_vcc, 1
	.set _ZL32rocblas_syrkx_herkx_small_kernelIlfLi16ELb1ELb0ELc67ELc76EKPKfKPfEviT_T0_PT6_S5_lS8_S5_lS6_PT7_S5_li.uses_flat_scratch, 0
	.set _ZL32rocblas_syrkx_herkx_small_kernelIlfLi16ELb1ELb0ELc67ELc76EKPKfKPfEviT_T0_PT6_S5_lS8_S5_lS6_PT7_S5_li.has_dyn_sized_stack, 0
	.set _ZL32rocblas_syrkx_herkx_small_kernelIlfLi16ELb1ELb0ELc67ELc76EKPKfKPfEviT_T0_PT6_S5_lS8_S5_lS6_PT7_S5_li.has_recursion, 0
	.set _ZL32rocblas_syrkx_herkx_small_kernelIlfLi16ELb1ELb0ELc67ELc76EKPKfKPfEviT_T0_PT6_S5_lS8_S5_lS6_PT7_S5_li.has_indirect_call, 0
	.section	.AMDGPU.csdata,"",@progbits
; Kernel info:
; codeLenInByte = 816
; TotalNumSgprs: 32
; NumVgprs: 27
; ScratchSize: 0
; MemoryBound: 0
; FloatMode: 240
; IeeeMode: 1
; LDSByteSize: 2048 bytes/workgroup (compile time only)
; SGPRBlocks: 3
; VGPRBlocks: 6
; NumSGPRsForWavesPerEU: 32
; NumVGPRsForWavesPerEU: 27
; Occupancy: 9
; WaveLimiterHint : 1
; COMPUTE_PGM_RSRC2:SCRATCH_EN: 0
; COMPUTE_PGM_RSRC2:USER_SGPR: 6
; COMPUTE_PGM_RSRC2:TRAP_HANDLER: 0
; COMPUTE_PGM_RSRC2:TGID_X_EN: 1
; COMPUTE_PGM_RSRC2:TGID_Y_EN: 1
; COMPUTE_PGM_RSRC2:TGID_Z_EN: 1
; COMPUTE_PGM_RSRC2:TIDIG_COMP_CNT: 1
	.section	.text._ZL32rocblas_syrkx_herkx_small_kernelIlfLi16ELb1ELb0ELc78ELc76EKPKfKPfEviT_T0_PT6_S5_lS8_S5_lS6_PT7_S5_li,"axG",@progbits,_ZL32rocblas_syrkx_herkx_small_kernelIlfLi16ELb1ELb0ELc78ELc76EKPKfKPfEviT_T0_PT6_S5_lS8_S5_lS6_PT7_S5_li,comdat
	.globl	_ZL32rocblas_syrkx_herkx_small_kernelIlfLi16ELb1ELb0ELc78ELc76EKPKfKPfEviT_T0_PT6_S5_lS8_S5_lS6_PT7_S5_li ; -- Begin function _ZL32rocblas_syrkx_herkx_small_kernelIlfLi16ELb1ELb0ELc78ELc76EKPKfKPfEviT_T0_PT6_S5_lS8_S5_lS6_PT7_S5_li
	.p2align	8
	.type	_ZL32rocblas_syrkx_herkx_small_kernelIlfLi16ELb1ELb0ELc78ELc76EKPKfKPfEviT_T0_PT6_S5_lS8_S5_lS6_PT7_S5_li,@function
_ZL32rocblas_syrkx_herkx_small_kernelIlfLi16ELb1ELb0ELc78ELc76EKPKfKPfEviT_T0_PT6_S5_lS8_S5_lS6_PT7_S5_li: ; @_ZL32rocblas_syrkx_herkx_small_kernelIlfLi16ELb1ELb0ELc78ELc76EKPKfKPfEviT_T0_PT6_S5_lS8_S5_lS6_PT7_S5_li
; %bb.0:
	s_load_dwordx4 s[12:15], s[4:5], 0x50
	s_load_dword s22, s[4:5], 0x0
	s_load_dwordx2 s[20:21], s[4:5], 0x8
	s_mov_b32 s9, 0
	s_lshl_b64 s[2:3], s[8:9], 3
	s_waitcnt lgkmcnt(0)
	s_add_u32 s0, s12, s2
	s_addc_u32 s1, s13, s3
	s_load_dwordx2 s[12:13], s[0:1], 0x0
	v_cmp_lt_i64_e64 s[0:1], s[20:21], 1
	v_lshl_add_u32 v2, s6, 4, v0
	v_lshl_add_u32 v4, s7, 4, v1
	s_and_b64 vcc, exec, s[0:1]
	v_cmp_gt_i32_e64 s[0:1], s22, v2
	v_ashrrev_i32_e32 v3, 31, v2
	v_ashrrev_i32_e32 v5, 31, v4
	s_cbranch_vccnz .LBB1438_7
; %bb.1:
	s_load_dwordx4 s[16:19], s[4:5], 0x30
	s_load_dwordx4 s[8:11], s[4:5], 0x18
	v_lshlrev_b32_e32 v9, 6, v1
	v_lshlrev_b32_e32 v11, 2, v0
	v_add_u32_e32 v12, v11, v9
	s_waitcnt lgkmcnt(0)
	s_add_u32 s6, s16, s2
	s_addc_u32 s7, s17, s3
	s_add_u32 s2, s8, s2
	s_addc_u32 s3, s9, s3
	s_load_dwordx2 s[16:17], s[2:3], 0x0
	v_mad_u64_u32 v[6:7], s[2:3], s18, v0, 0
	v_mad_u64_u32 v[15:16], s[8:9], s10, v1, 0
	;; [unrolled: 1-line block ×3, first 2 shown]
	v_add_u32_e32 v13, 0x400, v9
	v_lshlrev_b64 v[8:9], 2, v[4:5]
	v_lshlrev_b64 v[6:7], 2, v[6:7]
	s_load_dwordx2 s[6:7], s[6:7], 0x0
	v_add_co_u32_e32 v17, vcc, v6, v8
	v_addc_co_u32_e32 v7, vcc, v7, v9, vcc
	v_mov_b32_e32 v6, v16
	v_mad_u64_u32 v[8:9], s[8:9], s11, v1, v[6:7]
	s_waitcnt lgkmcnt(0)
	v_mov_b32_e32 v18, s7
	v_add_co_u32_e32 v6, vcc, s6, v17
	v_mov_b32_e32 v16, v8
	v_lshlrev_b64 v[8:9], 2, v[15:16]
	v_lshlrev_b64 v[15:16], 2, v[2:3]
	v_addc_co_u32_e32 v7, vcc, v18, v7, vcc
	v_add_co_u32_e32 v8, vcc, v8, v15
	v_addc_co_u32_e32 v9, vcc, v9, v16, vcc
	v_mov_b32_e32 v15, s17
	v_add_co_u32_e32 v8, vcc, s16, v8
	v_mov_b32_e32 v10, 0
	v_cmp_gt_i32_e64 s[2:3], s22, v4
	v_add_u32_e32 v14, v13, v11
	s_lshl_b64 s[8:9], s[18:19], 6
	v_addc_co_u32_e32 v9, vcc, v15, v9, vcc
	s_lshl_b64 s[10:11], s[10:11], 6
	s_mov_b64 s[16:17], 0
	s_branch .LBB1438_3
.LBB1438_2:                             ;   in Loop: Header=BB1438_3 Depth=1
	s_or_b64 exec, exec, s[6:7]
	s_waitcnt vmcnt(0) lgkmcnt(0)
	ds_write_b32 v14, v15
	s_waitcnt lgkmcnt(0)
	s_barrier
	ds_read2_b32 v[23:24], v11 offset1:16
	ds_read_b128 v[15:18], v13
	ds_read2_b32 v[25:26], v11 offset0:32 offset1:48
	ds_read_b128 v[19:22], v13 offset:16
	v_add_co_u32_e32 v6, vcc, s8, v6
	s_waitcnt lgkmcnt(2)
	v_fmac_f32_e32 v10, v23, v15
	v_fmac_f32_e32 v10, v24, v16
	ds_read2_b32 v[23:24], v11 offset0:64 offset1:80
	s_waitcnt lgkmcnt(2)
	v_fmac_f32_e32 v10, v25, v17
	v_fmac_f32_e32 v10, v26, v18
	ds_read2_b32 v[25:26], v11 offset0:96 offset1:112
	ds_read_b128 v[15:18], v13 offset:32
	s_add_u32 s16, s16, 16
	s_waitcnt lgkmcnt(2)
	v_fmac_f32_e32 v10, v23, v19
	v_fmac_f32_e32 v10, v24, v20
	ds_read2_b32 v[23:24], v11 offset0:128 offset1:144
	s_waitcnt lgkmcnt(2)
	v_fmac_f32_e32 v10, v25, v21
	v_fmac_f32_e32 v10, v26, v22
	ds_read2_b32 v[25:26], v11 offset0:160 offset1:176
	ds_read_b128 v[19:22], v13 offset:48
	s_addc_u32 s17, s17, 0
	s_waitcnt lgkmcnt(2)
	v_fmac_f32_e32 v10, v23, v15
	v_fmac_f32_e32 v10, v24, v16
	ds_read2_b32 v[15:16], v11 offset0:192 offset1:208
	s_waitcnt lgkmcnt(2)
	v_fmac_f32_e32 v10, v25, v17
	v_fmac_f32_e32 v10, v26, v18
	ds_read2_b32 v[17:18], v11 offset0:224 offset1:240
	v_add_co_u32_e64 v8, s[6:7], s10, v8
	s_waitcnt lgkmcnt(1)
	v_fmac_f32_e32 v10, v15, v19
	v_mov_b32_e32 v15, s9
	v_fmac_f32_e32 v10, v16, v20
	v_addc_co_u32_e32 v7, vcc, v7, v15, vcc
	v_mov_b32_e32 v15, s20
	v_mov_b32_e32 v16, s21
	v_cmp_ge_i64_e32 vcc, s[16:17], v[15:16]
	s_waitcnt lgkmcnt(0)
	v_fmac_f32_e32 v10, v17, v21
	v_mov_b32_e32 v17, s11
	v_fmac_f32_e32 v10, v18, v22
	v_addc_co_u32_e64 v9, s[6:7], v9, v17, s[6:7]
	s_barrier
	s_cbranch_vccnz .LBB1438_8
.LBB1438_3:                             ; =>This Inner Loop Header: Depth=1
	v_mov_b32_e32 v16, s17
	v_add_co_u32_e32 v15, vcc, s16, v1
	v_addc_co_u32_e32 v16, vcc, 0, v16, vcc
	v_cmp_gt_i64_e32 vcc, s[20:21], v[15:16]
	v_mov_b32_e32 v15, 0
	s_and_b64 s[18:19], s[0:1], vcc
	s_and_saveexec_b64 s[6:7], s[18:19]
	s_cbranch_execz .LBB1438_5
; %bb.4:                                ;   in Loop: Header=BB1438_3 Depth=1
	flat_load_dword v15, v[8:9]
.LBB1438_5:                             ;   in Loop: Header=BB1438_3 Depth=1
	s_or_b64 exec, exec, s[6:7]
	v_mov_b32_e32 v17, s17
	v_add_co_u32_e32 v16, vcc, s16, v0
	v_addc_co_u32_e32 v17, vcc, 0, v17, vcc
	v_cmp_gt_i64_e32 vcc, s[20:21], v[16:17]
	s_waitcnt vmcnt(0) lgkmcnt(0)
	ds_write_b32 v12, v15
	s_and_b64 s[18:19], s[2:3], vcc
	v_mov_b32_e32 v15, 0
	s_and_saveexec_b64 s[6:7], s[18:19]
	s_cbranch_execz .LBB1438_2
; %bb.6:                                ;   in Loop: Header=BB1438_3 Depth=1
	flat_load_dword v15, v[6:7]
	s_branch .LBB1438_2
.LBB1438_7:
	v_mov_b32_e32 v10, 0
.LBB1438_8:
	v_cmp_le_i32_e32 vcc, v4, v2
	v_cmp_gt_i32_e64 s[0:1], s22, v2
	s_and_b64 s[0:1], vcc, s[0:1]
	s_and_saveexec_b64 s[2:3], s[0:1]
	s_cbranch_execz .LBB1438_10
; %bb.9:
	v_mul_lo_u32 v6, s15, v4
	v_mul_lo_u32 v5, s14, v5
	v_mad_u64_u32 v[0:1], s[0:1], s14, v4, 0
	s_load_dword s2, s[4:5], 0x10
	v_add3_u32 v1, v1, v5, v6
	v_lshlrev_b64 v[0:1], 2, v[0:1]
	s_waitcnt lgkmcnt(0)
	v_mov_b32_e32 v5, s13
	v_add_co_u32_e32 v6, vcc, s12, v0
	v_addc_co_u32_e32 v5, vcc, v5, v1, vcc
	v_lshlrev_b64 v[0:1], 2, v[2:3]
	v_mul_f32_e32 v4, s2, v10
	v_add_co_u32_e32 v0, vcc, v6, v0
	v_addc_co_u32_e32 v1, vcc, v5, v1, vcc
	flat_store_dword v[0:1], v4
.LBB1438_10:
	s_endpgm
	.section	.rodata,"a",@progbits
	.p2align	6, 0x0
	.amdhsa_kernel _ZL32rocblas_syrkx_herkx_small_kernelIlfLi16ELb1ELb0ELc78ELc76EKPKfKPfEviT_T0_PT6_S5_lS8_S5_lS6_PT7_S5_li
		.amdhsa_group_segment_fixed_size 2048
		.amdhsa_private_segment_fixed_size 0
		.amdhsa_kernarg_size 108
		.amdhsa_user_sgpr_count 6
		.amdhsa_user_sgpr_private_segment_buffer 1
		.amdhsa_user_sgpr_dispatch_ptr 0
		.amdhsa_user_sgpr_queue_ptr 0
		.amdhsa_user_sgpr_kernarg_segment_ptr 1
		.amdhsa_user_sgpr_dispatch_id 0
		.amdhsa_user_sgpr_flat_scratch_init 0
		.amdhsa_user_sgpr_private_segment_size 0
		.amdhsa_uses_dynamic_stack 0
		.amdhsa_system_sgpr_private_segment_wavefront_offset 0
		.amdhsa_system_sgpr_workgroup_id_x 1
		.amdhsa_system_sgpr_workgroup_id_y 1
		.amdhsa_system_sgpr_workgroup_id_z 1
		.amdhsa_system_sgpr_workgroup_info 0
		.amdhsa_system_vgpr_workitem_id 1
		.amdhsa_next_free_vgpr 27
		.amdhsa_next_free_sgpr 23
		.amdhsa_reserve_vcc 1
		.amdhsa_reserve_flat_scratch 0
		.amdhsa_float_round_mode_32 0
		.amdhsa_float_round_mode_16_64 0
		.amdhsa_float_denorm_mode_32 3
		.amdhsa_float_denorm_mode_16_64 3
		.amdhsa_dx10_clamp 1
		.amdhsa_ieee_mode 1
		.amdhsa_fp16_overflow 0
		.amdhsa_exception_fp_ieee_invalid_op 0
		.amdhsa_exception_fp_denorm_src 0
		.amdhsa_exception_fp_ieee_div_zero 0
		.amdhsa_exception_fp_ieee_overflow 0
		.amdhsa_exception_fp_ieee_underflow 0
		.amdhsa_exception_fp_ieee_inexact 0
		.amdhsa_exception_int_div_zero 0
	.end_amdhsa_kernel
	.section	.text._ZL32rocblas_syrkx_herkx_small_kernelIlfLi16ELb1ELb0ELc78ELc76EKPKfKPfEviT_T0_PT6_S5_lS8_S5_lS6_PT7_S5_li,"axG",@progbits,_ZL32rocblas_syrkx_herkx_small_kernelIlfLi16ELb1ELb0ELc78ELc76EKPKfKPfEviT_T0_PT6_S5_lS8_S5_lS6_PT7_S5_li,comdat
.Lfunc_end1438:
	.size	_ZL32rocblas_syrkx_herkx_small_kernelIlfLi16ELb1ELb0ELc78ELc76EKPKfKPfEviT_T0_PT6_S5_lS8_S5_lS6_PT7_S5_li, .Lfunc_end1438-_ZL32rocblas_syrkx_herkx_small_kernelIlfLi16ELb1ELb0ELc78ELc76EKPKfKPfEviT_T0_PT6_S5_lS8_S5_lS6_PT7_S5_li
                                        ; -- End function
	.set _ZL32rocblas_syrkx_herkx_small_kernelIlfLi16ELb1ELb0ELc78ELc76EKPKfKPfEviT_T0_PT6_S5_lS8_S5_lS6_PT7_S5_li.num_vgpr, 27
	.set _ZL32rocblas_syrkx_herkx_small_kernelIlfLi16ELb1ELb0ELc78ELc76EKPKfKPfEviT_T0_PT6_S5_lS8_S5_lS6_PT7_S5_li.num_agpr, 0
	.set _ZL32rocblas_syrkx_herkx_small_kernelIlfLi16ELb1ELb0ELc78ELc76EKPKfKPfEviT_T0_PT6_S5_lS8_S5_lS6_PT7_S5_li.numbered_sgpr, 23
	.set _ZL32rocblas_syrkx_herkx_small_kernelIlfLi16ELb1ELb0ELc78ELc76EKPKfKPfEviT_T0_PT6_S5_lS8_S5_lS6_PT7_S5_li.num_named_barrier, 0
	.set _ZL32rocblas_syrkx_herkx_small_kernelIlfLi16ELb1ELb0ELc78ELc76EKPKfKPfEviT_T0_PT6_S5_lS8_S5_lS6_PT7_S5_li.private_seg_size, 0
	.set _ZL32rocblas_syrkx_herkx_small_kernelIlfLi16ELb1ELb0ELc78ELc76EKPKfKPfEviT_T0_PT6_S5_lS8_S5_lS6_PT7_S5_li.uses_vcc, 1
	.set _ZL32rocblas_syrkx_herkx_small_kernelIlfLi16ELb1ELb0ELc78ELc76EKPKfKPfEviT_T0_PT6_S5_lS8_S5_lS6_PT7_S5_li.uses_flat_scratch, 0
	.set _ZL32rocblas_syrkx_herkx_small_kernelIlfLi16ELb1ELb0ELc78ELc76EKPKfKPfEviT_T0_PT6_S5_lS8_S5_lS6_PT7_S5_li.has_dyn_sized_stack, 0
	.set _ZL32rocblas_syrkx_herkx_small_kernelIlfLi16ELb1ELb0ELc78ELc76EKPKfKPfEviT_T0_PT6_S5_lS8_S5_lS6_PT7_S5_li.has_recursion, 0
	.set _ZL32rocblas_syrkx_herkx_small_kernelIlfLi16ELb1ELb0ELc78ELc76EKPKfKPfEviT_T0_PT6_S5_lS8_S5_lS6_PT7_S5_li.has_indirect_call, 0
	.section	.AMDGPU.csdata,"",@progbits
; Kernel info:
; codeLenInByte = 820
; TotalNumSgprs: 27
; NumVgprs: 27
; ScratchSize: 0
; MemoryBound: 0
; FloatMode: 240
; IeeeMode: 1
; LDSByteSize: 2048 bytes/workgroup (compile time only)
; SGPRBlocks: 3
; VGPRBlocks: 6
; NumSGPRsForWavesPerEU: 27
; NumVGPRsForWavesPerEU: 27
; Occupancy: 9
; WaveLimiterHint : 1
; COMPUTE_PGM_RSRC2:SCRATCH_EN: 0
; COMPUTE_PGM_RSRC2:USER_SGPR: 6
; COMPUTE_PGM_RSRC2:TRAP_HANDLER: 0
; COMPUTE_PGM_RSRC2:TGID_X_EN: 1
; COMPUTE_PGM_RSRC2:TGID_Y_EN: 1
; COMPUTE_PGM_RSRC2:TGID_Z_EN: 1
; COMPUTE_PGM_RSRC2:TIDIG_COMP_CNT: 1
	.section	.text._ZL32rocblas_syrkx_herkx_small_kernelIlfLi16ELb1ELb0ELc84ELc85EKPKfKPfEviT_T0_PT6_S5_lS8_S5_lS6_PT7_S5_li,"axG",@progbits,_ZL32rocblas_syrkx_herkx_small_kernelIlfLi16ELb1ELb0ELc84ELc85EKPKfKPfEviT_T0_PT6_S5_lS8_S5_lS6_PT7_S5_li,comdat
	.globl	_ZL32rocblas_syrkx_herkx_small_kernelIlfLi16ELb1ELb0ELc84ELc85EKPKfKPfEviT_T0_PT6_S5_lS8_S5_lS6_PT7_S5_li ; -- Begin function _ZL32rocblas_syrkx_herkx_small_kernelIlfLi16ELb1ELb0ELc84ELc85EKPKfKPfEviT_T0_PT6_S5_lS8_S5_lS6_PT7_S5_li
	.p2align	8
	.type	_ZL32rocblas_syrkx_herkx_small_kernelIlfLi16ELb1ELb0ELc84ELc85EKPKfKPfEviT_T0_PT6_S5_lS8_S5_lS6_PT7_S5_li,@function
_ZL32rocblas_syrkx_herkx_small_kernelIlfLi16ELb1ELb0ELc84ELc85EKPKfKPfEviT_T0_PT6_S5_lS8_S5_lS6_PT7_S5_li: ; @_ZL32rocblas_syrkx_herkx_small_kernelIlfLi16ELb1ELb0ELc84ELc85EKPKfKPfEviT_T0_PT6_S5_lS8_S5_lS6_PT7_S5_li
; %bb.0:
	s_load_dwordx4 s[12:15], s[4:5], 0x50
	s_load_dword s18, s[4:5], 0x0
	s_load_dwordx2 s[10:11], s[4:5], 0x8
	s_mov_b32 s9, 0
	s_lshl_b64 s[16:17], s[8:9], 3
	s_waitcnt lgkmcnt(0)
	s_add_u32 s0, s12, s16
	s_addc_u32 s1, s13, s17
	s_load_dwordx2 s[8:9], s[0:1], 0x0
	v_cmp_lt_i64_e64 s[0:1], s[10:11], 1
	v_lshl_add_u32 v2, s6, 4, v0
	v_lshl_add_u32 v8, s7, 4, v1
	s_and_b64 vcc, exec, s[0:1]
	v_ashrrev_i32_e32 v3, 31, v2
	v_cmp_gt_i32_e64 s[0:1], s18, v8
	v_ashrrev_i32_e32 v9, 31, v8
	s_cbranch_vccnz .LBB1439_7
; %bb.1:
	s_load_dwordx4 s[20:23], s[4:5], 0x30
	s_load_dwordx4 s[24:27], s[4:5], 0x18
	v_lshlrev_b32_e32 v6, 6, v1
	v_lshlrev_b32_e32 v11, 2, v0
	v_add_u32_e32 v12, v11, v6
	s_waitcnt lgkmcnt(0)
	s_add_u32 s6, s20, s16
	s_addc_u32 s7, s21, s17
	s_add_u32 s12, s24, s16
	s_addc_u32 s13, s25, s17
	v_mul_lo_u32 v7, s23, v8
	v_mul_lo_u32 v15, s22, v9
	v_mad_u64_u32 v[4:5], s[16:17], s22, v8, 0
	s_load_dwordx2 s[6:7], s[6:7], 0x0
	v_add_u32_e32 v13, 0x400, v6
	v_add3_u32 v5, v5, v15, v7
	v_mul_lo_u32 v16, s27, v2
	v_mul_lo_u32 v17, s26, v3
	v_mad_u64_u32 v[6:7], s[16:17], s26, v2, 0
	v_lshlrev_b64 v[4:5], 2, v[4:5]
	s_load_dwordx2 s[12:13], s[12:13], 0x0
	v_add_co_u32_e32 v4, vcc, v4, v11
	v_addc_co_u32_e32 v5, vcc, 0, v5, vcc
	v_add3_u32 v7, v7, v17, v16
	s_waitcnt lgkmcnt(0)
	v_mov_b32_e32 v15, s7
	v_add_co_u32_e32 v4, vcc, s6, v4
	v_lshlrev_b64 v[6:7], 2, v[6:7]
	v_addc_co_u32_e32 v5, vcc, v15, v5, vcc
	v_lshlrev_b32_e32 v15, 2, v1
	v_add_co_u32_e32 v6, vcc, v6, v15
	v_addc_co_u32_e32 v7, vcc, 0, v7, vcc
	v_mov_b32_e32 v15, s13
	v_add_co_u32_e32 v6, vcc, s12, v6
	v_mov_b32_e32 v10, 0
	v_cmp_gt_i32_e64 s[2:3], s18, v2
	v_add_u32_e32 v14, v13, v11
	v_addc_co_u32_e32 v7, vcc, v15, v7, vcc
	s_mov_b64 s[12:13], 0
	s_branch .LBB1439_3
.LBB1439_2:                             ;   in Loop: Header=BB1439_3 Depth=1
	s_or_b64 exec, exec, s[6:7]
	s_waitcnt vmcnt(0) lgkmcnt(0)
	ds_write_b32 v14, v15
	s_waitcnt lgkmcnt(0)
	s_barrier
	ds_read2_b32 v[23:24], v11 offset1:16
	ds_read_b128 v[15:18], v13
	ds_read2_b32 v[25:26], v11 offset0:32 offset1:48
	ds_read_b128 v[19:22], v13 offset:16
	s_add_u32 s12, s12, 16
	v_add_co_u32_e32 v4, vcc, 64, v4
	s_waitcnt lgkmcnt(2)
	v_fmac_f32_e32 v10, v23, v15
	v_fmac_f32_e32 v10, v24, v16
	ds_read2_b32 v[23:24], v11 offset0:64 offset1:80
	s_waitcnt lgkmcnt(2)
	v_fmac_f32_e32 v10, v25, v17
	v_fmac_f32_e32 v10, v26, v18
	ds_read2_b32 v[25:26], v11 offset0:96 offset1:112
	ds_read_b128 v[15:18], v13 offset:32
	s_addc_u32 s13, s13, 0
	s_waitcnt lgkmcnt(2)
	v_fmac_f32_e32 v10, v23, v19
	v_fmac_f32_e32 v10, v24, v20
	ds_read2_b32 v[23:24], v11 offset0:128 offset1:144
	s_waitcnt lgkmcnt(2)
	v_fmac_f32_e32 v10, v25, v21
	v_fmac_f32_e32 v10, v26, v22
	ds_read2_b32 v[25:26], v11 offset0:160 offset1:176
	ds_read_b128 v[19:22], v13 offset:48
	v_addc_co_u32_e32 v5, vcc, 0, v5, vcc
	s_waitcnt lgkmcnt(2)
	v_fmac_f32_e32 v10, v23, v15
	v_fmac_f32_e32 v10, v24, v16
	ds_read2_b32 v[15:16], v11 offset0:192 offset1:208
	s_waitcnt lgkmcnt(2)
	v_fmac_f32_e32 v10, v25, v17
	v_fmac_f32_e32 v10, v26, v18
	ds_read2_b32 v[17:18], v11 offset0:224 offset1:240
	v_add_co_u32_e64 v6, s[6:7], 64, v6
	s_waitcnt lgkmcnt(1)
	v_fmac_f32_e32 v10, v15, v19
	v_fmac_f32_e32 v10, v16, v20
	v_mov_b32_e32 v16, s11
	v_mov_b32_e32 v15, s10
	v_cmp_ge_i64_e32 vcc, s[12:13], v[15:16]
	s_waitcnt lgkmcnt(0)
	v_fmac_f32_e32 v10, v17, v21
	v_fmac_f32_e32 v10, v18, v22
	v_addc_co_u32_e64 v7, s[6:7], 0, v7, s[6:7]
	s_barrier
	s_cbranch_vccnz .LBB1439_8
.LBB1439_3:                             ; =>This Inner Loop Header: Depth=1
	v_mov_b32_e32 v16, s13
	v_add_co_u32_e32 v15, vcc, s12, v1
	v_addc_co_u32_e32 v16, vcc, 0, v16, vcc
	v_cmp_gt_i64_e32 vcc, s[10:11], v[15:16]
	v_mov_b32_e32 v15, 0
	s_and_b64 s[16:17], s[2:3], vcc
	s_and_saveexec_b64 s[6:7], s[16:17]
	s_cbranch_execz .LBB1439_5
; %bb.4:                                ;   in Loop: Header=BB1439_3 Depth=1
	flat_load_dword v15, v[6:7]
.LBB1439_5:                             ;   in Loop: Header=BB1439_3 Depth=1
	s_or_b64 exec, exec, s[6:7]
	v_mov_b32_e32 v17, s13
	v_add_co_u32_e32 v16, vcc, s12, v0
	v_addc_co_u32_e32 v17, vcc, 0, v17, vcc
	v_cmp_gt_i64_e32 vcc, s[10:11], v[16:17]
	s_waitcnt vmcnt(0) lgkmcnt(0)
	ds_write_b32 v12, v15
	s_and_b64 s[16:17], s[0:1], vcc
	v_mov_b32_e32 v15, 0
	s_and_saveexec_b64 s[6:7], s[16:17]
	s_cbranch_execz .LBB1439_2
; %bb.6:                                ;   in Loop: Header=BB1439_3 Depth=1
	flat_load_dword v15, v[4:5]
	s_branch .LBB1439_2
.LBB1439_7:
	v_mov_b32_e32 v10, 0
.LBB1439_8:
	v_cmp_le_i32_e32 vcc, v2, v8
	v_cmp_gt_i32_e64 s[0:1], s18, v8
	s_and_b64 s[0:1], vcc, s[0:1]
	s_and_saveexec_b64 s[2:3], s[0:1]
	s_cbranch_execz .LBB1439_10
; %bb.9:
	v_mul_lo_u32 v4, s15, v8
	v_mul_lo_u32 v5, s14, v9
	v_mad_u64_u32 v[0:1], s[0:1], s14, v8, 0
	s_load_dword s2, s[4:5], 0x10
	v_add3_u32 v1, v1, v5, v4
	v_lshlrev_b64 v[0:1], 2, v[0:1]
	s_waitcnt lgkmcnt(0)
	v_mov_b32_e32 v4, s9
	v_add_co_u32_e32 v5, vcc, s8, v0
	v_addc_co_u32_e32 v4, vcc, v4, v1, vcc
	v_lshlrev_b64 v[0:1], 2, v[2:3]
	v_mul_f32_e32 v6, s2, v10
	v_add_co_u32_e32 v0, vcc, v5, v0
	v_addc_co_u32_e32 v1, vcc, v4, v1, vcc
	flat_store_dword v[0:1], v6
.LBB1439_10:
	s_endpgm
	.section	.rodata,"a",@progbits
	.p2align	6, 0x0
	.amdhsa_kernel _ZL32rocblas_syrkx_herkx_small_kernelIlfLi16ELb1ELb0ELc84ELc85EKPKfKPfEviT_T0_PT6_S5_lS8_S5_lS6_PT7_S5_li
		.amdhsa_group_segment_fixed_size 2048
		.amdhsa_private_segment_fixed_size 0
		.amdhsa_kernarg_size 108
		.amdhsa_user_sgpr_count 6
		.amdhsa_user_sgpr_private_segment_buffer 1
		.amdhsa_user_sgpr_dispatch_ptr 0
		.amdhsa_user_sgpr_queue_ptr 0
		.amdhsa_user_sgpr_kernarg_segment_ptr 1
		.amdhsa_user_sgpr_dispatch_id 0
		.amdhsa_user_sgpr_flat_scratch_init 0
		.amdhsa_user_sgpr_private_segment_size 0
		.amdhsa_uses_dynamic_stack 0
		.amdhsa_system_sgpr_private_segment_wavefront_offset 0
		.amdhsa_system_sgpr_workgroup_id_x 1
		.amdhsa_system_sgpr_workgroup_id_y 1
		.amdhsa_system_sgpr_workgroup_id_z 1
		.amdhsa_system_sgpr_workgroup_info 0
		.amdhsa_system_vgpr_workitem_id 1
		.amdhsa_next_free_vgpr 27
		.amdhsa_next_free_sgpr 28
		.amdhsa_reserve_vcc 1
		.amdhsa_reserve_flat_scratch 0
		.amdhsa_float_round_mode_32 0
		.amdhsa_float_round_mode_16_64 0
		.amdhsa_float_denorm_mode_32 3
		.amdhsa_float_denorm_mode_16_64 3
		.amdhsa_dx10_clamp 1
		.amdhsa_ieee_mode 1
		.amdhsa_fp16_overflow 0
		.amdhsa_exception_fp_ieee_invalid_op 0
		.amdhsa_exception_fp_denorm_src 0
		.amdhsa_exception_fp_ieee_div_zero 0
		.amdhsa_exception_fp_ieee_overflow 0
		.amdhsa_exception_fp_ieee_underflow 0
		.amdhsa_exception_fp_ieee_inexact 0
		.amdhsa_exception_int_div_zero 0
	.end_amdhsa_kernel
	.section	.text._ZL32rocblas_syrkx_herkx_small_kernelIlfLi16ELb1ELb0ELc84ELc85EKPKfKPfEviT_T0_PT6_S5_lS8_S5_lS6_PT7_S5_li,"axG",@progbits,_ZL32rocblas_syrkx_herkx_small_kernelIlfLi16ELb1ELb0ELc84ELc85EKPKfKPfEviT_T0_PT6_S5_lS8_S5_lS6_PT7_S5_li,comdat
.Lfunc_end1439:
	.size	_ZL32rocblas_syrkx_herkx_small_kernelIlfLi16ELb1ELb0ELc84ELc85EKPKfKPfEviT_T0_PT6_S5_lS8_S5_lS6_PT7_S5_li, .Lfunc_end1439-_ZL32rocblas_syrkx_herkx_small_kernelIlfLi16ELb1ELb0ELc84ELc85EKPKfKPfEviT_T0_PT6_S5_lS8_S5_lS6_PT7_S5_li
                                        ; -- End function
	.set _ZL32rocblas_syrkx_herkx_small_kernelIlfLi16ELb1ELb0ELc84ELc85EKPKfKPfEviT_T0_PT6_S5_lS8_S5_lS6_PT7_S5_li.num_vgpr, 27
	.set _ZL32rocblas_syrkx_herkx_small_kernelIlfLi16ELb1ELb0ELc84ELc85EKPKfKPfEviT_T0_PT6_S5_lS8_S5_lS6_PT7_S5_li.num_agpr, 0
	.set _ZL32rocblas_syrkx_herkx_small_kernelIlfLi16ELb1ELb0ELc84ELc85EKPKfKPfEviT_T0_PT6_S5_lS8_S5_lS6_PT7_S5_li.numbered_sgpr, 28
	.set _ZL32rocblas_syrkx_herkx_small_kernelIlfLi16ELb1ELb0ELc84ELc85EKPKfKPfEviT_T0_PT6_S5_lS8_S5_lS6_PT7_S5_li.num_named_barrier, 0
	.set _ZL32rocblas_syrkx_herkx_small_kernelIlfLi16ELb1ELb0ELc84ELc85EKPKfKPfEviT_T0_PT6_S5_lS8_S5_lS6_PT7_S5_li.private_seg_size, 0
	.set _ZL32rocblas_syrkx_herkx_small_kernelIlfLi16ELb1ELb0ELc84ELc85EKPKfKPfEviT_T0_PT6_S5_lS8_S5_lS6_PT7_S5_li.uses_vcc, 1
	.set _ZL32rocblas_syrkx_herkx_small_kernelIlfLi16ELb1ELb0ELc84ELc85EKPKfKPfEviT_T0_PT6_S5_lS8_S5_lS6_PT7_S5_li.uses_flat_scratch, 0
	.set _ZL32rocblas_syrkx_herkx_small_kernelIlfLi16ELb1ELb0ELc84ELc85EKPKfKPfEviT_T0_PT6_S5_lS8_S5_lS6_PT7_S5_li.has_dyn_sized_stack, 0
	.set _ZL32rocblas_syrkx_herkx_small_kernelIlfLi16ELb1ELb0ELc84ELc85EKPKfKPfEviT_T0_PT6_S5_lS8_S5_lS6_PT7_S5_li.has_recursion, 0
	.set _ZL32rocblas_syrkx_herkx_small_kernelIlfLi16ELb1ELb0ELc84ELc85EKPKfKPfEviT_T0_PT6_S5_lS8_S5_lS6_PT7_S5_li.has_indirect_call, 0
	.section	.AMDGPU.csdata,"",@progbits
; Kernel info:
; codeLenInByte = 816
; TotalNumSgprs: 32
; NumVgprs: 27
; ScratchSize: 0
; MemoryBound: 0
; FloatMode: 240
; IeeeMode: 1
; LDSByteSize: 2048 bytes/workgroup (compile time only)
; SGPRBlocks: 3
; VGPRBlocks: 6
; NumSGPRsForWavesPerEU: 32
; NumVGPRsForWavesPerEU: 27
; Occupancy: 9
; WaveLimiterHint : 1
; COMPUTE_PGM_RSRC2:SCRATCH_EN: 0
; COMPUTE_PGM_RSRC2:USER_SGPR: 6
; COMPUTE_PGM_RSRC2:TRAP_HANDLER: 0
; COMPUTE_PGM_RSRC2:TGID_X_EN: 1
; COMPUTE_PGM_RSRC2:TGID_Y_EN: 1
; COMPUTE_PGM_RSRC2:TGID_Z_EN: 1
; COMPUTE_PGM_RSRC2:TIDIG_COMP_CNT: 1
	.section	.text._ZL32rocblas_syrkx_herkx_small_kernelIlfLi16ELb1ELb0ELc67ELc85EKPKfKPfEviT_T0_PT6_S5_lS8_S5_lS6_PT7_S5_li,"axG",@progbits,_ZL32rocblas_syrkx_herkx_small_kernelIlfLi16ELb1ELb0ELc67ELc85EKPKfKPfEviT_T0_PT6_S5_lS8_S5_lS6_PT7_S5_li,comdat
	.globl	_ZL32rocblas_syrkx_herkx_small_kernelIlfLi16ELb1ELb0ELc67ELc85EKPKfKPfEviT_T0_PT6_S5_lS8_S5_lS6_PT7_S5_li ; -- Begin function _ZL32rocblas_syrkx_herkx_small_kernelIlfLi16ELb1ELb0ELc67ELc85EKPKfKPfEviT_T0_PT6_S5_lS8_S5_lS6_PT7_S5_li
	.p2align	8
	.type	_ZL32rocblas_syrkx_herkx_small_kernelIlfLi16ELb1ELb0ELc67ELc85EKPKfKPfEviT_T0_PT6_S5_lS8_S5_lS6_PT7_S5_li,@function
_ZL32rocblas_syrkx_herkx_small_kernelIlfLi16ELb1ELb0ELc67ELc85EKPKfKPfEviT_T0_PT6_S5_lS8_S5_lS6_PT7_S5_li: ; @_ZL32rocblas_syrkx_herkx_small_kernelIlfLi16ELb1ELb0ELc67ELc85EKPKfKPfEviT_T0_PT6_S5_lS8_S5_lS6_PT7_S5_li
; %bb.0:
	s_load_dwordx4 s[12:15], s[4:5], 0x50
	s_load_dword s18, s[4:5], 0x0
	s_load_dwordx2 s[10:11], s[4:5], 0x8
	s_mov_b32 s9, 0
	s_lshl_b64 s[16:17], s[8:9], 3
	s_waitcnt lgkmcnt(0)
	s_add_u32 s0, s12, s16
	s_addc_u32 s1, s13, s17
	s_load_dwordx2 s[8:9], s[0:1], 0x0
	v_cmp_lt_i64_e64 s[0:1], s[10:11], 1
	v_lshl_add_u32 v2, s6, 4, v0
	v_lshl_add_u32 v8, s7, 4, v1
	s_and_b64 vcc, exec, s[0:1]
	v_ashrrev_i32_e32 v3, 31, v2
	v_cmp_gt_i32_e64 s[0:1], s18, v8
	v_ashrrev_i32_e32 v9, 31, v8
	s_cbranch_vccnz .LBB1440_7
; %bb.1:
	s_load_dwordx4 s[20:23], s[4:5], 0x30
	s_load_dwordx4 s[24:27], s[4:5], 0x18
	v_lshlrev_b32_e32 v6, 6, v1
	v_lshlrev_b32_e32 v11, 2, v0
	v_add_u32_e32 v12, v11, v6
	s_waitcnt lgkmcnt(0)
	s_add_u32 s6, s20, s16
	s_addc_u32 s7, s21, s17
	s_add_u32 s12, s24, s16
	s_addc_u32 s13, s25, s17
	v_mul_lo_u32 v7, s23, v8
	v_mul_lo_u32 v15, s22, v9
	v_mad_u64_u32 v[4:5], s[16:17], s22, v8, 0
	s_load_dwordx2 s[6:7], s[6:7], 0x0
	v_add_u32_e32 v13, 0x400, v6
	v_add3_u32 v5, v5, v15, v7
	v_mul_lo_u32 v16, s27, v2
	v_mul_lo_u32 v17, s26, v3
	v_mad_u64_u32 v[6:7], s[16:17], s26, v2, 0
	v_lshlrev_b64 v[4:5], 2, v[4:5]
	s_load_dwordx2 s[12:13], s[12:13], 0x0
	v_add_co_u32_e32 v4, vcc, v4, v11
	v_addc_co_u32_e32 v5, vcc, 0, v5, vcc
	v_add3_u32 v7, v7, v17, v16
	s_waitcnt lgkmcnt(0)
	v_mov_b32_e32 v15, s7
	v_add_co_u32_e32 v4, vcc, s6, v4
	v_lshlrev_b64 v[6:7], 2, v[6:7]
	v_addc_co_u32_e32 v5, vcc, v15, v5, vcc
	v_lshlrev_b32_e32 v15, 2, v1
	v_add_co_u32_e32 v6, vcc, v6, v15
	v_addc_co_u32_e32 v7, vcc, 0, v7, vcc
	v_mov_b32_e32 v15, s13
	v_add_co_u32_e32 v6, vcc, s12, v6
	v_mov_b32_e32 v10, 0
	v_cmp_gt_i32_e64 s[2:3], s18, v2
	v_add_u32_e32 v14, v13, v11
	v_addc_co_u32_e32 v7, vcc, v15, v7, vcc
	s_mov_b64 s[12:13], 0
	s_branch .LBB1440_3
.LBB1440_2:                             ;   in Loop: Header=BB1440_3 Depth=1
	s_or_b64 exec, exec, s[6:7]
	s_waitcnt vmcnt(0) lgkmcnt(0)
	ds_write_b32 v14, v15
	s_waitcnt lgkmcnt(0)
	s_barrier
	ds_read2_b32 v[23:24], v11 offset1:16
	ds_read_b128 v[15:18], v13
	ds_read2_b32 v[25:26], v11 offset0:32 offset1:48
	ds_read_b128 v[19:22], v13 offset:16
	s_add_u32 s12, s12, 16
	v_add_co_u32_e32 v4, vcc, 64, v4
	s_waitcnt lgkmcnt(2)
	v_fmac_f32_e32 v10, v23, v15
	v_fmac_f32_e32 v10, v24, v16
	ds_read2_b32 v[23:24], v11 offset0:64 offset1:80
	s_waitcnt lgkmcnt(2)
	v_fmac_f32_e32 v10, v25, v17
	v_fmac_f32_e32 v10, v26, v18
	ds_read2_b32 v[25:26], v11 offset0:96 offset1:112
	ds_read_b128 v[15:18], v13 offset:32
	s_addc_u32 s13, s13, 0
	s_waitcnt lgkmcnt(2)
	v_fmac_f32_e32 v10, v23, v19
	v_fmac_f32_e32 v10, v24, v20
	ds_read2_b32 v[23:24], v11 offset0:128 offset1:144
	s_waitcnt lgkmcnt(2)
	v_fmac_f32_e32 v10, v25, v21
	v_fmac_f32_e32 v10, v26, v22
	ds_read2_b32 v[25:26], v11 offset0:160 offset1:176
	ds_read_b128 v[19:22], v13 offset:48
	v_addc_co_u32_e32 v5, vcc, 0, v5, vcc
	s_waitcnt lgkmcnt(2)
	v_fmac_f32_e32 v10, v23, v15
	v_fmac_f32_e32 v10, v24, v16
	ds_read2_b32 v[15:16], v11 offset0:192 offset1:208
	s_waitcnt lgkmcnt(2)
	v_fmac_f32_e32 v10, v25, v17
	v_fmac_f32_e32 v10, v26, v18
	ds_read2_b32 v[17:18], v11 offset0:224 offset1:240
	v_add_co_u32_e64 v6, s[6:7], 64, v6
	s_waitcnt lgkmcnt(1)
	v_fmac_f32_e32 v10, v15, v19
	v_fmac_f32_e32 v10, v16, v20
	v_mov_b32_e32 v16, s11
	v_mov_b32_e32 v15, s10
	v_cmp_ge_i64_e32 vcc, s[12:13], v[15:16]
	s_waitcnt lgkmcnt(0)
	v_fmac_f32_e32 v10, v17, v21
	v_fmac_f32_e32 v10, v18, v22
	v_addc_co_u32_e64 v7, s[6:7], 0, v7, s[6:7]
	s_barrier
	s_cbranch_vccnz .LBB1440_8
.LBB1440_3:                             ; =>This Inner Loop Header: Depth=1
	v_mov_b32_e32 v16, s13
	v_add_co_u32_e32 v15, vcc, s12, v1
	v_addc_co_u32_e32 v16, vcc, 0, v16, vcc
	v_cmp_gt_i64_e32 vcc, s[10:11], v[15:16]
	v_mov_b32_e32 v15, 0
	s_and_b64 s[16:17], s[2:3], vcc
	s_and_saveexec_b64 s[6:7], s[16:17]
	s_cbranch_execz .LBB1440_5
; %bb.4:                                ;   in Loop: Header=BB1440_3 Depth=1
	flat_load_dword v15, v[6:7]
.LBB1440_5:                             ;   in Loop: Header=BB1440_3 Depth=1
	s_or_b64 exec, exec, s[6:7]
	v_mov_b32_e32 v17, s13
	v_add_co_u32_e32 v16, vcc, s12, v0
	v_addc_co_u32_e32 v17, vcc, 0, v17, vcc
	v_cmp_gt_i64_e32 vcc, s[10:11], v[16:17]
	s_waitcnt vmcnt(0) lgkmcnt(0)
	ds_write_b32 v12, v15
	s_and_b64 s[16:17], s[0:1], vcc
	v_mov_b32_e32 v15, 0
	s_and_saveexec_b64 s[6:7], s[16:17]
	s_cbranch_execz .LBB1440_2
; %bb.6:                                ;   in Loop: Header=BB1440_3 Depth=1
	flat_load_dword v15, v[4:5]
	s_branch .LBB1440_2
.LBB1440_7:
	v_mov_b32_e32 v10, 0
.LBB1440_8:
	v_cmp_le_i32_e32 vcc, v2, v8
	v_cmp_gt_i32_e64 s[0:1], s18, v8
	s_and_b64 s[0:1], vcc, s[0:1]
	s_and_saveexec_b64 s[2:3], s[0:1]
	s_cbranch_execz .LBB1440_10
; %bb.9:
	v_mul_lo_u32 v4, s15, v8
	v_mul_lo_u32 v5, s14, v9
	v_mad_u64_u32 v[0:1], s[0:1], s14, v8, 0
	s_load_dword s2, s[4:5], 0x10
	v_add3_u32 v1, v1, v5, v4
	v_lshlrev_b64 v[0:1], 2, v[0:1]
	s_waitcnt lgkmcnt(0)
	v_mov_b32_e32 v4, s9
	v_add_co_u32_e32 v5, vcc, s8, v0
	v_addc_co_u32_e32 v4, vcc, v4, v1, vcc
	v_lshlrev_b64 v[0:1], 2, v[2:3]
	v_mul_f32_e32 v6, s2, v10
	v_add_co_u32_e32 v0, vcc, v5, v0
	v_addc_co_u32_e32 v1, vcc, v4, v1, vcc
	flat_store_dword v[0:1], v6
.LBB1440_10:
	s_endpgm
	.section	.rodata,"a",@progbits
	.p2align	6, 0x0
	.amdhsa_kernel _ZL32rocblas_syrkx_herkx_small_kernelIlfLi16ELb1ELb0ELc67ELc85EKPKfKPfEviT_T0_PT6_S5_lS8_S5_lS6_PT7_S5_li
		.amdhsa_group_segment_fixed_size 2048
		.amdhsa_private_segment_fixed_size 0
		.amdhsa_kernarg_size 108
		.amdhsa_user_sgpr_count 6
		.amdhsa_user_sgpr_private_segment_buffer 1
		.amdhsa_user_sgpr_dispatch_ptr 0
		.amdhsa_user_sgpr_queue_ptr 0
		.amdhsa_user_sgpr_kernarg_segment_ptr 1
		.amdhsa_user_sgpr_dispatch_id 0
		.amdhsa_user_sgpr_flat_scratch_init 0
		.amdhsa_user_sgpr_private_segment_size 0
		.amdhsa_uses_dynamic_stack 0
		.amdhsa_system_sgpr_private_segment_wavefront_offset 0
		.amdhsa_system_sgpr_workgroup_id_x 1
		.amdhsa_system_sgpr_workgroup_id_y 1
		.amdhsa_system_sgpr_workgroup_id_z 1
		.amdhsa_system_sgpr_workgroup_info 0
		.amdhsa_system_vgpr_workitem_id 1
		.amdhsa_next_free_vgpr 27
		.amdhsa_next_free_sgpr 28
		.amdhsa_reserve_vcc 1
		.amdhsa_reserve_flat_scratch 0
		.amdhsa_float_round_mode_32 0
		.amdhsa_float_round_mode_16_64 0
		.amdhsa_float_denorm_mode_32 3
		.amdhsa_float_denorm_mode_16_64 3
		.amdhsa_dx10_clamp 1
		.amdhsa_ieee_mode 1
		.amdhsa_fp16_overflow 0
		.amdhsa_exception_fp_ieee_invalid_op 0
		.amdhsa_exception_fp_denorm_src 0
		.amdhsa_exception_fp_ieee_div_zero 0
		.amdhsa_exception_fp_ieee_overflow 0
		.amdhsa_exception_fp_ieee_underflow 0
		.amdhsa_exception_fp_ieee_inexact 0
		.amdhsa_exception_int_div_zero 0
	.end_amdhsa_kernel
	.section	.text._ZL32rocblas_syrkx_herkx_small_kernelIlfLi16ELb1ELb0ELc67ELc85EKPKfKPfEviT_T0_PT6_S5_lS8_S5_lS6_PT7_S5_li,"axG",@progbits,_ZL32rocblas_syrkx_herkx_small_kernelIlfLi16ELb1ELb0ELc67ELc85EKPKfKPfEviT_T0_PT6_S5_lS8_S5_lS6_PT7_S5_li,comdat
.Lfunc_end1440:
	.size	_ZL32rocblas_syrkx_herkx_small_kernelIlfLi16ELb1ELb0ELc67ELc85EKPKfKPfEviT_T0_PT6_S5_lS8_S5_lS6_PT7_S5_li, .Lfunc_end1440-_ZL32rocblas_syrkx_herkx_small_kernelIlfLi16ELb1ELb0ELc67ELc85EKPKfKPfEviT_T0_PT6_S5_lS8_S5_lS6_PT7_S5_li
                                        ; -- End function
	.set _ZL32rocblas_syrkx_herkx_small_kernelIlfLi16ELb1ELb0ELc67ELc85EKPKfKPfEviT_T0_PT6_S5_lS8_S5_lS6_PT7_S5_li.num_vgpr, 27
	.set _ZL32rocblas_syrkx_herkx_small_kernelIlfLi16ELb1ELb0ELc67ELc85EKPKfKPfEviT_T0_PT6_S5_lS8_S5_lS6_PT7_S5_li.num_agpr, 0
	.set _ZL32rocblas_syrkx_herkx_small_kernelIlfLi16ELb1ELb0ELc67ELc85EKPKfKPfEviT_T0_PT6_S5_lS8_S5_lS6_PT7_S5_li.numbered_sgpr, 28
	.set _ZL32rocblas_syrkx_herkx_small_kernelIlfLi16ELb1ELb0ELc67ELc85EKPKfKPfEviT_T0_PT6_S5_lS8_S5_lS6_PT7_S5_li.num_named_barrier, 0
	.set _ZL32rocblas_syrkx_herkx_small_kernelIlfLi16ELb1ELb0ELc67ELc85EKPKfKPfEviT_T0_PT6_S5_lS8_S5_lS6_PT7_S5_li.private_seg_size, 0
	.set _ZL32rocblas_syrkx_herkx_small_kernelIlfLi16ELb1ELb0ELc67ELc85EKPKfKPfEviT_T0_PT6_S5_lS8_S5_lS6_PT7_S5_li.uses_vcc, 1
	.set _ZL32rocblas_syrkx_herkx_small_kernelIlfLi16ELb1ELb0ELc67ELc85EKPKfKPfEviT_T0_PT6_S5_lS8_S5_lS6_PT7_S5_li.uses_flat_scratch, 0
	.set _ZL32rocblas_syrkx_herkx_small_kernelIlfLi16ELb1ELb0ELc67ELc85EKPKfKPfEviT_T0_PT6_S5_lS8_S5_lS6_PT7_S5_li.has_dyn_sized_stack, 0
	.set _ZL32rocblas_syrkx_herkx_small_kernelIlfLi16ELb1ELb0ELc67ELc85EKPKfKPfEviT_T0_PT6_S5_lS8_S5_lS6_PT7_S5_li.has_recursion, 0
	.set _ZL32rocblas_syrkx_herkx_small_kernelIlfLi16ELb1ELb0ELc67ELc85EKPKfKPfEviT_T0_PT6_S5_lS8_S5_lS6_PT7_S5_li.has_indirect_call, 0
	.section	.AMDGPU.csdata,"",@progbits
; Kernel info:
; codeLenInByte = 816
; TotalNumSgprs: 32
; NumVgprs: 27
; ScratchSize: 0
; MemoryBound: 0
; FloatMode: 240
; IeeeMode: 1
; LDSByteSize: 2048 bytes/workgroup (compile time only)
; SGPRBlocks: 3
; VGPRBlocks: 6
; NumSGPRsForWavesPerEU: 32
; NumVGPRsForWavesPerEU: 27
; Occupancy: 9
; WaveLimiterHint : 1
; COMPUTE_PGM_RSRC2:SCRATCH_EN: 0
; COMPUTE_PGM_RSRC2:USER_SGPR: 6
; COMPUTE_PGM_RSRC2:TRAP_HANDLER: 0
; COMPUTE_PGM_RSRC2:TGID_X_EN: 1
; COMPUTE_PGM_RSRC2:TGID_Y_EN: 1
; COMPUTE_PGM_RSRC2:TGID_Z_EN: 1
; COMPUTE_PGM_RSRC2:TIDIG_COMP_CNT: 1
	.section	.text._ZL32rocblas_syrkx_herkx_small_kernelIlfLi16ELb1ELb0ELc78ELc85EKPKfKPfEviT_T0_PT6_S5_lS8_S5_lS6_PT7_S5_li,"axG",@progbits,_ZL32rocblas_syrkx_herkx_small_kernelIlfLi16ELb1ELb0ELc78ELc85EKPKfKPfEviT_T0_PT6_S5_lS8_S5_lS6_PT7_S5_li,comdat
	.globl	_ZL32rocblas_syrkx_herkx_small_kernelIlfLi16ELb1ELb0ELc78ELc85EKPKfKPfEviT_T0_PT6_S5_lS8_S5_lS6_PT7_S5_li ; -- Begin function _ZL32rocblas_syrkx_herkx_small_kernelIlfLi16ELb1ELb0ELc78ELc85EKPKfKPfEviT_T0_PT6_S5_lS8_S5_lS6_PT7_S5_li
	.p2align	8
	.type	_ZL32rocblas_syrkx_herkx_small_kernelIlfLi16ELb1ELb0ELc78ELc85EKPKfKPfEviT_T0_PT6_S5_lS8_S5_lS6_PT7_S5_li,@function
_ZL32rocblas_syrkx_herkx_small_kernelIlfLi16ELb1ELb0ELc78ELc85EKPKfKPfEviT_T0_PT6_S5_lS8_S5_lS6_PT7_S5_li: ; @_ZL32rocblas_syrkx_herkx_small_kernelIlfLi16ELb1ELb0ELc78ELc85EKPKfKPfEviT_T0_PT6_S5_lS8_S5_lS6_PT7_S5_li
; %bb.0:
	s_load_dwordx4 s[12:15], s[4:5], 0x50
	s_load_dword s22, s[4:5], 0x0
	s_load_dwordx2 s[20:21], s[4:5], 0x8
	s_mov_b32 s9, 0
	s_lshl_b64 s[2:3], s[8:9], 3
	s_waitcnt lgkmcnt(0)
	s_add_u32 s0, s12, s2
	s_addc_u32 s1, s13, s3
	s_load_dwordx2 s[12:13], s[0:1], 0x0
	v_cmp_lt_i64_e64 s[0:1], s[20:21], 1
	v_lshl_add_u32 v2, s6, 4, v0
	v_lshl_add_u32 v4, s7, 4, v1
	s_and_b64 vcc, exec, s[0:1]
	v_ashrrev_i32_e32 v3, 31, v2
	v_cmp_gt_i32_e64 s[0:1], s22, v4
	v_ashrrev_i32_e32 v5, 31, v4
	s_cbranch_vccnz .LBB1441_7
; %bb.1:
	s_load_dwordx4 s[16:19], s[4:5], 0x30
	s_load_dwordx4 s[8:11], s[4:5], 0x18
	v_lshlrev_b32_e32 v9, 6, v1
	v_lshlrev_b32_e32 v11, 2, v0
	v_add_u32_e32 v12, v11, v9
	s_waitcnt lgkmcnt(0)
	s_add_u32 s6, s16, s2
	s_addc_u32 s7, s17, s3
	s_add_u32 s2, s8, s2
	s_addc_u32 s3, s9, s3
	s_load_dwordx2 s[16:17], s[2:3], 0x0
	v_mad_u64_u32 v[6:7], s[2:3], s18, v0, 0
	v_mad_u64_u32 v[15:16], s[8:9], s10, v1, 0
	;; [unrolled: 1-line block ×3, first 2 shown]
	v_add_u32_e32 v13, 0x400, v9
	v_lshlrev_b64 v[8:9], 2, v[4:5]
	v_lshlrev_b64 v[6:7], 2, v[6:7]
	s_load_dwordx2 s[6:7], s[6:7], 0x0
	v_add_co_u32_e32 v17, vcc, v6, v8
	v_addc_co_u32_e32 v7, vcc, v7, v9, vcc
	v_mov_b32_e32 v6, v16
	v_mad_u64_u32 v[8:9], s[8:9], s11, v1, v[6:7]
	s_waitcnt lgkmcnt(0)
	v_mov_b32_e32 v18, s7
	v_add_co_u32_e32 v6, vcc, s6, v17
	v_mov_b32_e32 v16, v8
	v_lshlrev_b64 v[8:9], 2, v[15:16]
	v_lshlrev_b64 v[15:16], 2, v[2:3]
	v_addc_co_u32_e32 v7, vcc, v18, v7, vcc
	v_add_co_u32_e32 v8, vcc, v8, v15
	v_addc_co_u32_e32 v9, vcc, v9, v16, vcc
	v_mov_b32_e32 v15, s17
	v_add_co_u32_e32 v8, vcc, s16, v8
	v_mov_b32_e32 v10, 0
	v_cmp_gt_i32_e64 s[2:3], s22, v2
	v_add_u32_e32 v14, v13, v11
	s_lshl_b64 s[8:9], s[18:19], 6
	v_addc_co_u32_e32 v9, vcc, v15, v9, vcc
	s_lshl_b64 s[10:11], s[10:11], 6
	s_mov_b64 s[16:17], 0
	s_branch .LBB1441_3
.LBB1441_2:                             ;   in Loop: Header=BB1441_3 Depth=1
	s_or_b64 exec, exec, s[6:7]
	s_waitcnt vmcnt(0) lgkmcnt(0)
	ds_write_b32 v14, v15
	s_waitcnt lgkmcnt(0)
	s_barrier
	ds_read2_b32 v[23:24], v11 offset1:16
	ds_read_b128 v[15:18], v13
	ds_read2_b32 v[25:26], v11 offset0:32 offset1:48
	ds_read_b128 v[19:22], v13 offset:16
	v_add_co_u32_e32 v6, vcc, s8, v6
	s_waitcnt lgkmcnt(2)
	v_fmac_f32_e32 v10, v23, v15
	v_fmac_f32_e32 v10, v24, v16
	ds_read2_b32 v[23:24], v11 offset0:64 offset1:80
	s_waitcnt lgkmcnt(2)
	v_fmac_f32_e32 v10, v25, v17
	v_fmac_f32_e32 v10, v26, v18
	ds_read2_b32 v[25:26], v11 offset0:96 offset1:112
	ds_read_b128 v[15:18], v13 offset:32
	s_add_u32 s16, s16, 16
	s_waitcnt lgkmcnt(2)
	v_fmac_f32_e32 v10, v23, v19
	v_fmac_f32_e32 v10, v24, v20
	ds_read2_b32 v[23:24], v11 offset0:128 offset1:144
	s_waitcnt lgkmcnt(2)
	v_fmac_f32_e32 v10, v25, v21
	v_fmac_f32_e32 v10, v26, v22
	ds_read2_b32 v[25:26], v11 offset0:160 offset1:176
	ds_read_b128 v[19:22], v13 offset:48
	s_addc_u32 s17, s17, 0
	s_waitcnt lgkmcnt(2)
	v_fmac_f32_e32 v10, v23, v15
	v_fmac_f32_e32 v10, v24, v16
	ds_read2_b32 v[15:16], v11 offset0:192 offset1:208
	s_waitcnt lgkmcnt(2)
	v_fmac_f32_e32 v10, v25, v17
	v_fmac_f32_e32 v10, v26, v18
	ds_read2_b32 v[17:18], v11 offset0:224 offset1:240
	v_add_co_u32_e64 v8, s[6:7], s10, v8
	s_waitcnt lgkmcnt(1)
	v_fmac_f32_e32 v10, v15, v19
	v_mov_b32_e32 v15, s9
	v_fmac_f32_e32 v10, v16, v20
	v_addc_co_u32_e32 v7, vcc, v7, v15, vcc
	v_mov_b32_e32 v15, s20
	v_mov_b32_e32 v16, s21
	v_cmp_ge_i64_e32 vcc, s[16:17], v[15:16]
	s_waitcnt lgkmcnt(0)
	v_fmac_f32_e32 v10, v17, v21
	v_mov_b32_e32 v17, s11
	v_fmac_f32_e32 v10, v18, v22
	v_addc_co_u32_e64 v9, s[6:7], v9, v17, s[6:7]
	s_barrier
	s_cbranch_vccnz .LBB1441_8
.LBB1441_3:                             ; =>This Inner Loop Header: Depth=1
	v_mov_b32_e32 v16, s17
	v_add_co_u32_e32 v15, vcc, s16, v1
	v_addc_co_u32_e32 v16, vcc, 0, v16, vcc
	v_cmp_gt_i64_e32 vcc, s[20:21], v[15:16]
	v_mov_b32_e32 v15, 0
	s_and_b64 s[18:19], s[2:3], vcc
	s_and_saveexec_b64 s[6:7], s[18:19]
	s_cbranch_execz .LBB1441_5
; %bb.4:                                ;   in Loop: Header=BB1441_3 Depth=1
	flat_load_dword v15, v[8:9]
.LBB1441_5:                             ;   in Loop: Header=BB1441_3 Depth=1
	s_or_b64 exec, exec, s[6:7]
	v_mov_b32_e32 v17, s17
	v_add_co_u32_e32 v16, vcc, s16, v0
	v_addc_co_u32_e32 v17, vcc, 0, v17, vcc
	v_cmp_gt_i64_e32 vcc, s[20:21], v[16:17]
	s_waitcnt vmcnt(0) lgkmcnt(0)
	ds_write_b32 v12, v15
	s_and_b64 s[18:19], s[0:1], vcc
	v_mov_b32_e32 v15, 0
	s_and_saveexec_b64 s[6:7], s[18:19]
	s_cbranch_execz .LBB1441_2
; %bb.6:                                ;   in Loop: Header=BB1441_3 Depth=1
	flat_load_dword v15, v[6:7]
	s_branch .LBB1441_2
.LBB1441_7:
	v_mov_b32_e32 v10, 0
.LBB1441_8:
	v_cmp_le_i32_e32 vcc, v2, v4
	v_cmp_gt_i32_e64 s[0:1], s22, v4
	s_and_b64 s[0:1], vcc, s[0:1]
	s_and_saveexec_b64 s[2:3], s[0:1]
	s_cbranch_execz .LBB1441_10
; %bb.9:
	v_mul_lo_u32 v6, s15, v4
	v_mul_lo_u32 v5, s14, v5
	v_mad_u64_u32 v[0:1], s[0:1], s14, v4, 0
	s_load_dword s2, s[4:5], 0x10
	v_add3_u32 v1, v1, v5, v6
	v_lshlrev_b64 v[0:1], 2, v[0:1]
	s_waitcnt lgkmcnt(0)
	v_mov_b32_e32 v5, s13
	v_add_co_u32_e32 v6, vcc, s12, v0
	v_addc_co_u32_e32 v5, vcc, v5, v1, vcc
	v_lshlrev_b64 v[0:1], 2, v[2:3]
	v_mul_f32_e32 v4, s2, v10
	v_add_co_u32_e32 v0, vcc, v6, v0
	v_addc_co_u32_e32 v1, vcc, v5, v1, vcc
	flat_store_dword v[0:1], v4
.LBB1441_10:
	s_endpgm
	.section	.rodata,"a",@progbits
	.p2align	6, 0x0
	.amdhsa_kernel _ZL32rocblas_syrkx_herkx_small_kernelIlfLi16ELb1ELb0ELc78ELc85EKPKfKPfEviT_T0_PT6_S5_lS8_S5_lS6_PT7_S5_li
		.amdhsa_group_segment_fixed_size 2048
		.amdhsa_private_segment_fixed_size 0
		.amdhsa_kernarg_size 108
		.amdhsa_user_sgpr_count 6
		.amdhsa_user_sgpr_private_segment_buffer 1
		.amdhsa_user_sgpr_dispatch_ptr 0
		.amdhsa_user_sgpr_queue_ptr 0
		.amdhsa_user_sgpr_kernarg_segment_ptr 1
		.amdhsa_user_sgpr_dispatch_id 0
		.amdhsa_user_sgpr_flat_scratch_init 0
		.amdhsa_user_sgpr_private_segment_size 0
		.amdhsa_uses_dynamic_stack 0
		.amdhsa_system_sgpr_private_segment_wavefront_offset 0
		.amdhsa_system_sgpr_workgroup_id_x 1
		.amdhsa_system_sgpr_workgroup_id_y 1
		.amdhsa_system_sgpr_workgroup_id_z 1
		.amdhsa_system_sgpr_workgroup_info 0
		.amdhsa_system_vgpr_workitem_id 1
		.amdhsa_next_free_vgpr 27
		.amdhsa_next_free_sgpr 23
		.amdhsa_reserve_vcc 1
		.amdhsa_reserve_flat_scratch 0
		.amdhsa_float_round_mode_32 0
		.amdhsa_float_round_mode_16_64 0
		.amdhsa_float_denorm_mode_32 3
		.amdhsa_float_denorm_mode_16_64 3
		.amdhsa_dx10_clamp 1
		.amdhsa_ieee_mode 1
		.amdhsa_fp16_overflow 0
		.amdhsa_exception_fp_ieee_invalid_op 0
		.amdhsa_exception_fp_denorm_src 0
		.amdhsa_exception_fp_ieee_div_zero 0
		.amdhsa_exception_fp_ieee_overflow 0
		.amdhsa_exception_fp_ieee_underflow 0
		.amdhsa_exception_fp_ieee_inexact 0
		.amdhsa_exception_int_div_zero 0
	.end_amdhsa_kernel
	.section	.text._ZL32rocblas_syrkx_herkx_small_kernelIlfLi16ELb1ELb0ELc78ELc85EKPKfKPfEviT_T0_PT6_S5_lS8_S5_lS6_PT7_S5_li,"axG",@progbits,_ZL32rocblas_syrkx_herkx_small_kernelIlfLi16ELb1ELb0ELc78ELc85EKPKfKPfEviT_T0_PT6_S5_lS8_S5_lS6_PT7_S5_li,comdat
.Lfunc_end1441:
	.size	_ZL32rocblas_syrkx_herkx_small_kernelIlfLi16ELb1ELb0ELc78ELc85EKPKfKPfEviT_T0_PT6_S5_lS8_S5_lS6_PT7_S5_li, .Lfunc_end1441-_ZL32rocblas_syrkx_herkx_small_kernelIlfLi16ELb1ELb0ELc78ELc85EKPKfKPfEviT_T0_PT6_S5_lS8_S5_lS6_PT7_S5_li
                                        ; -- End function
	.set _ZL32rocblas_syrkx_herkx_small_kernelIlfLi16ELb1ELb0ELc78ELc85EKPKfKPfEviT_T0_PT6_S5_lS8_S5_lS6_PT7_S5_li.num_vgpr, 27
	.set _ZL32rocblas_syrkx_herkx_small_kernelIlfLi16ELb1ELb0ELc78ELc85EKPKfKPfEviT_T0_PT6_S5_lS8_S5_lS6_PT7_S5_li.num_agpr, 0
	.set _ZL32rocblas_syrkx_herkx_small_kernelIlfLi16ELb1ELb0ELc78ELc85EKPKfKPfEviT_T0_PT6_S5_lS8_S5_lS6_PT7_S5_li.numbered_sgpr, 23
	.set _ZL32rocblas_syrkx_herkx_small_kernelIlfLi16ELb1ELb0ELc78ELc85EKPKfKPfEviT_T0_PT6_S5_lS8_S5_lS6_PT7_S5_li.num_named_barrier, 0
	.set _ZL32rocblas_syrkx_herkx_small_kernelIlfLi16ELb1ELb0ELc78ELc85EKPKfKPfEviT_T0_PT6_S5_lS8_S5_lS6_PT7_S5_li.private_seg_size, 0
	.set _ZL32rocblas_syrkx_herkx_small_kernelIlfLi16ELb1ELb0ELc78ELc85EKPKfKPfEviT_T0_PT6_S5_lS8_S5_lS6_PT7_S5_li.uses_vcc, 1
	.set _ZL32rocblas_syrkx_herkx_small_kernelIlfLi16ELb1ELb0ELc78ELc85EKPKfKPfEviT_T0_PT6_S5_lS8_S5_lS6_PT7_S5_li.uses_flat_scratch, 0
	.set _ZL32rocblas_syrkx_herkx_small_kernelIlfLi16ELb1ELb0ELc78ELc85EKPKfKPfEviT_T0_PT6_S5_lS8_S5_lS6_PT7_S5_li.has_dyn_sized_stack, 0
	.set _ZL32rocblas_syrkx_herkx_small_kernelIlfLi16ELb1ELb0ELc78ELc85EKPKfKPfEviT_T0_PT6_S5_lS8_S5_lS6_PT7_S5_li.has_recursion, 0
	.set _ZL32rocblas_syrkx_herkx_small_kernelIlfLi16ELb1ELb0ELc78ELc85EKPKfKPfEviT_T0_PT6_S5_lS8_S5_lS6_PT7_S5_li.has_indirect_call, 0
	.section	.AMDGPU.csdata,"",@progbits
; Kernel info:
; codeLenInByte = 820
; TotalNumSgprs: 27
; NumVgprs: 27
; ScratchSize: 0
; MemoryBound: 0
; FloatMode: 240
; IeeeMode: 1
; LDSByteSize: 2048 bytes/workgroup (compile time only)
; SGPRBlocks: 3
; VGPRBlocks: 6
; NumSGPRsForWavesPerEU: 27
; NumVGPRsForWavesPerEU: 27
; Occupancy: 9
; WaveLimiterHint : 1
; COMPUTE_PGM_RSRC2:SCRATCH_EN: 0
; COMPUTE_PGM_RSRC2:USER_SGPR: 6
; COMPUTE_PGM_RSRC2:TRAP_HANDLER: 0
; COMPUTE_PGM_RSRC2:TGID_X_EN: 1
; COMPUTE_PGM_RSRC2:TGID_Y_EN: 1
; COMPUTE_PGM_RSRC2:TGID_Z_EN: 1
; COMPUTE_PGM_RSRC2:TIDIG_COMP_CNT: 1
	.section	.text._ZL32rocblas_syrkx_herkx_small_kernelIlfLi16ELb0ELb0ELc84ELc76EKPKfKPfEviT_T0_PT6_S5_lS8_S5_lS6_PT7_S5_li,"axG",@progbits,_ZL32rocblas_syrkx_herkx_small_kernelIlfLi16ELb0ELb0ELc84ELc76EKPKfKPfEviT_T0_PT6_S5_lS8_S5_lS6_PT7_S5_li,comdat
	.globl	_ZL32rocblas_syrkx_herkx_small_kernelIlfLi16ELb0ELb0ELc84ELc76EKPKfKPfEviT_T0_PT6_S5_lS8_S5_lS6_PT7_S5_li ; -- Begin function _ZL32rocblas_syrkx_herkx_small_kernelIlfLi16ELb0ELb0ELc84ELc76EKPKfKPfEviT_T0_PT6_S5_lS8_S5_lS6_PT7_S5_li
	.p2align	8
	.type	_ZL32rocblas_syrkx_herkx_small_kernelIlfLi16ELb0ELb0ELc84ELc76EKPKfKPfEviT_T0_PT6_S5_lS8_S5_lS6_PT7_S5_li,@function
_ZL32rocblas_syrkx_herkx_small_kernelIlfLi16ELb0ELb0ELc84ELc76EKPKfKPfEviT_T0_PT6_S5_lS8_S5_lS6_PT7_S5_li: ; @_ZL32rocblas_syrkx_herkx_small_kernelIlfLi16ELb0ELb0ELc84ELc76EKPKfKPfEviT_T0_PT6_S5_lS8_S5_lS6_PT7_S5_li
; %bb.0:
	s_load_dwordx4 s[12:15], s[4:5], 0x50
	s_load_dword s16, s[4:5], 0x0
	s_load_dwordx2 s[10:11], s[4:5], 0x8
	s_mov_b32 s9, 0
	s_lshl_b64 s[2:3], s[8:9], 3
	s_waitcnt lgkmcnt(0)
	s_add_u32 s0, s12, s2
	s_addc_u32 s1, s13, s3
	s_load_dwordx2 s[8:9], s[0:1], 0x0
	v_cmp_lt_i64_e64 s[0:1], s[10:11], 1
	v_lshl_add_u32 v2, s6, 4, v0
	v_lshl_add_u32 v8, s7, 4, v1
	s_and_b64 vcc, exec, s[0:1]
	v_cmp_gt_i32_e64 s[0:1], s16, v2
	v_ashrrev_i32_e32 v3, 31, v2
	v_ashrrev_i32_e32 v10, 31, v8
	s_cbranch_vccnz .LBB1442_7
; %bb.1:
	s_load_dwordx4 s[20:23], s[4:5], 0x30
	s_load_dwordx4 s[24:27], s[4:5], 0x18
	v_lshlrev_b32_e32 v6, 6, v1
	v_lshlrev_b32_e32 v11, 2, v0
	v_add_u32_e32 v12, v11, v6
	s_waitcnt lgkmcnt(0)
	s_add_u32 s6, s20, s2
	s_addc_u32 s7, s21, s3
	s_add_u32 s2, s24, s2
	s_addc_u32 s3, s25, s3
	s_load_dwordx2 s[12:13], s[2:3], 0x0
	v_mul_lo_u32 v7, s23, v8
	v_mul_lo_u32 v15, s22, v10
	v_mad_u64_u32 v[4:5], s[2:3], s22, v8, 0
	s_load_dwordx2 s[6:7], s[6:7], 0x0
	v_add_u32_e32 v13, 0x400, v6
	v_add3_u32 v5, v5, v15, v7
	v_mul_lo_u32 v16, s27, v2
	v_mul_lo_u32 v17, s26, v3
	v_mad_u64_u32 v[6:7], s[18:19], s26, v2, 0
	v_lshlrev_b64 v[4:5], 2, v[4:5]
	s_waitcnt lgkmcnt(0)
	v_mov_b32_e32 v15, s7
	v_add_co_u32_e32 v4, vcc, v4, v11
	v_addc_co_u32_e32 v5, vcc, 0, v5, vcc
	v_add3_u32 v7, v7, v17, v16
	v_add_co_u32_e32 v4, vcc, s6, v4
	v_lshlrev_b64 v[6:7], 2, v[6:7]
	v_addc_co_u32_e32 v5, vcc, v15, v5, vcc
	v_lshlrev_b32_e32 v15, 2, v1
	v_add_co_u32_e32 v6, vcc, v6, v15
	v_addc_co_u32_e32 v7, vcc, 0, v7, vcc
	v_mov_b32_e32 v15, s13
	v_add_co_u32_e32 v6, vcc, s12, v6
	v_mov_b32_e32 v9, 0
	v_cmp_gt_i32_e64 s[2:3], s16, v8
	v_add_u32_e32 v14, v13, v11
	v_addc_co_u32_e32 v7, vcc, v15, v7, vcc
	s_mov_b64 s[12:13], 0
	s_branch .LBB1442_3
.LBB1442_2:                             ;   in Loop: Header=BB1442_3 Depth=1
	s_or_b64 exec, exec, s[6:7]
	s_waitcnt vmcnt(0) lgkmcnt(0)
	ds_write_b32 v14, v15
	s_waitcnt lgkmcnt(0)
	s_barrier
	ds_read2_b32 v[23:24], v11 offset1:16
	ds_read_b128 v[15:18], v13
	ds_read2_b32 v[25:26], v11 offset0:32 offset1:48
	ds_read_b128 v[19:22], v13 offset:16
	s_add_u32 s12, s12, 16
	v_add_co_u32_e32 v4, vcc, 64, v4
	s_waitcnt lgkmcnt(2)
	v_fmac_f32_e32 v9, v23, v15
	v_fmac_f32_e32 v9, v24, v16
	ds_read2_b32 v[23:24], v11 offset0:64 offset1:80
	s_waitcnt lgkmcnt(2)
	v_fmac_f32_e32 v9, v25, v17
	v_fmac_f32_e32 v9, v26, v18
	ds_read2_b32 v[25:26], v11 offset0:96 offset1:112
	ds_read_b128 v[15:18], v13 offset:32
	s_addc_u32 s13, s13, 0
	s_waitcnt lgkmcnt(2)
	v_fmac_f32_e32 v9, v23, v19
	v_fmac_f32_e32 v9, v24, v20
	ds_read2_b32 v[23:24], v11 offset0:128 offset1:144
	s_waitcnt lgkmcnt(2)
	v_fmac_f32_e32 v9, v25, v21
	v_fmac_f32_e32 v9, v26, v22
	ds_read2_b32 v[25:26], v11 offset0:160 offset1:176
	ds_read_b128 v[19:22], v13 offset:48
	v_addc_co_u32_e32 v5, vcc, 0, v5, vcc
	s_waitcnt lgkmcnt(2)
	v_fmac_f32_e32 v9, v23, v15
	v_fmac_f32_e32 v9, v24, v16
	ds_read2_b32 v[15:16], v11 offset0:192 offset1:208
	s_waitcnt lgkmcnt(2)
	v_fmac_f32_e32 v9, v25, v17
	v_fmac_f32_e32 v9, v26, v18
	ds_read2_b32 v[17:18], v11 offset0:224 offset1:240
	v_add_co_u32_e64 v6, s[6:7], 64, v6
	s_waitcnt lgkmcnt(1)
	v_fmac_f32_e32 v9, v15, v19
	v_fmac_f32_e32 v9, v16, v20
	v_mov_b32_e32 v16, s11
	v_mov_b32_e32 v15, s10
	v_cmp_ge_i64_e32 vcc, s[12:13], v[15:16]
	s_waitcnt lgkmcnt(0)
	v_fmac_f32_e32 v9, v17, v21
	v_fmac_f32_e32 v9, v18, v22
	v_addc_co_u32_e64 v7, s[6:7], 0, v7, s[6:7]
	s_barrier
	s_cbranch_vccnz .LBB1442_8
.LBB1442_3:                             ; =>This Inner Loop Header: Depth=1
	v_mov_b32_e32 v16, s13
	v_add_co_u32_e32 v15, vcc, s12, v1
	v_addc_co_u32_e32 v16, vcc, 0, v16, vcc
	v_cmp_gt_i64_e32 vcc, s[10:11], v[15:16]
	v_mov_b32_e32 v15, 0
	s_and_b64 s[18:19], s[0:1], vcc
	s_and_saveexec_b64 s[6:7], s[18:19]
	s_cbranch_execz .LBB1442_5
; %bb.4:                                ;   in Loop: Header=BB1442_3 Depth=1
	flat_load_dword v15, v[6:7]
.LBB1442_5:                             ;   in Loop: Header=BB1442_3 Depth=1
	s_or_b64 exec, exec, s[6:7]
	v_mov_b32_e32 v17, s13
	v_add_co_u32_e32 v16, vcc, s12, v0
	v_addc_co_u32_e32 v17, vcc, 0, v17, vcc
	v_cmp_gt_i64_e32 vcc, s[10:11], v[16:17]
	s_waitcnt vmcnt(0) lgkmcnt(0)
	ds_write_b32 v12, v15
	s_and_b64 s[18:19], s[2:3], vcc
	v_mov_b32_e32 v15, 0
	s_and_saveexec_b64 s[6:7], s[18:19]
	s_cbranch_execz .LBB1442_2
; %bb.6:                                ;   in Loop: Header=BB1442_3 Depth=1
	flat_load_dword v15, v[4:5]
	s_branch .LBB1442_2
.LBB1442_7:
	v_mov_b32_e32 v9, 0
.LBB1442_8:
	v_cmp_le_i32_e32 vcc, v8, v2
	v_cmp_gt_i32_e64 s[0:1], s16, v2
	s_and_b64 s[0:1], vcc, s[0:1]
	s_and_saveexec_b64 s[2:3], s[0:1]
	s_cbranch_execz .LBB1442_10
; %bb.9:
	v_mul_lo_u32 v4, s15, v8
	v_mul_lo_u32 v5, s14, v10
	v_mad_u64_u32 v[0:1], s[0:1], s14, v8, 0
	v_add3_u32 v1, v1, v5, v4
	v_lshlrev_b64 v[0:1], 2, v[0:1]
	s_waitcnt lgkmcnt(0)
	v_mov_b32_e32 v4, s9
	v_add_co_u32_e32 v5, vcc, s8, v0
	v_addc_co_u32_e32 v4, vcc, v4, v1, vcc
	v_lshlrev_b64 v[0:1], 2, v[2:3]
	v_add_co_u32_e32 v0, vcc, v5, v0
	v_addc_co_u32_e32 v1, vcc, v4, v1, vcc
	flat_load_dword v2, v[0:1]
	s_load_dword s0, s[4:5], 0x48
	s_load_dword s1, s[4:5], 0x10
	s_waitcnt vmcnt(0) lgkmcnt(0)
	v_mul_f32_e32 v2, s0, v2
	v_fmac_f32_e32 v2, s1, v9
	flat_store_dword v[0:1], v2
.LBB1442_10:
	s_endpgm
	.section	.rodata,"a",@progbits
	.p2align	6, 0x0
	.amdhsa_kernel _ZL32rocblas_syrkx_herkx_small_kernelIlfLi16ELb0ELb0ELc84ELc76EKPKfKPfEviT_T0_PT6_S5_lS8_S5_lS6_PT7_S5_li
		.amdhsa_group_segment_fixed_size 2048
		.amdhsa_private_segment_fixed_size 0
		.amdhsa_kernarg_size 108
		.amdhsa_user_sgpr_count 6
		.amdhsa_user_sgpr_private_segment_buffer 1
		.amdhsa_user_sgpr_dispatch_ptr 0
		.amdhsa_user_sgpr_queue_ptr 0
		.amdhsa_user_sgpr_kernarg_segment_ptr 1
		.amdhsa_user_sgpr_dispatch_id 0
		.amdhsa_user_sgpr_flat_scratch_init 0
		.amdhsa_user_sgpr_private_segment_size 0
		.amdhsa_uses_dynamic_stack 0
		.amdhsa_system_sgpr_private_segment_wavefront_offset 0
		.amdhsa_system_sgpr_workgroup_id_x 1
		.amdhsa_system_sgpr_workgroup_id_y 1
		.amdhsa_system_sgpr_workgroup_id_z 1
		.amdhsa_system_sgpr_workgroup_info 0
		.amdhsa_system_vgpr_workitem_id 1
		.amdhsa_next_free_vgpr 27
		.amdhsa_next_free_sgpr 28
		.amdhsa_reserve_vcc 1
		.amdhsa_reserve_flat_scratch 0
		.amdhsa_float_round_mode_32 0
		.amdhsa_float_round_mode_16_64 0
		.amdhsa_float_denorm_mode_32 3
		.amdhsa_float_denorm_mode_16_64 3
		.amdhsa_dx10_clamp 1
		.amdhsa_ieee_mode 1
		.amdhsa_fp16_overflow 0
		.amdhsa_exception_fp_ieee_invalid_op 0
		.amdhsa_exception_fp_denorm_src 0
		.amdhsa_exception_fp_ieee_div_zero 0
		.amdhsa_exception_fp_ieee_overflow 0
		.amdhsa_exception_fp_ieee_underflow 0
		.amdhsa_exception_fp_ieee_inexact 0
		.amdhsa_exception_int_div_zero 0
	.end_amdhsa_kernel
	.section	.text._ZL32rocblas_syrkx_herkx_small_kernelIlfLi16ELb0ELb0ELc84ELc76EKPKfKPfEviT_T0_PT6_S5_lS8_S5_lS6_PT7_S5_li,"axG",@progbits,_ZL32rocblas_syrkx_herkx_small_kernelIlfLi16ELb0ELb0ELc84ELc76EKPKfKPfEviT_T0_PT6_S5_lS8_S5_lS6_PT7_S5_li,comdat
.Lfunc_end1442:
	.size	_ZL32rocblas_syrkx_herkx_small_kernelIlfLi16ELb0ELb0ELc84ELc76EKPKfKPfEviT_T0_PT6_S5_lS8_S5_lS6_PT7_S5_li, .Lfunc_end1442-_ZL32rocblas_syrkx_herkx_small_kernelIlfLi16ELb0ELb0ELc84ELc76EKPKfKPfEviT_T0_PT6_S5_lS8_S5_lS6_PT7_S5_li
                                        ; -- End function
	.set _ZL32rocblas_syrkx_herkx_small_kernelIlfLi16ELb0ELb0ELc84ELc76EKPKfKPfEviT_T0_PT6_S5_lS8_S5_lS6_PT7_S5_li.num_vgpr, 27
	.set _ZL32rocblas_syrkx_herkx_small_kernelIlfLi16ELb0ELb0ELc84ELc76EKPKfKPfEviT_T0_PT6_S5_lS8_S5_lS6_PT7_S5_li.num_agpr, 0
	.set _ZL32rocblas_syrkx_herkx_small_kernelIlfLi16ELb0ELb0ELc84ELc76EKPKfKPfEviT_T0_PT6_S5_lS8_S5_lS6_PT7_S5_li.numbered_sgpr, 28
	.set _ZL32rocblas_syrkx_herkx_small_kernelIlfLi16ELb0ELb0ELc84ELc76EKPKfKPfEviT_T0_PT6_S5_lS8_S5_lS6_PT7_S5_li.num_named_barrier, 0
	.set _ZL32rocblas_syrkx_herkx_small_kernelIlfLi16ELb0ELb0ELc84ELc76EKPKfKPfEviT_T0_PT6_S5_lS8_S5_lS6_PT7_S5_li.private_seg_size, 0
	.set _ZL32rocblas_syrkx_herkx_small_kernelIlfLi16ELb0ELb0ELc84ELc76EKPKfKPfEviT_T0_PT6_S5_lS8_S5_lS6_PT7_S5_li.uses_vcc, 1
	.set _ZL32rocblas_syrkx_herkx_small_kernelIlfLi16ELb0ELb0ELc84ELc76EKPKfKPfEviT_T0_PT6_S5_lS8_S5_lS6_PT7_S5_li.uses_flat_scratch, 0
	.set _ZL32rocblas_syrkx_herkx_small_kernelIlfLi16ELb0ELb0ELc84ELc76EKPKfKPfEviT_T0_PT6_S5_lS8_S5_lS6_PT7_S5_li.has_dyn_sized_stack, 0
	.set _ZL32rocblas_syrkx_herkx_small_kernelIlfLi16ELb0ELb0ELc84ELc76EKPKfKPfEviT_T0_PT6_S5_lS8_S5_lS6_PT7_S5_li.has_recursion, 0
	.set _ZL32rocblas_syrkx_herkx_small_kernelIlfLi16ELb0ELb0ELc84ELc76EKPKfKPfEviT_T0_PT6_S5_lS8_S5_lS6_PT7_S5_li.has_indirect_call, 0
	.section	.AMDGPU.csdata,"",@progbits
; Kernel info:
; codeLenInByte = 840
; TotalNumSgprs: 32
; NumVgprs: 27
; ScratchSize: 0
; MemoryBound: 0
; FloatMode: 240
; IeeeMode: 1
; LDSByteSize: 2048 bytes/workgroup (compile time only)
; SGPRBlocks: 3
; VGPRBlocks: 6
; NumSGPRsForWavesPerEU: 32
; NumVGPRsForWavesPerEU: 27
; Occupancy: 9
; WaveLimiterHint : 1
; COMPUTE_PGM_RSRC2:SCRATCH_EN: 0
; COMPUTE_PGM_RSRC2:USER_SGPR: 6
; COMPUTE_PGM_RSRC2:TRAP_HANDLER: 0
; COMPUTE_PGM_RSRC2:TGID_X_EN: 1
; COMPUTE_PGM_RSRC2:TGID_Y_EN: 1
; COMPUTE_PGM_RSRC2:TGID_Z_EN: 1
; COMPUTE_PGM_RSRC2:TIDIG_COMP_CNT: 1
	.section	.text._ZL32rocblas_syrkx_herkx_small_kernelIlfLi16ELb0ELb0ELc67ELc76EKPKfKPfEviT_T0_PT6_S5_lS8_S5_lS6_PT7_S5_li,"axG",@progbits,_ZL32rocblas_syrkx_herkx_small_kernelIlfLi16ELb0ELb0ELc67ELc76EKPKfKPfEviT_T0_PT6_S5_lS8_S5_lS6_PT7_S5_li,comdat
	.globl	_ZL32rocblas_syrkx_herkx_small_kernelIlfLi16ELb0ELb0ELc67ELc76EKPKfKPfEviT_T0_PT6_S5_lS8_S5_lS6_PT7_S5_li ; -- Begin function _ZL32rocblas_syrkx_herkx_small_kernelIlfLi16ELb0ELb0ELc67ELc76EKPKfKPfEviT_T0_PT6_S5_lS8_S5_lS6_PT7_S5_li
	.p2align	8
	.type	_ZL32rocblas_syrkx_herkx_small_kernelIlfLi16ELb0ELb0ELc67ELc76EKPKfKPfEviT_T0_PT6_S5_lS8_S5_lS6_PT7_S5_li,@function
_ZL32rocblas_syrkx_herkx_small_kernelIlfLi16ELb0ELb0ELc67ELc76EKPKfKPfEviT_T0_PT6_S5_lS8_S5_lS6_PT7_S5_li: ; @_ZL32rocblas_syrkx_herkx_small_kernelIlfLi16ELb0ELb0ELc67ELc76EKPKfKPfEviT_T0_PT6_S5_lS8_S5_lS6_PT7_S5_li
; %bb.0:
	s_load_dwordx4 s[12:15], s[4:5], 0x50
	s_load_dword s16, s[4:5], 0x0
	s_load_dwordx2 s[10:11], s[4:5], 0x8
	s_mov_b32 s9, 0
	s_lshl_b64 s[2:3], s[8:9], 3
	s_waitcnt lgkmcnt(0)
	s_add_u32 s0, s12, s2
	s_addc_u32 s1, s13, s3
	s_load_dwordx2 s[8:9], s[0:1], 0x0
	v_cmp_lt_i64_e64 s[0:1], s[10:11], 1
	v_lshl_add_u32 v2, s6, 4, v0
	v_lshl_add_u32 v8, s7, 4, v1
	s_and_b64 vcc, exec, s[0:1]
	v_cmp_gt_i32_e64 s[0:1], s16, v2
	v_ashrrev_i32_e32 v3, 31, v2
	v_ashrrev_i32_e32 v10, 31, v8
	s_cbranch_vccnz .LBB1443_7
; %bb.1:
	s_load_dwordx4 s[20:23], s[4:5], 0x30
	s_load_dwordx4 s[24:27], s[4:5], 0x18
	v_lshlrev_b32_e32 v6, 6, v1
	v_lshlrev_b32_e32 v11, 2, v0
	v_add_u32_e32 v12, v11, v6
	s_waitcnt lgkmcnt(0)
	s_add_u32 s6, s20, s2
	s_addc_u32 s7, s21, s3
	s_add_u32 s2, s24, s2
	s_addc_u32 s3, s25, s3
	s_load_dwordx2 s[12:13], s[2:3], 0x0
	v_mul_lo_u32 v7, s23, v8
	v_mul_lo_u32 v15, s22, v10
	v_mad_u64_u32 v[4:5], s[2:3], s22, v8, 0
	s_load_dwordx2 s[6:7], s[6:7], 0x0
	v_add_u32_e32 v13, 0x400, v6
	v_add3_u32 v5, v5, v15, v7
	v_mul_lo_u32 v16, s27, v2
	v_mul_lo_u32 v17, s26, v3
	v_mad_u64_u32 v[6:7], s[18:19], s26, v2, 0
	v_lshlrev_b64 v[4:5], 2, v[4:5]
	s_waitcnt lgkmcnt(0)
	v_mov_b32_e32 v15, s7
	v_add_co_u32_e32 v4, vcc, v4, v11
	v_addc_co_u32_e32 v5, vcc, 0, v5, vcc
	v_add3_u32 v7, v7, v17, v16
	v_add_co_u32_e32 v4, vcc, s6, v4
	v_lshlrev_b64 v[6:7], 2, v[6:7]
	v_addc_co_u32_e32 v5, vcc, v15, v5, vcc
	v_lshlrev_b32_e32 v15, 2, v1
	v_add_co_u32_e32 v6, vcc, v6, v15
	v_addc_co_u32_e32 v7, vcc, 0, v7, vcc
	v_mov_b32_e32 v15, s13
	v_add_co_u32_e32 v6, vcc, s12, v6
	v_mov_b32_e32 v9, 0
	v_cmp_gt_i32_e64 s[2:3], s16, v8
	v_add_u32_e32 v14, v13, v11
	v_addc_co_u32_e32 v7, vcc, v15, v7, vcc
	s_mov_b64 s[12:13], 0
	s_branch .LBB1443_3
.LBB1443_2:                             ;   in Loop: Header=BB1443_3 Depth=1
	s_or_b64 exec, exec, s[6:7]
	s_waitcnt vmcnt(0) lgkmcnt(0)
	ds_write_b32 v14, v15
	s_waitcnt lgkmcnt(0)
	s_barrier
	ds_read2_b32 v[23:24], v11 offset1:16
	ds_read_b128 v[15:18], v13
	ds_read2_b32 v[25:26], v11 offset0:32 offset1:48
	ds_read_b128 v[19:22], v13 offset:16
	s_add_u32 s12, s12, 16
	v_add_co_u32_e32 v4, vcc, 64, v4
	s_waitcnt lgkmcnt(2)
	v_fmac_f32_e32 v9, v23, v15
	v_fmac_f32_e32 v9, v24, v16
	ds_read2_b32 v[23:24], v11 offset0:64 offset1:80
	s_waitcnt lgkmcnt(2)
	v_fmac_f32_e32 v9, v25, v17
	v_fmac_f32_e32 v9, v26, v18
	ds_read2_b32 v[25:26], v11 offset0:96 offset1:112
	ds_read_b128 v[15:18], v13 offset:32
	s_addc_u32 s13, s13, 0
	s_waitcnt lgkmcnt(2)
	v_fmac_f32_e32 v9, v23, v19
	v_fmac_f32_e32 v9, v24, v20
	ds_read2_b32 v[23:24], v11 offset0:128 offset1:144
	s_waitcnt lgkmcnt(2)
	v_fmac_f32_e32 v9, v25, v21
	v_fmac_f32_e32 v9, v26, v22
	ds_read2_b32 v[25:26], v11 offset0:160 offset1:176
	ds_read_b128 v[19:22], v13 offset:48
	v_addc_co_u32_e32 v5, vcc, 0, v5, vcc
	s_waitcnt lgkmcnt(2)
	v_fmac_f32_e32 v9, v23, v15
	v_fmac_f32_e32 v9, v24, v16
	ds_read2_b32 v[15:16], v11 offset0:192 offset1:208
	s_waitcnt lgkmcnt(2)
	v_fmac_f32_e32 v9, v25, v17
	v_fmac_f32_e32 v9, v26, v18
	ds_read2_b32 v[17:18], v11 offset0:224 offset1:240
	v_add_co_u32_e64 v6, s[6:7], 64, v6
	s_waitcnt lgkmcnt(1)
	v_fmac_f32_e32 v9, v15, v19
	v_fmac_f32_e32 v9, v16, v20
	v_mov_b32_e32 v16, s11
	v_mov_b32_e32 v15, s10
	v_cmp_ge_i64_e32 vcc, s[12:13], v[15:16]
	s_waitcnt lgkmcnt(0)
	v_fmac_f32_e32 v9, v17, v21
	v_fmac_f32_e32 v9, v18, v22
	v_addc_co_u32_e64 v7, s[6:7], 0, v7, s[6:7]
	s_barrier
	s_cbranch_vccnz .LBB1443_8
.LBB1443_3:                             ; =>This Inner Loop Header: Depth=1
	v_mov_b32_e32 v16, s13
	v_add_co_u32_e32 v15, vcc, s12, v1
	v_addc_co_u32_e32 v16, vcc, 0, v16, vcc
	v_cmp_gt_i64_e32 vcc, s[10:11], v[15:16]
	v_mov_b32_e32 v15, 0
	s_and_b64 s[18:19], s[0:1], vcc
	s_and_saveexec_b64 s[6:7], s[18:19]
	s_cbranch_execz .LBB1443_5
; %bb.4:                                ;   in Loop: Header=BB1443_3 Depth=1
	flat_load_dword v15, v[6:7]
.LBB1443_5:                             ;   in Loop: Header=BB1443_3 Depth=1
	s_or_b64 exec, exec, s[6:7]
	v_mov_b32_e32 v17, s13
	v_add_co_u32_e32 v16, vcc, s12, v0
	v_addc_co_u32_e32 v17, vcc, 0, v17, vcc
	v_cmp_gt_i64_e32 vcc, s[10:11], v[16:17]
	s_waitcnt vmcnt(0) lgkmcnt(0)
	ds_write_b32 v12, v15
	s_and_b64 s[18:19], s[2:3], vcc
	v_mov_b32_e32 v15, 0
	s_and_saveexec_b64 s[6:7], s[18:19]
	s_cbranch_execz .LBB1443_2
; %bb.6:                                ;   in Loop: Header=BB1443_3 Depth=1
	flat_load_dword v15, v[4:5]
	s_branch .LBB1443_2
.LBB1443_7:
	v_mov_b32_e32 v9, 0
.LBB1443_8:
	v_cmp_le_i32_e32 vcc, v8, v2
	v_cmp_gt_i32_e64 s[0:1], s16, v2
	s_and_b64 s[0:1], vcc, s[0:1]
	s_and_saveexec_b64 s[2:3], s[0:1]
	s_cbranch_execz .LBB1443_10
; %bb.9:
	v_mul_lo_u32 v4, s15, v8
	v_mul_lo_u32 v5, s14, v10
	v_mad_u64_u32 v[0:1], s[0:1], s14, v8, 0
	v_add3_u32 v1, v1, v5, v4
	v_lshlrev_b64 v[0:1], 2, v[0:1]
	s_waitcnt lgkmcnt(0)
	v_mov_b32_e32 v4, s9
	v_add_co_u32_e32 v5, vcc, s8, v0
	v_addc_co_u32_e32 v4, vcc, v4, v1, vcc
	v_lshlrev_b64 v[0:1], 2, v[2:3]
	v_add_co_u32_e32 v0, vcc, v5, v0
	v_addc_co_u32_e32 v1, vcc, v4, v1, vcc
	flat_load_dword v2, v[0:1]
	s_load_dword s0, s[4:5], 0x48
	s_load_dword s1, s[4:5], 0x10
	s_waitcnt vmcnt(0) lgkmcnt(0)
	v_mul_f32_e32 v2, s0, v2
	v_fmac_f32_e32 v2, s1, v9
	flat_store_dword v[0:1], v2
.LBB1443_10:
	s_endpgm
	.section	.rodata,"a",@progbits
	.p2align	6, 0x0
	.amdhsa_kernel _ZL32rocblas_syrkx_herkx_small_kernelIlfLi16ELb0ELb0ELc67ELc76EKPKfKPfEviT_T0_PT6_S5_lS8_S5_lS6_PT7_S5_li
		.amdhsa_group_segment_fixed_size 2048
		.amdhsa_private_segment_fixed_size 0
		.amdhsa_kernarg_size 108
		.amdhsa_user_sgpr_count 6
		.amdhsa_user_sgpr_private_segment_buffer 1
		.amdhsa_user_sgpr_dispatch_ptr 0
		.amdhsa_user_sgpr_queue_ptr 0
		.amdhsa_user_sgpr_kernarg_segment_ptr 1
		.amdhsa_user_sgpr_dispatch_id 0
		.amdhsa_user_sgpr_flat_scratch_init 0
		.amdhsa_user_sgpr_private_segment_size 0
		.amdhsa_uses_dynamic_stack 0
		.amdhsa_system_sgpr_private_segment_wavefront_offset 0
		.amdhsa_system_sgpr_workgroup_id_x 1
		.amdhsa_system_sgpr_workgroup_id_y 1
		.amdhsa_system_sgpr_workgroup_id_z 1
		.amdhsa_system_sgpr_workgroup_info 0
		.amdhsa_system_vgpr_workitem_id 1
		.amdhsa_next_free_vgpr 27
		.amdhsa_next_free_sgpr 28
		.amdhsa_reserve_vcc 1
		.amdhsa_reserve_flat_scratch 0
		.amdhsa_float_round_mode_32 0
		.amdhsa_float_round_mode_16_64 0
		.amdhsa_float_denorm_mode_32 3
		.amdhsa_float_denorm_mode_16_64 3
		.amdhsa_dx10_clamp 1
		.amdhsa_ieee_mode 1
		.amdhsa_fp16_overflow 0
		.amdhsa_exception_fp_ieee_invalid_op 0
		.amdhsa_exception_fp_denorm_src 0
		.amdhsa_exception_fp_ieee_div_zero 0
		.amdhsa_exception_fp_ieee_overflow 0
		.amdhsa_exception_fp_ieee_underflow 0
		.amdhsa_exception_fp_ieee_inexact 0
		.amdhsa_exception_int_div_zero 0
	.end_amdhsa_kernel
	.section	.text._ZL32rocblas_syrkx_herkx_small_kernelIlfLi16ELb0ELb0ELc67ELc76EKPKfKPfEviT_T0_PT6_S5_lS8_S5_lS6_PT7_S5_li,"axG",@progbits,_ZL32rocblas_syrkx_herkx_small_kernelIlfLi16ELb0ELb0ELc67ELc76EKPKfKPfEviT_T0_PT6_S5_lS8_S5_lS6_PT7_S5_li,comdat
.Lfunc_end1443:
	.size	_ZL32rocblas_syrkx_herkx_small_kernelIlfLi16ELb0ELb0ELc67ELc76EKPKfKPfEviT_T0_PT6_S5_lS8_S5_lS6_PT7_S5_li, .Lfunc_end1443-_ZL32rocblas_syrkx_herkx_small_kernelIlfLi16ELb0ELb0ELc67ELc76EKPKfKPfEviT_T0_PT6_S5_lS8_S5_lS6_PT7_S5_li
                                        ; -- End function
	.set _ZL32rocblas_syrkx_herkx_small_kernelIlfLi16ELb0ELb0ELc67ELc76EKPKfKPfEviT_T0_PT6_S5_lS8_S5_lS6_PT7_S5_li.num_vgpr, 27
	.set _ZL32rocblas_syrkx_herkx_small_kernelIlfLi16ELb0ELb0ELc67ELc76EKPKfKPfEviT_T0_PT6_S5_lS8_S5_lS6_PT7_S5_li.num_agpr, 0
	.set _ZL32rocblas_syrkx_herkx_small_kernelIlfLi16ELb0ELb0ELc67ELc76EKPKfKPfEviT_T0_PT6_S5_lS8_S5_lS6_PT7_S5_li.numbered_sgpr, 28
	.set _ZL32rocblas_syrkx_herkx_small_kernelIlfLi16ELb0ELb0ELc67ELc76EKPKfKPfEviT_T0_PT6_S5_lS8_S5_lS6_PT7_S5_li.num_named_barrier, 0
	.set _ZL32rocblas_syrkx_herkx_small_kernelIlfLi16ELb0ELb0ELc67ELc76EKPKfKPfEviT_T0_PT6_S5_lS8_S5_lS6_PT7_S5_li.private_seg_size, 0
	.set _ZL32rocblas_syrkx_herkx_small_kernelIlfLi16ELb0ELb0ELc67ELc76EKPKfKPfEviT_T0_PT6_S5_lS8_S5_lS6_PT7_S5_li.uses_vcc, 1
	.set _ZL32rocblas_syrkx_herkx_small_kernelIlfLi16ELb0ELb0ELc67ELc76EKPKfKPfEviT_T0_PT6_S5_lS8_S5_lS6_PT7_S5_li.uses_flat_scratch, 0
	.set _ZL32rocblas_syrkx_herkx_small_kernelIlfLi16ELb0ELb0ELc67ELc76EKPKfKPfEviT_T0_PT6_S5_lS8_S5_lS6_PT7_S5_li.has_dyn_sized_stack, 0
	.set _ZL32rocblas_syrkx_herkx_small_kernelIlfLi16ELb0ELb0ELc67ELc76EKPKfKPfEviT_T0_PT6_S5_lS8_S5_lS6_PT7_S5_li.has_recursion, 0
	.set _ZL32rocblas_syrkx_herkx_small_kernelIlfLi16ELb0ELb0ELc67ELc76EKPKfKPfEviT_T0_PT6_S5_lS8_S5_lS6_PT7_S5_li.has_indirect_call, 0
	.section	.AMDGPU.csdata,"",@progbits
; Kernel info:
; codeLenInByte = 840
; TotalNumSgprs: 32
; NumVgprs: 27
; ScratchSize: 0
; MemoryBound: 0
; FloatMode: 240
; IeeeMode: 1
; LDSByteSize: 2048 bytes/workgroup (compile time only)
; SGPRBlocks: 3
; VGPRBlocks: 6
; NumSGPRsForWavesPerEU: 32
; NumVGPRsForWavesPerEU: 27
; Occupancy: 9
; WaveLimiterHint : 1
; COMPUTE_PGM_RSRC2:SCRATCH_EN: 0
; COMPUTE_PGM_RSRC2:USER_SGPR: 6
; COMPUTE_PGM_RSRC2:TRAP_HANDLER: 0
; COMPUTE_PGM_RSRC2:TGID_X_EN: 1
; COMPUTE_PGM_RSRC2:TGID_Y_EN: 1
; COMPUTE_PGM_RSRC2:TGID_Z_EN: 1
; COMPUTE_PGM_RSRC2:TIDIG_COMP_CNT: 1
	.section	.text._ZL32rocblas_syrkx_herkx_small_kernelIlfLi16ELb0ELb0ELc78ELc76EKPKfKPfEviT_T0_PT6_S5_lS8_S5_lS6_PT7_S5_li,"axG",@progbits,_ZL32rocblas_syrkx_herkx_small_kernelIlfLi16ELb0ELb0ELc78ELc76EKPKfKPfEviT_T0_PT6_S5_lS8_S5_lS6_PT7_S5_li,comdat
	.globl	_ZL32rocblas_syrkx_herkx_small_kernelIlfLi16ELb0ELb0ELc78ELc76EKPKfKPfEviT_T0_PT6_S5_lS8_S5_lS6_PT7_S5_li ; -- Begin function _ZL32rocblas_syrkx_herkx_small_kernelIlfLi16ELb0ELb0ELc78ELc76EKPKfKPfEviT_T0_PT6_S5_lS8_S5_lS6_PT7_S5_li
	.p2align	8
	.type	_ZL32rocblas_syrkx_herkx_small_kernelIlfLi16ELb0ELb0ELc78ELc76EKPKfKPfEviT_T0_PT6_S5_lS8_S5_lS6_PT7_S5_li,@function
_ZL32rocblas_syrkx_herkx_small_kernelIlfLi16ELb0ELb0ELc78ELc76EKPKfKPfEviT_T0_PT6_S5_lS8_S5_lS6_PT7_S5_li: ; @_ZL32rocblas_syrkx_herkx_small_kernelIlfLi16ELb0ELb0ELc78ELc76EKPKfKPfEviT_T0_PT6_S5_lS8_S5_lS6_PT7_S5_li
; %bb.0:
	s_load_dwordx4 s[12:15], s[4:5], 0x50
	s_load_dword s22, s[4:5], 0x0
	s_load_dwordx2 s[20:21], s[4:5], 0x8
	s_mov_b32 s9, 0
	s_lshl_b64 s[2:3], s[8:9], 3
	s_waitcnt lgkmcnt(0)
	s_add_u32 s0, s12, s2
	s_addc_u32 s1, s13, s3
	s_load_dwordx2 s[12:13], s[0:1], 0x0
	v_cmp_lt_i64_e64 s[0:1], s[20:21], 1
	v_lshl_add_u32 v2, s6, 4, v0
	v_lshl_add_u32 v4, s7, 4, v1
	s_and_b64 vcc, exec, s[0:1]
	v_cmp_gt_i32_e64 s[0:1], s22, v2
	v_ashrrev_i32_e32 v3, 31, v2
	v_ashrrev_i32_e32 v5, 31, v4
	s_cbranch_vccnz .LBB1444_7
; %bb.1:
	s_load_dwordx4 s[16:19], s[4:5], 0x30
	s_load_dwordx4 s[8:11], s[4:5], 0x18
	v_lshlrev_b32_e32 v9, 6, v1
	v_lshlrev_b32_e32 v11, 2, v0
	v_add_u32_e32 v12, v11, v9
	s_waitcnt lgkmcnt(0)
	s_add_u32 s6, s16, s2
	s_addc_u32 s7, s17, s3
	s_add_u32 s2, s8, s2
	s_addc_u32 s3, s9, s3
	s_load_dwordx2 s[16:17], s[2:3], 0x0
	v_mad_u64_u32 v[6:7], s[2:3], s18, v0, 0
	v_mad_u64_u32 v[15:16], s[8:9], s10, v1, 0
	;; [unrolled: 1-line block ×3, first 2 shown]
	v_add_u32_e32 v13, 0x400, v9
	v_lshlrev_b64 v[8:9], 2, v[4:5]
	v_lshlrev_b64 v[6:7], 2, v[6:7]
	s_load_dwordx2 s[6:7], s[6:7], 0x0
	v_add_co_u32_e32 v17, vcc, v6, v8
	v_addc_co_u32_e32 v7, vcc, v7, v9, vcc
	v_mov_b32_e32 v6, v16
	v_mad_u64_u32 v[8:9], s[8:9], s11, v1, v[6:7]
	s_waitcnt lgkmcnt(0)
	v_mov_b32_e32 v18, s7
	v_add_co_u32_e32 v6, vcc, s6, v17
	v_mov_b32_e32 v16, v8
	v_lshlrev_b64 v[8:9], 2, v[15:16]
	v_lshlrev_b64 v[15:16], 2, v[2:3]
	v_addc_co_u32_e32 v7, vcc, v18, v7, vcc
	v_add_co_u32_e32 v8, vcc, v8, v15
	v_addc_co_u32_e32 v9, vcc, v9, v16, vcc
	v_mov_b32_e32 v15, s17
	v_add_co_u32_e32 v8, vcc, s16, v8
	v_mov_b32_e32 v10, 0
	v_cmp_gt_i32_e64 s[2:3], s22, v4
	v_add_u32_e32 v14, v13, v11
	s_lshl_b64 s[8:9], s[18:19], 6
	v_addc_co_u32_e32 v9, vcc, v15, v9, vcc
	s_lshl_b64 s[10:11], s[10:11], 6
	s_mov_b64 s[16:17], 0
	s_branch .LBB1444_3
.LBB1444_2:                             ;   in Loop: Header=BB1444_3 Depth=1
	s_or_b64 exec, exec, s[6:7]
	s_waitcnt vmcnt(0) lgkmcnt(0)
	ds_write_b32 v14, v15
	s_waitcnt lgkmcnt(0)
	s_barrier
	ds_read2_b32 v[23:24], v11 offset1:16
	ds_read_b128 v[15:18], v13
	ds_read2_b32 v[25:26], v11 offset0:32 offset1:48
	ds_read_b128 v[19:22], v13 offset:16
	v_add_co_u32_e32 v6, vcc, s8, v6
	s_waitcnt lgkmcnt(2)
	v_fmac_f32_e32 v10, v23, v15
	v_fmac_f32_e32 v10, v24, v16
	ds_read2_b32 v[23:24], v11 offset0:64 offset1:80
	s_waitcnt lgkmcnt(2)
	v_fmac_f32_e32 v10, v25, v17
	v_fmac_f32_e32 v10, v26, v18
	ds_read2_b32 v[25:26], v11 offset0:96 offset1:112
	ds_read_b128 v[15:18], v13 offset:32
	s_add_u32 s16, s16, 16
	s_waitcnt lgkmcnt(2)
	v_fmac_f32_e32 v10, v23, v19
	v_fmac_f32_e32 v10, v24, v20
	ds_read2_b32 v[23:24], v11 offset0:128 offset1:144
	s_waitcnt lgkmcnt(2)
	v_fmac_f32_e32 v10, v25, v21
	v_fmac_f32_e32 v10, v26, v22
	ds_read2_b32 v[25:26], v11 offset0:160 offset1:176
	ds_read_b128 v[19:22], v13 offset:48
	s_addc_u32 s17, s17, 0
	s_waitcnt lgkmcnt(2)
	v_fmac_f32_e32 v10, v23, v15
	v_fmac_f32_e32 v10, v24, v16
	ds_read2_b32 v[15:16], v11 offset0:192 offset1:208
	s_waitcnt lgkmcnt(2)
	v_fmac_f32_e32 v10, v25, v17
	v_fmac_f32_e32 v10, v26, v18
	ds_read2_b32 v[17:18], v11 offset0:224 offset1:240
	v_add_co_u32_e64 v8, s[6:7], s10, v8
	s_waitcnt lgkmcnt(1)
	v_fmac_f32_e32 v10, v15, v19
	v_mov_b32_e32 v15, s9
	v_fmac_f32_e32 v10, v16, v20
	v_addc_co_u32_e32 v7, vcc, v7, v15, vcc
	v_mov_b32_e32 v15, s20
	v_mov_b32_e32 v16, s21
	v_cmp_ge_i64_e32 vcc, s[16:17], v[15:16]
	s_waitcnt lgkmcnt(0)
	v_fmac_f32_e32 v10, v17, v21
	v_mov_b32_e32 v17, s11
	v_fmac_f32_e32 v10, v18, v22
	v_addc_co_u32_e64 v9, s[6:7], v9, v17, s[6:7]
	s_barrier
	s_cbranch_vccnz .LBB1444_8
.LBB1444_3:                             ; =>This Inner Loop Header: Depth=1
	v_mov_b32_e32 v16, s17
	v_add_co_u32_e32 v15, vcc, s16, v1
	v_addc_co_u32_e32 v16, vcc, 0, v16, vcc
	v_cmp_gt_i64_e32 vcc, s[20:21], v[15:16]
	v_mov_b32_e32 v15, 0
	s_and_b64 s[18:19], s[0:1], vcc
	s_and_saveexec_b64 s[6:7], s[18:19]
	s_cbranch_execz .LBB1444_5
; %bb.4:                                ;   in Loop: Header=BB1444_3 Depth=1
	flat_load_dword v15, v[8:9]
.LBB1444_5:                             ;   in Loop: Header=BB1444_3 Depth=1
	s_or_b64 exec, exec, s[6:7]
	v_mov_b32_e32 v17, s17
	v_add_co_u32_e32 v16, vcc, s16, v0
	v_addc_co_u32_e32 v17, vcc, 0, v17, vcc
	v_cmp_gt_i64_e32 vcc, s[20:21], v[16:17]
	s_waitcnt vmcnt(0) lgkmcnt(0)
	ds_write_b32 v12, v15
	s_and_b64 s[18:19], s[2:3], vcc
	v_mov_b32_e32 v15, 0
	s_and_saveexec_b64 s[6:7], s[18:19]
	s_cbranch_execz .LBB1444_2
; %bb.6:                                ;   in Loop: Header=BB1444_3 Depth=1
	flat_load_dword v15, v[6:7]
	s_branch .LBB1444_2
.LBB1444_7:
	v_mov_b32_e32 v10, 0
.LBB1444_8:
	v_cmp_le_i32_e32 vcc, v4, v2
	v_cmp_gt_i32_e64 s[0:1], s22, v2
	s_and_b64 s[0:1], vcc, s[0:1]
	s_and_saveexec_b64 s[2:3], s[0:1]
	s_cbranch_execz .LBB1444_10
; %bb.9:
	v_mul_lo_u32 v6, s15, v4
	v_mul_lo_u32 v5, s14, v5
	v_mad_u64_u32 v[0:1], s[0:1], s14, v4, 0
	s_waitcnt lgkmcnt(0)
	v_mov_b32_e32 v4, s13
	v_add3_u32 v1, v1, v5, v6
	v_lshlrev_b64 v[0:1], 2, v[0:1]
	v_add_co_u32_e32 v5, vcc, s12, v0
	v_addc_co_u32_e32 v4, vcc, v4, v1, vcc
	v_lshlrev_b64 v[0:1], 2, v[2:3]
	v_add_co_u32_e32 v0, vcc, v5, v0
	v_addc_co_u32_e32 v1, vcc, v4, v1, vcc
	flat_load_dword v2, v[0:1]
	s_load_dword s0, s[4:5], 0x48
	s_load_dword s1, s[4:5], 0x10
	s_waitcnt vmcnt(0) lgkmcnt(0)
	v_mul_f32_e32 v2, s0, v2
	v_fmac_f32_e32 v2, s1, v10
	flat_store_dword v[0:1], v2
.LBB1444_10:
	s_endpgm
	.section	.rodata,"a",@progbits
	.p2align	6, 0x0
	.amdhsa_kernel _ZL32rocblas_syrkx_herkx_small_kernelIlfLi16ELb0ELb0ELc78ELc76EKPKfKPfEviT_T0_PT6_S5_lS8_S5_lS6_PT7_S5_li
		.amdhsa_group_segment_fixed_size 2048
		.amdhsa_private_segment_fixed_size 0
		.amdhsa_kernarg_size 108
		.amdhsa_user_sgpr_count 6
		.amdhsa_user_sgpr_private_segment_buffer 1
		.amdhsa_user_sgpr_dispatch_ptr 0
		.amdhsa_user_sgpr_queue_ptr 0
		.amdhsa_user_sgpr_kernarg_segment_ptr 1
		.amdhsa_user_sgpr_dispatch_id 0
		.amdhsa_user_sgpr_flat_scratch_init 0
		.amdhsa_user_sgpr_private_segment_size 0
		.amdhsa_uses_dynamic_stack 0
		.amdhsa_system_sgpr_private_segment_wavefront_offset 0
		.amdhsa_system_sgpr_workgroup_id_x 1
		.amdhsa_system_sgpr_workgroup_id_y 1
		.amdhsa_system_sgpr_workgroup_id_z 1
		.amdhsa_system_sgpr_workgroup_info 0
		.amdhsa_system_vgpr_workitem_id 1
		.amdhsa_next_free_vgpr 27
		.amdhsa_next_free_sgpr 23
		.amdhsa_reserve_vcc 1
		.amdhsa_reserve_flat_scratch 0
		.amdhsa_float_round_mode_32 0
		.amdhsa_float_round_mode_16_64 0
		.amdhsa_float_denorm_mode_32 3
		.amdhsa_float_denorm_mode_16_64 3
		.amdhsa_dx10_clamp 1
		.amdhsa_ieee_mode 1
		.amdhsa_fp16_overflow 0
		.amdhsa_exception_fp_ieee_invalid_op 0
		.amdhsa_exception_fp_denorm_src 0
		.amdhsa_exception_fp_ieee_div_zero 0
		.amdhsa_exception_fp_ieee_overflow 0
		.amdhsa_exception_fp_ieee_underflow 0
		.amdhsa_exception_fp_ieee_inexact 0
		.amdhsa_exception_int_div_zero 0
	.end_amdhsa_kernel
	.section	.text._ZL32rocblas_syrkx_herkx_small_kernelIlfLi16ELb0ELb0ELc78ELc76EKPKfKPfEviT_T0_PT6_S5_lS8_S5_lS6_PT7_S5_li,"axG",@progbits,_ZL32rocblas_syrkx_herkx_small_kernelIlfLi16ELb0ELb0ELc78ELc76EKPKfKPfEviT_T0_PT6_S5_lS8_S5_lS6_PT7_S5_li,comdat
.Lfunc_end1444:
	.size	_ZL32rocblas_syrkx_herkx_small_kernelIlfLi16ELb0ELb0ELc78ELc76EKPKfKPfEviT_T0_PT6_S5_lS8_S5_lS6_PT7_S5_li, .Lfunc_end1444-_ZL32rocblas_syrkx_herkx_small_kernelIlfLi16ELb0ELb0ELc78ELc76EKPKfKPfEviT_T0_PT6_S5_lS8_S5_lS6_PT7_S5_li
                                        ; -- End function
	.set _ZL32rocblas_syrkx_herkx_small_kernelIlfLi16ELb0ELb0ELc78ELc76EKPKfKPfEviT_T0_PT6_S5_lS8_S5_lS6_PT7_S5_li.num_vgpr, 27
	.set _ZL32rocblas_syrkx_herkx_small_kernelIlfLi16ELb0ELb0ELc78ELc76EKPKfKPfEviT_T0_PT6_S5_lS8_S5_lS6_PT7_S5_li.num_agpr, 0
	.set _ZL32rocblas_syrkx_herkx_small_kernelIlfLi16ELb0ELb0ELc78ELc76EKPKfKPfEviT_T0_PT6_S5_lS8_S5_lS6_PT7_S5_li.numbered_sgpr, 23
	.set _ZL32rocblas_syrkx_herkx_small_kernelIlfLi16ELb0ELb0ELc78ELc76EKPKfKPfEviT_T0_PT6_S5_lS8_S5_lS6_PT7_S5_li.num_named_barrier, 0
	.set _ZL32rocblas_syrkx_herkx_small_kernelIlfLi16ELb0ELb0ELc78ELc76EKPKfKPfEviT_T0_PT6_S5_lS8_S5_lS6_PT7_S5_li.private_seg_size, 0
	.set _ZL32rocblas_syrkx_herkx_small_kernelIlfLi16ELb0ELb0ELc78ELc76EKPKfKPfEviT_T0_PT6_S5_lS8_S5_lS6_PT7_S5_li.uses_vcc, 1
	.set _ZL32rocblas_syrkx_herkx_small_kernelIlfLi16ELb0ELb0ELc78ELc76EKPKfKPfEviT_T0_PT6_S5_lS8_S5_lS6_PT7_S5_li.uses_flat_scratch, 0
	.set _ZL32rocblas_syrkx_herkx_small_kernelIlfLi16ELb0ELb0ELc78ELc76EKPKfKPfEviT_T0_PT6_S5_lS8_S5_lS6_PT7_S5_li.has_dyn_sized_stack, 0
	.set _ZL32rocblas_syrkx_herkx_small_kernelIlfLi16ELb0ELb0ELc78ELc76EKPKfKPfEviT_T0_PT6_S5_lS8_S5_lS6_PT7_S5_li.has_recursion, 0
	.set _ZL32rocblas_syrkx_herkx_small_kernelIlfLi16ELb0ELb0ELc78ELc76EKPKfKPfEviT_T0_PT6_S5_lS8_S5_lS6_PT7_S5_li.has_indirect_call, 0
	.section	.AMDGPU.csdata,"",@progbits
; Kernel info:
; codeLenInByte = 844
; TotalNumSgprs: 27
; NumVgprs: 27
; ScratchSize: 0
; MemoryBound: 0
; FloatMode: 240
; IeeeMode: 1
; LDSByteSize: 2048 bytes/workgroup (compile time only)
; SGPRBlocks: 3
; VGPRBlocks: 6
; NumSGPRsForWavesPerEU: 27
; NumVGPRsForWavesPerEU: 27
; Occupancy: 9
; WaveLimiterHint : 1
; COMPUTE_PGM_RSRC2:SCRATCH_EN: 0
; COMPUTE_PGM_RSRC2:USER_SGPR: 6
; COMPUTE_PGM_RSRC2:TRAP_HANDLER: 0
; COMPUTE_PGM_RSRC2:TGID_X_EN: 1
; COMPUTE_PGM_RSRC2:TGID_Y_EN: 1
; COMPUTE_PGM_RSRC2:TGID_Z_EN: 1
; COMPUTE_PGM_RSRC2:TIDIG_COMP_CNT: 1
	.section	.text._ZL32rocblas_syrkx_herkx_small_kernelIlfLi16ELb0ELb0ELc84ELc85EKPKfKPfEviT_T0_PT6_S5_lS8_S5_lS6_PT7_S5_li,"axG",@progbits,_ZL32rocblas_syrkx_herkx_small_kernelIlfLi16ELb0ELb0ELc84ELc85EKPKfKPfEviT_T0_PT6_S5_lS8_S5_lS6_PT7_S5_li,comdat
	.globl	_ZL32rocblas_syrkx_herkx_small_kernelIlfLi16ELb0ELb0ELc84ELc85EKPKfKPfEviT_T0_PT6_S5_lS8_S5_lS6_PT7_S5_li ; -- Begin function _ZL32rocblas_syrkx_herkx_small_kernelIlfLi16ELb0ELb0ELc84ELc85EKPKfKPfEviT_T0_PT6_S5_lS8_S5_lS6_PT7_S5_li
	.p2align	8
	.type	_ZL32rocblas_syrkx_herkx_small_kernelIlfLi16ELb0ELb0ELc84ELc85EKPKfKPfEviT_T0_PT6_S5_lS8_S5_lS6_PT7_S5_li,@function
_ZL32rocblas_syrkx_herkx_small_kernelIlfLi16ELb0ELb0ELc84ELc85EKPKfKPfEviT_T0_PT6_S5_lS8_S5_lS6_PT7_S5_li: ; @_ZL32rocblas_syrkx_herkx_small_kernelIlfLi16ELb0ELb0ELc84ELc85EKPKfKPfEviT_T0_PT6_S5_lS8_S5_lS6_PT7_S5_li
; %bb.0:
	s_load_dwordx4 s[12:15], s[4:5], 0x50
	s_load_dword s18, s[4:5], 0x0
	s_load_dwordx2 s[10:11], s[4:5], 0x8
	s_mov_b32 s9, 0
	s_lshl_b64 s[16:17], s[8:9], 3
	s_waitcnt lgkmcnt(0)
	s_add_u32 s0, s12, s16
	s_addc_u32 s1, s13, s17
	s_load_dwordx2 s[8:9], s[0:1], 0x0
	v_cmp_lt_i64_e64 s[0:1], s[10:11], 1
	v_lshl_add_u32 v2, s6, 4, v0
	v_lshl_add_u32 v8, s7, 4, v1
	s_and_b64 vcc, exec, s[0:1]
	v_ashrrev_i32_e32 v3, 31, v2
	v_cmp_gt_i32_e64 s[0:1], s18, v8
	v_ashrrev_i32_e32 v10, 31, v8
	s_cbranch_vccnz .LBB1445_7
; %bb.1:
	s_load_dwordx4 s[20:23], s[4:5], 0x30
	s_load_dwordx4 s[24:27], s[4:5], 0x18
	v_lshlrev_b32_e32 v6, 6, v1
	v_lshlrev_b32_e32 v11, 2, v0
	v_add_u32_e32 v12, v11, v6
	s_waitcnt lgkmcnt(0)
	s_add_u32 s6, s20, s16
	s_addc_u32 s7, s21, s17
	s_add_u32 s12, s24, s16
	s_addc_u32 s13, s25, s17
	v_mul_lo_u32 v7, s23, v8
	v_mul_lo_u32 v15, s22, v10
	v_mad_u64_u32 v[4:5], s[16:17], s22, v8, 0
	s_load_dwordx2 s[6:7], s[6:7], 0x0
	v_add_u32_e32 v13, 0x400, v6
	v_add3_u32 v5, v5, v15, v7
	v_mul_lo_u32 v16, s27, v2
	v_mul_lo_u32 v17, s26, v3
	v_mad_u64_u32 v[6:7], s[16:17], s26, v2, 0
	v_lshlrev_b64 v[4:5], 2, v[4:5]
	s_load_dwordx2 s[12:13], s[12:13], 0x0
	v_add_co_u32_e32 v4, vcc, v4, v11
	v_addc_co_u32_e32 v5, vcc, 0, v5, vcc
	v_add3_u32 v7, v7, v17, v16
	s_waitcnt lgkmcnt(0)
	v_mov_b32_e32 v15, s7
	v_add_co_u32_e32 v4, vcc, s6, v4
	v_lshlrev_b64 v[6:7], 2, v[6:7]
	v_addc_co_u32_e32 v5, vcc, v15, v5, vcc
	v_lshlrev_b32_e32 v15, 2, v1
	v_add_co_u32_e32 v6, vcc, v6, v15
	v_addc_co_u32_e32 v7, vcc, 0, v7, vcc
	v_mov_b32_e32 v15, s13
	v_add_co_u32_e32 v6, vcc, s12, v6
	v_mov_b32_e32 v9, 0
	v_cmp_gt_i32_e64 s[2:3], s18, v2
	v_add_u32_e32 v14, v13, v11
	v_addc_co_u32_e32 v7, vcc, v15, v7, vcc
	s_mov_b64 s[12:13], 0
	s_branch .LBB1445_3
.LBB1445_2:                             ;   in Loop: Header=BB1445_3 Depth=1
	s_or_b64 exec, exec, s[6:7]
	s_waitcnt vmcnt(0) lgkmcnt(0)
	ds_write_b32 v14, v15
	s_waitcnt lgkmcnt(0)
	s_barrier
	ds_read2_b32 v[23:24], v11 offset1:16
	ds_read_b128 v[15:18], v13
	ds_read2_b32 v[25:26], v11 offset0:32 offset1:48
	ds_read_b128 v[19:22], v13 offset:16
	s_add_u32 s12, s12, 16
	v_add_co_u32_e32 v4, vcc, 64, v4
	s_waitcnt lgkmcnt(2)
	v_fmac_f32_e32 v9, v23, v15
	v_fmac_f32_e32 v9, v24, v16
	ds_read2_b32 v[23:24], v11 offset0:64 offset1:80
	s_waitcnt lgkmcnt(2)
	v_fmac_f32_e32 v9, v25, v17
	v_fmac_f32_e32 v9, v26, v18
	ds_read2_b32 v[25:26], v11 offset0:96 offset1:112
	ds_read_b128 v[15:18], v13 offset:32
	s_addc_u32 s13, s13, 0
	s_waitcnt lgkmcnt(2)
	v_fmac_f32_e32 v9, v23, v19
	v_fmac_f32_e32 v9, v24, v20
	ds_read2_b32 v[23:24], v11 offset0:128 offset1:144
	s_waitcnt lgkmcnt(2)
	v_fmac_f32_e32 v9, v25, v21
	v_fmac_f32_e32 v9, v26, v22
	ds_read2_b32 v[25:26], v11 offset0:160 offset1:176
	ds_read_b128 v[19:22], v13 offset:48
	v_addc_co_u32_e32 v5, vcc, 0, v5, vcc
	s_waitcnt lgkmcnt(2)
	v_fmac_f32_e32 v9, v23, v15
	v_fmac_f32_e32 v9, v24, v16
	ds_read2_b32 v[15:16], v11 offset0:192 offset1:208
	s_waitcnt lgkmcnt(2)
	v_fmac_f32_e32 v9, v25, v17
	v_fmac_f32_e32 v9, v26, v18
	ds_read2_b32 v[17:18], v11 offset0:224 offset1:240
	v_add_co_u32_e64 v6, s[6:7], 64, v6
	s_waitcnt lgkmcnt(1)
	v_fmac_f32_e32 v9, v15, v19
	v_fmac_f32_e32 v9, v16, v20
	v_mov_b32_e32 v16, s11
	v_mov_b32_e32 v15, s10
	v_cmp_ge_i64_e32 vcc, s[12:13], v[15:16]
	s_waitcnt lgkmcnt(0)
	v_fmac_f32_e32 v9, v17, v21
	v_fmac_f32_e32 v9, v18, v22
	v_addc_co_u32_e64 v7, s[6:7], 0, v7, s[6:7]
	s_barrier
	s_cbranch_vccnz .LBB1445_8
.LBB1445_3:                             ; =>This Inner Loop Header: Depth=1
	v_mov_b32_e32 v16, s13
	v_add_co_u32_e32 v15, vcc, s12, v1
	v_addc_co_u32_e32 v16, vcc, 0, v16, vcc
	v_cmp_gt_i64_e32 vcc, s[10:11], v[15:16]
	v_mov_b32_e32 v15, 0
	s_and_b64 s[16:17], s[2:3], vcc
	s_and_saveexec_b64 s[6:7], s[16:17]
	s_cbranch_execz .LBB1445_5
; %bb.4:                                ;   in Loop: Header=BB1445_3 Depth=1
	flat_load_dword v15, v[6:7]
.LBB1445_5:                             ;   in Loop: Header=BB1445_3 Depth=1
	s_or_b64 exec, exec, s[6:7]
	v_mov_b32_e32 v17, s13
	v_add_co_u32_e32 v16, vcc, s12, v0
	v_addc_co_u32_e32 v17, vcc, 0, v17, vcc
	v_cmp_gt_i64_e32 vcc, s[10:11], v[16:17]
	s_waitcnt vmcnt(0) lgkmcnt(0)
	ds_write_b32 v12, v15
	s_and_b64 s[16:17], s[0:1], vcc
	v_mov_b32_e32 v15, 0
	s_and_saveexec_b64 s[6:7], s[16:17]
	s_cbranch_execz .LBB1445_2
; %bb.6:                                ;   in Loop: Header=BB1445_3 Depth=1
	flat_load_dword v15, v[4:5]
	s_branch .LBB1445_2
.LBB1445_7:
	v_mov_b32_e32 v9, 0
.LBB1445_8:
	v_cmp_le_i32_e32 vcc, v2, v8
	v_cmp_gt_i32_e64 s[0:1], s18, v8
	s_and_b64 s[0:1], vcc, s[0:1]
	s_and_saveexec_b64 s[2:3], s[0:1]
	s_cbranch_execz .LBB1445_10
; %bb.9:
	v_mul_lo_u32 v4, s15, v8
	v_mul_lo_u32 v5, s14, v10
	v_mad_u64_u32 v[0:1], s[0:1], s14, v8, 0
	v_add3_u32 v1, v1, v5, v4
	v_lshlrev_b64 v[0:1], 2, v[0:1]
	s_waitcnt lgkmcnt(0)
	v_mov_b32_e32 v4, s9
	v_add_co_u32_e32 v5, vcc, s8, v0
	v_addc_co_u32_e32 v4, vcc, v4, v1, vcc
	v_lshlrev_b64 v[0:1], 2, v[2:3]
	v_add_co_u32_e32 v0, vcc, v5, v0
	v_addc_co_u32_e32 v1, vcc, v4, v1, vcc
	flat_load_dword v2, v[0:1]
	s_load_dword s0, s[4:5], 0x48
	s_load_dword s1, s[4:5], 0x10
	s_waitcnt vmcnt(0) lgkmcnt(0)
	v_mul_f32_e32 v2, s0, v2
	v_fmac_f32_e32 v2, s1, v9
	flat_store_dword v[0:1], v2
.LBB1445_10:
	s_endpgm
	.section	.rodata,"a",@progbits
	.p2align	6, 0x0
	.amdhsa_kernel _ZL32rocblas_syrkx_herkx_small_kernelIlfLi16ELb0ELb0ELc84ELc85EKPKfKPfEviT_T0_PT6_S5_lS8_S5_lS6_PT7_S5_li
		.amdhsa_group_segment_fixed_size 2048
		.amdhsa_private_segment_fixed_size 0
		.amdhsa_kernarg_size 108
		.amdhsa_user_sgpr_count 6
		.amdhsa_user_sgpr_private_segment_buffer 1
		.amdhsa_user_sgpr_dispatch_ptr 0
		.amdhsa_user_sgpr_queue_ptr 0
		.amdhsa_user_sgpr_kernarg_segment_ptr 1
		.amdhsa_user_sgpr_dispatch_id 0
		.amdhsa_user_sgpr_flat_scratch_init 0
		.amdhsa_user_sgpr_private_segment_size 0
		.amdhsa_uses_dynamic_stack 0
		.amdhsa_system_sgpr_private_segment_wavefront_offset 0
		.amdhsa_system_sgpr_workgroup_id_x 1
		.amdhsa_system_sgpr_workgroup_id_y 1
		.amdhsa_system_sgpr_workgroup_id_z 1
		.amdhsa_system_sgpr_workgroup_info 0
		.amdhsa_system_vgpr_workitem_id 1
		.amdhsa_next_free_vgpr 27
		.amdhsa_next_free_sgpr 28
		.amdhsa_reserve_vcc 1
		.amdhsa_reserve_flat_scratch 0
		.amdhsa_float_round_mode_32 0
		.amdhsa_float_round_mode_16_64 0
		.amdhsa_float_denorm_mode_32 3
		.amdhsa_float_denorm_mode_16_64 3
		.amdhsa_dx10_clamp 1
		.amdhsa_ieee_mode 1
		.amdhsa_fp16_overflow 0
		.amdhsa_exception_fp_ieee_invalid_op 0
		.amdhsa_exception_fp_denorm_src 0
		.amdhsa_exception_fp_ieee_div_zero 0
		.amdhsa_exception_fp_ieee_overflow 0
		.amdhsa_exception_fp_ieee_underflow 0
		.amdhsa_exception_fp_ieee_inexact 0
		.amdhsa_exception_int_div_zero 0
	.end_amdhsa_kernel
	.section	.text._ZL32rocblas_syrkx_herkx_small_kernelIlfLi16ELb0ELb0ELc84ELc85EKPKfKPfEviT_T0_PT6_S5_lS8_S5_lS6_PT7_S5_li,"axG",@progbits,_ZL32rocblas_syrkx_herkx_small_kernelIlfLi16ELb0ELb0ELc84ELc85EKPKfKPfEviT_T0_PT6_S5_lS8_S5_lS6_PT7_S5_li,comdat
.Lfunc_end1445:
	.size	_ZL32rocblas_syrkx_herkx_small_kernelIlfLi16ELb0ELb0ELc84ELc85EKPKfKPfEviT_T0_PT6_S5_lS8_S5_lS6_PT7_S5_li, .Lfunc_end1445-_ZL32rocblas_syrkx_herkx_small_kernelIlfLi16ELb0ELb0ELc84ELc85EKPKfKPfEviT_T0_PT6_S5_lS8_S5_lS6_PT7_S5_li
                                        ; -- End function
	.set _ZL32rocblas_syrkx_herkx_small_kernelIlfLi16ELb0ELb0ELc84ELc85EKPKfKPfEviT_T0_PT6_S5_lS8_S5_lS6_PT7_S5_li.num_vgpr, 27
	.set _ZL32rocblas_syrkx_herkx_small_kernelIlfLi16ELb0ELb0ELc84ELc85EKPKfKPfEviT_T0_PT6_S5_lS8_S5_lS6_PT7_S5_li.num_agpr, 0
	.set _ZL32rocblas_syrkx_herkx_small_kernelIlfLi16ELb0ELb0ELc84ELc85EKPKfKPfEviT_T0_PT6_S5_lS8_S5_lS6_PT7_S5_li.numbered_sgpr, 28
	.set _ZL32rocblas_syrkx_herkx_small_kernelIlfLi16ELb0ELb0ELc84ELc85EKPKfKPfEviT_T0_PT6_S5_lS8_S5_lS6_PT7_S5_li.num_named_barrier, 0
	.set _ZL32rocblas_syrkx_herkx_small_kernelIlfLi16ELb0ELb0ELc84ELc85EKPKfKPfEviT_T0_PT6_S5_lS8_S5_lS6_PT7_S5_li.private_seg_size, 0
	.set _ZL32rocblas_syrkx_herkx_small_kernelIlfLi16ELb0ELb0ELc84ELc85EKPKfKPfEviT_T0_PT6_S5_lS8_S5_lS6_PT7_S5_li.uses_vcc, 1
	.set _ZL32rocblas_syrkx_herkx_small_kernelIlfLi16ELb0ELb0ELc84ELc85EKPKfKPfEviT_T0_PT6_S5_lS8_S5_lS6_PT7_S5_li.uses_flat_scratch, 0
	.set _ZL32rocblas_syrkx_herkx_small_kernelIlfLi16ELb0ELb0ELc84ELc85EKPKfKPfEviT_T0_PT6_S5_lS8_S5_lS6_PT7_S5_li.has_dyn_sized_stack, 0
	.set _ZL32rocblas_syrkx_herkx_small_kernelIlfLi16ELb0ELb0ELc84ELc85EKPKfKPfEviT_T0_PT6_S5_lS8_S5_lS6_PT7_S5_li.has_recursion, 0
	.set _ZL32rocblas_syrkx_herkx_small_kernelIlfLi16ELb0ELb0ELc84ELc85EKPKfKPfEviT_T0_PT6_S5_lS8_S5_lS6_PT7_S5_li.has_indirect_call, 0
	.section	.AMDGPU.csdata,"",@progbits
; Kernel info:
; codeLenInByte = 840
; TotalNumSgprs: 32
; NumVgprs: 27
; ScratchSize: 0
; MemoryBound: 0
; FloatMode: 240
; IeeeMode: 1
; LDSByteSize: 2048 bytes/workgroup (compile time only)
; SGPRBlocks: 3
; VGPRBlocks: 6
; NumSGPRsForWavesPerEU: 32
; NumVGPRsForWavesPerEU: 27
; Occupancy: 9
; WaveLimiterHint : 1
; COMPUTE_PGM_RSRC2:SCRATCH_EN: 0
; COMPUTE_PGM_RSRC2:USER_SGPR: 6
; COMPUTE_PGM_RSRC2:TRAP_HANDLER: 0
; COMPUTE_PGM_RSRC2:TGID_X_EN: 1
; COMPUTE_PGM_RSRC2:TGID_Y_EN: 1
; COMPUTE_PGM_RSRC2:TGID_Z_EN: 1
; COMPUTE_PGM_RSRC2:TIDIG_COMP_CNT: 1
	.section	.text._ZL32rocblas_syrkx_herkx_small_kernelIlfLi16ELb0ELb0ELc67ELc85EKPKfKPfEviT_T0_PT6_S5_lS8_S5_lS6_PT7_S5_li,"axG",@progbits,_ZL32rocblas_syrkx_herkx_small_kernelIlfLi16ELb0ELb0ELc67ELc85EKPKfKPfEviT_T0_PT6_S5_lS8_S5_lS6_PT7_S5_li,comdat
	.globl	_ZL32rocblas_syrkx_herkx_small_kernelIlfLi16ELb0ELb0ELc67ELc85EKPKfKPfEviT_T0_PT6_S5_lS8_S5_lS6_PT7_S5_li ; -- Begin function _ZL32rocblas_syrkx_herkx_small_kernelIlfLi16ELb0ELb0ELc67ELc85EKPKfKPfEviT_T0_PT6_S5_lS8_S5_lS6_PT7_S5_li
	.p2align	8
	.type	_ZL32rocblas_syrkx_herkx_small_kernelIlfLi16ELb0ELb0ELc67ELc85EKPKfKPfEviT_T0_PT6_S5_lS8_S5_lS6_PT7_S5_li,@function
_ZL32rocblas_syrkx_herkx_small_kernelIlfLi16ELb0ELb0ELc67ELc85EKPKfKPfEviT_T0_PT6_S5_lS8_S5_lS6_PT7_S5_li: ; @_ZL32rocblas_syrkx_herkx_small_kernelIlfLi16ELb0ELb0ELc67ELc85EKPKfKPfEviT_T0_PT6_S5_lS8_S5_lS6_PT7_S5_li
; %bb.0:
	s_load_dwordx4 s[12:15], s[4:5], 0x50
	s_load_dword s18, s[4:5], 0x0
	s_load_dwordx2 s[10:11], s[4:5], 0x8
	s_mov_b32 s9, 0
	s_lshl_b64 s[16:17], s[8:9], 3
	s_waitcnt lgkmcnt(0)
	s_add_u32 s0, s12, s16
	s_addc_u32 s1, s13, s17
	s_load_dwordx2 s[8:9], s[0:1], 0x0
	v_cmp_lt_i64_e64 s[0:1], s[10:11], 1
	v_lshl_add_u32 v2, s6, 4, v0
	v_lshl_add_u32 v8, s7, 4, v1
	s_and_b64 vcc, exec, s[0:1]
	v_ashrrev_i32_e32 v3, 31, v2
	v_cmp_gt_i32_e64 s[0:1], s18, v8
	v_ashrrev_i32_e32 v10, 31, v8
	s_cbranch_vccnz .LBB1446_7
; %bb.1:
	s_load_dwordx4 s[20:23], s[4:5], 0x30
	s_load_dwordx4 s[24:27], s[4:5], 0x18
	v_lshlrev_b32_e32 v6, 6, v1
	v_lshlrev_b32_e32 v11, 2, v0
	v_add_u32_e32 v12, v11, v6
	s_waitcnt lgkmcnt(0)
	s_add_u32 s6, s20, s16
	s_addc_u32 s7, s21, s17
	s_add_u32 s12, s24, s16
	s_addc_u32 s13, s25, s17
	v_mul_lo_u32 v7, s23, v8
	v_mul_lo_u32 v15, s22, v10
	v_mad_u64_u32 v[4:5], s[16:17], s22, v8, 0
	s_load_dwordx2 s[6:7], s[6:7], 0x0
	v_add_u32_e32 v13, 0x400, v6
	v_add3_u32 v5, v5, v15, v7
	v_mul_lo_u32 v16, s27, v2
	v_mul_lo_u32 v17, s26, v3
	v_mad_u64_u32 v[6:7], s[16:17], s26, v2, 0
	v_lshlrev_b64 v[4:5], 2, v[4:5]
	s_load_dwordx2 s[12:13], s[12:13], 0x0
	v_add_co_u32_e32 v4, vcc, v4, v11
	v_addc_co_u32_e32 v5, vcc, 0, v5, vcc
	v_add3_u32 v7, v7, v17, v16
	s_waitcnt lgkmcnt(0)
	v_mov_b32_e32 v15, s7
	v_add_co_u32_e32 v4, vcc, s6, v4
	v_lshlrev_b64 v[6:7], 2, v[6:7]
	v_addc_co_u32_e32 v5, vcc, v15, v5, vcc
	v_lshlrev_b32_e32 v15, 2, v1
	v_add_co_u32_e32 v6, vcc, v6, v15
	v_addc_co_u32_e32 v7, vcc, 0, v7, vcc
	v_mov_b32_e32 v15, s13
	v_add_co_u32_e32 v6, vcc, s12, v6
	v_mov_b32_e32 v9, 0
	v_cmp_gt_i32_e64 s[2:3], s18, v2
	v_add_u32_e32 v14, v13, v11
	v_addc_co_u32_e32 v7, vcc, v15, v7, vcc
	s_mov_b64 s[12:13], 0
	s_branch .LBB1446_3
.LBB1446_2:                             ;   in Loop: Header=BB1446_3 Depth=1
	s_or_b64 exec, exec, s[6:7]
	s_waitcnt vmcnt(0) lgkmcnt(0)
	ds_write_b32 v14, v15
	s_waitcnt lgkmcnt(0)
	s_barrier
	ds_read2_b32 v[23:24], v11 offset1:16
	ds_read_b128 v[15:18], v13
	ds_read2_b32 v[25:26], v11 offset0:32 offset1:48
	ds_read_b128 v[19:22], v13 offset:16
	s_add_u32 s12, s12, 16
	v_add_co_u32_e32 v4, vcc, 64, v4
	s_waitcnt lgkmcnt(2)
	v_fmac_f32_e32 v9, v23, v15
	v_fmac_f32_e32 v9, v24, v16
	ds_read2_b32 v[23:24], v11 offset0:64 offset1:80
	s_waitcnt lgkmcnt(2)
	v_fmac_f32_e32 v9, v25, v17
	v_fmac_f32_e32 v9, v26, v18
	ds_read2_b32 v[25:26], v11 offset0:96 offset1:112
	ds_read_b128 v[15:18], v13 offset:32
	s_addc_u32 s13, s13, 0
	s_waitcnt lgkmcnt(2)
	v_fmac_f32_e32 v9, v23, v19
	v_fmac_f32_e32 v9, v24, v20
	ds_read2_b32 v[23:24], v11 offset0:128 offset1:144
	s_waitcnt lgkmcnt(2)
	v_fmac_f32_e32 v9, v25, v21
	v_fmac_f32_e32 v9, v26, v22
	ds_read2_b32 v[25:26], v11 offset0:160 offset1:176
	ds_read_b128 v[19:22], v13 offset:48
	v_addc_co_u32_e32 v5, vcc, 0, v5, vcc
	s_waitcnt lgkmcnt(2)
	v_fmac_f32_e32 v9, v23, v15
	v_fmac_f32_e32 v9, v24, v16
	ds_read2_b32 v[15:16], v11 offset0:192 offset1:208
	s_waitcnt lgkmcnt(2)
	v_fmac_f32_e32 v9, v25, v17
	v_fmac_f32_e32 v9, v26, v18
	ds_read2_b32 v[17:18], v11 offset0:224 offset1:240
	v_add_co_u32_e64 v6, s[6:7], 64, v6
	s_waitcnt lgkmcnt(1)
	v_fmac_f32_e32 v9, v15, v19
	v_fmac_f32_e32 v9, v16, v20
	v_mov_b32_e32 v16, s11
	v_mov_b32_e32 v15, s10
	v_cmp_ge_i64_e32 vcc, s[12:13], v[15:16]
	s_waitcnt lgkmcnt(0)
	v_fmac_f32_e32 v9, v17, v21
	v_fmac_f32_e32 v9, v18, v22
	v_addc_co_u32_e64 v7, s[6:7], 0, v7, s[6:7]
	s_barrier
	s_cbranch_vccnz .LBB1446_8
.LBB1446_3:                             ; =>This Inner Loop Header: Depth=1
	v_mov_b32_e32 v16, s13
	v_add_co_u32_e32 v15, vcc, s12, v1
	v_addc_co_u32_e32 v16, vcc, 0, v16, vcc
	v_cmp_gt_i64_e32 vcc, s[10:11], v[15:16]
	v_mov_b32_e32 v15, 0
	s_and_b64 s[16:17], s[2:3], vcc
	s_and_saveexec_b64 s[6:7], s[16:17]
	s_cbranch_execz .LBB1446_5
; %bb.4:                                ;   in Loop: Header=BB1446_3 Depth=1
	flat_load_dword v15, v[6:7]
.LBB1446_5:                             ;   in Loop: Header=BB1446_3 Depth=1
	s_or_b64 exec, exec, s[6:7]
	v_mov_b32_e32 v17, s13
	v_add_co_u32_e32 v16, vcc, s12, v0
	v_addc_co_u32_e32 v17, vcc, 0, v17, vcc
	v_cmp_gt_i64_e32 vcc, s[10:11], v[16:17]
	s_waitcnt vmcnt(0) lgkmcnt(0)
	ds_write_b32 v12, v15
	s_and_b64 s[16:17], s[0:1], vcc
	v_mov_b32_e32 v15, 0
	s_and_saveexec_b64 s[6:7], s[16:17]
	s_cbranch_execz .LBB1446_2
; %bb.6:                                ;   in Loop: Header=BB1446_3 Depth=1
	flat_load_dword v15, v[4:5]
	s_branch .LBB1446_2
.LBB1446_7:
	v_mov_b32_e32 v9, 0
.LBB1446_8:
	v_cmp_le_i32_e32 vcc, v2, v8
	v_cmp_gt_i32_e64 s[0:1], s18, v8
	s_and_b64 s[0:1], vcc, s[0:1]
	s_and_saveexec_b64 s[2:3], s[0:1]
	s_cbranch_execz .LBB1446_10
; %bb.9:
	v_mul_lo_u32 v4, s15, v8
	v_mul_lo_u32 v5, s14, v10
	v_mad_u64_u32 v[0:1], s[0:1], s14, v8, 0
	v_add3_u32 v1, v1, v5, v4
	v_lshlrev_b64 v[0:1], 2, v[0:1]
	s_waitcnt lgkmcnt(0)
	v_mov_b32_e32 v4, s9
	v_add_co_u32_e32 v5, vcc, s8, v0
	v_addc_co_u32_e32 v4, vcc, v4, v1, vcc
	v_lshlrev_b64 v[0:1], 2, v[2:3]
	v_add_co_u32_e32 v0, vcc, v5, v0
	v_addc_co_u32_e32 v1, vcc, v4, v1, vcc
	flat_load_dword v2, v[0:1]
	s_load_dword s0, s[4:5], 0x48
	s_load_dword s1, s[4:5], 0x10
	s_waitcnt vmcnt(0) lgkmcnt(0)
	v_mul_f32_e32 v2, s0, v2
	v_fmac_f32_e32 v2, s1, v9
	flat_store_dword v[0:1], v2
.LBB1446_10:
	s_endpgm
	.section	.rodata,"a",@progbits
	.p2align	6, 0x0
	.amdhsa_kernel _ZL32rocblas_syrkx_herkx_small_kernelIlfLi16ELb0ELb0ELc67ELc85EKPKfKPfEviT_T0_PT6_S5_lS8_S5_lS6_PT7_S5_li
		.amdhsa_group_segment_fixed_size 2048
		.amdhsa_private_segment_fixed_size 0
		.amdhsa_kernarg_size 108
		.amdhsa_user_sgpr_count 6
		.amdhsa_user_sgpr_private_segment_buffer 1
		.amdhsa_user_sgpr_dispatch_ptr 0
		.amdhsa_user_sgpr_queue_ptr 0
		.amdhsa_user_sgpr_kernarg_segment_ptr 1
		.amdhsa_user_sgpr_dispatch_id 0
		.amdhsa_user_sgpr_flat_scratch_init 0
		.amdhsa_user_sgpr_private_segment_size 0
		.amdhsa_uses_dynamic_stack 0
		.amdhsa_system_sgpr_private_segment_wavefront_offset 0
		.amdhsa_system_sgpr_workgroup_id_x 1
		.amdhsa_system_sgpr_workgroup_id_y 1
		.amdhsa_system_sgpr_workgroup_id_z 1
		.amdhsa_system_sgpr_workgroup_info 0
		.amdhsa_system_vgpr_workitem_id 1
		.amdhsa_next_free_vgpr 27
		.amdhsa_next_free_sgpr 28
		.amdhsa_reserve_vcc 1
		.amdhsa_reserve_flat_scratch 0
		.amdhsa_float_round_mode_32 0
		.amdhsa_float_round_mode_16_64 0
		.amdhsa_float_denorm_mode_32 3
		.amdhsa_float_denorm_mode_16_64 3
		.amdhsa_dx10_clamp 1
		.amdhsa_ieee_mode 1
		.amdhsa_fp16_overflow 0
		.amdhsa_exception_fp_ieee_invalid_op 0
		.amdhsa_exception_fp_denorm_src 0
		.amdhsa_exception_fp_ieee_div_zero 0
		.amdhsa_exception_fp_ieee_overflow 0
		.amdhsa_exception_fp_ieee_underflow 0
		.amdhsa_exception_fp_ieee_inexact 0
		.amdhsa_exception_int_div_zero 0
	.end_amdhsa_kernel
	.section	.text._ZL32rocblas_syrkx_herkx_small_kernelIlfLi16ELb0ELb0ELc67ELc85EKPKfKPfEviT_T0_PT6_S5_lS8_S5_lS6_PT7_S5_li,"axG",@progbits,_ZL32rocblas_syrkx_herkx_small_kernelIlfLi16ELb0ELb0ELc67ELc85EKPKfKPfEviT_T0_PT6_S5_lS8_S5_lS6_PT7_S5_li,comdat
.Lfunc_end1446:
	.size	_ZL32rocblas_syrkx_herkx_small_kernelIlfLi16ELb0ELb0ELc67ELc85EKPKfKPfEviT_T0_PT6_S5_lS8_S5_lS6_PT7_S5_li, .Lfunc_end1446-_ZL32rocblas_syrkx_herkx_small_kernelIlfLi16ELb0ELb0ELc67ELc85EKPKfKPfEviT_T0_PT6_S5_lS8_S5_lS6_PT7_S5_li
                                        ; -- End function
	.set _ZL32rocblas_syrkx_herkx_small_kernelIlfLi16ELb0ELb0ELc67ELc85EKPKfKPfEviT_T0_PT6_S5_lS8_S5_lS6_PT7_S5_li.num_vgpr, 27
	.set _ZL32rocblas_syrkx_herkx_small_kernelIlfLi16ELb0ELb0ELc67ELc85EKPKfKPfEviT_T0_PT6_S5_lS8_S5_lS6_PT7_S5_li.num_agpr, 0
	.set _ZL32rocblas_syrkx_herkx_small_kernelIlfLi16ELb0ELb0ELc67ELc85EKPKfKPfEviT_T0_PT6_S5_lS8_S5_lS6_PT7_S5_li.numbered_sgpr, 28
	.set _ZL32rocblas_syrkx_herkx_small_kernelIlfLi16ELb0ELb0ELc67ELc85EKPKfKPfEviT_T0_PT6_S5_lS8_S5_lS6_PT7_S5_li.num_named_barrier, 0
	.set _ZL32rocblas_syrkx_herkx_small_kernelIlfLi16ELb0ELb0ELc67ELc85EKPKfKPfEviT_T0_PT6_S5_lS8_S5_lS6_PT7_S5_li.private_seg_size, 0
	.set _ZL32rocblas_syrkx_herkx_small_kernelIlfLi16ELb0ELb0ELc67ELc85EKPKfKPfEviT_T0_PT6_S5_lS8_S5_lS6_PT7_S5_li.uses_vcc, 1
	.set _ZL32rocblas_syrkx_herkx_small_kernelIlfLi16ELb0ELb0ELc67ELc85EKPKfKPfEviT_T0_PT6_S5_lS8_S5_lS6_PT7_S5_li.uses_flat_scratch, 0
	.set _ZL32rocblas_syrkx_herkx_small_kernelIlfLi16ELb0ELb0ELc67ELc85EKPKfKPfEviT_T0_PT6_S5_lS8_S5_lS6_PT7_S5_li.has_dyn_sized_stack, 0
	.set _ZL32rocblas_syrkx_herkx_small_kernelIlfLi16ELb0ELb0ELc67ELc85EKPKfKPfEviT_T0_PT6_S5_lS8_S5_lS6_PT7_S5_li.has_recursion, 0
	.set _ZL32rocblas_syrkx_herkx_small_kernelIlfLi16ELb0ELb0ELc67ELc85EKPKfKPfEviT_T0_PT6_S5_lS8_S5_lS6_PT7_S5_li.has_indirect_call, 0
	.section	.AMDGPU.csdata,"",@progbits
; Kernel info:
; codeLenInByte = 840
; TotalNumSgprs: 32
; NumVgprs: 27
; ScratchSize: 0
; MemoryBound: 0
; FloatMode: 240
; IeeeMode: 1
; LDSByteSize: 2048 bytes/workgroup (compile time only)
; SGPRBlocks: 3
; VGPRBlocks: 6
; NumSGPRsForWavesPerEU: 32
; NumVGPRsForWavesPerEU: 27
; Occupancy: 9
; WaveLimiterHint : 1
; COMPUTE_PGM_RSRC2:SCRATCH_EN: 0
; COMPUTE_PGM_RSRC2:USER_SGPR: 6
; COMPUTE_PGM_RSRC2:TRAP_HANDLER: 0
; COMPUTE_PGM_RSRC2:TGID_X_EN: 1
; COMPUTE_PGM_RSRC2:TGID_Y_EN: 1
; COMPUTE_PGM_RSRC2:TGID_Z_EN: 1
; COMPUTE_PGM_RSRC2:TIDIG_COMP_CNT: 1
	.section	.text._ZL32rocblas_syrkx_herkx_small_kernelIlfLi16ELb0ELb0ELc78ELc85EKPKfKPfEviT_T0_PT6_S5_lS8_S5_lS6_PT7_S5_li,"axG",@progbits,_ZL32rocblas_syrkx_herkx_small_kernelIlfLi16ELb0ELb0ELc78ELc85EKPKfKPfEviT_T0_PT6_S5_lS8_S5_lS6_PT7_S5_li,comdat
	.globl	_ZL32rocblas_syrkx_herkx_small_kernelIlfLi16ELb0ELb0ELc78ELc85EKPKfKPfEviT_T0_PT6_S5_lS8_S5_lS6_PT7_S5_li ; -- Begin function _ZL32rocblas_syrkx_herkx_small_kernelIlfLi16ELb0ELb0ELc78ELc85EKPKfKPfEviT_T0_PT6_S5_lS8_S5_lS6_PT7_S5_li
	.p2align	8
	.type	_ZL32rocblas_syrkx_herkx_small_kernelIlfLi16ELb0ELb0ELc78ELc85EKPKfKPfEviT_T0_PT6_S5_lS8_S5_lS6_PT7_S5_li,@function
_ZL32rocblas_syrkx_herkx_small_kernelIlfLi16ELb0ELb0ELc78ELc85EKPKfKPfEviT_T0_PT6_S5_lS8_S5_lS6_PT7_S5_li: ; @_ZL32rocblas_syrkx_herkx_small_kernelIlfLi16ELb0ELb0ELc78ELc85EKPKfKPfEviT_T0_PT6_S5_lS8_S5_lS6_PT7_S5_li
; %bb.0:
	s_load_dwordx4 s[12:15], s[4:5], 0x50
	s_load_dword s22, s[4:5], 0x0
	s_load_dwordx2 s[20:21], s[4:5], 0x8
	s_mov_b32 s9, 0
	s_lshl_b64 s[2:3], s[8:9], 3
	s_waitcnt lgkmcnt(0)
	s_add_u32 s0, s12, s2
	s_addc_u32 s1, s13, s3
	s_load_dwordx2 s[12:13], s[0:1], 0x0
	v_cmp_lt_i64_e64 s[0:1], s[20:21], 1
	v_lshl_add_u32 v2, s6, 4, v0
	v_lshl_add_u32 v4, s7, 4, v1
	s_and_b64 vcc, exec, s[0:1]
	v_ashrrev_i32_e32 v3, 31, v2
	v_cmp_gt_i32_e64 s[0:1], s22, v4
	v_ashrrev_i32_e32 v5, 31, v4
	s_cbranch_vccnz .LBB1447_7
; %bb.1:
	s_load_dwordx4 s[16:19], s[4:5], 0x30
	s_load_dwordx4 s[8:11], s[4:5], 0x18
	v_lshlrev_b32_e32 v9, 6, v1
	v_lshlrev_b32_e32 v11, 2, v0
	v_add_u32_e32 v12, v11, v9
	s_waitcnt lgkmcnt(0)
	s_add_u32 s6, s16, s2
	s_addc_u32 s7, s17, s3
	s_add_u32 s2, s8, s2
	s_addc_u32 s3, s9, s3
	s_load_dwordx2 s[16:17], s[2:3], 0x0
	v_mad_u64_u32 v[6:7], s[2:3], s18, v0, 0
	v_mad_u64_u32 v[15:16], s[8:9], s10, v1, 0
	;; [unrolled: 1-line block ×3, first 2 shown]
	v_add_u32_e32 v13, 0x400, v9
	v_lshlrev_b64 v[8:9], 2, v[4:5]
	v_lshlrev_b64 v[6:7], 2, v[6:7]
	s_load_dwordx2 s[6:7], s[6:7], 0x0
	v_add_co_u32_e32 v17, vcc, v6, v8
	v_addc_co_u32_e32 v7, vcc, v7, v9, vcc
	v_mov_b32_e32 v6, v16
	v_mad_u64_u32 v[8:9], s[8:9], s11, v1, v[6:7]
	s_waitcnt lgkmcnt(0)
	v_mov_b32_e32 v18, s7
	v_add_co_u32_e32 v6, vcc, s6, v17
	v_mov_b32_e32 v16, v8
	v_lshlrev_b64 v[8:9], 2, v[15:16]
	v_lshlrev_b64 v[15:16], 2, v[2:3]
	v_addc_co_u32_e32 v7, vcc, v18, v7, vcc
	v_add_co_u32_e32 v8, vcc, v8, v15
	v_addc_co_u32_e32 v9, vcc, v9, v16, vcc
	v_mov_b32_e32 v15, s17
	v_add_co_u32_e32 v8, vcc, s16, v8
	v_mov_b32_e32 v10, 0
	v_cmp_gt_i32_e64 s[2:3], s22, v2
	v_add_u32_e32 v14, v13, v11
	s_lshl_b64 s[8:9], s[18:19], 6
	v_addc_co_u32_e32 v9, vcc, v15, v9, vcc
	s_lshl_b64 s[10:11], s[10:11], 6
	s_mov_b64 s[16:17], 0
	s_branch .LBB1447_3
.LBB1447_2:                             ;   in Loop: Header=BB1447_3 Depth=1
	s_or_b64 exec, exec, s[6:7]
	s_waitcnt vmcnt(0) lgkmcnt(0)
	ds_write_b32 v14, v15
	s_waitcnt lgkmcnt(0)
	s_barrier
	ds_read2_b32 v[23:24], v11 offset1:16
	ds_read_b128 v[15:18], v13
	ds_read2_b32 v[25:26], v11 offset0:32 offset1:48
	ds_read_b128 v[19:22], v13 offset:16
	v_add_co_u32_e32 v6, vcc, s8, v6
	s_waitcnt lgkmcnt(2)
	v_fmac_f32_e32 v10, v23, v15
	v_fmac_f32_e32 v10, v24, v16
	ds_read2_b32 v[23:24], v11 offset0:64 offset1:80
	s_waitcnt lgkmcnt(2)
	v_fmac_f32_e32 v10, v25, v17
	v_fmac_f32_e32 v10, v26, v18
	ds_read2_b32 v[25:26], v11 offset0:96 offset1:112
	ds_read_b128 v[15:18], v13 offset:32
	s_add_u32 s16, s16, 16
	s_waitcnt lgkmcnt(2)
	v_fmac_f32_e32 v10, v23, v19
	v_fmac_f32_e32 v10, v24, v20
	ds_read2_b32 v[23:24], v11 offset0:128 offset1:144
	s_waitcnt lgkmcnt(2)
	v_fmac_f32_e32 v10, v25, v21
	v_fmac_f32_e32 v10, v26, v22
	ds_read2_b32 v[25:26], v11 offset0:160 offset1:176
	ds_read_b128 v[19:22], v13 offset:48
	s_addc_u32 s17, s17, 0
	s_waitcnt lgkmcnt(2)
	v_fmac_f32_e32 v10, v23, v15
	v_fmac_f32_e32 v10, v24, v16
	ds_read2_b32 v[15:16], v11 offset0:192 offset1:208
	s_waitcnt lgkmcnt(2)
	v_fmac_f32_e32 v10, v25, v17
	v_fmac_f32_e32 v10, v26, v18
	ds_read2_b32 v[17:18], v11 offset0:224 offset1:240
	v_add_co_u32_e64 v8, s[6:7], s10, v8
	s_waitcnt lgkmcnt(1)
	v_fmac_f32_e32 v10, v15, v19
	v_mov_b32_e32 v15, s9
	v_fmac_f32_e32 v10, v16, v20
	v_addc_co_u32_e32 v7, vcc, v7, v15, vcc
	v_mov_b32_e32 v15, s20
	v_mov_b32_e32 v16, s21
	v_cmp_ge_i64_e32 vcc, s[16:17], v[15:16]
	s_waitcnt lgkmcnt(0)
	v_fmac_f32_e32 v10, v17, v21
	v_mov_b32_e32 v17, s11
	v_fmac_f32_e32 v10, v18, v22
	v_addc_co_u32_e64 v9, s[6:7], v9, v17, s[6:7]
	s_barrier
	s_cbranch_vccnz .LBB1447_8
.LBB1447_3:                             ; =>This Inner Loop Header: Depth=1
	v_mov_b32_e32 v16, s17
	v_add_co_u32_e32 v15, vcc, s16, v1
	v_addc_co_u32_e32 v16, vcc, 0, v16, vcc
	v_cmp_gt_i64_e32 vcc, s[20:21], v[15:16]
	v_mov_b32_e32 v15, 0
	s_and_b64 s[18:19], s[2:3], vcc
	s_and_saveexec_b64 s[6:7], s[18:19]
	s_cbranch_execz .LBB1447_5
; %bb.4:                                ;   in Loop: Header=BB1447_3 Depth=1
	flat_load_dword v15, v[8:9]
.LBB1447_5:                             ;   in Loop: Header=BB1447_3 Depth=1
	s_or_b64 exec, exec, s[6:7]
	v_mov_b32_e32 v17, s17
	v_add_co_u32_e32 v16, vcc, s16, v0
	v_addc_co_u32_e32 v17, vcc, 0, v17, vcc
	v_cmp_gt_i64_e32 vcc, s[20:21], v[16:17]
	s_waitcnt vmcnt(0) lgkmcnt(0)
	ds_write_b32 v12, v15
	s_and_b64 s[18:19], s[0:1], vcc
	v_mov_b32_e32 v15, 0
	s_and_saveexec_b64 s[6:7], s[18:19]
	s_cbranch_execz .LBB1447_2
; %bb.6:                                ;   in Loop: Header=BB1447_3 Depth=1
	flat_load_dword v15, v[6:7]
	s_branch .LBB1447_2
.LBB1447_7:
	v_mov_b32_e32 v10, 0
.LBB1447_8:
	v_cmp_le_i32_e32 vcc, v2, v4
	v_cmp_gt_i32_e64 s[0:1], s22, v4
	s_and_b64 s[0:1], vcc, s[0:1]
	s_and_saveexec_b64 s[2:3], s[0:1]
	s_cbranch_execz .LBB1447_10
; %bb.9:
	v_mul_lo_u32 v6, s15, v4
	v_mul_lo_u32 v5, s14, v5
	v_mad_u64_u32 v[0:1], s[0:1], s14, v4, 0
	s_waitcnt lgkmcnt(0)
	v_mov_b32_e32 v4, s13
	v_add3_u32 v1, v1, v5, v6
	v_lshlrev_b64 v[0:1], 2, v[0:1]
	v_add_co_u32_e32 v5, vcc, s12, v0
	v_addc_co_u32_e32 v4, vcc, v4, v1, vcc
	v_lshlrev_b64 v[0:1], 2, v[2:3]
	v_add_co_u32_e32 v0, vcc, v5, v0
	v_addc_co_u32_e32 v1, vcc, v4, v1, vcc
	flat_load_dword v2, v[0:1]
	s_load_dword s0, s[4:5], 0x48
	s_load_dword s1, s[4:5], 0x10
	s_waitcnt vmcnt(0) lgkmcnt(0)
	v_mul_f32_e32 v2, s0, v2
	v_fmac_f32_e32 v2, s1, v10
	flat_store_dword v[0:1], v2
.LBB1447_10:
	s_endpgm
	.section	.rodata,"a",@progbits
	.p2align	6, 0x0
	.amdhsa_kernel _ZL32rocblas_syrkx_herkx_small_kernelIlfLi16ELb0ELb0ELc78ELc85EKPKfKPfEviT_T0_PT6_S5_lS8_S5_lS6_PT7_S5_li
		.amdhsa_group_segment_fixed_size 2048
		.amdhsa_private_segment_fixed_size 0
		.amdhsa_kernarg_size 108
		.amdhsa_user_sgpr_count 6
		.amdhsa_user_sgpr_private_segment_buffer 1
		.amdhsa_user_sgpr_dispatch_ptr 0
		.amdhsa_user_sgpr_queue_ptr 0
		.amdhsa_user_sgpr_kernarg_segment_ptr 1
		.amdhsa_user_sgpr_dispatch_id 0
		.amdhsa_user_sgpr_flat_scratch_init 0
		.amdhsa_user_sgpr_private_segment_size 0
		.amdhsa_uses_dynamic_stack 0
		.amdhsa_system_sgpr_private_segment_wavefront_offset 0
		.amdhsa_system_sgpr_workgroup_id_x 1
		.amdhsa_system_sgpr_workgroup_id_y 1
		.amdhsa_system_sgpr_workgroup_id_z 1
		.amdhsa_system_sgpr_workgroup_info 0
		.amdhsa_system_vgpr_workitem_id 1
		.amdhsa_next_free_vgpr 27
		.amdhsa_next_free_sgpr 23
		.amdhsa_reserve_vcc 1
		.amdhsa_reserve_flat_scratch 0
		.amdhsa_float_round_mode_32 0
		.amdhsa_float_round_mode_16_64 0
		.amdhsa_float_denorm_mode_32 3
		.amdhsa_float_denorm_mode_16_64 3
		.amdhsa_dx10_clamp 1
		.amdhsa_ieee_mode 1
		.amdhsa_fp16_overflow 0
		.amdhsa_exception_fp_ieee_invalid_op 0
		.amdhsa_exception_fp_denorm_src 0
		.amdhsa_exception_fp_ieee_div_zero 0
		.amdhsa_exception_fp_ieee_overflow 0
		.amdhsa_exception_fp_ieee_underflow 0
		.amdhsa_exception_fp_ieee_inexact 0
		.amdhsa_exception_int_div_zero 0
	.end_amdhsa_kernel
	.section	.text._ZL32rocblas_syrkx_herkx_small_kernelIlfLi16ELb0ELb0ELc78ELc85EKPKfKPfEviT_T0_PT6_S5_lS8_S5_lS6_PT7_S5_li,"axG",@progbits,_ZL32rocblas_syrkx_herkx_small_kernelIlfLi16ELb0ELb0ELc78ELc85EKPKfKPfEviT_T0_PT6_S5_lS8_S5_lS6_PT7_S5_li,comdat
.Lfunc_end1447:
	.size	_ZL32rocblas_syrkx_herkx_small_kernelIlfLi16ELb0ELb0ELc78ELc85EKPKfKPfEviT_T0_PT6_S5_lS8_S5_lS6_PT7_S5_li, .Lfunc_end1447-_ZL32rocblas_syrkx_herkx_small_kernelIlfLi16ELb0ELb0ELc78ELc85EKPKfKPfEviT_T0_PT6_S5_lS8_S5_lS6_PT7_S5_li
                                        ; -- End function
	.set _ZL32rocblas_syrkx_herkx_small_kernelIlfLi16ELb0ELb0ELc78ELc85EKPKfKPfEviT_T0_PT6_S5_lS8_S5_lS6_PT7_S5_li.num_vgpr, 27
	.set _ZL32rocblas_syrkx_herkx_small_kernelIlfLi16ELb0ELb0ELc78ELc85EKPKfKPfEviT_T0_PT6_S5_lS8_S5_lS6_PT7_S5_li.num_agpr, 0
	.set _ZL32rocblas_syrkx_herkx_small_kernelIlfLi16ELb0ELb0ELc78ELc85EKPKfKPfEviT_T0_PT6_S5_lS8_S5_lS6_PT7_S5_li.numbered_sgpr, 23
	.set _ZL32rocblas_syrkx_herkx_small_kernelIlfLi16ELb0ELb0ELc78ELc85EKPKfKPfEviT_T0_PT6_S5_lS8_S5_lS6_PT7_S5_li.num_named_barrier, 0
	.set _ZL32rocblas_syrkx_herkx_small_kernelIlfLi16ELb0ELb0ELc78ELc85EKPKfKPfEviT_T0_PT6_S5_lS8_S5_lS6_PT7_S5_li.private_seg_size, 0
	.set _ZL32rocblas_syrkx_herkx_small_kernelIlfLi16ELb0ELb0ELc78ELc85EKPKfKPfEviT_T0_PT6_S5_lS8_S5_lS6_PT7_S5_li.uses_vcc, 1
	.set _ZL32rocblas_syrkx_herkx_small_kernelIlfLi16ELb0ELb0ELc78ELc85EKPKfKPfEviT_T0_PT6_S5_lS8_S5_lS6_PT7_S5_li.uses_flat_scratch, 0
	.set _ZL32rocblas_syrkx_herkx_small_kernelIlfLi16ELb0ELb0ELc78ELc85EKPKfKPfEviT_T0_PT6_S5_lS8_S5_lS6_PT7_S5_li.has_dyn_sized_stack, 0
	.set _ZL32rocblas_syrkx_herkx_small_kernelIlfLi16ELb0ELb0ELc78ELc85EKPKfKPfEviT_T0_PT6_S5_lS8_S5_lS6_PT7_S5_li.has_recursion, 0
	.set _ZL32rocblas_syrkx_herkx_small_kernelIlfLi16ELb0ELb0ELc78ELc85EKPKfKPfEviT_T0_PT6_S5_lS8_S5_lS6_PT7_S5_li.has_indirect_call, 0
	.section	.AMDGPU.csdata,"",@progbits
; Kernel info:
; codeLenInByte = 844
; TotalNumSgprs: 27
; NumVgprs: 27
; ScratchSize: 0
; MemoryBound: 0
; FloatMode: 240
; IeeeMode: 1
; LDSByteSize: 2048 bytes/workgroup (compile time only)
; SGPRBlocks: 3
; VGPRBlocks: 6
; NumSGPRsForWavesPerEU: 27
; NumVGPRsForWavesPerEU: 27
; Occupancy: 9
; WaveLimiterHint : 1
; COMPUTE_PGM_RSRC2:SCRATCH_EN: 0
; COMPUTE_PGM_RSRC2:USER_SGPR: 6
; COMPUTE_PGM_RSRC2:TRAP_HANDLER: 0
; COMPUTE_PGM_RSRC2:TGID_X_EN: 1
; COMPUTE_PGM_RSRC2:TGID_Y_EN: 1
; COMPUTE_PGM_RSRC2:TGID_Z_EN: 1
; COMPUTE_PGM_RSRC2:TIDIG_COMP_CNT: 1
	.section	.text._ZL34rocblas_syrkx_herkx_general_kernelIlfLi16ELi32ELi8ELb1ELb0ELc84ELc76EKPKfKPfEviT_T0_PT8_S5_lS8_S5_lS6_PT9_S5_li,"axG",@progbits,_ZL34rocblas_syrkx_herkx_general_kernelIlfLi16ELi32ELi8ELb1ELb0ELc84ELc76EKPKfKPfEviT_T0_PT8_S5_lS8_S5_lS6_PT9_S5_li,comdat
	.globl	_ZL34rocblas_syrkx_herkx_general_kernelIlfLi16ELi32ELi8ELb1ELb0ELc84ELc76EKPKfKPfEviT_T0_PT8_S5_lS8_S5_lS6_PT9_S5_li ; -- Begin function _ZL34rocblas_syrkx_herkx_general_kernelIlfLi16ELi32ELi8ELb1ELb0ELc84ELc76EKPKfKPfEviT_T0_PT8_S5_lS8_S5_lS6_PT9_S5_li
	.p2align	8
	.type	_ZL34rocblas_syrkx_herkx_general_kernelIlfLi16ELi32ELi8ELb1ELb0ELc84ELc76EKPKfKPfEviT_T0_PT8_S5_lS8_S5_lS6_PT9_S5_li,@function
_ZL34rocblas_syrkx_herkx_general_kernelIlfLi16ELi32ELi8ELb1ELb0ELc84ELc76EKPKfKPfEviT_T0_PT8_S5_lS8_S5_lS6_PT9_S5_li: ; @_ZL34rocblas_syrkx_herkx_general_kernelIlfLi16ELi32ELi8ELb1ELb0ELc84ELc76EKPKfKPfEviT_T0_PT8_S5_lS8_S5_lS6_PT9_S5_li
; %bb.0:
	s_load_dwordx4 s[12:15], s[4:5], 0x50
	s_load_dword s18, s[4:5], 0x0
	s_load_dwordx2 s[16:17], s[4:5], 0x8
	s_mov_b32 s9, 0
	s_lshl_b64 s[0:1], s[8:9], 3
	s_waitcnt lgkmcnt(0)
	s_add_u32 s2, s12, s0
	s_addc_u32 s3, s13, s1
	s_load_dwordx2 s[12:13], s[2:3], 0x0
	v_cmp_lt_i64_e64 s[2:3], s[16:17], 1
	s_lshl_b32 s19, s6, 5
	s_lshl_b32 s20, s7, 5
	s_and_b64 vcc, exec, s[2:3]
	s_cbranch_vccnz .LBB1448_7
; %bb.1:
	s_load_dwordx4 s[24:27], s[4:5], 0x18
	s_load_dwordx4 s[8:11], s[4:5], 0x30
	v_lshl_add_u32 v2, v1, 4, v0
	v_and_b32_e32 v5, 31, v2
	v_or_b32_e32 v7, s19, v5
	v_and_b32_e32 v10, 7, v0
	s_waitcnt lgkmcnt(0)
	s_add_u32 s2, s8, s0
	s_addc_u32 s3, s9, s1
	s_add_u32 s0, s24, s0
	s_addc_u32 s1, s25, s1
	v_lshrrev_b32_e32 v3, 3, v2
	v_lshrrev_b32_e32 v8, 5, v2
	s_load_dwordx2 s[8:9], s[0:1], 0x0
	v_cmp_gt_i32_e64 s[0:1], s18, v7
	v_lshlrev_b32_e32 v2, 2, v5
	v_lshlrev_b32_e32 v7, 2, v10
	v_lshl_or_b32 v11, v8, 7, v2
	v_lshl_or_b32 v2, v3, 5, v7
	v_add_u32_e32 v12, 0x400, v2
	v_add_u32_e32 v2, s19, v5
	;; [unrolled: 1-line block ×3, first 2 shown]
	v_ashrrev_i32_e32 v3, 31, v2
	v_mul_lo_u32 v5, s26, v3
	v_mul_lo_u32 v13, s27, v2
	v_mad_u64_u32 v[2:3], s[22:23], s26, v2, 0
	v_ashrrev_i32_e32 v9, 31, v4
	s_load_dwordx2 s[6:7], s[2:3], 0x0
	v_add3_u32 v3, v3, v5, v13
	v_lshlrev_b64 v[2:3], 2, v[2:3]
	v_lshlrev_b32_e32 v5, 2, v8
	v_cmp_gt_i32_e64 s[2:3], s18, v4
	v_add_co_u32_e32 v2, vcc, v2, v5
	v_mul_lo_u32 v9, s10, v9
	v_mul_lo_u32 v16, s11, v4
	v_mad_u64_u32 v[4:5], s[10:11], s10, v4, 0
	v_addc_co_u32_e32 v3, vcc, 0, v3, vcc
	v_add3_u32 v5, v5, v9, v16
	s_waitcnt lgkmcnt(0)
	v_mov_b32_e32 v13, s9
	v_add_co_u32_e32 v2, vcc, s8, v2
	v_lshlrev_b64 v[4:5], 2, v[4:5]
	v_addc_co_u32_e32 v3, vcc, v13, v3, vcc
	v_add_co_u32_e32 v4, vcc, v4, v7
	v_addc_co_u32_e32 v5, vcc, 0, v5, vcc
	v_mov_b32_e32 v15, 0x400
	v_mov_b32_e32 v7, s7
	v_add_co_u32_e32 v4, vcc, s6, v4
	v_mov_b32_e32 v6, 0
	v_lshlrev_b32_e32 v14, 2, v0
	v_lshl_add_u32 v15, v1, 5, v15
	v_addc_co_u32_e32 v5, vcc, v7, v5, vcc
	s_mov_b64 s[8:9], 0
	v_mov_b32_e32 v7, 0
	v_mov_b32_e32 v9, 0
	;; [unrolled: 1-line block ×3, first 2 shown]
	s_branch .LBB1448_3
.LBB1448_2:                             ;   in Loop: Header=BB1448_3 Depth=1
	s_or_b64 exec, exec, s[6:7]
	s_waitcnt vmcnt(0) lgkmcnt(0)
	ds_write_b32 v12, v16
	s_waitcnt lgkmcnt(0)
	s_barrier
	ds_read2_b32 v[28:29], v14 offset1:16
	ds_read_b128 v[16:19], v15
	ds_read2_b32 v[30:31], v14 offset0:32 offset1:48
	ds_read2_b32 v[32:33], v14 offset0:64 offset1:80
	ds_read_b128 v[20:23], v15 offset:16
	ds_read2_b32 v[34:35], v14 offset0:96 offset1:112
	s_waitcnt lgkmcnt(4)
	v_fmac_f32_e32 v13, v28, v16
	v_fmac_f32_e32 v9, v29, v16
	s_waitcnt lgkmcnt(3)
	v_fmac_f32_e32 v13, v30, v17
	v_fmac_f32_e32 v9, v31, v17
	;; [unrolled: 3-line block ×4, first 2 shown]
	ds_read_b128 v[16:19], v15 offset:512
	ds_read_b128 v[24:27], v15 offset:528
	s_add_u32 s8, s8, 8
	v_add_co_u32_e32 v2, vcc, 32, v2
	s_waitcnt lgkmcnt(1)
	v_fmac_f32_e32 v7, v28, v16
	v_fmac_f32_e32 v6, v29, v16
	;; [unrolled: 1-line block ×4, first 2 shown]
	ds_read2_b32 v[16:17], v14 offset0:128 offset1:144
	v_fmac_f32_e32 v7, v32, v18
	v_fmac_f32_e32 v6, v33, v18
	;; [unrolled: 1-line block ×4, first 2 shown]
	ds_read2_b32 v[18:19], v14 offset0:160 offset1:176
	ds_read2_b32 v[28:29], v14 offset0:192 offset1:208
	;; [unrolled: 1-line block ×3, first 2 shown]
	s_waitcnt lgkmcnt(3)
	v_fmac_f32_e32 v13, v16, v20
	v_fmac_f32_e32 v9, v17, v20
	;; [unrolled: 1-line block ×4, first 2 shown]
	v_mov_b32_e32 v16, s16
	s_addc_u32 s9, s9, 0
	v_addc_co_u32_e32 v3, vcc, 0, v3, vcc
	v_mov_b32_e32 v17, s17
	s_waitcnt lgkmcnt(2)
	v_fmac_f32_e32 v13, v18, v21
	v_fmac_f32_e32 v9, v19, v21
	;; [unrolled: 1-line block ×4, first 2 shown]
	v_cmp_ge_i64_e32 vcc, s[8:9], v[16:17]
	s_waitcnt lgkmcnt(1)
	v_fmac_f32_e32 v13, v28, v22
	v_fmac_f32_e32 v9, v29, v22
	;; [unrolled: 1-line block ×4, first 2 shown]
	v_add_co_u32_e64 v4, s[6:7], 32, v4
	s_waitcnt lgkmcnt(0)
	v_fmac_f32_e32 v13, v30, v23
	v_fmac_f32_e32 v9, v31, v23
	;; [unrolled: 1-line block ×4, first 2 shown]
	v_addc_co_u32_e64 v5, s[6:7], 0, v5, s[6:7]
	s_barrier
	s_cbranch_vccnz .LBB1448_8
.LBB1448_3:                             ; =>This Inner Loop Header: Depth=1
	v_mov_b32_e32 v17, s9
	v_add_co_u32_e32 v16, vcc, s8, v8
	v_addc_co_u32_e32 v17, vcc, 0, v17, vcc
	v_cmp_gt_i64_e32 vcc, s[16:17], v[16:17]
	v_mov_b32_e32 v16, 0
	s_and_b64 s[10:11], s[0:1], vcc
	s_and_saveexec_b64 s[6:7], s[10:11]
	s_cbranch_execz .LBB1448_5
; %bb.4:                                ;   in Loop: Header=BB1448_3 Depth=1
	flat_load_dword v16, v[2:3]
.LBB1448_5:                             ;   in Loop: Header=BB1448_3 Depth=1
	s_or_b64 exec, exec, s[6:7]
	v_mov_b32_e32 v18, s9
	v_add_co_u32_e32 v17, vcc, s8, v10
	v_addc_co_u32_e32 v18, vcc, 0, v18, vcc
	v_cmp_gt_i64_e32 vcc, s[16:17], v[17:18]
	s_waitcnt vmcnt(0) lgkmcnt(0)
	ds_write_b32 v11, v16
	s_and_b64 s[10:11], vcc, s[2:3]
	v_mov_b32_e32 v16, 0
	s_and_saveexec_b64 s[6:7], s[10:11]
	s_cbranch_execz .LBB1448_2
; %bb.6:                                ;   in Loop: Header=BB1448_3 Depth=1
	flat_load_dword v16, v[4:5]
	s_branch .LBB1448_2
.LBB1448_7:
	v_mov_b32_e32 v13, 0
	v_mov_b32_e32 v9, 0
	;; [unrolled: 1-line block ×4, first 2 shown]
.LBB1448_8:
	v_add_u32_e32 v4, s20, v1
	v_ashrrev_i32_e32 v1, 31, v4
	v_mul_lo_u32 v3, s14, v1
	v_mul_lo_u32 v5, s15, v4
	v_mad_u64_u32 v[1:2], s[0:1], s14, v4, 0
	s_load_dword s6, s[4:5], 0x10
	v_add_u32_e32 v0, s19, v0
	v_add3_u32 v2, v2, v3, v5
	v_lshlrev_b64 v[1:2], 2, v[1:2]
	s_waitcnt lgkmcnt(0)
	v_mov_b32_e32 v3, s13
	v_add_co_u32_e32 v5, vcc, s12, v1
	v_addc_co_u32_e32 v8, vcc, v3, v2, vcc
	v_cmp_le_i32_e64 s[0:1], v4, v0
	v_cmp_gt_i32_e32 vcc, s18, v0
	s_and_b64 s[0:1], s[0:1], vcc
	s_and_saveexec_b64 s[2:3], s[0:1]
	s_cbranch_execz .LBB1448_10
; %bb.9:
	v_ashrrev_i32_e32 v1, 31, v0
	v_lshlrev_b64 v[1:2], 2, v[0:1]
	v_mul_f32_e32 v3, s6, v13
	v_add_co_u32_e64 v1, s[0:1], v5, v1
	v_addc_co_u32_e64 v2, s[0:1], v8, v2, s[0:1]
	flat_store_dword v[1:2], v3
.LBB1448_10:
	s_or_b64 exec, exec, s[2:3]
	v_add_u32_e32 v2, 16, v0
	v_cmp_le_i32_e64 s[2:3], v4, v2
	v_cmp_gt_i32_e64 s[0:1], s18, v2
	s_and_b64 s[2:3], s[2:3], s[0:1]
	s_and_saveexec_b64 s[4:5], s[2:3]
	s_cbranch_execz .LBB1448_12
; %bb.11:
	v_ashrrev_i32_e32 v3, 31, v2
	v_mul_f32_e32 v1, s6, v9
	v_lshlrev_b64 v[9:10], 2, v[2:3]
	v_add_co_u32_e64 v9, s[2:3], v5, v9
	v_addc_co_u32_e64 v10, s[2:3], v8, v10, s[2:3]
	flat_store_dword v[9:10], v1
.LBB1448_12:
	s_or_b64 exec, exec, s[4:5]
	v_add_u32_e32 v3, 16, v4
	v_ashrrev_i32_e32 v1, 31, v3
	v_mul_lo_u32 v8, s15, v3
	v_mad_u64_u32 v[4:5], s[2:3], s14, v3, 0
	v_mul_lo_u32 v1, s14, v1
	v_add3_u32 v5, v5, v1, v8
	v_lshlrev_b64 v[4:5], 2, v[4:5]
	v_mov_b32_e32 v1, s13
	v_add_co_u32_e64 v4, s[2:3], s12, v4
	v_addc_co_u32_e64 v5, s[2:3], v1, v5, s[2:3]
	v_cmp_le_i32_e64 s[2:3], v3, v0
	s_and_b64 s[4:5], s[2:3], vcc
	s_and_saveexec_b64 s[2:3], s[4:5]
	s_cbranch_execz .LBB1448_14
; %bb.13:
	v_ashrrev_i32_e32 v1, 31, v0
	v_lshlrev_b64 v[0:1], 2, v[0:1]
	v_mul_f32_e32 v7, s6, v7
	v_add_co_u32_e32 v0, vcc, v4, v0
	v_addc_co_u32_e32 v1, vcc, v5, v1, vcc
	flat_store_dword v[0:1], v7
.LBB1448_14:
	s_or_b64 exec, exec, s[2:3]
	v_cmp_le_i32_e32 vcc, v3, v2
	s_and_b64 s[0:1], vcc, s[0:1]
	s_and_saveexec_b64 s[2:3], s[0:1]
	s_cbranch_execz .LBB1448_16
; %bb.15:
	v_ashrrev_i32_e32 v3, 31, v2
	v_lshlrev_b64 v[0:1], 2, v[2:3]
	v_mul_f32_e32 v6, s6, v6
	v_add_co_u32_e32 v0, vcc, v4, v0
	v_addc_co_u32_e32 v1, vcc, v5, v1, vcc
	flat_store_dword v[0:1], v6
.LBB1448_16:
	s_endpgm
	.section	.rodata,"a",@progbits
	.p2align	6, 0x0
	.amdhsa_kernel _ZL34rocblas_syrkx_herkx_general_kernelIlfLi16ELi32ELi8ELb1ELb0ELc84ELc76EKPKfKPfEviT_T0_PT8_S5_lS8_S5_lS6_PT9_S5_li
		.amdhsa_group_segment_fixed_size 2048
		.amdhsa_private_segment_fixed_size 0
		.amdhsa_kernarg_size 108
		.amdhsa_user_sgpr_count 6
		.amdhsa_user_sgpr_private_segment_buffer 1
		.amdhsa_user_sgpr_dispatch_ptr 0
		.amdhsa_user_sgpr_queue_ptr 0
		.amdhsa_user_sgpr_kernarg_segment_ptr 1
		.amdhsa_user_sgpr_dispatch_id 0
		.amdhsa_user_sgpr_flat_scratch_init 0
		.amdhsa_user_sgpr_private_segment_size 0
		.amdhsa_uses_dynamic_stack 0
		.amdhsa_system_sgpr_private_segment_wavefront_offset 0
		.amdhsa_system_sgpr_workgroup_id_x 1
		.amdhsa_system_sgpr_workgroup_id_y 1
		.amdhsa_system_sgpr_workgroup_id_z 1
		.amdhsa_system_sgpr_workgroup_info 0
		.amdhsa_system_vgpr_workitem_id 1
		.amdhsa_next_free_vgpr 36
		.amdhsa_next_free_sgpr 28
		.amdhsa_reserve_vcc 1
		.amdhsa_reserve_flat_scratch 0
		.amdhsa_float_round_mode_32 0
		.amdhsa_float_round_mode_16_64 0
		.amdhsa_float_denorm_mode_32 3
		.amdhsa_float_denorm_mode_16_64 3
		.amdhsa_dx10_clamp 1
		.amdhsa_ieee_mode 1
		.amdhsa_fp16_overflow 0
		.amdhsa_exception_fp_ieee_invalid_op 0
		.amdhsa_exception_fp_denorm_src 0
		.amdhsa_exception_fp_ieee_div_zero 0
		.amdhsa_exception_fp_ieee_overflow 0
		.amdhsa_exception_fp_ieee_underflow 0
		.amdhsa_exception_fp_ieee_inexact 0
		.amdhsa_exception_int_div_zero 0
	.end_amdhsa_kernel
	.section	.text._ZL34rocblas_syrkx_herkx_general_kernelIlfLi16ELi32ELi8ELb1ELb0ELc84ELc76EKPKfKPfEviT_T0_PT8_S5_lS8_S5_lS6_PT9_S5_li,"axG",@progbits,_ZL34rocblas_syrkx_herkx_general_kernelIlfLi16ELi32ELi8ELb1ELb0ELc84ELc76EKPKfKPfEviT_T0_PT8_S5_lS8_S5_lS6_PT9_S5_li,comdat
.Lfunc_end1448:
	.size	_ZL34rocblas_syrkx_herkx_general_kernelIlfLi16ELi32ELi8ELb1ELb0ELc84ELc76EKPKfKPfEviT_T0_PT8_S5_lS8_S5_lS6_PT9_S5_li, .Lfunc_end1448-_ZL34rocblas_syrkx_herkx_general_kernelIlfLi16ELi32ELi8ELb1ELb0ELc84ELc76EKPKfKPfEviT_T0_PT8_S5_lS8_S5_lS6_PT9_S5_li
                                        ; -- End function
	.set _ZL34rocblas_syrkx_herkx_general_kernelIlfLi16ELi32ELi8ELb1ELb0ELc84ELc76EKPKfKPfEviT_T0_PT8_S5_lS8_S5_lS6_PT9_S5_li.num_vgpr, 36
	.set _ZL34rocblas_syrkx_herkx_general_kernelIlfLi16ELi32ELi8ELb1ELb0ELc84ELc76EKPKfKPfEviT_T0_PT8_S5_lS8_S5_lS6_PT9_S5_li.num_agpr, 0
	.set _ZL34rocblas_syrkx_herkx_general_kernelIlfLi16ELi32ELi8ELb1ELb0ELc84ELc76EKPKfKPfEviT_T0_PT8_S5_lS8_S5_lS6_PT9_S5_li.numbered_sgpr, 28
	.set _ZL34rocblas_syrkx_herkx_general_kernelIlfLi16ELi32ELi8ELb1ELb0ELc84ELc76EKPKfKPfEviT_T0_PT8_S5_lS8_S5_lS6_PT9_S5_li.num_named_barrier, 0
	.set _ZL34rocblas_syrkx_herkx_general_kernelIlfLi16ELi32ELi8ELb1ELb0ELc84ELc76EKPKfKPfEviT_T0_PT8_S5_lS8_S5_lS6_PT9_S5_li.private_seg_size, 0
	.set _ZL34rocblas_syrkx_herkx_general_kernelIlfLi16ELi32ELi8ELb1ELb0ELc84ELc76EKPKfKPfEviT_T0_PT8_S5_lS8_S5_lS6_PT9_S5_li.uses_vcc, 1
	.set _ZL34rocblas_syrkx_herkx_general_kernelIlfLi16ELi32ELi8ELb1ELb0ELc84ELc76EKPKfKPfEviT_T0_PT8_S5_lS8_S5_lS6_PT9_S5_li.uses_flat_scratch, 0
	.set _ZL34rocblas_syrkx_herkx_general_kernelIlfLi16ELi32ELi8ELb1ELb0ELc84ELc76EKPKfKPfEviT_T0_PT8_S5_lS8_S5_lS6_PT9_S5_li.has_dyn_sized_stack, 0
	.set _ZL34rocblas_syrkx_herkx_general_kernelIlfLi16ELi32ELi8ELb1ELb0ELc84ELc76EKPKfKPfEviT_T0_PT8_S5_lS8_S5_lS6_PT9_S5_li.has_recursion, 0
	.set _ZL34rocblas_syrkx_herkx_general_kernelIlfLi16ELi32ELi8ELb1ELb0ELc84ELc76EKPKfKPfEviT_T0_PT8_S5_lS8_S5_lS6_PT9_S5_li.has_indirect_call, 0
	.section	.AMDGPU.csdata,"",@progbits
; Kernel info:
; codeLenInByte = 1240
; TotalNumSgprs: 32
; NumVgprs: 36
; ScratchSize: 0
; MemoryBound: 0
; FloatMode: 240
; IeeeMode: 1
; LDSByteSize: 2048 bytes/workgroup (compile time only)
; SGPRBlocks: 3
; VGPRBlocks: 8
; NumSGPRsForWavesPerEU: 32
; NumVGPRsForWavesPerEU: 36
; Occupancy: 7
; WaveLimiterHint : 1
; COMPUTE_PGM_RSRC2:SCRATCH_EN: 0
; COMPUTE_PGM_RSRC2:USER_SGPR: 6
; COMPUTE_PGM_RSRC2:TRAP_HANDLER: 0
; COMPUTE_PGM_RSRC2:TGID_X_EN: 1
; COMPUTE_PGM_RSRC2:TGID_Y_EN: 1
; COMPUTE_PGM_RSRC2:TGID_Z_EN: 1
; COMPUTE_PGM_RSRC2:TIDIG_COMP_CNT: 1
	.section	.text._ZL34rocblas_syrkx_herkx_general_kernelIlfLi16ELi32ELi8ELb1ELb0ELc67ELc76EKPKfKPfEviT_T0_PT8_S5_lS8_S5_lS6_PT9_S5_li,"axG",@progbits,_ZL34rocblas_syrkx_herkx_general_kernelIlfLi16ELi32ELi8ELb1ELb0ELc67ELc76EKPKfKPfEviT_T0_PT8_S5_lS8_S5_lS6_PT9_S5_li,comdat
	.globl	_ZL34rocblas_syrkx_herkx_general_kernelIlfLi16ELi32ELi8ELb1ELb0ELc67ELc76EKPKfKPfEviT_T0_PT8_S5_lS8_S5_lS6_PT9_S5_li ; -- Begin function _ZL34rocblas_syrkx_herkx_general_kernelIlfLi16ELi32ELi8ELb1ELb0ELc67ELc76EKPKfKPfEviT_T0_PT8_S5_lS8_S5_lS6_PT9_S5_li
	.p2align	8
	.type	_ZL34rocblas_syrkx_herkx_general_kernelIlfLi16ELi32ELi8ELb1ELb0ELc67ELc76EKPKfKPfEviT_T0_PT8_S5_lS8_S5_lS6_PT9_S5_li,@function
_ZL34rocblas_syrkx_herkx_general_kernelIlfLi16ELi32ELi8ELb1ELb0ELc67ELc76EKPKfKPfEviT_T0_PT8_S5_lS8_S5_lS6_PT9_S5_li: ; @_ZL34rocblas_syrkx_herkx_general_kernelIlfLi16ELi32ELi8ELb1ELb0ELc67ELc76EKPKfKPfEviT_T0_PT8_S5_lS8_S5_lS6_PT9_S5_li
; %bb.0:
	s_load_dwordx4 s[12:15], s[4:5], 0x50
	s_load_dword s18, s[4:5], 0x0
	s_load_dwordx2 s[16:17], s[4:5], 0x8
	s_mov_b32 s9, 0
	s_lshl_b64 s[0:1], s[8:9], 3
	s_waitcnt lgkmcnt(0)
	s_add_u32 s2, s12, s0
	s_addc_u32 s3, s13, s1
	s_load_dwordx2 s[12:13], s[2:3], 0x0
	v_cmp_lt_i64_e64 s[2:3], s[16:17], 1
	s_lshl_b32 s19, s6, 5
	s_lshl_b32 s20, s7, 5
	s_and_b64 vcc, exec, s[2:3]
	s_cbranch_vccnz .LBB1449_7
; %bb.1:
	s_load_dwordx4 s[24:27], s[4:5], 0x18
	s_load_dwordx4 s[8:11], s[4:5], 0x30
	v_lshl_add_u32 v2, v1, 4, v0
	v_and_b32_e32 v5, 31, v2
	v_or_b32_e32 v7, s19, v5
	v_and_b32_e32 v10, 7, v0
	s_waitcnt lgkmcnt(0)
	s_add_u32 s2, s8, s0
	s_addc_u32 s3, s9, s1
	s_add_u32 s0, s24, s0
	s_addc_u32 s1, s25, s1
	v_lshrrev_b32_e32 v3, 3, v2
	v_lshrrev_b32_e32 v8, 5, v2
	s_load_dwordx2 s[8:9], s[0:1], 0x0
	v_cmp_gt_i32_e64 s[0:1], s18, v7
	v_lshlrev_b32_e32 v2, 2, v5
	v_lshlrev_b32_e32 v7, 2, v10
	v_lshl_or_b32 v11, v8, 7, v2
	v_lshl_or_b32 v2, v3, 5, v7
	v_add_u32_e32 v12, 0x400, v2
	v_add_u32_e32 v2, s19, v5
	;; [unrolled: 1-line block ×3, first 2 shown]
	v_ashrrev_i32_e32 v3, 31, v2
	v_mul_lo_u32 v5, s26, v3
	v_mul_lo_u32 v13, s27, v2
	v_mad_u64_u32 v[2:3], s[22:23], s26, v2, 0
	v_ashrrev_i32_e32 v9, 31, v4
	s_load_dwordx2 s[6:7], s[2:3], 0x0
	v_add3_u32 v3, v3, v5, v13
	v_lshlrev_b64 v[2:3], 2, v[2:3]
	v_lshlrev_b32_e32 v5, 2, v8
	v_cmp_gt_i32_e64 s[2:3], s18, v4
	v_add_co_u32_e32 v2, vcc, v2, v5
	v_mul_lo_u32 v9, s10, v9
	v_mul_lo_u32 v16, s11, v4
	v_mad_u64_u32 v[4:5], s[10:11], s10, v4, 0
	v_addc_co_u32_e32 v3, vcc, 0, v3, vcc
	v_add3_u32 v5, v5, v9, v16
	s_waitcnt lgkmcnt(0)
	v_mov_b32_e32 v13, s9
	v_add_co_u32_e32 v2, vcc, s8, v2
	v_lshlrev_b64 v[4:5], 2, v[4:5]
	v_addc_co_u32_e32 v3, vcc, v13, v3, vcc
	v_add_co_u32_e32 v4, vcc, v4, v7
	v_addc_co_u32_e32 v5, vcc, 0, v5, vcc
	v_mov_b32_e32 v15, 0x400
	v_mov_b32_e32 v7, s7
	v_add_co_u32_e32 v4, vcc, s6, v4
	v_mov_b32_e32 v6, 0
	v_lshlrev_b32_e32 v14, 2, v0
	v_lshl_add_u32 v15, v1, 5, v15
	v_addc_co_u32_e32 v5, vcc, v7, v5, vcc
	s_mov_b64 s[8:9], 0
	v_mov_b32_e32 v7, 0
	v_mov_b32_e32 v9, 0
	;; [unrolled: 1-line block ×3, first 2 shown]
	s_branch .LBB1449_3
.LBB1449_2:                             ;   in Loop: Header=BB1449_3 Depth=1
	s_or_b64 exec, exec, s[6:7]
	s_waitcnt vmcnt(0) lgkmcnt(0)
	ds_write_b32 v12, v16
	s_waitcnt lgkmcnt(0)
	s_barrier
	ds_read2_b32 v[28:29], v14 offset1:16
	ds_read_b128 v[16:19], v15
	ds_read2_b32 v[30:31], v14 offset0:32 offset1:48
	ds_read2_b32 v[32:33], v14 offset0:64 offset1:80
	ds_read_b128 v[20:23], v15 offset:16
	ds_read2_b32 v[34:35], v14 offset0:96 offset1:112
	s_waitcnt lgkmcnt(4)
	v_fmac_f32_e32 v13, v28, v16
	v_fmac_f32_e32 v9, v29, v16
	s_waitcnt lgkmcnt(3)
	v_fmac_f32_e32 v13, v30, v17
	v_fmac_f32_e32 v9, v31, v17
	;; [unrolled: 3-line block ×4, first 2 shown]
	ds_read_b128 v[16:19], v15 offset:512
	ds_read_b128 v[24:27], v15 offset:528
	s_add_u32 s8, s8, 8
	v_add_co_u32_e32 v2, vcc, 32, v2
	s_waitcnt lgkmcnt(1)
	v_fmac_f32_e32 v7, v28, v16
	v_fmac_f32_e32 v6, v29, v16
	;; [unrolled: 1-line block ×4, first 2 shown]
	ds_read2_b32 v[16:17], v14 offset0:128 offset1:144
	v_fmac_f32_e32 v7, v32, v18
	v_fmac_f32_e32 v6, v33, v18
	;; [unrolled: 1-line block ×4, first 2 shown]
	ds_read2_b32 v[18:19], v14 offset0:160 offset1:176
	ds_read2_b32 v[28:29], v14 offset0:192 offset1:208
	ds_read2_b32 v[30:31], v14 offset0:224 offset1:240
	s_waitcnt lgkmcnt(3)
	v_fmac_f32_e32 v13, v16, v20
	v_fmac_f32_e32 v9, v17, v20
	;; [unrolled: 1-line block ×4, first 2 shown]
	v_mov_b32_e32 v16, s16
	s_addc_u32 s9, s9, 0
	v_addc_co_u32_e32 v3, vcc, 0, v3, vcc
	v_mov_b32_e32 v17, s17
	s_waitcnt lgkmcnt(2)
	v_fmac_f32_e32 v13, v18, v21
	v_fmac_f32_e32 v9, v19, v21
	;; [unrolled: 1-line block ×4, first 2 shown]
	v_cmp_ge_i64_e32 vcc, s[8:9], v[16:17]
	s_waitcnt lgkmcnt(1)
	v_fmac_f32_e32 v13, v28, v22
	v_fmac_f32_e32 v9, v29, v22
	;; [unrolled: 1-line block ×4, first 2 shown]
	v_add_co_u32_e64 v4, s[6:7], 32, v4
	s_waitcnt lgkmcnt(0)
	v_fmac_f32_e32 v13, v30, v23
	v_fmac_f32_e32 v9, v31, v23
	;; [unrolled: 1-line block ×4, first 2 shown]
	v_addc_co_u32_e64 v5, s[6:7], 0, v5, s[6:7]
	s_barrier
	s_cbranch_vccnz .LBB1449_8
.LBB1449_3:                             ; =>This Inner Loop Header: Depth=1
	v_mov_b32_e32 v17, s9
	v_add_co_u32_e32 v16, vcc, s8, v8
	v_addc_co_u32_e32 v17, vcc, 0, v17, vcc
	v_cmp_gt_i64_e32 vcc, s[16:17], v[16:17]
	v_mov_b32_e32 v16, 0
	s_and_b64 s[10:11], s[0:1], vcc
	s_and_saveexec_b64 s[6:7], s[10:11]
	s_cbranch_execz .LBB1449_5
; %bb.4:                                ;   in Loop: Header=BB1449_3 Depth=1
	flat_load_dword v16, v[2:3]
.LBB1449_5:                             ;   in Loop: Header=BB1449_3 Depth=1
	s_or_b64 exec, exec, s[6:7]
	v_mov_b32_e32 v18, s9
	v_add_co_u32_e32 v17, vcc, s8, v10
	v_addc_co_u32_e32 v18, vcc, 0, v18, vcc
	v_cmp_gt_i64_e32 vcc, s[16:17], v[17:18]
	s_waitcnt vmcnt(0) lgkmcnt(0)
	ds_write_b32 v11, v16
	s_and_b64 s[10:11], vcc, s[2:3]
	v_mov_b32_e32 v16, 0
	s_and_saveexec_b64 s[6:7], s[10:11]
	s_cbranch_execz .LBB1449_2
; %bb.6:                                ;   in Loop: Header=BB1449_3 Depth=1
	flat_load_dword v16, v[4:5]
	s_branch .LBB1449_2
.LBB1449_7:
	v_mov_b32_e32 v13, 0
	v_mov_b32_e32 v9, 0
	;; [unrolled: 1-line block ×4, first 2 shown]
.LBB1449_8:
	v_add_u32_e32 v4, s20, v1
	v_ashrrev_i32_e32 v1, 31, v4
	v_mul_lo_u32 v3, s14, v1
	v_mul_lo_u32 v5, s15, v4
	v_mad_u64_u32 v[1:2], s[0:1], s14, v4, 0
	s_load_dword s6, s[4:5], 0x10
	v_add_u32_e32 v0, s19, v0
	v_add3_u32 v2, v2, v3, v5
	v_lshlrev_b64 v[1:2], 2, v[1:2]
	s_waitcnt lgkmcnt(0)
	v_mov_b32_e32 v3, s13
	v_add_co_u32_e32 v5, vcc, s12, v1
	v_addc_co_u32_e32 v8, vcc, v3, v2, vcc
	v_cmp_le_i32_e64 s[0:1], v4, v0
	v_cmp_gt_i32_e32 vcc, s18, v0
	s_and_b64 s[0:1], s[0:1], vcc
	s_and_saveexec_b64 s[2:3], s[0:1]
	s_cbranch_execz .LBB1449_10
; %bb.9:
	v_ashrrev_i32_e32 v1, 31, v0
	v_lshlrev_b64 v[1:2], 2, v[0:1]
	v_mul_f32_e32 v3, s6, v13
	v_add_co_u32_e64 v1, s[0:1], v5, v1
	v_addc_co_u32_e64 v2, s[0:1], v8, v2, s[0:1]
	flat_store_dword v[1:2], v3
.LBB1449_10:
	s_or_b64 exec, exec, s[2:3]
	v_add_u32_e32 v2, 16, v0
	v_cmp_le_i32_e64 s[2:3], v4, v2
	v_cmp_gt_i32_e64 s[0:1], s18, v2
	s_and_b64 s[2:3], s[2:3], s[0:1]
	s_and_saveexec_b64 s[4:5], s[2:3]
	s_cbranch_execz .LBB1449_12
; %bb.11:
	v_ashrrev_i32_e32 v3, 31, v2
	v_mul_f32_e32 v1, s6, v9
	v_lshlrev_b64 v[9:10], 2, v[2:3]
	v_add_co_u32_e64 v9, s[2:3], v5, v9
	v_addc_co_u32_e64 v10, s[2:3], v8, v10, s[2:3]
	flat_store_dword v[9:10], v1
.LBB1449_12:
	s_or_b64 exec, exec, s[4:5]
	v_add_u32_e32 v3, 16, v4
	v_ashrrev_i32_e32 v1, 31, v3
	v_mul_lo_u32 v8, s15, v3
	v_mad_u64_u32 v[4:5], s[2:3], s14, v3, 0
	v_mul_lo_u32 v1, s14, v1
	v_add3_u32 v5, v5, v1, v8
	v_lshlrev_b64 v[4:5], 2, v[4:5]
	v_mov_b32_e32 v1, s13
	v_add_co_u32_e64 v4, s[2:3], s12, v4
	v_addc_co_u32_e64 v5, s[2:3], v1, v5, s[2:3]
	v_cmp_le_i32_e64 s[2:3], v3, v0
	s_and_b64 s[4:5], s[2:3], vcc
	s_and_saveexec_b64 s[2:3], s[4:5]
	s_cbranch_execz .LBB1449_14
; %bb.13:
	v_ashrrev_i32_e32 v1, 31, v0
	v_lshlrev_b64 v[0:1], 2, v[0:1]
	v_mul_f32_e32 v7, s6, v7
	v_add_co_u32_e32 v0, vcc, v4, v0
	v_addc_co_u32_e32 v1, vcc, v5, v1, vcc
	flat_store_dword v[0:1], v7
.LBB1449_14:
	s_or_b64 exec, exec, s[2:3]
	v_cmp_le_i32_e32 vcc, v3, v2
	s_and_b64 s[0:1], vcc, s[0:1]
	s_and_saveexec_b64 s[2:3], s[0:1]
	s_cbranch_execz .LBB1449_16
; %bb.15:
	v_ashrrev_i32_e32 v3, 31, v2
	v_lshlrev_b64 v[0:1], 2, v[2:3]
	v_mul_f32_e32 v6, s6, v6
	v_add_co_u32_e32 v0, vcc, v4, v0
	v_addc_co_u32_e32 v1, vcc, v5, v1, vcc
	flat_store_dword v[0:1], v6
.LBB1449_16:
	s_endpgm
	.section	.rodata,"a",@progbits
	.p2align	6, 0x0
	.amdhsa_kernel _ZL34rocblas_syrkx_herkx_general_kernelIlfLi16ELi32ELi8ELb1ELb0ELc67ELc76EKPKfKPfEviT_T0_PT8_S5_lS8_S5_lS6_PT9_S5_li
		.amdhsa_group_segment_fixed_size 2048
		.amdhsa_private_segment_fixed_size 0
		.amdhsa_kernarg_size 108
		.amdhsa_user_sgpr_count 6
		.amdhsa_user_sgpr_private_segment_buffer 1
		.amdhsa_user_sgpr_dispatch_ptr 0
		.amdhsa_user_sgpr_queue_ptr 0
		.amdhsa_user_sgpr_kernarg_segment_ptr 1
		.amdhsa_user_sgpr_dispatch_id 0
		.amdhsa_user_sgpr_flat_scratch_init 0
		.amdhsa_user_sgpr_private_segment_size 0
		.amdhsa_uses_dynamic_stack 0
		.amdhsa_system_sgpr_private_segment_wavefront_offset 0
		.amdhsa_system_sgpr_workgroup_id_x 1
		.amdhsa_system_sgpr_workgroup_id_y 1
		.amdhsa_system_sgpr_workgroup_id_z 1
		.amdhsa_system_sgpr_workgroup_info 0
		.amdhsa_system_vgpr_workitem_id 1
		.amdhsa_next_free_vgpr 36
		.amdhsa_next_free_sgpr 28
		.amdhsa_reserve_vcc 1
		.amdhsa_reserve_flat_scratch 0
		.amdhsa_float_round_mode_32 0
		.amdhsa_float_round_mode_16_64 0
		.amdhsa_float_denorm_mode_32 3
		.amdhsa_float_denorm_mode_16_64 3
		.amdhsa_dx10_clamp 1
		.amdhsa_ieee_mode 1
		.amdhsa_fp16_overflow 0
		.amdhsa_exception_fp_ieee_invalid_op 0
		.amdhsa_exception_fp_denorm_src 0
		.amdhsa_exception_fp_ieee_div_zero 0
		.amdhsa_exception_fp_ieee_overflow 0
		.amdhsa_exception_fp_ieee_underflow 0
		.amdhsa_exception_fp_ieee_inexact 0
		.amdhsa_exception_int_div_zero 0
	.end_amdhsa_kernel
	.section	.text._ZL34rocblas_syrkx_herkx_general_kernelIlfLi16ELi32ELi8ELb1ELb0ELc67ELc76EKPKfKPfEviT_T0_PT8_S5_lS8_S5_lS6_PT9_S5_li,"axG",@progbits,_ZL34rocblas_syrkx_herkx_general_kernelIlfLi16ELi32ELi8ELb1ELb0ELc67ELc76EKPKfKPfEviT_T0_PT8_S5_lS8_S5_lS6_PT9_S5_li,comdat
.Lfunc_end1449:
	.size	_ZL34rocblas_syrkx_herkx_general_kernelIlfLi16ELi32ELi8ELb1ELb0ELc67ELc76EKPKfKPfEviT_T0_PT8_S5_lS8_S5_lS6_PT9_S5_li, .Lfunc_end1449-_ZL34rocblas_syrkx_herkx_general_kernelIlfLi16ELi32ELi8ELb1ELb0ELc67ELc76EKPKfKPfEviT_T0_PT8_S5_lS8_S5_lS6_PT9_S5_li
                                        ; -- End function
	.set _ZL34rocblas_syrkx_herkx_general_kernelIlfLi16ELi32ELi8ELb1ELb0ELc67ELc76EKPKfKPfEviT_T0_PT8_S5_lS8_S5_lS6_PT9_S5_li.num_vgpr, 36
	.set _ZL34rocblas_syrkx_herkx_general_kernelIlfLi16ELi32ELi8ELb1ELb0ELc67ELc76EKPKfKPfEviT_T0_PT8_S5_lS8_S5_lS6_PT9_S5_li.num_agpr, 0
	.set _ZL34rocblas_syrkx_herkx_general_kernelIlfLi16ELi32ELi8ELb1ELb0ELc67ELc76EKPKfKPfEviT_T0_PT8_S5_lS8_S5_lS6_PT9_S5_li.numbered_sgpr, 28
	.set _ZL34rocblas_syrkx_herkx_general_kernelIlfLi16ELi32ELi8ELb1ELb0ELc67ELc76EKPKfKPfEviT_T0_PT8_S5_lS8_S5_lS6_PT9_S5_li.num_named_barrier, 0
	.set _ZL34rocblas_syrkx_herkx_general_kernelIlfLi16ELi32ELi8ELb1ELb0ELc67ELc76EKPKfKPfEviT_T0_PT8_S5_lS8_S5_lS6_PT9_S5_li.private_seg_size, 0
	.set _ZL34rocblas_syrkx_herkx_general_kernelIlfLi16ELi32ELi8ELb1ELb0ELc67ELc76EKPKfKPfEviT_T0_PT8_S5_lS8_S5_lS6_PT9_S5_li.uses_vcc, 1
	.set _ZL34rocblas_syrkx_herkx_general_kernelIlfLi16ELi32ELi8ELb1ELb0ELc67ELc76EKPKfKPfEviT_T0_PT8_S5_lS8_S5_lS6_PT9_S5_li.uses_flat_scratch, 0
	.set _ZL34rocblas_syrkx_herkx_general_kernelIlfLi16ELi32ELi8ELb1ELb0ELc67ELc76EKPKfKPfEviT_T0_PT8_S5_lS8_S5_lS6_PT9_S5_li.has_dyn_sized_stack, 0
	.set _ZL34rocblas_syrkx_herkx_general_kernelIlfLi16ELi32ELi8ELb1ELb0ELc67ELc76EKPKfKPfEviT_T0_PT8_S5_lS8_S5_lS6_PT9_S5_li.has_recursion, 0
	.set _ZL34rocblas_syrkx_herkx_general_kernelIlfLi16ELi32ELi8ELb1ELb0ELc67ELc76EKPKfKPfEviT_T0_PT8_S5_lS8_S5_lS6_PT9_S5_li.has_indirect_call, 0
	.section	.AMDGPU.csdata,"",@progbits
; Kernel info:
; codeLenInByte = 1240
; TotalNumSgprs: 32
; NumVgprs: 36
; ScratchSize: 0
; MemoryBound: 0
; FloatMode: 240
; IeeeMode: 1
; LDSByteSize: 2048 bytes/workgroup (compile time only)
; SGPRBlocks: 3
; VGPRBlocks: 8
; NumSGPRsForWavesPerEU: 32
; NumVGPRsForWavesPerEU: 36
; Occupancy: 7
; WaveLimiterHint : 1
; COMPUTE_PGM_RSRC2:SCRATCH_EN: 0
; COMPUTE_PGM_RSRC2:USER_SGPR: 6
; COMPUTE_PGM_RSRC2:TRAP_HANDLER: 0
; COMPUTE_PGM_RSRC2:TGID_X_EN: 1
; COMPUTE_PGM_RSRC2:TGID_Y_EN: 1
; COMPUTE_PGM_RSRC2:TGID_Z_EN: 1
; COMPUTE_PGM_RSRC2:TIDIG_COMP_CNT: 1
	.section	.text._ZL34rocblas_syrkx_herkx_general_kernelIlfLi16ELi32ELi8ELb1ELb0ELc78ELc76EKPKfKPfEviT_T0_PT8_S5_lS8_S5_lS6_PT9_S5_li,"axG",@progbits,_ZL34rocblas_syrkx_herkx_general_kernelIlfLi16ELi32ELi8ELb1ELb0ELc78ELc76EKPKfKPfEviT_T0_PT8_S5_lS8_S5_lS6_PT9_S5_li,comdat
	.globl	_ZL34rocblas_syrkx_herkx_general_kernelIlfLi16ELi32ELi8ELb1ELb0ELc78ELc76EKPKfKPfEviT_T0_PT8_S5_lS8_S5_lS6_PT9_S5_li ; -- Begin function _ZL34rocblas_syrkx_herkx_general_kernelIlfLi16ELi32ELi8ELb1ELb0ELc78ELc76EKPKfKPfEviT_T0_PT8_S5_lS8_S5_lS6_PT9_S5_li
	.p2align	8
	.type	_ZL34rocblas_syrkx_herkx_general_kernelIlfLi16ELi32ELi8ELb1ELb0ELc78ELc76EKPKfKPfEviT_T0_PT8_S5_lS8_S5_lS6_PT9_S5_li,@function
_ZL34rocblas_syrkx_herkx_general_kernelIlfLi16ELi32ELi8ELb1ELb0ELc78ELc76EKPKfKPfEviT_T0_PT8_S5_lS8_S5_lS6_PT9_S5_li: ; @_ZL34rocblas_syrkx_herkx_general_kernelIlfLi16ELi32ELi8ELb1ELb0ELc78ELc76EKPKfKPfEviT_T0_PT8_S5_lS8_S5_lS6_PT9_S5_li
; %bb.0:
	s_load_dwordx4 s[12:15], s[4:5], 0x50
	s_load_dword s22, s[4:5], 0x0
	s_load_dwordx2 s[20:21], s[4:5], 0x8
	s_mov_b32 s9, 0
	s_lshl_b64 s[0:1], s[8:9], 3
	s_waitcnt lgkmcnt(0)
	s_add_u32 s2, s12, s0
	s_addc_u32 s3, s13, s1
	s_load_dwordx2 s[12:13], s[2:3], 0x0
	v_cmp_lt_i64_e64 s[2:3], s[20:21], 1
	s_lshl_b32 s23, s6, 5
	s_lshl_b32 s24, s7, 5
	s_and_b64 vcc, exec, s[2:3]
	s_cbranch_vccnz .LBB1450_7
; %bb.1:
	s_load_dwordx4 s[16:19], s[4:5], 0x18
	s_load_dwordx4 s[8:11], s[4:5], 0x30
	v_lshl_add_u32 v2, v1, 4, v0
	v_and_b32_e32 v7, 31, v2
	v_lshrrev_b32_e32 v5, 3, v2
	v_or_b32_e32 v3, s23, v7
	s_waitcnt lgkmcnt(0)
	s_add_u32 s2, s8, s0
	s_addc_u32 s3, s9, s1
	s_add_u32 s0, s16, s0
	v_lshrrev_b32_e32 v8, 5, v2
	s_addc_u32 s1, s17, s1
	v_lshlrev_b32_e32 v2, 2, v7
	s_load_dwordx2 s[8:9], s[0:1], 0x0
	v_cmp_gt_i32_e64 s[0:1], s22, v3
	v_lshl_or_b32 v11, v8, 7, v2
	v_mad_u64_u32 v[2:3], s[16:17], s18, v8, 0
	v_add_u32_e32 v4, s24, v5
	v_and_b32_e32 v9, 7, v0
	v_mad_u64_u32 v[15:16], s[16:17], s19, v8, v[3:4]
	v_mov_b32_e32 v3, 0x400
	v_lshl_add_u32 v14, v1, 5, v3
	v_mov_b32_e32 v3, v15
	v_add_u32_e32 v15, s23, v7
	v_ashrrev_i32_e32 v16, 31, v15
	v_mad_u64_u32 v[17:18], s[16:17], s10, v9, 0
	v_lshlrev_b64 v[2:3], 2, v[2:3]
	v_lshlrev_b64 v[15:16], 2, v[15:16]
	v_lshlrev_b32_e32 v10, 2, v9
	v_add_co_u32_e32 v7, vcc, v2, v15
	v_addc_co_u32_e32 v3, vcc, v3, v16, vcc
	v_mov_b32_e32 v2, v18
	v_mad_u64_u32 v[15:16], s[16:17], s11, v9, v[2:3]
	v_lshl_or_b32 v5, v5, 5, v10
	s_load_dwordx2 s[6:7], s[2:3], 0x0
	v_add_u32_e32 v12, 0x400, v5
	v_ashrrev_i32_e32 v5, 31, v4
	v_mov_b32_e32 v18, v15
	v_cmp_gt_i32_e64 s[2:3], s22, v4
	s_waitcnt lgkmcnt(0)
	v_mov_b32_e32 v10, s9
	v_add_co_u32_e32 v2, vcc, s8, v7
	v_lshlrev_b64 v[15:16], 2, v[17:18]
	v_lshlrev_b64 v[4:5], 2, v[4:5]
	v_addc_co_u32_e32 v3, vcc, v10, v3, vcc
	v_add_co_u32_e32 v4, vcc, v15, v4
	v_addc_co_u32_e32 v5, vcc, v16, v5, vcc
	v_mov_b32_e32 v7, s7
	v_add_co_u32_e32 v4, vcc, s6, v4
	v_mov_b32_e32 v6, 0
	v_lshlrev_b32_e32 v13, 2, v0
	s_lshl_b64 s[8:9], s[18:19], 5
	v_addc_co_u32_e32 v5, vcc, v7, v5, vcc
	s_lshl_b64 s[10:11], s[10:11], 5
	s_mov_b64 s[16:17], 0
	v_mov_b32_e32 v7, 0
	v_mov_b32_e32 v10, 0
	;; [unrolled: 1-line block ×3, first 2 shown]
	s_branch .LBB1450_3
.LBB1450_2:                             ;   in Loop: Header=BB1450_3 Depth=1
	s_or_b64 exec, exec, s[6:7]
	s_waitcnt vmcnt(0) lgkmcnt(0)
	ds_write_b32 v12, v16
	s_waitcnt lgkmcnt(0)
	s_barrier
	ds_read2_b32 v[28:29], v13 offset1:16
	ds_read_b128 v[16:19], v14
	ds_read2_b32 v[30:31], v13 offset0:32 offset1:48
	ds_read2_b32 v[32:33], v13 offset0:64 offset1:80
	ds_read_b128 v[20:23], v14 offset:16
	ds_read2_b32 v[34:35], v13 offset0:96 offset1:112
	s_waitcnt lgkmcnt(4)
	v_fmac_f32_e32 v15, v28, v16
	v_fmac_f32_e32 v10, v29, v16
	s_waitcnt lgkmcnt(3)
	v_fmac_f32_e32 v15, v30, v17
	v_fmac_f32_e32 v10, v31, v17
	;; [unrolled: 3-line block ×4, first 2 shown]
	ds_read_b128 v[16:19], v14 offset:512
	ds_read_b128 v[24:27], v14 offset:528
	v_add_co_u32_e32 v2, vcc, s8, v2
	s_add_u32 s16, s16, 8
	s_waitcnt lgkmcnt(1)
	v_fmac_f32_e32 v7, v28, v16
	v_fmac_f32_e32 v6, v29, v16
	;; [unrolled: 1-line block ×4, first 2 shown]
	ds_read2_b32 v[16:17], v13 offset0:128 offset1:144
	v_fmac_f32_e32 v7, v32, v18
	v_fmac_f32_e32 v6, v33, v18
	;; [unrolled: 1-line block ×4, first 2 shown]
	ds_read2_b32 v[18:19], v13 offset0:160 offset1:176
	ds_read2_b32 v[28:29], v13 offset0:192 offset1:208
	s_waitcnt lgkmcnt(2)
	v_fmac_f32_e32 v15, v16, v20
	ds_read2_b32 v[30:31], v13 offset0:224 offset1:240
	v_fmac_f32_e32 v7, v16, v24
	v_mov_b32_e32 v16, s9
	v_fmac_f32_e32 v10, v17, v20
	v_fmac_f32_e32 v6, v17, v24
	v_addc_co_u32_e32 v3, vcc, v3, v16, vcc
	v_mov_b32_e32 v16, s20
	s_addc_u32 s17, s17, 0
	v_mov_b32_e32 v17, s21
	s_waitcnt lgkmcnt(2)
	v_fmac_f32_e32 v15, v18, v21
	v_fmac_f32_e32 v10, v19, v21
	;; [unrolled: 1-line block ×4, first 2 shown]
	v_cmp_ge_i64_e32 vcc, s[16:17], v[16:17]
	s_waitcnt lgkmcnt(1)
	v_fmac_f32_e32 v15, v28, v22
	v_fmac_f32_e32 v10, v29, v22
	v_fmac_f32_e32 v7, v28, v26
	v_fmac_f32_e32 v6, v29, v26
	v_mov_b32_e32 v18, s11
	v_add_co_u32_e64 v4, s[6:7], s10, v4
	s_waitcnt lgkmcnt(0)
	v_fmac_f32_e32 v15, v30, v23
	v_fmac_f32_e32 v10, v31, v23
	;; [unrolled: 1-line block ×4, first 2 shown]
	v_addc_co_u32_e64 v5, s[6:7], v5, v18, s[6:7]
	s_barrier
	s_cbranch_vccnz .LBB1450_8
.LBB1450_3:                             ; =>This Inner Loop Header: Depth=1
	v_mov_b32_e32 v17, s17
	v_add_co_u32_e32 v16, vcc, s16, v8
	v_addc_co_u32_e32 v17, vcc, 0, v17, vcc
	v_cmp_gt_i64_e32 vcc, s[20:21], v[16:17]
	v_mov_b32_e32 v16, 0
	s_and_b64 s[18:19], s[0:1], vcc
	s_and_saveexec_b64 s[6:7], s[18:19]
	s_cbranch_execz .LBB1450_5
; %bb.4:                                ;   in Loop: Header=BB1450_3 Depth=1
	flat_load_dword v16, v[2:3]
.LBB1450_5:                             ;   in Loop: Header=BB1450_3 Depth=1
	s_or_b64 exec, exec, s[6:7]
	v_mov_b32_e32 v18, s17
	v_add_co_u32_e32 v17, vcc, s16, v9
	v_addc_co_u32_e32 v18, vcc, 0, v18, vcc
	v_cmp_gt_i64_e32 vcc, s[20:21], v[17:18]
	s_waitcnt vmcnt(0) lgkmcnt(0)
	ds_write_b32 v11, v16
	s_and_b64 s[18:19], vcc, s[2:3]
	v_mov_b32_e32 v16, 0
	s_and_saveexec_b64 s[6:7], s[18:19]
	s_cbranch_execz .LBB1450_2
; %bb.6:                                ;   in Loop: Header=BB1450_3 Depth=1
	flat_load_dword v16, v[4:5]
	s_branch .LBB1450_2
.LBB1450_7:
	v_mov_b32_e32 v15, 0
	v_mov_b32_e32 v10, 0
	;; [unrolled: 1-line block ×4, first 2 shown]
.LBB1450_8:
	v_add_u32_e32 v4, s24, v1
	v_ashrrev_i32_e32 v1, 31, v4
	v_mul_lo_u32 v3, s14, v1
	v_mul_lo_u32 v5, s15, v4
	v_mad_u64_u32 v[1:2], s[0:1], s14, v4, 0
	s_load_dword s6, s[4:5], 0x10
	v_add_u32_e32 v0, s23, v0
	v_add3_u32 v2, v2, v3, v5
	v_lshlrev_b64 v[1:2], 2, v[1:2]
	s_waitcnt lgkmcnt(0)
	v_mov_b32_e32 v3, s13
	v_add_co_u32_e32 v5, vcc, s12, v1
	v_addc_co_u32_e32 v8, vcc, v3, v2, vcc
	v_cmp_le_i32_e64 s[0:1], v4, v0
	v_cmp_gt_i32_e32 vcc, s22, v0
	s_and_b64 s[0:1], s[0:1], vcc
	s_and_saveexec_b64 s[2:3], s[0:1]
	s_cbranch_execz .LBB1450_10
; %bb.9:
	v_ashrrev_i32_e32 v1, 31, v0
	v_lshlrev_b64 v[1:2], 2, v[0:1]
	v_mul_f32_e32 v3, s6, v15
	v_add_co_u32_e64 v1, s[0:1], v5, v1
	v_addc_co_u32_e64 v2, s[0:1], v8, v2, s[0:1]
	flat_store_dword v[1:2], v3
.LBB1450_10:
	s_or_b64 exec, exec, s[2:3]
	v_add_u32_e32 v2, 16, v0
	v_cmp_le_i32_e64 s[2:3], v4, v2
	v_cmp_gt_i32_e64 s[0:1], s22, v2
	s_and_b64 s[2:3], s[2:3], s[0:1]
	s_and_saveexec_b64 s[4:5], s[2:3]
	s_cbranch_execz .LBB1450_12
; %bb.11:
	v_ashrrev_i32_e32 v3, 31, v2
	v_mul_f32_e32 v1, s6, v10
	v_lshlrev_b64 v[9:10], 2, v[2:3]
	v_add_co_u32_e64 v9, s[2:3], v5, v9
	v_addc_co_u32_e64 v10, s[2:3], v8, v10, s[2:3]
	flat_store_dword v[9:10], v1
.LBB1450_12:
	s_or_b64 exec, exec, s[4:5]
	v_add_u32_e32 v3, 16, v4
	v_ashrrev_i32_e32 v1, 31, v3
	v_mul_lo_u32 v8, s15, v3
	v_mad_u64_u32 v[4:5], s[2:3], s14, v3, 0
	v_mul_lo_u32 v1, s14, v1
	v_add3_u32 v5, v5, v1, v8
	v_lshlrev_b64 v[4:5], 2, v[4:5]
	v_mov_b32_e32 v1, s13
	v_add_co_u32_e64 v4, s[2:3], s12, v4
	v_addc_co_u32_e64 v5, s[2:3], v1, v5, s[2:3]
	v_cmp_le_i32_e64 s[2:3], v3, v0
	s_and_b64 s[4:5], s[2:3], vcc
	s_and_saveexec_b64 s[2:3], s[4:5]
	s_cbranch_execz .LBB1450_14
; %bb.13:
	v_ashrrev_i32_e32 v1, 31, v0
	v_lshlrev_b64 v[0:1], 2, v[0:1]
	v_mul_f32_e32 v7, s6, v7
	v_add_co_u32_e32 v0, vcc, v4, v0
	v_addc_co_u32_e32 v1, vcc, v5, v1, vcc
	flat_store_dword v[0:1], v7
.LBB1450_14:
	s_or_b64 exec, exec, s[2:3]
	v_cmp_le_i32_e32 vcc, v3, v2
	s_and_b64 s[0:1], vcc, s[0:1]
	s_and_saveexec_b64 s[2:3], s[0:1]
	s_cbranch_execz .LBB1450_16
; %bb.15:
	v_ashrrev_i32_e32 v3, 31, v2
	v_lshlrev_b64 v[0:1], 2, v[2:3]
	v_mul_f32_e32 v6, s6, v6
	v_add_co_u32_e32 v0, vcc, v4, v0
	v_addc_co_u32_e32 v1, vcc, v5, v1, vcc
	flat_store_dword v[0:1], v6
.LBB1450_16:
	s_endpgm
	.section	.rodata,"a",@progbits
	.p2align	6, 0x0
	.amdhsa_kernel _ZL34rocblas_syrkx_herkx_general_kernelIlfLi16ELi32ELi8ELb1ELb0ELc78ELc76EKPKfKPfEviT_T0_PT8_S5_lS8_S5_lS6_PT9_S5_li
		.amdhsa_group_segment_fixed_size 2048
		.amdhsa_private_segment_fixed_size 0
		.amdhsa_kernarg_size 108
		.amdhsa_user_sgpr_count 6
		.amdhsa_user_sgpr_private_segment_buffer 1
		.amdhsa_user_sgpr_dispatch_ptr 0
		.amdhsa_user_sgpr_queue_ptr 0
		.amdhsa_user_sgpr_kernarg_segment_ptr 1
		.amdhsa_user_sgpr_dispatch_id 0
		.amdhsa_user_sgpr_flat_scratch_init 0
		.amdhsa_user_sgpr_private_segment_size 0
		.amdhsa_uses_dynamic_stack 0
		.amdhsa_system_sgpr_private_segment_wavefront_offset 0
		.amdhsa_system_sgpr_workgroup_id_x 1
		.amdhsa_system_sgpr_workgroup_id_y 1
		.amdhsa_system_sgpr_workgroup_id_z 1
		.amdhsa_system_sgpr_workgroup_info 0
		.amdhsa_system_vgpr_workitem_id 1
		.amdhsa_next_free_vgpr 36
		.amdhsa_next_free_sgpr 25
		.amdhsa_reserve_vcc 1
		.amdhsa_reserve_flat_scratch 0
		.amdhsa_float_round_mode_32 0
		.amdhsa_float_round_mode_16_64 0
		.amdhsa_float_denorm_mode_32 3
		.amdhsa_float_denorm_mode_16_64 3
		.amdhsa_dx10_clamp 1
		.amdhsa_ieee_mode 1
		.amdhsa_fp16_overflow 0
		.amdhsa_exception_fp_ieee_invalid_op 0
		.amdhsa_exception_fp_denorm_src 0
		.amdhsa_exception_fp_ieee_div_zero 0
		.amdhsa_exception_fp_ieee_overflow 0
		.amdhsa_exception_fp_ieee_underflow 0
		.amdhsa_exception_fp_ieee_inexact 0
		.amdhsa_exception_int_div_zero 0
	.end_amdhsa_kernel
	.section	.text._ZL34rocblas_syrkx_herkx_general_kernelIlfLi16ELi32ELi8ELb1ELb0ELc78ELc76EKPKfKPfEviT_T0_PT8_S5_lS8_S5_lS6_PT9_S5_li,"axG",@progbits,_ZL34rocblas_syrkx_herkx_general_kernelIlfLi16ELi32ELi8ELb1ELb0ELc78ELc76EKPKfKPfEviT_T0_PT8_S5_lS8_S5_lS6_PT9_S5_li,comdat
.Lfunc_end1450:
	.size	_ZL34rocblas_syrkx_herkx_general_kernelIlfLi16ELi32ELi8ELb1ELb0ELc78ELc76EKPKfKPfEviT_T0_PT8_S5_lS8_S5_lS6_PT9_S5_li, .Lfunc_end1450-_ZL34rocblas_syrkx_herkx_general_kernelIlfLi16ELi32ELi8ELb1ELb0ELc78ELc76EKPKfKPfEviT_T0_PT8_S5_lS8_S5_lS6_PT9_S5_li
                                        ; -- End function
	.set _ZL34rocblas_syrkx_herkx_general_kernelIlfLi16ELi32ELi8ELb1ELb0ELc78ELc76EKPKfKPfEviT_T0_PT8_S5_lS8_S5_lS6_PT9_S5_li.num_vgpr, 36
	.set _ZL34rocblas_syrkx_herkx_general_kernelIlfLi16ELi32ELi8ELb1ELb0ELc78ELc76EKPKfKPfEviT_T0_PT8_S5_lS8_S5_lS6_PT9_S5_li.num_agpr, 0
	.set _ZL34rocblas_syrkx_herkx_general_kernelIlfLi16ELi32ELi8ELb1ELb0ELc78ELc76EKPKfKPfEviT_T0_PT8_S5_lS8_S5_lS6_PT9_S5_li.numbered_sgpr, 25
	.set _ZL34rocblas_syrkx_herkx_general_kernelIlfLi16ELi32ELi8ELb1ELb0ELc78ELc76EKPKfKPfEviT_T0_PT8_S5_lS8_S5_lS6_PT9_S5_li.num_named_barrier, 0
	.set _ZL34rocblas_syrkx_herkx_general_kernelIlfLi16ELi32ELi8ELb1ELb0ELc78ELc76EKPKfKPfEviT_T0_PT8_S5_lS8_S5_lS6_PT9_S5_li.private_seg_size, 0
	.set _ZL34rocblas_syrkx_herkx_general_kernelIlfLi16ELi32ELi8ELb1ELb0ELc78ELc76EKPKfKPfEviT_T0_PT8_S5_lS8_S5_lS6_PT9_S5_li.uses_vcc, 1
	.set _ZL34rocblas_syrkx_herkx_general_kernelIlfLi16ELi32ELi8ELb1ELb0ELc78ELc76EKPKfKPfEviT_T0_PT8_S5_lS8_S5_lS6_PT9_S5_li.uses_flat_scratch, 0
	.set _ZL34rocblas_syrkx_herkx_general_kernelIlfLi16ELi32ELi8ELb1ELb0ELc78ELc76EKPKfKPfEviT_T0_PT8_S5_lS8_S5_lS6_PT9_S5_li.has_dyn_sized_stack, 0
	.set _ZL34rocblas_syrkx_herkx_general_kernelIlfLi16ELi32ELi8ELb1ELb0ELc78ELc76EKPKfKPfEviT_T0_PT8_S5_lS8_S5_lS6_PT9_S5_li.has_recursion, 0
	.set _ZL34rocblas_syrkx_herkx_general_kernelIlfLi16ELi32ELi8ELb1ELb0ELc78ELc76EKPKfKPfEviT_T0_PT8_S5_lS8_S5_lS6_PT9_S5_li.has_indirect_call, 0
	.section	.AMDGPU.csdata,"",@progbits
; Kernel info:
; codeLenInByte = 1248
; TotalNumSgprs: 29
; NumVgprs: 36
; ScratchSize: 0
; MemoryBound: 0
; FloatMode: 240
; IeeeMode: 1
; LDSByteSize: 2048 bytes/workgroup (compile time only)
; SGPRBlocks: 3
; VGPRBlocks: 8
; NumSGPRsForWavesPerEU: 29
; NumVGPRsForWavesPerEU: 36
; Occupancy: 7
; WaveLimiterHint : 1
; COMPUTE_PGM_RSRC2:SCRATCH_EN: 0
; COMPUTE_PGM_RSRC2:USER_SGPR: 6
; COMPUTE_PGM_RSRC2:TRAP_HANDLER: 0
; COMPUTE_PGM_RSRC2:TGID_X_EN: 1
; COMPUTE_PGM_RSRC2:TGID_Y_EN: 1
; COMPUTE_PGM_RSRC2:TGID_Z_EN: 1
; COMPUTE_PGM_RSRC2:TIDIG_COMP_CNT: 1
	.section	.text._ZL34rocblas_syrkx_herkx_general_kernelIlfLi16ELi32ELi8ELb1ELb0ELc84ELc85EKPKfKPfEviT_T0_PT8_S5_lS8_S5_lS6_PT9_S5_li,"axG",@progbits,_ZL34rocblas_syrkx_herkx_general_kernelIlfLi16ELi32ELi8ELb1ELb0ELc84ELc85EKPKfKPfEviT_T0_PT8_S5_lS8_S5_lS6_PT9_S5_li,comdat
	.globl	_ZL34rocblas_syrkx_herkx_general_kernelIlfLi16ELi32ELi8ELb1ELb0ELc84ELc85EKPKfKPfEviT_T0_PT8_S5_lS8_S5_lS6_PT9_S5_li ; -- Begin function _ZL34rocblas_syrkx_herkx_general_kernelIlfLi16ELi32ELi8ELb1ELb0ELc84ELc85EKPKfKPfEviT_T0_PT8_S5_lS8_S5_lS6_PT9_S5_li
	.p2align	8
	.type	_ZL34rocblas_syrkx_herkx_general_kernelIlfLi16ELi32ELi8ELb1ELb0ELc84ELc85EKPKfKPfEviT_T0_PT8_S5_lS8_S5_lS6_PT9_S5_li,@function
_ZL34rocblas_syrkx_herkx_general_kernelIlfLi16ELi32ELi8ELb1ELb0ELc84ELc85EKPKfKPfEviT_T0_PT8_S5_lS8_S5_lS6_PT9_S5_li: ; @_ZL34rocblas_syrkx_herkx_general_kernelIlfLi16ELi32ELi8ELb1ELb0ELc84ELc85EKPKfKPfEviT_T0_PT8_S5_lS8_S5_lS6_PT9_S5_li
; %bb.0:
	s_load_dwordx4 s[12:15], s[4:5], 0x50
	s_load_dword s18, s[4:5], 0x0
	s_load_dwordx2 s[16:17], s[4:5], 0x8
	s_mov_b32 s9, 0
	s_lshl_b64 s[0:1], s[8:9], 3
	s_waitcnt lgkmcnt(0)
	s_add_u32 s2, s12, s0
	s_addc_u32 s3, s13, s1
	s_load_dwordx2 s[12:13], s[2:3], 0x0
	v_cmp_lt_i64_e64 s[2:3], s[16:17], 1
	s_lshl_b32 s19, s6, 5
	s_lshl_b32 s20, s7, 5
	s_and_b64 vcc, exec, s[2:3]
	s_cbranch_vccnz .LBB1451_7
; %bb.1:
	s_load_dwordx4 s[24:27], s[4:5], 0x18
	s_load_dwordx4 s[8:11], s[4:5], 0x30
	v_lshl_add_u32 v2, v1, 4, v0
	v_and_b32_e32 v5, 31, v2
	v_or_b32_e32 v7, s19, v5
	v_and_b32_e32 v10, 7, v0
	s_waitcnt lgkmcnt(0)
	s_add_u32 s2, s8, s0
	s_addc_u32 s3, s9, s1
	s_add_u32 s0, s24, s0
	s_addc_u32 s1, s25, s1
	v_lshrrev_b32_e32 v3, 3, v2
	v_lshrrev_b32_e32 v8, 5, v2
	s_load_dwordx2 s[8:9], s[0:1], 0x0
	v_cmp_gt_i32_e64 s[0:1], s18, v7
	v_lshlrev_b32_e32 v2, 2, v5
	v_lshlrev_b32_e32 v7, 2, v10
	v_lshl_or_b32 v11, v8, 7, v2
	v_lshl_or_b32 v2, v3, 5, v7
	v_add_u32_e32 v12, 0x400, v2
	v_add_u32_e32 v2, s19, v5
	;; [unrolled: 1-line block ×3, first 2 shown]
	v_ashrrev_i32_e32 v3, 31, v2
	v_mul_lo_u32 v5, s26, v3
	v_mul_lo_u32 v13, s27, v2
	v_mad_u64_u32 v[2:3], s[22:23], s26, v2, 0
	v_ashrrev_i32_e32 v9, 31, v4
	s_load_dwordx2 s[6:7], s[2:3], 0x0
	v_add3_u32 v3, v3, v5, v13
	v_lshlrev_b64 v[2:3], 2, v[2:3]
	v_lshlrev_b32_e32 v5, 2, v8
	v_cmp_gt_i32_e64 s[2:3], s18, v4
	v_add_co_u32_e32 v2, vcc, v2, v5
	v_mul_lo_u32 v9, s10, v9
	v_mul_lo_u32 v16, s11, v4
	v_mad_u64_u32 v[4:5], s[10:11], s10, v4, 0
	v_addc_co_u32_e32 v3, vcc, 0, v3, vcc
	v_add3_u32 v5, v5, v9, v16
	s_waitcnt lgkmcnt(0)
	v_mov_b32_e32 v13, s9
	v_add_co_u32_e32 v2, vcc, s8, v2
	v_lshlrev_b64 v[4:5], 2, v[4:5]
	v_addc_co_u32_e32 v3, vcc, v13, v3, vcc
	v_add_co_u32_e32 v4, vcc, v4, v7
	v_addc_co_u32_e32 v5, vcc, 0, v5, vcc
	v_mov_b32_e32 v15, 0x400
	v_mov_b32_e32 v7, s7
	v_add_co_u32_e32 v4, vcc, s6, v4
	v_mov_b32_e32 v6, 0
	v_lshlrev_b32_e32 v14, 2, v0
	v_lshl_add_u32 v15, v1, 5, v15
	v_addc_co_u32_e32 v5, vcc, v7, v5, vcc
	s_mov_b64 s[8:9], 0
	v_mov_b32_e32 v7, 0
	v_mov_b32_e32 v9, 0
	;; [unrolled: 1-line block ×3, first 2 shown]
	s_branch .LBB1451_3
.LBB1451_2:                             ;   in Loop: Header=BB1451_3 Depth=1
	s_or_b64 exec, exec, s[6:7]
	s_waitcnt vmcnt(0) lgkmcnt(0)
	ds_write_b32 v12, v16
	s_waitcnt lgkmcnt(0)
	s_barrier
	ds_read2_b32 v[28:29], v14 offset1:16
	ds_read_b128 v[16:19], v15
	ds_read2_b32 v[30:31], v14 offset0:32 offset1:48
	ds_read2_b32 v[32:33], v14 offset0:64 offset1:80
	ds_read_b128 v[20:23], v15 offset:16
	ds_read2_b32 v[34:35], v14 offset0:96 offset1:112
	s_waitcnt lgkmcnt(4)
	v_fmac_f32_e32 v13, v28, v16
	v_fmac_f32_e32 v9, v29, v16
	s_waitcnt lgkmcnt(3)
	v_fmac_f32_e32 v13, v30, v17
	v_fmac_f32_e32 v9, v31, v17
	;; [unrolled: 3-line block ×4, first 2 shown]
	ds_read_b128 v[16:19], v15 offset:512
	ds_read_b128 v[24:27], v15 offset:528
	s_add_u32 s8, s8, 8
	v_add_co_u32_e32 v2, vcc, 32, v2
	s_waitcnt lgkmcnt(1)
	v_fmac_f32_e32 v7, v28, v16
	v_fmac_f32_e32 v6, v29, v16
	;; [unrolled: 1-line block ×4, first 2 shown]
	ds_read2_b32 v[16:17], v14 offset0:128 offset1:144
	v_fmac_f32_e32 v7, v32, v18
	v_fmac_f32_e32 v6, v33, v18
	;; [unrolled: 1-line block ×4, first 2 shown]
	ds_read2_b32 v[18:19], v14 offset0:160 offset1:176
	ds_read2_b32 v[28:29], v14 offset0:192 offset1:208
	;; [unrolled: 1-line block ×3, first 2 shown]
	s_waitcnt lgkmcnt(3)
	v_fmac_f32_e32 v13, v16, v20
	v_fmac_f32_e32 v9, v17, v20
	;; [unrolled: 1-line block ×4, first 2 shown]
	v_mov_b32_e32 v16, s16
	s_addc_u32 s9, s9, 0
	v_addc_co_u32_e32 v3, vcc, 0, v3, vcc
	v_mov_b32_e32 v17, s17
	s_waitcnt lgkmcnt(2)
	v_fmac_f32_e32 v13, v18, v21
	v_fmac_f32_e32 v9, v19, v21
	;; [unrolled: 1-line block ×4, first 2 shown]
	v_cmp_ge_i64_e32 vcc, s[8:9], v[16:17]
	s_waitcnt lgkmcnt(1)
	v_fmac_f32_e32 v13, v28, v22
	v_fmac_f32_e32 v9, v29, v22
	;; [unrolled: 1-line block ×4, first 2 shown]
	v_add_co_u32_e64 v4, s[6:7], 32, v4
	s_waitcnt lgkmcnt(0)
	v_fmac_f32_e32 v13, v30, v23
	v_fmac_f32_e32 v9, v31, v23
	v_fmac_f32_e32 v7, v30, v27
	v_fmac_f32_e32 v6, v31, v27
	v_addc_co_u32_e64 v5, s[6:7], 0, v5, s[6:7]
	s_barrier
	s_cbranch_vccnz .LBB1451_8
.LBB1451_3:                             ; =>This Inner Loop Header: Depth=1
	v_mov_b32_e32 v17, s9
	v_add_co_u32_e32 v16, vcc, s8, v8
	v_addc_co_u32_e32 v17, vcc, 0, v17, vcc
	v_cmp_gt_i64_e32 vcc, s[16:17], v[16:17]
	v_mov_b32_e32 v16, 0
	s_and_b64 s[10:11], s[0:1], vcc
	s_and_saveexec_b64 s[6:7], s[10:11]
	s_cbranch_execz .LBB1451_5
; %bb.4:                                ;   in Loop: Header=BB1451_3 Depth=1
	flat_load_dword v16, v[2:3]
.LBB1451_5:                             ;   in Loop: Header=BB1451_3 Depth=1
	s_or_b64 exec, exec, s[6:7]
	v_mov_b32_e32 v18, s9
	v_add_co_u32_e32 v17, vcc, s8, v10
	v_addc_co_u32_e32 v18, vcc, 0, v18, vcc
	v_cmp_gt_i64_e32 vcc, s[16:17], v[17:18]
	s_waitcnt vmcnt(0) lgkmcnt(0)
	ds_write_b32 v11, v16
	s_and_b64 s[10:11], vcc, s[2:3]
	v_mov_b32_e32 v16, 0
	s_and_saveexec_b64 s[6:7], s[10:11]
	s_cbranch_execz .LBB1451_2
; %bb.6:                                ;   in Loop: Header=BB1451_3 Depth=1
	flat_load_dword v16, v[4:5]
	s_branch .LBB1451_2
.LBB1451_7:
	v_mov_b32_e32 v13, 0
	v_mov_b32_e32 v9, 0
	;; [unrolled: 1-line block ×4, first 2 shown]
.LBB1451_8:
	v_add_u32_e32 v4, s20, v1
	v_ashrrev_i32_e32 v1, 31, v4
	v_mul_lo_u32 v3, s14, v1
	v_mul_lo_u32 v5, s15, v4
	v_mad_u64_u32 v[1:2], s[0:1], s14, v4, 0
	s_load_dword s4, s[4:5], 0x10
	v_add_u32_e32 v0, s19, v0
	v_add3_u32 v2, v2, v3, v5
	v_lshlrev_b64 v[1:2], 2, v[1:2]
	s_waitcnt lgkmcnt(0)
	v_mov_b32_e32 v3, s13
	v_add_co_u32_e64 v5, s[0:1], s12, v1
	v_addc_co_u32_e64 v8, s[0:1], v3, v2, s[0:1]
	v_cmp_gt_i32_e32 vcc, s18, v4
	v_cmp_le_i32_e64 s[0:1], v0, v4
	s_and_b64 s[0:1], vcc, s[0:1]
	s_and_saveexec_b64 s[2:3], s[0:1]
	s_cbranch_execz .LBB1451_10
; %bb.9:
	v_ashrrev_i32_e32 v1, 31, v0
	v_lshlrev_b64 v[1:2], 2, v[0:1]
	v_mul_f32_e32 v3, s4, v13
	v_add_co_u32_e64 v1, s[0:1], v5, v1
	v_addc_co_u32_e64 v2, s[0:1], v8, v2, s[0:1]
	flat_store_dword v[1:2], v3
.LBB1451_10:
	s_or_b64 exec, exec, s[2:3]
	v_add_u32_e32 v2, 16, v0
	v_cmp_le_i32_e64 s[0:1], v2, v4
	s_and_b64 s[2:3], vcc, s[0:1]
	s_and_saveexec_b64 s[0:1], s[2:3]
	s_cbranch_execz .LBB1451_12
; %bb.11:
	v_ashrrev_i32_e32 v3, 31, v2
	v_mul_f32_e32 v1, s4, v9
	v_lshlrev_b64 v[9:10], 2, v[2:3]
	v_add_co_u32_e32 v9, vcc, v5, v9
	v_addc_co_u32_e32 v10, vcc, v8, v10, vcc
	flat_store_dword v[9:10], v1
.LBB1451_12:
	s_or_b64 exec, exec, s[0:1]
	v_add_u32_e32 v3, 16, v4
	v_ashrrev_i32_e32 v1, 31, v3
	v_mul_lo_u32 v1, s14, v1
	v_mul_lo_u32 v8, s15, v3
	v_mad_u64_u32 v[4:5], s[0:1], s14, v3, 0
	v_cmp_gt_i32_e32 vcc, s18, v3
	v_add3_u32 v5, v5, v1, v8
	v_lshlrev_b64 v[4:5], 2, v[4:5]
	v_mov_b32_e32 v1, s13
	v_add_co_u32_e64 v4, s[0:1], s12, v4
	v_addc_co_u32_e64 v5, s[0:1], v1, v5, s[0:1]
	v_cmp_le_i32_e64 s[0:1], v0, v3
	s_and_b64 s[0:1], vcc, s[0:1]
	s_and_saveexec_b64 s[2:3], s[0:1]
	s_cbranch_execz .LBB1451_14
; %bb.13:
	v_ashrrev_i32_e32 v1, 31, v0
	v_lshlrev_b64 v[0:1], 2, v[0:1]
	v_mul_f32_e32 v7, s4, v7
	v_add_co_u32_e64 v0, s[0:1], v4, v0
	v_addc_co_u32_e64 v1, s[0:1], v5, v1, s[0:1]
	flat_store_dword v[0:1], v7
.LBB1451_14:
	s_or_b64 exec, exec, s[2:3]
	v_cmp_le_i32_e64 s[0:1], v2, v3
	s_and_b64 s[0:1], vcc, s[0:1]
	s_and_saveexec_b64 s[2:3], s[0:1]
	s_cbranch_execz .LBB1451_16
; %bb.15:
	v_ashrrev_i32_e32 v3, 31, v2
	v_lshlrev_b64 v[0:1], 2, v[2:3]
	v_mul_f32_e32 v6, s4, v6
	v_add_co_u32_e32 v0, vcc, v4, v0
	v_addc_co_u32_e32 v1, vcc, v5, v1, vcc
	flat_store_dword v[0:1], v6
.LBB1451_16:
	s_endpgm
	.section	.rodata,"a",@progbits
	.p2align	6, 0x0
	.amdhsa_kernel _ZL34rocblas_syrkx_herkx_general_kernelIlfLi16ELi32ELi8ELb1ELb0ELc84ELc85EKPKfKPfEviT_T0_PT8_S5_lS8_S5_lS6_PT9_S5_li
		.amdhsa_group_segment_fixed_size 2048
		.amdhsa_private_segment_fixed_size 0
		.amdhsa_kernarg_size 108
		.amdhsa_user_sgpr_count 6
		.amdhsa_user_sgpr_private_segment_buffer 1
		.amdhsa_user_sgpr_dispatch_ptr 0
		.amdhsa_user_sgpr_queue_ptr 0
		.amdhsa_user_sgpr_kernarg_segment_ptr 1
		.amdhsa_user_sgpr_dispatch_id 0
		.amdhsa_user_sgpr_flat_scratch_init 0
		.amdhsa_user_sgpr_private_segment_size 0
		.amdhsa_uses_dynamic_stack 0
		.amdhsa_system_sgpr_private_segment_wavefront_offset 0
		.amdhsa_system_sgpr_workgroup_id_x 1
		.amdhsa_system_sgpr_workgroup_id_y 1
		.amdhsa_system_sgpr_workgroup_id_z 1
		.amdhsa_system_sgpr_workgroup_info 0
		.amdhsa_system_vgpr_workitem_id 1
		.amdhsa_next_free_vgpr 36
		.amdhsa_next_free_sgpr 28
		.amdhsa_reserve_vcc 1
		.amdhsa_reserve_flat_scratch 0
		.amdhsa_float_round_mode_32 0
		.amdhsa_float_round_mode_16_64 0
		.amdhsa_float_denorm_mode_32 3
		.amdhsa_float_denorm_mode_16_64 3
		.amdhsa_dx10_clamp 1
		.amdhsa_ieee_mode 1
		.amdhsa_fp16_overflow 0
		.amdhsa_exception_fp_ieee_invalid_op 0
		.amdhsa_exception_fp_denorm_src 0
		.amdhsa_exception_fp_ieee_div_zero 0
		.amdhsa_exception_fp_ieee_overflow 0
		.amdhsa_exception_fp_ieee_underflow 0
		.amdhsa_exception_fp_ieee_inexact 0
		.amdhsa_exception_int_div_zero 0
	.end_amdhsa_kernel
	.section	.text._ZL34rocblas_syrkx_herkx_general_kernelIlfLi16ELi32ELi8ELb1ELb0ELc84ELc85EKPKfKPfEviT_T0_PT8_S5_lS8_S5_lS6_PT9_S5_li,"axG",@progbits,_ZL34rocblas_syrkx_herkx_general_kernelIlfLi16ELi32ELi8ELb1ELb0ELc84ELc85EKPKfKPfEviT_T0_PT8_S5_lS8_S5_lS6_PT9_S5_li,comdat
.Lfunc_end1451:
	.size	_ZL34rocblas_syrkx_herkx_general_kernelIlfLi16ELi32ELi8ELb1ELb0ELc84ELc85EKPKfKPfEviT_T0_PT8_S5_lS8_S5_lS6_PT9_S5_li, .Lfunc_end1451-_ZL34rocblas_syrkx_herkx_general_kernelIlfLi16ELi32ELi8ELb1ELb0ELc84ELc85EKPKfKPfEviT_T0_PT8_S5_lS8_S5_lS6_PT9_S5_li
                                        ; -- End function
	.set _ZL34rocblas_syrkx_herkx_general_kernelIlfLi16ELi32ELi8ELb1ELb0ELc84ELc85EKPKfKPfEviT_T0_PT8_S5_lS8_S5_lS6_PT9_S5_li.num_vgpr, 36
	.set _ZL34rocblas_syrkx_herkx_general_kernelIlfLi16ELi32ELi8ELb1ELb0ELc84ELc85EKPKfKPfEviT_T0_PT8_S5_lS8_S5_lS6_PT9_S5_li.num_agpr, 0
	.set _ZL34rocblas_syrkx_herkx_general_kernelIlfLi16ELi32ELi8ELb1ELb0ELc84ELc85EKPKfKPfEviT_T0_PT8_S5_lS8_S5_lS6_PT9_S5_li.numbered_sgpr, 28
	.set _ZL34rocblas_syrkx_herkx_general_kernelIlfLi16ELi32ELi8ELb1ELb0ELc84ELc85EKPKfKPfEviT_T0_PT8_S5_lS8_S5_lS6_PT9_S5_li.num_named_barrier, 0
	.set _ZL34rocblas_syrkx_herkx_general_kernelIlfLi16ELi32ELi8ELb1ELb0ELc84ELc85EKPKfKPfEviT_T0_PT8_S5_lS8_S5_lS6_PT9_S5_li.private_seg_size, 0
	.set _ZL34rocblas_syrkx_herkx_general_kernelIlfLi16ELi32ELi8ELb1ELb0ELc84ELc85EKPKfKPfEviT_T0_PT8_S5_lS8_S5_lS6_PT9_S5_li.uses_vcc, 1
	.set _ZL34rocblas_syrkx_herkx_general_kernelIlfLi16ELi32ELi8ELb1ELb0ELc84ELc85EKPKfKPfEviT_T0_PT8_S5_lS8_S5_lS6_PT9_S5_li.uses_flat_scratch, 0
	.set _ZL34rocblas_syrkx_herkx_general_kernelIlfLi16ELi32ELi8ELb1ELb0ELc84ELc85EKPKfKPfEviT_T0_PT8_S5_lS8_S5_lS6_PT9_S5_li.has_dyn_sized_stack, 0
	.set _ZL34rocblas_syrkx_herkx_general_kernelIlfLi16ELi32ELi8ELb1ELb0ELc84ELc85EKPKfKPfEviT_T0_PT8_S5_lS8_S5_lS6_PT9_S5_li.has_recursion, 0
	.set _ZL34rocblas_syrkx_herkx_general_kernelIlfLi16ELi32ELi8ELb1ELb0ELc84ELc85EKPKfKPfEviT_T0_PT8_S5_lS8_S5_lS6_PT9_S5_li.has_indirect_call, 0
	.section	.AMDGPU.csdata,"",@progbits
; Kernel info:
; codeLenInByte = 1248
; TotalNumSgprs: 32
; NumVgprs: 36
; ScratchSize: 0
; MemoryBound: 0
; FloatMode: 240
; IeeeMode: 1
; LDSByteSize: 2048 bytes/workgroup (compile time only)
; SGPRBlocks: 3
; VGPRBlocks: 8
; NumSGPRsForWavesPerEU: 32
; NumVGPRsForWavesPerEU: 36
; Occupancy: 7
; WaveLimiterHint : 1
; COMPUTE_PGM_RSRC2:SCRATCH_EN: 0
; COMPUTE_PGM_RSRC2:USER_SGPR: 6
; COMPUTE_PGM_RSRC2:TRAP_HANDLER: 0
; COMPUTE_PGM_RSRC2:TGID_X_EN: 1
; COMPUTE_PGM_RSRC2:TGID_Y_EN: 1
; COMPUTE_PGM_RSRC2:TGID_Z_EN: 1
; COMPUTE_PGM_RSRC2:TIDIG_COMP_CNT: 1
	.section	.text._ZL34rocblas_syrkx_herkx_general_kernelIlfLi16ELi32ELi8ELb1ELb0ELc67ELc85EKPKfKPfEviT_T0_PT8_S5_lS8_S5_lS6_PT9_S5_li,"axG",@progbits,_ZL34rocblas_syrkx_herkx_general_kernelIlfLi16ELi32ELi8ELb1ELb0ELc67ELc85EKPKfKPfEviT_T0_PT8_S5_lS8_S5_lS6_PT9_S5_li,comdat
	.globl	_ZL34rocblas_syrkx_herkx_general_kernelIlfLi16ELi32ELi8ELb1ELb0ELc67ELc85EKPKfKPfEviT_T0_PT8_S5_lS8_S5_lS6_PT9_S5_li ; -- Begin function _ZL34rocblas_syrkx_herkx_general_kernelIlfLi16ELi32ELi8ELb1ELb0ELc67ELc85EKPKfKPfEviT_T0_PT8_S5_lS8_S5_lS6_PT9_S5_li
	.p2align	8
	.type	_ZL34rocblas_syrkx_herkx_general_kernelIlfLi16ELi32ELi8ELb1ELb0ELc67ELc85EKPKfKPfEviT_T0_PT8_S5_lS8_S5_lS6_PT9_S5_li,@function
_ZL34rocblas_syrkx_herkx_general_kernelIlfLi16ELi32ELi8ELb1ELb0ELc67ELc85EKPKfKPfEviT_T0_PT8_S5_lS8_S5_lS6_PT9_S5_li: ; @_ZL34rocblas_syrkx_herkx_general_kernelIlfLi16ELi32ELi8ELb1ELb0ELc67ELc85EKPKfKPfEviT_T0_PT8_S5_lS8_S5_lS6_PT9_S5_li
; %bb.0:
	s_load_dwordx4 s[12:15], s[4:5], 0x50
	s_load_dword s18, s[4:5], 0x0
	s_load_dwordx2 s[16:17], s[4:5], 0x8
	s_mov_b32 s9, 0
	s_lshl_b64 s[0:1], s[8:9], 3
	s_waitcnt lgkmcnt(0)
	s_add_u32 s2, s12, s0
	s_addc_u32 s3, s13, s1
	s_load_dwordx2 s[12:13], s[2:3], 0x0
	v_cmp_lt_i64_e64 s[2:3], s[16:17], 1
	s_lshl_b32 s19, s6, 5
	s_lshl_b32 s20, s7, 5
	s_and_b64 vcc, exec, s[2:3]
	s_cbranch_vccnz .LBB1452_7
; %bb.1:
	s_load_dwordx4 s[24:27], s[4:5], 0x18
	s_load_dwordx4 s[8:11], s[4:5], 0x30
	v_lshl_add_u32 v2, v1, 4, v0
	v_and_b32_e32 v5, 31, v2
	v_or_b32_e32 v7, s19, v5
	v_and_b32_e32 v10, 7, v0
	s_waitcnt lgkmcnt(0)
	s_add_u32 s2, s8, s0
	s_addc_u32 s3, s9, s1
	s_add_u32 s0, s24, s0
	s_addc_u32 s1, s25, s1
	v_lshrrev_b32_e32 v3, 3, v2
	v_lshrrev_b32_e32 v8, 5, v2
	s_load_dwordx2 s[8:9], s[0:1], 0x0
	v_cmp_gt_i32_e64 s[0:1], s18, v7
	v_lshlrev_b32_e32 v2, 2, v5
	v_lshlrev_b32_e32 v7, 2, v10
	v_lshl_or_b32 v11, v8, 7, v2
	v_lshl_or_b32 v2, v3, 5, v7
	v_add_u32_e32 v12, 0x400, v2
	v_add_u32_e32 v2, s19, v5
	;; [unrolled: 1-line block ×3, first 2 shown]
	v_ashrrev_i32_e32 v3, 31, v2
	v_mul_lo_u32 v5, s26, v3
	v_mul_lo_u32 v13, s27, v2
	v_mad_u64_u32 v[2:3], s[22:23], s26, v2, 0
	v_ashrrev_i32_e32 v9, 31, v4
	s_load_dwordx2 s[6:7], s[2:3], 0x0
	v_add3_u32 v3, v3, v5, v13
	v_lshlrev_b64 v[2:3], 2, v[2:3]
	v_lshlrev_b32_e32 v5, 2, v8
	v_cmp_gt_i32_e64 s[2:3], s18, v4
	v_add_co_u32_e32 v2, vcc, v2, v5
	v_mul_lo_u32 v9, s10, v9
	v_mul_lo_u32 v16, s11, v4
	v_mad_u64_u32 v[4:5], s[10:11], s10, v4, 0
	v_addc_co_u32_e32 v3, vcc, 0, v3, vcc
	v_add3_u32 v5, v5, v9, v16
	s_waitcnt lgkmcnt(0)
	v_mov_b32_e32 v13, s9
	v_add_co_u32_e32 v2, vcc, s8, v2
	v_lshlrev_b64 v[4:5], 2, v[4:5]
	v_addc_co_u32_e32 v3, vcc, v13, v3, vcc
	v_add_co_u32_e32 v4, vcc, v4, v7
	v_addc_co_u32_e32 v5, vcc, 0, v5, vcc
	v_mov_b32_e32 v15, 0x400
	v_mov_b32_e32 v7, s7
	v_add_co_u32_e32 v4, vcc, s6, v4
	v_mov_b32_e32 v6, 0
	v_lshlrev_b32_e32 v14, 2, v0
	v_lshl_add_u32 v15, v1, 5, v15
	v_addc_co_u32_e32 v5, vcc, v7, v5, vcc
	s_mov_b64 s[8:9], 0
	v_mov_b32_e32 v7, 0
	v_mov_b32_e32 v9, 0
	;; [unrolled: 1-line block ×3, first 2 shown]
	s_branch .LBB1452_3
.LBB1452_2:                             ;   in Loop: Header=BB1452_3 Depth=1
	s_or_b64 exec, exec, s[6:7]
	s_waitcnt vmcnt(0) lgkmcnt(0)
	ds_write_b32 v12, v16
	s_waitcnt lgkmcnt(0)
	s_barrier
	ds_read2_b32 v[28:29], v14 offset1:16
	ds_read_b128 v[16:19], v15
	ds_read2_b32 v[30:31], v14 offset0:32 offset1:48
	ds_read2_b32 v[32:33], v14 offset0:64 offset1:80
	ds_read_b128 v[20:23], v15 offset:16
	ds_read2_b32 v[34:35], v14 offset0:96 offset1:112
	s_waitcnt lgkmcnt(4)
	v_fmac_f32_e32 v13, v28, v16
	v_fmac_f32_e32 v9, v29, v16
	s_waitcnt lgkmcnt(3)
	v_fmac_f32_e32 v13, v30, v17
	v_fmac_f32_e32 v9, v31, v17
	;; [unrolled: 3-line block ×4, first 2 shown]
	ds_read_b128 v[16:19], v15 offset:512
	ds_read_b128 v[24:27], v15 offset:528
	s_add_u32 s8, s8, 8
	v_add_co_u32_e32 v2, vcc, 32, v2
	s_waitcnt lgkmcnt(1)
	v_fmac_f32_e32 v7, v28, v16
	v_fmac_f32_e32 v6, v29, v16
	;; [unrolled: 1-line block ×4, first 2 shown]
	ds_read2_b32 v[16:17], v14 offset0:128 offset1:144
	v_fmac_f32_e32 v7, v32, v18
	v_fmac_f32_e32 v6, v33, v18
	v_fmac_f32_e32 v7, v34, v19
	v_fmac_f32_e32 v6, v35, v19
	ds_read2_b32 v[18:19], v14 offset0:160 offset1:176
	ds_read2_b32 v[28:29], v14 offset0:192 offset1:208
	;; [unrolled: 1-line block ×3, first 2 shown]
	s_waitcnt lgkmcnt(3)
	v_fmac_f32_e32 v13, v16, v20
	v_fmac_f32_e32 v9, v17, v20
	;; [unrolled: 1-line block ×4, first 2 shown]
	v_mov_b32_e32 v16, s16
	s_addc_u32 s9, s9, 0
	v_addc_co_u32_e32 v3, vcc, 0, v3, vcc
	v_mov_b32_e32 v17, s17
	s_waitcnt lgkmcnt(2)
	v_fmac_f32_e32 v13, v18, v21
	v_fmac_f32_e32 v9, v19, v21
	;; [unrolled: 1-line block ×4, first 2 shown]
	v_cmp_ge_i64_e32 vcc, s[8:9], v[16:17]
	s_waitcnt lgkmcnt(1)
	v_fmac_f32_e32 v13, v28, v22
	v_fmac_f32_e32 v9, v29, v22
	;; [unrolled: 1-line block ×4, first 2 shown]
	v_add_co_u32_e64 v4, s[6:7], 32, v4
	s_waitcnt lgkmcnt(0)
	v_fmac_f32_e32 v13, v30, v23
	v_fmac_f32_e32 v9, v31, v23
	;; [unrolled: 1-line block ×4, first 2 shown]
	v_addc_co_u32_e64 v5, s[6:7], 0, v5, s[6:7]
	s_barrier
	s_cbranch_vccnz .LBB1452_8
.LBB1452_3:                             ; =>This Inner Loop Header: Depth=1
	v_mov_b32_e32 v17, s9
	v_add_co_u32_e32 v16, vcc, s8, v8
	v_addc_co_u32_e32 v17, vcc, 0, v17, vcc
	v_cmp_gt_i64_e32 vcc, s[16:17], v[16:17]
	v_mov_b32_e32 v16, 0
	s_and_b64 s[10:11], s[0:1], vcc
	s_and_saveexec_b64 s[6:7], s[10:11]
	s_cbranch_execz .LBB1452_5
; %bb.4:                                ;   in Loop: Header=BB1452_3 Depth=1
	flat_load_dword v16, v[2:3]
.LBB1452_5:                             ;   in Loop: Header=BB1452_3 Depth=1
	s_or_b64 exec, exec, s[6:7]
	v_mov_b32_e32 v18, s9
	v_add_co_u32_e32 v17, vcc, s8, v10
	v_addc_co_u32_e32 v18, vcc, 0, v18, vcc
	v_cmp_gt_i64_e32 vcc, s[16:17], v[17:18]
	s_waitcnt vmcnt(0) lgkmcnt(0)
	ds_write_b32 v11, v16
	s_and_b64 s[10:11], vcc, s[2:3]
	v_mov_b32_e32 v16, 0
	s_and_saveexec_b64 s[6:7], s[10:11]
	s_cbranch_execz .LBB1452_2
; %bb.6:                                ;   in Loop: Header=BB1452_3 Depth=1
	flat_load_dword v16, v[4:5]
	s_branch .LBB1452_2
.LBB1452_7:
	v_mov_b32_e32 v13, 0
	v_mov_b32_e32 v9, 0
	;; [unrolled: 1-line block ×4, first 2 shown]
.LBB1452_8:
	v_add_u32_e32 v4, s20, v1
	v_ashrrev_i32_e32 v1, 31, v4
	v_mul_lo_u32 v3, s14, v1
	v_mul_lo_u32 v5, s15, v4
	v_mad_u64_u32 v[1:2], s[0:1], s14, v4, 0
	s_load_dword s4, s[4:5], 0x10
	v_add_u32_e32 v0, s19, v0
	v_add3_u32 v2, v2, v3, v5
	v_lshlrev_b64 v[1:2], 2, v[1:2]
	s_waitcnt lgkmcnt(0)
	v_mov_b32_e32 v3, s13
	v_add_co_u32_e64 v5, s[0:1], s12, v1
	v_addc_co_u32_e64 v8, s[0:1], v3, v2, s[0:1]
	v_cmp_gt_i32_e32 vcc, s18, v4
	v_cmp_le_i32_e64 s[0:1], v0, v4
	s_and_b64 s[0:1], vcc, s[0:1]
	s_and_saveexec_b64 s[2:3], s[0:1]
	s_cbranch_execz .LBB1452_10
; %bb.9:
	v_ashrrev_i32_e32 v1, 31, v0
	v_lshlrev_b64 v[1:2], 2, v[0:1]
	v_mul_f32_e32 v3, s4, v13
	v_add_co_u32_e64 v1, s[0:1], v5, v1
	v_addc_co_u32_e64 v2, s[0:1], v8, v2, s[0:1]
	flat_store_dword v[1:2], v3
.LBB1452_10:
	s_or_b64 exec, exec, s[2:3]
	v_add_u32_e32 v2, 16, v0
	v_cmp_le_i32_e64 s[0:1], v2, v4
	s_and_b64 s[2:3], vcc, s[0:1]
	s_and_saveexec_b64 s[0:1], s[2:3]
	s_cbranch_execz .LBB1452_12
; %bb.11:
	v_ashrrev_i32_e32 v3, 31, v2
	v_mul_f32_e32 v1, s4, v9
	v_lshlrev_b64 v[9:10], 2, v[2:3]
	v_add_co_u32_e32 v9, vcc, v5, v9
	v_addc_co_u32_e32 v10, vcc, v8, v10, vcc
	flat_store_dword v[9:10], v1
.LBB1452_12:
	s_or_b64 exec, exec, s[0:1]
	v_add_u32_e32 v3, 16, v4
	v_ashrrev_i32_e32 v1, 31, v3
	v_mul_lo_u32 v1, s14, v1
	v_mul_lo_u32 v8, s15, v3
	v_mad_u64_u32 v[4:5], s[0:1], s14, v3, 0
	v_cmp_gt_i32_e32 vcc, s18, v3
	v_add3_u32 v5, v5, v1, v8
	v_lshlrev_b64 v[4:5], 2, v[4:5]
	v_mov_b32_e32 v1, s13
	v_add_co_u32_e64 v4, s[0:1], s12, v4
	v_addc_co_u32_e64 v5, s[0:1], v1, v5, s[0:1]
	v_cmp_le_i32_e64 s[0:1], v0, v3
	s_and_b64 s[0:1], vcc, s[0:1]
	s_and_saveexec_b64 s[2:3], s[0:1]
	s_cbranch_execz .LBB1452_14
; %bb.13:
	v_ashrrev_i32_e32 v1, 31, v0
	v_lshlrev_b64 v[0:1], 2, v[0:1]
	v_mul_f32_e32 v7, s4, v7
	v_add_co_u32_e64 v0, s[0:1], v4, v0
	v_addc_co_u32_e64 v1, s[0:1], v5, v1, s[0:1]
	flat_store_dword v[0:1], v7
.LBB1452_14:
	s_or_b64 exec, exec, s[2:3]
	v_cmp_le_i32_e64 s[0:1], v2, v3
	s_and_b64 s[0:1], vcc, s[0:1]
	s_and_saveexec_b64 s[2:3], s[0:1]
	s_cbranch_execz .LBB1452_16
; %bb.15:
	v_ashrrev_i32_e32 v3, 31, v2
	v_lshlrev_b64 v[0:1], 2, v[2:3]
	v_mul_f32_e32 v6, s4, v6
	v_add_co_u32_e32 v0, vcc, v4, v0
	v_addc_co_u32_e32 v1, vcc, v5, v1, vcc
	flat_store_dword v[0:1], v6
.LBB1452_16:
	s_endpgm
	.section	.rodata,"a",@progbits
	.p2align	6, 0x0
	.amdhsa_kernel _ZL34rocblas_syrkx_herkx_general_kernelIlfLi16ELi32ELi8ELb1ELb0ELc67ELc85EKPKfKPfEviT_T0_PT8_S5_lS8_S5_lS6_PT9_S5_li
		.amdhsa_group_segment_fixed_size 2048
		.amdhsa_private_segment_fixed_size 0
		.amdhsa_kernarg_size 108
		.amdhsa_user_sgpr_count 6
		.amdhsa_user_sgpr_private_segment_buffer 1
		.amdhsa_user_sgpr_dispatch_ptr 0
		.amdhsa_user_sgpr_queue_ptr 0
		.amdhsa_user_sgpr_kernarg_segment_ptr 1
		.amdhsa_user_sgpr_dispatch_id 0
		.amdhsa_user_sgpr_flat_scratch_init 0
		.amdhsa_user_sgpr_private_segment_size 0
		.amdhsa_uses_dynamic_stack 0
		.amdhsa_system_sgpr_private_segment_wavefront_offset 0
		.amdhsa_system_sgpr_workgroup_id_x 1
		.amdhsa_system_sgpr_workgroup_id_y 1
		.amdhsa_system_sgpr_workgroup_id_z 1
		.amdhsa_system_sgpr_workgroup_info 0
		.amdhsa_system_vgpr_workitem_id 1
		.amdhsa_next_free_vgpr 36
		.amdhsa_next_free_sgpr 28
		.amdhsa_reserve_vcc 1
		.amdhsa_reserve_flat_scratch 0
		.amdhsa_float_round_mode_32 0
		.amdhsa_float_round_mode_16_64 0
		.amdhsa_float_denorm_mode_32 3
		.amdhsa_float_denorm_mode_16_64 3
		.amdhsa_dx10_clamp 1
		.amdhsa_ieee_mode 1
		.amdhsa_fp16_overflow 0
		.amdhsa_exception_fp_ieee_invalid_op 0
		.amdhsa_exception_fp_denorm_src 0
		.amdhsa_exception_fp_ieee_div_zero 0
		.amdhsa_exception_fp_ieee_overflow 0
		.amdhsa_exception_fp_ieee_underflow 0
		.amdhsa_exception_fp_ieee_inexact 0
		.amdhsa_exception_int_div_zero 0
	.end_amdhsa_kernel
	.section	.text._ZL34rocblas_syrkx_herkx_general_kernelIlfLi16ELi32ELi8ELb1ELb0ELc67ELc85EKPKfKPfEviT_T0_PT8_S5_lS8_S5_lS6_PT9_S5_li,"axG",@progbits,_ZL34rocblas_syrkx_herkx_general_kernelIlfLi16ELi32ELi8ELb1ELb0ELc67ELc85EKPKfKPfEviT_T0_PT8_S5_lS8_S5_lS6_PT9_S5_li,comdat
.Lfunc_end1452:
	.size	_ZL34rocblas_syrkx_herkx_general_kernelIlfLi16ELi32ELi8ELb1ELb0ELc67ELc85EKPKfKPfEviT_T0_PT8_S5_lS8_S5_lS6_PT9_S5_li, .Lfunc_end1452-_ZL34rocblas_syrkx_herkx_general_kernelIlfLi16ELi32ELi8ELb1ELb0ELc67ELc85EKPKfKPfEviT_T0_PT8_S5_lS8_S5_lS6_PT9_S5_li
                                        ; -- End function
	.set _ZL34rocblas_syrkx_herkx_general_kernelIlfLi16ELi32ELi8ELb1ELb0ELc67ELc85EKPKfKPfEviT_T0_PT8_S5_lS8_S5_lS6_PT9_S5_li.num_vgpr, 36
	.set _ZL34rocblas_syrkx_herkx_general_kernelIlfLi16ELi32ELi8ELb1ELb0ELc67ELc85EKPKfKPfEviT_T0_PT8_S5_lS8_S5_lS6_PT9_S5_li.num_agpr, 0
	.set _ZL34rocblas_syrkx_herkx_general_kernelIlfLi16ELi32ELi8ELb1ELb0ELc67ELc85EKPKfKPfEviT_T0_PT8_S5_lS8_S5_lS6_PT9_S5_li.numbered_sgpr, 28
	.set _ZL34rocblas_syrkx_herkx_general_kernelIlfLi16ELi32ELi8ELb1ELb0ELc67ELc85EKPKfKPfEviT_T0_PT8_S5_lS8_S5_lS6_PT9_S5_li.num_named_barrier, 0
	.set _ZL34rocblas_syrkx_herkx_general_kernelIlfLi16ELi32ELi8ELb1ELb0ELc67ELc85EKPKfKPfEviT_T0_PT8_S5_lS8_S5_lS6_PT9_S5_li.private_seg_size, 0
	.set _ZL34rocblas_syrkx_herkx_general_kernelIlfLi16ELi32ELi8ELb1ELb0ELc67ELc85EKPKfKPfEviT_T0_PT8_S5_lS8_S5_lS6_PT9_S5_li.uses_vcc, 1
	.set _ZL34rocblas_syrkx_herkx_general_kernelIlfLi16ELi32ELi8ELb1ELb0ELc67ELc85EKPKfKPfEviT_T0_PT8_S5_lS8_S5_lS6_PT9_S5_li.uses_flat_scratch, 0
	.set _ZL34rocblas_syrkx_herkx_general_kernelIlfLi16ELi32ELi8ELb1ELb0ELc67ELc85EKPKfKPfEviT_T0_PT8_S5_lS8_S5_lS6_PT9_S5_li.has_dyn_sized_stack, 0
	.set _ZL34rocblas_syrkx_herkx_general_kernelIlfLi16ELi32ELi8ELb1ELb0ELc67ELc85EKPKfKPfEviT_T0_PT8_S5_lS8_S5_lS6_PT9_S5_li.has_recursion, 0
	.set _ZL34rocblas_syrkx_herkx_general_kernelIlfLi16ELi32ELi8ELb1ELb0ELc67ELc85EKPKfKPfEviT_T0_PT8_S5_lS8_S5_lS6_PT9_S5_li.has_indirect_call, 0
	.section	.AMDGPU.csdata,"",@progbits
; Kernel info:
; codeLenInByte = 1248
; TotalNumSgprs: 32
; NumVgprs: 36
; ScratchSize: 0
; MemoryBound: 0
; FloatMode: 240
; IeeeMode: 1
; LDSByteSize: 2048 bytes/workgroup (compile time only)
; SGPRBlocks: 3
; VGPRBlocks: 8
; NumSGPRsForWavesPerEU: 32
; NumVGPRsForWavesPerEU: 36
; Occupancy: 7
; WaveLimiterHint : 1
; COMPUTE_PGM_RSRC2:SCRATCH_EN: 0
; COMPUTE_PGM_RSRC2:USER_SGPR: 6
; COMPUTE_PGM_RSRC2:TRAP_HANDLER: 0
; COMPUTE_PGM_RSRC2:TGID_X_EN: 1
; COMPUTE_PGM_RSRC2:TGID_Y_EN: 1
; COMPUTE_PGM_RSRC2:TGID_Z_EN: 1
; COMPUTE_PGM_RSRC2:TIDIG_COMP_CNT: 1
	.section	.text._ZL34rocblas_syrkx_herkx_general_kernelIlfLi16ELi32ELi8ELb1ELb0ELc78ELc85EKPKfKPfEviT_T0_PT8_S5_lS8_S5_lS6_PT9_S5_li,"axG",@progbits,_ZL34rocblas_syrkx_herkx_general_kernelIlfLi16ELi32ELi8ELb1ELb0ELc78ELc85EKPKfKPfEviT_T0_PT8_S5_lS8_S5_lS6_PT9_S5_li,comdat
	.globl	_ZL34rocblas_syrkx_herkx_general_kernelIlfLi16ELi32ELi8ELb1ELb0ELc78ELc85EKPKfKPfEviT_T0_PT8_S5_lS8_S5_lS6_PT9_S5_li ; -- Begin function _ZL34rocblas_syrkx_herkx_general_kernelIlfLi16ELi32ELi8ELb1ELb0ELc78ELc85EKPKfKPfEviT_T0_PT8_S5_lS8_S5_lS6_PT9_S5_li
	.p2align	8
	.type	_ZL34rocblas_syrkx_herkx_general_kernelIlfLi16ELi32ELi8ELb1ELb0ELc78ELc85EKPKfKPfEviT_T0_PT8_S5_lS8_S5_lS6_PT9_S5_li,@function
_ZL34rocblas_syrkx_herkx_general_kernelIlfLi16ELi32ELi8ELb1ELb0ELc78ELc85EKPKfKPfEviT_T0_PT8_S5_lS8_S5_lS6_PT9_S5_li: ; @_ZL34rocblas_syrkx_herkx_general_kernelIlfLi16ELi32ELi8ELb1ELb0ELc78ELc85EKPKfKPfEviT_T0_PT8_S5_lS8_S5_lS6_PT9_S5_li
; %bb.0:
	s_load_dwordx4 s[12:15], s[4:5], 0x50
	s_load_dword s22, s[4:5], 0x0
	s_load_dwordx2 s[20:21], s[4:5], 0x8
	s_mov_b32 s9, 0
	s_lshl_b64 s[0:1], s[8:9], 3
	s_waitcnt lgkmcnt(0)
	s_add_u32 s2, s12, s0
	s_addc_u32 s3, s13, s1
	s_load_dwordx2 s[12:13], s[2:3], 0x0
	v_cmp_lt_i64_e64 s[2:3], s[20:21], 1
	s_lshl_b32 s23, s6, 5
	s_lshl_b32 s24, s7, 5
	s_and_b64 vcc, exec, s[2:3]
	s_cbranch_vccnz .LBB1453_7
; %bb.1:
	s_load_dwordx4 s[16:19], s[4:5], 0x18
	s_load_dwordx4 s[8:11], s[4:5], 0x30
	v_lshl_add_u32 v2, v1, 4, v0
	v_and_b32_e32 v7, 31, v2
	v_lshrrev_b32_e32 v5, 3, v2
	v_or_b32_e32 v3, s23, v7
	s_waitcnt lgkmcnt(0)
	s_add_u32 s2, s8, s0
	s_addc_u32 s3, s9, s1
	s_add_u32 s0, s16, s0
	v_lshrrev_b32_e32 v8, 5, v2
	s_addc_u32 s1, s17, s1
	v_lshlrev_b32_e32 v2, 2, v7
	s_load_dwordx2 s[8:9], s[0:1], 0x0
	v_cmp_gt_i32_e64 s[0:1], s22, v3
	v_lshl_or_b32 v11, v8, 7, v2
	v_mad_u64_u32 v[2:3], s[16:17], s18, v8, 0
	v_add_u32_e32 v4, s24, v5
	v_and_b32_e32 v9, 7, v0
	v_mad_u64_u32 v[14:15], s[16:17], s19, v8, v[3:4]
	v_mov_b32_e32 v3, 0x400
	v_add_u32_e32 v16, s23, v7
	v_lshl_add_u32 v15, v1, 5, v3
	v_mov_b32_e32 v3, v14
	v_ashrrev_i32_e32 v17, 31, v16
	v_mad_u64_u32 v[18:19], s[16:17], s10, v9, 0
	v_lshlrev_b64 v[2:3], 2, v[2:3]
	v_lshlrev_b64 v[16:17], 2, v[16:17]
	v_lshlrev_b32_e32 v10, 2, v9
	v_add_co_u32_e32 v7, vcc, v2, v16
	v_addc_co_u32_e32 v3, vcc, v3, v17, vcc
	v_mov_b32_e32 v2, v19
	v_mad_u64_u32 v[16:17], s[16:17], s11, v9, v[2:3]
	v_lshl_or_b32 v5, v5, 5, v10
	s_load_dwordx2 s[6:7], s[2:3], 0x0
	v_add_u32_e32 v12, 0x400, v5
	v_ashrrev_i32_e32 v5, 31, v4
	v_mov_b32_e32 v19, v16
	v_cmp_gt_i32_e64 s[2:3], s22, v4
	s_waitcnt lgkmcnt(0)
	v_mov_b32_e32 v10, s9
	v_add_co_u32_e32 v2, vcc, s8, v7
	v_lshlrev_b64 v[16:17], 2, v[18:19]
	v_lshlrev_b64 v[4:5], 2, v[4:5]
	v_addc_co_u32_e32 v3, vcc, v10, v3, vcc
	v_add_co_u32_e32 v4, vcc, v16, v4
	v_addc_co_u32_e32 v5, vcc, v17, v5, vcc
	v_mov_b32_e32 v7, s7
	v_add_co_u32_e32 v4, vcc, s6, v4
	v_mov_b32_e32 v6, 0
	v_lshlrev_b32_e32 v13, 2, v0
	s_lshl_b64 s[8:9], s[18:19], 5
	v_addc_co_u32_e32 v5, vcc, v7, v5, vcc
	s_lshl_b64 s[10:11], s[10:11], 5
	s_mov_b64 s[16:17], 0
	v_mov_b32_e32 v7, 0
	v_mov_b32_e32 v10, 0
	;; [unrolled: 1-line block ×3, first 2 shown]
	s_branch .LBB1453_3
.LBB1453_2:                             ;   in Loop: Header=BB1453_3 Depth=1
	s_or_b64 exec, exec, s[6:7]
	s_waitcnt vmcnt(0) lgkmcnt(0)
	ds_write_b32 v12, v16
	s_waitcnt lgkmcnt(0)
	s_barrier
	ds_read2_b32 v[28:29], v13 offset1:16
	ds_read_b128 v[16:19], v15
	ds_read2_b32 v[30:31], v13 offset0:32 offset1:48
	ds_read2_b32 v[32:33], v13 offset0:64 offset1:80
	ds_read_b128 v[20:23], v15 offset:16
	ds_read2_b32 v[34:35], v13 offset0:96 offset1:112
	s_waitcnt lgkmcnt(4)
	v_fmac_f32_e32 v14, v28, v16
	v_fmac_f32_e32 v10, v29, v16
	s_waitcnt lgkmcnt(3)
	v_fmac_f32_e32 v14, v30, v17
	v_fmac_f32_e32 v10, v31, v17
	;; [unrolled: 3-line block ×4, first 2 shown]
	ds_read_b128 v[16:19], v15 offset:512
	ds_read_b128 v[24:27], v15 offset:528
	v_add_co_u32_e32 v2, vcc, s8, v2
	s_add_u32 s16, s16, 8
	s_waitcnt lgkmcnt(1)
	v_fmac_f32_e32 v7, v28, v16
	v_fmac_f32_e32 v6, v29, v16
	;; [unrolled: 1-line block ×4, first 2 shown]
	ds_read2_b32 v[16:17], v13 offset0:128 offset1:144
	v_fmac_f32_e32 v7, v32, v18
	v_fmac_f32_e32 v6, v33, v18
	;; [unrolled: 1-line block ×4, first 2 shown]
	ds_read2_b32 v[18:19], v13 offset0:160 offset1:176
	ds_read2_b32 v[28:29], v13 offset0:192 offset1:208
	s_waitcnt lgkmcnt(2)
	v_fmac_f32_e32 v14, v16, v20
	ds_read2_b32 v[30:31], v13 offset0:224 offset1:240
	v_fmac_f32_e32 v7, v16, v24
	v_mov_b32_e32 v16, s9
	v_fmac_f32_e32 v10, v17, v20
	v_fmac_f32_e32 v6, v17, v24
	v_addc_co_u32_e32 v3, vcc, v3, v16, vcc
	v_mov_b32_e32 v16, s20
	s_addc_u32 s17, s17, 0
	v_mov_b32_e32 v17, s21
	s_waitcnt lgkmcnt(2)
	v_fmac_f32_e32 v14, v18, v21
	v_fmac_f32_e32 v10, v19, v21
	;; [unrolled: 1-line block ×4, first 2 shown]
	v_cmp_ge_i64_e32 vcc, s[16:17], v[16:17]
	s_waitcnt lgkmcnt(1)
	v_fmac_f32_e32 v14, v28, v22
	v_fmac_f32_e32 v10, v29, v22
	;; [unrolled: 1-line block ×4, first 2 shown]
	v_mov_b32_e32 v18, s11
	v_add_co_u32_e64 v4, s[6:7], s10, v4
	s_waitcnt lgkmcnt(0)
	v_fmac_f32_e32 v14, v30, v23
	v_fmac_f32_e32 v10, v31, v23
	;; [unrolled: 1-line block ×4, first 2 shown]
	v_addc_co_u32_e64 v5, s[6:7], v5, v18, s[6:7]
	s_barrier
	s_cbranch_vccnz .LBB1453_8
.LBB1453_3:                             ; =>This Inner Loop Header: Depth=1
	v_mov_b32_e32 v17, s17
	v_add_co_u32_e32 v16, vcc, s16, v8
	v_addc_co_u32_e32 v17, vcc, 0, v17, vcc
	v_cmp_gt_i64_e32 vcc, s[20:21], v[16:17]
	v_mov_b32_e32 v16, 0
	s_and_b64 s[18:19], s[0:1], vcc
	s_and_saveexec_b64 s[6:7], s[18:19]
	s_cbranch_execz .LBB1453_5
; %bb.4:                                ;   in Loop: Header=BB1453_3 Depth=1
	flat_load_dword v16, v[2:3]
.LBB1453_5:                             ;   in Loop: Header=BB1453_3 Depth=1
	s_or_b64 exec, exec, s[6:7]
	v_mov_b32_e32 v18, s17
	v_add_co_u32_e32 v17, vcc, s16, v9
	v_addc_co_u32_e32 v18, vcc, 0, v18, vcc
	v_cmp_gt_i64_e32 vcc, s[20:21], v[17:18]
	s_waitcnt vmcnt(0) lgkmcnt(0)
	ds_write_b32 v11, v16
	s_and_b64 s[18:19], vcc, s[2:3]
	v_mov_b32_e32 v16, 0
	s_and_saveexec_b64 s[6:7], s[18:19]
	s_cbranch_execz .LBB1453_2
; %bb.6:                                ;   in Loop: Header=BB1453_3 Depth=1
	flat_load_dword v16, v[4:5]
	s_branch .LBB1453_2
.LBB1453_7:
	v_mov_b32_e32 v14, 0
	v_mov_b32_e32 v10, 0
	;; [unrolled: 1-line block ×4, first 2 shown]
.LBB1453_8:
	v_add_u32_e32 v4, s24, v1
	v_ashrrev_i32_e32 v1, 31, v4
	v_mul_lo_u32 v3, s14, v1
	v_mul_lo_u32 v5, s15, v4
	v_mad_u64_u32 v[1:2], s[0:1], s14, v4, 0
	s_load_dword s4, s[4:5], 0x10
	v_add_u32_e32 v0, s23, v0
	v_add3_u32 v2, v2, v3, v5
	v_lshlrev_b64 v[1:2], 2, v[1:2]
	s_waitcnt lgkmcnt(0)
	v_mov_b32_e32 v3, s13
	v_add_co_u32_e64 v5, s[0:1], s12, v1
	v_addc_co_u32_e64 v8, s[0:1], v3, v2, s[0:1]
	v_cmp_gt_i32_e32 vcc, s22, v4
	v_cmp_le_i32_e64 s[0:1], v0, v4
	s_and_b64 s[0:1], vcc, s[0:1]
	s_and_saveexec_b64 s[2:3], s[0:1]
	s_cbranch_execz .LBB1453_10
; %bb.9:
	v_ashrrev_i32_e32 v1, 31, v0
	v_lshlrev_b64 v[1:2], 2, v[0:1]
	v_mul_f32_e32 v3, s4, v14
	v_add_co_u32_e64 v1, s[0:1], v5, v1
	v_addc_co_u32_e64 v2, s[0:1], v8, v2, s[0:1]
	flat_store_dword v[1:2], v3
.LBB1453_10:
	s_or_b64 exec, exec, s[2:3]
	v_add_u32_e32 v2, 16, v0
	v_cmp_le_i32_e64 s[0:1], v2, v4
	s_and_b64 s[2:3], vcc, s[0:1]
	s_and_saveexec_b64 s[0:1], s[2:3]
	s_cbranch_execz .LBB1453_12
; %bb.11:
	v_ashrrev_i32_e32 v3, 31, v2
	v_mul_f32_e32 v1, s4, v10
	v_lshlrev_b64 v[9:10], 2, v[2:3]
	v_add_co_u32_e32 v9, vcc, v5, v9
	v_addc_co_u32_e32 v10, vcc, v8, v10, vcc
	flat_store_dword v[9:10], v1
.LBB1453_12:
	s_or_b64 exec, exec, s[0:1]
	v_add_u32_e32 v3, 16, v4
	v_ashrrev_i32_e32 v1, 31, v3
	v_mul_lo_u32 v1, s14, v1
	v_mul_lo_u32 v8, s15, v3
	v_mad_u64_u32 v[4:5], s[0:1], s14, v3, 0
	v_cmp_gt_i32_e32 vcc, s22, v3
	v_add3_u32 v5, v5, v1, v8
	v_lshlrev_b64 v[4:5], 2, v[4:5]
	v_mov_b32_e32 v1, s13
	v_add_co_u32_e64 v4, s[0:1], s12, v4
	v_addc_co_u32_e64 v5, s[0:1], v1, v5, s[0:1]
	v_cmp_le_i32_e64 s[0:1], v0, v3
	s_and_b64 s[0:1], vcc, s[0:1]
	s_and_saveexec_b64 s[2:3], s[0:1]
	s_cbranch_execz .LBB1453_14
; %bb.13:
	v_ashrrev_i32_e32 v1, 31, v0
	v_lshlrev_b64 v[0:1], 2, v[0:1]
	v_mul_f32_e32 v7, s4, v7
	v_add_co_u32_e64 v0, s[0:1], v4, v0
	v_addc_co_u32_e64 v1, s[0:1], v5, v1, s[0:1]
	flat_store_dword v[0:1], v7
.LBB1453_14:
	s_or_b64 exec, exec, s[2:3]
	v_cmp_le_i32_e64 s[0:1], v2, v3
	s_and_b64 s[0:1], vcc, s[0:1]
	s_and_saveexec_b64 s[2:3], s[0:1]
	s_cbranch_execz .LBB1453_16
; %bb.15:
	v_ashrrev_i32_e32 v3, 31, v2
	v_lshlrev_b64 v[0:1], 2, v[2:3]
	v_mul_f32_e32 v6, s4, v6
	v_add_co_u32_e32 v0, vcc, v4, v0
	v_addc_co_u32_e32 v1, vcc, v5, v1, vcc
	flat_store_dword v[0:1], v6
.LBB1453_16:
	s_endpgm
	.section	.rodata,"a",@progbits
	.p2align	6, 0x0
	.amdhsa_kernel _ZL34rocblas_syrkx_herkx_general_kernelIlfLi16ELi32ELi8ELb1ELb0ELc78ELc85EKPKfKPfEviT_T0_PT8_S5_lS8_S5_lS6_PT9_S5_li
		.amdhsa_group_segment_fixed_size 2048
		.amdhsa_private_segment_fixed_size 0
		.amdhsa_kernarg_size 108
		.amdhsa_user_sgpr_count 6
		.amdhsa_user_sgpr_private_segment_buffer 1
		.amdhsa_user_sgpr_dispatch_ptr 0
		.amdhsa_user_sgpr_queue_ptr 0
		.amdhsa_user_sgpr_kernarg_segment_ptr 1
		.amdhsa_user_sgpr_dispatch_id 0
		.amdhsa_user_sgpr_flat_scratch_init 0
		.amdhsa_user_sgpr_private_segment_size 0
		.amdhsa_uses_dynamic_stack 0
		.amdhsa_system_sgpr_private_segment_wavefront_offset 0
		.amdhsa_system_sgpr_workgroup_id_x 1
		.amdhsa_system_sgpr_workgroup_id_y 1
		.amdhsa_system_sgpr_workgroup_id_z 1
		.amdhsa_system_sgpr_workgroup_info 0
		.amdhsa_system_vgpr_workitem_id 1
		.amdhsa_next_free_vgpr 36
		.amdhsa_next_free_sgpr 25
		.amdhsa_reserve_vcc 1
		.amdhsa_reserve_flat_scratch 0
		.amdhsa_float_round_mode_32 0
		.amdhsa_float_round_mode_16_64 0
		.amdhsa_float_denorm_mode_32 3
		.amdhsa_float_denorm_mode_16_64 3
		.amdhsa_dx10_clamp 1
		.amdhsa_ieee_mode 1
		.amdhsa_fp16_overflow 0
		.amdhsa_exception_fp_ieee_invalid_op 0
		.amdhsa_exception_fp_denorm_src 0
		.amdhsa_exception_fp_ieee_div_zero 0
		.amdhsa_exception_fp_ieee_overflow 0
		.amdhsa_exception_fp_ieee_underflow 0
		.amdhsa_exception_fp_ieee_inexact 0
		.amdhsa_exception_int_div_zero 0
	.end_amdhsa_kernel
	.section	.text._ZL34rocblas_syrkx_herkx_general_kernelIlfLi16ELi32ELi8ELb1ELb0ELc78ELc85EKPKfKPfEviT_T0_PT8_S5_lS8_S5_lS6_PT9_S5_li,"axG",@progbits,_ZL34rocblas_syrkx_herkx_general_kernelIlfLi16ELi32ELi8ELb1ELb0ELc78ELc85EKPKfKPfEviT_T0_PT8_S5_lS8_S5_lS6_PT9_S5_li,comdat
.Lfunc_end1453:
	.size	_ZL34rocblas_syrkx_herkx_general_kernelIlfLi16ELi32ELi8ELb1ELb0ELc78ELc85EKPKfKPfEviT_T0_PT8_S5_lS8_S5_lS6_PT9_S5_li, .Lfunc_end1453-_ZL34rocblas_syrkx_herkx_general_kernelIlfLi16ELi32ELi8ELb1ELb0ELc78ELc85EKPKfKPfEviT_T0_PT8_S5_lS8_S5_lS6_PT9_S5_li
                                        ; -- End function
	.set _ZL34rocblas_syrkx_herkx_general_kernelIlfLi16ELi32ELi8ELb1ELb0ELc78ELc85EKPKfKPfEviT_T0_PT8_S5_lS8_S5_lS6_PT9_S5_li.num_vgpr, 36
	.set _ZL34rocblas_syrkx_herkx_general_kernelIlfLi16ELi32ELi8ELb1ELb0ELc78ELc85EKPKfKPfEviT_T0_PT8_S5_lS8_S5_lS6_PT9_S5_li.num_agpr, 0
	.set _ZL34rocblas_syrkx_herkx_general_kernelIlfLi16ELi32ELi8ELb1ELb0ELc78ELc85EKPKfKPfEviT_T0_PT8_S5_lS8_S5_lS6_PT9_S5_li.numbered_sgpr, 25
	.set _ZL34rocblas_syrkx_herkx_general_kernelIlfLi16ELi32ELi8ELb1ELb0ELc78ELc85EKPKfKPfEviT_T0_PT8_S5_lS8_S5_lS6_PT9_S5_li.num_named_barrier, 0
	.set _ZL34rocblas_syrkx_herkx_general_kernelIlfLi16ELi32ELi8ELb1ELb0ELc78ELc85EKPKfKPfEviT_T0_PT8_S5_lS8_S5_lS6_PT9_S5_li.private_seg_size, 0
	.set _ZL34rocblas_syrkx_herkx_general_kernelIlfLi16ELi32ELi8ELb1ELb0ELc78ELc85EKPKfKPfEviT_T0_PT8_S5_lS8_S5_lS6_PT9_S5_li.uses_vcc, 1
	.set _ZL34rocblas_syrkx_herkx_general_kernelIlfLi16ELi32ELi8ELb1ELb0ELc78ELc85EKPKfKPfEviT_T0_PT8_S5_lS8_S5_lS6_PT9_S5_li.uses_flat_scratch, 0
	.set _ZL34rocblas_syrkx_herkx_general_kernelIlfLi16ELi32ELi8ELb1ELb0ELc78ELc85EKPKfKPfEviT_T0_PT8_S5_lS8_S5_lS6_PT9_S5_li.has_dyn_sized_stack, 0
	.set _ZL34rocblas_syrkx_herkx_general_kernelIlfLi16ELi32ELi8ELb1ELb0ELc78ELc85EKPKfKPfEviT_T0_PT8_S5_lS8_S5_lS6_PT9_S5_li.has_recursion, 0
	.set _ZL34rocblas_syrkx_herkx_general_kernelIlfLi16ELi32ELi8ELb1ELb0ELc78ELc85EKPKfKPfEviT_T0_PT8_S5_lS8_S5_lS6_PT9_S5_li.has_indirect_call, 0
	.section	.AMDGPU.csdata,"",@progbits
; Kernel info:
; codeLenInByte = 1256
; TotalNumSgprs: 29
; NumVgprs: 36
; ScratchSize: 0
; MemoryBound: 0
; FloatMode: 240
; IeeeMode: 1
; LDSByteSize: 2048 bytes/workgroup (compile time only)
; SGPRBlocks: 3
; VGPRBlocks: 8
; NumSGPRsForWavesPerEU: 29
; NumVGPRsForWavesPerEU: 36
; Occupancy: 7
; WaveLimiterHint : 1
; COMPUTE_PGM_RSRC2:SCRATCH_EN: 0
; COMPUTE_PGM_RSRC2:USER_SGPR: 6
; COMPUTE_PGM_RSRC2:TRAP_HANDLER: 0
; COMPUTE_PGM_RSRC2:TGID_X_EN: 1
; COMPUTE_PGM_RSRC2:TGID_Y_EN: 1
; COMPUTE_PGM_RSRC2:TGID_Z_EN: 1
; COMPUTE_PGM_RSRC2:TIDIG_COMP_CNT: 1
	.section	.text._ZL34rocblas_syrkx_herkx_general_kernelIlfLi16ELi32ELi8ELb0ELb0ELc84ELc76EKPKfKPfEviT_T0_PT8_S5_lS8_S5_lS6_PT9_S5_li,"axG",@progbits,_ZL34rocblas_syrkx_herkx_general_kernelIlfLi16ELi32ELi8ELb0ELb0ELc84ELc76EKPKfKPfEviT_T0_PT8_S5_lS8_S5_lS6_PT9_S5_li,comdat
	.globl	_ZL34rocblas_syrkx_herkx_general_kernelIlfLi16ELi32ELi8ELb0ELb0ELc84ELc76EKPKfKPfEviT_T0_PT8_S5_lS8_S5_lS6_PT9_S5_li ; -- Begin function _ZL34rocblas_syrkx_herkx_general_kernelIlfLi16ELi32ELi8ELb0ELb0ELc84ELc76EKPKfKPfEviT_T0_PT8_S5_lS8_S5_lS6_PT9_S5_li
	.p2align	8
	.type	_ZL34rocblas_syrkx_herkx_general_kernelIlfLi16ELi32ELi8ELb0ELb0ELc84ELc76EKPKfKPfEviT_T0_PT8_S5_lS8_S5_lS6_PT9_S5_li,@function
_ZL34rocblas_syrkx_herkx_general_kernelIlfLi16ELi32ELi8ELb0ELb0ELc84ELc76EKPKfKPfEviT_T0_PT8_S5_lS8_S5_lS6_PT9_S5_li: ; @_ZL34rocblas_syrkx_herkx_general_kernelIlfLi16ELi32ELi8ELb0ELb0ELc84ELc76EKPKfKPfEviT_T0_PT8_S5_lS8_S5_lS6_PT9_S5_li
; %bb.0:
	s_load_dwordx4 s[12:15], s[4:5], 0x50
	s_load_dword s18, s[4:5], 0x0
	s_load_dwordx2 s[16:17], s[4:5], 0x8
	s_mov_b32 s9, 0
	s_lshl_b64 s[0:1], s[8:9], 3
	s_waitcnt lgkmcnt(0)
	s_add_u32 s2, s12, s0
	s_addc_u32 s3, s13, s1
	s_load_dwordx2 s[12:13], s[2:3], 0x0
	v_cmp_lt_i64_e64 s[2:3], s[16:17], 1
	s_lshl_b32 s19, s6, 5
	s_lshl_b32 s20, s7, 5
	s_and_b64 vcc, exec, s[2:3]
	s_cbranch_vccnz .LBB1454_7
; %bb.1:
	s_load_dwordx4 s[24:27], s[4:5], 0x18
	s_load_dwordx4 s[8:11], s[4:5], 0x30
	v_lshl_add_u32 v2, v1, 4, v0
	v_and_b32_e32 v5, 31, v2
	v_or_b32_e32 v7, s19, v5
	v_and_b32_e32 v11, 7, v0
	s_waitcnt lgkmcnt(0)
	s_add_u32 s2, s8, s0
	s_addc_u32 s3, s9, s1
	s_add_u32 s0, s24, s0
	s_addc_u32 s1, s25, s1
	v_lshrrev_b32_e32 v3, 3, v2
	v_lshrrev_b32_e32 v9, 5, v2
	s_load_dwordx2 s[8:9], s[0:1], 0x0
	v_cmp_gt_i32_e64 s[0:1], s18, v7
	v_lshlrev_b32_e32 v2, 2, v5
	v_lshlrev_b32_e32 v7, 2, v11
	v_lshl_or_b32 v12, v9, 7, v2
	v_lshl_or_b32 v2, v3, 5, v7
	v_add_u32_e32 v13, 0x400, v2
	v_add_u32_e32 v2, s19, v5
	v_add_u32_e32 v4, s20, v3
	v_ashrrev_i32_e32 v3, 31, v2
	v_mul_lo_u32 v5, s26, v3
	v_mul_lo_u32 v10, s27, v2
	v_mad_u64_u32 v[2:3], s[22:23], s26, v2, 0
	v_ashrrev_i32_e32 v8, 31, v4
	s_load_dwordx2 s[6:7], s[2:3], 0x0
	v_add3_u32 v3, v3, v5, v10
	v_lshlrev_b64 v[2:3], 2, v[2:3]
	v_lshlrev_b32_e32 v5, 2, v9
	v_cmp_gt_i32_e64 s[2:3], s18, v4
	v_add_co_u32_e32 v2, vcc, v2, v5
	v_mul_lo_u32 v8, s10, v8
	v_mul_lo_u32 v16, s11, v4
	v_mad_u64_u32 v[4:5], s[10:11], s10, v4, 0
	v_addc_co_u32_e32 v3, vcc, 0, v3, vcc
	v_add3_u32 v5, v5, v8, v16
	s_waitcnt lgkmcnt(0)
	v_mov_b32_e32 v10, s9
	v_add_co_u32_e32 v2, vcc, s8, v2
	v_lshlrev_b64 v[4:5], 2, v[4:5]
	v_addc_co_u32_e32 v3, vcc, v10, v3, vcc
	v_add_co_u32_e32 v4, vcc, v4, v7
	v_addc_co_u32_e32 v5, vcc, 0, v5, vcc
	v_mov_b32_e32 v15, 0x400
	v_mov_b32_e32 v7, s7
	v_add_co_u32_e32 v4, vcc, s6, v4
	v_mov_b32_e32 v6, 0
	v_lshlrev_b32_e32 v14, 2, v0
	v_lshl_add_u32 v15, v1, 5, v15
	v_addc_co_u32_e32 v5, vcc, v7, v5, vcc
	s_mov_b64 s[8:9], 0
	v_mov_b32_e32 v7, 0
	v_mov_b32_e32 v8, 0
	;; [unrolled: 1-line block ×3, first 2 shown]
	s_branch .LBB1454_3
.LBB1454_2:                             ;   in Loop: Header=BB1454_3 Depth=1
	s_or_b64 exec, exec, s[6:7]
	s_waitcnt vmcnt(0) lgkmcnt(0)
	ds_write_b32 v13, v16
	s_waitcnt lgkmcnt(0)
	s_barrier
	ds_read2_b32 v[28:29], v14 offset1:16
	ds_read_b128 v[16:19], v15
	ds_read2_b32 v[30:31], v14 offset0:32 offset1:48
	ds_read2_b32 v[32:33], v14 offset0:64 offset1:80
	ds_read_b128 v[20:23], v15 offset:16
	ds_read2_b32 v[34:35], v14 offset0:96 offset1:112
	s_waitcnt lgkmcnt(4)
	v_fmac_f32_e32 v10, v28, v16
	v_fmac_f32_e32 v8, v29, v16
	s_waitcnt lgkmcnt(3)
	v_fmac_f32_e32 v10, v30, v17
	v_fmac_f32_e32 v8, v31, v17
	;; [unrolled: 3-line block ×4, first 2 shown]
	ds_read_b128 v[16:19], v15 offset:512
	ds_read_b128 v[24:27], v15 offset:528
	s_add_u32 s8, s8, 8
	v_add_co_u32_e32 v2, vcc, 32, v2
	s_waitcnt lgkmcnt(1)
	v_fmac_f32_e32 v7, v28, v16
	v_fmac_f32_e32 v6, v29, v16
	;; [unrolled: 1-line block ×4, first 2 shown]
	ds_read2_b32 v[16:17], v14 offset0:128 offset1:144
	v_fmac_f32_e32 v7, v32, v18
	v_fmac_f32_e32 v6, v33, v18
	;; [unrolled: 1-line block ×4, first 2 shown]
	ds_read2_b32 v[18:19], v14 offset0:160 offset1:176
	ds_read2_b32 v[28:29], v14 offset0:192 offset1:208
	ds_read2_b32 v[30:31], v14 offset0:224 offset1:240
	s_waitcnt lgkmcnt(3)
	v_fmac_f32_e32 v10, v16, v20
	v_fmac_f32_e32 v8, v17, v20
	;; [unrolled: 1-line block ×4, first 2 shown]
	v_mov_b32_e32 v16, s16
	s_addc_u32 s9, s9, 0
	v_addc_co_u32_e32 v3, vcc, 0, v3, vcc
	v_mov_b32_e32 v17, s17
	s_waitcnt lgkmcnt(2)
	v_fmac_f32_e32 v10, v18, v21
	v_fmac_f32_e32 v8, v19, v21
	;; [unrolled: 1-line block ×4, first 2 shown]
	v_cmp_ge_i64_e32 vcc, s[8:9], v[16:17]
	s_waitcnt lgkmcnt(1)
	v_fmac_f32_e32 v10, v28, v22
	v_fmac_f32_e32 v8, v29, v22
	;; [unrolled: 1-line block ×4, first 2 shown]
	v_add_co_u32_e64 v4, s[6:7], 32, v4
	s_waitcnt lgkmcnt(0)
	v_fmac_f32_e32 v10, v30, v23
	v_fmac_f32_e32 v8, v31, v23
	;; [unrolled: 1-line block ×4, first 2 shown]
	v_addc_co_u32_e64 v5, s[6:7], 0, v5, s[6:7]
	s_barrier
	s_cbranch_vccnz .LBB1454_8
.LBB1454_3:                             ; =>This Inner Loop Header: Depth=1
	v_mov_b32_e32 v17, s9
	v_add_co_u32_e32 v16, vcc, s8, v9
	v_addc_co_u32_e32 v17, vcc, 0, v17, vcc
	v_cmp_gt_i64_e32 vcc, s[16:17], v[16:17]
	v_mov_b32_e32 v16, 0
	s_and_b64 s[10:11], s[0:1], vcc
	s_and_saveexec_b64 s[6:7], s[10:11]
	s_cbranch_execz .LBB1454_5
; %bb.4:                                ;   in Loop: Header=BB1454_3 Depth=1
	flat_load_dword v16, v[2:3]
.LBB1454_5:                             ;   in Loop: Header=BB1454_3 Depth=1
	s_or_b64 exec, exec, s[6:7]
	v_mov_b32_e32 v18, s9
	v_add_co_u32_e32 v17, vcc, s8, v11
	v_addc_co_u32_e32 v18, vcc, 0, v18, vcc
	v_cmp_gt_i64_e32 vcc, s[16:17], v[17:18]
	s_waitcnt vmcnt(0) lgkmcnt(0)
	ds_write_b32 v12, v16
	s_and_b64 s[10:11], vcc, s[2:3]
	v_mov_b32_e32 v16, 0
	s_and_saveexec_b64 s[6:7], s[10:11]
	s_cbranch_execz .LBB1454_2
; %bb.6:                                ;   in Loop: Header=BB1454_3 Depth=1
	flat_load_dword v16, v[4:5]
	s_branch .LBB1454_2
.LBB1454_7:
	v_mov_b32_e32 v10, 0
	v_mov_b32_e32 v8, 0
	;; [unrolled: 1-line block ×4, first 2 shown]
.LBB1454_8:
	v_add_u32_e32 v4, s20, v1
	v_ashrrev_i32_e32 v1, 31, v4
	v_mul_lo_u32 v3, s14, v1
	v_mul_lo_u32 v5, s15, v4
	v_mad_u64_u32 v[1:2], s[0:1], s14, v4, 0
	s_load_dword s6, s[4:5], 0x10
	s_load_dword s7, s[4:5], 0x48
	v_add_u32_e32 v0, s19, v0
	v_add3_u32 v2, v2, v3, v5
	v_lshlrev_b64 v[1:2], 2, v[1:2]
	s_waitcnt lgkmcnt(0)
	v_mov_b32_e32 v3, s13
	v_add_co_u32_e32 v5, vcc, s12, v1
	v_addc_co_u32_e32 v9, vcc, v3, v2, vcc
	v_cmp_le_i32_e64 s[0:1], v4, v0
	v_cmp_gt_i32_e32 vcc, s18, v0
	s_and_b64 s[0:1], s[0:1], vcc
	s_and_saveexec_b64 s[2:3], s[0:1]
	s_cbranch_execz .LBB1454_10
; %bb.9:
	v_ashrrev_i32_e32 v1, 31, v0
	v_lshlrev_b64 v[1:2], 2, v[0:1]
	v_add_co_u32_e64 v1, s[0:1], v5, v1
	v_addc_co_u32_e64 v2, s[0:1], v9, v2, s[0:1]
	flat_load_dword v3, v[1:2]
	s_waitcnt vmcnt(0) lgkmcnt(0)
	v_mul_f32_e32 v3, s7, v3
	v_fmac_f32_e32 v3, s6, v10
	flat_store_dword v[1:2], v3
.LBB1454_10:
	s_or_b64 exec, exec, s[2:3]
	v_add_u32_e32 v2, 16, v0
	v_cmp_le_i32_e64 s[2:3], v4, v2
	v_cmp_gt_i32_e64 s[0:1], s18, v2
	s_and_b64 s[2:3], s[2:3], s[0:1]
	s_and_saveexec_b64 s[4:5], s[2:3]
	s_cbranch_execz .LBB1454_12
; %bb.11:
	v_ashrrev_i32_e32 v3, 31, v2
	v_lshlrev_b64 v[10:11], 2, v[2:3]
	v_add_co_u32_e64 v10, s[2:3], v5, v10
	v_addc_co_u32_e64 v11, s[2:3], v9, v11, s[2:3]
	flat_load_dword v1, v[10:11]
	s_waitcnt vmcnt(0) lgkmcnt(0)
	v_mul_f32_e32 v1, s7, v1
	v_fmac_f32_e32 v1, s6, v8
	flat_store_dword v[10:11], v1
.LBB1454_12:
	s_or_b64 exec, exec, s[4:5]
	v_add_u32_e32 v3, 16, v4
	v_ashrrev_i32_e32 v1, 31, v3
	v_mul_lo_u32 v8, s15, v3
	v_mad_u64_u32 v[4:5], s[2:3], s14, v3, 0
	v_mul_lo_u32 v1, s14, v1
	v_add3_u32 v5, v5, v1, v8
	v_lshlrev_b64 v[4:5], 2, v[4:5]
	v_mov_b32_e32 v1, s13
	v_add_co_u32_e64 v4, s[2:3], s12, v4
	v_addc_co_u32_e64 v5, s[2:3], v1, v5, s[2:3]
	v_cmp_le_i32_e64 s[2:3], v3, v0
	s_and_b64 s[4:5], s[2:3], vcc
	s_and_saveexec_b64 s[2:3], s[4:5]
	s_cbranch_execz .LBB1454_14
; %bb.13:
	v_ashrrev_i32_e32 v1, 31, v0
	v_lshlrev_b64 v[0:1], 2, v[0:1]
	v_add_co_u32_e32 v0, vcc, v4, v0
	v_addc_co_u32_e32 v1, vcc, v5, v1, vcc
	flat_load_dword v8, v[0:1]
	s_waitcnt vmcnt(0) lgkmcnt(0)
	v_mul_f32_e32 v8, s7, v8
	v_fmac_f32_e32 v8, s6, v7
	flat_store_dword v[0:1], v8
.LBB1454_14:
	s_or_b64 exec, exec, s[2:3]
	v_cmp_le_i32_e32 vcc, v3, v2
	s_and_b64 s[0:1], vcc, s[0:1]
	s_and_saveexec_b64 s[2:3], s[0:1]
	s_cbranch_execz .LBB1454_16
; %bb.15:
	v_ashrrev_i32_e32 v3, 31, v2
	v_lshlrev_b64 v[0:1], 2, v[2:3]
	v_add_co_u32_e32 v0, vcc, v4, v0
	v_addc_co_u32_e32 v1, vcc, v5, v1, vcc
	flat_load_dword v2, v[0:1]
	s_waitcnt vmcnt(0) lgkmcnt(0)
	v_mul_f32_e32 v2, s7, v2
	v_fmac_f32_e32 v2, s6, v6
	flat_store_dword v[0:1], v2
.LBB1454_16:
	s_endpgm
	.section	.rodata,"a",@progbits
	.p2align	6, 0x0
	.amdhsa_kernel _ZL34rocblas_syrkx_herkx_general_kernelIlfLi16ELi32ELi8ELb0ELb0ELc84ELc76EKPKfKPfEviT_T0_PT8_S5_lS8_S5_lS6_PT9_S5_li
		.amdhsa_group_segment_fixed_size 2048
		.amdhsa_private_segment_fixed_size 0
		.amdhsa_kernarg_size 108
		.amdhsa_user_sgpr_count 6
		.amdhsa_user_sgpr_private_segment_buffer 1
		.amdhsa_user_sgpr_dispatch_ptr 0
		.amdhsa_user_sgpr_queue_ptr 0
		.amdhsa_user_sgpr_kernarg_segment_ptr 1
		.amdhsa_user_sgpr_dispatch_id 0
		.amdhsa_user_sgpr_flat_scratch_init 0
		.amdhsa_user_sgpr_private_segment_size 0
		.amdhsa_uses_dynamic_stack 0
		.amdhsa_system_sgpr_private_segment_wavefront_offset 0
		.amdhsa_system_sgpr_workgroup_id_x 1
		.amdhsa_system_sgpr_workgroup_id_y 1
		.amdhsa_system_sgpr_workgroup_id_z 1
		.amdhsa_system_sgpr_workgroup_info 0
		.amdhsa_system_vgpr_workitem_id 1
		.amdhsa_next_free_vgpr 36
		.amdhsa_next_free_sgpr 28
		.amdhsa_reserve_vcc 1
		.amdhsa_reserve_flat_scratch 0
		.amdhsa_float_round_mode_32 0
		.amdhsa_float_round_mode_16_64 0
		.amdhsa_float_denorm_mode_32 3
		.amdhsa_float_denorm_mode_16_64 3
		.amdhsa_dx10_clamp 1
		.amdhsa_ieee_mode 1
		.amdhsa_fp16_overflow 0
		.amdhsa_exception_fp_ieee_invalid_op 0
		.amdhsa_exception_fp_denorm_src 0
		.amdhsa_exception_fp_ieee_div_zero 0
		.amdhsa_exception_fp_ieee_overflow 0
		.amdhsa_exception_fp_ieee_underflow 0
		.amdhsa_exception_fp_ieee_inexact 0
		.amdhsa_exception_int_div_zero 0
	.end_amdhsa_kernel
	.section	.text._ZL34rocblas_syrkx_herkx_general_kernelIlfLi16ELi32ELi8ELb0ELb0ELc84ELc76EKPKfKPfEviT_T0_PT8_S5_lS8_S5_lS6_PT9_S5_li,"axG",@progbits,_ZL34rocblas_syrkx_herkx_general_kernelIlfLi16ELi32ELi8ELb0ELb0ELc84ELc76EKPKfKPfEviT_T0_PT8_S5_lS8_S5_lS6_PT9_S5_li,comdat
.Lfunc_end1454:
	.size	_ZL34rocblas_syrkx_herkx_general_kernelIlfLi16ELi32ELi8ELb0ELb0ELc84ELc76EKPKfKPfEviT_T0_PT8_S5_lS8_S5_lS6_PT9_S5_li, .Lfunc_end1454-_ZL34rocblas_syrkx_herkx_general_kernelIlfLi16ELi32ELi8ELb0ELb0ELc84ELc76EKPKfKPfEviT_T0_PT8_S5_lS8_S5_lS6_PT9_S5_li
                                        ; -- End function
	.set _ZL34rocblas_syrkx_herkx_general_kernelIlfLi16ELi32ELi8ELb0ELb0ELc84ELc76EKPKfKPfEviT_T0_PT8_S5_lS8_S5_lS6_PT9_S5_li.num_vgpr, 36
	.set _ZL34rocblas_syrkx_herkx_general_kernelIlfLi16ELi32ELi8ELb0ELb0ELc84ELc76EKPKfKPfEviT_T0_PT8_S5_lS8_S5_lS6_PT9_S5_li.num_agpr, 0
	.set _ZL34rocblas_syrkx_herkx_general_kernelIlfLi16ELi32ELi8ELb0ELb0ELc84ELc76EKPKfKPfEviT_T0_PT8_S5_lS8_S5_lS6_PT9_S5_li.numbered_sgpr, 28
	.set _ZL34rocblas_syrkx_herkx_general_kernelIlfLi16ELi32ELi8ELb0ELb0ELc84ELc76EKPKfKPfEviT_T0_PT8_S5_lS8_S5_lS6_PT9_S5_li.num_named_barrier, 0
	.set _ZL34rocblas_syrkx_herkx_general_kernelIlfLi16ELi32ELi8ELb0ELb0ELc84ELc76EKPKfKPfEviT_T0_PT8_S5_lS8_S5_lS6_PT9_S5_li.private_seg_size, 0
	.set _ZL34rocblas_syrkx_herkx_general_kernelIlfLi16ELi32ELi8ELb0ELb0ELc84ELc76EKPKfKPfEviT_T0_PT8_S5_lS8_S5_lS6_PT9_S5_li.uses_vcc, 1
	.set _ZL34rocblas_syrkx_herkx_general_kernelIlfLi16ELi32ELi8ELb0ELb0ELc84ELc76EKPKfKPfEviT_T0_PT8_S5_lS8_S5_lS6_PT9_S5_li.uses_flat_scratch, 0
	.set _ZL34rocblas_syrkx_herkx_general_kernelIlfLi16ELi32ELi8ELb0ELb0ELc84ELc76EKPKfKPfEviT_T0_PT8_S5_lS8_S5_lS6_PT9_S5_li.has_dyn_sized_stack, 0
	.set _ZL34rocblas_syrkx_herkx_general_kernelIlfLi16ELi32ELi8ELb0ELb0ELc84ELc76EKPKfKPfEviT_T0_PT8_S5_lS8_S5_lS6_PT9_S5_li.has_recursion, 0
	.set _ZL34rocblas_syrkx_herkx_general_kernelIlfLi16ELi32ELi8ELb0ELb0ELc84ELc76EKPKfKPfEviT_T0_PT8_S5_lS8_S5_lS6_PT9_S5_li.has_indirect_call, 0
	.section	.AMDGPU.csdata,"",@progbits
; Kernel info:
; codeLenInByte = 1312
; TotalNumSgprs: 32
; NumVgprs: 36
; ScratchSize: 0
; MemoryBound: 0
; FloatMode: 240
; IeeeMode: 1
; LDSByteSize: 2048 bytes/workgroup (compile time only)
; SGPRBlocks: 3
; VGPRBlocks: 8
; NumSGPRsForWavesPerEU: 32
; NumVGPRsForWavesPerEU: 36
; Occupancy: 7
; WaveLimiterHint : 1
; COMPUTE_PGM_RSRC2:SCRATCH_EN: 0
; COMPUTE_PGM_RSRC2:USER_SGPR: 6
; COMPUTE_PGM_RSRC2:TRAP_HANDLER: 0
; COMPUTE_PGM_RSRC2:TGID_X_EN: 1
; COMPUTE_PGM_RSRC2:TGID_Y_EN: 1
; COMPUTE_PGM_RSRC2:TGID_Z_EN: 1
; COMPUTE_PGM_RSRC2:TIDIG_COMP_CNT: 1
	.section	.text._ZL34rocblas_syrkx_herkx_general_kernelIlfLi16ELi32ELi8ELb0ELb0ELc67ELc76EKPKfKPfEviT_T0_PT8_S5_lS8_S5_lS6_PT9_S5_li,"axG",@progbits,_ZL34rocblas_syrkx_herkx_general_kernelIlfLi16ELi32ELi8ELb0ELb0ELc67ELc76EKPKfKPfEviT_T0_PT8_S5_lS8_S5_lS6_PT9_S5_li,comdat
	.globl	_ZL34rocblas_syrkx_herkx_general_kernelIlfLi16ELi32ELi8ELb0ELb0ELc67ELc76EKPKfKPfEviT_T0_PT8_S5_lS8_S5_lS6_PT9_S5_li ; -- Begin function _ZL34rocblas_syrkx_herkx_general_kernelIlfLi16ELi32ELi8ELb0ELb0ELc67ELc76EKPKfKPfEviT_T0_PT8_S5_lS8_S5_lS6_PT9_S5_li
	.p2align	8
	.type	_ZL34rocblas_syrkx_herkx_general_kernelIlfLi16ELi32ELi8ELb0ELb0ELc67ELc76EKPKfKPfEviT_T0_PT8_S5_lS8_S5_lS6_PT9_S5_li,@function
_ZL34rocblas_syrkx_herkx_general_kernelIlfLi16ELi32ELi8ELb0ELb0ELc67ELc76EKPKfKPfEviT_T0_PT8_S5_lS8_S5_lS6_PT9_S5_li: ; @_ZL34rocblas_syrkx_herkx_general_kernelIlfLi16ELi32ELi8ELb0ELb0ELc67ELc76EKPKfKPfEviT_T0_PT8_S5_lS8_S5_lS6_PT9_S5_li
; %bb.0:
	s_load_dwordx4 s[12:15], s[4:5], 0x50
	s_load_dword s18, s[4:5], 0x0
	s_load_dwordx2 s[16:17], s[4:5], 0x8
	s_mov_b32 s9, 0
	s_lshl_b64 s[0:1], s[8:9], 3
	s_waitcnt lgkmcnt(0)
	s_add_u32 s2, s12, s0
	s_addc_u32 s3, s13, s1
	s_load_dwordx2 s[12:13], s[2:3], 0x0
	v_cmp_lt_i64_e64 s[2:3], s[16:17], 1
	s_lshl_b32 s19, s6, 5
	s_lshl_b32 s20, s7, 5
	s_and_b64 vcc, exec, s[2:3]
	s_cbranch_vccnz .LBB1455_7
; %bb.1:
	s_load_dwordx4 s[24:27], s[4:5], 0x18
	s_load_dwordx4 s[8:11], s[4:5], 0x30
	v_lshl_add_u32 v2, v1, 4, v0
	v_and_b32_e32 v5, 31, v2
	v_or_b32_e32 v7, s19, v5
	v_and_b32_e32 v11, 7, v0
	s_waitcnt lgkmcnt(0)
	s_add_u32 s2, s8, s0
	s_addc_u32 s3, s9, s1
	s_add_u32 s0, s24, s0
	s_addc_u32 s1, s25, s1
	v_lshrrev_b32_e32 v3, 3, v2
	v_lshrrev_b32_e32 v9, 5, v2
	s_load_dwordx2 s[8:9], s[0:1], 0x0
	v_cmp_gt_i32_e64 s[0:1], s18, v7
	v_lshlrev_b32_e32 v2, 2, v5
	v_lshlrev_b32_e32 v7, 2, v11
	v_lshl_or_b32 v12, v9, 7, v2
	v_lshl_or_b32 v2, v3, 5, v7
	v_add_u32_e32 v13, 0x400, v2
	v_add_u32_e32 v2, s19, v5
	;; [unrolled: 1-line block ×3, first 2 shown]
	v_ashrrev_i32_e32 v3, 31, v2
	v_mul_lo_u32 v5, s26, v3
	v_mul_lo_u32 v10, s27, v2
	v_mad_u64_u32 v[2:3], s[22:23], s26, v2, 0
	v_ashrrev_i32_e32 v8, 31, v4
	s_load_dwordx2 s[6:7], s[2:3], 0x0
	v_add3_u32 v3, v3, v5, v10
	v_lshlrev_b64 v[2:3], 2, v[2:3]
	v_lshlrev_b32_e32 v5, 2, v9
	v_cmp_gt_i32_e64 s[2:3], s18, v4
	v_add_co_u32_e32 v2, vcc, v2, v5
	v_mul_lo_u32 v8, s10, v8
	v_mul_lo_u32 v16, s11, v4
	v_mad_u64_u32 v[4:5], s[10:11], s10, v4, 0
	v_addc_co_u32_e32 v3, vcc, 0, v3, vcc
	v_add3_u32 v5, v5, v8, v16
	s_waitcnt lgkmcnt(0)
	v_mov_b32_e32 v10, s9
	v_add_co_u32_e32 v2, vcc, s8, v2
	v_lshlrev_b64 v[4:5], 2, v[4:5]
	v_addc_co_u32_e32 v3, vcc, v10, v3, vcc
	v_add_co_u32_e32 v4, vcc, v4, v7
	v_addc_co_u32_e32 v5, vcc, 0, v5, vcc
	v_mov_b32_e32 v15, 0x400
	v_mov_b32_e32 v7, s7
	v_add_co_u32_e32 v4, vcc, s6, v4
	v_mov_b32_e32 v6, 0
	v_lshlrev_b32_e32 v14, 2, v0
	v_lshl_add_u32 v15, v1, 5, v15
	v_addc_co_u32_e32 v5, vcc, v7, v5, vcc
	s_mov_b64 s[8:9], 0
	v_mov_b32_e32 v7, 0
	v_mov_b32_e32 v8, 0
	;; [unrolled: 1-line block ×3, first 2 shown]
	s_branch .LBB1455_3
.LBB1455_2:                             ;   in Loop: Header=BB1455_3 Depth=1
	s_or_b64 exec, exec, s[6:7]
	s_waitcnt vmcnt(0) lgkmcnt(0)
	ds_write_b32 v13, v16
	s_waitcnt lgkmcnt(0)
	s_barrier
	ds_read2_b32 v[28:29], v14 offset1:16
	ds_read_b128 v[16:19], v15
	ds_read2_b32 v[30:31], v14 offset0:32 offset1:48
	ds_read2_b32 v[32:33], v14 offset0:64 offset1:80
	ds_read_b128 v[20:23], v15 offset:16
	ds_read2_b32 v[34:35], v14 offset0:96 offset1:112
	s_waitcnt lgkmcnt(4)
	v_fmac_f32_e32 v10, v28, v16
	v_fmac_f32_e32 v8, v29, v16
	s_waitcnt lgkmcnt(3)
	v_fmac_f32_e32 v10, v30, v17
	v_fmac_f32_e32 v8, v31, v17
	;; [unrolled: 3-line block ×4, first 2 shown]
	ds_read_b128 v[16:19], v15 offset:512
	ds_read_b128 v[24:27], v15 offset:528
	s_add_u32 s8, s8, 8
	v_add_co_u32_e32 v2, vcc, 32, v2
	s_waitcnt lgkmcnt(1)
	v_fmac_f32_e32 v7, v28, v16
	v_fmac_f32_e32 v6, v29, v16
	;; [unrolled: 1-line block ×4, first 2 shown]
	ds_read2_b32 v[16:17], v14 offset0:128 offset1:144
	v_fmac_f32_e32 v7, v32, v18
	v_fmac_f32_e32 v6, v33, v18
	;; [unrolled: 1-line block ×4, first 2 shown]
	ds_read2_b32 v[18:19], v14 offset0:160 offset1:176
	ds_read2_b32 v[28:29], v14 offset0:192 offset1:208
	ds_read2_b32 v[30:31], v14 offset0:224 offset1:240
	s_waitcnt lgkmcnt(3)
	v_fmac_f32_e32 v10, v16, v20
	v_fmac_f32_e32 v8, v17, v20
	;; [unrolled: 1-line block ×4, first 2 shown]
	v_mov_b32_e32 v16, s16
	s_addc_u32 s9, s9, 0
	v_addc_co_u32_e32 v3, vcc, 0, v3, vcc
	v_mov_b32_e32 v17, s17
	s_waitcnt lgkmcnt(2)
	v_fmac_f32_e32 v10, v18, v21
	v_fmac_f32_e32 v8, v19, v21
	;; [unrolled: 1-line block ×4, first 2 shown]
	v_cmp_ge_i64_e32 vcc, s[8:9], v[16:17]
	s_waitcnt lgkmcnt(1)
	v_fmac_f32_e32 v10, v28, v22
	v_fmac_f32_e32 v8, v29, v22
	;; [unrolled: 1-line block ×4, first 2 shown]
	v_add_co_u32_e64 v4, s[6:7], 32, v4
	s_waitcnt lgkmcnt(0)
	v_fmac_f32_e32 v10, v30, v23
	v_fmac_f32_e32 v8, v31, v23
	v_fmac_f32_e32 v7, v30, v27
	v_fmac_f32_e32 v6, v31, v27
	v_addc_co_u32_e64 v5, s[6:7], 0, v5, s[6:7]
	s_barrier
	s_cbranch_vccnz .LBB1455_8
.LBB1455_3:                             ; =>This Inner Loop Header: Depth=1
	v_mov_b32_e32 v17, s9
	v_add_co_u32_e32 v16, vcc, s8, v9
	v_addc_co_u32_e32 v17, vcc, 0, v17, vcc
	v_cmp_gt_i64_e32 vcc, s[16:17], v[16:17]
	v_mov_b32_e32 v16, 0
	s_and_b64 s[10:11], s[0:1], vcc
	s_and_saveexec_b64 s[6:7], s[10:11]
	s_cbranch_execz .LBB1455_5
; %bb.4:                                ;   in Loop: Header=BB1455_3 Depth=1
	flat_load_dword v16, v[2:3]
.LBB1455_5:                             ;   in Loop: Header=BB1455_3 Depth=1
	s_or_b64 exec, exec, s[6:7]
	v_mov_b32_e32 v18, s9
	v_add_co_u32_e32 v17, vcc, s8, v11
	v_addc_co_u32_e32 v18, vcc, 0, v18, vcc
	v_cmp_gt_i64_e32 vcc, s[16:17], v[17:18]
	s_waitcnt vmcnt(0) lgkmcnt(0)
	ds_write_b32 v12, v16
	s_and_b64 s[10:11], vcc, s[2:3]
	v_mov_b32_e32 v16, 0
	s_and_saveexec_b64 s[6:7], s[10:11]
	s_cbranch_execz .LBB1455_2
; %bb.6:                                ;   in Loop: Header=BB1455_3 Depth=1
	flat_load_dword v16, v[4:5]
	s_branch .LBB1455_2
.LBB1455_7:
	v_mov_b32_e32 v10, 0
	v_mov_b32_e32 v8, 0
	v_mov_b32_e32 v7, 0
	v_mov_b32_e32 v6, 0
.LBB1455_8:
	v_add_u32_e32 v4, s20, v1
	v_ashrrev_i32_e32 v1, 31, v4
	v_mul_lo_u32 v3, s14, v1
	v_mul_lo_u32 v5, s15, v4
	v_mad_u64_u32 v[1:2], s[0:1], s14, v4, 0
	s_load_dword s6, s[4:5], 0x10
	s_load_dword s7, s[4:5], 0x48
	v_add_u32_e32 v0, s19, v0
	v_add3_u32 v2, v2, v3, v5
	v_lshlrev_b64 v[1:2], 2, v[1:2]
	s_waitcnt lgkmcnt(0)
	v_mov_b32_e32 v3, s13
	v_add_co_u32_e32 v5, vcc, s12, v1
	v_addc_co_u32_e32 v9, vcc, v3, v2, vcc
	v_cmp_le_i32_e64 s[0:1], v4, v0
	v_cmp_gt_i32_e32 vcc, s18, v0
	s_and_b64 s[0:1], s[0:1], vcc
	s_and_saveexec_b64 s[2:3], s[0:1]
	s_cbranch_execz .LBB1455_10
; %bb.9:
	v_ashrrev_i32_e32 v1, 31, v0
	v_lshlrev_b64 v[1:2], 2, v[0:1]
	v_add_co_u32_e64 v1, s[0:1], v5, v1
	v_addc_co_u32_e64 v2, s[0:1], v9, v2, s[0:1]
	flat_load_dword v3, v[1:2]
	s_waitcnt vmcnt(0) lgkmcnt(0)
	v_mul_f32_e32 v3, s7, v3
	v_fmac_f32_e32 v3, s6, v10
	flat_store_dword v[1:2], v3
.LBB1455_10:
	s_or_b64 exec, exec, s[2:3]
	v_add_u32_e32 v2, 16, v0
	v_cmp_le_i32_e64 s[2:3], v4, v2
	v_cmp_gt_i32_e64 s[0:1], s18, v2
	s_and_b64 s[2:3], s[2:3], s[0:1]
	s_and_saveexec_b64 s[4:5], s[2:3]
	s_cbranch_execz .LBB1455_12
; %bb.11:
	v_ashrrev_i32_e32 v3, 31, v2
	v_lshlrev_b64 v[10:11], 2, v[2:3]
	v_add_co_u32_e64 v10, s[2:3], v5, v10
	v_addc_co_u32_e64 v11, s[2:3], v9, v11, s[2:3]
	flat_load_dword v1, v[10:11]
	s_waitcnt vmcnt(0) lgkmcnt(0)
	v_mul_f32_e32 v1, s7, v1
	v_fmac_f32_e32 v1, s6, v8
	flat_store_dword v[10:11], v1
.LBB1455_12:
	s_or_b64 exec, exec, s[4:5]
	v_add_u32_e32 v3, 16, v4
	v_ashrrev_i32_e32 v1, 31, v3
	v_mul_lo_u32 v8, s15, v3
	v_mad_u64_u32 v[4:5], s[2:3], s14, v3, 0
	v_mul_lo_u32 v1, s14, v1
	v_add3_u32 v5, v5, v1, v8
	v_lshlrev_b64 v[4:5], 2, v[4:5]
	v_mov_b32_e32 v1, s13
	v_add_co_u32_e64 v4, s[2:3], s12, v4
	v_addc_co_u32_e64 v5, s[2:3], v1, v5, s[2:3]
	v_cmp_le_i32_e64 s[2:3], v3, v0
	s_and_b64 s[4:5], s[2:3], vcc
	s_and_saveexec_b64 s[2:3], s[4:5]
	s_cbranch_execz .LBB1455_14
; %bb.13:
	v_ashrrev_i32_e32 v1, 31, v0
	v_lshlrev_b64 v[0:1], 2, v[0:1]
	v_add_co_u32_e32 v0, vcc, v4, v0
	v_addc_co_u32_e32 v1, vcc, v5, v1, vcc
	flat_load_dword v8, v[0:1]
	s_waitcnt vmcnt(0) lgkmcnt(0)
	v_mul_f32_e32 v8, s7, v8
	v_fmac_f32_e32 v8, s6, v7
	flat_store_dword v[0:1], v8
.LBB1455_14:
	s_or_b64 exec, exec, s[2:3]
	v_cmp_le_i32_e32 vcc, v3, v2
	s_and_b64 s[0:1], vcc, s[0:1]
	s_and_saveexec_b64 s[2:3], s[0:1]
	s_cbranch_execz .LBB1455_16
; %bb.15:
	v_ashrrev_i32_e32 v3, 31, v2
	v_lshlrev_b64 v[0:1], 2, v[2:3]
	v_add_co_u32_e32 v0, vcc, v4, v0
	v_addc_co_u32_e32 v1, vcc, v5, v1, vcc
	flat_load_dword v2, v[0:1]
	s_waitcnt vmcnt(0) lgkmcnt(0)
	v_mul_f32_e32 v2, s7, v2
	v_fmac_f32_e32 v2, s6, v6
	flat_store_dword v[0:1], v2
.LBB1455_16:
	s_endpgm
	.section	.rodata,"a",@progbits
	.p2align	6, 0x0
	.amdhsa_kernel _ZL34rocblas_syrkx_herkx_general_kernelIlfLi16ELi32ELi8ELb0ELb0ELc67ELc76EKPKfKPfEviT_T0_PT8_S5_lS8_S5_lS6_PT9_S5_li
		.amdhsa_group_segment_fixed_size 2048
		.amdhsa_private_segment_fixed_size 0
		.amdhsa_kernarg_size 108
		.amdhsa_user_sgpr_count 6
		.amdhsa_user_sgpr_private_segment_buffer 1
		.amdhsa_user_sgpr_dispatch_ptr 0
		.amdhsa_user_sgpr_queue_ptr 0
		.amdhsa_user_sgpr_kernarg_segment_ptr 1
		.amdhsa_user_sgpr_dispatch_id 0
		.amdhsa_user_sgpr_flat_scratch_init 0
		.amdhsa_user_sgpr_private_segment_size 0
		.amdhsa_uses_dynamic_stack 0
		.amdhsa_system_sgpr_private_segment_wavefront_offset 0
		.amdhsa_system_sgpr_workgroup_id_x 1
		.amdhsa_system_sgpr_workgroup_id_y 1
		.amdhsa_system_sgpr_workgroup_id_z 1
		.amdhsa_system_sgpr_workgroup_info 0
		.amdhsa_system_vgpr_workitem_id 1
		.amdhsa_next_free_vgpr 36
		.amdhsa_next_free_sgpr 28
		.amdhsa_reserve_vcc 1
		.amdhsa_reserve_flat_scratch 0
		.amdhsa_float_round_mode_32 0
		.amdhsa_float_round_mode_16_64 0
		.amdhsa_float_denorm_mode_32 3
		.amdhsa_float_denorm_mode_16_64 3
		.amdhsa_dx10_clamp 1
		.amdhsa_ieee_mode 1
		.amdhsa_fp16_overflow 0
		.amdhsa_exception_fp_ieee_invalid_op 0
		.amdhsa_exception_fp_denorm_src 0
		.amdhsa_exception_fp_ieee_div_zero 0
		.amdhsa_exception_fp_ieee_overflow 0
		.amdhsa_exception_fp_ieee_underflow 0
		.amdhsa_exception_fp_ieee_inexact 0
		.amdhsa_exception_int_div_zero 0
	.end_amdhsa_kernel
	.section	.text._ZL34rocblas_syrkx_herkx_general_kernelIlfLi16ELi32ELi8ELb0ELb0ELc67ELc76EKPKfKPfEviT_T0_PT8_S5_lS8_S5_lS6_PT9_S5_li,"axG",@progbits,_ZL34rocblas_syrkx_herkx_general_kernelIlfLi16ELi32ELi8ELb0ELb0ELc67ELc76EKPKfKPfEviT_T0_PT8_S5_lS8_S5_lS6_PT9_S5_li,comdat
.Lfunc_end1455:
	.size	_ZL34rocblas_syrkx_herkx_general_kernelIlfLi16ELi32ELi8ELb0ELb0ELc67ELc76EKPKfKPfEviT_T0_PT8_S5_lS8_S5_lS6_PT9_S5_li, .Lfunc_end1455-_ZL34rocblas_syrkx_herkx_general_kernelIlfLi16ELi32ELi8ELb0ELb0ELc67ELc76EKPKfKPfEviT_T0_PT8_S5_lS8_S5_lS6_PT9_S5_li
                                        ; -- End function
	.set _ZL34rocblas_syrkx_herkx_general_kernelIlfLi16ELi32ELi8ELb0ELb0ELc67ELc76EKPKfKPfEviT_T0_PT8_S5_lS8_S5_lS6_PT9_S5_li.num_vgpr, 36
	.set _ZL34rocblas_syrkx_herkx_general_kernelIlfLi16ELi32ELi8ELb0ELb0ELc67ELc76EKPKfKPfEviT_T0_PT8_S5_lS8_S5_lS6_PT9_S5_li.num_agpr, 0
	.set _ZL34rocblas_syrkx_herkx_general_kernelIlfLi16ELi32ELi8ELb0ELb0ELc67ELc76EKPKfKPfEviT_T0_PT8_S5_lS8_S5_lS6_PT9_S5_li.numbered_sgpr, 28
	.set _ZL34rocblas_syrkx_herkx_general_kernelIlfLi16ELi32ELi8ELb0ELb0ELc67ELc76EKPKfKPfEviT_T0_PT8_S5_lS8_S5_lS6_PT9_S5_li.num_named_barrier, 0
	.set _ZL34rocblas_syrkx_herkx_general_kernelIlfLi16ELi32ELi8ELb0ELb0ELc67ELc76EKPKfKPfEviT_T0_PT8_S5_lS8_S5_lS6_PT9_S5_li.private_seg_size, 0
	.set _ZL34rocblas_syrkx_herkx_general_kernelIlfLi16ELi32ELi8ELb0ELb0ELc67ELc76EKPKfKPfEviT_T0_PT8_S5_lS8_S5_lS6_PT9_S5_li.uses_vcc, 1
	.set _ZL34rocblas_syrkx_herkx_general_kernelIlfLi16ELi32ELi8ELb0ELb0ELc67ELc76EKPKfKPfEviT_T0_PT8_S5_lS8_S5_lS6_PT9_S5_li.uses_flat_scratch, 0
	.set _ZL34rocblas_syrkx_herkx_general_kernelIlfLi16ELi32ELi8ELb0ELb0ELc67ELc76EKPKfKPfEviT_T0_PT8_S5_lS8_S5_lS6_PT9_S5_li.has_dyn_sized_stack, 0
	.set _ZL34rocblas_syrkx_herkx_general_kernelIlfLi16ELi32ELi8ELb0ELb0ELc67ELc76EKPKfKPfEviT_T0_PT8_S5_lS8_S5_lS6_PT9_S5_li.has_recursion, 0
	.set _ZL34rocblas_syrkx_herkx_general_kernelIlfLi16ELi32ELi8ELb0ELb0ELc67ELc76EKPKfKPfEviT_T0_PT8_S5_lS8_S5_lS6_PT9_S5_li.has_indirect_call, 0
	.section	.AMDGPU.csdata,"",@progbits
; Kernel info:
; codeLenInByte = 1312
; TotalNumSgprs: 32
; NumVgprs: 36
; ScratchSize: 0
; MemoryBound: 0
; FloatMode: 240
; IeeeMode: 1
; LDSByteSize: 2048 bytes/workgroup (compile time only)
; SGPRBlocks: 3
; VGPRBlocks: 8
; NumSGPRsForWavesPerEU: 32
; NumVGPRsForWavesPerEU: 36
; Occupancy: 7
; WaveLimiterHint : 1
; COMPUTE_PGM_RSRC2:SCRATCH_EN: 0
; COMPUTE_PGM_RSRC2:USER_SGPR: 6
; COMPUTE_PGM_RSRC2:TRAP_HANDLER: 0
; COMPUTE_PGM_RSRC2:TGID_X_EN: 1
; COMPUTE_PGM_RSRC2:TGID_Y_EN: 1
; COMPUTE_PGM_RSRC2:TGID_Z_EN: 1
; COMPUTE_PGM_RSRC2:TIDIG_COMP_CNT: 1
	.section	.text._ZL34rocblas_syrkx_herkx_general_kernelIlfLi16ELi32ELi8ELb0ELb0ELc78ELc76EKPKfKPfEviT_T0_PT8_S5_lS8_S5_lS6_PT9_S5_li,"axG",@progbits,_ZL34rocblas_syrkx_herkx_general_kernelIlfLi16ELi32ELi8ELb0ELb0ELc78ELc76EKPKfKPfEviT_T0_PT8_S5_lS8_S5_lS6_PT9_S5_li,comdat
	.globl	_ZL34rocblas_syrkx_herkx_general_kernelIlfLi16ELi32ELi8ELb0ELb0ELc78ELc76EKPKfKPfEviT_T0_PT8_S5_lS8_S5_lS6_PT9_S5_li ; -- Begin function _ZL34rocblas_syrkx_herkx_general_kernelIlfLi16ELi32ELi8ELb0ELb0ELc78ELc76EKPKfKPfEviT_T0_PT8_S5_lS8_S5_lS6_PT9_S5_li
	.p2align	8
	.type	_ZL34rocblas_syrkx_herkx_general_kernelIlfLi16ELi32ELi8ELb0ELb0ELc78ELc76EKPKfKPfEviT_T0_PT8_S5_lS8_S5_lS6_PT9_S5_li,@function
_ZL34rocblas_syrkx_herkx_general_kernelIlfLi16ELi32ELi8ELb0ELb0ELc78ELc76EKPKfKPfEviT_T0_PT8_S5_lS8_S5_lS6_PT9_S5_li: ; @_ZL34rocblas_syrkx_herkx_general_kernelIlfLi16ELi32ELi8ELb0ELb0ELc78ELc76EKPKfKPfEviT_T0_PT8_S5_lS8_S5_lS6_PT9_S5_li
; %bb.0:
	s_load_dwordx4 s[12:15], s[4:5], 0x50
	s_load_dword s22, s[4:5], 0x0
	s_load_dwordx2 s[20:21], s[4:5], 0x8
	s_mov_b32 s9, 0
	s_lshl_b64 s[0:1], s[8:9], 3
	s_waitcnt lgkmcnt(0)
	s_add_u32 s2, s12, s0
	s_addc_u32 s3, s13, s1
	s_load_dwordx2 s[12:13], s[2:3], 0x0
	v_cmp_lt_i64_e64 s[2:3], s[20:21], 1
	s_lshl_b32 s23, s6, 5
	s_lshl_b32 s24, s7, 5
	s_and_b64 vcc, exec, s[2:3]
	s_cbranch_vccnz .LBB1456_7
; %bb.1:
	s_load_dwordx4 s[16:19], s[4:5], 0x18
	s_load_dwordx4 s[8:11], s[4:5], 0x30
	v_lshl_add_u32 v2, v1, 4, v0
	v_and_b32_e32 v12, 31, v2
	v_lshrrev_b32_e32 v5, 3, v2
	v_or_b32_e32 v3, s23, v12
	s_waitcnt lgkmcnt(0)
	s_add_u32 s2, s8, s0
	s_addc_u32 s3, s9, s1
	s_add_u32 s0, s16, s0
	v_lshrrev_b32_e32 v9, 5, v2
	s_addc_u32 s1, s17, s1
	v_lshlrev_b32_e32 v2, 2, v12
	s_load_dwordx2 s[8:9], s[0:1], 0x0
	v_cmp_gt_i32_e64 s[0:1], s22, v3
	v_lshl_or_b32 v11, v9, 7, v2
	v_mad_u64_u32 v[2:3], s[16:17], s18, v9, 0
	v_and_b32_e32 v10, 7, v0
	v_add_u32_e32 v4, s24, v5
	v_lshlrev_b32_e32 v7, 2, v10
	v_lshl_or_b32 v5, v5, 5, v7
	v_mad_u64_u32 v[7:8], s[16:17], s19, v9, v[3:4]
	v_mov_b32_e32 v3, 0x400
	v_lshl_add_u32 v15, v1, 5, v3
	v_mov_b32_e32 v3, v7
	v_add_u32_e32 v7, s23, v12
	v_ashrrev_i32_e32 v8, 31, v7
	v_mad_u64_u32 v[16:17], s[16:17], s10, v10, 0
	v_lshlrev_b64 v[2:3], 2, v[2:3]
	v_lshlrev_b64 v[7:8], 2, v[7:8]
	s_load_dwordx2 s[6:7], s[2:3], 0x0
	v_add_co_u32_e32 v12, vcc, v2, v7
	v_addc_co_u32_e32 v3, vcc, v3, v8, vcc
	v_mov_b32_e32 v2, v17
	v_mad_u64_u32 v[7:8], s[16:17], s11, v10, v[2:3]
	v_add_u32_e32 v13, 0x400, v5
	v_ashrrev_i32_e32 v5, 31, v4
	v_mov_b32_e32 v17, v7
	v_cmp_gt_i32_e64 s[2:3], s22, v4
	s_waitcnt lgkmcnt(0)
	v_mov_b32_e32 v18, s9
	v_add_co_u32_e32 v2, vcc, s8, v12
	v_lshlrev_b64 v[7:8], 2, v[16:17]
	v_lshlrev_b64 v[4:5], 2, v[4:5]
	v_addc_co_u32_e32 v3, vcc, v18, v3, vcc
	v_add_co_u32_e32 v4, vcc, v7, v4
	v_addc_co_u32_e32 v5, vcc, v8, v5, vcc
	v_mov_b32_e32 v7, s7
	v_add_co_u32_e32 v4, vcc, s6, v4
	v_mov_b32_e32 v6, 0
	v_lshlrev_b32_e32 v14, 2, v0
	s_lshl_b64 s[8:9], s[18:19], 5
	v_addc_co_u32_e32 v5, vcc, v7, v5, vcc
	s_lshl_b64 s[10:11], s[10:11], 5
	s_mov_b64 s[16:17], 0
	v_mov_b32_e32 v7, 0
	v_mov_b32_e32 v8, 0
	;; [unrolled: 1-line block ×3, first 2 shown]
	s_branch .LBB1456_3
.LBB1456_2:                             ;   in Loop: Header=BB1456_3 Depth=1
	s_or_b64 exec, exec, s[6:7]
	s_waitcnt vmcnt(0) lgkmcnt(0)
	ds_write_b32 v13, v16
	s_waitcnt lgkmcnt(0)
	s_barrier
	ds_read2_b32 v[28:29], v14 offset1:16
	ds_read_b128 v[16:19], v15
	ds_read2_b32 v[30:31], v14 offset0:32 offset1:48
	ds_read2_b32 v[32:33], v14 offset0:64 offset1:80
	ds_read_b128 v[20:23], v15 offset:16
	ds_read2_b32 v[34:35], v14 offset0:96 offset1:112
	s_waitcnt lgkmcnt(4)
	v_fmac_f32_e32 v12, v28, v16
	v_fmac_f32_e32 v8, v29, v16
	s_waitcnt lgkmcnt(3)
	v_fmac_f32_e32 v12, v30, v17
	v_fmac_f32_e32 v8, v31, v17
	;; [unrolled: 3-line block ×4, first 2 shown]
	ds_read_b128 v[16:19], v15 offset:512
	ds_read_b128 v[24:27], v15 offset:528
	v_add_co_u32_e32 v2, vcc, s8, v2
	s_add_u32 s16, s16, 8
	s_waitcnt lgkmcnt(1)
	v_fmac_f32_e32 v7, v28, v16
	v_fmac_f32_e32 v6, v29, v16
	;; [unrolled: 1-line block ×4, first 2 shown]
	ds_read2_b32 v[16:17], v14 offset0:128 offset1:144
	v_fmac_f32_e32 v7, v32, v18
	v_fmac_f32_e32 v6, v33, v18
	;; [unrolled: 1-line block ×4, first 2 shown]
	ds_read2_b32 v[18:19], v14 offset0:160 offset1:176
	ds_read2_b32 v[28:29], v14 offset0:192 offset1:208
	s_waitcnt lgkmcnt(2)
	v_fmac_f32_e32 v12, v16, v20
	ds_read2_b32 v[30:31], v14 offset0:224 offset1:240
	v_fmac_f32_e32 v7, v16, v24
	v_mov_b32_e32 v16, s9
	v_fmac_f32_e32 v8, v17, v20
	v_fmac_f32_e32 v6, v17, v24
	v_addc_co_u32_e32 v3, vcc, v3, v16, vcc
	v_mov_b32_e32 v16, s20
	s_addc_u32 s17, s17, 0
	v_mov_b32_e32 v17, s21
	s_waitcnt lgkmcnt(2)
	v_fmac_f32_e32 v12, v18, v21
	v_fmac_f32_e32 v8, v19, v21
	;; [unrolled: 1-line block ×4, first 2 shown]
	v_cmp_ge_i64_e32 vcc, s[16:17], v[16:17]
	s_waitcnt lgkmcnt(1)
	v_fmac_f32_e32 v12, v28, v22
	v_fmac_f32_e32 v8, v29, v22
	v_fmac_f32_e32 v7, v28, v26
	v_fmac_f32_e32 v6, v29, v26
	v_mov_b32_e32 v18, s11
	v_add_co_u32_e64 v4, s[6:7], s10, v4
	s_waitcnt lgkmcnt(0)
	v_fmac_f32_e32 v12, v30, v23
	v_fmac_f32_e32 v8, v31, v23
	;; [unrolled: 1-line block ×4, first 2 shown]
	v_addc_co_u32_e64 v5, s[6:7], v5, v18, s[6:7]
	s_barrier
	s_cbranch_vccnz .LBB1456_8
.LBB1456_3:                             ; =>This Inner Loop Header: Depth=1
	v_mov_b32_e32 v17, s17
	v_add_co_u32_e32 v16, vcc, s16, v9
	v_addc_co_u32_e32 v17, vcc, 0, v17, vcc
	v_cmp_gt_i64_e32 vcc, s[20:21], v[16:17]
	v_mov_b32_e32 v16, 0
	s_and_b64 s[18:19], s[0:1], vcc
	s_and_saveexec_b64 s[6:7], s[18:19]
	s_cbranch_execz .LBB1456_5
; %bb.4:                                ;   in Loop: Header=BB1456_3 Depth=1
	flat_load_dword v16, v[2:3]
.LBB1456_5:                             ;   in Loop: Header=BB1456_3 Depth=1
	s_or_b64 exec, exec, s[6:7]
	v_mov_b32_e32 v18, s17
	v_add_co_u32_e32 v17, vcc, s16, v10
	v_addc_co_u32_e32 v18, vcc, 0, v18, vcc
	v_cmp_gt_i64_e32 vcc, s[20:21], v[17:18]
	s_waitcnt vmcnt(0) lgkmcnt(0)
	ds_write_b32 v11, v16
	s_and_b64 s[18:19], vcc, s[2:3]
	v_mov_b32_e32 v16, 0
	s_and_saveexec_b64 s[6:7], s[18:19]
	s_cbranch_execz .LBB1456_2
; %bb.6:                                ;   in Loop: Header=BB1456_3 Depth=1
	flat_load_dword v16, v[4:5]
	s_branch .LBB1456_2
.LBB1456_7:
	v_mov_b32_e32 v12, 0
	v_mov_b32_e32 v8, 0
	;; [unrolled: 1-line block ×4, first 2 shown]
.LBB1456_8:
	v_add_u32_e32 v4, s24, v1
	v_ashrrev_i32_e32 v1, 31, v4
	v_mul_lo_u32 v3, s14, v1
	v_mul_lo_u32 v5, s15, v4
	v_mad_u64_u32 v[1:2], s[0:1], s14, v4, 0
	s_load_dword s6, s[4:5], 0x10
	s_load_dword s7, s[4:5], 0x48
	v_add_u32_e32 v0, s23, v0
	v_add3_u32 v2, v2, v3, v5
	v_lshlrev_b64 v[1:2], 2, v[1:2]
	s_waitcnt lgkmcnt(0)
	v_mov_b32_e32 v3, s13
	v_add_co_u32_e32 v5, vcc, s12, v1
	v_addc_co_u32_e32 v9, vcc, v3, v2, vcc
	v_cmp_le_i32_e64 s[0:1], v4, v0
	v_cmp_gt_i32_e32 vcc, s22, v0
	s_and_b64 s[0:1], s[0:1], vcc
	s_and_saveexec_b64 s[2:3], s[0:1]
	s_cbranch_execz .LBB1456_10
; %bb.9:
	v_ashrrev_i32_e32 v1, 31, v0
	v_lshlrev_b64 v[1:2], 2, v[0:1]
	v_add_co_u32_e64 v1, s[0:1], v5, v1
	v_addc_co_u32_e64 v2, s[0:1], v9, v2, s[0:1]
	flat_load_dword v3, v[1:2]
	s_waitcnt vmcnt(0) lgkmcnt(0)
	v_mul_f32_e32 v3, s7, v3
	v_fmac_f32_e32 v3, s6, v12
	flat_store_dword v[1:2], v3
.LBB1456_10:
	s_or_b64 exec, exec, s[2:3]
	v_add_u32_e32 v2, 16, v0
	v_cmp_le_i32_e64 s[2:3], v4, v2
	v_cmp_gt_i32_e64 s[0:1], s22, v2
	s_and_b64 s[2:3], s[2:3], s[0:1]
	s_and_saveexec_b64 s[4:5], s[2:3]
	s_cbranch_execz .LBB1456_12
; %bb.11:
	v_ashrrev_i32_e32 v3, 31, v2
	v_lshlrev_b64 v[10:11], 2, v[2:3]
	v_add_co_u32_e64 v10, s[2:3], v5, v10
	v_addc_co_u32_e64 v11, s[2:3], v9, v11, s[2:3]
	flat_load_dword v1, v[10:11]
	s_waitcnt vmcnt(0) lgkmcnt(0)
	v_mul_f32_e32 v1, s7, v1
	v_fmac_f32_e32 v1, s6, v8
	flat_store_dword v[10:11], v1
.LBB1456_12:
	s_or_b64 exec, exec, s[4:5]
	v_add_u32_e32 v3, 16, v4
	v_ashrrev_i32_e32 v1, 31, v3
	v_mul_lo_u32 v8, s15, v3
	v_mad_u64_u32 v[4:5], s[2:3], s14, v3, 0
	v_mul_lo_u32 v1, s14, v1
	v_add3_u32 v5, v5, v1, v8
	v_lshlrev_b64 v[4:5], 2, v[4:5]
	v_mov_b32_e32 v1, s13
	v_add_co_u32_e64 v4, s[2:3], s12, v4
	v_addc_co_u32_e64 v5, s[2:3], v1, v5, s[2:3]
	v_cmp_le_i32_e64 s[2:3], v3, v0
	s_and_b64 s[4:5], s[2:3], vcc
	s_and_saveexec_b64 s[2:3], s[4:5]
	s_cbranch_execz .LBB1456_14
; %bb.13:
	v_ashrrev_i32_e32 v1, 31, v0
	v_lshlrev_b64 v[0:1], 2, v[0:1]
	v_add_co_u32_e32 v0, vcc, v4, v0
	v_addc_co_u32_e32 v1, vcc, v5, v1, vcc
	flat_load_dword v8, v[0:1]
	s_waitcnt vmcnt(0) lgkmcnt(0)
	v_mul_f32_e32 v8, s7, v8
	v_fmac_f32_e32 v8, s6, v7
	flat_store_dword v[0:1], v8
.LBB1456_14:
	s_or_b64 exec, exec, s[2:3]
	v_cmp_le_i32_e32 vcc, v3, v2
	s_and_b64 s[0:1], vcc, s[0:1]
	s_and_saveexec_b64 s[2:3], s[0:1]
	s_cbranch_execz .LBB1456_16
; %bb.15:
	v_ashrrev_i32_e32 v3, 31, v2
	v_lshlrev_b64 v[0:1], 2, v[2:3]
	v_add_co_u32_e32 v0, vcc, v4, v0
	v_addc_co_u32_e32 v1, vcc, v5, v1, vcc
	flat_load_dword v2, v[0:1]
	s_waitcnt vmcnt(0) lgkmcnt(0)
	v_mul_f32_e32 v2, s7, v2
	v_fmac_f32_e32 v2, s6, v6
	flat_store_dword v[0:1], v2
.LBB1456_16:
	s_endpgm
	.section	.rodata,"a",@progbits
	.p2align	6, 0x0
	.amdhsa_kernel _ZL34rocblas_syrkx_herkx_general_kernelIlfLi16ELi32ELi8ELb0ELb0ELc78ELc76EKPKfKPfEviT_T0_PT8_S5_lS8_S5_lS6_PT9_S5_li
		.amdhsa_group_segment_fixed_size 2048
		.amdhsa_private_segment_fixed_size 0
		.amdhsa_kernarg_size 108
		.amdhsa_user_sgpr_count 6
		.amdhsa_user_sgpr_private_segment_buffer 1
		.amdhsa_user_sgpr_dispatch_ptr 0
		.amdhsa_user_sgpr_queue_ptr 0
		.amdhsa_user_sgpr_kernarg_segment_ptr 1
		.amdhsa_user_sgpr_dispatch_id 0
		.amdhsa_user_sgpr_flat_scratch_init 0
		.amdhsa_user_sgpr_private_segment_size 0
		.amdhsa_uses_dynamic_stack 0
		.amdhsa_system_sgpr_private_segment_wavefront_offset 0
		.amdhsa_system_sgpr_workgroup_id_x 1
		.amdhsa_system_sgpr_workgroup_id_y 1
		.amdhsa_system_sgpr_workgroup_id_z 1
		.amdhsa_system_sgpr_workgroup_info 0
		.amdhsa_system_vgpr_workitem_id 1
		.amdhsa_next_free_vgpr 36
		.amdhsa_next_free_sgpr 25
		.amdhsa_reserve_vcc 1
		.amdhsa_reserve_flat_scratch 0
		.amdhsa_float_round_mode_32 0
		.amdhsa_float_round_mode_16_64 0
		.amdhsa_float_denorm_mode_32 3
		.amdhsa_float_denorm_mode_16_64 3
		.amdhsa_dx10_clamp 1
		.amdhsa_ieee_mode 1
		.amdhsa_fp16_overflow 0
		.amdhsa_exception_fp_ieee_invalid_op 0
		.amdhsa_exception_fp_denorm_src 0
		.amdhsa_exception_fp_ieee_div_zero 0
		.amdhsa_exception_fp_ieee_overflow 0
		.amdhsa_exception_fp_ieee_underflow 0
		.amdhsa_exception_fp_ieee_inexact 0
		.amdhsa_exception_int_div_zero 0
	.end_amdhsa_kernel
	.section	.text._ZL34rocblas_syrkx_herkx_general_kernelIlfLi16ELi32ELi8ELb0ELb0ELc78ELc76EKPKfKPfEviT_T0_PT8_S5_lS8_S5_lS6_PT9_S5_li,"axG",@progbits,_ZL34rocblas_syrkx_herkx_general_kernelIlfLi16ELi32ELi8ELb0ELb0ELc78ELc76EKPKfKPfEviT_T0_PT8_S5_lS8_S5_lS6_PT9_S5_li,comdat
.Lfunc_end1456:
	.size	_ZL34rocblas_syrkx_herkx_general_kernelIlfLi16ELi32ELi8ELb0ELb0ELc78ELc76EKPKfKPfEviT_T0_PT8_S5_lS8_S5_lS6_PT9_S5_li, .Lfunc_end1456-_ZL34rocblas_syrkx_herkx_general_kernelIlfLi16ELi32ELi8ELb0ELb0ELc78ELc76EKPKfKPfEviT_T0_PT8_S5_lS8_S5_lS6_PT9_S5_li
                                        ; -- End function
	.set _ZL34rocblas_syrkx_herkx_general_kernelIlfLi16ELi32ELi8ELb0ELb0ELc78ELc76EKPKfKPfEviT_T0_PT8_S5_lS8_S5_lS6_PT9_S5_li.num_vgpr, 36
	.set _ZL34rocblas_syrkx_herkx_general_kernelIlfLi16ELi32ELi8ELb0ELb0ELc78ELc76EKPKfKPfEviT_T0_PT8_S5_lS8_S5_lS6_PT9_S5_li.num_agpr, 0
	.set _ZL34rocblas_syrkx_herkx_general_kernelIlfLi16ELi32ELi8ELb0ELb0ELc78ELc76EKPKfKPfEviT_T0_PT8_S5_lS8_S5_lS6_PT9_S5_li.numbered_sgpr, 25
	.set _ZL34rocblas_syrkx_herkx_general_kernelIlfLi16ELi32ELi8ELb0ELb0ELc78ELc76EKPKfKPfEviT_T0_PT8_S5_lS8_S5_lS6_PT9_S5_li.num_named_barrier, 0
	.set _ZL34rocblas_syrkx_herkx_general_kernelIlfLi16ELi32ELi8ELb0ELb0ELc78ELc76EKPKfKPfEviT_T0_PT8_S5_lS8_S5_lS6_PT9_S5_li.private_seg_size, 0
	.set _ZL34rocblas_syrkx_herkx_general_kernelIlfLi16ELi32ELi8ELb0ELb0ELc78ELc76EKPKfKPfEviT_T0_PT8_S5_lS8_S5_lS6_PT9_S5_li.uses_vcc, 1
	.set _ZL34rocblas_syrkx_herkx_general_kernelIlfLi16ELi32ELi8ELb0ELb0ELc78ELc76EKPKfKPfEviT_T0_PT8_S5_lS8_S5_lS6_PT9_S5_li.uses_flat_scratch, 0
	.set _ZL34rocblas_syrkx_herkx_general_kernelIlfLi16ELi32ELi8ELb0ELb0ELc78ELc76EKPKfKPfEviT_T0_PT8_S5_lS8_S5_lS6_PT9_S5_li.has_dyn_sized_stack, 0
	.set _ZL34rocblas_syrkx_herkx_general_kernelIlfLi16ELi32ELi8ELb0ELb0ELc78ELc76EKPKfKPfEviT_T0_PT8_S5_lS8_S5_lS6_PT9_S5_li.has_recursion, 0
	.set _ZL34rocblas_syrkx_herkx_general_kernelIlfLi16ELi32ELi8ELb0ELb0ELc78ELc76EKPKfKPfEviT_T0_PT8_S5_lS8_S5_lS6_PT9_S5_li.has_indirect_call, 0
	.section	.AMDGPU.csdata,"",@progbits
; Kernel info:
; codeLenInByte = 1320
; TotalNumSgprs: 29
; NumVgprs: 36
; ScratchSize: 0
; MemoryBound: 0
; FloatMode: 240
; IeeeMode: 1
; LDSByteSize: 2048 bytes/workgroup (compile time only)
; SGPRBlocks: 3
; VGPRBlocks: 8
; NumSGPRsForWavesPerEU: 29
; NumVGPRsForWavesPerEU: 36
; Occupancy: 7
; WaveLimiterHint : 1
; COMPUTE_PGM_RSRC2:SCRATCH_EN: 0
; COMPUTE_PGM_RSRC2:USER_SGPR: 6
; COMPUTE_PGM_RSRC2:TRAP_HANDLER: 0
; COMPUTE_PGM_RSRC2:TGID_X_EN: 1
; COMPUTE_PGM_RSRC2:TGID_Y_EN: 1
; COMPUTE_PGM_RSRC2:TGID_Z_EN: 1
; COMPUTE_PGM_RSRC2:TIDIG_COMP_CNT: 1
	.section	.text._ZL34rocblas_syrkx_herkx_general_kernelIlfLi16ELi32ELi8ELb0ELb0ELc84ELc85EKPKfKPfEviT_T0_PT8_S5_lS8_S5_lS6_PT9_S5_li,"axG",@progbits,_ZL34rocblas_syrkx_herkx_general_kernelIlfLi16ELi32ELi8ELb0ELb0ELc84ELc85EKPKfKPfEviT_T0_PT8_S5_lS8_S5_lS6_PT9_S5_li,comdat
	.globl	_ZL34rocblas_syrkx_herkx_general_kernelIlfLi16ELi32ELi8ELb0ELb0ELc84ELc85EKPKfKPfEviT_T0_PT8_S5_lS8_S5_lS6_PT9_S5_li ; -- Begin function _ZL34rocblas_syrkx_herkx_general_kernelIlfLi16ELi32ELi8ELb0ELb0ELc84ELc85EKPKfKPfEviT_T0_PT8_S5_lS8_S5_lS6_PT9_S5_li
	.p2align	8
	.type	_ZL34rocblas_syrkx_herkx_general_kernelIlfLi16ELi32ELi8ELb0ELb0ELc84ELc85EKPKfKPfEviT_T0_PT8_S5_lS8_S5_lS6_PT9_S5_li,@function
_ZL34rocblas_syrkx_herkx_general_kernelIlfLi16ELi32ELi8ELb0ELb0ELc84ELc85EKPKfKPfEviT_T0_PT8_S5_lS8_S5_lS6_PT9_S5_li: ; @_ZL34rocblas_syrkx_herkx_general_kernelIlfLi16ELi32ELi8ELb0ELb0ELc84ELc85EKPKfKPfEviT_T0_PT8_S5_lS8_S5_lS6_PT9_S5_li
; %bb.0:
	s_load_dwordx4 s[12:15], s[4:5], 0x50
	s_load_dword s18, s[4:5], 0x0
	s_load_dwordx2 s[16:17], s[4:5], 0x8
	s_mov_b32 s9, 0
	s_lshl_b64 s[0:1], s[8:9], 3
	s_waitcnt lgkmcnt(0)
	s_add_u32 s2, s12, s0
	s_addc_u32 s3, s13, s1
	s_load_dwordx2 s[12:13], s[2:3], 0x0
	v_cmp_lt_i64_e64 s[2:3], s[16:17], 1
	s_lshl_b32 s19, s6, 5
	s_lshl_b32 s20, s7, 5
	s_and_b64 vcc, exec, s[2:3]
	s_cbranch_vccnz .LBB1457_7
; %bb.1:
	s_load_dwordx4 s[24:27], s[4:5], 0x18
	s_load_dwordx4 s[8:11], s[4:5], 0x30
	v_lshl_add_u32 v2, v1, 4, v0
	v_and_b32_e32 v5, 31, v2
	v_or_b32_e32 v7, s19, v5
	v_and_b32_e32 v11, 7, v0
	s_waitcnt lgkmcnt(0)
	s_add_u32 s2, s8, s0
	s_addc_u32 s3, s9, s1
	s_add_u32 s0, s24, s0
	s_addc_u32 s1, s25, s1
	v_lshrrev_b32_e32 v3, 3, v2
	v_lshrrev_b32_e32 v9, 5, v2
	s_load_dwordx2 s[8:9], s[0:1], 0x0
	v_cmp_gt_i32_e64 s[0:1], s18, v7
	v_lshlrev_b32_e32 v2, 2, v5
	v_lshlrev_b32_e32 v7, 2, v11
	v_lshl_or_b32 v12, v9, 7, v2
	v_lshl_or_b32 v2, v3, 5, v7
	v_add_u32_e32 v13, 0x400, v2
	v_add_u32_e32 v2, s19, v5
	;; [unrolled: 1-line block ×3, first 2 shown]
	v_ashrrev_i32_e32 v3, 31, v2
	v_mul_lo_u32 v5, s26, v3
	v_mul_lo_u32 v10, s27, v2
	v_mad_u64_u32 v[2:3], s[22:23], s26, v2, 0
	v_ashrrev_i32_e32 v8, 31, v4
	s_load_dwordx2 s[6:7], s[2:3], 0x0
	v_add3_u32 v3, v3, v5, v10
	v_lshlrev_b64 v[2:3], 2, v[2:3]
	v_lshlrev_b32_e32 v5, 2, v9
	v_cmp_gt_i32_e64 s[2:3], s18, v4
	v_add_co_u32_e32 v2, vcc, v2, v5
	v_mul_lo_u32 v8, s10, v8
	v_mul_lo_u32 v16, s11, v4
	v_mad_u64_u32 v[4:5], s[10:11], s10, v4, 0
	v_addc_co_u32_e32 v3, vcc, 0, v3, vcc
	v_add3_u32 v5, v5, v8, v16
	s_waitcnt lgkmcnt(0)
	v_mov_b32_e32 v10, s9
	v_add_co_u32_e32 v2, vcc, s8, v2
	v_lshlrev_b64 v[4:5], 2, v[4:5]
	v_addc_co_u32_e32 v3, vcc, v10, v3, vcc
	v_add_co_u32_e32 v4, vcc, v4, v7
	v_addc_co_u32_e32 v5, vcc, 0, v5, vcc
	v_mov_b32_e32 v15, 0x400
	v_mov_b32_e32 v7, s7
	v_add_co_u32_e32 v4, vcc, s6, v4
	v_mov_b32_e32 v6, 0
	v_lshlrev_b32_e32 v14, 2, v0
	v_lshl_add_u32 v15, v1, 5, v15
	v_addc_co_u32_e32 v5, vcc, v7, v5, vcc
	s_mov_b64 s[8:9], 0
	v_mov_b32_e32 v7, 0
	v_mov_b32_e32 v8, 0
	;; [unrolled: 1-line block ×3, first 2 shown]
	s_branch .LBB1457_3
.LBB1457_2:                             ;   in Loop: Header=BB1457_3 Depth=1
	s_or_b64 exec, exec, s[6:7]
	s_waitcnt vmcnt(0) lgkmcnt(0)
	ds_write_b32 v13, v16
	s_waitcnt lgkmcnt(0)
	s_barrier
	ds_read2_b32 v[28:29], v14 offset1:16
	ds_read_b128 v[16:19], v15
	ds_read2_b32 v[30:31], v14 offset0:32 offset1:48
	ds_read2_b32 v[32:33], v14 offset0:64 offset1:80
	ds_read_b128 v[20:23], v15 offset:16
	ds_read2_b32 v[34:35], v14 offset0:96 offset1:112
	s_waitcnt lgkmcnt(4)
	v_fmac_f32_e32 v10, v28, v16
	v_fmac_f32_e32 v8, v29, v16
	s_waitcnt lgkmcnt(3)
	v_fmac_f32_e32 v10, v30, v17
	v_fmac_f32_e32 v8, v31, v17
	;; [unrolled: 3-line block ×4, first 2 shown]
	ds_read_b128 v[16:19], v15 offset:512
	ds_read_b128 v[24:27], v15 offset:528
	s_add_u32 s8, s8, 8
	v_add_co_u32_e32 v2, vcc, 32, v2
	s_waitcnt lgkmcnt(1)
	v_fmac_f32_e32 v7, v28, v16
	v_fmac_f32_e32 v6, v29, v16
	;; [unrolled: 1-line block ×4, first 2 shown]
	ds_read2_b32 v[16:17], v14 offset0:128 offset1:144
	v_fmac_f32_e32 v7, v32, v18
	v_fmac_f32_e32 v6, v33, v18
	;; [unrolled: 1-line block ×4, first 2 shown]
	ds_read2_b32 v[18:19], v14 offset0:160 offset1:176
	ds_read2_b32 v[28:29], v14 offset0:192 offset1:208
	;; [unrolled: 1-line block ×3, first 2 shown]
	s_waitcnt lgkmcnt(3)
	v_fmac_f32_e32 v10, v16, v20
	v_fmac_f32_e32 v8, v17, v20
	;; [unrolled: 1-line block ×4, first 2 shown]
	v_mov_b32_e32 v16, s16
	s_addc_u32 s9, s9, 0
	v_addc_co_u32_e32 v3, vcc, 0, v3, vcc
	v_mov_b32_e32 v17, s17
	s_waitcnt lgkmcnt(2)
	v_fmac_f32_e32 v10, v18, v21
	v_fmac_f32_e32 v8, v19, v21
	v_fmac_f32_e32 v7, v18, v25
	v_fmac_f32_e32 v6, v19, v25
	v_cmp_ge_i64_e32 vcc, s[8:9], v[16:17]
	s_waitcnt lgkmcnt(1)
	v_fmac_f32_e32 v10, v28, v22
	v_fmac_f32_e32 v8, v29, v22
	;; [unrolled: 1-line block ×4, first 2 shown]
	v_add_co_u32_e64 v4, s[6:7], 32, v4
	s_waitcnt lgkmcnt(0)
	v_fmac_f32_e32 v10, v30, v23
	v_fmac_f32_e32 v8, v31, v23
	;; [unrolled: 1-line block ×4, first 2 shown]
	v_addc_co_u32_e64 v5, s[6:7], 0, v5, s[6:7]
	s_barrier
	s_cbranch_vccnz .LBB1457_8
.LBB1457_3:                             ; =>This Inner Loop Header: Depth=1
	v_mov_b32_e32 v17, s9
	v_add_co_u32_e32 v16, vcc, s8, v9
	v_addc_co_u32_e32 v17, vcc, 0, v17, vcc
	v_cmp_gt_i64_e32 vcc, s[16:17], v[16:17]
	v_mov_b32_e32 v16, 0
	s_and_b64 s[10:11], s[0:1], vcc
	s_and_saveexec_b64 s[6:7], s[10:11]
	s_cbranch_execz .LBB1457_5
; %bb.4:                                ;   in Loop: Header=BB1457_3 Depth=1
	flat_load_dword v16, v[2:3]
.LBB1457_5:                             ;   in Loop: Header=BB1457_3 Depth=1
	s_or_b64 exec, exec, s[6:7]
	v_mov_b32_e32 v18, s9
	v_add_co_u32_e32 v17, vcc, s8, v11
	v_addc_co_u32_e32 v18, vcc, 0, v18, vcc
	v_cmp_gt_i64_e32 vcc, s[16:17], v[17:18]
	s_waitcnt vmcnt(0) lgkmcnt(0)
	ds_write_b32 v12, v16
	s_and_b64 s[10:11], vcc, s[2:3]
	v_mov_b32_e32 v16, 0
	s_and_saveexec_b64 s[6:7], s[10:11]
	s_cbranch_execz .LBB1457_2
; %bb.6:                                ;   in Loop: Header=BB1457_3 Depth=1
	flat_load_dword v16, v[4:5]
	s_branch .LBB1457_2
.LBB1457_7:
	v_mov_b32_e32 v10, 0
	v_mov_b32_e32 v8, 0
	;; [unrolled: 1-line block ×4, first 2 shown]
.LBB1457_8:
	v_add_u32_e32 v4, s20, v1
	v_ashrrev_i32_e32 v1, 31, v4
	v_mul_lo_u32 v3, s14, v1
	v_mul_lo_u32 v5, s15, v4
	v_mad_u64_u32 v[1:2], s[0:1], s14, v4, 0
	s_load_dword s6, s[4:5], 0x10
	s_load_dword s7, s[4:5], 0x48
	v_add_u32_e32 v0, s19, v0
	v_add3_u32 v2, v2, v3, v5
	v_lshlrev_b64 v[1:2], 2, v[1:2]
	s_waitcnt lgkmcnt(0)
	v_mov_b32_e32 v3, s13
	v_add_co_u32_e64 v5, s[0:1], s12, v1
	v_addc_co_u32_e64 v9, s[0:1], v3, v2, s[0:1]
	v_cmp_gt_i32_e32 vcc, s18, v4
	v_cmp_le_i32_e64 s[0:1], v0, v4
	s_and_b64 s[0:1], vcc, s[0:1]
	s_and_saveexec_b64 s[2:3], s[0:1]
	s_cbranch_execz .LBB1457_10
; %bb.9:
	v_ashrrev_i32_e32 v1, 31, v0
	v_lshlrev_b64 v[1:2], 2, v[0:1]
	v_add_co_u32_e64 v1, s[0:1], v5, v1
	v_addc_co_u32_e64 v2, s[0:1], v9, v2, s[0:1]
	flat_load_dword v3, v[1:2]
	s_waitcnt vmcnt(0) lgkmcnt(0)
	v_mul_f32_e32 v3, s7, v3
	v_fmac_f32_e32 v3, s6, v10
	flat_store_dword v[1:2], v3
.LBB1457_10:
	s_or_b64 exec, exec, s[2:3]
	v_add_u32_e32 v2, 16, v0
	v_cmp_le_i32_e64 s[0:1], v2, v4
	s_and_b64 s[2:3], vcc, s[0:1]
	s_and_saveexec_b64 s[0:1], s[2:3]
	s_cbranch_execz .LBB1457_12
; %bb.11:
	v_ashrrev_i32_e32 v3, 31, v2
	v_lshlrev_b64 v[10:11], 2, v[2:3]
	v_add_co_u32_e32 v10, vcc, v5, v10
	v_addc_co_u32_e32 v11, vcc, v9, v11, vcc
	flat_load_dword v1, v[10:11]
	s_waitcnt vmcnt(0) lgkmcnt(0)
	v_mul_f32_e32 v1, s7, v1
	v_fmac_f32_e32 v1, s6, v8
	flat_store_dword v[10:11], v1
.LBB1457_12:
	s_or_b64 exec, exec, s[0:1]
	v_add_u32_e32 v3, 16, v4
	v_ashrrev_i32_e32 v1, 31, v3
	v_mul_lo_u32 v1, s14, v1
	v_mul_lo_u32 v8, s15, v3
	v_mad_u64_u32 v[4:5], s[0:1], s14, v3, 0
	v_cmp_gt_i32_e32 vcc, s18, v3
	v_add3_u32 v5, v5, v1, v8
	v_lshlrev_b64 v[4:5], 2, v[4:5]
	v_mov_b32_e32 v1, s13
	v_add_co_u32_e64 v4, s[0:1], s12, v4
	v_addc_co_u32_e64 v5, s[0:1], v1, v5, s[0:1]
	v_cmp_le_i32_e64 s[0:1], v0, v3
	s_and_b64 s[0:1], vcc, s[0:1]
	s_and_saveexec_b64 s[2:3], s[0:1]
	s_cbranch_execz .LBB1457_14
; %bb.13:
	v_ashrrev_i32_e32 v1, 31, v0
	v_lshlrev_b64 v[0:1], 2, v[0:1]
	v_add_co_u32_e64 v0, s[0:1], v4, v0
	v_addc_co_u32_e64 v1, s[0:1], v5, v1, s[0:1]
	flat_load_dword v8, v[0:1]
	s_waitcnt vmcnt(0) lgkmcnt(0)
	v_mul_f32_e32 v8, s7, v8
	v_fmac_f32_e32 v8, s6, v7
	flat_store_dword v[0:1], v8
.LBB1457_14:
	s_or_b64 exec, exec, s[2:3]
	v_cmp_le_i32_e64 s[0:1], v2, v3
	s_and_b64 s[0:1], vcc, s[0:1]
	s_and_saveexec_b64 s[2:3], s[0:1]
	s_cbranch_execz .LBB1457_16
; %bb.15:
	v_ashrrev_i32_e32 v3, 31, v2
	v_lshlrev_b64 v[0:1], 2, v[2:3]
	v_add_co_u32_e32 v0, vcc, v4, v0
	v_addc_co_u32_e32 v1, vcc, v5, v1, vcc
	flat_load_dword v2, v[0:1]
	s_waitcnt vmcnt(0) lgkmcnt(0)
	v_mul_f32_e32 v2, s7, v2
	v_fmac_f32_e32 v2, s6, v6
	flat_store_dword v[0:1], v2
.LBB1457_16:
	s_endpgm
	.section	.rodata,"a",@progbits
	.p2align	6, 0x0
	.amdhsa_kernel _ZL34rocblas_syrkx_herkx_general_kernelIlfLi16ELi32ELi8ELb0ELb0ELc84ELc85EKPKfKPfEviT_T0_PT8_S5_lS8_S5_lS6_PT9_S5_li
		.amdhsa_group_segment_fixed_size 2048
		.amdhsa_private_segment_fixed_size 0
		.amdhsa_kernarg_size 108
		.amdhsa_user_sgpr_count 6
		.amdhsa_user_sgpr_private_segment_buffer 1
		.amdhsa_user_sgpr_dispatch_ptr 0
		.amdhsa_user_sgpr_queue_ptr 0
		.amdhsa_user_sgpr_kernarg_segment_ptr 1
		.amdhsa_user_sgpr_dispatch_id 0
		.amdhsa_user_sgpr_flat_scratch_init 0
		.amdhsa_user_sgpr_private_segment_size 0
		.amdhsa_uses_dynamic_stack 0
		.amdhsa_system_sgpr_private_segment_wavefront_offset 0
		.amdhsa_system_sgpr_workgroup_id_x 1
		.amdhsa_system_sgpr_workgroup_id_y 1
		.amdhsa_system_sgpr_workgroup_id_z 1
		.amdhsa_system_sgpr_workgroup_info 0
		.amdhsa_system_vgpr_workitem_id 1
		.amdhsa_next_free_vgpr 36
		.amdhsa_next_free_sgpr 28
		.amdhsa_reserve_vcc 1
		.amdhsa_reserve_flat_scratch 0
		.amdhsa_float_round_mode_32 0
		.amdhsa_float_round_mode_16_64 0
		.amdhsa_float_denorm_mode_32 3
		.amdhsa_float_denorm_mode_16_64 3
		.amdhsa_dx10_clamp 1
		.amdhsa_ieee_mode 1
		.amdhsa_fp16_overflow 0
		.amdhsa_exception_fp_ieee_invalid_op 0
		.amdhsa_exception_fp_denorm_src 0
		.amdhsa_exception_fp_ieee_div_zero 0
		.amdhsa_exception_fp_ieee_overflow 0
		.amdhsa_exception_fp_ieee_underflow 0
		.amdhsa_exception_fp_ieee_inexact 0
		.amdhsa_exception_int_div_zero 0
	.end_amdhsa_kernel
	.section	.text._ZL34rocblas_syrkx_herkx_general_kernelIlfLi16ELi32ELi8ELb0ELb0ELc84ELc85EKPKfKPfEviT_T0_PT8_S5_lS8_S5_lS6_PT9_S5_li,"axG",@progbits,_ZL34rocblas_syrkx_herkx_general_kernelIlfLi16ELi32ELi8ELb0ELb0ELc84ELc85EKPKfKPfEviT_T0_PT8_S5_lS8_S5_lS6_PT9_S5_li,comdat
.Lfunc_end1457:
	.size	_ZL34rocblas_syrkx_herkx_general_kernelIlfLi16ELi32ELi8ELb0ELb0ELc84ELc85EKPKfKPfEviT_T0_PT8_S5_lS8_S5_lS6_PT9_S5_li, .Lfunc_end1457-_ZL34rocblas_syrkx_herkx_general_kernelIlfLi16ELi32ELi8ELb0ELb0ELc84ELc85EKPKfKPfEviT_T0_PT8_S5_lS8_S5_lS6_PT9_S5_li
                                        ; -- End function
	.set _ZL34rocblas_syrkx_herkx_general_kernelIlfLi16ELi32ELi8ELb0ELb0ELc84ELc85EKPKfKPfEviT_T0_PT8_S5_lS8_S5_lS6_PT9_S5_li.num_vgpr, 36
	.set _ZL34rocblas_syrkx_herkx_general_kernelIlfLi16ELi32ELi8ELb0ELb0ELc84ELc85EKPKfKPfEviT_T0_PT8_S5_lS8_S5_lS6_PT9_S5_li.num_agpr, 0
	.set _ZL34rocblas_syrkx_herkx_general_kernelIlfLi16ELi32ELi8ELb0ELb0ELc84ELc85EKPKfKPfEviT_T0_PT8_S5_lS8_S5_lS6_PT9_S5_li.numbered_sgpr, 28
	.set _ZL34rocblas_syrkx_herkx_general_kernelIlfLi16ELi32ELi8ELb0ELb0ELc84ELc85EKPKfKPfEviT_T0_PT8_S5_lS8_S5_lS6_PT9_S5_li.num_named_barrier, 0
	.set _ZL34rocblas_syrkx_herkx_general_kernelIlfLi16ELi32ELi8ELb0ELb0ELc84ELc85EKPKfKPfEviT_T0_PT8_S5_lS8_S5_lS6_PT9_S5_li.private_seg_size, 0
	.set _ZL34rocblas_syrkx_herkx_general_kernelIlfLi16ELi32ELi8ELb0ELb0ELc84ELc85EKPKfKPfEviT_T0_PT8_S5_lS8_S5_lS6_PT9_S5_li.uses_vcc, 1
	.set _ZL34rocblas_syrkx_herkx_general_kernelIlfLi16ELi32ELi8ELb0ELb0ELc84ELc85EKPKfKPfEviT_T0_PT8_S5_lS8_S5_lS6_PT9_S5_li.uses_flat_scratch, 0
	.set _ZL34rocblas_syrkx_herkx_general_kernelIlfLi16ELi32ELi8ELb0ELb0ELc84ELc85EKPKfKPfEviT_T0_PT8_S5_lS8_S5_lS6_PT9_S5_li.has_dyn_sized_stack, 0
	.set _ZL34rocblas_syrkx_herkx_general_kernelIlfLi16ELi32ELi8ELb0ELb0ELc84ELc85EKPKfKPfEviT_T0_PT8_S5_lS8_S5_lS6_PT9_S5_li.has_recursion, 0
	.set _ZL34rocblas_syrkx_herkx_general_kernelIlfLi16ELi32ELi8ELb0ELb0ELc84ELc85EKPKfKPfEviT_T0_PT8_S5_lS8_S5_lS6_PT9_S5_li.has_indirect_call, 0
	.section	.AMDGPU.csdata,"",@progbits
; Kernel info:
; codeLenInByte = 1320
; TotalNumSgprs: 32
; NumVgprs: 36
; ScratchSize: 0
; MemoryBound: 0
; FloatMode: 240
; IeeeMode: 1
; LDSByteSize: 2048 bytes/workgroup (compile time only)
; SGPRBlocks: 3
; VGPRBlocks: 8
; NumSGPRsForWavesPerEU: 32
; NumVGPRsForWavesPerEU: 36
; Occupancy: 7
; WaveLimiterHint : 1
; COMPUTE_PGM_RSRC2:SCRATCH_EN: 0
; COMPUTE_PGM_RSRC2:USER_SGPR: 6
; COMPUTE_PGM_RSRC2:TRAP_HANDLER: 0
; COMPUTE_PGM_RSRC2:TGID_X_EN: 1
; COMPUTE_PGM_RSRC2:TGID_Y_EN: 1
; COMPUTE_PGM_RSRC2:TGID_Z_EN: 1
; COMPUTE_PGM_RSRC2:TIDIG_COMP_CNT: 1
	.section	.text._ZL34rocblas_syrkx_herkx_general_kernelIlfLi16ELi32ELi8ELb0ELb0ELc67ELc85EKPKfKPfEviT_T0_PT8_S5_lS8_S5_lS6_PT9_S5_li,"axG",@progbits,_ZL34rocblas_syrkx_herkx_general_kernelIlfLi16ELi32ELi8ELb0ELb0ELc67ELc85EKPKfKPfEviT_T0_PT8_S5_lS8_S5_lS6_PT9_S5_li,comdat
	.globl	_ZL34rocblas_syrkx_herkx_general_kernelIlfLi16ELi32ELi8ELb0ELb0ELc67ELc85EKPKfKPfEviT_T0_PT8_S5_lS8_S5_lS6_PT9_S5_li ; -- Begin function _ZL34rocblas_syrkx_herkx_general_kernelIlfLi16ELi32ELi8ELb0ELb0ELc67ELc85EKPKfKPfEviT_T0_PT8_S5_lS8_S5_lS6_PT9_S5_li
	.p2align	8
	.type	_ZL34rocblas_syrkx_herkx_general_kernelIlfLi16ELi32ELi8ELb0ELb0ELc67ELc85EKPKfKPfEviT_T0_PT8_S5_lS8_S5_lS6_PT9_S5_li,@function
_ZL34rocblas_syrkx_herkx_general_kernelIlfLi16ELi32ELi8ELb0ELb0ELc67ELc85EKPKfKPfEviT_T0_PT8_S5_lS8_S5_lS6_PT9_S5_li: ; @_ZL34rocblas_syrkx_herkx_general_kernelIlfLi16ELi32ELi8ELb0ELb0ELc67ELc85EKPKfKPfEviT_T0_PT8_S5_lS8_S5_lS6_PT9_S5_li
; %bb.0:
	s_load_dwordx4 s[12:15], s[4:5], 0x50
	s_load_dword s18, s[4:5], 0x0
	s_load_dwordx2 s[16:17], s[4:5], 0x8
	s_mov_b32 s9, 0
	s_lshl_b64 s[0:1], s[8:9], 3
	s_waitcnt lgkmcnt(0)
	s_add_u32 s2, s12, s0
	s_addc_u32 s3, s13, s1
	s_load_dwordx2 s[12:13], s[2:3], 0x0
	v_cmp_lt_i64_e64 s[2:3], s[16:17], 1
	s_lshl_b32 s19, s6, 5
	s_lshl_b32 s20, s7, 5
	s_and_b64 vcc, exec, s[2:3]
	s_cbranch_vccnz .LBB1458_7
; %bb.1:
	s_load_dwordx4 s[24:27], s[4:5], 0x18
	s_load_dwordx4 s[8:11], s[4:5], 0x30
	v_lshl_add_u32 v2, v1, 4, v0
	v_and_b32_e32 v5, 31, v2
	v_or_b32_e32 v7, s19, v5
	v_and_b32_e32 v11, 7, v0
	s_waitcnt lgkmcnt(0)
	s_add_u32 s2, s8, s0
	s_addc_u32 s3, s9, s1
	s_add_u32 s0, s24, s0
	s_addc_u32 s1, s25, s1
	v_lshrrev_b32_e32 v3, 3, v2
	v_lshrrev_b32_e32 v9, 5, v2
	s_load_dwordx2 s[8:9], s[0:1], 0x0
	v_cmp_gt_i32_e64 s[0:1], s18, v7
	v_lshlrev_b32_e32 v2, 2, v5
	v_lshlrev_b32_e32 v7, 2, v11
	v_lshl_or_b32 v12, v9, 7, v2
	v_lshl_or_b32 v2, v3, 5, v7
	v_add_u32_e32 v13, 0x400, v2
	v_add_u32_e32 v2, s19, v5
	;; [unrolled: 1-line block ×3, first 2 shown]
	v_ashrrev_i32_e32 v3, 31, v2
	v_mul_lo_u32 v5, s26, v3
	v_mul_lo_u32 v10, s27, v2
	v_mad_u64_u32 v[2:3], s[22:23], s26, v2, 0
	v_ashrrev_i32_e32 v8, 31, v4
	s_load_dwordx2 s[6:7], s[2:3], 0x0
	v_add3_u32 v3, v3, v5, v10
	v_lshlrev_b64 v[2:3], 2, v[2:3]
	v_lshlrev_b32_e32 v5, 2, v9
	v_cmp_gt_i32_e64 s[2:3], s18, v4
	v_add_co_u32_e32 v2, vcc, v2, v5
	v_mul_lo_u32 v8, s10, v8
	v_mul_lo_u32 v16, s11, v4
	v_mad_u64_u32 v[4:5], s[10:11], s10, v4, 0
	v_addc_co_u32_e32 v3, vcc, 0, v3, vcc
	v_add3_u32 v5, v5, v8, v16
	s_waitcnt lgkmcnt(0)
	v_mov_b32_e32 v10, s9
	v_add_co_u32_e32 v2, vcc, s8, v2
	v_lshlrev_b64 v[4:5], 2, v[4:5]
	v_addc_co_u32_e32 v3, vcc, v10, v3, vcc
	v_add_co_u32_e32 v4, vcc, v4, v7
	v_addc_co_u32_e32 v5, vcc, 0, v5, vcc
	v_mov_b32_e32 v15, 0x400
	v_mov_b32_e32 v7, s7
	v_add_co_u32_e32 v4, vcc, s6, v4
	v_mov_b32_e32 v6, 0
	v_lshlrev_b32_e32 v14, 2, v0
	v_lshl_add_u32 v15, v1, 5, v15
	v_addc_co_u32_e32 v5, vcc, v7, v5, vcc
	s_mov_b64 s[8:9], 0
	v_mov_b32_e32 v7, 0
	v_mov_b32_e32 v8, 0
	;; [unrolled: 1-line block ×3, first 2 shown]
	s_branch .LBB1458_3
.LBB1458_2:                             ;   in Loop: Header=BB1458_3 Depth=1
	s_or_b64 exec, exec, s[6:7]
	s_waitcnt vmcnt(0) lgkmcnt(0)
	ds_write_b32 v13, v16
	s_waitcnt lgkmcnt(0)
	s_barrier
	ds_read2_b32 v[28:29], v14 offset1:16
	ds_read_b128 v[16:19], v15
	ds_read2_b32 v[30:31], v14 offset0:32 offset1:48
	ds_read2_b32 v[32:33], v14 offset0:64 offset1:80
	ds_read_b128 v[20:23], v15 offset:16
	ds_read2_b32 v[34:35], v14 offset0:96 offset1:112
	s_waitcnt lgkmcnt(4)
	v_fmac_f32_e32 v10, v28, v16
	v_fmac_f32_e32 v8, v29, v16
	s_waitcnt lgkmcnt(3)
	v_fmac_f32_e32 v10, v30, v17
	v_fmac_f32_e32 v8, v31, v17
	;; [unrolled: 3-line block ×4, first 2 shown]
	ds_read_b128 v[16:19], v15 offset:512
	ds_read_b128 v[24:27], v15 offset:528
	s_add_u32 s8, s8, 8
	v_add_co_u32_e32 v2, vcc, 32, v2
	s_waitcnt lgkmcnt(1)
	v_fmac_f32_e32 v7, v28, v16
	v_fmac_f32_e32 v6, v29, v16
	v_fmac_f32_e32 v7, v30, v17
	v_fmac_f32_e32 v6, v31, v17
	ds_read2_b32 v[16:17], v14 offset0:128 offset1:144
	v_fmac_f32_e32 v7, v32, v18
	v_fmac_f32_e32 v6, v33, v18
	;; [unrolled: 1-line block ×4, first 2 shown]
	ds_read2_b32 v[18:19], v14 offset0:160 offset1:176
	ds_read2_b32 v[28:29], v14 offset0:192 offset1:208
	;; [unrolled: 1-line block ×3, first 2 shown]
	s_waitcnt lgkmcnt(3)
	v_fmac_f32_e32 v10, v16, v20
	v_fmac_f32_e32 v8, v17, v20
	v_fmac_f32_e32 v7, v16, v24
	v_fmac_f32_e32 v6, v17, v24
	v_mov_b32_e32 v16, s16
	s_addc_u32 s9, s9, 0
	v_addc_co_u32_e32 v3, vcc, 0, v3, vcc
	v_mov_b32_e32 v17, s17
	s_waitcnt lgkmcnt(2)
	v_fmac_f32_e32 v10, v18, v21
	v_fmac_f32_e32 v8, v19, v21
	v_fmac_f32_e32 v7, v18, v25
	v_fmac_f32_e32 v6, v19, v25
	v_cmp_ge_i64_e32 vcc, s[8:9], v[16:17]
	s_waitcnt lgkmcnt(1)
	v_fmac_f32_e32 v10, v28, v22
	v_fmac_f32_e32 v8, v29, v22
	;; [unrolled: 1-line block ×4, first 2 shown]
	v_add_co_u32_e64 v4, s[6:7], 32, v4
	s_waitcnt lgkmcnt(0)
	v_fmac_f32_e32 v10, v30, v23
	v_fmac_f32_e32 v8, v31, v23
	;; [unrolled: 1-line block ×4, first 2 shown]
	v_addc_co_u32_e64 v5, s[6:7], 0, v5, s[6:7]
	s_barrier
	s_cbranch_vccnz .LBB1458_8
.LBB1458_3:                             ; =>This Inner Loop Header: Depth=1
	v_mov_b32_e32 v17, s9
	v_add_co_u32_e32 v16, vcc, s8, v9
	v_addc_co_u32_e32 v17, vcc, 0, v17, vcc
	v_cmp_gt_i64_e32 vcc, s[16:17], v[16:17]
	v_mov_b32_e32 v16, 0
	s_and_b64 s[10:11], s[0:1], vcc
	s_and_saveexec_b64 s[6:7], s[10:11]
	s_cbranch_execz .LBB1458_5
; %bb.4:                                ;   in Loop: Header=BB1458_3 Depth=1
	flat_load_dword v16, v[2:3]
.LBB1458_5:                             ;   in Loop: Header=BB1458_3 Depth=1
	s_or_b64 exec, exec, s[6:7]
	v_mov_b32_e32 v18, s9
	v_add_co_u32_e32 v17, vcc, s8, v11
	v_addc_co_u32_e32 v18, vcc, 0, v18, vcc
	v_cmp_gt_i64_e32 vcc, s[16:17], v[17:18]
	s_waitcnt vmcnt(0) lgkmcnt(0)
	ds_write_b32 v12, v16
	s_and_b64 s[10:11], vcc, s[2:3]
	v_mov_b32_e32 v16, 0
	s_and_saveexec_b64 s[6:7], s[10:11]
	s_cbranch_execz .LBB1458_2
; %bb.6:                                ;   in Loop: Header=BB1458_3 Depth=1
	flat_load_dword v16, v[4:5]
	s_branch .LBB1458_2
.LBB1458_7:
	v_mov_b32_e32 v10, 0
	v_mov_b32_e32 v8, 0
	;; [unrolled: 1-line block ×4, first 2 shown]
.LBB1458_8:
	v_add_u32_e32 v4, s20, v1
	v_ashrrev_i32_e32 v1, 31, v4
	v_mul_lo_u32 v3, s14, v1
	v_mul_lo_u32 v5, s15, v4
	v_mad_u64_u32 v[1:2], s[0:1], s14, v4, 0
	s_load_dword s6, s[4:5], 0x10
	s_load_dword s7, s[4:5], 0x48
	v_add_u32_e32 v0, s19, v0
	v_add3_u32 v2, v2, v3, v5
	v_lshlrev_b64 v[1:2], 2, v[1:2]
	s_waitcnt lgkmcnt(0)
	v_mov_b32_e32 v3, s13
	v_add_co_u32_e64 v5, s[0:1], s12, v1
	v_addc_co_u32_e64 v9, s[0:1], v3, v2, s[0:1]
	v_cmp_gt_i32_e32 vcc, s18, v4
	v_cmp_le_i32_e64 s[0:1], v0, v4
	s_and_b64 s[0:1], vcc, s[0:1]
	s_and_saveexec_b64 s[2:3], s[0:1]
	s_cbranch_execz .LBB1458_10
; %bb.9:
	v_ashrrev_i32_e32 v1, 31, v0
	v_lshlrev_b64 v[1:2], 2, v[0:1]
	v_add_co_u32_e64 v1, s[0:1], v5, v1
	v_addc_co_u32_e64 v2, s[0:1], v9, v2, s[0:1]
	flat_load_dword v3, v[1:2]
	s_waitcnt vmcnt(0) lgkmcnt(0)
	v_mul_f32_e32 v3, s7, v3
	v_fmac_f32_e32 v3, s6, v10
	flat_store_dword v[1:2], v3
.LBB1458_10:
	s_or_b64 exec, exec, s[2:3]
	v_add_u32_e32 v2, 16, v0
	v_cmp_le_i32_e64 s[0:1], v2, v4
	s_and_b64 s[2:3], vcc, s[0:1]
	s_and_saveexec_b64 s[0:1], s[2:3]
	s_cbranch_execz .LBB1458_12
; %bb.11:
	v_ashrrev_i32_e32 v3, 31, v2
	v_lshlrev_b64 v[10:11], 2, v[2:3]
	v_add_co_u32_e32 v10, vcc, v5, v10
	v_addc_co_u32_e32 v11, vcc, v9, v11, vcc
	flat_load_dword v1, v[10:11]
	s_waitcnt vmcnt(0) lgkmcnt(0)
	v_mul_f32_e32 v1, s7, v1
	v_fmac_f32_e32 v1, s6, v8
	flat_store_dword v[10:11], v1
.LBB1458_12:
	s_or_b64 exec, exec, s[0:1]
	v_add_u32_e32 v3, 16, v4
	v_ashrrev_i32_e32 v1, 31, v3
	v_mul_lo_u32 v1, s14, v1
	v_mul_lo_u32 v8, s15, v3
	v_mad_u64_u32 v[4:5], s[0:1], s14, v3, 0
	v_cmp_gt_i32_e32 vcc, s18, v3
	v_add3_u32 v5, v5, v1, v8
	v_lshlrev_b64 v[4:5], 2, v[4:5]
	v_mov_b32_e32 v1, s13
	v_add_co_u32_e64 v4, s[0:1], s12, v4
	v_addc_co_u32_e64 v5, s[0:1], v1, v5, s[0:1]
	v_cmp_le_i32_e64 s[0:1], v0, v3
	s_and_b64 s[0:1], vcc, s[0:1]
	s_and_saveexec_b64 s[2:3], s[0:1]
	s_cbranch_execz .LBB1458_14
; %bb.13:
	v_ashrrev_i32_e32 v1, 31, v0
	v_lshlrev_b64 v[0:1], 2, v[0:1]
	v_add_co_u32_e64 v0, s[0:1], v4, v0
	v_addc_co_u32_e64 v1, s[0:1], v5, v1, s[0:1]
	flat_load_dword v8, v[0:1]
	s_waitcnt vmcnt(0) lgkmcnt(0)
	v_mul_f32_e32 v8, s7, v8
	v_fmac_f32_e32 v8, s6, v7
	flat_store_dword v[0:1], v8
.LBB1458_14:
	s_or_b64 exec, exec, s[2:3]
	v_cmp_le_i32_e64 s[0:1], v2, v3
	s_and_b64 s[0:1], vcc, s[0:1]
	s_and_saveexec_b64 s[2:3], s[0:1]
	s_cbranch_execz .LBB1458_16
; %bb.15:
	v_ashrrev_i32_e32 v3, 31, v2
	v_lshlrev_b64 v[0:1], 2, v[2:3]
	v_add_co_u32_e32 v0, vcc, v4, v0
	v_addc_co_u32_e32 v1, vcc, v5, v1, vcc
	flat_load_dword v2, v[0:1]
	s_waitcnt vmcnt(0) lgkmcnt(0)
	v_mul_f32_e32 v2, s7, v2
	v_fmac_f32_e32 v2, s6, v6
	flat_store_dword v[0:1], v2
.LBB1458_16:
	s_endpgm
	.section	.rodata,"a",@progbits
	.p2align	6, 0x0
	.amdhsa_kernel _ZL34rocblas_syrkx_herkx_general_kernelIlfLi16ELi32ELi8ELb0ELb0ELc67ELc85EKPKfKPfEviT_T0_PT8_S5_lS8_S5_lS6_PT9_S5_li
		.amdhsa_group_segment_fixed_size 2048
		.amdhsa_private_segment_fixed_size 0
		.amdhsa_kernarg_size 108
		.amdhsa_user_sgpr_count 6
		.amdhsa_user_sgpr_private_segment_buffer 1
		.amdhsa_user_sgpr_dispatch_ptr 0
		.amdhsa_user_sgpr_queue_ptr 0
		.amdhsa_user_sgpr_kernarg_segment_ptr 1
		.amdhsa_user_sgpr_dispatch_id 0
		.amdhsa_user_sgpr_flat_scratch_init 0
		.amdhsa_user_sgpr_private_segment_size 0
		.amdhsa_uses_dynamic_stack 0
		.amdhsa_system_sgpr_private_segment_wavefront_offset 0
		.amdhsa_system_sgpr_workgroup_id_x 1
		.amdhsa_system_sgpr_workgroup_id_y 1
		.amdhsa_system_sgpr_workgroup_id_z 1
		.amdhsa_system_sgpr_workgroup_info 0
		.amdhsa_system_vgpr_workitem_id 1
		.amdhsa_next_free_vgpr 36
		.amdhsa_next_free_sgpr 28
		.amdhsa_reserve_vcc 1
		.amdhsa_reserve_flat_scratch 0
		.amdhsa_float_round_mode_32 0
		.amdhsa_float_round_mode_16_64 0
		.amdhsa_float_denorm_mode_32 3
		.amdhsa_float_denorm_mode_16_64 3
		.amdhsa_dx10_clamp 1
		.amdhsa_ieee_mode 1
		.amdhsa_fp16_overflow 0
		.amdhsa_exception_fp_ieee_invalid_op 0
		.amdhsa_exception_fp_denorm_src 0
		.amdhsa_exception_fp_ieee_div_zero 0
		.amdhsa_exception_fp_ieee_overflow 0
		.amdhsa_exception_fp_ieee_underflow 0
		.amdhsa_exception_fp_ieee_inexact 0
		.amdhsa_exception_int_div_zero 0
	.end_amdhsa_kernel
	.section	.text._ZL34rocblas_syrkx_herkx_general_kernelIlfLi16ELi32ELi8ELb0ELb0ELc67ELc85EKPKfKPfEviT_T0_PT8_S5_lS8_S5_lS6_PT9_S5_li,"axG",@progbits,_ZL34rocblas_syrkx_herkx_general_kernelIlfLi16ELi32ELi8ELb0ELb0ELc67ELc85EKPKfKPfEviT_T0_PT8_S5_lS8_S5_lS6_PT9_S5_li,comdat
.Lfunc_end1458:
	.size	_ZL34rocblas_syrkx_herkx_general_kernelIlfLi16ELi32ELi8ELb0ELb0ELc67ELc85EKPKfKPfEviT_T0_PT8_S5_lS8_S5_lS6_PT9_S5_li, .Lfunc_end1458-_ZL34rocblas_syrkx_herkx_general_kernelIlfLi16ELi32ELi8ELb0ELb0ELc67ELc85EKPKfKPfEviT_T0_PT8_S5_lS8_S5_lS6_PT9_S5_li
                                        ; -- End function
	.set _ZL34rocblas_syrkx_herkx_general_kernelIlfLi16ELi32ELi8ELb0ELb0ELc67ELc85EKPKfKPfEviT_T0_PT8_S5_lS8_S5_lS6_PT9_S5_li.num_vgpr, 36
	.set _ZL34rocblas_syrkx_herkx_general_kernelIlfLi16ELi32ELi8ELb0ELb0ELc67ELc85EKPKfKPfEviT_T0_PT8_S5_lS8_S5_lS6_PT9_S5_li.num_agpr, 0
	.set _ZL34rocblas_syrkx_herkx_general_kernelIlfLi16ELi32ELi8ELb0ELb0ELc67ELc85EKPKfKPfEviT_T0_PT8_S5_lS8_S5_lS6_PT9_S5_li.numbered_sgpr, 28
	.set _ZL34rocblas_syrkx_herkx_general_kernelIlfLi16ELi32ELi8ELb0ELb0ELc67ELc85EKPKfKPfEviT_T0_PT8_S5_lS8_S5_lS6_PT9_S5_li.num_named_barrier, 0
	.set _ZL34rocblas_syrkx_herkx_general_kernelIlfLi16ELi32ELi8ELb0ELb0ELc67ELc85EKPKfKPfEviT_T0_PT8_S5_lS8_S5_lS6_PT9_S5_li.private_seg_size, 0
	.set _ZL34rocblas_syrkx_herkx_general_kernelIlfLi16ELi32ELi8ELb0ELb0ELc67ELc85EKPKfKPfEviT_T0_PT8_S5_lS8_S5_lS6_PT9_S5_li.uses_vcc, 1
	.set _ZL34rocblas_syrkx_herkx_general_kernelIlfLi16ELi32ELi8ELb0ELb0ELc67ELc85EKPKfKPfEviT_T0_PT8_S5_lS8_S5_lS6_PT9_S5_li.uses_flat_scratch, 0
	.set _ZL34rocblas_syrkx_herkx_general_kernelIlfLi16ELi32ELi8ELb0ELb0ELc67ELc85EKPKfKPfEviT_T0_PT8_S5_lS8_S5_lS6_PT9_S5_li.has_dyn_sized_stack, 0
	.set _ZL34rocblas_syrkx_herkx_general_kernelIlfLi16ELi32ELi8ELb0ELb0ELc67ELc85EKPKfKPfEviT_T0_PT8_S5_lS8_S5_lS6_PT9_S5_li.has_recursion, 0
	.set _ZL34rocblas_syrkx_herkx_general_kernelIlfLi16ELi32ELi8ELb0ELb0ELc67ELc85EKPKfKPfEviT_T0_PT8_S5_lS8_S5_lS6_PT9_S5_li.has_indirect_call, 0
	.section	.AMDGPU.csdata,"",@progbits
; Kernel info:
; codeLenInByte = 1320
; TotalNumSgprs: 32
; NumVgprs: 36
; ScratchSize: 0
; MemoryBound: 0
; FloatMode: 240
; IeeeMode: 1
; LDSByteSize: 2048 bytes/workgroup (compile time only)
; SGPRBlocks: 3
; VGPRBlocks: 8
; NumSGPRsForWavesPerEU: 32
; NumVGPRsForWavesPerEU: 36
; Occupancy: 7
; WaveLimiterHint : 1
; COMPUTE_PGM_RSRC2:SCRATCH_EN: 0
; COMPUTE_PGM_RSRC2:USER_SGPR: 6
; COMPUTE_PGM_RSRC2:TRAP_HANDLER: 0
; COMPUTE_PGM_RSRC2:TGID_X_EN: 1
; COMPUTE_PGM_RSRC2:TGID_Y_EN: 1
; COMPUTE_PGM_RSRC2:TGID_Z_EN: 1
; COMPUTE_PGM_RSRC2:TIDIG_COMP_CNT: 1
	.section	.text._ZL34rocblas_syrkx_herkx_general_kernelIlfLi16ELi32ELi8ELb0ELb0ELc78ELc85EKPKfKPfEviT_T0_PT8_S5_lS8_S5_lS6_PT9_S5_li,"axG",@progbits,_ZL34rocblas_syrkx_herkx_general_kernelIlfLi16ELi32ELi8ELb0ELb0ELc78ELc85EKPKfKPfEviT_T0_PT8_S5_lS8_S5_lS6_PT9_S5_li,comdat
	.globl	_ZL34rocblas_syrkx_herkx_general_kernelIlfLi16ELi32ELi8ELb0ELb0ELc78ELc85EKPKfKPfEviT_T0_PT8_S5_lS8_S5_lS6_PT9_S5_li ; -- Begin function _ZL34rocblas_syrkx_herkx_general_kernelIlfLi16ELi32ELi8ELb0ELb0ELc78ELc85EKPKfKPfEviT_T0_PT8_S5_lS8_S5_lS6_PT9_S5_li
	.p2align	8
	.type	_ZL34rocblas_syrkx_herkx_general_kernelIlfLi16ELi32ELi8ELb0ELb0ELc78ELc85EKPKfKPfEviT_T0_PT8_S5_lS8_S5_lS6_PT9_S5_li,@function
_ZL34rocblas_syrkx_herkx_general_kernelIlfLi16ELi32ELi8ELb0ELb0ELc78ELc85EKPKfKPfEviT_T0_PT8_S5_lS8_S5_lS6_PT9_S5_li: ; @_ZL34rocblas_syrkx_herkx_general_kernelIlfLi16ELi32ELi8ELb0ELb0ELc78ELc85EKPKfKPfEviT_T0_PT8_S5_lS8_S5_lS6_PT9_S5_li
; %bb.0:
	s_load_dwordx4 s[12:15], s[4:5], 0x50
	s_load_dword s22, s[4:5], 0x0
	s_load_dwordx2 s[20:21], s[4:5], 0x8
	s_mov_b32 s9, 0
	s_lshl_b64 s[0:1], s[8:9], 3
	s_waitcnt lgkmcnt(0)
	s_add_u32 s2, s12, s0
	s_addc_u32 s3, s13, s1
	s_load_dwordx2 s[12:13], s[2:3], 0x0
	v_cmp_lt_i64_e64 s[2:3], s[20:21], 1
	s_lshl_b32 s23, s6, 5
	s_lshl_b32 s24, s7, 5
	s_and_b64 vcc, exec, s[2:3]
	s_cbranch_vccnz .LBB1459_7
; %bb.1:
	s_load_dwordx4 s[16:19], s[4:5], 0x18
	s_load_dwordx4 s[8:11], s[4:5], 0x30
	v_lshl_add_u32 v2, v1, 4, v0
	v_and_b32_e32 v12, 31, v2
	v_lshrrev_b32_e32 v5, 3, v2
	v_or_b32_e32 v3, s23, v12
	s_waitcnt lgkmcnt(0)
	s_add_u32 s2, s8, s0
	s_addc_u32 s3, s9, s1
	s_add_u32 s0, s16, s0
	v_lshrrev_b32_e32 v9, 5, v2
	s_addc_u32 s1, s17, s1
	v_lshlrev_b32_e32 v2, 2, v12
	s_load_dwordx2 s[8:9], s[0:1], 0x0
	v_cmp_gt_i32_e64 s[0:1], s22, v3
	v_lshl_or_b32 v11, v9, 7, v2
	v_mad_u64_u32 v[2:3], s[16:17], s18, v9, 0
	v_and_b32_e32 v10, 7, v0
	v_add_u32_e32 v4, s24, v5
	v_lshlrev_b32_e32 v7, 2, v10
	v_lshl_or_b32 v5, v5, 5, v7
	v_mad_u64_u32 v[7:8], s[16:17], s19, v9, v[3:4]
	v_mov_b32_e32 v3, 0x400
	v_lshl_add_u32 v15, v1, 5, v3
	v_mov_b32_e32 v3, v7
	v_add_u32_e32 v7, s23, v12
	v_ashrrev_i32_e32 v8, 31, v7
	v_mad_u64_u32 v[16:17], s[16:17], s10, v10, 0
	v_lshlrev_b64 v[2:3], 2, v[2:3]
	v_lshlrev_b64 v[7:8], 2, v[7:8]
	s_load_dwordx2 s[6:7], s[2:3], 0x0
	v_add_co_u32_e32 v12, vcc, v2, v7
	v_addc_co_u32_e32 v3, vcc, v3, v8, vcc
	v_mov_b32_e32 v2, v17
	v_mad_u64_u32 v[7:8], s[16:17], s11, v10, v[2:3]
	v_add_u32_e32 v13, 0x400, v5
	v_ashrrev_i32_e32 v5, 31, v4
	v_mov_b32_e32 v17, v7
	v_cmp_gt_i32_e64 s[2:3], s22, v4
	s_waitcnt lgkmcnt(0)
	v_mov_b32_e32 v18, s9
	v_add_co_u32_e32 v2, vcc, s8, v12
	v_lshlrev_b64 v[7:8], 2, v[16:17]
	v_lshlrev_b64 v[4:5], 2, v[4:5]
	v_addc_co_u32_e32 v3, vcc, v18, v3, vcc
	v_add_co_u32_e32 v4, vcc, v7, v4
	v_addc_co_u32_e32 v5, vcc, v8, v5, vcc
	v_mov_b32_e32 v7, s7
	v_add_co_u32_e32 v4, vcc, s6, v4
	v_mov_b32_e32 v6, 0
	v_lshlrev_b32_e32 v14, 2, v0
	s_lshl_b64 s[8:9], s[18:19], 5
	v_addc_co_u32_e32 v5, vcc, v7, v5, vcc
	s_lshl_b64 s[10:11], s[10:11], 5
	s_mov_b64 s[16:17], 0
	v_mov_b32_e32 v7, 0
	v_mov_b32_e32 v8, 0
	;; [unrolled: 1-line block ×3, first 2 shown]
	s_branch .LBB1459_3
.LBB1459_2:                             ;   in Loop: Header=BB1459_3 Depth=1
	s_or_b64 exec, exec, s[6:7]
	s_waitcnt vmcnt(0) lgkmcnt(0)
	ds_write_b32 v13, v16
	s_waitcnt lgkmcnt(0)
	s_barrier
	ds_read2_b32 v[28:29], v14 offset1:16
	ds_read_b128 v[16:19], v15
	ds_read2_b32 v[30:31], v14 offset0:32 offset1:48
	ds_read2_b32 v[32:33], v14 offset0:64 offset1:80
	ds_read_b128 v[20:23], v15 offset:16
	ds_read2_b32 v[34:35], v14 offset0:96 offset1:112
	s_waitcnt lgkmcnt(4)
	v_fmac_f32_e32 v12, v28, v16
	v_fmac_f32_e32 v8, v29, v16
	s_waitcnt lgkmcnt(3)
	v_fmac_f32_e32 v12, v30, v17
	v_fmac_f32_e32 v8, v31, v17
	;; [unrolled: 3-line block ×4, first 2 shown]
	ds_read_b128 v[16:19], v15 offset:512
	ds_read_b128 v[24:27], v15 offset:528
	v_add_co_u32_e32 v2, vcc, s8, v2
	s_add_u32 s16, s16, 8
	s_waitcnt lgkmcnt(1)
	v_fmac_f32_e32 v7, v28, v16
	v_fmac_f32_e32 v6, v29, v16
	;; [unrolled: 1-line block ×4, first 2 shown]
	ds_read2_b32 v[16:17], v14 offset0:128 offset1:144
	v_fmac_f32_e32 v7, v32, v18
	v_fmac_f32_e32 v6, v33, v18
	;; [unrolled: 1-line block ×4, first 2 shown]
	ds_read2_b32 v[18:19], v14 offset0:160 offset1:176
	ds_read2_b32 v[28:29], v14 offset0:192 offset1:208
	s_waitcnt lgkmcnt(2)
	v_fmac_f32_e32 v12, v16, v20
	ds_read2_b32 v[30:31], v14 offset0:224 offset1:240
	v_fmac_f32_e32 v7, v16, v24
	v_mov_b32_e32 v16, s9
	v_fmac_f32_e32 v8, v17, v20
	v_fmac_f32_e32 v6, v17, v24
	v_addc_co_u32_e32 v3, vcc, v3, v16, vcc
	v_mov_b32_e32 v16, s20
	s_addc_u32 s17, s17, 0
	v_mov_b32_e32 v17, s21
	s_waitcnt lgkmcnt(2)
	v_fmac_f32_e32 v12, v18, v21
	v_fmac_f32_e32 v8, v19, v21
	;; [unrolled: 1-line block ×4, first 2 shown]
	v_cmp_ge_i64_e32 vcc, s[16:17], v[16:17]
	s_waitcnt lgkmcnt(1)
	v_fmac_f32_e32 v12, v28, v22
	v_fmac_f32_e32 v8, v29, v22
	;; [unrolled: 1-line block ×4, first 2 shown]
	v_mov_b32_e32 v18, s11
	v_add_co_u32_e64 v4, s[6:7], s10, v4
	s_waitcnt lgkmcnt(0)
	v_fmac_f32_e32 v12, v30, v23
	v_fmac_f32_e32 v8, v31, v23
	;; [unrolled: 1-line block ×4, first 2 shown]
	v_addc_co_u32_e64 v5, s[6:7], v5, v18, s[6:7]
	s_barrier
	s_cbranch_vccnz .LBB1459_8
.LBB1459_3:                             ; =>This Inner Loop Header: Depth=1
	v_mov_b32_e32 v17, s17
	v_add_co_u32_e32 v16, vcc, s16, v9
	v_addc_co_u32_e32 v17, vcc, 0, v17, vcc
	v_cmp_gt_i64_e32 vcc, s[20:21], v[16:17]
	v_mov_b32_e32 v16, 0
	s_and_b64 s[18:19], s[0:1], vcc
	s_and_saveexec_b64 s[6:7], s[18:19]
	s_cbranch_execz .LBB1459_5
; %bb.4:                                ;   in Loop: Header=BB1459_3 Depth=1
	flat_load_dword v16, v[2:3]
.LBB1459_5:                             ;   in Loop: Header=BB1459_3 Depth=1
	s_or_b64 exec, exec, s[6:7]
	v_mov_b32_e32 v18, s17
	v_add_co_u32_e32 v17, vcc, s16, v10
	v_addc_co_u32_e32 v18, vcc, 0, v18, vcc
	v_cmp_gt_i64_e32 vcc, s[20:21], v[17:18]
	s_waitcnt vmcnt(0) lgkmcnt(0)
	ds_write_b32 v11, v16
	s_and_b64 s[18:19], vcc, s[2:3]
	v_mov_b32_e32 v16, 0
	s_and_saveexec_b64 s[6:7], s[18:19]
	s_cbranch_execz .LBB1459_2
; %bb.6:                                ;   in Loop: Header=BB1459_3 Depth=1
	flat_load_dword v16, v[4:5]
	s_branch .LBB1459_2
.LBB1459_7:
	v_mov_b32_e32 v12, 0
	v_mov_b32_e32 v8, 0
	;; [unrolled: 1-line block ×4, first 2 shown]
.LBB1459_8:
	v_add_u32_e32 v4, s24, v1
	v_ashrrev_i32_e32 v1, 31, v4
	v_mul_lo_u32 v3, s14, v1
	v_mul_lo_u32 v5, s15, v4
	v_mad_u64_u32 v[1:2], s[0:1], s14, v4, 0
	s_load_dword s6, s[4:5], 0x10
	s_load_dword s7, s[4:5], 0x48
	v_add_u32_e32 v0, s23, v0
	v_add3_u32 v2, v2, v3, v5
	v_lshlrev_b64 v[1:2], 2, v[1:2]
	s_waitcnt lgkmcnt(0)
	v_mov_b32_e32 v3, s13
	v_add_co_u32_e64 v5, s[0:1], s12, v1
	v_addc_co_u32_e64 v9, s[0:1], v3, v2, s[0:1]
	v_cmp_gt_i32_e32 vcc, s22, v4
	v_cmp_le_i32_e64 s[0:1], v0, v4
	s_and_b64 s[0:1], vcc, s[0:1]
	s_and_saveexec_b64 s[2:3], s[0:1]
	s_cbranch_execz .LBB1459_10
; %bb.9:
	v_ashrrev_i32_e32 v1, 31, v0
	v_lshlrev_b64 v[1:2], 2, v[0:1]
	v_add_co_u32_e64 v1, s[0:1], v5, v1
	v_addc_co_u32_e64 v2, s[0:1], v9, v2, s[0:1]
	flat_load_dword v3, v[1:2]
	s_waitcnt vmcnt(0) lgkmcnt(0)
	v_mul_f32_e32 v3, s7, v3
	v_fmac_f32_e32 v3, s6, v12
	flat_store_dword v[1:2], v3
.LBB1459_10:
	s_or_b64 exec, exec, s[2:3]
	v_add_u32_e32 v2, 16, v0
	v_cmp_le_i32_e64 s[0:1], v2, v4
	s_and_b64 s[2:3], vcc, s[0:1]
	s_and_saveexec_b64 s[0:1], s[2:3]
	s_cbranch_execz .LBB1459_12
; %bb.11:
	v_ashrrev_i32_e32 v3, 31, v2
	v_lshlrev_b64 v[10:11], 2, v[2:3]
	v_add_co_u32_e32 v10, vcc, v5, v10
	v_addc_co_u32_e32 v11, vcc, v9, v11, vcc
	flat_load_dword v1, v[10:11]
	s_waitcnt vmcnt(0) lgkmcnt(0)
	v_mul_f32_e32 v1, s7, v1
	v_fmac_f32_e32 v1, s6, v8
	flat_store_dword v[10:11], v1
.LBB1459_12:
	s_or_b64 exec, exec, s[0:1]
	v_add_u32_e32 v3, 16, v4
	v_ashrrev_i32_e32 v1, 31, v3
	v_mul_lo_u32 v1, s14, v1
	v_mul_lo_u32 v8, s15, v3
	v_mad_u64_u32 v[4:5], s[0:1], s14, v3, 0
	v_cmp_gt_i32_e32 vcc, s22, v3
	v_add3_u32 v5, v5, v1, v8
	v_lshlrev_b64 v[4:5], 2, v[4:5]
	v_mov_b32_e32 v1, s13
	v_add_co_u32_e64 v4, s[0:1], s12, v4
	v_addc_co_u32_e64 v5, s[0:1], v1, v5, s[0:1]
	v_cmp_le_i32_e64 s[0:1], v0, v3
	s_and_b64 s[0:1], vcc, s[0:1]
	s_and_saveexec_b64 s[2:3], s[0:1]
	s_cbranch_execz .LBB1459_14
; %bb.13:
	v_ashrrev_i32_e32 v1, 31, v0
	v_lshlrev_b64 v[0:1], 2, v[0:1]
	v_add_co_u32_e64 v0, s[0:1], v4, v0
	v_addc_co_u32_e64 v1, s[0:1], v5, v1, s[0:1]
	flat_load_dword v8, v[0:1]
	s_waitcnt vmcnt(0) lgkmcnt(0)
	v_mul_f32_e32 v8, s7, v8
	v_fmac_f32_e32 v8, s6, v7
	flat_store_dword v[0:1], v8
.LBB1459_14:
	s_or_b64 exec, exec, s[2:3]
	v_cmp_le_i32_e64 s[0:1], v2, v3
	s_and_b64 s[0:1], vcc, s[0:1]
	s_and_saveexec_b64 s[2:3], s[0:1]
	s_cbranch_execz .LBB1459_16
; %bb.15:
	v_ashrrev_i32_e32 v3, 31, v2
	v_lshlrev_b64 v[0:1], 2, v[2:3]
	v_add_co_u32_e32 v0, vcc, v4, v0
	v_addc_co_u32_e32 v1, vcc, v5, v1, vcc
	flat_load_dword v2, v[0:1]
	s_waitcnt vmcnt(0) lgkmcnt(0)
	v_mul_f32_e32 v2, s7, v2
	v_fmac_f32_e32 v2, s6, v6
	flat_store_dword v[0:1], v2
.LBB1459_16:
	s_endpgm
	.section	.rodata,"a",@progbits
	.p2align	6, 0x0
	.amdhsa_kernel _ZL34rocblas_syrkx_herkx_general_kernelIlfLi16ELi32ELi8ELb0ELb0ELc78ELc85EKPKfKPfEviT_T0_PT8_S5_lS8_S5_lS6_PT9_S5_li
		.amdhsa_group_segment_fixed_size 2048
		.amdhsa_private_segment_fixed_size 0
		.amdhsa_kernarg_size 108
		.amdhsa_user_sgpr_count 6
		.amdhsa_user_sgpr_private_segment_buffer 1
		.amdhsa_user_sgpr_dispatch_ptr 0
		.amdhsa_user_sgpr_queue_ptr 0
		.amdhsa_user_sgpr_kernarg_segment_ptr 1
		.amdhsa_user_sgpr_dispatch_id 0
		.amdhsa_user_sgpr_flat_scratch_init 0
		.amdhsa_user_sgpr_private_segment_size 0
		.amdhsa_uses_dynamic_stack 0
		.amdhsa_system_sgpr_private_segment_wavefront_offset 0
		.amdhsa_system_sgpr_workgroup_id_x 1
		.amdhsa_system_sgpr_workgroup_id_y 1
		.amdhsa_system_sgpr_workgroup_id_z 1
		.amdhsa_system_sgpr_workgroup_info 0
		.amdhsa_system_vgpr_workitem_id 1
		.amdhsa_next_free_vgpr 36
		.amdhsa_next_free_sgpr 25
		.amdhsa_reserve_vcc 1
		.amdhsa_reserve_flat_scratch 0
		.amdhsa_float_round_mode_32 0
		.amdhsa_float_round_mode_16_64 0
		.amdhsa_float_denorm_mode_32 3
		.amdhsa_float_denorm_mode_16_64 3
		.amdhsa_dx10_clamp 1
		.amdhsa_ieee_mode 1
		.amdhsa_fp16_overflow 0
		.amdhsa_exception_fp_ieee_invalid_op 0
		.amdhsa_exception_fp_denorm_src 0
		.amdhsa_exception_fp_ieee_div_zero 0
		.amdhsa_exception_fp_ieee_overflow 0
		.amdhsa_exception_fp_ieee_underflow 0
		.amdhsa_exception_fp_ieee_inexact 0
		.amdhsa_exception_int_div_zero 0
	.end_amdhsa_kernel
	.section	.text._ZL34rocblas_syrkx_herkx_general_kernelIlfLi16ELi32ELi8ELb0ELb0ELc78ELc85EKPKfKPfEviT_T0_PT8_S5_lS8_S5_lS6_PT9_S5_li,"axG",@progbits,_ZL34rocblas_syrkx_herkx_general_kernelIlfLi16ELi32ELi8ELb0ELb0ELc78ELc85EKPKfKPfEviT_T0_PT8_S5_lS8_S5_lS6_PT9_S5_li,comdat
.Lfunc_end1459:
	.size	_ZL34rocblas_syrkx_herkx_general_kernelIlfLi16ELi32ELi8ELb0ELb0ELc78ELc85EKPKfKPfEviT_T0_PT8_S5_lS8_S5_lS6_PT9_S5_li, .Lfunc_end1459-_ZL34rocblas_syrkx_herkx_general_kernelIlfLi16ELi32ELi8ELb0ELb0ELc78ELc85EKPKfKPfEviT_T0_PT8_S5_lS8_S5_lS6_PT9_S5_li
                                        ; -- End function
	.set _ZL34rocblas_syrkx_herkx_general_kernelIlfLi16ELi32ELi8ELb0ELb0ELc78ELc85EKPKfKPfEviT_T0_PT8_S5_lS8_S5_lS6_PT9_S5_li.num_vgpr, 36
	.set _ZL34rocblas_syrkx_herkx_general_kernelIlfLi16ELi32ELi8ELb0ELb0ELc78ELc85EKPKfKPfEviT_T0_PT8_S5_lS8_S5_lS6_PT9_S5_li.num_agpr, 0
	.set _ZL34rocblas_syrkx_herkx_general_kernelIlfLi16ELi32ELi8ELb0ELb0ELc78ELc85EKPKfKPfEviT_T0_PT8_S5_lS8_S5_lS6_PT9_S5_li.numbered_sgpr, 25
	.set _ZL34rocblas_syrkx_herkx_general_kernelIlfLi16ELi32ELi8ELb0ELb0ELc78ELc85EKPKfKPfEviT_T0_PT8_S5_lS8_S5_lS6_PT9_S5_li.num_named_barrier, 0
	.set _ZL34rocblas_syrkx_herkx_general_kernelIlfLi16ELi32ELi8ELb0ELb0ELc78ELc85EKPKfKPfEviT_T0_PT8_S5_lS8_S5_lS6_PT9_S5_li.private_seg_size, 0
	.set _ZL34rocblas_syrkx_herkx_general_kernelIlfLi16ELi32ELi8ELb0ELb0ELc78ELc85EKPKfKPfEviT_T0_PT8_S5_lS8_S5_lS6_PT9_S5_li.uses_vcc, 1
	.set _ZL34rocblas_syrkx_herkx_general_kernelIlfLi16ELi32ELi8ELb0ELb0ELc78ELc85EKPKfKPfEviT_T0_PT8_S5_lS8_S5_lS6_PT9_S5_li.uses_flat_scratch, 0
	.set _ZL34rocblas_syrkx_herkx_general_kernelIlfLi16ELi32ELi8ELb0ELb0ELc78ELc85EKPKfKPfEviT_T0_PT8_S5_lS8_S5_lS6_PT9_S5_li.has_dyn_sized_stack, 0
	.set _ZL34rocblas_syrkx_herkx_general_kernelIlfLi16ELi32ELi8ELb0ELb0ELc78ELc85EKPKfKPfEviT_T0_PT8_S5_lS8_S5_lS6_PT9_S5_li.has_recursion, 0
	.set _ZL34rocblas_syrkx_herkx_general_kernelIlfLi16ELi32ELi8ELb0ELb0ELc78ELc85EKPKfKPfEviT_T0_PT8_S5_lS8_S5_lS6_PT9_S5_li.has_indirect_call, 0
	.section	.AMDGPU.csdata,"",@progbits
; Kernel info:
; codeLenInByte = 1328
; TotalNumSgprs: 29
; NumVgprs: 36
; ScratchSize: 0
; MemoryBound: 0
; FloatMode: 240
; IeeeMode: 1
; LDSByteSize: 2048 bytes/workgroup (compile time only)
; SGPRBlocks: 3
; VGPRBlocks: 8
; NumSGPRsForWavesPerEU: 29
; NumVGPRsForWavesPerEU: 36
; Occupancy: 7
; WaveLimiterHint : 1
; COMPUTE_PGM_RSRC2:SCRATCH_EN: 0
; COMPUTE_PGM_RSRC2:USER_SGPR: 6
; COMPUTE_PGM_RSRC2:TRAP_HANDLER: 0
; COMPUTE_PGM_RSRC2:TGID_X_EN: 1
; COMPUTE_PGM_RSRC2:TGID_Y_EN: 1
; COMPUTE_PGM_RSRC2:TGID_Z_EN: 1
; COMPUTE_PGM_RSRC2:TIDIG_COMP_CNT: 1
	.section	.text._ZL26rocblas_syr2k_scale_kernelIlLi128ELi8ELb0EffPKPfEvbiT_T3_T4_T5_S3_li,"axG",@progbits,_ZL26rocblas_syr2k_scale_kernelIlLi128ELi8ELb0EffPKPfEvbiT_T3_T4_T5_S3_li,comdat
	.globl	_ZL26rocblas_syr2k_scale_kernelIlLi128ELi8ELb0EffPKPfEvbiT_T3_T4_T5_S3_li ; -- Begin function _ZL26rocblas_syr2k_scale_kernelIlLi128ELi8ELb0EffPKPfEvbiT_T3_T4_T5_S3_li
	.p2align	8
	.type	_ZL26rocblas_syr2k_scale_kernelIlLi128ELi8ELb0EffPKPfEvbiT_T3_T4_T5_S3_li,@function
_ZL26rocblas_syr2k_scale_kernelIlLi128ELi8ELb0EffPKPfEvbiT_T3_T4_T5_S3_li: ; @_ZL26rocblas_syr2k_scale_kernelIlLi128ELi8ELb0EffPKPfEvbiT_T3_T4_T5_S3_li
; %bb.0:
	s_load_dword s2, s[4:5], 0x14
	s_waitcnt lgkmcnt(0)
	v_cmp_eq_f32_e64 s[0:1], s2, 1.0
	s_and_b64 vcc, exec, s[0:1]
	s_cbranch_vccnz .LBB1460_5
; %bb.1:
	s_load_dwordx2 s[0:1], s[4:5], 0x0
	s_load_dword s3, s[4:5], 0x44
	s_waitcnt lgkmcnt(0)
	s_bitcmp1_b32 s0, 0
	s_cselect_b64 vcc, -1, 0
	s_lshr_b32 s0, s3, 16
	s_and_b32 s3, s3, 0xffff
	s_mul_i32 s6, s6, s3
	s_mul_i32 s7, s7, s0
	v_add_u32_e32 v0, s6, v0
	v_add_u32_e32 v1, s7, v1
	v_cndmask_b32_e32 v2, v1, v0, vcc
	v_cndmask_b32_e32 v3, v0, v1, vcc
	v_max_u32_e32 v4, v0, v1
	v_cmp_gt_u32_e32 vcc, s1, v4
	v_cmp_le_i32_e64 s[0:1], v2, v3
	s_and_b64 s[0:1], vcc, s[0:1]
	s_and_saveexec_b64 s[6:7], s[0:1]
	s_cbranch_execz .LBB1460_5
; %bb.2:
	s_load_dwordx4 s[12:15], s[4:5], 0x18
	s_load_dwordx2 s[0:1], s[4:5], 0x28
	s_mov_b32 s9, 0
	s_lshl_b64 s[4:5], s[8:9], 3
	s_waitcnt lgkmcnt(0)
	v_mad_u64_u32 v[2:3], s[6:7], s14, v1, 0
	s_add_u32 s4, s12, s4
	s_addc_u32 s5, s13, s5
	s_load_dwordx2 s[4:5], s[4:5], 0x0
	v_mad_u64_u32 v[3:4], s[6:7], s15, v1, v[3:4]
	s_lshl_b64 s[0:1], s[0:1], 2
	v_mov_b32_e32 v1, 0
	s_waitcnt lgkmcnt(0)
	s_add_u32 s0, s4, s0
	v_lshlrev_b64 v[2:3], 2, v[2:3]
	s_addc_u32 s1, s5, s1
	v_mov_b32_e32 v4, s1
	v_add_co_u32_e32 v5, vcc, s0, v2
	v_addc_co_u32_e32 v4, vcc, v4, v3, vcc
	v_lshlrev_b64 v[2:3], 2, v[0:1]
	v_cmp_eq_f32_e64 s[0:1], s2, 0
	v_add_co_u32_e32 v2, vcc, v5, v2
	v_addc_co_u32_e32 v3, vcc, v4, v3, vcc
	s_and_b64 vcc, exec, s[0:1]
	s_cbranch_vccnz .LBB1460_4
; %bb.3:
	flat_load_dword v0, v[2:3]
	s_waitcnt vmcnt(0) lgkmcnt(0)
	v_mul_f32_e32 v1, s2, v0
.LBB1460_4:
	flat_store_dword v[2:3], v1
.LBB1460_5:
	s_endpgm
	.section	.rodata,"a",@progbits
	.p2align	6, 0x0
	.amdhsa_kernel _ZL26rocblas_syr2k_scale_kernelIlLi128ELi8ELb0EffPKPfEvbiT_T3_T4_T5_S3_li
		.amdhsa_group_segment_fixed_size 0
		.amdhsa_private_segment_fixed_size 0
		.amdhsa_kernarg_size 312
		.amdhsa_user_sgpr_count 6
		.amdhsa_user_sgpr_private_segment_buffer 1
		.amdhsa_user_sgpr_dispatch_ptr 0
		.amdhsa_user_sgpr_queue_ptr 0
		.amdhsa_user_sgpr_kernarg_segment_ptr 1
		.amdhsa_user_sgpr_dispatch_id 0
		.amdhsa_user_sgpr_flat_scratch_init 0
		.amdhsa_user_sgpr_private_segment_size 0
		.amdhsa_uses_dynamic_stack 0
		.amdhsa_system_sgpr_private_segment_wavefront_offset 0
		.amdhsa_system_sgpr_workgroup_id_x 1
		.amdhsa_system_sgpr_workgroup_id_y 1
		.amdhsa_system_sgpr_workgroup_id_z 1
		.amdhsa_system_sgpr_workgroup_info 0
		.amdhsa_system_vgpr_workitem_id 1
		.amdhsa_next_free_vgpr 6
		.amdhsa_next_free_sgpr 16
		.amdhsa_reserve_vcc 1
		.amdhsa_reserve_flat_scratch 0
		.amdhsa_float_round_mode_32 0
		.amdhsa_float_round_mode_16_64 0
		.amdhsa_float_denorm_mode_32 3
		.amdhsa_float_denorm_mode_16_64 3
		.amdhsa_dx10_clamp 1
		.amdhsa_ieee_mode 1
		.amdhsa_fp16_overflow 0
		.amdhsa_exception_fp_ieee_invalid_op 0
		.amdhsa_exception_fp_denorm_src 0
		.amdhsa_exception_fp_ieee_div_zero 0
		.amdhsa_exception_fp_ieee_overflow 0
		.amdhsa_exception_fp_ieee_underflow 0
		.amdhsa_exception_fp_ieee_inexact 0
		.amdhsa_exception_int_div_zero 0
	.end_amdhsa_kernel
	.section	.text._ZL26rocblas_syr2k_scale_kernelIlLi128ELi8ELb0EffPKPfEvbiT_T3_T4_T5_S3_li,"axG",@progbits,_ZL26rocblas_syr2k_scale_kernelIlLi128ELi8ELb0EffPKPfEvbiT_T3_T4_T5_S3_li,comdat
.Lfunc_end1460:
	.size	_ZL26rocblas_syr2k_scale_kernelIlLi128ELi8ELb0EffPKPfEvbiT_T3_T4_T5_S3_li, .Lfunc_end1460-_ZL26rocblas_syr2k_scale_kernelIlLi128ELi8ELb0EffPKPfEvbiT_T3_T4_T5_S3_li
                                        ; -- End function
	.set _ZL26rocblas_syr2k_scale_kernelIlLi128ELi8ELb0EffPKPfEvbiT_T3_T4_T5_S3_li.num_vgpr, 6
	.set _ZL26rocblas_syr2k_scale_kernelIlLi128ELi8ELb0EffPKPfEvbiT_T3_T4_T5_S3_li.num_agpr, 0
	.set _ZL26rocblas_syr2k_scale_kernelIlLi128ELi8ELb0EffPKPfEvbiT_T3_T4_T5_S3_li.numbered_sgpr, 16
	.set _ZL26rocblas_syr2k_scale_kernelIlLi128ELi8ELb0EffPKPfEvbiT_T3_T4_T5_S3_li.num_named_barrier, 0
	.set _ZL26rocblas_syr2k_scale_kernelIlLi128ELi8ELb0EffPKPfEvbiT_T3_T4_T5_S3_li.private_seg_size, 0
	.set _ZL26rocblas_syr2k_scale_kernelIlLi128ELi8ELb0EffPKPfEvbiT_T3_T4_T5_S3_li.uses_vcc, 1
	.set _ZL26rocblas_syr2k_scale_kernelIlLi128ELi8ELb0EffPKPfEvbiT_T3_T4_T5_S3_li.uses_flat_scratch, 0
	.set _ZL26rocblas_syr2k_scale_kernelIlLi128ELi8ELb0EffPKPfEvbiT_T3_T4_T5_S3_li.has_dyn_sized_stack, 0
	.set _ZL26rocblas_syr2k_scale_kernelIlLi128ELi8ELb0EffPKPfEvbiT_T3_T4_T5_S3_li.has_recursion, 0
	.set _ZL26rocblas_syr2k_scale_kernelIlLi128ELi8ELb0EffPKPfEvbiT_T3_T4_T5_S3_li.has_indirect_call, 0
	.section	.AMDGPU.csdata,"",@progbits
; Kernel info:
; codeLenInByte = 280
; TotalNumSgprs: 20
; NumVgprs: 6
; ScratchSize: 0
; MemoryBound: 0
; FloatMode: 240
; IeeeMode: 1
; LDSByteSize: 0 bytes/workgroup (compile time only)
; SGPRBlocks: 2
; VGPRBlocks: 1
; NumSGPRsForWavesPerEU: 20
; NumVGPRsForWavesPerEU: 6
; Occupancy: 10
; WaveLimiterHint : 1
; COMPUTE_PGM_RSRC2:SCRATCH_EN: 0
; COMPUTE_PGM_RSRC2:USER_SGPR: 6
; COMPUTE_PGM_RSRC2:TRAP_HANDLER: 0
; COMPUTE_PGM_RSRC2:TGID_X_EN: 1
; COMPUTE_PGM_RSRC2:TGID_Y_EN: 1
; COMPUTE_PGM_RSRC2:TGID_Z_EN: 1
; COMPUTE_PGM_RSRC2:TIDIG_COMP_CNT: 1
	.section	.text._ZL26rocblas_syr2k_her2k_kernelIlLb0ELb0ELb0ELi32EPKfPKS1_PKPfEvbiT_T4_T5_S7_lS9_S7_lT6_S7_li,"axG",@progbits,_ZL26rocblas_syr2k_her2k_kernelIlLb0ELb0ELb0ELi32EPKfPKS1_PKPfEvbiT_T4_T5_S7_lS9_S7_lT6_S7_li,comdat
	.globl	_ZL26rocblas_syr2k_her2k_kernelIlLb0ELb0ELb0ELi32EPKfPKS1_PKPfEvbiT_T4_T5_S7_lS9_S7_lT6_S7_li ; -- Begin function _ZL26rocblas_syr2k_her2k_kernelIlLb0ELb0ELb0ELi32EPKfPKS1_PKPfEvbiT_T4_T5_S7_lS9_S7_lT6_S7_li
	.p2align	8
	.type	_ZL26rocblas_syr2k_her2k_kernelIlLb0ELb0ELb0ELi32EPKfPKS1_PKPfEvbiT_T4_T5_S7_lS9_S7_lT6_S7_li,@function
_ZL26rocblas_syr2k_her2k_kernelIlLb0ELb0ELb0ELi32EPKfPKS1_PKPfEvbiT_T4_T5_S7_lS9_S7_lT6_S7_li: ; @_ZL26rocblas_syr2k_her2k_kernelIlLb0ELb0ELb0ELi32EPKfPKS1_PKPfEvbiT_T4_T5_S7_lS9_S7_lT6_S7_li
; %bb.0:
	s_load_dwordx16 s[12:27], s[4:5], 0x8
	s_waitcnt lgkmcnt(0)
	s_load_dword s33, s[14:15], 0x0
	s_waitcnt lgkmcnt(0)
	v_cmp_eq_f32_e64 s[0:1], s33, 0
	s_and_b64 vcc, exec, s[0:1]
	s_cbranch_vccnz .LBB1461_10
; %bb.1:
	s_load_dwordx2 s[14:15], s[4:5], 0x0
	s_lshl_b32 s2, s7, 5
	s_lshl_b32 s3, s6, 5
	s_waitcnt lgkmcnt(0)
	s_and_b32 s0, 1, s14
	s_cmp_eq_u32 s0, 1
	s_cselect_b64 s[0:1], -1, 0
	s_and_b64 s[6:7], s[0:1], exec
	s_cselect_b32 s6, s3, s2
	s_cselect_b32 s7, s2, s3
	s_cmp_gt_i32 s6, s7
	v_cmp_lt_i64_e64 s[6:7], s[12:13], 1
	s_cselect_b64 s[10:11], -1, 0
	s_or_b64 s[6:7], s[10:11], s[6:7]
	s_and_b64 vcc, exec, s[6:7]
	s_cbranch_vccnz .LBB1461_10
; %bb.2:
	s_mov_b32 s9, 0
	s_load_dwordx4 s[28:31], s[4:5], 0x48
	s_load_dwordx2 s[6:7], s[4:5], 0x58
	s_lshl_b64 s[4:5], s[8:9], 3
	s_add_u32 s8, s16, s4
	s_addc_u32 s9, s17, s5
	s_add_u32 s16, s22, s4
	s_addc_u32 s17, s23, s5
	s_waitcnt lgkmcnt(0)
	s_add_u32 s4, s28, s4
	s_addc_u32 s5, s29, s5
	s_load_dwordx2 s[22:23], s[4:5], 0x0
	s_load_dwordx2 s[10:11], s[8:9], 0x0
	;; [unrolled: 1-line block ×3, first 2 shown]
	s_lshl_b64 s[4:5], s[6:7], 2
	v_add_u32_e32 v4, s2, v1
	v_lshlrev_b32_e32 v8, 7, v0
	v_lshlrev_b32_e32 v2, 2, v1
	s_waitcnt lgkmcnt(0)
	s_add_u32 s8, s22, s4
	v_add_u32_e32 v9, v8, v2
	v_or_b32_e32 v10, 0x1000, v2
	v_ashrrev_i32_e32 v2, 31, v4
	s_addc_u32 s9, s23, s5
	v_mul_lo_u32 v15, s30, v2
	v_mul_lo_u32 v16, s31, v4
	v_mad_u64_u32 v[2:3], s[4:5], s30, v4, 0
	v_add_u32_e32 v6, s3, v0
	v_cndmask_b32_e64 v12, v6, v4, s[0:1]
	v_cndmask_b32_e64 v13, v4, v6, s[0:1]
	v_max_i32_e32 v14, v6, v4
	v_cmp_gt_i32_e32 vcc, s15, v14
	v_cmp_le_i32_e64 s[4:5], v13, v12
	s_and_b64 s[6:7], s[4:5], vcc
	v_add3_u32 v3, v3, v15, v16
	v_mad_u64_u32 v[14:15], s[4:5], s24, v0, 0
	v_lshlrev_b64 v[2:3], 2, v[2:3]
	v_ashrrev_i32_e32 v13, 31, v6
	v_mov_b32_e32 v12, v6
	v_mov_b32_e32 v16, s9
	v_add_co_u32_e32 v17, vcc, s8, v2
	v_addc_co_u32_e32 v16, vcc, v16, v3, vcc
	v_lshlrev_b64 v[2:3], 2, v[12:13]
	v_mov_b32_e32 v12, v15
	v_mad_u64_u32 v[12:13], s[4:5], s25, v0, v[12:13]
	v_add_co_u32_e32 v2, vcc, v17, v2
	v_mov_b32_e32 v15, v12
	v_lshlrev_b64 v[12:13], 2, v[14:15]
	v_addc_co_u32_e32 v3, vcc, v16, v3, vcc
	s_lshl_b64 s[4:5], s[26:27], 2
	v_mov_b32_e32 v7, 0
	v_mov_b32_e32 v14, s5
	v_add_co_u32_e32 v15, vcc, s4, v12
	s_ashr_i32 s3, s15, 31
	s_mov_b32 s2, s15
	v_mov_b32_e32 v5, v7
	v_addc_co_u32_e32 v14, vcc, v13, v14, vcc
	v_mad_u64_u32 v[12:13], s[4:5], s18, v1, 0
	v_cmp_gt_i64_e64 s[0:1], s[2:3], v[6:7]
	v_cmp_gt_i64_e64 s[2:3], s[2:3], v[4:5]
	v_lshlrev_b64 v[4:5], 2, v[4:5]
	v_mov_b32_e32 v16, s29
	v_add_co_u32_e32 v15, vcc, v15, v4
	v_addc_co_u32_e32 v5, vcc, v14, v5, vcc
	v_mov_b32_e32 v4, v13
	v_mad_u64_u32 v[13:14], s[4:5], s19, v1, v[4:5]
	v_add_co_u32_e32 v4, vcc, s28, v15
	v_lshlrev_b64 v[12:13], 2, v[12:13]
	v_addc_co_u32_e32 v5, vcc, v16, v5, vcc
	s_lshl_b64 s[4:5], s[20:21], 2
	v_mov_b32_e32 v14, s5
	v_add_co_u32_e32 v12, vcc, s4, v12
	v_lshlrev_b64 v[6:7], 2, v[6:7]
	v_addc_co_u32_e32 v13, vcc, v13, v14, vcc
	v_add_co_u32_e32 v6, vcc, v12, v6
	v_addc_co_u32_e32 v7, vcc, v13, v7, vcc
	v_mov_b32_e32 v12, s11
	v_add_co_u32_e32 v6, vcc, s10, v6
	v_add_u32_e32 v11, v10, v8
	s_lshl_b64 s[8:9], s[24:25], 7
	v_addc_co_u32_e32 v7, vcc, v12, v7, vcc
	s_lshl_b64 s[10:11], s[18:19], 7
	s_mov_b64 s[14:15], 0
	v_add_u32_e32 v12, 0x400, v10
	v_add_u32_e32 v13, 0x800, v10
	;; [unrolled: 1-line block ×3, first 2 shown]
	s_branch .LBB1461_4
.LBB1461_3:                             ;   in Loop: Header=BB1461_4 Depth=1
	s_or_b64 exec, exec, s[4:5]
	v_mov_b32_e32 v15, s9
	v_add_co_u32_e32 v4, vcc, s8, v4
	s_add_u32 s14, s14, 32
	v_addc_co_u32_e32 v5, vcc, v5, v15, vcc
	v_mov_b32_e32 v16, s13
	s_addc_u32 s15, s15, 0
	v_mov_b32_e32 v15, s12
	v_cmp_lt_i64_e32 vcc, s[14:15], v[15:16]
	v_mov_b32_e32 v17, s11
	v_add_co_u32_e64 v6, s[4:5], s10, v6
	v_addc_co_u32_e64 v7, s[4:5], v7, v17, s[4:5]
	s_waitcnt vmcnt(0) lgkmcnt(0)
	s_barrier
	s_cbranch_vccz .LBB1461_10
.LBB1461_4:                             ; =>This Inner Loop Header: Depth=1
	v_mov_b32_e32 v16, s15
	v_add_co_u32_e32 v15, vcc, s14, v1
	v_addc_co_u32_e32 v16, vcc, 0, v16, vcc
	v_cmp_gt_i64_e32 vcc, s[12:13], v[15:16]
	v_mov_b32_e32 v15, 0
	s_and_b64 s[16:17], s[0:1], vcc
	s_and_saveexec_b64 s[4:5], s[16:17]
	s_cbranch_execz .LBB1461_6
; %bb.5:                                ;   in Loop: Header=BB1461_4 Depth=1
	flat_load_dword v15, v[6:7]
.LBB1461_6:                             ;   in Loop: Header=BB1461_4 Depth=1
	s_or_b64 exec, exec, s[4:5]
	v_mov_b32_e32 v17, s15
	v_add_co_u32_e32 v16, vcc, s14, v0
	v_addc_co_u32_e32 v17, vcc, 0, v17, vcc
	v_cmp_gt_i64_e32 vcc, s[12:13], v[16:17]
	s_waitcnt vmcnt(0) lgkmcnt(0)
	ds_write_b32 v9, v15
	s_and_b64 s[16:17], s[2:3], vcc
	v_mov_b32_e32 v15, 0
	s_and_saveexec_b64 s[4:5], s[16:17]
	s_cbranch_execz .LBB1461_8
; %bb.7:                                ;   in Loop: Header=BB1461_4 Depth=1
	flat_load_dword v15, v[4:5]
.LBB1461_8:                             ;   in Loop: Header=BB1461_4 Depth=1
	s_or_b64 exec, exec, s[4:5]
	s_waitcnt vmcnt(0) lgkmcnt(0)
	ds_write_b32 v11, v15
	s_waitcnt lgkmcnt(0)
	s_barrier
	s_and_saveexec_b64 s[4:5], s[6:7]
	s_cbranch_execz .LBB1461_3
; %bb.9:                                ;   in Loop: Header=BB1461_4 Depth=1
	flat_load_dword v27, v[2:3]
	ds_read_b128 v[15:18], v8
	ds_read2_b32 v[23:24], v10 offset1:32
	ds_read2_b32 v[25:26], v10 offset0:64 offset1:96
	ds_read_b128 v[19:22], v8 offset:16
	s_waitcnt lgkmcnt(0)
	v_fma_f32 v28, v15, v23, 0
	v_fmac_f32_e32 v28, v16, v24
	ds_read2_b32 v[23:24], v10 offset0:128 offset1:160
	v_fmac_f32_e32 v28, v17, v25
	v_fmac_f32_e32 v28, v18, v26
	ds_read2_b32 v[25:26], v10 offset0:192 offset1:224
	ds_read_b128 v[15:18], v8 offset:32
	s_waitcnt lgkmcnt(0)
	v_fmac_f32_e32 v28, v19, v23
	v_fmac_f32_e32 v28, v20, v24
	ds_read2_b32 v[23:24], v12 offset1:32
	v_fmac_f32_e32 v28, v21, v25
	v_fmac_f32_e32 v28, v22, v26
	ds_read_b128 v[19:22], v8 offset:48
	ds_read2_b32 v[25:26], v12 offset0:64 offset1:96
	s_waitcnt lgkmcnt(0)
	v_fmac_f32_e32 v28, v15, v23
	v_fmac_f32_e32 v28, v16, v24
	ds_read2_b32 v[15:16], v12 offset0:128 offset1:160
	v_fmac_f32_e32 v28, v17, v25
	v_fmac_f32_e32 v28, v18, v26
	ds_read2_b32 v[23:24], v12 offset0:192 offset1:224
	s_waitcnt lgkmcnt(0)
	v_fmac_f32_e32 v28, v19, v15
	v_fmac_f32_e32 v28, v20, v16
	ds_read_b128 v[15:18], v8 offset:64
	ds_read2_b32 v[25:26], v13 offset1:32
	v_fmac_f32_e32 v28, v21, v23
	v_fmac_f32_e32 v28, v22, v24
	ds_read2_b32 v[23:24], v13 offset0:64 offset1:96
	ds_read_b128 v[19:22], v8 offset:80
	s_waitcnt lgkmcnt(0)
	v_fmac_f32_e32 v28, v15, v25
	v_fmac_f32_e32 v28, v16, v26
	ds_read2_b32 v[15:16], v13 offset0:128 offset1:160
	v_fmac_f32_e32 v28, v17, v23
	v_fmac_f32_e32 v28, v18, v24
	ds_read2_b32 v[23:24], v13 offset0:192 offset1:224
	s_waitcnt lgkmcnt(0)
	v_fmac_f32_e32 v28, v19, v15
	v_fmac_f32_e32 v28, v20, v16
	ds_read_b128 v[15:18], v8 offset:96
	ds_read2_b32 v[25:26], v14 offset1:32
	v_fmac_f32_e32 v28, v21, v23
	v_fmac_f32_e32 v28, v22, v24
	ds_read2_b32 v[23:24], v14 offset0:64 offset1:96
	ds_read_b128 v[19:22], v8 offset:112
	s_waitcnt lgkmcnt(0)
	v_fmac_f32_e32 v28, v15, v25
	v_fmac_f32_e32 v28, v16, v26
	ds_read2_b32 v[15:16], v14 offset0:128 offset1:160
	v_fmac_f32_e32 v28, v17, v23
	v_fmac_f32_e32 v28, v18, v24
	ds_read2_b32 v[17:18], v14 offset0:192 offset1:224
	s_waitcnt lgkmcnt(0)
	v_fmac_f32_e32 v28, v19, v15
	v_fmac_f32_e32 v28, v20, v16
	;; [unrolled: 1-line block ×4, first 2 shown]
	s_waitcnt vmcnt(0)
	v_fmac_f32_e32 v27, s33, v28
	flat_store_dword v[2:3], v27
	s_branch .LBB1461_3
.LBB1461_10:
	s_endpgm
	.section	.rodata,"a",@progbits
	.p2align	6, 0x0
	.amdhsa_kernel _ZL26rocblas_syr2k_her2k_kernelIlLb0ELb0ELb0ELi32EPKfPKS1_PKPfEvbiT_T4_T5_S7_lS9_S7_lT6_S7_li
		.amdhsa_group_segment_fixed_size 8192
		.amdhsa_private_segment_fixed_size 0
		.amdhsa_kernarg_size 100
		.amdhsa_user_sgpr_count 6
		.amdhsa_user_sgpr_private_segment_buffer 1
		.amdhsa_user_sgpr_dispatch_ptr 0
		.amdhsa_user_sgpr_queue_ptr 0
		.amdhsa_user_sgpr_kernarg_segment_ptr 1
		.amdhsa_user_sgpr_dispatch_id 0
		.amdhsa_user_sgpr_flat_scratch_init 0
		.amdhsa_user_sgpr_private_segment_size 0
		.amdhsa_uses_dynamic_stack 0
		.amdhsa_system_sgpr_private_segment_wavefront_offset 0
		.amdhsa_system_sgpr_workgroup_id_x 1
		.amdhsa_system_sgpr_workgroup_id_y 1
		.amdhsa_system_sgpr_workgroup_id_z 1
		.amdhsa_system_sgpr_workgroup_info 0
		.amdhsa_system_vgpr_workitem_id 1
		.amdhsa_next_free_vgpr 29
		.amdhsa_next_free_sgpr 61
		.amdhsa_reserve_vcc 1
		.amdhsa_reserve_flat_scratch 0
		.amdhsa_float_round_mode_32 0
		.amdhsa_float_round_mode_16_64 0
		.amdhsa_float_denorm_mode_32 3
		.amdhsa_float_denorm_mode_16_64 3
		.amdhsa_dx10_clamp 1
		.amdhsa_ieee_mode 1
		.amdhsa_fp16_overflow 0
		.amdhsa_exception_fp_ieee_invalid_op 0
		.amdhsa_exception_fp_denorm_src 0
		.amdhsa_exception_fp_ieee_div_zero 0
		.amdhsa_exception_fp_ieee_overflow 0
		.amdhsa_exception_fp_ieee_underflow 0
		.amdhsa_exception_fp_ieee_inexact 0
		.amdhsa_exception_int_div_zero 0
	.end_amdhsa_kernel
	.section	.text._ZL26rocblas_syr2k_her2k_kernelIlLb0ELb0ELb0ELi32EPKfPKS1_PKPfEvbiT_T4_T5_S7_lS9_S7_lT6_S7_li,"axG",@progbits,_ZL26rocblas_syr2k_her2k_kernelIlLb0ELb0ELb0ELi32EPKfPKS1_PKPfEvbiT_T4_T5_S7_lS9_S7_lT6_S7_li,comdat
.Lfunc_end1461:
	.size	_ZL26rocblas_syr2k_her2k_kernelIlLb0ELb0ELb0ELi32EPKfPKS1_PKPfEvbiT_T4_T5_S7_lS9_S7_lT6_S7_li, .Lfunc_end1461-_ZL26rocblas_syr2k_her2k_kernelIlLb0ELb0ELb0ELi32EPKfPKS1_PKPfEvbiT_T4_T5_S7_lS9_S7_lT6_S7_li
                                        ; -- End function
	.set _ZL26rocblas_syr2k_her2k_kernelIlLb0ELb0ELb0ELi32EPKfPKS1_PKPfEvbiT_T4_T5_S7_lS9_S7_lT6_S7_li.num_vgpr, 29
	.set _ZL26rocblas_syr2k_her2k_kernelIlLb0ELb0ELb0ELi32EPKfPKS1_PKPfEvbiT_T4_T5_S7_lS9_S7_lT6_S7_li.num_agpr, 0
	.set _ZL26rocblas_syr2k_her2k_kernelIlLb0ELb0ELb0ELi32EPKfPKS1_PKPfEvbiT_T4_T5_S7_lS9_S7_lT6_S7_li.numbered_sgpr, 34
	.set _ZL26rocblas_syr2k_her2k_kernelIlLb0ELb0ELb0ELi32EPKfPKS1_PKPfEvbiT_T4_T5_S7_lS9_S7_lT6_S7_li.num_named_barrier, 0
	.set _ZL26rocblas_syr2k_her2k_kernelIlLb0ELb0ELb0ELi32EPKfPKS1_PKPfEvbiT_T4_T5_S7_lS9_S7_lT6_S7_li.private_seg_size, 0
	.set _ZL26rocblas_syr2k_her2k_kernelIlLb0ELb0ELb0ELi32EPKfPKS1_PKPfEvbiT_T4_T5_S7_lS9_S7_lT6_S7_li.uses_vcc, 1
	.set _ZL26rocblas_syr2k_her2k_kernelIlLb0ELb0ELb0ELi32EPKfPKS1_PKPfEvbiT_T4_T5_S7_lS9_S7_lT6_S7_li.uses_flat_scratch, 0
	.set _ZL26rocblas_syr2k_her2k_kernelIlLb0ELb0ELb0ELi32EPKfPKS1_PKPfEvbiT_T4_T5_S7_lS9_S7_lT6_S7_li.has_dyn_sized_stack, 0
	.set _ZL26rocblas_syr2k_her2k_kernelIlLb0ELb0ELb0ELi32EPKfPKS1_PKPfEvbiT_T4_T5_S7_lS9_S7_lT6_S7_li.has_recursion, 0
	.set _ZL26rocblas_syr2k_her2k_kernelIlLb0ELb0ELb0ELi32EPKfPKS1_PKPfEvbiT_T4_T5_S7_lS9_S7_lT6_S7_li.has_indirect_call, 0
	.section	.AMDGPU.csdata,"",@progbits
; Kernel info:
; codeLenInByte = 1156
; TotalNumSgprs: 38
; NumVgprs: 29
; ScratchSize: 0
; MemoryBound: 0
; FloatMode: 240
; IeeeMode: 1
; LDSByteSize: 8192 bytes/workgroup (compile time only)
; SGPRBlocks: 8
; VGPRBlocks: 7
; NumSGPRsForWavesPerEU: 65
; NumVGPRsForWavesPerEU: 29
; Occupancy: 8
; WaveLimiterHint : 1
; COMPUTE_PGM_RSRC2:SCRATCH_EN: 0
; COMPUTE_PGM_RSRC2:USER_SGPR: 6
; COMPUTE_PGM_RSRC2:TRAP_HANDLER: 0
; COMPUTE_PGM_RSRC2:TGID_X_EN: 1
; COMPUTE_PGM_RSRC2:TGID_Y_EN: 1
; COMPUTE_PGM_RSRC2:TGID_Z_EN: 1
; COMPUTE_PGM_RSRC2:TIDIG_COMP_CNT: 1
	.section	.text._ZL26rocblas_syr2k_her2k_kernelIlLb0ELb0ELb1ELi32EPKfPKS1_PKPfEvbiT_T4_T5_S7_lS9_S7_lT6_S7_li,"axG",@progbits,_ZL26rocblas_syr2k_her2k_kernelIlLb0ELb0ELb1ELi32EPKfPKS1_PKPfEvbiT_T4_T5_S7_lS9_S7_lT6_S7_li,comdat
	.globl	_ZL26rocblas_syr2k_her2k_kernelIlLb0ELb0ELb1ELi32EPKfPKS1_PKPfEvbiT_T4_T5_S7_lS9_S7_lT6_S7_li ; -- Begin function _ZL26rocblas_syr2k_her2k_kernelIlLb0ELb0ELb1ELi32EPKfPKS1_PKPfEvbiT_T4_T5_S7_lS9_S7_lT6_S7_li
	.p2align	8
	.type	_ZL26rocblas_syr2k_her2k_kernelIlLb0ELb0ELb1ELi32EPKfPKS1_PKPfEvbiT_T4_T5_S7_lS9_S7_lT6_S7_li,@function
_ZL26rocblas_syr2k_her2k_kernelIlLb0ELb0ELb1ELi32EPKfPKS1_PKPfEvbiT_T4_T5_S7_lS9_S7_lT6_S7_li: ; @_ZL26rocblas_syr2k_her2k_kernelIlLb0ELb0ELb1ELi32EPKfPKS1_PKPfEvbiT_T4_T5_S7_lS9_S7_lT6_S7_li
; %bb.0:
	s_load_dwordx16 s[12:27], s[4:5], 0x8
	s_waitcnt lgkmcnt(0)
	s_load_dword s14, s[14:15], 0x0
	s_waitcnt lgkmcnt(0)
	v_cmp_eq_f32_e64 s[0:1], s14, 0
	s_and_b64 vcc, exec, s[0:1]
	s_cbranch_vccnz .LBB1462_10
; %bb.1:
	s_load_dwordx2 s[10:11], s[4:5], 0x0
	s_lshl_b32 s2, s7, 5
	s_lshl_b32 s3, s6, 5
	s_waitcnt lgkmcnt(0)
	s_and_b32 s0, 1, s10
	s_cmp_eq_u32 s0, 1
	s_cselect_b64 s[0:1], -1, 0
	s_and_b64 s[6:7], s[0:1], exec
	s_cselect_b32 s6, s3, s2
	s_cselect_b32 s7, s2, s3
	s_cmp_gt_i32 s6, s7
	v_cmp_lt_i64_e64 s[6:7], s[12:13], 1
	s_cselect_b64 s[28:29], -1, 0
	s_or_b64 s[6:7], s[28:29], s[6:7]
	s_and_b64 vcc, exec, s[6:7]
	s_cbranch_vccnz .LBB1462_10
; %bb.2:
	s_mov_b32 s9, 0
	s_load_dwordx4 s[28:31], s[4:5], 0x48
	s_load_dwordx2 s[6:7], s[4:5], 0x58
	s_lshl_b64 s[4:5], s[8:9], 3
	s_add_u32 s16, s16, s4
	s_addc_u32 s17, s17, s5
	s_add_u32 s22, s22, s4
	s_addc_u32 s23, s23, s5
	s_waitcnt lgkmcnt(0)
	s_add_u32 s4, s28, s4
	s_addc_u32 s5, s29, s5
	s_load_dwordx2 s[28:29], s[4:5], 0x0
	s_load_dwordx2 s[8:9], s[16:17], 0x0
	;; [unrolled: 1-line block ×3, first 2 shown]
	s_lshl_b64 s[4:5], s[6:7], 2
	v_add_u32_e32 v2, s2, v1
	s_waitcnt lgkmcnt(0)
	s_add_u32 s10, s28, s4
	s_addc_u32 s15, s29, s5
	v_add_u32_e32 v4, s3, v0
	s_ashr_i32 s3, s11, 31
	s_mov_b32 s2, s11
	v_mov_b32_e32 v5, 0
	v_cndmask_b32_e64 v12, v4, v2, s[0:1]
	v_cndmask_b32_e64 v13, v2, v4, s[0:1]
	v_cmp_gt_i64_e64 s[0:1], s[2:3], v[4:5]
	v_mov_b32_e32 v3, v5
	v_ashrrev_i32_e32 v5, 31, v2
	v_mul_lo_u32 v5, s30, v5
	v_mul_lo_u32 v14, s31, v2
	v_mad_u64_u32 v[6:7], s[4:5], s30, v2, 0
	v_cmp_gt_i64_e64 s[2:3], s[2:3], v[2:3]
	v_max_i32_e32 v3, v4, v2
	v_cmp_gt_i32_e32 vcc, s11, v3
	v_cmp_le_i32_e64 s[4:5], v13, v12
	s_and_b64 s[6:7], s[4:5], vcc
	v_add3_u32 v7, v7, v5, v14
	v_mad_u64_u32 v[12:13], s[4:5], s24, v2, 0
	v_lshlrev_b64 v[6:7], 2, v[6:7]
	v_mov_b32_e32 v3, s15
	v_add_co_u32_e32 v16, vcc, s10, v6
	v_addc_co_u32_e32 v7, vcc, v3, v7, vcc
	v_mov_b32_e32 v3, v13
	v_ashrrev_i32_e32 v5, 31, v4
	v_mad_u64_u32 v[13:14], s[4:5], s25, v2, v[3:4]
	v_lshlrev_b64 v[5:6], 2, v[4:5]
	s_lshl_b64 s[4:5], s[26:27], 2
	v_add_co_u32_e32 v2, vcc, v16, v5
	v_addc_co_u32_e32 v3, vcc, v7, v6, vcc
	v_lshlrev_b64 v[5:6], 2, v[12:13]
	v_mov_b32_e32 v7, s5
	v_add_co_u32_e32 v5, vcc, s4, v5
	v_addc_co_u32_e32 v12, vcc, v6, v7, vcc
	v_mad_u64_u32 v[6:7], s[4:5], s18, v4, 0
	v_lshlrev_b32_e32 v13, 2, v0
	v_add_co_u32_e32 v14, vcc, v5, v13
	v_mov_b32_e32 v5, v7
	v_addc_co_u32_e32 v16, vcc, 0, v12, vcc
	v_mad_u64_u32 v[12:13], s[4:5], s19, v4, v[5:6]
	v_mov_b32_e32 v17, s35
	v_add_co_u32_e32 v4, vcc, s34, v14
	v_mov_b32_e32 v7, v12
	v_lshlrev_b64 v[6:7], 2, v[6:7]
	v_addc_co_u32_e32 v5, vcc, v17, v16, vcc
	s_lshl_b64 s[4:5], s[20:21], 2
	v_mov_b32_e32 v12, s5
	v_add_co_u32_e32 v6, vcc, s4, v6
	v_lshlrev_b32_e32 v15, 2, v1
	v_addc_co_u32_e32 v7, vcc, v7, v12, vcc
	v_add_co_u32_e32 v6, vcc, v6, v15
	v_addc_co_u32_e32 v7, vcc, 0, v7, vcc
	v_lshlrev_b32_e32 v8, 7, v0
	v_or_b32_e32 v10, 0x1000, v15
	v_mov_b32_e32 v12, s9
	v_add_co_u32_e32 v6, vcc, s8, v6
	v_add_u32_e32 v9, v8, v15
	v_add_u32_e32 v11, v10, v8
	v_addc_co_u32_e32 v7, vcc, v12, v7, vcc
	s_mov_b64 s[8:9], 0
	v_add_u32_e32 v12, 0x400, v10
	v_add_u32_e32 v13, 0x800, v10
	;; [unrolled: 1-line block ×3, first 2 shown]
	s_branch .LBB1462_4
.LBB1462_3:                             ;   in Loop: Header=BB1462_4 Depth=1
	s_or_b64 exec, exec, s[4:5]
	s_add_u32 s8, s8, 32
	v_add_co_u32_e32 v4, vcc, 0x80, v4
	v_mov_b32_e32 v16, s13
	s_addc_u32 s9, s9, 0
	v_addc_co_u32_e32 v5, vcc, 0, v5, vcc
	v_mov_b32_e32 v15, s12
	v_add_co_u32_e32 v6, vcc, 0x80, v6
	v_cmp_lt_i64_e64 s[4:5], s[8:9], v[15:16]
	v_addc_co_u32_e32 v7, vcc, 0, v7, vcc
	s_and_b64 vcc, exec, s[4:5]
	s_waitcnt vmcnt(0) lgkmcnt(0)
	s_barrier
	s_cbranch_vccz .LBB1462_10
.LBB1462_4:                             ; =>This Inner Loop Header: Depth=1
	v_mov_b32_e32 v16, s9
	v_add_co_u32_e32 v15, vcc, s8, v1
	v_addc_co_u32_e32 v16, vcc, 0, v16, vcc
	v_cmp_gt_i64_e32 vcc, s[12:13], v[15:16]
	v_mov_b32_e32 v15, 0
	s_and_b64 s[10:11], s[0:1], vcc
	s_and_saveexec_b64 s[4:5], s[10:11]
	s_cbranch_execz .LBB1462_6
; %bb.5:                                ;   in Loop: Header=BB1462_4 Depth=1
	flat_load_dword v15, v[6:7]
.LBB1462_6:                             ;   in Loop: Header=BB1462_4 Depth=1
	s_or_b64 exec, exec, s[4:5]
	v_mov_b32_e32 v17, s9
	v_add_co_u32_e32 v16, vcc, s8, v0
	v_addc_co_u32_e32 v17, vcc, 0, v17, vcc
	v_cmp_gt_i64_e32 vcc, s[12:13], v[16:17]
	s_waitcnt vmcnt(0) lgkmcnt(0)
	ds_write_b32 v9, v15
	s_and_b64 s[10:11], s[2:3], vcc
	v_mov_b32_e32 v15, 0
	s_and_saveexec_b64 s[4:5], s[10:11]
	s_cbranch_execz .LBB1462_8
; %bb.7:                                ;   in Loop: Header=BB1462_4 Depth=1
	flat_load_dword v15, v[4:5]
.LBB1462_8:                             ;   in Loop: Header=BB1462_4 Depth=1
	s_or_b64 exec, exec, s[4:5]
	s_waitcnt vmcnt(0) lgkmcnt(0)
	ds_write_b32 v11, v15
	s_waitcnt lgkmcnt(0)
	s_barrier
	s_and_saveexec_b64 s[4:5], s[6:7]
	s_cbranch_execz .LBB1462_3
; %bb.9:                                ;   in Loop: Header=BB1462_4 Depth=1
	flat_load_dword v27, v[2:3]
	ds_read_b128 v[15:18], v8
	ds_read2_b32 v[23:24], v10 offset1:32
	ds_read2_b32 v[25:26], v10 offset0:64 offset1:96
	ds_read_b128 v[19:22], v8 offset:16
	s_waitcnt lgkmcnt(0)
	v_fma_f32 v28, v15, v23, 0
	v_fmac_f32_e32 v28, v16, v24
	ds_read2_b32 v[23:24], v10 offset0:128 offset1:160
	v_fmac_f32_e32 v28, v17, v25
	v_fmac_f32_e32 v28, v18, v26
	ds_read2_b32 v[25:26], v10 offset0:192 offset1:224
	ds_read_b128 v[15:18], v8 offset:32
	s_waitcnt lgkmcnt(0)
	v_fmac_f32_e32 v28, v19, v23
	v_fmac_f32_e32 v28, v20, v24
	ds_read2_b32 v[23:24], v12 offset1:32
	v_fmac_f32_e32 v28, v21, v25
	v_fmac_f32_e32 v28, v22, v26
	ds_read_b128 v[19:22], v8 offset:48
	ds_read2_b32 v[25:26], v12 offset0:64 offset1:96
	s_waitcnt lgkmcnt(0)
	v_fmac_f32_e32 v28, v15, v23
	v_fmac_f32_e32 v28, v16, v24
	ds_read2_b32 v[15:16], v12 offset0:128 offset1:160
	v_fmac_f32_e32 v28, v17, v25
	v_fmac_f32_e32 v28, v18, v26
	ds_read2_b32 v[23:24], v12 offset0:192 offset1:224
	s_waitcnt lgkmcnt(0)
	v_fmac_f32_e32 v28, v19, v15
	v_fmac_f32_e32 v28, v20, v16
	ds_read_b128 v[15:18], v8 offset:64
	ds_read2_b32 v[25:26], v13 offset1:32
	v_fmac_f32_e32 v28, v21, v23
	v_fmac_f32_e32 v28, v22, v24
	ds_read2_b32 v[23:24], v13 offset0:64 offset1:96
	ds_read_b128 v[19:22], v8 offset:80
	s_waitcnt lgkmcnt(0)
	v_fmac_f32_e32 v28, v15, v25
	v_fmac_f32_e32 v28, v16, v26
	ds_read2_b32 v[15:16], v13 offset0:128 offset1:160
	v_fmac_f32_e32 v28, v17, v23
	v_fmac_f32_e32 v28, v18, v24
	ds_read2_b32 v[23:24], v13 offset0:192 offset1:224
	s_waitcnt lgkmcnt(0)
	v_fmac_f32_e32 v28, v19, v15
	v_fmac_f32_e32 v28, v20, v16
	ds_read_b128 v[15:18], v8 offset:96
	ds_read2_b32 v[25:26], v14 offset1:32
	v_fmac_f32_e32 v28, v21, v23
	v_fmac_f32_e32 v28, v22, v24
	ds_read2_b32 v[23:24], v14 offset0:64 offset1:96
	ds_read_b128 v[19:22], v8 offset:112
	s_waitcnt lgkmcnt(0)
	v_fmac_f32_e32 v28, v15, v25
	v_fmac_f32_e32 v28, v16, v26
	ds_read2_b32 v[15:16], v14 offset0:128 offset1:160
	v_fmac_f32_e32 v28, v17, v23
	v_fmac_f32_e32 v28, v18, v24
	ds_read2_b32 v[17:18], v14 offset0:192 offset1:224
	s_waitcnt lgkmcnt(0)
	v_fmac_f32_e32 v28, v19, v15
	v_fmac_f32_e32 v28, v20, v16
	;; [unrolled: 1-line block ×4, first 2 shown]
	s_waitcnt vmcnt(0)
	v_fmac_f32_e32 v27, s14, v28
	flat_store_dword v[2:3], v27
	s_branch .LBB1462_3
.LBB1462_10:
	s_endpgm
	.section	.rodata,"a",@progbits
	.p2align	6, 0x0
	.amdhsa_kernel _ZL26rocblas_syr2k_her2k_kernelIlLb0ELb0ELb1ELi32EPKfPKS1_PKPfEvbiT_T4_T5_S7_lS9_S7_lT6_S7_li
		.amdhsa_group_segment_fixed_size 8192
		.amdhsa_private_segment_fixed_size 0
		.amdhsa_kernarg_size 100
		.amdhsa_user_sgpr_count 6
		.amdhsa_user_sgpr_private_segment_buffer 1
		.amdhsa_user_sgpr_dispatch_ptr 0
		.amdhsa_user_sgpr_queue_ptr 0
		.amdhsa_user_sgpr_kernarg_segment_ptr 1
		.amdhsa_user_sgpr_dispatch_id 0
		.amdhsa_user_sgpr_flat_scratch_init 0
		.amdhsa_user_sgpr_private_segment_size 0
		.amdhsa_uses_dynamic_stack 0
		.amdhsa_system_sgpr_private_segment_wavefront_offset 0
		.amdhsa_system_sgpr_workgroup_id_x 1
		.amdhsa_system_sgpr_workgroup_id_y 1
		.amdhsa_system_sgpr_workgroup_id_z 1
		.amdhsa_system_sgpr_workgroup_info 0
		.amdhsa_system_vgpr_workitem_id 1
		.amdhsa_next_free_vgpr 29
		.amdhsa_next_free_sgpr 61
		.amdhsa_reserve_vcc 1
		.amdhsa_reserve_flat_scratch 0
		.amdhsa_float_round_mode_32 0
		.amdhsa_float_round_mode_16_64 0
		.amdhsa_float_denorm_mode_32 3
		.amdhsa_float_denorm_mode_16_64 3
		.amdhsa_dx10_clamp 1
		.amdhsa_ieee_mode 1
		.amdhsa_fp16_overflow 0
		.amdhsa_exception_fp_ieee_invalid_op 0
		.amdhsa_exception_fp_denorm_src 0
		.amdhsa_exception_fp_ieee_div_zero 0
		.amdhsa_exception_fp_ieee_overflow 0
		.amdhsa_exception_fp_ieee_underflow 0
		.amdhsa_exception_fp_ieee_inexact 0
		.amdhsa_exception_int_div_zero 0
	.end_amdhsa_kernel
	.section	.text._ZL26rocblas_syr2k_her2k_kernelIlLb0ELb0ELb1ELi32EPKfPKS1_PKPfEvbiT_T4_T5_S7_lS9_S7_lT6_S7_li,"axG",@progbits,_ZL26rocblas_syr2k_her2k_kernelIlLb0ELb0ELb1ELi32EPKfPKS1_PKPfEvbiT_T4_T5_S7_lS9_S7_lT6_S7_li,comdat
.Lfunc_end1462:
	.size	_ZL26rocblas_syr2k_her2k_kernelIlLb0ELb0ELb1ELi32EPKfPKS1_PKPfEvbiT_T4_T5_S7_lS9_S7_lT6_S7_li, .Lfunc_end1462-_ZL26rocblas_syr2k_her2k_kernelIlLb0ELb0ELb1ELi32EPKfPKS1_PKPfEvbiT_T4_T5_S7_lS9_S7_lT6_S7_li
                                        ; -- End function
	.set _ZL26rocblas_syr2k_her2k_kernelIlLb0ELb0ELb1ELi32EPKfPKS1_PKPfEvbiT_T4_T5_S7_lS9_S7_lT6_S7_li.num_vgpr, 29
	.set _ZL26rocblas_syr2k_her2k_kernelIlLb0ELb0ELb1ELi32EPKfPKS1_PKPfEvbiT_T4_T5_S7_lS9_S7_lT6_S7_li.num_agpr, 0
	.set _ZL26rocblas_syr2k_her2k_kernelIlLb0ELb0ELb1ELi32EPKfPKS1_PKPfEvbiT_T4_T5_S7_lS9_S7_lT6_S7_li.numbered_sgpr, 36
	.set _ZL26rocblas_syr2k_her2k_kernelIlLb0ELb0ELb1ELi32EPKfPKS1_PKPfEvbiT_T4_T5_S7_lS9_S7_lT6_S7_li.num_named_barrier, 0
	.set _ZL26rocblas_syr2k_her2k_kernelIlLb0ELb0ELb1ELi32EPKfPKS1_PKPfEvbiT_T4_T5_S7_lS9_S7_lT6_S7_li.private_seg_size, 0
	.set _ZL26rocblas_syr2k_her2k_kernelIlLb0ELb0ELb1ELi32EPKfPKS1_PKPfEvbiT_T4_T5_S7_lS9_S7_lT6_S7_li.uses_vcc, 1
	.set _ZL26rocblas_syr2k_her2k_kernelIlLb0ELb0ELb1ELi32EPKfPKS1_PKPfEvbiT_T4_T5_S7_lS9_S7_lT6_S7_li.uses_flat_scratch, 0
	.set _ZL26rocblas_syr2k_her2k_kernelIlLb0ELb0ELb1ELi32EPKfPKS1_PKPfEvbiT_T4_T5_S7_lS9_S7_lT6_S7_li.has_dyn_sized_stack, 0
	.set _ZL26rocblas_syr2k_her2k_kernelIlLb0ELb0ELb1ELi32EPKfPKS1_PKPfEvbiT_T4_T5_S7_lS9_S7_lT6_S7_li.has_recursion, 0
	.set _ZL26rocblas_syr2k_her2k_kernelIlLb0ELb0ELb1ELi32EPKfPKS1_PKPfEvbiT_T4_T5_S7_lS9_S7_lT6_S7_li.has_indirect_call, 0
	.section	.AMDGPU.csdata,"",@progbits
; Kernel info:
; codeLenInByte = 1132
; TotalNumSgprs: 40
; NumVgprs: 29
; ScratchSize: 0
; MemoryBound: 0
; FloatMode: 240
; IeeeMode: 1
; LDSByteSize: 8192 bytes/workgroup (compile time only)
; SGPRBlocks: 8
; VGPRBlocks: 7
; NumSGPRsForWavesPerEU: 65
; NumVGPRsForWavesPerEU: 29
; Occupancy: 8
; WaveLimiterHint : 1
; COMPUTE_PGM_RSRC2:SCRATCH_EN: 0
; COMPUTE_PGM_RSRC2:USER_SGPR: 6
; COMPUTE_PGM_RSRC2:TRAP_HANDLER: 0
; COMPUTE_PGM_RSRC2:TGID_X_EN: 1
; COMPUTE_PGM_RSRC2:TGID_Y_EN: 1
; COMPUTE_PGM_RSRC2:TGID_Z_EN: 1
; COMPUTE_PGM_RSRC2:TIDIG_COMP_CNT: 1
	.section	.text._ZL26rocblas_syr2k_her2k_kernelIlLb0ELb0ELb0ELi32EdPKPKdPKPdEvbiT_T4_T5_S7_lS9_S7_lT6_S7_li,"axG",@progbits,_ZL26rocblas_syr2k_her2k_kernelIlLb0ELb0ELb0ELi32EdPKPKdPKPdEvbiT_T4_T5_S7_lS9_S7_lT6_S7_li,comdat
	.globl	_ZL26rocblas_syr2k_her2k_kernelIlLb0ELb0ELb0ELi32EdPKPKdPKPdEvbiT_T4_T5_S7_lS9_S7_lT6_S7_li ; -- Begin function _ZL26rocblas_syr2k_her2k_kernelIlLb0ELb0ELb0ELi32EdPKPKdPKPdEvbiT_T4_T5_S7_lS9_S7_lT6_S7_li
	.p2align	8
	.type	_ZL26rocblas_syr2k_her2k_kernelIlLb0ELb0ELb0ELi32EdPKPKdPKPdEvbiT_T4_T5_S7_lS9_S7_lT6_S7_li,@function
_ZL26rocblas_syr2k_her2k_kernelIlLb0ELb0ELb0ELi32EdPKPKdPKPdEvbiT_T4_T5_S7_lS9_S7_lT6_S7_li: ; @_ZL26rocblas_syr2k_her2k_kernelIlLb0ELb0ELb0ELi32EdPKPKdPKPdEvbiT_T4_T5_S7_lS9_S7_lT6_S7_li
; %bb.0:
	s_load_dwordx16 s[12:27], s[4:5], 0x8
	s_waitcnt lgkmcnt(0)
	v_cmp_eq_f64_e64 s[0:1], s[14:15], 0
	s_and_b64 vcc, exec, s[0:1]
	s_cbranch_vccnz .LBB1463_10
; %bb.1:
	s_load_dwordx2 s[34:35], s[4:5], 0x0
	s_lshl_b32 s2, s7, 5
	s_lshl_b32 s3, s6, 5
	s_waitcnt lgkmcnt(0)
	s_and_b32 s0, 1, s34
	s_cmp_eq_u32 s0, 1
	s_cselect_b64 s[0:1], -1, 0
	s_and_b64 s[6:7], s[0:1], exec
	s_cselect_b32 s6, s3, s2
	s_cselect_b32 s7, s2, s3
	s_cmp_gt_i32 s6, s7
	v_cmp_lt_i64_e64 s[6:7], s[12:13], 1
	s_cselect_b64 s[10:11], -1, 0
	s_or_b64 s[6:7], s[10:11], s[6:7]
	s_and_b64 vcc, exec, s[6:7]
	s_cbranch_vccnz .LBB1463_10
; %bb.2:
	s_mov_b32 s9, 0
	s_load_dwordx4 s[28:31], s[4:5], 0x48
	s_load_dwordx2 s[6:7], s[4:5], 0x58
	s_lshl_b64 s[4:5], s[8:9], 3
	s_add_u32 s8, s16, s4
	s_addc_u32 s9, s17, s5
	s_add_u32 s16, s22, s4
	s_addc_u32 s17, s23, s5
	s_waitcnt lgkmcnt(0)
	s_add_u32 s4, s28, s4
	s_addc_u32 s5, s29, s5
	s_load_dwordx2 s[22:23], s[4:5], 0x0
	s_load_dwordx2 s[10:11], s[8:9], 0x0
	;; [unrolled: 1-line block ×3, first 2 shown]
	s_lshl_b64 s[4:5], s[6:7], 3
	v_add_u32_e32 v4, s2, v1
	v_lshlrev_b32_e32 v12, 8, v0
	v_lshlrev_b32_e32 v2, 3, v1
	s_waitcnt lgkmcnt(0)
	s_add_u32 s8, s22, s4
	v_add_u32_e32 v13, v12, v2
	v_or_b32_e32 v14, 0x2000, v2
	v_ashrrev_i32_e32 v2, 31, v4
	s_addc_u32 s9, s23, s5
	v_mul_lo_u32 v11, s30, v2
	v_mul_lo_u32 v16, s31, v4
	v_mad_u64_u32 v[2:3], s[4:5], s30, v4, 0
	v_add_u32_e32 v6, s3, v0
	v_cndmask_b32_e64 v8, v6, v4, s[0:1]
	v_cndmask_b32_e64 v9, v4, v6, s[0:1]
	v_max_i32_e32 v10, v6, v4
	v_cmp_gt_i32_e32 vcc, s35, v10
	v_cmp_le_i32_e64 s[4:5], v9, v8
	s_and_b64 s[6:7], s[4:5], vcc
	v_add3_u32 v3, v3, v11, v16
	v_mad_u64_u32 v[10:11], s[4:5], s24, v0, 0
	v_lshlrev_b64 v[2:3], 3, v[2:3]
	v_ashrrev_i32_e32 v9, 31, v6
	v_mov_b32_e32 v8, v6
	v_mov_b32_e32 v16, s9
	v_add_co_u32_e32 v17, vcc, s8, v2
	v_addc_co_u32_e32 v16, vcc, v16, v3, vcc
	v_lshlrev_b64 v[2:3], 3, v[8:9]
	v_mov_b32_e32 v8, v11
	v_mad_u64_u32 v[8:9], s[4:5], s25, v0, v[8:9]
	v_add_co_u32_e32 v2, vcc, v17, v2
	v_mov_b32_e32 v11, v8
	v_lshlrev_b64 v[8:9], 3, v[10:11]
	v_addc_co_u32_e32 v3, vcc, v16, v3, vcc
	s_lshl_b64 s[4:5], s[26:27], 3
	v_mov_b32_e32 v7, 0
	v_mov_b32_e32 v10, s5
	v_add_co_u32_e32 v11, vcc, s4, v8
	s_ashr_i32 s3, s35, 31
	s_mov_b32 s2, s35
	v_mov_b32_e32 v5, v7
	v_addc_co_u32_e32 v10, vcc, v9, v10, vcc
	v_mad_u64_u32 v[8:9], s[4:5], s18, v1, 0
	v_cmp_gt_i64_e64 s[0:1], s[2:3], v[6:7]
	v_cmp_gt_i64_e64 s[2:3], s[2:3], v[4:5]
	v_lshlrev_b64 v[4:5], 3, v[4:5]
	v_mov_b32_e32 v16, s29
	v_add_co_u32_e32 v11, vcc, v11, v4
	v_addc_co_u32_e32 v5, vcc, v10, v5, vcc
	v_mov_b32_e32 v4, v9
	v_mad_u64_u32 v[9:10], s[4:5], s19, v1, v[4:5]
	v_add_co_u32_e32 v4, vcc, s28, v11
	v_lshlrev_b64 v[8:9], 3, v[8:9]
	v_addc_co_u32_e32 v5, vcc, v16, v5, vcc
	s_lshl_b64 s[4:5], s[20:21], 3
	v_mov_b32_e32 v10, s5
	v_add_co_u32_e32 v8, vcc, s4, v8
	v_lshlrev_b64 v[6:7], 3, v[6:7]
	v_addc_co_u32_e32 v9, vcc, v9, v10, vcc
	v_add_co_u32_e32 v6, vcc, v8, v6
	v_addc_co_u32_e32 v7, vcc, v9, v7, vcc
	v_mov_b32_e32 v8, s11
	v_add_co_u32_e32 v6, vcc, s10, v6
	v_add_u32_e32 v15, v14, v12
	s_lshl_b64 s[8:9], s[24:25], 8
	v_addc_co_u32_e32 v7, vcc, v8, v7, vcc
	s_lshl_b64 s[10:11], s[18:19], 8
	s_mov_b64 s[16:17], 0
	v_add_u32_e32 v16, 0x800, v14
	v_add_u32_e32 v17, 0x1000, v14
	;; [unrolled: 1-line block ×3, first 2 shown]
	s_branch .LBB1463_4
.LBB1463_3:                             ;   in Loop: Header=BB1463_4 Depth=1
	s_or_b64 exec, exec, s[4:5]
	v_mov_b32_e32 v8, s9
	v_add_co_u32_e32 v4, vcc, s8, v4
	s_add_u32 s16, s16, 32
	v_addc_co_u32_e32 v5, vcc, v5, v8, vcc
	v_mov_b32_e32 v8, s12
	s_addc_u32 s17, s17, 0
	v_mov_b32_e32 v9, s13
	v_cmp_lt_i64_e32 vcc, s[16:17], v[8:9]
	v_mov_b32_e32 v10, s11
	v_add_co_u32_e64 v6, s[4:5], s10, v6
	v_addc_co_u32_e64 v7, s[4:5], v7, v10, s[4:5]
	s_waitcnt vmcnt(0) lgkmcnt(0)
	s_barrier
	s_cbranch_vccz .LBB1463_10
.LBB1463_4:                             ; =>This Inner Loop Header: Depth=1
	v_mov_b32_e32 v9, s17
	v_add_co_u32_e32 v8, vcc, s16, v1
	v_addc_co_u32_e32 v9, vcc, 0, v9, vcc
	v_cmp_gt_i64_e32 vcc, s[12:13], v[8:9]
	v_mov_b32_e32 v8, 0
	v_mov_b32_e32 v10, 0
	;; [unrolled: 1-line block ×4, first 2 shown]
	s_and_b64 s[18:19], s[0:1], vcc
	s_and_saveexec_b64 s[4:5], s[18:19]
	s_cbranch_execz .LBB1463_6
; %bb.5:                                ;   in Loop: Header=BB1463_4 Depth=1
	flat_load_dwordx2 v[10:11], v[6:7]
.LBB1463_6:                             ;   in Loop: Header=BB1463_4 Depth=1
	s_or_b64 exec, exec, s[4:5]
	v_mov_b32_e32 v20, s17
	v_add_co_u32_e32 v19, vcc, s16, v0
	v_addc_co_u32_e32 v20, vcc, 0, v20, vcc
	v_cmp_gt_i64_e32 vcc, s[12:13], v[19:20]
	s_waitcnt vmcnt(0) lgkmcnt(0)
	ds_write_b64 v13, v[10:11]
	s_and_b64 s[18:19], s[2:3], vcc
	s_and_saveexec_b64 s[4:5], s[18:19]
	s_cbranch_execz .LBB1463_8
; %bb.7:                                ;   in Loop: Header=BB1463_4 Depth=1
	flat_load_dwordx2 v[8:9], v[4:5]
.LBB1463_8:                             ;   in Loop: Header=BB1463_4 Depth=1
	s_or_b64 exec, exec, s[4:5]
	s_waitcnt vmcnt(0) lgkmcnt(0)
	ds_write_b64 v15, v[8:9]
	s_waitcnt lgkmcnt(0)
	s_barrier
	s_and_saveexec_b64 s[4:5], s[6:7]
	s_cbranch_execz .LBB1463_3
; %bb.9:                                ;   in Loop: Header=BB1463_4 Depth=1
	ds_read2_b64 v[8:11], v14 offset1:32
	ds_read_b128 v[19:22], v12
	s_waitcnt lgkmcnt(0)
	v_fma_f64 v[8:9], v[19:20], v[8:9], 0
	v_fma_f64 v[23:24], v[21:22], v[10:11], v[8:9]
	ds_read_b128 v[8:11], v12 offset:16
	ds_read2_b64 v[19:22], v14 offset0:64 offset1:96
	s_waitcnt lgkmcnt(0)
	v_fma_f64 v[8:9], v[8:9], v[19:20], v[23:24]
	v_fma_f64 v[23:24], v[10:11], v[21:22], v[8:9]
	ds_read2_b64 v[8:11], v14 offset0:128 offset1:160
	ds_read_b128 v[19:22], v12 offset:32
	s_waitcnt lgkmcnt(0)
	v_fma_f64 v[8:9], v[19:20], v[8:9], v[23:24]
	v_fma_f64 v[23:24], v[21:22], v[10:11], v[8:9]
	ds_read_b128 v[8:11], v12 offset:48
	ds_read2_b64 v[19:22], v14 offset0:192 offset1:224
	s_waitcnt lgkmcnt(0)
	v_fma_f64 v[8:9], v[8:9], v[19:20], v[23:24]
	v_fma_f64 v[23:24], v[10:11], v[21:22], v[8:9]
	ds_read2_b64 v[8:11], v16 offset1:32
	ds_read_b128 v[19:22], v12 offset:64
	s_waitcnt lgkmcnt(0)
	v_fma_f64 v[8:9], v[19:20], v[8:9], v[23:24]
	v_fma_f64 v[23:24], v[21:22], v[10:11], v[8:9]
	ds_read_b128 v[8:11], v12 offset:80
	ds_read2_b64 v[19:22], v16 offset0:64 offset1:96
	s_waitcnt lgkmcnt(0)
	v_fma_f64 v[8:9], v[8:9], v[19:20], v[23:24]
	v_fma_f64 v[23:24], v[10:11], v[21:22], v[8:9]
	ds_read2_b64 v[8:11], v16 offset0:128 offset1:160
	ds_read_b128 v[19:22], v12 offset:96
	s_waitcnt lgkmcnt(0)
	v_fma_f64 v[8:9], v[19:20], v[8:9], v[23:24]
	v_fma_f64 v[23:24], v[21:22], v[10:11], v[8:9]
	ds_read_b128 v[8:11], v12 offset:112
	ds_read2_b64 v[19:22], v16 offset0:192 offset1:224
	s_waitcnt lgkmcnt(0)
	v_fma_f64 v[8:9], v[8:9], v[19:20], v[23:24]
	v_fma_f64 v[23:24], v[10:11], v[21:22], v[8:9]
	ds_read2_b64 v[8:11], v17 offset1:32
	ds_read_b128 v[19:22], v12 offset:128
	s_waitcnt lgkmcnt(0)
	v_fma_f64 v[8:9], v[19:20], v[8:9], v[23:24]
	v_fma_f64 v[23:24], v[21:22], v[10:11], v[8:9]
	ds_read_b128 v[8:11], v12 offset:144
	ds_read2_b64 v[19:22], v17 offset0:64 offset1:96
	s_waitcnt lgkmcnt(0)
	v_fma_f64 v[8:9], v[8:9], v[19:20], v[23:24]
	v_fma_f64 v[23:24], v[10:11], v[21:22], v[8:9]
	ds_read2_b64 v[8:11], v17 offset0:128 offset1:160
	ds_read_b128 v[19:22], v12 offset:160
	s_waitcnt lgkmcnt(0)
	v_fma_f64 v[8:9], v[19:20], v[8:9], v[23:24]
	v_fma_f64 v[23:24], v[21:22], v[10:11], v[8:9]
	ds_read_b128 v[8:11], v12 offset:176
	ds_read2_b64 v[19:22], v17 offset0:192 offset1:224
	s_waitcnt lgkmcnt(0)
	v_fma_f64 v[8:9], v[8:9], v[19:20], v[23:24]
	flat_load_dwordx2 v[23:24], v[2:3]
	v_fma_f64 v[25:26], v[10:11], v[21:22], v[8:9]
	ds_read2_b64 v[8:11], v18 offset1:32
	ds_read_b128 v[19:22], v12 offset:192
	s_waitcnt lgkmcnt(0)
	v_fma_f64 v[8:9], v[19:20], v[8:9], v[25:26]
	v_fma_f64 v[25:26], v[21:22], v[10:11], v[8:9]
	ds_read_b128 v[8:11], v12 offset:208
	ds_read2_b64 v[19:22], v18 offset0:64 offset1:96
	s_waitcnt lgkmcnt(0)
	v_fma_f64 v[8:9], v[8:9], v[19:20], v[25:26]
	v_fma_f64 v[25:26], v[10:11], v[21:22], v[8:9]
	ds_read2_b64 v[8:11], v18 offset0:128 offset1:160
	ds_read_b128 v[19:22], v12 offset:224
	s_waitcnt lgkmcnt(0)
	v_fma_f64 v[8:9], v[19:20], v[8:9], v[25:26]
	v_fma_f64 v[25:26], v[21:22], v[10:11], v[8:9]
	ds_read_b128 v[8:11], v12 offset:240
	ds_read2_b64 v[19:22], v18 offset0:192 offset1:224
	s_waitcnt lgkmcnt(0)
	v_fma_f64 v[8:9], v[8:9], v[19:20], v[25:26]
	v_fma_f64 v[8:9], v[10:11], v[21:22], v[8:9]
	s_waitcnt vmcnt(0)
	v_fma_f64 v[8:9], s[14:15], v[8:9], v[23:24]
	flat_store_dwordx2 v[2:3], v[8:9]
	s_branch .LBB1463_3
.LBB1463_10:
	s_endpgm
	.section	.rodata,"a",@progbits
	.p2align	6, 0x0
	.amdhsa_kernel _ZL26rocblas_syr2k_her2k_kernelIlLb0ELb0ELb0ELi32EdPKPKdPKPdEvbiT_T4_T5_S7_lS9_S7_lT6_S7_li
		.amdhsa_group_segment_fixed_size 16384
		.amdhsa_private_segment_fixed_size 0
		.amdhsa_kernarg_size 100
		.amdhsa_user_sgpr_count 6
		.amdhsa_user_sgpr_private_segment_buffer 1
		.amdhsa_user_sgpr_dispatch_ptr 0
		.amdhsa_user_sgpr_queue_ptr 0
		.amdhsa_user_sgpr_kernarg_segment_ptr 1
		.amdhsa_user_sgpr_dispatch_id 0
		.amdhsa_user_sgpr_flat_scratch_init 0
		.amdhsa_user_sgpr_private_segment_size 0
		.amdhsa_uses_dynamic_stack 0
		.amdhsa_system_sgpr_private_segment_wavefront_offset 0
		.amdhsa_system_sgpr_workgroup_id_x 1
		.amdhsa_system_sgpr_workgroup_id_y 1
		.amdhsa_system_sgpr_workgroup_id_z 1
		.amdhsa_system_sgpr_workgroup_info 0
		.amdhsa_system_vgpr_workitem_id 1
		.amdhsa_next_free_vgpr 29
		.amdhsa_next_free_sgpr 61
		.amdhsa_reserve_vcc 1
		.amdhsa_reserve_flat_scratch 0
		.amdhsa_float_round_mode_32 0
		.amdhsa_float_round_mode_16_64 0
		.amdhsa_float_denorm_mode_32 3
		.amdhsa_float_denorm_mode_16_64 3
		.amdhsa_dx10_clamp 1
		.amdhsa_ieee_mode 1
		.amdhsa_fp16_overflow 0
		.amdhsa_exception_fp_ieee_invalid_op 0
		.amdhsa_exception_fp_denorm_src 0
		.amdhsa_exception_fp_ieee_div_zero 0
		.amdhsa_exception_fp_ieee_overflow 0
		.amdhsa_exception_fp_ieee_underflow 0
		.amdhsa_exception_fp_ieee_inexact 0
		.amdhsa_exception_int_div_zero 0
	.end_amdhsa_kernel
	.section	.text._ZL26rocblas_syr2k_her2k_kernelIlLb0ELb0ELb0ELi32EdPKPKdPKPdEvbiT_T4_T5_S7_lS9_S7_lT6_S7_li,"axG",@progbits,_ZL26rocblas_syr2k_her2k_kernelIlLb0ELb0ELb0ELi32EdPKPKdPKPdEvbiT_T4_T5_S7_lS9_S7_lT6_S7_li,comdat
.Lfunc_end1463:
	.size	_ZL26rocblas_syr2k_her2k_kernelIlLb0ELb0ELb0ELi32EdPKPKdPKPdEvbiT_T4_T5_S7_lS9_S7_lT6_S7_li, .Lfunc_end1463-_ZL26rocblas_syr2k_her2k_kernelIlLb0ELb0ELb0ELi32EdPKPKdPKPdEvbiT_T4_T5_S7_lS9_S7_lT6_S7_li
                                        ; -- End function
	.set _ZL26rocblas_syr2k_her2k_kernelIlLb0ELb0ELb0ELi32EdPKPKdPKPdEvbiT_T4_T5_S7_lS9_S7_lT6_S7_li.num_vgpr, 27
	.set _ZL26rocblas_syr2k_her2k_kernelIlLb0ELb0ELb0ELi32EdPKPKdPKPdEvbiT_T4_T5_S7_lS9_S7_lT6_S7_li.num_agpr, 0
	.set _ZL26rocblas_syr2k_her2k_kernelIlLb0ELb0ELb0ELi32EdPKPKdPKPdEvbiT_T4_T5_S7_lS9_S7_lT6_S7_li.numbered_sgpr, 36
	.set _ZL26rocblas_syr2k_her2k_kernelIlLb0ELb0ELb0ELi32EdPKPKdPKPdEvbiT_T4_T5_S7_lS9_S7_lT6_S7_li.num_named_barrier, 0
	.set _ZL26rocblas_syr2k_her2k_kernelIlLb0ELb0ELb0ELi32EdPKPKdPKPdEvbiT_T4_T5_S7_lS9_S7_lT6_S7_li.private_seg_size, 0
	.set _ZL26rocblas_syr2k_her2k_kernelIlLb0ELb0ELb0ELi32EdPKPKdPKPdEvbiT_T4_T5_S7_lS9_S7_lT6_S7_li.uses_vcc, 1
	.set _ZL26rocblas_syr2k_her2k_kernelIlLb0ELb0ELb0ELi32EdPKPKdPKPdEvbiT_T4_T5_S7_lS9_S7_lT6_S7_li.uses_flat_scratch, 0
	.set _ZL26rocblas_syr2k_her2k_kernelIlLb0ELb0ELb0ELi32EdPKPKdPKPdEvbiT_T4_T5_S7_lS9_S7_lT6_S7_li.has_dyn_sized_stack, 0
	.set _ZL26rocblas_syr2k_her2k_kernelIlLb0ELb0ELb0ELi32EdPKPKdPKPdEvbiT_T4_T5_S7_lS9_S7_lT6_S7_li.has_recursion, 0
	.set _ZL26rocblas_syr2k_her2k_kernelIlLb0ELb0ELb0ELi32EdPKPKdPKPdEvbiT_T4_T5_S7_lS9_S7_lT6_S7_li.has_indirect_call, 0
	.section	.AMDGPU.csdata,"",@progbits
; Kernel info:
; codeLenInByte = 1376
; TotalNumSgprs: 40
; NumVgprs: 27
; ScratchSize: 0
; MemoryBound: 0
; FloatMode: 240
; IeeeMode: 1
; LDSByteSize: 16384 bytes/workgroup (compile time only)
; SGPRBlocks: 8
; VGPRBlocks: 7
; NumSGPRsForWavesPerEU: 65
; NumVGPRsForWavesPerEU: 29
; Occupancy: 8
; WaveLimiterHint : 1
; COMPUTE_PGM_RSRC2:SCRATCH_EN: 0
; COMPUTE_PGM_RSRC2:USER_SGPR: 6
; COMPUTE_PGM_RSRC2:TRAP_HANDLER: 0
; COMPUTE_PGM_RSRC2:TGID_X_EN: 1
; COMPUTE_PGM_RSRC2:TGID_Y_EN: 1
; COMPUTE_PGM_RSRC2:TGID_Z_EN: 1
; COMPUTE_PGM_RSRC2:TIDIG_COMP_CNT: 1
	.section	.text._ZL26rocblas_syr2k_her2k_kernelIlLb0ELb0ELb1ELi32EdPKPKdPKPdEvbiT_T4_T5_S7_lS9_S7_lT6_S7_li,"axG",@progbits,_ZL26rocblas_syr2k_her2k_kernelIlLb0ELb0ELb1ELi32EdPKPKdPKPdEvbiT_T4_T5_S7_lS9_S7_lT6_S7_li,comdat
	.globl	_ZL26rocblas_syr2k_her2k_kernelIlLb0ELb0ELb1ELi32EdPKPKdPKPdEvbiT_T4_T5_S7_lS9_S7_lT6_S7_li ; -- Begin function _ZL26rocblas_syr2k_her2k_kernelIlLb0ELb0ELb1ELi32EdPKPKdPKPdEvbiT_T4_T5_S7_lS9_S7_lT6_S7_li
	.p2align	8
	.type	_ZL26rocblas_syr2k_her2k_kernelIlLb0ELb0ELb1ELi32EdPKPKdPKPdEvbiT_T4_T5_S7_lS9_S7_lT6_S7_li,@function
_ZL26rocblas_syr2k_her2k_kernelIlLb0ELb0ELb1ELi32EdPKPKdPKPdEvbiT_T4_T5_S7_lS9_S7_lT6_S7_li: ; @_ZL26rocblas_syr2k_her2k_kernelIlLb0ELb0ELb1ELi32EdPKPKdPKPdEvbiT_T4_T5_S7_lS9_S7_lT6_S7_li
; %bb.0:
	s_load_dwordx16 s[12:27], s[4:5], 0x8
	s_waitcnt lgkmcnt(0)
	v_cmp_eq_f64_e64 s[0:1], s[14:15], 0
	s_and_b64 vcc, exec, s[0:1]
	s_cbranch_vccnz .LBB1464_10
; %bb.1:
	s_load_dwordx2 s[10:11], s[4:5], 0x0
	s_lshl_b32 s2, s7, 5
	s_lshl_b32 s3, s6, 5
	s_waitcnt lgkmcnt(0)
	s_and_b32 s0, 1, s10
	s_cmp_eq_u32 s0, 1
	s_cselect_b64 s[0:1], -1, 0
	s_and_b64 s[6:7], s[0:1], exec
	s_cselect_b32 s6, s3, s2
	s_cselect_b32 s7, s2, s3
	s_cmp_gt_i32 s6, s7
	v_cmp_lt_i64_e64 s[6:7], s[12:13], 1
	s_cselect_b64 s[28:29], -1, 0
	s_or_b64 s[6:7], s[28:29], s[6:7]
	s_and_b64 vcc, exec, s[6:7]
	s_cbranch_vccnz .LBB1464_10
; %bb.2:
	s_mov_b32 s9, 0
	s_load_dwordx4 s[28:31], s[4:5], 0x48
	s_load_dwordx2 s[6:7], s[4:5], 0x58
	s_lshl_b64 s[4:5], s[8:9], 3
	s_add_u32 s16, s16, s4
	s_addc_u32 s17, s17, s5
	s_add_u32 s22, s22, s4
	s_addc_u32 s23, s23, s5
	s_waitcnt lgkmcnt(0)
	s_add_u32 s4, s28, s4
	s_addc_u32 s5, s29, s5
	s_load_dwordx2 s[28:29], s[4:5], 0x0
	s_load_dwordx2 s[8:9], s[16:17], 0x0
	;; [unrolled: 1-line block ×3, first 2 shown]
	s_lshl_b64 s[4:5], s[6:7], 3
	v_add_u32_e32 v2, s2, v1
	s_waitcnt lgkmcnt(0)
	s_add_u32 s10, s28, s4
	s_addc_u32 s16, s29, s5
	v_add_u32_e32 v4, s3, v0
	s_ashr_i32 s3, s11, 31
	s_mov_b32 s2, s11
	v_mov_b32_e32 v5, 0
	v_cndmask_b32_e64 v8, v4, v2, s[0:1]
	v_cndmask_b32_e64 v9, v2, v4, s[0:1]
	v_cmp_gt_i64_e64 s[0:1], s[2:3], v[4:5]
	v_mov_b32_e32 v3, v5
	v_ashrrev_i32_e32 v5, 31, v2
	v_mul_lo_u32 v5, s30, v5
	v_mul_lo_u32 v10, s31, v2
	v_mad_u64_u32 v[6:7], s[4:5], s30, v2, 0
	v_cmp_gt_i64_e64 s[2:3], s[2:3], v[2:3]
	v_max_i32_e32 v3, v4, v2
	v_cmp_gt_i32_e32 vcc, s11, v3
	v_cmp_le_i32_e64 s[4:5], v9, v8
	s_and_b64 s[6:7], s[4:5], vcc
	v_add3_u32 v7, v7, v5, v10
	v_mad_u64_u32 v[8:9], s[4:5], s24, v2, 0
	v_lshlrev_b64 v[6:7], 3, v[6:7]
	v_mov_b32_e32 v3, s16
	v_add_co_u32_e32 v16, vcc, s10, v6
	v_addc_co_u32_e32 v7, vcc, v3, v7, vcc
	v_mov_b32_e32 v3, v9
	v_ashrrev_i32_e32 v5, 31, v4
	v_mad_u64_u32 v[9:10], s[4:5], s25, v2, v[3:4]
	v_lshlrev_b64 v[5:6], 3, v[4:5]
	s_lshl_b64 s[4:5], s[26:27], 3
	v_add_co_u32_e32 v2, vcc, v16, v5
	v_addc_co_u32_e32 v3, vcc, v7, v6, vcc
	v_lshlrev_b64 v[5:6], 3, v[8:9]
	v_mov_b32_e32 v7, s5
	v_add_co_u32_e32 v5, vcc, s4, v5
	v_addc_co_u32_e32 v8, vcc, v6, v7, vcc
	v_mad_u64_u32 v[6:7], s[4:5], s18, v4, 0
	v_lshlrev_b32_e32 v9, 3, v0
	v_add_co_u32_e32 v9, vcc, v5, v9
	v_mov_b32_e32 v5, v7
	v_addc_co_u32_e32 v10, vcc, 0, v8, vcc
	v_mad_u64_u32 v[7:8], s[4:5], s19, v4, v[5:6]
	v_mov_b32_e32 v16, s35
	v_add_co_u32_e32 v4, vcc, s34, v9
	v_lshlrev_b64 v[6:7], 3, v[6:7]
	v_addc_co_u32_e32 v5, vcc, v16, v10, vcc
	s_lshl_b64 s[4:5], s[20:21], 3
	v_mov_b32_e32 v8, s5
	v_add_co_u32_e32 v6, vcc, s4, v6
	v_lshlrev_b32_e32 v11, 3, v1
	v_addc_co_u32_e32 v7, vcc, v7, v8, vcc
	v_add_co_u32_e32 v6, vcc, v6, v11
	v_addc_co_u32_e32 v7, vcc, 0, v7, vcc
	v_lshlrev_b32_e32 v12, 8, v0
	v_or_b32_e32 v14, 0x2000, v11
	v_mov_b32_e32 v8, s9
	v_add_co_u32_e32 v6, vcc, s8, v6
	v_add_u32_e32 v13, v12, v11
	v_add_u32_e32 v15, v14, v12
	v_addc_co_u32_e32 v7, vcc, v8, v7, vcc
	s_mov_b64 s[8:9], 0
	v_add_u32_e32 v16, 0x800, v14
	v_add_u32_e32 v17, 0x1000, v14
	;; [unrolled: 1-line block ×3, first 2 shown]
	s_branch .LBB1464_4
.LBB1464_3:                             ;   in Loop: Header=BB1464_4 Depth=1
	s_or_b64 exec, exec, s[4:5]
	s_add_u32 s8, s8, 32
	v_add_co_u32_e32 v4, vcc, 0x100, v4
	v_mov_b32_e32 v8, s12
	s_addc_u32 s9, s9, 0
	v_addc_co_u32_e32 v5, vcc, 0, v5, vcc
	v_mov_b32_e32 v9, s13
	v_add_co_u32_e32 v6, vcc, 0x100, v6
	v_cmp_lt_i64_e64 s[4:5], s[8:9], v[8:9]
	v_addc_co_u32_e32 v7, vcc, 0, v7, vcc
	s_and_b64 vcc, exec, s[4:5]
	s_waitcnt vmcnt(0) lgkmcnt(0)
	s_barrier
	s_cbranch_vccz .LBB1464_10
.LBB1464_4:                             ; =>This Inner Loop Header: Depth=1
	v_mov_b32_e32 v9, s9
	v_add_co_u32_e32 v8, vcc, s8, v1
	v_addc_co_u32_e32 v9, vcc, 0, v9, vcc
	v_cmp_gt_i64_e32 vcc, s[12:13], v[8:9]
	v_mov_b32_e32 v8, 0
	v_mov_b32_e32 v10, 0
	;; [unrolled: 1-line block ×4, first 2 shown]
	s_and_b64 s[10:11], s[0:1], vcc
	s_and_saveexec_b64 s[4:5], s[10:11]
	s_cbranch_execz .LBB1464_6
; %bb.5:                                ;   in Loop: Header=BB1464_4 Depth=1
	flat_load_dwordx2 v[10:11], v[6:7]
.LBB1464_6:                             ;   in Loop: Header=BB1464_4 Depth=1
	s_or_b64 exec, exec, s[4:5]
	v_mov_b32_e32 v20, s9
	v_add_co_u32_e32 v19, vcc, s8, v0
	v_addc_co_u32_e32 v20, vcc, 0, v20, vcc
	v_cmp_gt_i64_e32 vcc, s[12:13], v[19:20]
	s_waitcnt vmcnt(0) lgkmcnt(0)
	ds_write_b64 v13, v[10:11]
	s_and_b64 s[10:11], s[2:3], vcc
	s_and_saveexec_b64 s[4:5], s[10:11]
	s_cbranch_execz .LBB1464_8
; %bb.7:                                ;   in Loop: Header=BB1464_4 Depth=1
	flat_load_dwordx2 v[8:9], v[4:5]
.LBB1464_8:                             ;   in Loop: Header=BB1464_4 Depth=1
	s_or_b64 exec, exec, s[4:5]
	s_waitcnt vmcnt(0) lgkmcnt(0)
	ds_write_b64 v15, v[8:9]
	s_waitcnt lgkmcnt(0)
	s_barrier
	s_and_saveexec_b64 s[4:5], s[6:7]
	s_cbranch_execz .LBB1464_3
; %bb.9:                                ;   in Loop: Header=BB1464_4 Depth=1
	ds_read2_b64 v[8:11], v14 offset1:32
	ds_read_b128 v[19:22], v12
	s_waitcnt lgkmcnt(0)
	v_fma_f64 v[8:9], v[19:20], v[8:9], 0
	v_fma_f64 v[23:24], v[21:22], v[10:11], v[8:9]
	ds_read_b128 v[8:11], v12 offset:16
	ds_read2_b64 v[19:22], v14 offset0:64 offset1:96
	s_waitcnt lgkmcnt(0)
	v_fma_f64 v[8:9], v[8:9], v[19:20], v[23:24]
	v_fma_f64 v[23:24], v[10:11], v[21:22], v[8:9]
	ds_read2_b64 v[8:11], v14 offset0:128 offset1:160
	ds_read_b128 v[19:22], v12 offset:32
	s_waitcnt lgkmcnt(0)
	v_fma_f64 v[8:9], v[19:20], v[8:9], v[23:24]
	v_fma_f64 v[23:24], v[21:22], v[10:11], v[8:9]
	ds_read_b128 v[8:11], v12 offset:48
	ds_read2_b64 v[19:22], v14 offset0:192 offset1:224
	s_waitcnt lgkmcnt(0)
	v_fma_f64 v[8:9], v[8:9], v[19:20], v[23:24]
	v_fma_f64 v[23:24], v[10:11], v[21:22], v[8:9]
	ds_read2_b64 v[8:11], v16 offset1:32
	ds_read_b128 v[19:22], v12 offset:64
	s_waitcnt lgkmcnt(0)
	v_fma_f64 v[8:9], v[19:20], v[8:9], v[23:24]
	v_fma_f64 v[23:24], v[21:22], v[10:11], v[8:9]
	ds_read_b128 v[8:11], v12 offset:80
	ds_read2_b64 v[19:22], v16 offset0:64 offset1:96
	s_waitcnt lgkmcnt(0)
	v_fma_f64 v[8:9], v[8:9], v[19:20], v[23:24]
	v_fma_f64 v[23:24], v[10:11], v[21:22], v[8:9]
	ds_read2_b64 v[8:11], v16 offset0:128 offset1:160
	ds_read_b128 v[19:22], v12 offset:96
	s_waitcnt lgkmcnt(0)
	v_fma_f64 v[8:9], v[19:20], v[8:9], v[23:24]
	v_fma_f64 v[23:24], v[21:22], v[10:11], v[8:9]
	ds_read_b128 v[8:11], v12 offset:112
	ds_read2_b64 v[19:22], v16 offset0:192 offset1:224
	s_waitcnt lgkmcnt(0)
	v_fma_f64 v[8:9], v[8:9], v[19:20], v[23:24]
	v_fma_f64 v[23:24], v[10:11], v[21:22], v[8:9]
	ds_read2_b64 v[8:11], v17 offset1:32
	ds_read_b128 v[19:22], v12 offset:128
	s_waitcnt lgkmcnt(0)
	v_fma_f64 v[8:9], v[19:20], v[8:9], v[23:24]
	v_fma_f64 v[23:24], v[21:22], v[10:11], v[8:9]
	ds_read_b128 v[8:11], v12 offset:144
	ds_read2_b64 v[19:22], v17 offset0:64 offset1:96
	s_waitcnt lgkmcnt(0)
	v_fma_f64 v[8:9], v[8:9], v[19:20], v[23:24]
	v_fma_f64 v[23:24], v[10:11], v[21:22], v[8:9]
	ds_read2_b64 v[8:11], v17 offset0:128 offset1:160
	ds_read_b128 v[19:22], v12 offset:160
	s_waitcnt lgkmcnt(0)
	v_fma_f64 v[8:9], v[19:20], v[8:9], v[23:24]
	v_fma_f64 v[23:24], v[21:22], v[10:11], v[8:9]
	ds_read_b128 v[8:11], v12 offset:176
	ds_read2_b64 v[19:22], v17 offset0:192 offset1:224
	s_waitcnt lgkmcnt(0)
	v_fma_f64 v[8:9], v[8:9], v[19:20], v[23:24]
	flat_load_dwordx2 v[23:24], v[2:3]
	v_fma_f64 v[25:26], v[10:11], v[21:22], v[8:9]
	ds_read2_b64 v[8:11], v18 offset1:32
	ds_read_b128 v[19:22], v12 offset:192
	s_waitcnt lgkmcnt(0)
	v_fma_f64 v[8:9], v[19:20], v[8:9], v[25:26]
	v_fma_f64 v[25:26], v[21:22], v[10:11], v[8:9]
	ds_read_b128 v[8:11], v12 offset:208
	ds_read2_b64 v[19:22], v18 offset0:64 offset1:96
	s_waitcnt lgkmcnt(0)
	v_fma_f64 v[8:9], v[8:9], v[19:20], v[25:26]
	v_fma_f64 v[25:26], v[10:11], v[21:22], v[8:9]
	ds_read2_b64 v[8:11], v18 offset0:128 offset1:160
	ds_read_b128 v[19:22], v12 offset:224
	s_waitcnt lgkmcnt(0)
	v_fma_f64 v[8:9], v[19:20], v[8:9], v[25:26]
	v_fma_f64 v[25:26], v[21:22], v[10:11], v[8:9]
	ds_read_b128 v[8:11], v12 offset:240
	ds_read2_b64 v[19:22], v18 offset0:192 offset1:224
	s_waitcnt lgkmcnt(0)
	v_fma_f64 v[8:9], v[8:9], v[19:20], v[25:26]
	v_fma_f64 v[8:9], v[10:11], v[21:22], v[8:9]
	s_waitcnt vmcnt(0)
	v_fma_f64 v[8:9], s[14:15], v[8:9], v[23:24]
	flat_store_dwordx2 v[2:3], v[8:9]
	s_branch .LBB1464_3
.LBB1464_10:
	s_endpgm
	.section	.rodata,"a",@progbits
	.p2align	6, 0x0
	.amdhsa_kernel _ZL26rocblas_syr2k_her2k_kernelIlLb0ELb0ELb1ELi32EdPKPKdPKPdEvbiT_T4_T5_S7_lS9_S7_lT6_S7_li
		.amdhsa_group_segment_fixed_size 16384
		.amdhsa_private_segment_fixed_size 0
		.amdhsa_kernarg_size 100
		.amdhsa_user_sgpr_count 6
		.amdhsa_user_sgpr_private_segment_buffer 1
		.amdhsa_user_sgpr_dispatch_ptr 0
		.amdhsa_user_sgpr_queue_ptr 0
		.amdhsa_user_sgpr_kernarg_segment_ptr 1
		.amdhsa_user_sgpr_dispatch_id 0
		.amdhsa_user_sgpr_flat_scratch_init 0
		.amdhsa_user_sgpr_private_segment_size 0
		.amdhsa_uses_dynamic_stack 0
		.amdhsa_system_sgpr_private_segment_wavefront_offset 0
		.amdhsa_system_sgpr_workgroup_id_x 1
		.amdhsa_system_sgpr_workgroup_id_y 1
		.amdhsa_system_sgpr_workgroup_id_z 1
		.amdhsa_system_sgpr_workgroup_info 0
		.amdhsa_system_vgpr_workitem_id 1
		.amdhsa_next_free_vgpr 29
		.amdhsa_next_free_sgpr 61
		.amdhsa_reserve_vcc 1
		.amdhsa_reserve_flat_scratch 0
		.amdhsa_float_round_mode_32 0
		.amdhsa_float_round_mode_16_64 0
		.amdhsa_float_denorm_mode_32 3
		.amdhsa_float_denorm_mode_16_64 3
		.amdhsa_dx10_clamp 1
		.amdhsa_ieee_mode 1
		.amdhsa_fp16_overflow 0
		.amdhsa_exception_fp_ieee_invalid_op 0
		.amdhsa_exception_fp_denorm_src 0
		.amdhsa_exception_fp_ieee_div_zero 0
		.amdhsa_exception_fp_ieee_overflow 0
		.amdhsa_exception_fp_ieee_underflow 0
		.amdhsa_exception_fp_ieee_inexact 0
		.amdhsa_exception_int_div_zero 0
	.end_amdhsa_kernel
	.section	.text._ZL26rocblas_syr2k_her2k_kernelIlLb0ELb0ELb1ELi32EdPKPKdPKPdEvbiT_T4_T5_S7_lS9_S7_lT6_S7_li,"axG",@progbits,_ZL26rocblas_syr2k_her2k_kernelIlLb0ELb0ELb1ELi32EdPKPKdPKPdEvbiT_T4_T5_S7_lS9_S7_lT6_S7_li,comdat
.Lfunc_end1464:
	.size	_ZL26rocblas_syr2k_her2k_kernelIlLb0ELb0ELb1ELi32EdPKPKdPKPdEvbiT_T4_T5_S7_lS9_S7_lT6_S7_li, .Lfunc_end1464-_ZL26rocblas_syr2k_her2k_kernelIlLb0ELb0ELb1ELi32EdPKPKdPKPdEvbiT_T4_T5_S7_lS9_S7_lT6_S7_li
                                        ; -- End function
	.set _ZL26rocblas_syr2k_her2k_kernelIlLb0ELb0ELb1ELi32EdPKPKdPKPdEvbiT_T4_T5_S7_lS9_S7_lT6_S7_li.num_vgpr, 27
	.set _ZL26rocblas_syr2k_her2k_kernelIlLb0ELb0ELb1ELi32EdPKPKdPKPdEvbiT_T4_T5_S7_lS9_S7_lT6_S7_li.num_agpr, 0
	.set _ZL26rocblas_syr2k_her2k_kernelIlLb0ELb0ELb1ELi32EdPKPKdPKPdEvbiT_T4_T5_S7_lS9_S7_lT6_S7_li.numbered_sgpr, 36
	.set _ZL26rocblas_syr2k_her2k_kernelIlLb0ELb0ELb1ELi32EdPKPKdPKPdEvbiT_T4_T5_S7_lS9_S7_lT6_S7_li.num_named_barrier, 0
	.set _ZL26rocblas_syr2k_her2k_kernelIlLb0ELb0ELb1ELi32EdPKPKdPKPdEvbiT_T4_T5_S7_lS9_S7_lT6_S7_li.private_seg_size, 0
	.set _ZL26rocblas_syr2k_her2k_kernelIlLb0ELb0ELb1ELi32EdPKPKdPKPdEvbiT_T4_T5_S7_lS9_S7_lT6_S7_li.uses_vcc, 1
	.set _ZL26rocblas_syr2k_her2k_kernelIlLb0ELb0ELb1ELi32EdPKPKdPKPdEvbiT_T4_T5_S7_lS9_S7_lT6_S7_li.uses_flat_scratch, 0
	.set _ZL26rocblas_syr2k_her2k_kernelIlLb0ELb0ELb1ELi32EdPKPKdPKPdEvbiT_T4_T5_S7_lS9_S7_lT6_S7_li.has_dyn_sized_stack, 0
	.set _ZL26rocblas_syr2k_her2k_kernelIlLb0ELb0ELb1ELi32EdPKPKdPKPdEvbiT_T4_T5_S7_lS9_S7_lT6_S7_li.has_recursion, 0
	.set _ZL26rocblas_syr2k_her2k_kernelIlLb0ELb0ELb1ELi32EdPKPKdPKPdEvbiT_T4_T5_S7_lS9_S7_lT6_S7_li.has_indirect_call, 0
	.section	.AMDGPU.csdata,"",@progbits
; Kernel info:
; codeLenInByte = 1348
; TotalNumSgprs: 40
; NumVgprs: 27
; ScratchSize: 0
; MemoryBound: 0
; FloatMode: 240
; IeeeMode: 1
; LDSByteSize: 16384 bytes/workgroup (compile time only)
; SGPRBlocks: 8
; VGPRBlocks: 7
; NumSGPRsForWavesPerEU: 65
; NumVGPRsForWavesPerEU: 29
; Occupancy: 8
; WaveLimiterHint : 1
; COMPUTE_PGM_RSRC2:SCRATCH_EN: 0
; COMPUTE_PGM_RSRC2:USER_SGPR: 6
; COMPUTE_PGM_RSRC2:TRAP_HANDLER: 0
; COMPUTE_PGM_RSRC2:TGID_X_EN: 1
; COMPUTE_PGM_RSRC2:TGID_Y_EN: 1
; COMPUTE_PGM_RSRC2:TGID_Z_EN: 1
; COMPUTE_PGM_RSRC2:TIDIG_COMP_CNT: 1
	.section	.text._ZL37rocblas_syrkx_herkx_restricted_kernelIldLi16ELi32ELi8ELi1ELi1ELb0ELc84ELc76EKPKdKPdEviT_PT9_S5_lS7_S5_lPT10_S5_li,"axG",@progbits,_ZL37rocblas_syrkx_herkx_restricted_kernelIldLi16ELi32ELi8ELi1ELi1ELb0ELc84ELc76EKPKdKPdEviT_PT9_S5_lS7_S5_lPT10_S5_li,comdat
	.globl	_ZL37rocblas_syrkx_herkx_restricted_kernelIldLi16ELi32ELi8ELi1ELi1ELb0ELc84ELc76EKPKdKPdEviT_PT9_S5_lS7_S5_lPT10_S5_li ; -- Begin function _ZL37rocblas_syrkx_herkx_restricted_kernelIldLi16ELi32ELi8ELi1ELi1ELb0ELc84ELc76EKPKdKPdEviT_PT9_S5_lS7_S5_lPT10_S5_li
	.p2align	8
	.type	_ZL37rocblas_syrkx_herkx_restricted_kernelIldLi16ELi32ELi8ELi1ELi1ELb0ELc84ELc76EKPKdKPdEviT_PT9_S5_lS7_S5_lPT10_S5_li,@function
_ZL37rocblas_syrkx_herkx_restricted_kernelIldLi16ELi32ELi8ELi1ELi1ELb0ELc84ELc76EKPKdKPdEviT_PT9_S5_lS7_S5_lPT10_S5_li: ; @_ZL37rocblas_syrkx_herkx_restricted_kernelIldLi16ELi32ELi8ELi1ELi1ELb0ELc84ELc76EKPKdKPdEviT_PT9_S5_lS7_S5_lPT10_S5_li
; %bb.0:
	s_load_dwordx4 s[12:15], s[4:5], 0x40
	s_load_dwordx4 s[16:19], s[4:5], 0x8
	s_mov_b32 s9, 0
	s_lshl_b64 s[0:1], s[8:9], 3
	s_waitcnt lgkmcnt(0)
	s_add_u32 s2, s12, s0
	s_addc_u32 s3, s13, s1
	s_load_dwordx2 s[8:9], s[2:3], 0x0
	v_cmp_lt_i64_e64 s[2:3], s[16:17], 1
	s_lshl_b32 s6, s6, 5
	s_lshl_b32 s7, s7, 5
	s_and_b64 vcc, exec, s[2:3]
	s_cbranch_vccnz .LBB1465_3
; %bb.1:
	s_load_dwordx2 s[2:3], s[4:5], 0x18
	s_load_dwordx4 s[20:23], s[4:5], 0x28
	v_lshl_add_u32 v4, v1, 4, v0
	v_lshrrev_b32_e32 v8, 3, v4
	v_add_u32_e32 v5, s7, v8
	v_ashrrev_i32_e32 v6, 31, v5
	v_and_b32_e32 v2, 7, v0
	v_mov_b32_e32 v3, 0
	s_waitcnt lgkmcnt(0)
	v_mul_lo_u32 v9, s22, v6
	v_mul_lo_u32 v10, s23, v5
	v_mad_u64_u32 v[6:7], s[12:13], s22, v5, v[2:3]
	v_lshlrev_b32_e32 v2, 3, v2
	v_lshl_or_b32 v2, v8, 6, v2
	v_add3_u32 v7, v10, v7, v9
	v_and_b32_e32 v9, 31, v4
	v_add_u32_e32 v8, s6, v9
	v_lshrrev_b32_e32 v4, 5, v4
	v_mov_b32_e32 v5, v3
	v_lshlrev_b32_e32 v3, 3, v9
	v_add_u32_e32 v15, 0x800, v2
	v_ashrrev_i32_e32 v2, 31, v8
	s_add_u32 s10, s18, s0
	v_lshl_or_b32 v14, v4, 8, v3
	v_mul_lo_u32 v9, s2, v2
	v_mad_u64_u32 v[2:3], s[12:13], s2, v8, v[4:5]
	v_mul_lo_u32 v4, s3, v8
	s_addc_u32 s11, s19, s1
	s_load_dwordx2 s[10:11], s[10:11], 0x0
	s_add_u32 s0, s20, s0
	s_addc_u32 s1, s21, s1
	v_add3_u32 v3, v4, v3, v9
	s_load_dwordx2 s[0:1], s[0:1], 0x0
	v_lshlrev_b64 v[2:3], 3, v[2:3]
	v_mov_b32_e32 v5, 0x800
	v_lshl_add_u32 v17, v1, 6, v5
	s_waitcnt lgkmcnt(0)
	v_mov_b32_e32 v5, s11
	v_add_co_u32_e32 v4, vcc, s10, v2
	v_addc_co_u32_e32 v5, vcc, v5, v3, vcc
	v_lshlrev_b64 v[2:3], 3, v[6:7]
	v_mov_b32_e32 v7, s1
	v_add_co_u32_e32 v6, vcc, s0, v2
	v_addc_co_u32_e32 v7, vcc, v7, v3, vcc
	v_mov_b32_e32 v2, 0
	v_mov_b32_e32 v8, 0
	;; [unrolled: 1-line block ×4, first 2 shown]
	v_lshlrev_b32_e32 v16, 3, v0
	v_mov_b32_e32 v3, 0
	v_mov_b32_e32 v9, 0
	;; [unrolled: 1-line block ×4, first 2 shown]
	s_mov_b64 s[2:3], 0
.LBB1465_2:                             ; =>This Inner Loop Header: Depth=1
	flat_load_dwordx2 v[18:19], v[4:5]
	s_add_u32 s2, s2, 8
	s_addc_u32 s3, s3, 0
	v_add_co_u32_e64 v4, s[0:1], 64, v4
	v_addc_co_u32_e64 v5, s[0:1], 0, v5, s[0:1]
	s_waitcnt vmcnt(0) lgkmcnt(0)
	ds_write_b64 v14, v[18:19]
	flat_load_dwordx2 v[18:19], v[6:7]
	v_add_co_u32_e64 v6, s[0:1], 64, v6
	v_addc_co_u32_e64 v7, s[0:1], 0, v7, s[0:1]
	s_waitcnt vmcnt(0) lgkmcnt(0)
	ds_write_b64 v15, v[18:19]
	s_waitcnt lgkmcnt(0)
	s_barrier
	ds_read2_b64 v[18:21], v16 offset1:16
	ds_read_b128 v[22:25], v17
	ds_read_b128 v[26:29], v17 offset:1024
	ds_read_b128 v[30:33], v17 offset:16
	s_waitcnt lgkmcnt(2)
	v_fma_f64 v[34:35], v[18:19], v[22:23], v[12:13]
	v_fma_f64 v[22:23], v[20:21], v[22:23], v[10:11]
	s_waitcnt lgkmcnt(1)
	v_fma_f64 v[8:9], v[18:19], v[26:27], v[8:9]
	v_fma_f64 v[2:3], v[20:21], v[26:27], v[2:3]
	ds_read2_b64 v[18:21], v16 offset0:32 offset1:48
	ds_read_b128 v[10:13], v17 offset:1040
	s_waitcnt lgkmcnt(1)
	v_fma_f64 v[26:27], v[18:19], v[24:25], v[34:35]
	v_fma_f64 v[34:35], v[20:21], v[24:25], v[22:23]
	;; [unrolled: 1-line block ×4, first 2 shown]
	ds_read2_b64 v[18:21], v16 offset0:64 offset1:80
	ds_read2_b64 v[22:25], v16 offset0:96 offset1:112
	s_waitcnt lgkmcnt(1)
	v_fma_f64 v[26:27], v[18:19], v[30:31], v[26:27]
	v_fma_f64 v[28:29], v[20:21], v[30:31], v[34:35]
	;; [unrolled: 1-line block ×4, first 2 shown]
	ds_read2_b64 v[8:11], v16 offset0:128 offset1:144
	ds_read_b128 v[18:21], v17 offset:32
	s_waitcnt lgkmcnt(2)
	v_fma_f64 v[34:35], v[22:23], v[32:33], v[26:27]
	v_fma_f64 v[32:33], v[24:25], v[32:33], v[28:29]
	;; [unrolled: 1-line block ×4, first 2 shown]
	ds_read_b128 v[22:25], v17 offset:1056
	ds_read_b128 v[26:29], v17 offset:48
	s_waitcnt lgkmcnt(2)
	v_fma_f64 v[12:13], v[8:9], v[18:19], v[34:35]
	v_fma_f64 v[18:19], v[10:11], v[18:19], v[32:33]
	s_waitcnt lgkmcnt(1)
	v_fma_f64 v[34:35], v[8:9], v[22:23], v[36:37]
	v_fma_f64 v[2:3], v[10:11], v[22:23], v[2:3]
	ds_read2_b64 v[8:11], v16 offset0:160 offset1:176
	ds_read_b128 v[30:33], v17 offset:1072
	s_waitcnt lgkmcnt(1)
	v_fma_f64 v[12:13], v[8:9], v[20:21], v[12:13]
	v_fma_f64 v[18:19], v[10:11], v[20:21], v[18:19]
	v_mov_b32_e32 v21, s3
	v_mov_b32_e32 v20, s2
	v_cmp_le_u64_e32 vcc, s[16:17], v[20:21]
	v_fma_f64 v[20:21], v[8:9], v[24:25], v[34:35]
	v_fma_f64 v[2:3], v[10:11], v[24:25], v[2:3]
	ds_read2_b64 v[8:11], v16 offset0:192 offset1:208
	s_and_b64 vcc, exec, vcc
	s_waitcnt lgkmcnt(0)
	v_fma_f64 v[12:13], v[8:9], v[26:27], v[12:13]
	v_fma_f64 v[22:23], v[10:11], v[26:27], v[18:19]
	;; [unrolled: 1-line block ×4, first 2 shown]
	ds_read2_b64 v[18:21], v16 offset0:224 offset1:240
	s_waitcnt lgkmcnt(0)
	s_barrier
	v_fma_f64 v[12:13], v[18:19], v[28:29], v[12:13]
	v_fma_f64 v[10:11], v[20:21], v[28:29], v[22:23]
	;; [unrolled: 1-line block ×4, first 2 shown]
	s_cbranch_vccz .LBB1465_2
	s_branch .LBB1465_4
.LBB1465_3:
	v_mov_b32_e32 v12, 0
	v_mov_b32_e32 v10, 0
	v_mov_b32_e32 v8, 0
	v_mov_b32_e32 v2, 0
	v_mov_b32_e32 v13, 0
	v_mov_b32_e32 v11, 0
	v_mov_b32_e32 v9, 0
	v_mov_b32_e32 v3, 0
.LBB1465_4:
	v_add_u32_e32 v6, s7, v1
	v_ashrrev_i32_e32 v1, 31, v6
	v_mul_lo_u32 v1, s14, v1
	v_mul_lo_u32 v7, s15, v6
	v_mad_u64_u32 v[4:5], s[0:1], s14, v6, 0
	s_load_dword s4, s[4:5], 0x0
	v_add_u32_e32 v0, s6, v0
	v_add3_u32 v5, v5, v1, v7
	v_lshlrev_b64 v[4:5], 3, v[4:5]
	s_waitcnt lgkmcnt(0)
	v_mov_b32_e32 v1, s9
	v_add_co_u32_e32 v7, vcc, s8, v4
	v_addc_co_u32_e32 v14, vcc, v1, v5, vcc
	v_cmp_le_i32_e64 s[0:1], v6, v0
	v_cmp_gt_i32_e32 vcc, s4, v0
	s_and_b64 s[0:1], s[0:1], vcc
	s_and_saveexec_b64 s[2:3], s[0:1]
	s_cbranch_execz .LBB1465_6
; %bb.5:
	v_ashrrev_i32_e32 v1, 31, v0
	v_lshlrev_b64 v[4:5], 3, v[0:1]
	v_add_co_u32_e64 v4, s[0:1], v7, v4
	v_addc_co_u32_e64 v5, s[0:1], v14, v5, s[0:1]
	flat_load_dwordx2 v[15:16], v[4:5]
	s_waitcnt vmcnt(0) lgkmcnt(0)
	v_add_f64 v[12:13], v[12:13], v[15:16]
	flat_store_dwordx2 v[4:5], v[12:13]
.LBB1465_6:
	s_or_b64 exec, exec, s[2:3]
	v_add_u32_e32 v4, 16, v0
	v_cmp_le_i32_e64 s[2:3], v6, v4
	v_cmp_gt_i32_e64 s[0:1], s4, v4
	s_and_b64 s[2:3], s[2:3], s[0:1]
	s_and_saveexec_b64 s[4:5], s[2:3]
	s_cbranch_execz .LBB1465_8
; %bb.7:
	v_ashrrev_i32_e32 v5, 31, v4
	v_lshlrev_b64 v[12:13], 3, v[4:5]
	v_add_co_u32_e64 v12, s[2:3], v7, v12
	v_addc_co_u32_e64 v13, s[2:3], v14, v13, s[2:3]
	flat_load_dwordx2 v[14:15], v[12:13]
	s_waitcnt vmcnt(0) lgkmcnt(0)
	v_add_f64 v[10:11], v[10:11], v[14:15]
	flat_store_dwordx2 v[12:13], v[10:11]
.LBB1465_8:
	s_or_b64 exec, exec, s[4:5]
	v_add_u32_e32 v5, 16, v6
	v_ashrrev_i32_e32 v1, 31, v5
	v_mul_lo_u32 v10, s15, v5
	v_mad_u64_u32 v[6:7], s[2:3], s14, v5, 0
	v_mul_lo_u32 v1, s14, v1
	v_add3_u32 v7, v7, v1, v10
	v_lshlrev_b64 v[6:7], 3, v[6:7]
	v_mov_b32_e32 v1, s9
	v_add_co_u32_e64 v6, s[2:3], s8, v6
	v_addc_co_u32_e64 v7, s[2:3], v1, v7, s[2:3]
	v_cmp_le_i32_e64 s[2:3], v5, v0
	s_and_b64 s[4:5], s[2:3], vcc
	s_and_saveexec_b64 s[2:3], s[4:5]
	s_cbranch_execz .LBB1465_10
; %bb.9:
	v_ashrrev_i32_e32 v1, 31, v0
	v_lshlrev_b64 v[0:1], 3, v[0:1]
	v_add_co_u32_e32 v0, vcc, v6, v0
	v_addc_co_u32_e32 v1, vcc, v7, v1, vcc
	flat_load_dwordx2 v[10:11], v[0:1]
	s_waitcnt vmcnt(0) lgkmcnt(0)
	v_add_f64 v[8:9], v[8:9], v[10:11]
	flat_store_dwordx2 v[0:1], v[8:9]
.LBB1465_10:
	s_or_b64 exec, exec, s[2:3]
	v_cmp_le_i32_e32 vcc, v5, v4
	s_and_b64 s[0:1], vcc, s[0:1]
	s_and_saveexec_b64 s[2:3], s[0:1]
	s_cbranch_execz .LBB1465_12
; %bb.11:
	v_ashrrev_i32_e32 v5, 31, v4
	v_lshlrev_b64 v[0:1], 3, v[4:5]
	v_add_co_u32_e32 v0, vcc, v6, v0
	v_addc_co_u32_e32 v1, vcc, v7, v1, vcc
	flat_load_dwordx2 v[4:5], v[0:1]
	s_waitcnt vmcnt(0) lgkmcnt(0)
	v_add_f64 v[2:3], v[2:3], v[4:5]
	flat_store_dwordx2 v[0:1], v[2:3]
.LBB1465_12:
	s_endpgm
	.section	.rodata,"a",@progbits
	.p2align	6, 0x0
	.amdhsa_kernel _ZL37rocblas_syrkx_herkx_restricted_kernelIldLi16ELi32ELi8ELi1ELi1ELb0ELc84ELc76EKPKdKPdEviT_PT9_S5_lS7_S5_lPT10_S5_li
		.amdhsa_group_segment_fixed_size 4096
		.amdhsa_private_segment_fixed_size 0
		.amdhsa_kernarg_size 92
		.amdhsa_user_sgpr_count 6
		.amdhsa_user_sgpr_private_segment_buffer 1
		.amdhsa_user_sgpr_dispatch_ptr 0
		.amdhsa_user_sgpr_queue_ptr 0
		.amdhsa_user_sgpr_kernarg_segment_ptr 1
		.amdhsa_user_sgpr_dispatch_id 0
		.amdhsa_user_sgpr_flat_scratch_init 0
		.amdhsa_user_sgpr_private_segment_size 0
		.amdhsa_uses_dynamic_stack 0
		.amdhsa_system_sgpr_private_segment_wavefront_offset 0
		.amdhsa_system_sgpr_workgroup_id_x 1
		.amdhsa_system_sgpr_workgroup_id_y 1
		.amdhsa_system_sgpr_workgroup_id_z 1
		.amdhsa_system_sgpr_workgroup_info 0
		.amdhsa_system_vgpr_workitem_id 1
		.amdhsa_next_free_vgpr 38
		.amdhsa_next_free_sgpr 24
		.amdhsa_reserve_vcc 1
		.amdhsa_reserve_flat_scratch 0
		.amdhsa_float_round_mode_32 0
		.amdhsa_float_round_mode_16_64 0
		.amdhsa_float_denorm_mode_32 3
		.amdhsa_float_denorm_mode_16_64 3
		.amdhsa_dx10_clamp 1
		.amdhsa_ieee_mode 1
		.amdhsa_fp16_overflow 0
		.amdhsa_exception_fp_ieee_invalid_op 0
		.amdhsa_exception_fp_denorm_src 0
		.amdhsa_exception_fp_ieee_div_zero 0
		.amdhsa_exception_fp_ieee_overflow 0
		.amdhsa_exception_fp_ieee_underflow 0
		.amdhsa_exception_fp_ieee_inexact 0
		.amdhsa_exception_int_div_zero 0
	.end_amdhsa_kernel
	.section	.text._ZL37rocblas_syrkx_herkx_restricted_kernelIldLi16ELi32ELi8ELi1ELi1ELb0ELc84ELc76EKPKdKPdEviT_PT9_S5_lS7_S5_lPT10_S5_li,"axG",@progbits,_ZL37rocblas_syrkx_herkx_restricted_kernelIldLi16ELi32ELi8ELi1ELi1ELb0ELc84ELc76EKPKdKPdEviT_PT9_S5_lS7_S5_lPT10_S5_li,comdat
.Lfunc_end1465:
	.size	_ZL37rocblas_syrkx_herkx_restricted_kernelIldLi16ELi32ELi8ELi1ELi1ELb0ELc84ELc76EKPKdKPdEviT_PT9_S5_lS7_S5_lPT10_S5_li, .Lfunc_end1465-_ZL37rocblas_syrkx_herkx_restricted_kernelIldLi16ELi32ELi8ELi1ELi1ELb0ELc84ELc76EKPKdKPdEviT_PT9_S5_lS7_S5_lPT10_S5_li
                                        ; -- End function
	.set _ZL37rocblas_syrkx_herkx_restricted_kernelIldLi16ELi32ELi8ELi1ELi1ELb0ELc84ELc76EKPKdKPdEviT_PT9_S5_lS7_S5_lPT10_S5_li.num_vgpr, 38
	.set _ZL37rocblas_syrkx_herkx_restricted_kernelIldLi16ELi32ELi8ELi1ELi1ELb0ELc84ELc76EKPKdKPdEviT_PT9_S5_lS7_S5_lPT10_S5_li.num_agpr, 0
	.set _ZL37rocblas_syrkx_herkx_restricted_kernelIldLi16ELi32ELi8ELi1ELi1ELb0ELc84ELc76EKPKdKPdEviT_PT9_S5_lS7_S5_lPT10_S5_li.numbered_sgpr, 24
	.set _ZL37rocblas_syrkx_herkx_restricted_kernelIldLi16ELi32ELi8ELi1ELi1ELb0ELc84ELc76EKPKdKPdEviT_PT9_S5_lS7_S5_lPT10_S5_li.num_named_barrier, 0
	.set _ZL37rocblas_syrkx_herkx_restricted_kernelIldLi16ELi32ELi8ELi1ELi1ELb0ELc84ELc76EKPKdKPdEviT_PT9_S5_lS7_S5_lPT10_S5_li.private_seg_size, 0
	.set _ZL37rocblas_syrkx_herkx_restricted_kernelIldLi16ELi32ELi8ELi1ELi1ELb0ELc84ELc76EKPKdKPdEviT_PT9_S5_lS7_S5_lPT10_S5_li.uses_vcc, 1
	.set _ZL37rocblas_syrkx_herkx_restricted_kernelIldLi16ELi32ELi8ELi1ELi1ELb0ELc84ELc76EKPKdKPdEviT_PT9_S5_lS7_S5_lPT10_S5_li.uses_flat_scratch, 0
	.set _ZL37rocblas_syrkx_herkx_restricted_kernelIldLi16ELi32ELi8ELi1ELi1ELb0ELc84ELc76EKPKdKPdEviT_PT9_S5_lS7_S5_lPT10_S5_li.has_dyn_sized_stack, 0
	.set _ZL37rocblas_syrkx_herkx_restricted_kernelIldLi16ELi32ELi8ELi1ELi1ELb0ELc84ELc76EKPKdKPdEviT_PT9_S5_lS7_S5_lPT10_S5_li.has_recursion, 0
	.set _ZL37rocblas_syrkx_herkx_restricted_kernelIldLi16ELi32ELi8ELi1ELi1ELb0ELc84ELc76EKPKdKPdEviT_PT9_S5_lS7_S5_lPT10_S5_li.has_indirect_call, 0
	.section	.AMDGPU.csdata,"",@progbits
; Kernel info:
; codeLenInByte = 1396
; TotalNumSgprs: 28
; NumVgprs: 38
; ScratchSize: 0
; MemoryBound: 0
; FloatMode: 240
; IeeeMode: 1
; LDSByteSize: 4096 bytes/workgroup (compile time only)
; SGPRBlocks: 3
; VGPRBlocks: 9
; NumSGPRsForWavesPerEU: 28
; NumVGPRsForWavesPerEU: 38
; Occupancy: 6
; WaveLimiterHint : 1
; COMPUTE_PGM_RSRC2:SCRATCH_EN: 0
; COMPUTE_PGM_RSRC2:USER_SGPR: 6
; COMPUTE_PGM_RSRC2:TRAP_HANDLER: 0
; COMPUTE_PGM_RSRC2:TGID_X_EN: 1
; COMPUTE_PGM_RSRC2:TGID_Y_EN: 1
; COMPUTE_PGM_RSRC2:TGID_Z_EN: 1
; COMPUTE_PGM_RSRC2:TIDIG_COMP_CNT: 1
	.section	.text._ZL37rocblas_syrkx_herkx_restricted_kernelIldLi16ELi32ELi8ELi1ELi1ELb0ELc67ELc76EKPKdKPdEviT_PT9_S5_lS7_S5_lPT10_S5_li,"axG",@progbits,_ZL37rocblas_syrkx_herkx_restricted_kernelIldLi16ELi32ELi8ELi1ELi1ELb0ELc67ELc76EKPKdKPdEviT_PT9_S5_lS7_S5_lPT10_S5_li,comdat
	.globl	_ZL37rocblas_syrkx_herkx_restricted_kernelIldLi16ELi32ELi8ELi1ELi1ELb0ELc67ELc76EKPKdKPdEviT_PT9_S5_lS7_S5_lPT10_S5_li ; -- Begin function _ZL37rocblas_syrkx_herkx_restricted_kernelIldLi16ELi32ELi8ELi1ELi1ELb0ELc67ELc76EKPKdKPdEviT_PT9_S5_lS7_S5_lPT10_S5_li
	.p2align	8
	.type	_ZL37rocblas_syrkx_herkx_restricted_kernelIldLi16ELi32ELi8ELi1ELi1ELb0ELc67ELc76EKPKdKPdEviT_PT9_S5_lS7_S5_lPT10_S5_li,@function
_ZL37rocblas_syrkx_herkx_restricted_kernelIldLi16ELi32ELi8ELi1ELi1ELb0ELc67ELc76EKPKdKPdEviT_PT9_S5_lS7_S5_lPT10_S5_li: ; @_ZL37rocblas_syrkx_herkx_restricted_kernelIldLi16ELi32ELi8ELi1ELi1ELb0ELc67ELc76EKPKdKPdEviT_PT9_S5_lS7_S5_lPT10_S5_li
; %bb.0:
	s_load_dwordx4 s[12:15], s[4:5], 0x40
	s_load_dwordx4 s[16:19], s[4:5], 0x8
	s_mov_b32 s9, 0
	s_lshl_b64 s[0:1], s[8:9], 3
	s_waitcnt lgkmcnt(0)
	s_add_u32 s2, s12, s0
	s_addc_u32 s3, s13, s1
	s_load_dwordx2 s[8:9], s[2:3], 0x0
	v_cmp_lt_i64_e64 s[2:3], s[16:17], 1
	s_lshl_b32 s6, s6, 5
	s_lshl_b32 s7, s7, 5
	s_and_b64 vcc, exec, s[2:3]
	s_cbranch_vccnz .LBB1466_3
; %bb.1:
	s_load_dwordx2 s[2:3], s[4:5], 0x18
	s_load_dwordx4 s[20:23], s[4:5], 0x28
	v_lshl_add_u32 v4, v1, 4, v0
	v_lshrrev_b32_e32 v8, 3, v4
	v_add_u32_e32 v5, s7, v8
	v_ashrrev_i32_e32 v6, 31, v5
	v_and_b32_e32 v2, 7, v0
	v_mov_b32_e32 v3, 0
	s_waitcnt lgkmcnt(0)
	v_mul_lo_u32 v9, s22, v6
	v_mul_lo_u32 v10, s23, v5
	v_mad_u64_u32 v[6:7], s[12:13], s22, v5, v[2:3]
	v_lshlrev_b32_e32 v2, 3, v2
	v_lshl_or_b32 v2, v8, 6, v2
	v_add3_u32 v7, v10, v7, v9
	v_and_b32_e32 v9, 31, v4
	v_add_u32_e32 v8, s6, v9
	v_lshrrev_b32_e32 v4, 5, v4
	v_mov_b32_e32 v5, v3
	v_lshlrev_b32_e32 v3, 3, v9
	v_add_u32_e32 v15, 0x800, v2
	v_ashrrev_i32_e32 v2, 31, v8
	s_add_u32 s10, s18, s0
	v_lshl_or_b32 v14, v4, 8, v3
	v_mul_lo_u32 v9, s2, v2
	v_mad_u64_u32 v[2:3], s[12:13], s2, v8, v[4:5]
	v_mul_lo_u32 v4, s3, v8
	s_addc_u32 s11, s19, s1
	s_load_dwordx2 s[10:11], s[10:11], 0x0
	s_add_u32 s0, s20, s0
	s_addc_u32 s1, s21, s1
	v_add3_u32 v3, v4, v3, v9
	s_load_dwordx2 s[0:1], s[0:1], 0x0
	v_lshlrev_b64 v[2:3], 3, v[2:3]
	v_mov_b32_e32 v5, 0x800
	v_lshl_add_u32 v17, v1, 6, v5
	s_waitcnt lgkmcnt(0)
	v_mov_b32_e32 v5, s11
	v_add_co_u32_e32 v4, vcc, s10, v2
	v_addc_co_u32_e32 v5, vcc, v5, v3, vcc
	v_lshlrev_b64 v[2:3], 3, v[6:7]
	v_mov_b32_e32 v7, s1
	v_add_co_u32_e32 v6, vcc, s0, v2
	v_addc_co_u32_e32 v7, vcc, v7, v3, vcc
	v_mov_b32_e32 v2, 0
	v_mov_b32_e32 v8, 0
	;; [unrolled: 1-line block ×4, first 2 shown]
	v_lshlrev_b32_e32 v16, 3, v0
	v_mov_b32_e32 v3, 0
	v_mov_b32_e32 v9, 0
	;; [unrolled: 1-line block ×4, first 2 shown]
	s_mov_b64 s[2:3], 0
.LBB1466_2:                             ; =>This Inner Loop Header: Depth=1
	flat_load_dwordx2 v[18:19], v[4:5]
	s_add_u32 s2, s2, 8
	s_addc_u32 s3, s3, 0
	v_add_co_u32_e64 v4, s[0:1], 64, v4
	v_addc_co_u32_e64 v5, s[0:1], 0, v5, s[0:1]
	s_waitcnt vmcnt(0) lgkmcnt(0)
	ds_write_b64 v14, v[18:19]
	flat_load_dwordx2 v[18:19], v[6:7]
	v_add_co_u32_e64 v6, s[0:1], 64, v6
	v_addc_co_u32_e64 v7, s[0:1], 0, v7, s[0:1]
	s_waitcnt vmcnt(0) lgkmcnt(0)
	ds_write_b64 v15, v[18:19]
	s_waitcnt lgkmcnt(0)
	s_barrier
	ds_read2_b64 v[18:21], v16 offset1:16
	ds_read_b128 v[22:25], v17
	ds_read_b128 v[26:29], v17 offset:1024
	ds_read_b128 v[30:33], v17 offset:16
	s_waitcnt lgkmcnt(2)
	v_fma_f64 v[34:35], v[18:19], v[22:23], v[12:13]
	v_fma_f64 v[22:23], v[20:21], v[22:23], v[10:11]
	s_waitcnt lgkmcnt(1)
	v_fma_f64 v[8:9], v[18:19], v[26:27], v[8:9]
	v_fma_f64 v[2:3], v[20:21], v[26:27], v[2:3]
	ds_read2_b64 v[18:21], v16 offset0:32 offset1:48
	ds_read_b128 v[10:13], v17 offset:1040
	s_waitcnt lgkmcnt(1)
	v_fma_f64 v[26:27], v[18:19], v[24:25], v[34:35]
	v_fma_f64 v[34:35], v[20:21], v[24:25], v[22:23]
	;; [unrolled: 1-line block ×4, first 2 shown]
	ds_read2_b64 v[18:21], v16 offset0:64 offset1:80
	ds_read2_b64 v[22:25], v16 offset0:96 offset1:112
	s_waitcnt lgkmcnt(1)
	v_fma_f64 v[26:27], v[18:19], v[30:31], v[26:27]
	v_fma_f64 v[28:29], v[20:21], v[30:31], v[34:35]
	;; [unrolled: 1-line block ×4, first 2 shown]
	ds_read2_b64 v[8:11], v16 offset0:128 offset1:144
	ds_read_b128 v[18:21], v17 offset:32
	s_waitcnt lgkmcnt(2)
	v_fma_f64 v[34:35], v[22:23], v[32:33], v[26:27]
	v_fma_f64 v[32:33], v[24:25], v[32:33], v[28:29]
	;; [unrolled: 1-line block ×4, first 2 shown]
	ds_read_b128 v[22:25], v17 offset:1056
	ds_read_b128 v[26:29], v17 offset:48
	s_waitcnt lgkmcnt(2)
	v_fma_f64 v[12:13], v[8:9], v[18:19], v[34:35]
	v_fma_f64 v[18:19], v[10:11], v[18:19], v[32:33]
	s_waitcnt lgkmcnt(1)
	v_fma_f64 v[34:35], v[8:9], v[22:23], v[36:37]
	v_fma_f64 v[2:3], v[10:11], v[22:23], v[2:3]
	ds_read2_b64 v[8:11], v16 offset0:160 offset1:176
	ds_read_b128 v[30:33], v17 offset:1072
	s_waitcnt lgkmcnt(1)
	v_fma_f64 v[12:13], v[8:9], v[20:21], v[12:13]
	v_fma_f64 v[18:19], v[10:11], v[20:21], v[18:19]
	v_mov_b32_e32 v21, s3
	v_mov_b32_e32 v20, s2
	v_cmp_le_u64_e32 vcc, s[16:17], v[20:21]
	v_fma_f64 v[20:21], v[8:9], v[24:25], v[34:35]
	v_fma_f64 v[2:3], v[10:11], v[24:25], v[2:3]
	ds_read2_b64 v[8:11], v16 offset0:192 offset1:208
	s_and_b64 vcc, exec, vcc
	s_waitcnt lgkmcnt(0)
	v_fma_f64 v[12:13], v[8:9], v[26:27], v[12:13]
	v_fma_f64 v[22:23], v[10:11], v[26:27], v[18:19]
	;; [unrolled: 1-line block ×4, first 2 shown]
	ds_read2_b64 v[18:21], v16 offset0:224 offset1:240
	s_waitcnt lgkmcnt(0)
	s_barrier
	v_fma_f64 v[12:13], v[18:19], v[28:29], v[12:13]
	v_fma_f64 v[10:11], v[20:21], v[28:29], v[22:23]
	;; [unrolled: 1-line block ×4, first 2 shown]
	s_cbranch_vccz .LBB1466_2
	s_branch .LBB1466_4
.LBB1466_3:
	v_mov_b32_e32 v12, 0
	v_mov_b32_e32 v10, 0
	;; [unrolled: 1-line block ×8, first 2 shown]
.LBB1466_4:
	v_add_u32_e32 v6, s7, v1
	v_ashrrev_i32_e32 v1, 31, v6
	v_mul_lo_u32 v1, s14, v1
	v_mul_lo_u32 v7, s15, v6
	v_mad_u64_u32 v[4:5], s[0:1], s14, v6, 0
	s_load_dword s4, s[4:5], 0x0
	v_add_u32_e32 v0, s6, v0
	v_add3_u32 v5, v5, v1, v7
	v_lshlrev_b64 v[4:5], 3, v[4:5]
	s_waitcnt lgkmcnt(0)
	v_mov_b32_e32 v1, s9
	v_add_co_u32_e32 v7, vcc, s8, v4
	v_addc_co_u32_e32 v14, vcc, v1, v5, vcc
	v_cmp_le_i32_e64 s[0:1], v6, v0
	v_cmp_gt_i32_e32 vcc, s4, v0
	s_and_b64 s[0:1], s[0:1], vcc
	s_and_saveexec_b64 s[2:3], s[0:1]
	s_cbranch_execz .LBB1466_6
; %bb.5:
	v_ashrrev_i32_e32 v1, 31, v0
	v_lshlrev_b64 v[4:5], 3, v[0:1]
	v_add_co_u32_e64 v4, s[0:1], v7, v4
	v_addc_co_u32_e64 v5, s[0:1], v14, v5, s[0:1]
	flat_load_dwordx2 v[15:16], v[4:5]
	s_waitcnt vmcnt(0) lgkmcnt(0)
	v_add_f64 v[12:13], v[12:13], v[15:16]
	flat_store_dwordx2 v[4:5], v[12:13]
.LBB1466_6:
	s_or_b64 exec, exec, s[2:3]
	v_add_u32_e32 v4, 16, v0
	v_cmp_le_i32_e64 s[2:3], v6, v4
	v_cmp_gt_i32_e64 s[0:1], s4, v4
	s_and_b64 s[2:3], s[2:3], s[0:1]
	s_and_saveexec_b64 s[4:5], s[2:3]
	s_cbranch_execz .LBB1466_8
; %bb.7:
	v_ashrrev_i32_e32 v5, 31, v4
	v_lshlrev_b64 v[12:13], 3, v[4:5]
	v_add_co_u32_e64 v12, s[2:3], v7, v12
	v_addc_co_u32_e64 v13, s[2:3], v14, v13, s[2:3]
	flat_load_dwordx2 v[14:15], v[12:13]
	s_waitcnt vmcnt(0) lgkmcnt(0)
	v_add_f64 v[10:11], v[10:11], v[14:15]
	flat_store_dwordx2 v[12:13], v[10:11]
.LBB1466_8:
	s_or_b64 exec, exec, s[4:5]
	v_add_u32_e32 v5, 16, v6
	v_ashrrev_i32_e32 v1, 31, v5
	v_mul_lo_u32 v10, s15, v5
	v_mad_u64_u32 v[6:7], s[2:3], s14, v5, 0
	v_mul_lo_u32 v1, s14, v1
	v_add3_u32 v7, v7, v1, v10
	v_lshlrev_b64 v[6:7], 3, v[6:7]
	v_mov_b32_e32 v1, s9
	v_add_co_u32_e64 v6, s[2:3], s8, v6
	v_addc_co_u32_e64 v7, s[2:3], v1, v7, s[2:3]
	v_cmp_le_i32_e64 s[2:3], v5, v0
	s_and_b64 s[4:5], s[2:3], vcc
	s_and_saveexec_b64 s[2:3], s[4:5]
	s_cbranch_execz .LBB1466_10
; %bb.9:
	v_ashrrev_i32_e32 v1, 31, v0
	v_lshlrev_b64 v[0:1], 3, v[0:1]
	v_add_co_u32_e32 v0, vcc, v6, v0
	v_addc_co_u32_e32 v1, vcc, v7, v1, vcc
	flat_load_dwordx2 v[10:11], v[0:1]
	s_waitcnt vmcnt(0) lgkmcnt(0)
	v_add_f64 v[8:9], v[8:9], v[10:11]
	flat_store_dwordx2 v[0:1], v[8:9]
.LBB1466_10:
	s_or_b64 exec, exec, s[2:3]
	v_cmp_le_i32_e32 vcc, v5, v4
	s_and_b64 s[0:1], vcc, s[0:1]
	s_and_saveexec_b64 s[2:3], s[0:1]
	s_cbranch_execz .LBB1466_12
; %bb.11:
	v_ashrrev_i32_e32 v5, 31, v4
	v_lshlrev_b64 v[0:1], 3, v[4:5]
	v_add_co_u32_e32 v0, vcc, v6, v0
	v_addc_co_u32_e32 v1, vcc, v7, v1, vcc
	flat_load_dwordx2 v[4:5], v[0:1]
	s_waitcnt vmcnt(0) lgkmcnt(0)
	v_add_f64 v[2:3], v[2:3], v[4:5]
	flat_store_dwordx2 v[0:1], v[2:3]
.LBB1466_12:
	s_endpgm
	.section	.rodata,"a",@progbits
	.p2align	6, 0x0
	.amdhsa_kernel _ZL37rocblas_syrkx_herkx_restricted_kernelIldLi16ELi32ELi8ELi1ELi1ELb0ELc67ELc76EKPKdKPdEviT_PT9_S5_lS7_S5_lPT10_S5_li
		.amdhsa_group_segment_fixed_size 4096
		.amdhsa_private_segment_fixed_size 0
		.amdhsa_kernarg_size 92
		.amdhsa_user_sgpr_count 6
		.amdhsa_user_sgpr_private_segment_buffer 1
		.amdhsa_user_sgpr_dispatch_ptr 0
		.amdhsa_user_sgpr_queue_ptr 0
		.amdhsa_user_sgpr_kernarg_segment_ptr 1
		.amdhsa_user_sgpr_dispatch_id 0
		.amdhsa_user_sgpr_flat_scratch_init 0
		.amdhsa_user_sgpr_private_segment_size 0
		.amdhsa_uses_dynamic_stack 0
		.amdhsa_system_sgpr_private_segment_wavefront_offset 0
		.amdhsa_system_sgpr_workgroup_id_x 1
		.amdhsa_system_sgpr_workgroup_id_y 1
		.amdhsa_system_sgpr_workgroup_id_z 1
		.amdhsa_system_sgpr_workgroup_info 0
		.amdhsa_system_vgpr_workitem_id 1
		.amdhsa_next_free_vgpr 38
		.amdhsa_next_free_sgpr 24
		.amdhsa_reserve_vcc 1
		.amdhsa_reserve_flat_scratch 0
		.amdhsa_float_round_mode_32 0
		.amdhsa_float_round_mode_16_64 0
		.amdhsa_float_denorm_mode_32 3
		.amdhsa_float_denorm_mode_16_64 3
		.amdhsa_dx10_clamp 1
		.amdhsa_ieee_mode 1
		.amdhsa_fp16_overflow 0
		.amdhsa_exception_fp_ieee_invalid_op 0
		.amdhsa_exception_fp_denorm_src 0
		.amdhsa_exception_fp_ieee_div_zero 0
		.amdhsa_exception_fp_ieee_overflow 0
		.amdhsa_exception_fp_ieee_underflow 0
		.amdhsa_exception_fp_ieee_inexact 0
		.amdhsa_exception_int_div_zero 0
	.end_amdhsa_kernel
	.section	.text._ZL37rocblas_syrkx_herkx_restricted_kernelIldLi16ELi32ELi8ELi1ELi1ELb0ELc67ELc76EKPKdKPdEviT_PT9_S5_lS7_S5_lPT10_S5_li,"axG",@progbits,_ZL37rocblas_syrkx_herkx_restricted_kernelIldLi16ELi32ELi8ELi1ELi1ELb0ELc67ELc76EKPKdKPdEviT_PT9_S5_lS7_S5_lPT10_S5_li,comdat
.Lfunc_end1466:
	.size	_ZL37rocblas_syrkx_herkx_restricted_kernelIldLi16ELi32ELi8ELi1ELi1ELb0ELc67ELc76EKPKdKPdEviT_PT9_S5_lS7_S5_lPT10_S5_li, .Lfunc_end1466-_ZL37rocblas_syrkx_herkx_restricted_kernelIldLi16ELi32ELi8ELi1ELi1ELb0ELc67ELc76EKPKdKPdEviT_PT9_S5_lS7_S5_lPT10_S5_li
                                        ; -- End function
	.set _ZL37rocblas_syrkx_herkx_restricted_kernelIldLi16ELi32ELi8ELi1ELi1ELb0ELc67ELc76EKPKdKPdEviT_PT9_S5_lS7_S5_lPT10_S5_li.num_vgpr, 38
	.set _ZL37rocblas_syrkx_herkx_restricted_kernelIldLi16ELi32ELi8ELi1ELi1ELb0ELc67ELc76EKPKdKPdEviT_PT9_S5_lS7_S5_lPT10_S5_li.num_agpr, 0
	.set _ZL37rocblas_syrkx_herkx_restricted_kernelIldLi16ELi32ELi8ELi1ELi1ELb0ELc67ELc76EKPKdKPdEviT_PT9_S5_lS7_S5_lPT10_S5_li.numbered_sgpr, 24
	.set _ZL37rocblas_syrkx_herkx_restricted_kernelIldLi16ELi32ELi8ELi1ELi1ELb0ELc67ELc76EKPKdKPdEviT_PT9_S5_lS7_S5_lPT10_S5_li.num_named_barrier, 0
	.set _ZL37rocblas_syrkx_herkx_restricted_kernelIldLi16ELi32ELi8ELi1ELi1ELb0ELc67ELc76EKPKdKPdEviT_PT9_S5_lS7_S5_lPT10_S5_li.private_seg_size, 0
	.set _ZL37rocblas_syrkx_herkx_restricted_kernelIldLi16ELi32ELi8ELi1ELi1ELb0ELc67ELc76EKPKdKPdEviT_PT9_S5_lS7_S5_lPT10_S5_li.uses_vcc, 1
	.set _ZL37rocblas_syrkx_herkx_restricted_kernelIldLi16ELi32ELi8ELi1ELi1ELb0ELc67ELc76EKPKdKPdEviT_PT9_S5_lS7_S5_lPT10_S5_li.uses_flat_scratch, 0
	.set _ZL37rocblas_syrkx_herkx_restricted_kernelIldLi16ELi32ELi8ELi1ELi1ELb0ELc67ELc76EKPKdKPdEviT_PT9_S5_lS7_S5_lPT10_S5_li.has_dyn_sized_stack, 0
	.set _ZL37rocblas_syrkx_herkx_restricted_kernelIldLi16ELi32ELi8ELi1ELi1ELb0ELc67ELc76EKPKdKPdEviT_PT9_S5_lS7_S5_lPT10_S5_li.has_recursion, 0
	.set _ZL37rocblas_syrkx_herkx_restricted_kernelIldLi16ELi32ELi8ELi1ELi1ELb0ELc67ELc76EKPKdKPdEviT_PT9_S5_lS7_S5_lPT10_S5_li.has_indirect_call, 0
	.section	.AMDGPU.csdata,"",@progbits
; Kernel info:
; codeLenInByte = 1396
; TotalNumSgprs: 28
; NumVgprs: 38
; ScratchSize: 0
; MemoryBound: 0
; FloatMode: 240
; IeeeMode: 1
; LDSByteSize: 4096 bytes/workgroup (compile time only)
; SGPRBlocks: 3
; VGPRBlocks: 9
; NumSGPRsForWavesPerEU: 28
; NumVGPRsForWavesPerEU: 38
; Occupancy: 6
; WaveLimiterHint : 1
; COMPUTE_PGM_RSRC2:SCRATCH_EN: 0
; COMPUTE_PGM_RSRC2:USER_SGPR: 6
; COMPUTE_PGM_RSRC2:TRAP_HANDLER: 0
; COMPUTE_PGM_RSRC2:TGID_X_EN: 1
; COMPUTE_PGM_RSRC2:TGID_Y_EN: 1
; COMPUTE_PGM_RSRC2:TGID_Z_EN: 1
; COMPUTE_PGM_RSRC2:TIDIG_COMP_CNT: 1
	.section	.text._ZL37rocblas_syrkx_herkx_restricted_kernelIldLi16ELi32ELi8ELi1ELi1ELb0ELc78ELc76EKPKdKPdEviT_PT9_S5_lS7_S5_lPT10_S5_li,"axG",@progbits,_ZL37rocblas_syrkx_herkx_restricted_kernelIldLi16ELi32ELi8ELi1ELi1ELb0ELc78ELc76EKPKdKPdEviT_PT9_S5_lS7_S5_lPT10_S5_li,comdat
	.globl	_ZL37rocblas_syrkx_herkx_restricted_kernelIldLi16ELi32ELi8ELi1ELi1ELb0ELc78ELc76EKPKdKPdEviT_PT9_S5_lS7_S5_lPT10_S5_li ; -- Begin function _ZL37rocblas_syrkx_herkx_restricted_kernelIldLi16ELi32ELi8ELi1ELi1ELb0ELc78ELc76EKPKdKPdEviT_PT9_S5_lS7_S5_lPT10_S5_li
	.p2align	8
	.type	_ZL37rocblas_syrkx_herkx_restricted_kernelIldLi16ELi32ELi8ELi1ELi1ELb0ELc78ELc76EKPKdKPdEviT_PT9_S5_lS7_S5_lPT10_S5_li,@function
_ZL37rocblas_syrkx_herkx_restricted_kernelIldLi16ELi32ELi8ELi1ELi1ELb0ELc78ELc76EKPKdKPdEviT_PT9_S5_lS7_S5_lPT10_S5_li: ; @_ZL37rocblas_syrkx_herkx_restricted_kernelIldLi16ELi32ELi8ELi1ELi1ELb0ELc78ELc76EKPKdKPdEviT_PT9_S5_lS7_S5_lPT10_S5_li
; %bb.0:
	s_load_dwordx4 s[12:15], s[4:5], 0x40
	s_load_dwordx4 s[16:19], s[4:5], 0x8
	s_mov_b32 s9, 0
	s_lshl_b64 s[10:11], s[8:9], 3
	s_waitcnt lgkmcnt(0)
	s_add_u32 s0, s12, s10
	s_addc_u32 s1, s13, s11
	s_load_dwordx2 s[8:9], s[0:1], 0x0
	v_cmp_lt_i64_e64 s[0:1], s[16:17], 1
	s_lshl_b32 s12, s6, 5
	s_lshl_b32 s13, s7, 5
	s_and_b64 vcc, exec, s[0:1]
	s_cbranch_vccnz .LBB1467_3
; %bb.1:
	s_load_dwordx2 s[6:7], s[4:5], 0x18
	s_load_dwordx4 s[0:3], s[4:5], 0x28
	v_lshl_add_u32 v5, v1, 4, v0
	v_lshrrev_b32_e32 v7, 3, v5
	v_add_u32_e32 v2, s13, v7
	v_and_b32_e32 v6, 7, v0
	v_ashrrev_i32_e32 v3, 31, v2
	s_waitcnt lgkmcnt(0)
	v_mad_u64_u32 v[2:3], s[20:21], s2, v6, v[2:3]
	s_add_u32 s18, s18, s10
	s_addc_u32 s19, s19, s11
	v_mad_u64_u32 v[3:4], s[20:21], s3, v6, v[3:4]
	v_and_b32_e32 v4, 31, v5
	v_lshrrev_b32_e32 v8, 5, v5
	v_lshlrev_b32_e32 v5, 3, v4
	v_add_u32_e32 v4, s12, v4
	s_add_u32 s0, s0, s10
	v_lshl_or_b32 v14, v8, 8, v5
	v_ashrrev_i32_e32 v5, 31, v4
	s_addc_u32 s1, s1, s11
	v_mad_u64_u32 v[4:5], s[10:11], s6, v8, v[4:5]
	v_lshlrev_b32_e32 v6, 3, v6
	v_lshl_or_b32 v6, v7, 6, v6
	v_add_u32_e32 v15, 0x800, v6
	v_mad_u64_u32 v[5:6], s[10:11], s7, v8, v[5:6]
	s_load_dwordx2 s[18:19], s[18:19], 0x0
	v_mov_b32_e32 v6, 0x800
	s_load_dwordx2 s[0:1], s[0:1], 0x0
	v_lshlrev_b64 v[4:5], 3, v[4:5]
	v_lshl_add_u32 v17, v1, 6, v6
	s_waitcnt lgkmcnt(0)
	v_mov_b32_e32 v6, s19
	v_add_co_u32_e32 v4, vcc, s18, v4
	v_lshlrev_b64 v[2:3], 3, v[2:3]
	v_addc_co_u32_e32 v5, vcc, v6, v5, vcc
	v_mov_b32_e32 v7, s1
	v_add_co_u32_e32 v6, vcc, s0, v2
	s_lshl_b64 s[6:7], s[6:7], 6
	v_addc_co_u32_e32 v7, vcc, v7, v3, vcc
	s_lshl_b64 s[2:3], s[2:3], 6
	v_mov_b32_e32 v2, 0
	v_mov_b32_e32 v8, 0
	v_mov_b32_e32 v10, 0
	v_mov_b32_e32 v12, 0
	v_lshlrev_b32_e32 v16, 3, v0
	v_mov_b32_e32 v3, 0
	s_mov_b64 s[10:11], 0
	v_mov_b32_e32 v18, s7
	v_mov_b32_e32 v9, 0
	;; [unrolled: 1-line block ×5, first 2 shown]
.LBB1467_2:                             ; =>This Inner Loop Header: Depth=1
	flat_load_dwordx2 v[20:21], v[4:5]
	s_add_u32 s10, s10, 8
	v_add_co_u32_e32 v4, vcc, s6, v4
	s_addc_u32 s11, s11, 0
	v_addc_co_u32_e32 v5, vcc, v5, v18, vcc
	s_waitcnt vmcnt(0) lgkmcnt(0)
	ds_write_b64 v14, v[20:21]
	flat_load_dwordx2 v[20:21], v[6:7]
	v_add_co_u32_e64 v6, s[0:1], s2, v6
	v_addc_co_u32_e64 v7, s[0:1], v7, v19, s[0:1]
	s_waitcnt vmcnt(0) lgkmcnt(0)
	ds_write_b64 v15, v[20:21]
	s_waitcnt lgkmcnt(0)
	s_barrier
	ds_read2_b64 v[20:23], v16 offset1:16
	ds_read_b128 v[24:27], v17
	ds_read_b128 v[28:31], v17 offset:16
	s_waitcnt lgkmcnt(1)
	v_fma_f64 v[36:37], v[20:21], v[24:25], v[12:13]
	v_fma_f64 v[24:25], v[22:23], v[24:25], v[10:11]
	ds_read_b128 v[10:13], v17 offset:1024
	ds_read_b128 v[32:35], v17 offset:1040
	s_waitcnt lgkmcnt(1)
	v_fma_f64 v[20:21], v[20:21], v[10:11], v[8:9]
	v_fma_f64 v[2:3], v[22:23], v[10:11], v[2:3]
	ds_read2_b64 v[8:11], v16 offset0:32 offset1:48
	s_waitcnt lgkmcnt(0)
	v_fma_f64 v[22:23], v[8:9], v[26:27], v[36:37]
	v_fma_f64 v[24:25], v[10:11], v[26:27], v[24:25]
	v_fma_f64 v[20:21], v[8:9], v[12:13], v[20:21]
	v_fma_f64 v[2:3], v[10:11], v[12:13], v[2:3]
	ds_read2_b64 v[8:11], v16 offset0:64 offset1:80
	s_waitcnt lgkmcnt(0)
	v_fma_f64 v[12:13], v[8:9], v[28:29], v[22:23]
	v_fma_f64 v[22:23], v[10:11], v[28:29], v[24:25]
	;; [unrolled: 6-line block ×3, first 2 shown]
	ds_read2_b64 v[20:23], v16 offset0:128 offset1:144
	v_fma_f64 v[36:37], v[8:9], v[34:35], v[24:25]
	v_fma_f64 v[2:3], v[10:11], v[34:35], v[2:3]
	ds_read_b128 v[8:11], v17 offset:32
	ds_read_b128 v[24:27], v17 offset:48
	s_waitcnt lgkmcnt(1)
	v_fma_f64 v[12:13], v[20:21], v[8:9], v[12:13]
	v_fma_f64 v[8:9], v[22:23], v[8:9], v[28:29]
	ds_read_b128 v[28:31], v17 offset:1056
	ds_read_b128 v[32:35], v17 offset:1072
	s_waitcnt lgkmcnt(1)
	v_fma_f64 v[36:37], v[20:21], v[28:29], v[36:37]
	v_fma_f64 v[2:3], v[22:23], v[28:29], v[2:3]
	ds_read2_b64 v[20:23], v16 offset0:160 offset1:176
	s_waitcnt lgkmcnt(0)
	v_fma_f64 v[12:13], v[20:21], v[10:11], v[12:13]
	v_fma_f64 v[28:29], v[22:23], v[10:11], v[8:9]
	;; [unrolled: 1-line block ×4, first 2 shown]
	v_mov_b32_e32 v8, s10
	v_mov_b32_e32 v9, s11
	v_cmp_le_u64_e32 vcc, s[16:17], v[8:9]
	ds_read2_b64 v[8:11], v16 offset0:192 offset1:208
	s_and_b64 vcc, exec, vcc
	s_waitcnt lgkmcnt(0)
	v_fma_f64 v[12:13], v[8:9], v[24:25], v[12:13]
	v_fma_f64 v[24:25], v[10:11], v[24:25], v[28:29]
	;; [unrolled: 1-line block ×4, first 2 shown]
	ds_read2_b64 v[20:23], v16 offset0:224 offset1:240
	s_waitcnt lgkmcnt(0)
	s_barrier
	v_fma_f64 v[12:13], v[20:21], v[26:27], v[12:13]
	v_fma_f64 v[10:11], v[22:23], v[26:27], v[24:25]
	;; [unrolled: 1-line block ×4, first 2 shown]
	s_cbranch_vccz .LBB1467_2
	s_branch .LBB1467_4
.LBB1467_3:
	v_mov_b32_e32 v12, 0
	v_mov_b32_e32 v10, 0
	;; [unrolled: 1-line block ×8, first 2 shown]
.LBB1467_4:
	v_add_u32_e32 v6, s13, v1
	v_ashrrev_i32_e32 v1, 31, v6
	v_mul_lo_u32 v1, s14, v1
	v_mul_lo_u32 v7, s15, v6
	v_mad_u64_u32 v[4:5], s[0:1], s14, v6, 0
	s_load_dword s4, s[4:5], 0x0
	v_add_u32_e32 v0, s12, v0
	v_add3_u32 v5, v5, v1, v7
	v_lshlrev_b64 v[4:5], 3, v[4:5]
	s_waitcnt lgkmcnt(0)
	v_mov_b32_e32 v1, s9
	v_add_co_u32_e32 v7, vcc, s8, v4
	v_addc_co_u32_e32 v14, vcc, v1, v5, vcc
	v_cmp_le_i32_e64 s[0:1], v6, v0
	v_cmp_gt_i32_e32 vcc, s4, v0
	s_and_b64 s[0:1], s[0:1], vcc
	s_and_saveexec_b64 s[2:3], s[0:1]
	s_cbranch_execz .LBB1467_6
; %bb.5:
	v_ashrrev_i32_e32 v1, 31, v0
	v_lshlrev_b64 v[4:5], 3, v[0:1]
	v_add_co_u32_e64 v4, s[0:1], v7, v4
	v_addc_co_u32_e64 v5, s[0:1], v14, v5, s[0:1]
	flat_load_dwordx2 v[15:16], v[4:5]
	s_waitcnt vmcnt(0) lgkmcnt(0)
	v_add_f64 v[12:13], v[12:13], v[15:16]
	flat_store_dwordx2 v[4:5], v[12:13]
.LBB1467_6:
	s_or_b64 exec, exec, s[2:3]
	v_add_u32_e32 v4, 16, v0
	v_cmp_le_i32_e64 s[2:3], v6, v4
	v_cmp_gt_i32_e64 s[0:1], s4, v4
	s_and_b64 s[2:3], s[2:3], s[0:1]
	s_and_saveexec_b64 s[4:5], s[2:3]
	s_cbranch_execz .LBB1467_8
; %bb.7:
	v_ashrrev_i32_e32 v5, 31, v4
	v_lshlrev_b64 v[12:13], 3, v[4:5]
	v_add_co_u32_e64 v12, s[2:3], v7, v12
	v_addc_co_u32_e64 v13, s[2:3], v14, v13, s[2:3]
	flat_load_dwordx2 v[14:15], v[12:13]
	s_waitcnt vmcnt(0) lgkmcnt(0)
	v_add_f64 v[10:11], v[10:11], v[14:15]
	flat_store_dwordx2 v[12:13], v[10:11]
.LBB1467_8:
	s_or_b64 exec, exec, s[4:5]
	v_add_u32_e32 v5, 16, v6
	v_ashrrev_i32_e32 v1, 31, v5
	v_mul_lo_u32 v10, s15, v5
	v_mad_u64_u32 v[6:7], s[2:3], s14, v5, 0
	v_mul_lo_u32 v1, s14, v1
	v_add3_u32 v7, v7, v1, v10
	v_lshlrev_b64 v[6:7], 3, v[6:7]
	v_mov_b32_e32 v1, s9
	v_add_co_u32_e64 v6, s[2:3], s8, v6
	v_addc_co_u32_e64 v7, s[2:3], v1, v7, s[2:3]
	v_cmp_le_i32_e64 s[2:3], v5, v0
	s_and_b64 s[4:5], s[2:3], vcc
	s_and_saveexec_b64 s[2:3], s[4:5]
	s_cbranch_execz .LBB1467_10
; %bb.9:
	v_ashrrev_i32_e32 v1, 31, v0
	v_lshlrev_b64 v[0:1], 3, v[0:1]
	v_add_co_u32_e32 v0, vcc, v6, v0
	v_addc_co_u32_e32 v1, vcc, v7, v1, vcc
	flat_load_dwordx2 v[10:11], v[0:1]
	s_waitcnt vmcnt(0) lgkmcnt(0)
	v_add_f64 v[8:9], v[8:9], v[10:11]
	flat_store_dwordx2 v[0:1], v[8:9]
.LBB1467_10:
	s_or_b64 exec, exec, s[2:3]
	v_cmp_le_i32_e32 vcc, v5, v4
	s_and_b64 s[0:1], vcc, s[0:1]
	s_and_saveexec_b64 s[2:3], s[0:1]
	s_cbranch_execz .LBB1467_12
; %bb.11:
	v_ashrrev_i32_e32 v5, 31, v4
	v_lshlrev_b64 v[0:1], 3, v[4:5]
	v_add_co_u32_e32 v0, vcc, v6, v0
	v_addc_co_u32_e32 v1, vcc, v7, v1, vcc
	flat_load_dwordx2 v[4:5], v[0:1]
	s_waitcnt vmcnt(0) lgkmcnt(0)
	v_add_f64 v[2:3], v[2:3], v[4:5]
	flat_store_dwordx2 v[0:1], v[2:3]
.LBB1467_12:
	s_endpgm
	.section	.rodata,"a",@progbits
	.p2align	6, 0x0
	.amdhsa_kernel _ZL37rocblas_syrkx_herkx_restricted_kernelIldLi16ELi32ELi8ELi1ELi1ELb0ELc78ELc76EKPKdKPdEviT_PT9_S5_lS7_S5_lPT10_S5_li
		.amdhsa_group_segment_fixed_size 4096
		.amdhsa_private_segment_fixed_size 0
		.amdhsa_kernarg_size 92
		.amdhsa_user_sgpr_count 6
		.amdhsa_user_sgpr_private_segment_buffer 1
		.amdhsa_user_sgpr_dispatch_ptr 0
		.amdhsa_user_sgpr_queue_ptr 0
		.amdhsa_user_sgpr_kernarg_segment_ptr 1
		.amdhsa_user_sgpr_dispatch_id 0
		.amdhsa_user_sgpr_flat_scratch_init 0
		.amdhsa_user_sgpr_private_segment_size 0
		.amdhsa_uses_dynamic_stack 0
		.amdhsa_system_sgpr_private_segment_wavefront_offset 0
		.amdhsa_system_sgpr_workgroup_id_x 1
		.amdhsa_system_sgpr_workgroup_id_y 1
		.amdhsa_system_sgpr_workgroup_id_z 1
		.amdhsa_system_sgpr_workgroup_info 0
		.amdhsa_system_vgpr_workitem_id 1
		.amdhsa_next_free_vgpr 38
		.amdhsa_next_free_sgpr 22
		.amdhsa_reserve_vcc 1
		.amdhsa_reserve_flat_scratch 0
		.amdhsa_float_round_mode_32 0
		.amdhsa_float_round_mode_16_64 0
		.amdhsa_float_denorm_mode_32 3
		.amdhsa_float_denorm_mode_16_64 3
		.amdhsa_dx10_clamp 1
		.amdhsa_ieee_mode 1
		.amdhsa_fp16_overflow 0
		.amdhsa_exception_fp_ieee_invalid_op 0
		.amdhsa_exception_fp_denorm_src 0
		.amdhsa_exception_fp_ieee_div_zero 0
		.amdhsa_exception_fp_ieee_overflow 0
		.amdhsa_exception_fp_ieee_underflow 0
		.amdhsa_exception_fp_ieee_inexact 0
		.amdhsa_exception_int_div_zero 0
	.end_amdhsa_kernel
	.section	.text._ZL37rocblas_syrkx_herkx_restricted_kernelIldLi16ELi32ELi8ELi1ELi1ELb0ELc78ELc76EKPKdKPdEviT_PT9_S5_lS7_S5_lPT10_S5_li,"axG",@progbits,_ZL37rocblas_syrkx_herkx_restricted_kernelIldLi16ELi32ELi8ELi1ELi1ELb0ELc78ELc76EKPKdKPdEviT_PT9_S5_lS7_S5_lPT10_S5_li,comdat
.Lfunc_end1467:
	.size	_ZL37rocblas_syrkx_herkx_restricted_kernelIldLi16ELi32ELi8ELi1ELi1ELb0ELc78ELc76EKPKdKPdEviT_PT9_S5_lS7_S5_lPT10_S5_li, .Lfunc_end1467-_ZL37rocblas_syrkx_herkx_restricted_kernelIldLi16ELi32ELi8ELi1ELi1ELb0ELc78ELc76EKPKdKPdEviT_PT9_S5_lS7_S5_lPT10_S5_li
                                        ; -- End function
	.set _ZL37rocblas_syrkx_herkx_restricted_kernelIldLi16ELi32ELi8ELi1ELi1ELb0ELc78ELc76EKPKdKPdEviT_PT9_S5_lS7_S5_lPT10_S5_li.num_vgpr, 38
	.set _ZL37rocblas_syrkx_herkx_restricted_kernelIldLi16ELi32ELi8ELi1ELi1ELb0ELc78ELc76EKPKdKPdEviT_PT9_S5_lS7_S5_lPT10_S5_li.num_agpr, 0
	.set _ZL37rocblas_syrkx_herkx_restricted_kernelIldLi16ELi32ELi8ELi1ELi1ELb0ELc78ELc76EKPKdKPdEviT_PT9_S5_lS7_S5_lPT10_S5_li.numbered_sgpr, 22
	.set _ZL37rocblas_syrkx_herkx_restricted_kernelIldLi16ELi32ELi8ELi1ELi1ELb0ELc78ELc76EKPKdKPdEviT_PT9_S5_lS7_S5_lPT10_S5_li.num_named_barrier, 0
	.set _ZL37rocblas_syrkx_herkx_restricted_kernelIldLi16ELi32ELi8ELi1ELi1ELb0ELc78ELc76EKPKdKPdEviT_PT9_S5_lS7_S5_lPT10_S5_li.private_seg_size, 0
	.set _ZL37rocblas_syrkx_herkx_restricted_kernelIldLi16ELi32ELi8ELi1ELi1ELb0ELc78ELc76EKPKdKPdEviT_PT9_S5_lS7_S5_lPT10_S5_li.uses_vcc, 1
	.set _ZL37rocblas_syrkx_herkx_restricted_kernelIldLi16ELi32ELi8ELi1ELi1ELb0ELc78ELc76EKPKdKPdEviT_PT9_S5_lS7_S5_lPT10_S5_li.uses_flat_scratch, 0
	.set _ZL37rocblas_syrkx_herkx_restricted_kernelIldLi16ELi32ELi8ELi1ELi1ELb0ELc78ELc76EKPKdKPdEviT_PT9_S5_lS7_S5_lPT10_S5_li.has_dyn_sized_stack, 0
	.set _ZL37rocblas_syrkx_herkx_restricted_kernelIldLi16ELi32ELi8ELi1ELi1ELb0ELc78ELc76EKPKdKPdEviT_PT9_S5_lS7_S5_lPT10_S5_li.has_recursion, 0
	.set _ZL37rocblas_syrkx_herkx_restricted_kernelIldLi16ELi32ELi8ELi1ELi1ELb0ELc78ELc76EKPKdKPdEviT_PT9_S5_lS7_S5_lPT10_S5_li.has_indirect_call, 0
	.section	.AMDGPU.csdata,"",@progbits
; Kernel info:
; codeLenInByte = 1364
; TotalNumSgprs: 26
; NumVgprs: 38
; ScratchSize: 0
; MemoryBound: 0
; FloatMode: 240
; IeeeMode: 1
; LDSByteSize: 4096 bytes/workgroup (compile time only)
; SGPRBlocks: 3
; VGPRBlocks: 9
; NumSGPRsForWavesPerEU: 26
; NumVGPRsForWavesPerEU: 38
; Occupancy: 6
; WaveLimiterHint : 1
; COMPUTE_PGM_RSRC2:SCRATCH_EN: 0
; COMPUTE_PGM_RSRC2:USER_SGPR: 6
; COMPUTE_PGM_RSRC2:TRAP_HANDLER: 0
; COMPUTE_PGM_RSRC2:TGID_X_EN: 1
; COMPUTE_PGM_RSRC2:TGID_Y_EN: 1
; COMPUTE_PGM_RSRC2:TGID_Z_EN: 1
; COMPUTE_PGM_RSRC2:TIDIG_COMP_CNT: 1
	.section	.text._ZL37rocblas_syrkx_herkx_restricted_kernelIldLi16ELi32ELi8ELi1ELi1ELb0ELc84ELc85EKPKdKPdEviT_PT9_S5_lS7_S5_lPT10_S5_li,"axG",@progbits,_ZL37rocblas_syrkx_herkx_restricted_kernelIldLi16ELi32ELi8ELi1ELi1ELb0ELc84ELc85EKPKdKPdEviT_PT9_S5_lS7_S5_lPT10_S5_li,comdat
	.globl	_ZL37rocblas_syrkx_herkx_restricted_kernelIldLi16ELi32ELi8ELi1ELi1ELb0ELc84ELc85EKPKdKPdEviT_PT9_S5_lS7_S5_lPT10_S5_li ; -- Begin function _ZL37rocblas_syrkx_herkx_restricted_kernelIldLi16ELi32ELi8ELi1ELi1ELb0ELc84ELc85EKPKdKPdEviT_PT9_S5_lS7_S5_lPT10_S5_li
	.p2align	8
	.type	_ZL37rocblas_syrkx_herkx_restricted_kernelIldLi16ELi32ELi8ELi1ELi1ELb0ELc84ELc85EKPKdKPdEviT_PT9_S5_lS7_S5_lPT10_S5_li,@function
_ZL37rocblas_syrkx_herkx_restricted_kernelIldLi16ELi32ELi8ELi1ELi1ELb0ELc84ELc85EKPKdKPdEviT_PT9_S5_lS7_S5_lPT10_S5_li: ; @_ZL37rocblas_syrkx_herkx_restricted_kernelIldLi16ELi32ELi8ELi1ELi1ELb0ELc84ELc85EKPKdKPdEviT_PT9_S5_lS7_S5_lPT10_S5_li
; %bb.0:
	s_load_dwordx4 s[0:3], s[4:5], 0x40
	s_load_dwordx4 s[12:15], s[4:5], 0x8
	s_mov_b32 s9, 0
	s_lshl_b64 s[10:11], s[8:9], 3
	s_waitcnt lgkmcnt(0)
	s_add_u32 s0, s0, s10
	s_addc_u32 s1, s1, s11
	s_load_dwordx2 s[8:9], s[0:1], 0x0
	v_cmp_lt_i64_e64 s[0:1], s[12:13], 1
	s_lshl_b32 s16, s6, 5
	s_lshl_b32 s17, s7, 5
	s_and_b64 vcc, exec, s[0:1]
	s_cbranch_vccnz .LBB1468_3
; %bb.1:
	s_load_dwordx2 s[0:1], s[4:5], 0x18
	s_load_dwordx4 s[20:23], s[4:5], 0x28
	v_lshl_add_u32 v4, v1, 4, v0
	v_lshrrev_b32_e32 v8, 3, v4
	v_add_u32_e32 v5, s17, v8
	s_add_u32 s6, s14, s10
	v_ashrrev_i32_e32 v6, 31, v5
	v_and_b32_e32 v2, 7, v0
	v_mov_b32_e32 v3, 0
	s_addc_u32 s7, s15, s11
	s_waitcnt lgkmcnt(0)
	v_mul_lo_u32 v9, s22, v6
	v_mul_lo_u32 v10, s23, v5
	v_mad_u64_u32 v[6:7], s[14:15], s22, v5, v[2:3]
	v_lshlrev_b32_e32 v2, 3, v2
	v_lshl_or_b32 v2, v8, 6, v2
	v_add3_u32 v7, v10, v7, v9
	v_and_b32_e32 v9, 31, v4
	v_add_u32_e32 v8, s16, v9
	v_lshrrev_b32_e32 v4, 5, v4
	v_mov_b32_e32 v5, v3
	v_lshlrev_b32_e32 v3, 3, v9
	v_add_u32_e32 v15, 0x800, v2
	v_ashrrev_i32_e32 v2, 31, v8
	v_lshl_or_b32 v14, v4, 8, v3
	v_mul_lo_u32 v9, s0, v2
	v_mad_u64_u32 v[2:3], s[14:15], s0, v8, v[4:5]
	v_mul_lo_u32 v4, s1, v8
	s_load_dwordx2 s[6:7], s[6:7], 0x0
	s_add_u32 s10, s20, s10
	s_addc_u32 s11, s21, s11
	v_add3_u32 v3, v4, v3, v9
	s_load_dwordx2 s[10:11], s[10:11], 0x0
	v_lshlrev_b64 v[2:3], 3, v[2:3]
	v_mov_b32_e32 v5, 0x800
	v_lshl_add_u32 v17, v1, 6, v5
	s_waitcnt lgkmcnt(0)
	v_mov_b32_e32 v5, s7
	v_add_co_u32_e32 v4, vcc, s6, v2
	v_addc_co_u32_e32 v5, vcc, v5, v3, vcc
	v_lshlrev_b64 v[2:3], 3, v[6:7]
	v_mov_b32_e32 v7, s11
	v_add_co_u32_e32 v6, vcc, s10, v2
	v_addc_co_u32_e32 v7, vcc, v7, v3, vcc
	v_mov_b32_e32 v2, 0
	v_mov_b32_e32 v8, 0
	;; [unrolled: 1-line block ×4, first 2 shown]
	v_lshlrev_b32_e32 v16, 3, v0
	v_mov_b32_e32 v3, 0
	v_mov_b32_e32 v9, 0
	;; [unrolled: 1-line block ×4, first 2 shown]
	s_mov_b64 s[6:7], 0
.LBB1468_2:                             ; =>This Inner Loop Header: Depth=1
	flat_load_dwordx2 v[18:19], v[4:5]
	s_add_u32 s6, s6, 8
	s_addc_u32 s7, s7, 0
	v_add_co_u32_e64 v4, s[0:1], 64, v4
	v_addc_co_u32_e64 v5, s[0:1], 0, v5, s[0:1]
	s_waitcnt vmcnt(0) lgkmcnt(0)
	ds_write_b64 v14, v[18:19]
	flat_load_dwordx2 v[18:19], v[6:7]
	v_add_co_u32_e64 v6, s[0:1], 64, v6
	v_addc_co_u32_e64 v7, s[0:1], 0, v7, s[0:1]
	s_waitcnt vmcnt(0) lgkmcnt(0)
	ds_write_b64 v15, v[18:19]
	s_waitcnt lgkmcnt(0)
	s_barrier
	ds_read2_b64 v[18:21], v16 offset1:16
	ds_read_b128 v[22:25], v17
	ds_read_b128 v[26:29], v17 offset:1024
	ds_read_b128 v[30:33], v17 offset:16
	s_waitcnt lgkmcnt(2)
	v_fma_f64 v[34:35], v[18:19], v[22:23], v[12:13]
	v_fma_f64 v[22:23], v[20:21], v[22:23], v[10:11]
	s_waitcnt lgkmcnt(1)
	v_fma_f64 v[8:9], v[18:19], v[26:27], v[8:9]
	v_fma_f64 v[2:3], v[20:21], v[26:27], v[2:3]
	ds_read2_b64 v[18:21], v16 offset0:32 offset1:48
	ds_read_b128 v[10:13], v17 offset:1040
	s_waitcnt lgkmcnt(1)
	v_fma_f64 v[26:27], v[18:19], v[24:25], v[34:35]
	v_fma_f64 v[34:35], v[20:21], v[24:25], v[22:23]
	;; [unrolled: 1-line block ×4, first 2 shown]
	ds_read2_b64 v[18:21], v16 offset0:64 offset1:80
	ds_read2_b64 v[22:25], v16 offset0:96 offset1:112
	s_waitcnt lgkmcnt(1)
	v_fma_f64 v[26:27], v[18:19], v[30:31], v[26:27]
	v_fma_f64 v[28:29], v[20:21], v[30:31], v[34:35]
	;; [unrolled: 1-line block ×4, first 2 shown]
	ds_read2_b64 v[8:11], v16 offset0:128 offset1:144
	ds_read_b128 v[18:21], v17 offset:32
	s_waitcnt lgkmcnt(2)
	v_fma_f64 v[34:35], v[22:23], v[32:33], v[26:27]
	v_fma_f64 v[32:33], v[24:25], v[32:33], v[28:29]
	;; [unrolled: 1-line block ×4, first 2 shown]
	ds_read_b128 v[22:25], v17 offset:1056
	ds_read_b128 v[26:29], v17 offset:48
	s_waitcnt lgkmcnt(2)
	v_fma_f64 v[12:13], v[8:9], v[18:19], v[34:35]
	v_fma_f64 v[18:19], v[10:11], v[18:19], v[32:33]
	s_waitcnt lgkmcnt(1)
	v_fma_f64 v[34:35], v[8:9], v[22:23], v[36:37]
	v_fma_f64 v[2:3], v[10:11], v[22:23], v[2:3]
	ds_read2_b64 v[8:11], v16 offset0:160 offset1:176
	ds_read_b128 v[30:33], v17 offset:1072
	s_waitcnt lgkmcnt(1)
	v_fma_f64 v[12:13], v[8:9], v[20:21], v[12:13]
	v_fma_f64 v[18:19], v[10:11], v[20:21], v[18:19]
	v_mov_b32_e32 v21, s7
	v_mov_b32_e32 v20, s6
	v_cmp_le_u64_e32 vcc, s[12:13], v[20:21]
	v_fma_f64 v[20:21], v[8:9], v[24:25], v[34:35]
	v_fma_f64 v[2:3], v[10:11], v[24:25], v[2:3]
	ds_read2_b64 v[8:11], v16 offset0:192 offset1:208
	s_and_b64 vcc, exec, vcc
	s_waitcnt lgkmcnt(0)
	v_fma_f64 v[12:13], v[8:9], v[26:27], v[12:13]
	v_fma_f64 v[22:23], v[10:11], v[26:27], v[18:19]
	;; [unrolled: 1-line block ×4, first 2 shown]
	ds_read2_b64 v[18:21], v16 offset0:224 offset1:240
	s_waitcnt lgkmcnt(0)
	s_barrier
	v_fma_f64 v[12:13], v[18:19], v[28:29], v[12:13]
	v_fma_f64 v[10:11], v[20:21], v[28:29], v[22:23]
	;; [unrolled: 1-line block ×4, first 2 shown]
	s_cbranch_vccz .LBB1468_2
	s_branch .LBB1468_4
.LBB1468_3:
	v_mov_b32_e32 v12, 0
	v_mov_b32_e32 v10, 0
	;; [unrolled: 1-line block ×8, first 2 shown]
.LBB1468_4:
	v_add_u32_e32 v6, s17, v1
	v_ashrrev_i32_e32 v1, 31, v6
	v_mul_lo_u32 v1, s2, v1
	v_mul_lo_u32 v7, s3, v6
	v_mad_u64_u32 v[4:5], s[0:1], s2, v6, 0
	s_load_dword s6, s[4:5], 0x0
	v_add_u32_e32 v0, s16, v0
	v_add3_u32 v5, v5, v1, v7
	v_lshlrev_b64 v[4:5], 3, v[4:5]
	s_waitcnt lgkmcnt(0)
	v_mov_b32_e32 v1, s9
	v_add_co_u32_e64 v7, s[0:1], s8, v4
	v_addc_co_u32_e64 v14, s[0:1], v1, v5, s[0:1]
	v_cmp_gt_i32_e32 vcc, s6, v6
	v_cmp_le_i32_e64 s[0:1], v0, v6
	s_and_b64 s[0:1], vcc, s[0:1]
	s_and_saveexec_b64 s[4:5], s[0:1]
	s_cbranch_execz .LBB1468_6
; %bb.5:
	v_ashrrev_i32_e32 v1, 31, v0
	v_lshlrev_b64 v[4:5], 3, v[0:1]
	v_add_co_u32_e64 v4, s[0:1], v7, v4
	v_addc_co_u32_e64 v5, s[0:1], v14, v5, s[0:1]
	flat_load_dwordx2 v[15:16], v[4:5]
	s_waitcnt vmcnt(0) lgkmcnt(0)
	v_add_f64 v[12:13], v[12:13], v[15:16]
	flat_store_dwordx2 v[4:5], v[12:13]
.LBB1468_6:
	s_or_b64 exec, exec, s[4:5]
	v_add_u32_e32 v4, 16, v0
	v_cmp_le_i32_e64 s[0:1], v4, v6
	s_and_b64 s[4:5], vcc, s[0:1]
	s_and_saveexec_b64 s[0:1], s[4:5]
	s_cbranch_execz .LBB1468_8
; %bb.7:
	v_ashrrev_i32_e32 v5, 31, v4
	v_lshlrev_b64 v[12:13], 3, v[4:5]
	v_add_co_u32_e32 v12, vcc, v7, v12
	v_addc_co_u32_e32 v13, vcc, v14, v13, vcc
	flat_load_dwordx2 v[14:15], v[12:13]
	s_waitcnt vmcnt(0) lgkmcnt(0)
	v_add_f64 v[10:11], v[10:11], v[14:15]
	flat_store_dwordx2 v[12:13], v[10:11]
.LBB1468_8:
	s_or_b64 exec, exec, s[0:1]
	v_add_u32_e32 v5, 16, v6
	v_ashrrev_i32_e32 v1, 31, v5
	v_mul_lo_u32 v1, s2, v1
	v_mul_lo_u32 v10, s3, v5
	v_mad_u64_u32 v[6:7], s[0:1], s2, v5, 0
	v_cmp_gt_i32_e32 vcc, s6, v5
	v_add3_u32 v7, v7, v1, v10
	v_lshlrev_b64 v[6:7], 3, v[6:7]
	v_mov_b32_e32 v1, s9
	v_add_co_u32_e64 v6, s[0:1], s8, v6
	v_addc_co_u32_e64 v7, s[0:1], v1, v7, s[0:1]
	v_cmp_le_i32_e64 s[0:1], v0, v5
	s_and_b64 s[0:1], vcc, s[0:1]
	s_and_saveexec_b64 s[2:3], s[0:1]
	s_cbranch_execz .LBB1468_10
; %bb.9:
	v_ashrrev_i32_e32 v1, 31, v0
	v_lshlrev_b64 v[0:1], 3, v[0:1]
	v_add_co_u32_e64 v0, s[0:1], v6, v0
	v_addc_co_u32_e64 v1, s[0:1], v7, v1, s[0:1]
	flat_load_dwordx2 v[10:11], v[0:1]
	s_waitcnt vmcnt(0) lgkmcnt(0)
	v_add_f64 v[8:9], v[8:9], v[10:11]
	flat_store_dwordx2 v[0:1], v[8:9]
.LBB1468_10:
	s_or_b64 exec, exec, s[2:3]
	v_cmp_le_i32_e64 s[0:1], v4, v5
	s_and_b64 s[0:1], vcc, s[0:1]
	s_and_saveexec_b64 s[2:3], s[0:1]
	s_cbranch_execz .LBB1468_12
; %bb.11:
	v_ashrrev_i32_e32 v5, 31, v4
	v_lshlrev_b64 v[0:1], 3, v[4:5]
	v_add_co_u32_e32 v0, vcc, v6, v0
	v_addc_co_u32_e32 v1, vcc, v7, v1, vcc
	flat_load_dwordx2 v[4:5], v[0:1]
	s_waitcnt vmcnt(0) lgkmcnt(0)
	v_add_f64 v[2:3], v[2:3], v[4:5]
	flat_store_dwordx2 v[0:1], v[2:3]
.LBB1468_12:
	s_endpgm
	.section	.rodata,"a",@progbits
	.p2align	6, 0x0
	.amdhsa_kernel _ZL37rocblas_syrkx_herkx_restricted_kernelIldLi16ELi32ELi8ELi1ELi1ELb0ELc84ELc85EKPKdKPdEviT_PT9_S5_lS7_S5_lPT10_S5_li
		.amdhsa_group_segment_fixed_size 4096
		.amdhsa_private_segment_fixed_size 0
		.amdhsa_kernarg_size 92
		.amdhsa_user_sgpr_count 6
		.amdhsa_user_sgpr_private_segment_buffer 1
		.amdhsa_user_sgpr_dispatch_ptr 0
		.amdhsa_user_sgpr_queue_ptr 0
		.amdhsa_user_sgpr_kernarg_segment_ptr 1
		.amdhsa_user_sgpr_dispatch_id 0
		.amdhsa_user_sgpr_flat_scratch_init 0
		.amdhsa_user_sgpr_private_segment_size 0
		.amdhsa_uses_dynamic_stack 0
		.amdhsa_system_sgpr_private_segment_wavefront_offset 0
		.amdhsa_system_sgpr_workgroup_id_x 1
		.amdhsa_system_sgpr_workgroup_id_y 1
		.amdhsa_system_sgpr_workgroup_id_z 1
		.amdhsa_system_sgpr_workgroup_info 0
		.amdhsa_system_vgpr_workitem_id 1
		.amdhsa_next_free_vgpr 38
		.amdhsa_next_free_sgpr 24
		.amdhsa_reserve_vcc 1
		.amdhsa_reserve_flat_scratch 0
		.amdhsa_float_round_mode_32 0
		.amdhsa_float_round_mode_16_64 0
		.amdhsa_float_denorm_mode_32 3
		.amdhsa_float_denorm_mode_16_64 3
		.amdhsa_dx10_clamp 1
		.amdhsa_ieee_mode 1
		.amdhsa_fp16_overflow 0
		.amdhsa_exception_fp_ieee_invalid_op 0
		.amdhsa_exception_fp_denorm_src 0
		.amdhsa_exception_fp_ieee_div_zero 0
		.amdhsa_exception_fp_ieee_overflow 0
		.amdhsa_exception_fp_ieee_underflow 0
		.amdhsa_exception_fp_ieee_inexact 0
		.amdhsa_exception_int_div_zero 0
	.end_amdhsa_kernel
	.section	.text._ZL37rocblas_syrkx_herkx_restricted_kernelIldLi16ELi32ELi8ELi1ELi1ELb0ELc84ELc85EKPKdKPdEviT_PT9_S5_lS7_S5_lPT10_S5_li,"axG",@progbits,_ZL37rocblas_syrkx_herkx_restricted_kernelIldLi16ELi32ELi8ELi1ELi1ELb0ELc84ELc85EKPKdKPdEviT_PT9_S5_lS7_S5_lPT10_S5_li,comdat
.Lfunc_end1468:
	.size	_ZL37rocblas_syrkx_herkx_restricted_kernelIldLi16ELi32ELi8ELi1ELi1ELb0ELc84ELc85EKPKdKPdEviT_PT9_S5_lS7_S5_lPT10_S5_li, .Lfunc_end1468-_ZL37rocblas_syrkx_herkx_restricted_kernelIldLi16ELi32ELi8ELi1ELi1ELb0ELc84ELc85EKPKdKPdEviT_PT9_S5_lS7_S5_lPT10_S5_li
                                        ; -- End function
	.set _ZL37rocblas_syrkx_herkx_restricted_kernelIldLi16ELi32ELi8ELi1ELi1ELb0ELc84ELc85EKPKdKPdEviT_PT9_S5_lS7_S5_lPT10_S5_li.num_vgpr, 38
	.set _ZL37rocblas_syrkx_herkx_restricted_kernelIldLi16ELi32ELi8ELi1ELi1ELb0ELc84ELc85EKPKdKPdEviT_PT9_S5_lS7_S5_lPT10_S5_li.num_agpr, 0
	.set _ZL37rocblas_syrkx_herkx_restricted_kernelIldLi16ELi32ELi8ELi1ELi1ELb0ELc84ELc85EKPKdKPdEviT_PT9_S5_lS7_S5_lPT10_S5_li.numbered_sgpr, 24
	.set _ZL37rocblas_syrkx_herkx_restricted_kernelIldLi16ELi32ELi8ELi1ELi1ELb0ELc84ELc85EKPKdKPdEviT_PT9_S5_lS7_S5_lPT10_S5_li.num_named_barrier, 0
	.set _ZL37rocblas_syrkx_herkx_restricted_kernelIldLi16ELi32ELi8ELi1ELi1ELb0ELc84ELc85EKPKdKPdEviT_PT9_S5_lS7_S5_lPT10_S5_li.private_seg_size, 0
	.set _ZL37rocblas_syrkx_herkx_restricted_kernelIldLi16ELi32ELi8ELi1ELi1ELb0ELc84ELc85EKPKdKPdEviT_PT9_S5_lS7_S5_lPT10_S5_li.uses_vcc, 1
	.set _ZL37rocblas_syrkx_herkx_restricted_kernelIldLi16ELi32ELi8ELi1ELi1ELb0ELc84ELc85EKPKdKPdEviT_PT9_S5_lS7_S5_lPT10_S5_li.uses_flat_scratch, 0
	.set _ZL37rocblas_syrkx_herkx_restricted_kernelIldLi16ELi32ELi8ELi1ELi1ELb0ELc84ELc85EKPKdKPdEviT_PT9_S5_lS7_S5_lPT10_S5_li.has_dyn_sized_stack, 0
	.set _ZL37rocblas_syrkx_herkx_restricted_kernelIldLi16ELi32ELi8ELi1ELi1ELb0ELc84ELc85EKPKdKPdEviT_PT9_S5_lS7_S5_lPT10_S5_li.has_recursion, 0
	.set _ZL37rocblas_syrkx_herkx_restricted_kernelIldLi16ELi32ELi8ELi1ELi1ELb0ELc84ELc85EKPKdKPdEviT_PT9_S5_lS7_S5_lPT10_S5_li.has_indirect_call, 0
	.section	.AMDGPU.csdata,"",@progbits
; Kernel info:
; codeLenInByte = 1404
; TotalNumSgprs: 28
; NumVgprs: 38
; ScratchSize: 0
; MemoryBound: 0
; FloatMode: 240
; IeeeMode: 1
; LDSByteSize: 4096 bytes/workgroup (compile time only)
; SGPRBlocks: 3
; VGPRBlocks: 9
; NumSGPRsForWavesPerEU: 28
; NumVGPRsForWavesPerEU: 38
; Occupancy: 6
; WaveLimiterHint : 1
; COMPUTE_PGM_RSRC2:SCRATCH_EN: 0
; COMPUTE_PGM_RSRC2:USER_SGPR: 6
; COMPUTE_PGM_RSRC2:TRAP_HANDLER: 0
; COMPUTE_PGM_RSRC2:TGID_X_EN: 1
; COMPUTE_PGM_RSRC2:TGID_Y_EN: 1
; COMPUTE_PGM_RSRC2:TGID_Z_EN: 1
; COMPUTE_PGM_RSRC2:TIDIG_COMP_CNT: 1
	.section	.text._ZL37rocblas_syrkx_herkx_restricted_kernelIldLi16ELi32ELi8ELi1ELi1ELb0ELc67ELc85EKPKdKPdEviT_PT9_S5_lS7_S5_lPT10_S5_li,"axG",@progbits,_ZL37rocblas_syrkx_herkx_restricted_kernelIldLi16ELi32ELi8ELi1ELi1ELb0ELc67ELc85EKPKdKPdEviT_PT9_S5_lS7_S5_lPT10_S5_li,comdat
	.globl	_ZL37rocblas_syrkx_herkx_restricted_kernelIldLi16ELi32ELi8ELi1ELi1ELb0ELc67ELc85EKPKdKPdEviT_PT9_S5_lS7_S5_lPT10_S5_li ; -- Begin function _ZL37rocblas_syrkx_herkx_restricted_kernelIldLi16ELi32ELi8ELi1ELi1ELb0ELc67ELc85EKPKdKPdEviT_PT9_S5_lS7_S5_lPT10_S5_li
	.p2align	8
	.type	_ZL37rocblas_syrkx_herkx_restricted_kernelIldLi16ELi32ELi8ELi1ELi1ELb0ELc67ELc85EKPKdKPdEviT_PT9_S5_lS7_S5_lPT10_S5_li,@function
_ZL37rocblas_syrkx_herkx_restricted_kernelIldLi16ELi32ELi8ELi1ELi1ELb0ELc67ELc85EKPKdKPdEviT_PT9_S5_lS7_S5_lPT10_S5_li: ; @_ZL37rocblas_syrkx_herkx_restricted_kernelIldLi16ELi32ELi8ELi1ELi1ELb0ELc67ELc85EKPKdKPdEviT_PT9_S5_lS7_S5_lPT10_S5_li
; %bb.0:
	s_load_dwordx4 s[0:3], s[4:5], 0x40
	s_load_dwordx4 s[12:15], s[4:5], 0x8
	s_mov_b32 s9, 0
	s_lshl_b64 s[10:11], s[8:9], 3
	s_waitcnt lgkmcnt(0)
	s_add_u32 s0, s0, s10
	s_addc_u32 s1, s1, s11
	s_load_dwordx2 s[8:9], s[0:1], 0x0
	v_cmp_lt_i64_e64 s[0:1], s[12:13], 1
	s_lshl_b32 s16, s6, 5
	s_lshl_b32 s17, s7, 5
	s_and_b64 vcc, exec, s[0:1]
	s_cbranch_vccnz .LBB1469_3
; %bb.1:
	s_load_dwordx2 s[0:1], s[4:5], 0x18
	s_load_dwordx4 s[20:23], s[4:5], 0x28
	v_lshl_add_u32 v4, v1, 4, v0
	v_lshrrev_b32_e32 v8, 3, v4
	v_add_u32_e32 v5, s17, v8
	s_add_u32 s6, s14, s10
	v_ashrrev_i32_e32 v6, 31, v5
	v_and_b32_e32 v2, 7, v0
	v_mov_b32_e32 v3, 0
	s_addc_u32 s7, s15, s11
	s_waitcnt lgkmcnt(0)
	v_mul_lo_u32 v9, s22, v6
	v_mul_lo_u32 v10, s23, v5
	v_mad_u64_u32 v[6:7], s[14:15], s22, v5, v[2:3]
	v_lshlrev_b32_e32 v2, 3, v2
	v_lshl_or_b32 v2, v8, 6, v2
	v_add3_u32 v7, v10, v7, v9
	v_and_b32_e32 v9, 31, v4
	v_add_u32_e32 v8, s16, v9
	v_lshrrev_b32_e32 v4, 5, v4
	v_mov_b32_e32 v5, v3
	v_lshlrev_b32_e32 v3, 3, v9
	v_add_u32_e32 v15, 0x800, v2
	v_ashrrev_i32_e32 v2, 31, v8
	v_lshl_or_b32 v14, v4, 8, v3
	v_mul_lo_u32 v9, s0, v2
	v_mad_u64_u32 v[2:3], s[14:15], s0, v8, v[4:5]
	v_mul_lo_u32 v4, s1, v8
	s_load_dwordx2 s[6:7], s[6:7], 0x0
	s_add_u32 s10, s20, s10
	s_addc_u32 s11, s21, s11
	v_add3_u32 v3, v4, v3, v9
	s_load_dwordx2 s[10:11], s[10:11], 0x0
	v_lshlrev_b64 v[2:3], 3, v[2:3]
	v_mov_b32_e32 v5, 0x800
	v_lshl_add_u32 v17, v1, 6, v5
	s_waitcnt lgkmcnt(0)
	v_mov_b32_e32 v5, s7
	v_add_co_u32_e32 v4, vcc, s6, v2
	v_addc_co_u32_e32 v5, vcc, v5, v3, vcc
	v_lshlrev_b64 v[2:3], 3, v[6:7]
	v_mov_b32_e32 v7, s11
	v_add_co_u32_e32 v6, vcc, s10, v2
	v_addc_co_u32_e32 v7, vcc, v7, v3, vcc
	v_mov_b32_e32 v2, 0
	v_mov_b32_e32 v8, 0
	;; [unrolled: 1-line block ×4, first 2 shown]
	v_lshlrev_b32_e32 v16, 3, v0
	v_mov_b32_e32 v3, 0
	v_mov_b32_e32 v9, 0
	;; [unrolled: 1-line block ×4, first 2 shown]
	s_mov_b64 s[6:7], 0
.LBB1469_2:                             ; =>This Inner Loop Header: Depth=1
	flat_load_dwordx2 v[18:19], v[4:5]
	s_add_u32 s6, s6, 8
	s_addc_u32 s7, s7, 0
	v_add_co_u32_e64 v4, s[0:1], 64, v4
	v_addc_co_u32_e64 v5, s[0:1], 0, v5, s[0:1]
	s_waitcnt vmcnt(0) lgkmcnt(0)
	ds_write_b64 v14, v[18:19]
	flat_load_dwordx2 v[18:19], v[6:7]
	v_add_co_u32_e64 v6, s[0:1], 64, v6
	v_addc_co_u32_e64 v7, s[0:1], 0, v7, s[0:1]
	s_waitcnt vmcnt(0) lgkmcnt(0)
	ds_write_b64 v15, v[18:19]
	s_waitcnt lgkmcnt(0)
	s_barrier
	ds_read2_b64 v[18:21], v16 offset1:16
	ds_read_b128 v[22:25], v17
	ds_read_b128 v[26:29], v17 offset:1024
	ds_read_b128 v[30:33], v17 offset:16
	s_waitcnt lgkmcnt(2)
	v_fma_f64 v[34:35], v[18:19], v[22:23], v[12:13]
	v_fma_f64 v[22:23], v[20:21], v[22:23], v[10:11]
	s_waitcnt lgkmcnt(1)
	v_fma_f64 v[8:9], v[18:19], v[26:27], v[8:9]
	v_fma_f64 v[2:3], v[20:21], v[26:27], v[2:3]
	ds_read2_b64 v[18:21], v16 offset0:32 offset1:48
	ds_read_b128 v[10:13], v17 offset:1040
	s_waitcnt lgkmcnt(1)
	v_fma_f64 v[26:27], v[18:19], v[24:25], v[34:35]
	v_fma_f64 v[34:35], v[20:21], v[24:25], v[22:23]
	;; [unrolled: 1-line block ×4, first 2 shown]
	ds_read2_b64 v[18:21], v16 offset0:64 offset1:80
	ds_read2_b64 v[22:25], v16 offset0:96 offset1:112
	s_waitcnt lgkmcnt(1)
	v_fma_f64 v[26:27], v[18:19], v[30:31], v[26:27]
	v_fma_f64 v[28:29], v[20:21], v[30:31], v[34:35]
	;; [unrolled: 1-line block ×4, first 2 shown]
	ds_read2_b64 v[8:11], v16 offset0:128 offset1:144
	ds_read_b128 v[18:21], v17 offset:32
	s_waitcnt lgkmcnt(2)
	v_fma_f64 v[34:35], v[22:23], v[32:33], v[26:27]
	v_fma_f64 v[32:33], v[24:25], v[32:33], v[28:29]
	;; [unrolled: 1-line block ×4, first 2 shown]
	ds_read_b128 v[22:25], v17 offset:1056
	ds_read_b128 v[26:29], v17 offset:48
	s_waitcnt lgkmcnt(2)
	v_fma_f64 v[12:13], v[8:9], v[18:19], v[34:35]
	v_fma_f64 v[18:19], v[10:11], v[18:19], v[32:33]
	s_waitcnt lgkmcnt(1)
	v_fma_f64 v[34:35], v[8:9], v[22:23], v[36:37]
	v_fma_f64 v[2:3], v[10:11], v[22:23], v[2:3]
	ds_read2_b64 v[8:11], v16 offset0:160 offset1:176
	ds_read_b128 v[30:33], v17 offset:1072
	s_waitcnt lgkmcnt(1)
	v_fma_f64 v[12:13], v[8:9], v[20:21], v[12:13]
	v_fma_f64 v[18:19], v[10:11], v[20:21], v[18:19]
	v_mov_b32_e32 v21, s7
	v_mov_b32_e32 v20, s6
	v_cmp_le_u64_e32 vcc, s[12:13], v[20:21]
	v_fma_f64 v[20:21], v[8:9], v[24:25], v[34:35]
	v_fma_f64 v[2:3], v[10:11], v[24:25], v[2:3]
	ds_read2_b64 v[8:11], v16 offset0:192 offset1:208
	s_and_b64 vcc, exec, vcc
	s_waitcnt lgkmcnt(0)
	v_fma_f64 v[12:13], v[8:9], v[26:27], v[12:13]
	v_fma_f64 v[22:23], v[10:11], v[26:27], v[18:19]
	;; [unrolled: 1-line block ×4, first 2 shown]
	ds_read2_b64 v[18:21], v16 offset0:224 offset1:240
	s_waitcnt lgkmcnt(0)
	s_barrier
	v_fma_f64 v[12:13], v[18:19], v[28:29], v[12:13]
	v_fma_f64 v[10:11], v[20:21], v[28:29], v[22:23]
	;; [unrolled: 1-line block ×4, first 2 shown]
	s_cbranch_vccz .LBB1469_2
	s_branch .LBB1469_4
.LBB1469_3:
	v_mov_b32_e32 v12, 0
	v_mov_b32_e32 v10, 0
	;; [unrolled: 1-line block ×8, first 2 shown]
.LBB1469_4:
	v_add_u32_e32 v6, s17, v1
	v_ashrrev_i32_e32 v1, 31, v6
	v_mul_lo_u32 v1, s2, v1
	v_mul_lo_u32 v7, s3, v6
	v_mad_u64_u32 v[4:5], s[0:1], s2, v6, 0
	s_load_dword s6, s[4:5], 0x0
	v_add_u32_e32 v0, s16, v0
	v_add3_u32 v5, v5, v1, v7
	v_lshlrev_b64 v[4:5], 3, v[4:5]
	s_waitcnt lgkmcnt(0)
	v_mov_b32_e32 v1, s9
	v_add_co_u32_e64 v7, s[0:1], s8, v4
	v_addc_co_u32_e64 v14, s[0:1], v1, v5, s[0:1]
	v_cmp_gt_i32_e32 vcc, s6, v6
	v_cmp_le_i32_e64 s[0:1], v0, v6
	s_and_b64 s[0:1], vcc, s[0:1]
	s_and_saveexec_b64 s[4:5], s[0:1]
	s_cbranch_execz .LBB1469_6
; %bb.5:
	v_ashrrev_i32_e32 v1, 31, v0
	v_lshlrev_b64 v[4:5], 3, v[0:1]
	v_add_co_u32_e64 v4, s[0:1], v7, v4
	v_addc_co_u32_e64 v5, s[0:1], v14, v5, s[0:1]
	flat_load_dwordx2 v[15:16], v[4:5]
	s_waitcnt vmcnt(0) lgkmcnt(0)
	v_add_f64 v[12:13], v[12:13], v[15:16]
	flat_store_dwordx2 v[4:5], v[12:13]
.LBB1469_6:
	s_or_b64 exec, exec, s[4:5]
	v_add_u32_e32 v4, 16, v0
	v_cmp_le_i32_e64 s[0:1], v4, v6
	s_and_b64 s[4:5], vcc, s[0:1]
	s_and_saveexec_b64 s[0:1], s[4:5]
	s_cbranch_execz .LBB1469_8
; %bb.7:
	v_ashrrev_i32_e32 v5, 31, v4
	v_lshlrev_b64 v[12:13], 3, v[4:5]
	v_add_co_u32_e32 v12, vcc, v7, v12
	v_addc_co_u32_e32 v13, vcc, v14, v13, vcc
	flat_load_dwordx2 v[14:15], v[12:13]
	s_waitcnt vmcnt(0) lgkmcnt(0)
	v_add_f64 v[10:11], v[10:11], v[14:15]
	flat_store_dwordx2 v[12:13], v[10:11]
.LBB1469_8:
	s_or_b64 exec, exec, s[0:1]
	v_add_u32_e32 v5, 16, v6
	v_ashrrev_i32_e32 v1, 31, v5
	v_mul_lo_u32 v1, s2, v1
	v_mul_lo_u32 v10, s3, v5
	v_mad_u64_u32 v[6:7], s[0:1], s2, v5, 0
	v_cmp_gt_i32_e32 vcc, s6, v5
	v_add3_u32 v7, v7, v1, v10
	v_lshlrev_b64 v[6:7], 3, v[6:7]
	v_mov_b32_e32 v1, s9
	v_add_co_u32_e64 v6, s[0:1], s8, v6
	v_addc_co_u32_e64 v7, s[0:1], v1, v7, s[0:1]
	v_cmp_le_i32_e64 s[0:1], v0, v5
	s_and_b64 s[0:1], vcc, s[0:1]
	s_and_saveexec_b64 s[2:3], s[0:1]
	s_cbranch_execz .LBB1469_10
; %bb.9:
	v_ashrrev_i32_e32 v1, 31, v0
	v_lshlrev_b64 v[0:1], 3, v[0:1]
	v_add_co_u32_e64 v0, s[0:1], v6, v0
	v_addc_co_u32_e64 v1, s[0:1], v7, v1, s[0:1]
	flat_load_dwordx2 v[10:11], v[0:1]
	s_waitcnt vmcnt(0) lgkmcnt(0)
	v_add_f64 v[8:9], v[8:9], v[10:11]
	flat_store_dwordx2 v[0:1], v[8:9]
.LBB1469_10:
	s_or_b64 exec, exec, s[2:3]
	v_cmp_le_i32_e64 s[0:1], v4, v5
	s_and_b64 s[0:1], vcc, s[0:1]
	s_and_saveexec_b64 s[2:3], s[0:1]
	s_cbranch_execz .LBB1469_12
; %bb.11:
	v_ashrrev_i32_e32 v5, 31, v4
	v_lshlrev_b64 v[0:1], 3, v[4:5]
	v_add_co_u32_e32 v0, vcc, v6, v0
	v_addc_co_u32_e32 v1, vcc, v7, v1, vcc
	flat_load_dwordx2 v[4:5], v[0:1]
	s_waitcnt vmcnt(0) lgkmcnt(0)
	v_add_f64 v[2:3], v[2:3], v[4:5]
	flat_store_dwordx2 v[0:1], v[2:3]
.LBB1469_12:
	s_endpgm
	.section	.rodata,"a",@progbits
	.p2align	6, 0x0
	.amdhsa_kernel _ZL37rocblas_syrkx_herkx_restricted_kernelIldLi16ELi32ELi8ELi1ELi1ELb0ELc67ELc85EKPKdKPdEviT_PT9_S5_lS7_S5_lPT10_S5_li
		.amdhsa_group_segment_fixed_size 4096
		.amdhsa_private_segment_fixed_size 0
		.amdhsa_kernarg_size 92
		.amdhsa_user_sgpr_count 6
		.amdhsa_user_sgpr_private_segment_buffer 1
		.amdhsa_user_sgpr_dispatch_ptr 0
		.amdhsa_user_sgpr_queue_ptr 0
		.amdhsa_user_sgpr_kernarg_segment_ptr 1
		.amdhsa_user_sgpr_dispatch_id 0
		.amdhsa_user_sgpr_flat_scratch_init 0
		.amdhsa_user_sgpr_private_segment_size 0
		.amdhsa_uses_dynamic_stack 0
		.amdhsa_system_sgpr_private_segment_wavefront_offset 0
		.amdhsa_system_sgpr_workgroup_id_x 1
		.amdhsa_system_sgpr_workgroup_id_y 1
		.amdhsa_system_sgpr_workgroup_id_z 1
		.amdhsa_system_sgpr_workgroup_info 0
		.amdhsa_system_vgpr_workitem_id 1
		.amdhsa_next_free_vgpr 38
		.amdhsa_next_free_sgpr 24
		.amdhsa_reserve_vcc 1
		.amdhsa_reserve_flat_scratch 0
		.amdhsa_float_round_mode_32 0
		.amdhsa_float_round_mode_16_64 0
		.amdhsa_float_denorm_mode_32 3
		.amdhsa_float_denorm_mode_16_64 3
		.amdhsa_dx10_clamp 1
		.amdhsa_ieee_mode 1
		.amdhsa_fp16_overflow 0
		.amdhsa_exception_fp_ieee_invalid_op 0
		.amdhsa_exception_fp_denorm_src 0
		.amdhsa_exception_fp_ieee_div_zero 0
		.amdhsa_exception_fp_ieee_overflow 0
		.amdhsa_exception_fp_ieee_underflow 0
		.amdhsa_exception_fp_ieee_inexact 0
		.amdhsa_exception_int_div_zero 0
	.end_amdhsa_kernel
	.section	.text._ZL37rocblas_syrkx_herkx_restricted_kernelIldLi16ELi32ELi8ELi1ELi1ELb0ELc67ELc85EKPKdKPdEviT_PT9_S5_lS7_S5_lPT10_S5_li,"axG",@progbits,_ZL37rocblas_syrkx_herkx_restricted_kernelIldLi16ELi32ELi8ELi1ELi1ELb0ELc67ELc85EKPKdKPdEviT_PT9_S5_lS7_S5_lPT10_S5_li,comdat
.Lfunc_end1469:
	.size	_ZL37rocblas_syrkx_herkx_restricted_kernelIldLi16ELi32ELi8ELi1ELi1ELb0ELc67ELc85EKPKdKPdEviT_PT9_S5_lS7_S5_lPT10_S5_li, .Lfunc_end1469-_ZL37rocblas_syrkx_herkx_restricted_kernelIldLi16ELi32ELi8ELi1ELi1ELb0ELc67ELc85EKPKdKPdEviT_PT9_S5_lS7_S5_lPT10_S5_li
                                        ; -- End function
	.set _ZL37rocblas_syrkx_herkx_restricted_kernelIldLi16ELi32ELi8ELi1ELi1ELb0ELc67ELc85EKPKdKPdEviT_PT9_S5_lS7_S5_lPT10_S5_li.num_vgpr, 38
	.set _ZL37rocblas_syrkx_herkx_restricted_kernelIldLi16ELi32ELi8ELi1ELi1ELb0ELc67ELc85EKPKdKPdEviT_PT9_S5_lS7_S5_lPT10_S5_li.num_agpr, 0
	.set _ZL37rocblas_syrkx_herkx_restricted_kernelIldLi16ELi32ELi8ELi1ELi1ELb0ELc67ELc85EKPKdKPdEviT_PT9_S5_lS7_S5_lPT10_S5_li.numbered_sgpr, 24
	.set _ZL37rocblas_syrkx_herkx_restricted_kernelIldLi16ELi32ELi8ELi1ELi1ELb0ELc67ELc85EKPKdKPdEviT_PT9_S5_lS7_S5_lPT10_S5_li.num_named_barrier, 0
	.set _ZL37rocblas_syrkx_herkx_restricted_kernelIldLi16ELi32ELi8ELi1ELi1ELb0ELc67ELc85EKPKdKPdEviT_PT9_S5_lS7_S5_lPT10_S5_li.private_seg_size, 0
	.set _ZL37rocblas_syrkx_herkx_restricted_kernelIldLi16ELi32ELi8ELi1ELi1ELb0ELc67ELc85EKPKdKPdEviT_PT9_S5_lS7_S5_lPT10_S5_li.uses_vcc, 1
	.set _ZL37rocblas_syrkx_herkx_restricted_kernelIldLi16ELi32ELi8ELi1ELi1ELb0ELc67ELc85EKPKdKPdEviT_PT9_S5_lS7_S5_lPT10_S5_li.uses_flat_scratch, 0
	.set _ZL37rocblas_syrkx_herkx_restricted_kernelIldLi16ELi32ELi8ELi1ELi1ELb0ELc67ELc85EKPKdKPdEviT_PT9_S5_lS7_S5_lPT10_S5_li.has_dyn_sized_stack, 0
	.set _ZL37rocblas_syrkx_herkx_restricted_kernelIldLi16ELi32ELi8ELi1ELi1ELb0ELc67ELc85EKPKdKPdEviT_PT9_S5_lS7_S5_lPT10_S5_li.has_recursion, 0
	.set _ZL37rocblas_syrkx_herkx_restricted_kernelIldLi16ELi32ELi8ELi1ELi1ELb0ELc67ELc85EKPKdKPdEviT_PT9_S5_lS7_S5_lPT10_S5_li.has_indirect_call, 0
	.section	.AMDGPU.csdata,"",@progbits
; Kernel info:
; codeLenInByte = 1404
; TotalNumSgprs: 28
; NumVgprs: 38
; ScratchSize: 0
; MemoryBound: 0
; FloatMode: 240
; IeeeMode: 1
; LDSByteSize: 4096 bytes/workgroup (compile time only)
; SGPRBlocks: 3
; VGPRBlocks: 9
; NumSGPRsForWavesPerEU: 28
; NumVGPRsForWavesPerEU: 38
; Occupancy: 6
; WaveLimiterHint : 1
; COMPUTE_PGM_RSRC2:SCRATCH_EN: 0
; COMPUTE_PGM_RSRC2:USER_SGPR: 6
; COMPUTE_PGM_RSRC2:TRAP_HANDLER: 0
; COMPUTE_PGM_RSRC2:TGID_X_EN: 1
; COMPUTE_PGM_RSRC2:TGID_Y_EN: 1
; COMPUTE_PGM_RSRC2:TGID_Z_EN: 1
; COMPUTE_PGM_RSRC2:TIDIG_COMP_CNT: 1
	.section	.text._ZL37rocblas_syrkx_herkx_restricted_kernelIldLi16ELi32ELi8ELi1ELi1ELb0ELc78ELc85EKPKdKPdEviT_PT9_S5_lS7_S5_lPT10_S5_li,"axG",@progbits,_ZL37rocblas_syrkx_herkx_restricted_kernelIldLi16ELi32ELi8ELi1ELi1ELb0ELc78ELc85EKPKdKPdEviT_PT9_S5_lS7_S5_lPT10_S5_li,comdat
	.globl	_ZL37rocblas_syrkx_herkx_restricted_kernelIldLi16ELi32ELi8ELi1ELi1ELb0ELc78ELc85EKPKdKPdEviT_PT9_S5_lS7_S5_lPT10_S5_li ; -- Begin function _ZL37rocblas_syrkx_herkx_restricted_kernelIldLi16ELi32ELi8ELi1ELi1ELb0ELc78ELc85EKPKdKPdEviT_PT9_S5_lS7_S5_lPT10_S5_li
	.p2align	8
	.type	_ZL37rocblas_syrkx_herkx_restricted_kernelIldLi16ELi32ELi8ELi1ELi1ELb0ELc78ELc85EKPKdKPdEviT_PT9_S5_lS7_S5_lPT10_S5_li,@function
_ZL37rocblas_syrkx_herkx_restricted_kernelIldLi16ELi32ELi8ELi1ELi1ELb0ELc78ELc85EKPKdKPdEviT_PT9_S5_lS7_S5_lPT10_S5_li: ; @_ZL37rocblas_syrkx_herkx_restricted_kernelIldLi16ELi32ELi8ELi1ELi1ELb0ELc78ELc85EKPKdKPdEviT_PT9_S5_lS7_S5_lPT10_S5_li
; %bb.0:
	s_load_dwordx4 s[0:3], s[4:5], 0x40
	s_load_dwordx4 s[12:15], s[4:5], 0x8
	s_mov_b32 s9, 0
	s_lshl_b64 s[18:19], s[8:9], 3
	s_waitcnt lgkmcnt(0)
	s_add_u32 s0, s0, s18
	s_addc_u32 s1, s1, s19
	s_load_dwordx2 s[16:17], s[0:1], 0x0
	v_cmp_lt_i64_e64 s[0:1], s[12:13], 1
	s_lshl_b32 s20, s6, 5
	s_lshl_b32 s21, s7, 5
	s_and_b64 vcc, exec, s[0:1]
	s_cbranch_vccnz .LBB1470_3
; %bb.1:
	s_load_dwordx2 s[0:1], s[4:5], 0x18
	s_load_dwordx4 s[8:11], s[4:5], 0x28
	v_lshl_add_u32 v5, v1, 4, v0
	v_lshrrev_b32_e32 v7, 3, v5
	v_add_u32_e32 v2, s21, v7
	v_and_b32_e32 v6, 7, v0
	v_ashrrev_i32_e32 v3, 31, v2
	s_waitcnt lgkmcnt(0)
	v_mad_u64_u32 v[2:3], s[6:7], s10, v6, v[2:3]
	s_add_u32 s6, s14, s18
	s_addc_u32 s7, s15, s19
	v_mad_u64_u32 v[3:4], s[14:15], s11, v6, v[3:4]
	v_and_b32_e32 v4, 31, v5
	v_lshrrev_b32_e32 v8, 5, v5
	v_lshlrev_b32_e32 v5, 3, v4
	v_add_u32_e32 v4, s20, v4
	v_lshl_or_b32 v14, v8, 8, v5
	v_ashrrev_i32_e32 v5, 31, v4
	v_mad_u64_u32 v[4:5], s[14:15], s0, v8, v[4:5]
	v_lshlrev_b32_e32 v6, 3, v6
	v_lshl_or_b32 v6, v7, 6, v6
	v_add_u32_e32 v15, 0x800, v6
	v_mad_u64_u32 v[5:6], s[14:15], s1, v8, v[5:6]
	s_load_dwordx2 s[6:7], s[6:7], 0x0
	s_add_u32 s8, s8, s18
	s_addc_u32 s9, s9, s19
	s_load_dwordx2 s[8:9], s[8:9], 0x0
	v_lshlrev_b64 v[4:5], 3, v[4:5]
	v_mov_b32_e32 v6, 0x800
	v_lshl_add_u32 v17, v1, 6, v6
	s_waitcnt lgkmcnt(0)
	v_mov_b32_e32 v6, s7
	v_add_co_u32_e32 v4, vcc, s6, v4
	v_lshlrev_b64 v[2:3], 3, v[2:3]
	v_addc_co_u32_e32 v5, vcc, v6, v5, vcc
	v_mov_b32_e32 v7, s9
	v_add_co_u32_e32 v6, vcc, s8, v2
	s_lshl_b64 s[6:7], s[0:1], 6
	v_addc_co_u32_e32 v7, vcc, v7, v3, vcc
	s_lshl_b64 s[8:9], s[10:11], 6
	v_mov_b32_e32 v2, 0
	v_mov_b32_e32 v8, 0
	;; [unrolled: 1-line block ×4, first 2 shown]
	v_lshlrev_b32_e32 v16, 3, v0
	v_mov_b32_e32 v3, 0
	s_mov_b64 s[10:11], 0
	v_mov_b32_e32 v18, s7
	v_mov_b32_e32 v9, 0
	;; [unrolled: 1-line block ×5, first 2 shown]
.LBB1470_2:                             ; =>This Inner Loop Header: Depth=1
	flat_load_dwordx2 v[20:21], v[4:5]
	s_add_u32 s10, s10, 8
	v_add_co_u32_e32 v4, vcc, s6, v4
	s_addc_u32 s11, s11, 0
	v_addc_co_u32_e32 v5, vcc, v5, v18, vcc
	s_waitcnt vmcnt(0) lgkmcnt(0)
	ds_write_b64 v14, v[20:21]
	flat_load_dwordx2 v[20:21], v[6:7]
	v_add_co_u32_e64 v6, s[0:1], s8, v6
	v_addc_co_u32_e64 v7, s[0:1], v7, v19, s[0:1]
	s_waitcnt vmcnt(0) lgkmcnt(0)
	ds_write_b64 v15, v[20:21]
	s_waitcnt lgkmcnt(0)
	s_barrier
	ds_read2_b64 v[20:23], v16 offset1:16
	ds_read_b128 v[24:27], v17
	ds_read_b128 v[28:31], v17 offset:16
	s_waitcnt lgkmcnt(1)
	v_fma_f64 v[36:37], v[20:21], v[24:25], v[12:13]
	v_fma_f64 v[24:25], v[22:23], v[24:25], v[10:11]
	ds_read_b128 v[10:13], v17 offset:1024
	ds_read_b128 v[32:35], v17 offset:1040
	s_waitcnt lgkmcnt(1)
	v_fma_f64 v[20:21], v[20:21], v[10:11], v[8:9]
	v_fma_f64 v[2:3], v[22:23], v[10:11], v[2:3]
	ds_read2_b64 v[8:11], v16 offset0:32 offset1:48
	s_waitcnt lgkmcnt(0)
	v_fma_f64 v[22:23], v[8:9], v[26:27], v[36:37]
	v_fma_f64 v[24:25], v[10:11], v[26:27], v[24:25]
	v_fma_f64 v[20:21], v[8:9], v[12:13], v[20:21]
	v_fma_f64 v[2:3], v[10:11], v[12:13], v[2:3]
	ds_read2_b64 v[8:11], v16 offset0:64 offset1:80
	s_waitcnt lgkmcnt(0)
	v_fma_f64 v[12:13], v[8:9], v[28:29], v[22:23]
	v_fma_f64 v[22:23], v[10:11], v[28:29], v[24:25]
	;; [unrolled: 6-line block ×3, first 2 shown]
	ds_read2_b64 v[20:23], v16 offset0:128 offset1:144
	v_fma_f64 v[36:37], v[8:9], v[34:35], v[24:25]
	v_fma_f64 v[2:3], v[10:11], v[34:35], v[2:3]
	ds_read_b128 v[8:11], v17 offset:32
	ds_read_b128 v[24:27], v17 offset:48
	s_waitcnt lgkmcnt(1)
	v_fma_f64 v[12:13], v[20:21], v[8:9], v[12:13]
	v_fma_f64 v[8:9], v[22:23], v[8:9], v[28:29]
	ds_read_b128 v[28:31], v17 offset:1056
	ds_read_b128 v[32:35], v17 offset:1072
	s_waitcnt lgkmcnt(1)
	v_fma_f64 v[36:37], v[20:21], v[28:29], v[36:37]
	v_fma_f64 v[2:3], v[22:23], v[28:29], v[2:3]
	ds_read2_b64 v[20:23], v16 offset0:160 offset1:176
	s_waitcnt lgkmcnt(0)
	v_fma_f64 v[12:13], v[20:21], v[10:11], v[12:13]
	v_fma_f64 v[28:29], v[22:23], v[10:11], v[8:9]
	v_fma_f64 v[20:21], v[20:21], v[30:31], v[36:37]
	v_fma_f64 v[2:3], v[22:23], v[30:31], v[2:3]
	v_mov_b32_e32 v8, s10
	v_mov_b32_e32 v9, s11
	v_cmp_le_u64_e32 vcc, s[12:13], v[8:9]
	ds_read2_b64 v[8:11], v16 offset0:192 offset1:208
	s_and_b64 vcc, exec, vcc
	s_waitcnt lgkmcnt(0)
	v_fma_f64 v[12:13], v[8:9], v[24:25], v[12:13]
	v_fma_f64 v[24:25], v[10:11], v[24:25], v[28:29]
	;; [unrolled: 1-line block ×4, first 2 shown]
	ds_read2_b64 v[20:23], v16 offset0:224 offset1:240
	s_waitcnt lgkmcnt(0)
	s_barrier
	v_fma_f64 v[12:13], v[20:21], v[26:27], v[12:13]
	v_fma_f64 v[10:11], v[22:23], v[26:27], v[24:25]
	;; [unrolled: 1-line block ×4, first 2 shown]
	s_cbranch_vccz .LBB1470_2
	s_branch .LBB1470_4
.LBB1470_3:
	v_mov_b32_e32 v12, 0
	v_mov_b32_e32 v10, 0
	;; [unrolled: 1-line block ×8, first 2 shown]
.LBB1470_4:
	v_add_u32_e32 v6, s21, v1
	v_ashrrev_i32_e32 v1, 31, v6
	v_mul_lo_u32 v1, s2, v1
	v_mul_lo_u32 v7, s3, v6
	v_mad_u64_u32 v[4:5], s[0:1], s2, v6, 0
	s_load_dword s6, s[4:5], 0x0
	v_add_u32_e32 v0, s20, v0
	v_add3_u32 v5, v5, v1, v7
	v_lshlrev_b64 v[4:5], 3, v[4:5]
	s_waitcnt lgkmcnt(0)
	v_mov_b32_e32 v1, s17
	v_add_co_u32_e64 v7, s[0:1], s16, v4
	v_addc_co_u32_e64 v14, s[0:1], v1, v5, s[0:1]
	v_cmp_gt_i32_e32 vcc, s6, v6
	v_cmp_le_i32_e64 s[0:1], v0, v6
	s_and_b64 s[0:1], vcc, s[0:1]
	s_and_saveexec_b64 s[4:5], s[0:1]
	s_cbranch_execz .LBB1470_6
; %bb.5:
	v_ashrrev_i32_e32 v1, 31, v0
	v_lshlrev_b64 v[4:5], 3, v[0:1]
	v_add_co_u32_e64 v4, s[0:1], v7, v4
	v_addc_co_u32_e64 v5, s[0:1], v14, v5, s[0:1]
	flat_load_dwordx2 v[15:16], v[4:5]
	s_waitcnt vmcnt(0) lgkmcnt(0)
	v_add_f64 v[12:13], v[12:13], v[15:16]
	flat_store_dwordx2 v[4:5], v[12:13]
.LBB1470_6:
	s_or_b64 exec, exec, s[4:5]
	v_add_u32_e32 v4, 16, v0
	v_cmp_le_i32_e64 s[0:1], v4, v6
	s_and_b64 s[4:5], vcc, s[0:1]
	s_and_saveexec_b64 s[0:1], s[4:5]
	s_cbranch_execz .LBB1470_8
; %bb.7:
	v_ashrrev_i32_e32 v5, 31, v4
	v_lshlrev_b64 v[12:13], 3, v[4:5]
	v_add_co_u32_e32 v12, vcc, v7, v12
	v_addc_co_u32_e32 v13, vcc, v14, v13, vcc
	flat_load_dwordx2 v[14:15], v[12:13]
	s_waitcnt vmcnt(0) lgkmcnt(0)
	v_add_f64 v[10:11], v[10:11], v[14:15]
	flat_store_dwordx2 v[12:13], v[10:11]
.LBB1470_8:
	s_or_b64 exec, exec, s[0:1]
	v_add_u32_e32 v5, 16, v6
	v_ashrrev_i32_e32 v1, 31, v5
	v_mul_lo_u32 v1, s2, v1
	v_mul_lo_u32 v10, s3, v5
	v_mad_u64_u32 v[6:7], s[0:1], s2, v5, 0
	v_cmp_gt_i32_e32 vcc, s6, v5
	v_add3_u32 v7, v7, v1, v10
	v_lshlrev_b64 v[6:7], 3, v[6:7]
	v_mov_b32_e32 v1, s17
	v_add_co_u32_e64 v6, s[0:1], s16, v6
	v_addc_co_u32_e64 v7, s[0:1], v1, v7, s[0:1]
	v_cmp_le_i32_e64 s[0:1], v0, v5
	s_and_b64 s[0:1], vcc, s[0:1]
	s_and_saveexec_b64 s[2:3], s[0:1]
	s_cbranch_execz .LBB1470_10
; %bb.9:
	v_ashrrev_i32_e32 v1, 31, v0
	v_lshlrev_b64 v[0:1], 3, v[0:1]
	v_add_co_u32_e64 v0, s[0:1], v6, v0
	v_addc_co_u32_e64 v1, s[0:1], v7, v1, s[0:1]
	flat_load_dwordx2 v[10:11], v[0:1]
	s_waitcnt vmcnt(0) lgkmcnt(0)
	v_add_f64 v[8:9], v[8:9], v[10:11]
	flat_store_dwordx2 v[0:1], v[8:9]
.LBB1470_10:
	s_or_b64 exec, exec, s[2:3]
	v_cmp_le_i32_e64 s[0:1], v4, v5
	s_and_b64 s[0:1], vcc, s[0:1]
	s_and_saveexec_b64 s[2:3], s[0:1]
	s_cbranch_execz .LBB1470_12
; %bb.11:
	v_ashrrev_i32_e32 v5, 31, v4
	v_lshlrev_b64 v[0:1], 3, v[4:5]
	v_add_co_u32_e32 v0, vcc, v6, v0
	v_addc_co_u32_e32 v1, vcc, v7, v1, vcc
	flat_load_dwordx2 v[4:5], v[0:1]
	s_waitcnt vmcnt(0) lgkmcnt(0)
	v_add_f64 v[2:3], v[2:3], v[4:5]
	flat_store_dwordx2 v[0:1], v[2:3]
.LBB1470_12:
	s_endpgm
	.section	.rodata,"a",@progbits
	.p2align	6, 0x0
	.amdhsa_kernel _ZL37rocblas_syrkx_herkx_restricted_kernelIldLi16ELi32ELi8ELi1ELi1ELb0ELc78ELc85EKPKdKPdEviT_PT9_S5_lS7_S5_lPT10_S5_li
		.amdhsa_group_segment_fixed_size 4096
		.amdhsa_private_segment_fixed_size 0
		.amdhsa_kernarg_size 92
		.amdhsa_user_sgpr_count 6
		.amdhsa_user_sgpr_private_segment_buffer 1
		.amdhsa_user_sgpr_dispatch_ptr 0
		.amdhsa_user_sgpr_queue_ptr 0
		.amdhsa_user_sgpr_kernarg_segment_ptr 1
		.amdhsa_user_sgpr_dispatch_id 0
		.amdhsa_user_sgpr_flat_scratch_init 0
		.amdhsa_user_sgpr_private_segment_size 0
		.amdhsa_uses_dynamic_stack 0
		.amdhsa_system_sgpr_private_segment_wavefront_offset 0
		.amdhsa_system_sgpr_workgroup_id_x 1
		.amdhsa_system_sgpr_workgroup_id_y 1
		.amdhsa_system_sgpr_workgroup_id_z 1
		.amdhsa_system_sgpr_workgroup_info 0
		.amdhsa_system_vgpr_workitem_id 1
		.amdhsa_next_free_vgpr 38
		.amdhsa_next_free_sgpr 22
		.amdhsa_reserve_vcc 1
		.amdhsa_reserve_flat_scratch 0
		.amdhsa_float_round_mode_32 0
		.amdhsa_float_round_mode_16_64 0
		.amdhsa_float_denorm_mode_32 3
		.amdhsa_float_denorm_mode_16_64 3
		.amdhsa_dx10_clamp 1
		.amdhsa_ieee_mode 1
		.amdhsa_fp16_overflow 0
		.amdhsa_exception_fp_ieee_invalid_op 0
		.amdhsa_exception_fp_denorm_src 0
		.amdhsa_exception_fp_ieee_div_zero 0
		.amdhsa_exception_fp_ieee_overflow 0
		.amdhsa_exception_fp_ieee_underflow 0
		.amdhsa_exception_fp_ieee_inexact 0
		.amdhsa_exception_int_div_zero 0
	.end_amdhsa_kernel
	.section	.text._ZL37rocblas_syrkx_herkx_restricted_kernelIldLi16ELi32ELi8ELi1ELi1ELb0ELc78ELc85EKPKdKPdEviT_PT9_S5_lS7_S5_lPT10_S5_li,"axG",@progbits,_ZL37rocblas_syrkx_herkx_restricted_kernelIldLi16ELi32ELi8ELi1ELi1ELb0ELc78ELc85EKPKdKPdEviT_PT9_S5_lS7_S5_lPT10_S5_li,comdat
.Lfunc_end1470:
	.size	_ZL37rocblas_syrkx_herkx_restricted_kernelIldLi16ELi32ELi8ELi1ELi1ELb0ELc78ELc85EKPKdKPdEviT_PT9_S5_lS7_S5_lPT10_S5_li, .Lfunc_end1470-_ZL37rocblas_syrkx_herkx_restricted_kernelIldLi16ELi32ELi8ELi1ELi1ELb0ELc78ELc85EKPKdKPdEviT_PT9_S5_lS7_S5_lPT10_S5_li
                                        ; -- End function
	.set _ZL37rocblas_syrkx_herkx_restricted_kernelIldLi16ELi32ELi8ELi1ELi1ELb0ELc78ELc85EKPKdKPdEviT_PT9_S5_lS7_S5_lPT10_S5_li.num_vgpr, 38
	.set _ZL37rocblas_syrkx_herkx_restricted_kernelIldLi16ELi32ELi8ELi1ELi1ELb0ELc78ELc85EKPKdKPdEviT_PT9_S5_lS7_S5_lPT10_S5_li.num_agpr, 0
	.set _ZL37rocblas_syrkx_herkx_restricted_kernelIldLi16ELi32ELi8ELi1ELi1ELb0ELc78ELc85EKPKdKPdEviT_PT9_S5_lS7_S5_lPT10_S5_li.numbered_sgpr, 22
	.set _ZL37rocblas_syrkx_herkx_restricted_kernelIldLi16ELi32ELi8ELi1ELi1ELb0ELc78ELc85EKPKdKPdEviT_PT9_S5_lS7_S5_lPT10_S5_li.num_named_barrier, 0
	.set _ZL37rocblas_syrkx_herkx_restricted_kernelIldLi16ELi32ELi8ELi1ELi1ELb0ELc78ELc85EKPKdKPdEviT_PT9_S5_lS7_S5_lPT10_S5_li.private_seg_size, 0
	.set _ZL37rocblas_syrkx_herkx_restricted_kernelIldLi16ELi32ELi8ELi1ELi1ELb0ELc78ELc85EKPKdKPdEviT_PT9_S5_lS7_S5_lPT10_S5_li.uses_vcc, 1
	.set _ZL37rocblas_syrkx_herkx_restricted_kernelIldLi16ELi32ELi8ELi1ELi1ELb0ELc78ELc85EKPKdKPdEviT_PT9_S5_lS7_S5_lPT10_S5_li.uses_flat_scratch, 0
	.set _ZL37rocblas_syrkx_herkx_restricted_kernelIldLi16ELi32ELi8ELi1ELi1ELb0ELc78ELc85EKPKdKPdEviT_PT9_S5_lS7_S5_lPT10_S5_li.has_dyn_sized_stack, 0
	.set _ZL37rocblas_syrkx_herkx_restricted_kernelIldLi16ELi32ELi8ELi1ELi1ELb0ELc78ELc85EKPKdKPdEviT_PT9_S5_lS7_S5_lPT10_S5_li.has_recursion, 0
	.set _ZL37rocblas_syrkx_herkx_restricted_kernelIldLi16ELi32ELi8ELi1ELi1ELb0ELc78ELc85EKPKdKPdEviT_PT9_S5_lS7_S5_lPT10_S5_li.has_indirect_call, 0
	.section	.AMDGPU.csdata,"",@progbits
; Kernel info:
; codeLenInByte = 1372
; TotalNumSgprs: 26
; NumVgprs: 38
; ScratchSize: 0
; MemoryBound: 0
; FloatMode: 240
; IeeeMode: 1
; LDSByteSize: 4096 bytes/workgroup (compile time only)
; SGPRBlocks: 3
; VGPRBlocks: 9
; NumSGPRsForWavesPerEU: 26
; NumVGPRsForWavesPerEU: 38
; Occupancy: 6
; WaveLimiterHint : 1
; COMPUTE_PGM_RSRC2:SCRATCH_EN: 0
; COMPUTE_PGM_RSRC2:USER_SGPR: 6
; COMPUTE_PGM_RSRC2:TRAP_HANDLER: 0
; COMPUTE_PGM_RSRC2:TGID_X_EN: 1
; COMPUTE_PGM_RSRC2:TGID_Y_EN: 1
; COMPUTE_PGM_RSRC2:TGID_Z_EN: 1
; COMPUTE_PGM_RSRC2:TIDIG_COMP_CNT: 1
	.section	.text._ZL37rocblas_syrkx_herkx_restricted_kernelIldLi16ELi32ELi8ELi1ELin1ELb0ELc84ELc76EKPKdKPdEviT_PT9_S5_lS7_S5_lPT10_S5_li,"axG",@progbits,_ZL37rocblas_syrkx_herkx_restricted_kernelIldLi16ELi32ELi8ELi1ELin1ELb0ELc84ELc76EKPKdKPdEviT_PT9_S5_lS7_S5_lPT10_S5_li,comdat
	.globl	_ZL37rocblas_syrkx_herkx_restricted_kernelIldLi16ELi32ELi8ELi1ELin1ELb0ELc84ELc76EKPKdKPdEviT_PT9_S5_lS7_S5_lPT10_S5_li ; -- Begin function _ZL37rocblas_syrkx_herkx_restricted_kernelIldLi16ELi32ELi8ELi1ELin1ELb0ELc84ELc76EKPKdKPdEviT_PT9_S5_lS7_S5_lPT10_S5_li
	.p2align	8
	.type	_ZL37rocblas_syrkx_herkx_restricted_kernelIldLi16ELi32ELi8ELi1ELin1ELb0ELc84ELc76EKPKdKPdEviT_PT9_S5_lS7_S5_lPT10_S5_li,@function
_ZL37rocblas_syrkx_herkx_restricted_kernelIldLi16ELi32ELi8ELi1ELin1ELb0ELc84ELc76EKPKdKPdEviT_PT9_S5_lS7_S5_lPT10_S5_li: ; @_ZL37rocblas_syrkx_herkx_restricted_kernelIldLi16ELi32ELi8ELi1ELin1ELb0ELc84ELc76EKPKdKPdEviT_PT9_S5_lS7_S5_lPT10_S5_li
; %bb.0:
	s_load_dwordx4 s[12:15], s[4:5], 0x40
	s_load_dwordx4 s[16:19], s[4:5], 0x8
	s_mov_b32 s9, 0
	s_lshl_b64 s[0:1], s[8:9], 3
	s_waitcnt lgkmcnt(0)
	s_add_u32 s2, s12, s0
	s_addc_u32 s3, s13, s1
	s_load_dwordx2 s[8:9], s[2:3], 0x0
	v_cmp_lt_i64_e64 s[2:3], s[16:17], 1
	s_lshl_b32 s6, s6, 5
	s_lshl_b32 s7, s7, 5
	s_and_b64 vcc, exec, s[2:3]
	s_cbranch_vccnz .LBB1471_3
; %bb.1:
	s_load_dwordx2 s[2:3], s[4:5], 0x18
	s_load_dwordx4 s[20:23], s[4:5], 0x28
	v_lshl_add_u32 v4, v1, 4, v0
	v_lshrrev_b32_e32 v8, 3, v4
	v_add_u32_e32 v5, s7, v8
	v_ashrrev_i32_e32 v6, 31, v5
	v_and_b32_e32 v2, 7, v0
	v_mov_b32_e32 v3, 0
	s_waitcnt lgkmcnt(0)
	v_mul_lo_u32 v9, s22, v6
	v_mul_lo_u32 v10, s23, v5
	v_mad_u64_u32 v[6:7], s[12:13], s22, v5, v[2:3]
	v_lshlrev_b32_e32 v2, 3, v2
	v_lshl_or_b32 v2, v8, 6, v2
	v_add3_u32 v7, v10, v7, v9
	v_and_b32_e32 v9, 31, v4
	v_add_u32_e32 v8, s6, v9
	v_lshrrev_b32_e32 v4, 5, v4
	v_mov_b32_e32 v5, v3
	v_lshlrev_b32_e32 v3, 3, v9
	v_add_u32_e32 v15, 0x800, v2
	v_ashrrev_i32_e32 v2, 31, v8
	s_add_u32 s10, s18, s0
	v_lshl_or_b32 v14, v4, 8, v3
	v_mul_lo_u32 v9, s2, v2
	v_mad_u64_u32 v[2:3], s[12:13], s2, v8, v[4:5]
	v_mul_lo_u32 v4, s3, v8
	s_addc_u32 s11, s19, s1
	s_load_dwordx2 s[10:11], s[10:11], 0x0
	s_add_u32 s0, s20, s0
	s_addc_u32 s1, s21, s1
	v_add3_u32 v3, v4, v3, v9
	s_load_dwordx2 s[0:1], s[0:1], 0x0
	v_lshlrev_b64 v[2:3], 3, v[2:3]
	v_mov_b32_e32 v5, 0x800
	v_lshl_add_u32 v17, v1, 6, v5
	s_waitcnt lgkmcnt(0)
	v_mov_b32_e32 v5, s11
	v_add_co_u32_e32 v4, vcc, s10, v2
	v_addc_co_u32_e32 v5, vcc, v5, v3, vcc
	v_lshlrev_b64 v[2:3], 3, v[6:7]
	v_mov_b32_e32 v7, s1
	v_add_co_u32_e32 v6, vcc, s0, v2
	v_addc_co_u32_e32 v7, vcc, v7, v3, vcc
	v_mov_b32_e32 v2, 0
	v_mov_b32_e32 v8, 0
	;; [unrolled: 1-line block ×4, first 2 shown]
	v_lshlrev_b32_e32 v16, 3, v0
	v_mov_b32_e32 v3, 0
	v_mov_b32_e32 v9, 0
	;; [unrolled: 1-line block ×4, first 2 shown]
	s_mov_b64 s[2:3], 0
.LBB1471_2:                             ; =>This Inner Loop Header: Depth=1
	flat_load_dwordx2 v[18:19], v[4:5]
	s_add_u32 s2, s2, 8
	s_addc_u32 s3, s3, 0
	v_add_co_u32_e64 v4, s[0:1], 64, v4
	v_addc_co_u32_e64 v5, s[0:1], 0, v5, s[0:1]
	s_waitcnt vmcnt(0) lgkmcnt(0)
	ds_write_b64 v14, v[18:19]
	flat_load_dwordx2 v[18:19], v[6:7]
	v_add_co_u32_e64 v6, s[0:1], 64, v6
	v_addc_co_u32_e64 v7, s[0:1], 0, v7, s[0:1]
	s_waitcnt vmcnt(0) lgkmcnt(0)
	ds_write_b64 v15, v[18:19]
	s_waitcnt lgkmcnt(0)
	s_barrier
	ds_read2_b64 v[18:21], v16 offset1:16
	ds_read_b128 v[22:25], v17
	ds_read_b128 v[26:29], v17 offset:1024
	ds_read_b128 v[30:33], v17 offset:16
	s_waitcnt lgkmcnt(2)
	v_fma_f64 v[34:35], v[18:19], v[22:23], v[12:13]
	v_fma_f64 v[22:23], v[20:21], v[22:23], v[10:11]
	s_waitcnt lgkmcnt(1)
	v_fma_f64 v[8:9], v[18:19], v[26:27], v[8:9]
	v_fma_f64 v[2:3], v[20:21], v[26:27], v[2:3]
	ds_read2_b64 v[18:21], v16 offset0:32 offset1:48
	ds_read_b128 v[10:13], v17 offset:1040
	s_waitcnt lgkmcnt(1)
	v_fma_f64 v[26:27], v[18:19], v[24:25], v[34:35]
	v_fma_f64 v[34:35], v[20:21], v[24:25], v[22:23]
	v_fma_f64 v[8:9], v[18:19], v[28:29], v[8:9]
	v_fma_f64 v[2:3], v[20:21], v[28:29], v[2:3]
	ds_read2_b64 v[18:21], v16 offset0:64 offset1:80
	ds_read2_b64 v[22:25], v16 offset0:96 offset1:112
	s_waitcnt lgkmcnt(1)
	v_fma_f64 v[26:27], v[18:19], v[30:31], v[26:27]
	v_fma_f64 v[28:29], v[20:21], v[30:31], v[34:35]
	;; [unrolled: 1-line block ×4, first 2 shown]
	ds_read2_b64 v[8:11], v16 offset0:128 offset1:144
	ds_read_b128 v[18:21], v17 offset:32
	s_waitcnt lgkmcnt(2)
	v_fma_f64 v[34:35], v[22:23], v[32:33], v[26:27]
	v_fma_f64 v[32:33], v[24:25], v[32:33], v[28:29]
	;; [unrolled: 1-line block ×4, first 2 shown]
	ds_read_b128 v[22:25], v17 offset:1056
	ds_read_b128 v[26:29], v17 offset:48
	s_waitcnt lgkmcnt(2)
	v_fma_f64 v[12:13], v[8:9], v[18:19], v[34:35]
	v_fma_f64 v[18:19], v[10:11], v[18:19], v[32:33]
	s_waitcnt lgkmcnt(1)
	v_fma_f64 v[34:35], v[8:9], v[22:23], v[36:37]
	v_fma_f64 v[2:3], v[10:11], v[22:23], v[2:3]
	ds_read2_b64 v[8:11], v16 offset0:160 offset1:176
	ds_read_b128 v[30:33], v17 offset:1072
	s_waitcnt lgkmcnt(1)
	v_fma_f64 v[12:13], v[8:9], v[20:21], v[12:13]
	v_fma_f64 v[18:19], v[10:11], v[20:21], v[18:19]
	v_mov_b32_e32 v21, s3
	v_mov_b32_e32 v20, s2
	v_cmp_le_u64_e32 vcc, s[16:17], v[20:21]
	v_fma_f64 v[20:21], v[8:9], v[24:25], v[34:35]
	v_fma_f64 v[2:3], v[10:11], v[24:25], v[2:3]
	ds_read2_b64 v[8:11], v16 offset0:192 offset1:208
	s_and_b64 vcc, exec, vcc
	s_waitcnt lgkmcnt(0)
	v_fma_f64 v[12:13], v[8:9], v[26:27], v[12:13]
	v_fma_f64 v[22:23], v[10:11], v[26:27], v[18:19]
	;; [unrolled: 1-line block ×4, first 2 shown]
	ds_read2_b64 v[18:21], v16 offset0:224 offset1:240
	s_waitcnt lgkmcnt(0)
	s_barrier
	v_fma_f64 v[12:13], v[18:19], v[28:29], v[12:13]
	v_fma_f64 v[10:11], v[20:21], v[28:29], v[22:23]
	;; [unrolled: 1-line block ×4, first 2 shown]
	s_cbranch_vccz .LBB1471_2
	s_branch .LBB1471_4
.LBB1471_3:
	v_mov_b32_e32 v12, 0
	v_mov_b32_e32 v10, 0
	v_mov_b32_e32 v8, 0
	v_mov_b32_e32 v2, 0
	v_mov_b32_e32 v13, 0
	v_mov_b32_e32 v11, 0
	v_mov_b32_e32 v9, 0
	v_mov_b32_e32 v3, 0
.LBB1471_4:
	v_add_u32_e32 v6, s7, v1
	v_ashrrev_i32_e32 v1, 31, v6
	v_mul_lo_u32 v1, s14, v1
	v_mul_lo_u32 v7, s15, v6
	v_mad_u64_u32 v[4:5], s[0:1], s14, v6, 0
	s_load_dword s4, s[4:5], 0x0
	v_add_u32_e32 v0, s6, v0
	v_add3_u32 v5, v5, v1, v7
	v_lshlrev_b64 v[4:5], 3, v[4:5]
	s_waitcnt lgkmcnt(0)
	v_mov_b32_e32 v1, s9
	v_add_co_u32_e32 v7, vcc, s8, v4
	v_addc_co_u32_e32 v14, vcc, v1, v5, vcc
	v_cmp_le_i32_e64 s[0:1], v6, v0
	v_cmp_gt_i32_e32 vcc, s4, v0
	s_and_b64 s[0:1], s[0:1], vcc
	s_and_saveexec_b64 s[2:3], s[0:1]
	s_cbranch_execz .LBB1471_6
; %bb.5:
	v_ashrrev_i32_e32 v1, 31, v0
	v_lshlrev_b64 v[4:5], 3, v[0:1]
	v_add_co_u32_e64 v4, s[0:1], v7, v4
	v_addc_co_u32_e64 v5, s[0:1], v14, v5, s[0:1]
	flat_load_dwordx2 v[15:16], v[4:5]
	s_waitcnt vmcnt(0) lgkmcnt(0)
	v_add_f64 v[12:13], v[12:13], -v[15:16]
	flat_store_dwordx2 v[4:5], v[12:13]
.LBB1471_6:
	s_or_b64 exec, exec, s[2:3]
	v_add_u32_e32 v4, 16, v0
	v_cmp_le_i32_e64 s[2:3], v6, v4
	v_cmp_gt_i32_e64 s[0:1], s4, v4
	s_and_b64 s[2:3], s[2:3], s[0:1]
	s_and_saveexec_b64 s[4:5], s[2:3]
	s_cbranch_execz .LBB1471_8
; %bb.7:
	v_ashrrev_i32_e32 v5, 31, v4
	v_lshlrev_b64 v[12:13], 3, v[4:5]
	v_add_co_u32_e64 v12, s[2:3], v7, v12
	v_addc_co_u32_e64 v13, s[2:3], v14, v13, s[2:3]
	flat_load_dwordx2 v[14:15], v[12:13]
	s_waitcnt vmcnt(0) lgkmcnt(0)
	v_add_f64 v[10:11], v[10:11], -v[14:15]
	flat_store_dwordx2 v[12:13], v[10:11]
.LBB1471_8:
	s_or_b64 exec, exec, s[4:5]
	v_add_u32_e32 v5, 16, v6
	v_ashrrev_i32_e32 v1, 31, v5
	v_mul_lo_u32 v10, s15, v5
	v_mad_u64_u32 v[6:7], s[2:3], s14, v5, 0
	v_mul_lo_u32 v1, s14, v1
	v_add3_u32 v7, v7, v1, v10
	v_lshlrev_b64 v[6:7], 3, v[6:7]
	v_mov_b32_e32 v1, s9
	v_add_co_u32_e64 v6, s[2:3], s8, v6
	v_addc_co_u32_e64 v7, s[2:3], v1, v7, s[2:3]
	v_cmp_le_i32_e64 s[2:3], v5, v0
	s_and_b64 s[4:5], s[2:3], vcc
	s_and_saveexec_b64 s[2:3], s[4:5]
	s_cbranch_execz .LBB1471_10
; %bb.9:
	v_ashrrev_i32_e32 v1, 31, v0
	v_lshlrev_b64 v[0:1], 3, v[0:1]
	v_add_co_u32_e32 v0, vcc, v6, v0
	v_addc_co_u32_e32 v1, vcc, v7, v1, vcc
	flat_load_dwordx2 v[10:11], v[0:1]
	s_waitcnt vmcnt(0) lgkmcnt(0)
	v_add_f64 v[8:9], v[8:9], -v[10:11]
	flat_store_dwordx2 v[0:1], v[8:9]
.LBB1471_10:
	s_or_b64 exec, exec, s[2:3]
	v_cmp_le_i32_e32 vcc, v5, v4
	s_and_b64 s[0:1], vcc, s[0:1]
	s_and_saveexec_b64 s[2:3], s[0:1]
	s_cbranch_execz .LBB1471_12
; %bb.11:
	v_ashrrev_i32_e32 v5, 31, v4
	v_lshlrev_b64 v[0:1], 3, v[4:5]
	v_add_co_u32_e32 v0, vcc, v6, v0
	v_addc_co_u32_e32 v1, vcc, v7, v1, vcc
	flat_load_dwordx2 v[4:5], v[0:1]
	s_waitcnt vmcnt(0) lgkmcnt(0)
	v_add_f64 v[2:3], v[2:3], -v[4:5]
	flat_store_dwordx2 v[0:1], v[2:3]
.LBB1471_12:
	s_endpgm
	.section	.rodata,"a",@progbits
	.p2align	6, 0x0
	.amdhsa_kernel _ZL37rocblas_syrkx_herkx_restricted_kernelIldLi16ELi32ELi8ELi1ELin1ELb0ELc84ELc76EKPKdKPdEviT_PT9_S5_lS7_S5_lPT10_S5_li
		.amdhsa_group_segment_fixed_size 4096
		.amdhsa_private_segment_fixed_size 0
		.amdhsa_kernarg_size 92
		.amdhsa_user_sgpr_count 6
		.amdhsa_user_sgpr_private_segment_buffer 1
		.amdhsa_user_sgpr_dispatch_ptr 0
		.amdhsa_user_sgpr_queue_ptr 0
		.amdhsa_user_sgpr_kernarg_segment_ptr 1
		.amdhsa_user_sgpr_dispatch_id 0
		.amdhsa_user_sgpr_flat_scratch_init 0
		.amdhsa_user_sgpr_private_segment_size 0
		.amdhsa_uses_dynamic_stack 0
		.amdhsa_system_sgpr_private_segment_wavefront_offset 0
		.amdhsa_system_sgpr_workgroup_id_x 1
		.amdhsa_system_sgpr_workgroup_id_y 1
		.amdhsa_system_sgpr_workgroup_id_z 1
		.amdhsa_system_sgpr_workgroup_info 0
		.amdhsa_system_vgpr_workitem_id 1
		.amdhsa_next_free_vgpr 38
		.amdhsa_next_free_sgpr 24
		.amdhsa_reserve_vcc 1
		.amdhsa_reserve_flat_scratch 0
		.amdhsa_float_round_mode_32 0
		.amdhsa_float_round_mode_16_64 0
		.amdhsa_float_denorm_mode_32 3
		.amdhsa_float_denorm_mode_16_64 3
		.amdhsa_dx10_clamp 1
		.amdhsa_ieee_mode 1
		.amdhsa_fp16_overflow 0
		.amdhsa_exception_fp_ieee_invalid_op 0
		.amdhsa_exception_fp_denorm_src 0
		.amdhsa_exception_fp_ieee_div_zero 0
		.amdhsa_exception_fp_ieee_overflow 0
		.amdhsa_exception_fp_ieee_underflow 0
		.amdhsa_exception_fp_ieee_inexact 0
		.amdhsa_exception_int_div_zero 0
	.end_amdhsa_kernel
	.section	.text._ZL37rocblas_syrkx_herkx_restricted_kernelIldLi16ELi32ELi8ELi1ELin1ELb0ELc84ELc76EKPKdKPdEviT_PT9_S5_lS7_S5_lPT10_S5_li,"axG",@progbits,_ZL37rocblas_syrkx_herkx_restricted_kernelIldLi16ELi32ELi8ELi1ELin1ELb0ELc84ELc76EKPKdKPdEviT_PT9_S5_lS7_S5_lPT10_S5_li,comdat
.Lfunc_end1471:
	.size	_ZL37rocblas_syrkx_herkx_restricted_kernelIldLi16ELi32ELi8ELi1ELin1ELb0ELc84ELc76EKPKdKPdEviT_PT9_S5_lS7_S5_lPT10_S5_li, .Lfunc_end1471-_ZL37rocblas_syrkx_herkx_restricted_kernelIldLi16ELi32ELi8ELi1ELin1ELb0ELc84ELc76EKPKdKPdEviT_PT9_S5_lS7_S5_lPT10_S5_li
                                        ; -- End function
	.set _ZL37rocblas_syrkx_herkx_restricted_kernelIldLi16ELi32ELi8ELi1ELin1ELb0ELc84ELc76EKPKdKPdEviT_PT9_S5_lS7_S5_lPT10_S5_li.num_vgpr, 38
	.set _ZL37rocblas_syrkx_herkx_restricted_kernelIldLi16ELi32ELi8ELi1ELin1ELb0ELc84ELc76EKPKdKPdEviT_PT9_S5_lS7_S5_lPT10_S5_li.num_agpr, 0
	.set _ZL37rocblas_syrkx_herkx_restricted_kernelIldLi16ELi32ELi8ELi1ELin1ELb0ELc84ELc76EKPKdKPdEviT_PT9_S5_lS7_S5_lPT10_S5_li.numbered_sgpr, 24
	.set _ZL37rocblas_syrkx_herkx_restricted_kernelIldLi16ELi32ELi8ELi1ELin1ELb0ELc84ELc76EKPKdKPdEviT_PT9_S5_lS7_S5_lPT10_S5_li.num_named_barrier, 0
	.set _ZL37rocblas_syrkx_herkx_restricted_kernelIldLi16ELi32ELi8ELi1ELin1ELb0ELc84ELc76EKPKdKPdEviT_PT9_S5_lS7_S5_lPT10_S5_li.private_seg_size, 0
	.set _ZL37rocblas_syrkx_herkx_restricted_kernelIldLi16ELi32ELi8ELi1ELin1ELb0ELc84ELc76EKPKdKPdEviT_PT9_S5_lS7_S5_lPT10_S5_li.uses_vcc, 1
	.set _ZL37rocblas_syrkx_herkx_restricted_kernelIldLi16ELi32ELi8ELi1ELin1ELb0ELc84ELc76EKPKdKPdEviT_PT9_S5_lS7_S5_lPT10_S5_li.uses_flat_scratch, 0
	.set _ZL37rocblas_syrkx_herkx_restricted_kernelIldLi16ELi32ELi8ELi1ELin1ELb0ELc84ELc76EKPKdKPdEviT_PT9_S5_lS7_S5_lPT10_S5_li.has_dyn_sized_stack, 0
	.set _ZL37rocblas_syrkx_herkx_restricted_kernelIldLi16ELi32ELi8ELi1ELin1ELb0ELc84ELc76EKPKdKPdEviT_PT9_S5_lS7_S5_lPT10_S5_li.has_recursion, 0
	.set _ZL37rocblas_syrkx_herkx_restricted_kernelIldLi16ELi32ELi8ELi1ELin1ELb0ELc84ELc76EKPKdKPdEviT_PT9_S5_lS7_S5_lPT10_S5_li.has_indirect_call, 0
	.section	.AMDGPU.csdata,"",@progbits
; Kernel info:
; codeLenInByte = 1396
; TotalNumSgprs: 28
; NumVgprs: 38
; ScratchSize: 0
; MemoryBound: 0
; FloatMode: 240
; IeeeMode: 1
; LDSByteSize: 4096 bytes/workgroup (compile time only)
; SGPRBlocks: 3
; VGPRBlocks: 9
; NumSGPRsForWavesPerEU: 28
; NumVGPRsForWavesPerEU: 38
; Occupancy: 6
; WaveLimiterHint : 1
; COMPUTE_PGM_RSRC2:SCRATCH_EN: 0
; COMPUTE_PGM_RSRC2:USER_SGPR: 6
; COMPUTE_PGM_RSRC2:TRAP_HANDLER: 0
; COMPUTE_PGM_RSRC2:TGID_X_EN: 1
; COMPUTE_PGM_RSRC2:TGID_Y_EN: 1
; COMPUTE_PGM_RSRC2:TGID_Z_EN: 1
; COMPUTE_PGM_RSRC2:TIDIG_COMP_CNT: 1
	.section	.text._ZL37rocblas_syrkx_herkx_restricted_kernelIldLi16ELi32ELi8ELi1ELin1ELb0ELc67ELc76EKPKdKPdEviT_PT9_S5_lS7_S5_lPT10_S5_li,"axG",@progbits,_ZL37rocblas_syrkx_herkx_restricted_kernelIldLi16ELi32ELi8ELi1ELin1ELb0ELc67ELc76EKPKdKPdEviT_PT9_S5_lS7_S5_lPT10_S5_li,comdat
	.globl	_ZL37rocblas_syrkx_herkx_restricted_kernelIldLi16ELi32ELi8ELi1ELin1ELb0ELc67ELc76EKPKdKPdEviT_PT9_S5_lS7_S5_lPT10_S5_li ; -- Begin function _ZL37rocblas_syrkx_herkx_restricted_kernelIldLi16ELi32ELi8ELi1ELin1ELb0ELc67ELc76EKPKdKPdEviT_PT9_S5_lS7_S5_lPT10_S5_li
	.p2align	8
	.type	_ZL37rocblas_syrkx_herkx_restricted_kernelIldLi16ELi32ELi8ELi1ELin1ELb0ELc67ELc76EKPKdKPdEviT_PT9_S5_lS7_S5_lPT10_S5_li,@function
_ZL37rocblas_syrkx_herkx_restricted_kernelIldLi16ELi32ELi8ELi1ELin1ELb0ELc67ELc76EKPKdKPdEviT_PT9_S5_lS7_S5_lPT10_S5_li: ; @_ZL37rocblas_syrkx_herkx_restricted_kernelIldLi16ELi32ELi8ELi1ELin1ELb0ELc67ELc76EKPKdKPdEviT_PT9_S5_lS7_S5_lPT10_S5_li
; %bb.0:
	s_load_dwordx4 s[12:15], s[4:5], 0x40
	s_load_dwordx4 s[16:19], s[4:5], 0x8
	s_mov_b32 s9, 0
	s_lshl_b64 s[0:1], s[8:9], 3
	s_waitcnt lgkmcnt(0)
	s_add_u32 s2, s12, s0
	s_addc_u32 s3, s13, s1
	s_load_dwordx2 s[8:9], s[2:3], 0x0
	v_cmp_lt_i64_e64 s[2:3], s[16:17], 1
	s_lshl_b32 s6, s6, 5
	s_lshl_b32 s7, s7, 5
	s_and_b64 vcc, exec, s[2:3]
	s_cbranch_vccnz .LBB1472_3
; %bb.1:
	s_load_dwordx2 s[2:3], s[4:5], 0x18
	s_load_dwordx4 s[20:23], s[4:5], 0x28
	v_lshl_add_u32 v4, v1, 4, v0
	v_lshrrev_b32_e32 v8, 3, v4
	v_add_u32_e32 v5, s7, v8
	v_ashrrev_i32_e32 v6, 31, v5
	v_and_b32_e32 v2, 7, v0
	v_mov_b32_e32 v3, 0
	s_waitcnt lgkmcnt(0)
	v_mul_lo_u32 v9, s22, v6
	v_mul_lo_u32 v10, s23, v5
	v_mad_u64_u32 v[6:7], s[12:13], s22, v5, v[2:3]
	v_lshlrev_b32_e32 v2, 3, v2
	v_lshl_or_b32 v2, v8, 6, v2
	v_add3_u32 v7, v10, v7, v9
	v_and_b32_e32 v9, 31, v4
	v_add_u32_e32 v8, s6, v9
	v_lshrrev_b32_e32 v4, 5, v4
	v_mov_b32_e32 v5, v3
	v_lshlrev_b32_e32 v3, 3, v9
	v_add_u32_e32 v15, 0x800, v2
	v_ashrrev_i32_e32 v2, 31, v8
	s_add_u32 s10, s18, s0
	v_lshl_or_b32 v14, v4, 8, v3
	v_mul_lo_u32 v9, s2, v2
	v_mad_u64_u32 v[2:3], s[12:13], s2, v8, v[4:5]
	v_mul_lo_u32 v4, s3, v8
	s_addc_u32 s11, s19, s1
	s_load_dwordx2 s[10:11], s[10:11], 0x0
	s_add_u32 s0, s20, s0
	s_addc_u32 s1, s21, s1
	v_add3_u32 v3, v4, v3, v9
	s_load_dwordx2 s[0:1], s[0:1], 0x0
	v_lshlrev_b64 v[2:3], 3, v[2:3]
	v_mov_b32_e32 v5, 0x800
	v_lshl_add_u32 v17, v1, 6, v5
	s_waitcnt lgkmcnt(0)
	v_mov_b32_e32 v5, s11
	v_add_co_u32_e32 v4, vcc, s10, v2
	v_addc_co_u32_e32 v5, vcc, v5, v3, vcc
	v_lshlrev_b64 v[2:3], 3, v[6:7]
	v_mov_b32_e32 v7, s1
	v_add_co_u32_e32 v6, vcc, s0, v2
	v_addc_co_u32_e32 v7, vcc, v7, v3, vcc
	v_mov_b32_e32 v2, 0
	v_mov_b32_e32 v8, 0
	;; [unrolled: 1-line block ×4, first 2 shown]
	v_lshlrev_b32_e32 v16, 3, v0
	v_mov_b32_e32 v3, 0
	v_mov_b32_e32 v9, 0
	;; [unrolled: 1-line block ×4, first 2 shown]
	s_mov_b64 s[2:3], 0
.LBB1472_2:                             ; =>This Inner Loop Header: Depth=1
	flat_load_dwordx2 v[18:19], v[4:5]
	s_add_u32 s2, s2, 8
	s_addc_u32 s3, s3, 0
	v_add_co_u32_e64 v4, s[0:1], 64, v4
	v_addc_co_u32_e64 v5, s[0:1], 0, v5, s[0:1]
	s_waitcnt vmcnt(0) lgkmcnt(0)
	ds_write_b64 v14, v[18:19]
	flat_load_dwordx2 v[18:19], v[6:7]
	v_add_co_u32_e64 v6, s[0:1], 64, v6
	v_addc_co_u32_e64 v7, s[0:1], 0, v7, s[0:1]
	s_waitcnt vmcnt(0) lgkmcnt(0)
	ds_write_b64 v15, v[18:19]
	s_waitcnt lgkmcnt(0)
	s_barrier
	ds_read2_b64 v[18:21], v16 offset1:16
	ds_read_b128 v[22:25], v17
	ds_read_b128 v[26:29], v17 offset:1024
	ds_read_b128 v[30:33], v17 offset:16
	s_waitcnt lgkmcnt(2)
	v_fma_f64 v[34:35], v[18:19], v[22:23], v[12:13]
	v_fma_f64 v[22:23], v[20:21], v[22:23], v[10:11]
	s_waitcnt lgkmcnt(1)
	v_fma_f64 v[8:9], v[18:19], v[26:27], v[8:9]
	v_fma_f64 v[2:3], v[20:21], v[26:27], v[2:3]
	ds_read2_b64 v[18:21], v16 offset0:32 offset1:48
	ds_read_b128 v[10:13], v17 offset:1040
	s_waitcnt lgkmcnt(1)
	v_fma_f64 v[26:27], v[18:19], v[24:25], v[34:35]
	v_fma_f64 v[34:35], v[20:21], v[24:25], v[22:23]
	;; [unrolled: 1-line block ×4, first 2 shown]
	ds_read2_b64 v[18:21], v16 offset0:64 offset1:80
	ds_read2_b64 v[22:25], v16 offset0:96 offset1:112
	s_waitcnt lgkmcnt(1)
	v_fma_f64 v[26:27], v[18:19], v[30:31], v[26:27]
	v_fma_f64 v[28:29], v[20:21], v[30:31], v[34:35]
	v_fma_f64 v[30:31], v[18:19], v[10:11], v[8:9]
	v_fma_f64 v[2:3], v[20:21], v[10:11], v[2:3]
	ds_read2_b64 v[8:11], v16 offset0:128 offset1:144
	ds_read_b128 v[18:21], v17 offset:32
	s_waitcnt lgkmcnt(2)
	v_fma_f64 v[34:35], v[22:23], v[32:33], v[26:27]
	v_fma_f64 v[32:33], v[24:25], v[32:33], v[28:29]
	;; [unrolled: 1-line block ×4, first 2 shown]
	ds_read_b128 v[22:25], v17 offset:1056
	ds_read_b128 v[26:29], v17 offset:48
	s_waitcnt lgkmcnt(2)
	v_fma_f64 v[12:13], v[8:9], v[18:19], v[34:35]
	v_fma_f64 v[18:19], v[10:11], v[18:19], v[32:33]
	s_waitcnt lgkmcnt(1)
	v_fma_f64 v[34:35], v[8:9], v[22:23], v[36:37]
	v_fma_f64 v[2:3], v[10:11], v[22:23], v[2:3]
	ds_read2_b64 v[8:11], v16 offset0:160 offset1:176
	ds_read_b128 v[30:33], v17 offset:1072
	s_waitcnt lgkmcnt(1)
	v_fma_f64 v[12:13], v[8:9], v[20:21], v[12:13]
	v_fma_f64 v[18:19], v[10:11], v[20:21], v[18:19]
	v_mov_b32_e32 v21, s3
	v_mov_b32_e32 v20, s2
	v_cmp_le_u64_e32 vcc, s[16:17], v[20:21]
	v_fma_f64 v[20:21], v[8:9], v[24:25], v[34:35]
	v_fma_f64 v[2:3], v[10:11], v[24:25], v[2:3]
	ds_read2_b64 v[8:11], v16 offset0:192 offset1:208
	s_and_b64 vcc, exec, vcc
	s_waitcnt lgkmcnt(0)
	v_fma_f64 v[12:13], v[8:9], v[26:27], v[12:13]
	v_fma_f64 v[22:23], v[10:11], v[26:27], v[18:19]
	;; [unrolled: 1-line block ×4, first 2 shown]
	ds_read2_b64 v[18:21], v16 offset0:224 offset1:240
	s_waitcnt lgkmcnt(0)
	s_barrier
	v_fma_f64 v[12:13], v[18:19], v[28:29], v[12:13]
	v_fma_f64 v[10:11], v[20:21], v[28:29], v[22:23]
	;; [unrolled: 1-line block ×4, first 2 shown]
	s_cbranch_vccz .LBB1472_2
	s_branch .LBB1472_4
.LBB1472_3:
	v_mov_b32_e32 v12, 0
	v_mov_b32_e32 v10, 0
	;; [unrolled: 1-line block ×8, first 2 shown]
.LBB1472_4:
	v_add_u32_e32 v6, s7, v1
	v_ashrrev_i32_e32 v1, 31, v6
	v_mul_lo_u32 v1, s14, v1
	v_mul_lo_u32 v7, s15, v6
	v_mad_u64_u32 v[4:5], s[0:1], s14, v6, 0
	s_load_dword s4, s[4:5], 0x0
	v_add_u32_e32 v0, s6, v0
	v_add3_u32 v5, v5, v1, v7
	v_lshlrev_b64 v[4:5], 3, v[4:5]
	s_waitcnt lgkmcnt(0)
	v_mov_b32_e32 v1, s9
	v_add_co_u32_e32 v7, vcc, s8, v4
	v_addc_co_u32_e32 v14, vcc, v1, v5, vcc
	v_cmp_le_i32_e64 s[0:1], v6, v0
	v_cmp_gt_i32_e32 vcc, s4, v0
	s_and_b64 s[0:1], s[0:1], vcc
	s_and_saveexec_b64 s[2:3], s[0:1]
	s_cbranch_execz .LBB1472_6
; %bb.5:
	v_ashrrev_i32_e32 v1, 31, v0
	v_lshlrev_b64 v[4:5], 3, v[0:1]
	v_add_co_u32_e64 v4, s[0:1], v7, v4
	v_addc_co_u32_e64 v5, s[0:1], v14, v5, s[0:1]
	flat_load_dwordx2 v[15:16], v[4:5]
	s_waitcnt vmcnt(0) lgkmcnt(0)
	v_add_f64 v[12:13], v[12:13], -v[15:16]
	flat_store_dwordx2 v[4:5], v[12:13]
.LBB1472_6:
	s_or_b64 exec, exec, s[2:3]
	v_add_u32_e32 v4, 16, v0
	v_cmp_le_i32_e64 s[2:3], v6, v4
	v_cmp_gt_i32_e64 s[0:1], s4, v4
	s_and_b64 s[2:3], s[2:3], s[0:1]
	s_and_saveexec_b64 s[4:5], s[2:3]
	s_cbranch_execz .LBB1472_8
; %bb.7:
	v_ashrrev_i32_e32 v5, 31, v4
	v_lshlrev_b64 v[12:13], 3, v[4:5]
	v_add_co_u32_e64 v12, s[2:3], v7, v12
	v_addc_co_u32_e64 v13, s[2:3], v14, v13, s[2:3]
	flat_load_dwordx2 v[14:15], v[12:13]
	s_waitcnt vmcnt(0) lgkmcnt(0)
	v_add_f64 v[10:11], v[10:11], -v[14:15]
	flat_store_dwordx2 v[12:13], v[10:11]
.LBB1472_8:
	s_or_b64 exec, exec, s[4:5]
	v_add_u32_e32 v5, 16, v6
	v_ashrrev_i32_e32 v1, 31, v5
	v_mul_lo_u32 v10, s15, v5
	v_mad_u64_u32 v[6:7], s[2:3], s14, v5, 0
	v_mul_lo_u32 v1, s14, v1
	v_add3_u32 v7, v7, v1, v10
	v_lshlrev_b64 v[6:7], 3, v[6:7]
	v_mov_b32_e32 v1, s9
	v_add_co_u32_e64 v6, s[2:3], s8, v6
	v_addc_co_u32_e64 v7, s[2:3], v1, v7, s[2:3]
	v_cmp_le_i32_e64 s[2:3], v5, v0
	s_and_b64 s[4:5], s[2:3], vcc
	s_and_saveexec_b64 s[2:3], s[4:5]
	s_cbranch_execz .LBB1472_10
; %bb.9:
	v_ashrrev_i32_e32 v1, 31, v0
	v_lshlrev_b64 v[0:1], 3, v[0:1]
	v_add_co_u32_e32 v0, vcc, v6, v0
	v_addc_co_u32_e32 v1, vcc, v7, v1, vcc
	flat_load_dwordx2 v[10:11], v[0:1]
	s_waitcnt vmcnt(0) lgkmcnt(0)
	v_add_f64 v[8:9], v[8:9], -v[10:11]
	flat_store_dwordx2 v[0:1], v[8:9]
.LBB1472_10:
	s_or_b64 exec, exec, s[2:3]
	v_cmp_le_i32_e32 vcc, v5, v4
	s_and_b64 s[0:1], vcc, s[0:1]
	s_and_saveexec_b64 s[2:3], s[0:1]
	s_cbranch_execz .LBB1472_12
; %bb.11:
	v_ashrrev_i32_e32 v5, 31, v4
	v_lshlrev_b64 v[0:1], 3, v[4:5]
	v_add_co_u32_e32 v0, vcc, v6, v0
	v_addc_co_u32_e32 v1, vcc, v7, v1, vcc
	flat_load_dwordx2 v[4:5], v[0:1]
	s_waitcnt vmcnt(0) lgkmcnt(0)
	v_add_f64 v[2:3], v[2:3], -v[4:5]
	flat_store_dwordx2 v[0:1], v[2:3]
.LBB1472_12:
	s_endpgm
	.section	.rodata,"a",@progbits
	.p2align	6, 0x0
	.amdhsa_kernel _ZL37rocblas_syrkx_herkx_restricted_kernelIldLi16ELi32ELi8ELi1ELin1ELb0ELc67ELc76EKPKdKPdEviT_PT9_S5_lS7_S5_lPT10_S5_li
		.amdhsa_group_segment_fixed_size 4096
		.amdhsa_private_segment_fixed_size 0
		.amdhsa_kernarg_size 92
		.amdhsa_user_sgpr_count 6
		.amdhsa_user_sgpr_private_segment_buffer 1
		.amdhsa_user_sgpr_dispatch_ptr 0
		.amdhsa_user_sgpr_queue_ptr 0
		.amdhsa_user_sgpr_kernarg_segment_ptr 1
		.amdhsa_user_sgpr_dispatch_id 0
		.amdhsa_user_sgpr_flat_scratch_init 0
		.amdhsa_user_sgpr_private_segment_size 0
		.amdhsa_uses_dynamic_stack 0
		.amdhsa_system_sgpr_private_segment_wavefront_offset 0
		.amdhsa_system_sgpr_workgroup_id_x 1
		.amdhsa_system_sgpr_workgroup_id_y 1
		.amdhsa_system_sgpr_workgroup_id_z 1
		.amdhsa_system_sgpr_workgroup_info 0
		.amdhsa_system_vgpr_workitem_id 1
		.amdhsa_next_free_vgpr 38
		.amdhsa_next_free_sgpr 24
		.amdhsa_reserve_vcc 1
		.amdhsa_reserve_flat_scratch 0
		.amdhsa_float_round_mode_32 0
		.amdhsa_float_round_mode_16_64 0
		.amdhsa_float_denorm_mode_32 3
		.amdhsa_float_denorm_mode_16_64 3
		.amdhsa_dx10_clamp 1
		.amdhsa_ieee_mode 1
		.amdhsa_fp16_overflow 0
		.amdhsa_exception_fp_ieee_invalid_op 0
		.amdhsa_exception_fp_denorm_src 0
		.amdhsa_exception_fp_ieee_div_zero 0
		.amdhsa_exception_fp_ieee_overflow 0
		.amdhsa_exception_fp_ieee_underflow 0
		.amdhsa_exception_fp_ieee_inexact 0
		.amdhsa_exception_int_div_zero 0
	.end_amdhsa_kernel
	.section	.text._ZL37rocblas_syrkx_herkx_restricted_kernelIldLi16ELi32ELi8ELi1ELin1ELb0ELc67ELc76EKPKdKPdEviT_PT9_S5_lS7_S5_lPT10_S5_li,"axG",@progbits,_ZL37rocblas_syrkx_herkx_restricted_kernelIldLi16ELi32ELi8ELi1ELin1ELb0ELc67ELc76EKPKdKPdEviT_PT9_S5_lS7_S5_lPT10_S5_li,comdat
.Lfunc_end1472:
	.size	_ZL37rocblas_syrkx_herkx_restricted_kernelIldLi16ELi32ELi8ELi1ELin1ELb0ELc67ELc76EKPKdKPdEviT_PT9_S5_lS7_S5_lPT10_S5_li, .Lfunc_end1472-_ZL37rocblas_syrkx_herkx_restricted_kernelIldLi16ELi32ELi8ELi1ELin1ELb0ELc67ELc76EKPKdKPdEviT_PT9_S5_lS7_S5_lPT10_S5_li
                                        ; -- End function
	.set _ZL37rocblas_syrkx_herkx_restricted_kernelIldLi16ELi32ELi8ELi1ELin1ELb0ELc67ELc76EKPKdKPdEviT_PT9_S5_lS7_S5_lPT10_S5_li.num_vgpr, 38
	.set _ZL37rocblas_syrkx_herkx_restricted_kernelIldLi16ELi32ELi8ELi1ELin1ELb0ELc67ELc76EKPKdKPdEviT_PT9_S5_lS7_S5_lPT10_S5_li.num_agpr, 0
	.set _ZL37rocblas_syrkx_herkx_restricted_kernelIldLi16ELi32ELi8ELi1ELin1ELb0ELc67ELc76EKPKdKPdEviT_PT9_S5_lS7_S5_lPT10_S5_li.numbered_sgpr, 24
	.set _ZL37rocblas_syrkx_herkx_restricted_kernelIldLi16ELi32ELi8ELi1ELin1ELb0ELc67ELc76EKPKdKPdEviT_PT9_S5_lS7_S5_lPT10_S5_li.num_named_barrier, 0
	.set _ZL37rocblas_syrkx_herkx_restricted_kernelIldLi16ELi32ELi8ELi1ELin1ELb0ELc67ELc76EKPKdKPdEviT_PT9_S5_lS7_S5_lPT10_S5_li.private_seg_size, 0
	.set _ZL37rocblas_syrkx_herkx_restricted_kernelIldLi16ELi32ELi8ELi1ELin1ELb0ELc67ELc76EKPKdKPdEviT_PT9_S5_lS7_S5_lPT10_S5_li.uses_vcc, 1
	.set _ZL37rocblas_syrkx_herkx_restricted_kernelIldLi16ELi32ELi8ELi1ELin1ELb0ELc67ELc76EKPKdKPdEviT_PT9_S5_lS7_S5_lPT10_S5_li.uses_flat_scratch, 0
	.set _ZL37rocblas_syrkx_herkx_restricted_kernelIldLi16ELi32ELi8ELi1ELin1ELb0ELc67ELc76EKPKdKPdEviT_PT9_S5_lS7_S5_lPT10_S5_li.has_dyn_sized_stack, 0
	.set _ZL37rocblas_syrkx_herkx_restricted_kernelIldLi16ELi32ELi8ELi1ELin1ELb0ELc67ELc76EKPKdKPdEviT_PT9_S5_lS7_S5_lPT10_S5_li.has_recursion, 0
	.set _ZL37rocblas_syrkx_herkx_restricted_kernelIldLi16ELi32ELi8ELi1ELin1ELb0ELc67ELc76EKPKdKPdEviT_PT9_S5_lS7_S5_lPT10_S5_li.has_indirect_call, 0
	.section	.AMDGPU.csdata,"",@progbits
; Kernel info:
; codeLenInByte = 1396
; TotalNumSgprs: 28
; NumVgprs: 38
; ScratchSize: 0
; MemoryBound: 0
; FloatMode: 240
; IeeeMode: 1
; LDSByteSize: 4096 bytes/workgroup (compile time only)
; SGPRBlocks: 3
; VGPRBlocks: 9
; NumSGPRsForWavesPerEU: 28
; NumVGPRsForWavesPerEU: 38
; Occupancy: 6
; WaveLimiterHint : 1
; COMPUTE_PGM_RSRC2:SCRATCH_EN: 0
; COMPUTE_PGM_RSRC2:USER_SGPR: 6
; COMPUTE_PGM_RSRC2:TRAP_HANDLER: 0
; COMPUTE_PGM_RSRC2:TGID_X_EN: 1
; COMPUTE_PGM_RSRC2:TGID_Y_EN: 1
; COMPUTE_PGM_RSRC2:TGID_Z_EN: 1
; COMPUTE_PGM_RSRC2:TIDIG_COMP_CNT: 1
	.section	.text._ZL37rocblas_syrkx_herkx_restricted_kernelIldLi16ELi32ELi8ELi1ELin1ELb0ELc78ELc76EKPKdKPdEviT_PT9_S5_lS7_S5_lPT10_S5_li,"axG",@progbits,_ZL37rocblas_syrkx_herkx_restricted_kernelIldLi16ELi32ELi8ELi1ELin1ELb0ELc78ELc76EKPKdKPdEviT_PT9_S5_lS7_S5_lPT10_S5_li,comdat
	.globl	_ZL37rocblas_syrkx_herkx_restricted_kernelIldLi16ELi32ELi8ELi1ELin1ELb0ELc78ELc76EKPKdKPdEviT_PT9_S5_lS7_S5_lPT10_S5_li ; -- Begin function _ZL37rocblas_syrkx_herkx_restricted_kernelIldLi16ELi32ELi8ELi1ELin1ELb0ELc78ELc76EKPKdKPdEviT_PT9_S5_lS7_S5_lPT10_S5_li
	.p2align	8
	.type	_ZL37rocblas_syrkx_herkx_restricted_kernelIldLi16ELi32ELi8ELi1ELin1ELb0ELc78ELc76EKPKdKPdEviT_PT9_S5_lS7_S5_lPT10_S5_li,@function
_ZL37rocblas_syrkx_herkx_restricted_kernelIldLi16ELi32ELi8ELi1ELin1ELb0ELc78ELc76EKPKdKPdEviT_PT9_S5_lS7_S5_lPT10_S5_li: ; @_ZL37rocblas_syrkx_herkx_restricted_kernelIldLi16ELi32ELi8ELi1ELin1ELb0ELc78ELc76EKPKdKPdEviT_PT9_S5_lS7_S5_lPT10_S5_li
; %bb.0:
	s_load_dwordx4 s[12:15], s[4:5], 0x40
	s_load_dwordx4 s[16:19], s[4:5], 0x8
	s_mov_b32 s9, 0
	s_lshl_b64 s[10:11], s[8:9], 3
	s_waitcnt lgkmcnt(0)
	s_add_u32 s0, s12, s10
	s_addc_u32 s1, s13, s11
	s_load_dwordx2 s[8:9], s[0:1], 0x0
	v_cmp_lt_i64_e64 s[0:1], s[16:17], 1
	s_lshl_b32 s12, s6, 5
	s_lshl_b32 s13, s7, 5
	s_and_b64 vcc, exec, s[0:1]
	s_cbranch_vccnz .LBB1473_3
; %bb.1:
	s_load_dwordx2 s[6:7], s[4:5], 0x18
	s_load_dwordx4 s[0:3], s[4:5], 0x28
	v_lshl_add_u32 v5, v1, 4, v0
	v_lshrrev_b32_e32 v7, 3, v5
	v_add_u32_e32 v2, s13, v7
	v_and_b32_e32 v6, 7, v0
	v_ashrrev_i32_e32 v3, 31, v2
	s_waitcnt lgkmcnt(0)
	v_mad_u64_u32 v[2:3], s[20:21], s2, v6, v[2:3]
	s_add_u32 s18, s18, s10
	s_addc_u32 s19, s19, s11
	v_mad_u64_u32 v[3:4], s[20:21], s3, v6, v[3:4]
	v_and_b32_e32 v4, 31, v5
	v_lshrrev_b32_e32 v8, 5, v5
	v_lshlrev_b32_e32 v5, 3, v4
	v_add_u32_e32 v4, s12, v4
	s_add_u32 s0, s0, s10
	v_lshl_or_b32 v14, v8, 8, v5
	v_ashrrev_i32_e32 v5, 31, v4
	s_addc_u32 s1, s1, s11
	v_mad_u64_u32 v[4:5], s[10:11], s6, v8, v[4:5]
	v_lshlrev_b32_e32 v6, 3, v6
	v_lshl_or_b32 v6, v7, 6, v6
	v_add_u32_e32 v15, 0x800, v6
	v_mad_u64_u32 v[5:6], s[10:11], s7, v8, v[5:6]
	s_load_dwordx2 s[18:19], s[18:19], 0x0
	v_mov_b32_e32 v6, 0x800
	s_load_dwordx2 s[0:1], s[0:1], 0x0
	v_lshlrev_b64 v[4:5], 3, v[4:5]
	v_lshl_add_u32 v17, v1, 6, v6
	s_waitcnt lgkmcnt(0)
	v_mov_b32_e32 v6, s19
	v_add_co_u32_e32 v4, vcc, s18, v4
	v_lshlrev_b64 v[2:3], 3, v[2:3]
	v_addc_co_u32_e32 v5, vcc, v6, v5, vcc
	v_mov_b32_e32 v7, s1
	v_add_co_u32_e32 v6, vcc, s0, v2
	s_lshl_b64 s[6:7], s[6:7], 6
	v_addc_co_u32_e32 v7, vcc, v7, v3, vcc
	s_lshl_b64 s[2:3], s[2:3], 6
	v_mov_b32_e32 v2, 0
	v_mov_b32_e32 v8, 0
	;; [unrolled: 1-line block ×4, first 2 shown]
	v_lshlrev_b32_e32 v16, 3, v0
	v_mov_b32_e32 v3, 0
	s_mov_b64 s[10:11], 0
	v_mov_b32_e32 v18, s7
	v_mov_b32_e32 v9, 0
	;; [unrolled: 1-line block ×5, first 2 shown]
.LBB1473_2:                             ; =>This Inner Loop Header: Depth=1
	flat_load_dwordx2 v[20:21], v[4:5]
	s_add_u32 s10, s10, 8
	v_add_co_u32_e32 v4, vcc, s6, v4
	s_addc_u32 s11, s11, 0
	v_addc_co_u32_e32 v5, vcc, v5, v18, vcc
	s_waitcnt vmcnt(0) lgkmcnt(0)
	ds_write_b64 v14, v[20:21]
	flat_load_dwordx2 v[20:21], v[6:7]
	v_add_co_u32_e64 v6, s[0:1], s2, v6
	v_addc_co_u32_e64 v7, s[0:1], v7, v19, s[0:1]
	s_waitcnt vmcnt(0) lgkmcnt(0)
	ds_write_b64 v15, v[20:21]
	s_waitcnt lgkmcnt(0)
	s_barrier
	ds_read2_b64 v[20:23], v16 offset1:16
	ds_read_b128 v[24:27], v17
	ds_read_b128 v[28:31], v17 offset:16
	s_waitcnt lgkmcnt(1)
	v_fma_f64 v[36:37], v[20:21], v[24:25], v[12:13]
	v_fma_f64 v[24:25], v[22:23], v[24:25], v[10:11]
	ds_read_b128 v[10:13], v17 offset:1024
	ds_read_b128 v[32:35], v17 offset:1040
	s_waitcnt lgkmcnt(1)
	v_fma_f64 v[20:21], v[20:21], v[10:11], v[8:9]
	v_fma_f64 v[2:3], v[22:23], v[10:11], v[2:3]
	ds_read2_b64 v[8:11], v16 offset0:32 offset1:48
	s_waitcnt lgkmcnt(0)
	v_fma_f64 v[22:23], v[8:9], v[26:27], v[36:37]
	v_fma_f64 v[24:25], v[10:11], v[26:27], v[24:25]
	v_fma_f64 v[20:21], v[8:9], v[12:13], v[20:21]
	v_fma_f64 v[2:3], v[10:11], v[12:13], v[2:3]
	ds_read2_b64 v[8:11], v16 offset0:64 offset1:80
	s_waitcnt lgkmcnt(0)
	v_fma_f64 v[12:13], v[8:9], v[28:29], v[22:23]
	v_fma_f64 v[22:23], v[10:11], v[28:29], v[24:25]
	;; [unrolled: 6-line block ×3, first 2 shown]
	ds_read2_b64 v[20:23], v16 offset0:128 offset1:144
	v_fma_f64 v[36:37], v[8:9], v[34:35], v[24:25]
	v_fma_f64 v[2:3], v[10:11], v[34:35], v[2:3]
	ds_read_b128 v[8:11], v17 offset:32
	ds_read_b128 v[24:27], v17 offset:48
	s_waitcnt lgkmcnt(1)
	v_fma_f64 v[12:13], v[20:21], v[8:9], v[12:13]
	v_fma_f64 v[8:9], v[22:23], v[8:9], v[28:29]
	ds_read_b128 v[28:31], v17 offset:1056
	ds_read_b128 v[32:35], v17 offset:1072
	s_waitcnt lgkmcnt(1)
	v_fma_f64 v[36:37], v[20:21], v[28:29], v[36:37]
	v_fma_f64 v[2:3], v[22:23], v[28:29], v[2:3]
	ds_read2_b64 v[20:23], v16 offset0:160 offset1:176
	s_waitcnt lgkmcnt(0)
	v_fma_f64 v[12:13], v[20:21], v[10:11], v[12:13]
	v_fma_f64 v[28:29], v[22:23], v[10:11], v[8:9]
	;; [unrolled: 1-line block ×4, first 2 shown]
	v_mov_b32_e32 v8, s10
	v_mov_b32_e32 v9, s11
	v_cmp_le_u64_e32 vcc, s[16:17], v[8:9]
	ds_read2_b64 v[8:11], v16 offset0:192 offset1:208
	s_and_b64 vcc, exec, vcc
	s_waitcnt lgkmcnt(0)
	v_fma_f64 v[12:13], v[8:9], v[24:25], v[12:13]
	v_fma_f64 v[24:25], v[10:11], v[24:25], v[28:29]
	;; [unrolled: 1-line block ×4, first 2 shown]
	ds_read2_b64 v[20:23], v16 offset0:224 offset1:240
	s_waitcnt lgkmcnt(0)
	s_barrier
	v_fma_f64 v[12:13], v[20:21], v[26:27], v[12:13]
	v_fma_f64 v[10:11], v[22:23], v[26:27], v[24:25]
	;; [unrolled: 1-line block ×4, first 2 shown]
	s_cbranch_vccz .LBB1473_2
	s_branch .LBB1473_4
.LBB1473_3:
	v_mov_b32_e32 v12, 0
	v_mov_b32_e32 v10, 0
	v_mov_b32_e32 v8, 0
	v_mov_b32_e32 v2, 0
	v_mov_b32_e32 v13, 0
	v_mov_b32_e32 v11, 0
	v_mov_b32_e32 v9, 0
	v_mov_b32_e32 v3, 0
.LBB1473_4:
	v_add_u32_e32 v6, s13, v1
	v_ashrrev_i32_e32 v1, 31, v6
	v_mul_lo_u32 v1, s14, v1
	v_mul_lo_u32 v7, s15, v6
	v_mad_u64_u32 v[4:5], s[0:1], s14, v6, 0
	s_load_dword s4, s[4:5], 0x0
	v_add_u32_e32 v0, s12, v0
	v_add3_u32 v5, v5, v1, v7
	v_lshlrev_b64 v[4:5], 3, v[4:5]
	s_waitcnt lgkmcnt(0)
	v_mov_b32_e32 v1, s9
	v_add_co_u32_e32 v7, vcc, s8, v4
	v_addc_co_u32_e32 v14, vcc, v1, v5, vcc
	v_cmp_le_i32_e64 s[0:1], v6, v0
	v_cmp_gt_i32_e32 vcc, s4, v0
	s_and_b64 s[0:1], s[0:1], vcc
	s_and_saveexec_b64 s[2:3], s[0:1]
	s_cbranch_execz .LBB1473_6
; %bb.5:
	v_ashrrev_i32_e32 v1, 31, v0
	v_lshlrev_b64 v[4:5], 3, v[0:1]
	v_add_co_u32_e64 v4, s[0:1], v7, v4
	v_addc_co_u32_e64 v5, s[0:1], v14, v5, s[0:1]
	flat_load_dwordx2 v[15:16], v[4:5]
	s_waitcnt vmcnt(0) lgkmcnt(0)
	v_add_f64 v[12:13], v[12:13], -v[15:16]
	flat_store_dwordx2 v[4:5], v[12:13]
.LBB1473_6:
	s_or_b64 exec, exec, s[2:3]
	v_add_u32_e32 v4, 16, v0
	v_cmp_le_i32_e64 s[2:3], v6, v4
	v_cmp_gt_i32_e64 s[0:1], s4, v4
	s_and_b64 s[2:3], s[2:3], s[0:1]
	s_and_saveexec_b64 s[4:5], s[2:3]
	s_cbranch_execz .LBB1473_8
; %bb.7:
	v_ashrrev_i32_e32 v5, 31, v4
	v_lshlrev_b64 v[12:13], 3, v[4:5]
	v_add_co_u32_e64 v12, s[2:3], v7, v12
	v_addc_co_u32_e64 v13, s[2:3], v14, v13, s[2:3]
	flat_load_dwordx2 v[14:15], v[12:13]
	s_waitcnt vmcnt(0) lgkmcnt(0)
	v_add_f64 v[10:11], v[10:11], -v[14:15]
	flat_store_dwordx2 v[12:13], v[10:11]
.LBB1473_8:
	s_or_b64 exec, exec, s[4:5]
	v_add_u32_e32 v5, 16, v6
	v_ashrrev_i32_e32 v1, 31, v5
	v_mul_lo_u32 v10, s15, v5
	v_mad_u64_u32 v[6:7], s[2:3], s14, v5, 0
	v_mul_lo_u32 v1, s14, v1
	v_add3_u32 v7, v7, v1, v10
	v_lshlrev_b64 v[6:7], 3, v[6:7]
	v_mov_b32_e32 v1, s9
	v_add_co_u32_e64 v6, s[2:3], s8, v6
	v_addc_co_u32_e64 v7, s[2:3], v1, v7, s[2:3]
	v_cmp_le_i32_e64 s[2:3], v5, v0
	s_and_b64 s[4:5], s[2:3], vcc
	s_and_saveexec_b64 s[2:3], s[4:5]
	s_cbranch_execz .LBB1473_10
; %bb.9:
	v_ashrrev_i32_e32 v1, 31, v0
	v_lshlrev_b64 v[0:1], 3, v[0:1]
	v_add_co_u32_e32 v0, vcc, v6, v0
	v_addc_co_u32_e32 v1, vcc, v7, v1, vcc
	flat_load_dwordx2 v[10:11], v[0:1]
	s_waitcnt vmcnt(0) lgkmcnt(0)
	v_add_f64 v[8:9], v[8:9], -v[10:11]
	flat_store_dwordx2 v[0:1], v[8:9]
.LBB1473_10:
	s_or_b64 exec, exec, s[2:3]
	v_cmp_le_i32_e32 vcc, v5, v4
	s_and_b64 s[0:1], vcc, s[0:1]
	s_and_saveexec_b64 s[2:3], s[0:1]
	s_cbranch_execz .LBB1473_12
; %bb.11:
	v_ashrrev_i32_e32 v5, 31, v4
	v_lshlrev_b64 v[0:1], 3, v[4:5]
	v_add_co_u32_e32 v0, vcc, v6, v0
	v_addc_co_u32_e32 v1, vcc, v7, v1, vcc
	flat_load_dwordx2 v[4:5], v[0:1]
	s_waitcnt vmcnt(0) lgkmcnt(0)
	v_add_f64 v[2:3], v[2:3], -v[4:5]
	flat_store_dwordx2 v[0:1], v[2:3]
.LBB1473_12:
	s_endpgm
	.section	.rodata,"a",@progbits
	.p2align	6, 0x0
	.amdhsa_kernel _ZL37rocblas_syrkx_herkx_restricted_kernelIldLi16ELi32ELi8ELi1ELin1ELb0ELc78ELc76EKPKdKPdEviT_PT9_S5_lS7_S5_lPT10_S5_li
		.amdhsa_group_segment_fixed_size 4096
		.amdhsa_private_segment_fixed_size 0
		.amdhsa_kernarg_size 92
		.amdhsa_user_sgpr_count 6
		.amdhsa_user_sgpr_private_segment_buffer 1
		.amdhsa_user_sgpr_dispatch_ptr 0
		.amdhsa_user_sgpr_queue_ptr 0
		.amdhsa_user_sgpr_kernarg_segment_ptr 1
		.amdhsa_user_sgpr_dispatch_id 0
		.amdhsa_user_sgpr_flat_scratch_init 0
		.amdhsa_user_sgpr_private_segment_size 0
		.amdhsa_uses_dynamic_stack 0
		.amdhsa_system_sgpr_private_segment_wavefront_offset 0
		.amdhsa_system_sgpr_workgroup_id_x 1
		.amdhsa_system_sgpr_workgroup_id_y 1
		.amdhsa_system_sgpr_workgroup_id_z 1
		.amdhsa_system_sgpr_workgroup_info 0
		.amdhsa_system_vgpr_workitem_id 1
		.amdhsa_next_free_vgpr 38
		.amdhsa_next_free_sgpr 22
		.amdhsa_reserve_vcc 1
		.amdhsa_reserve_flat_scratch 0
		.amdhsa_float_round_mode_32 0
		.amdhsa_float_round_mode_16_64 0
		.amdhsa_float_denorm_mode_32 3
		.amdhsa_float_denorm_mode_16_64 3
		.amdhsa_dx10_clamp 1
		.amdhsa_ieee_mode 1
		.amdhsa_fp16_overflow 0
		.amdhsa_exception_fp_ieee_invalid_op 0
		.amdhsa_exception_fp_denorm_src 0
		.amdhsa_exception_fp_ieee_div_zero 0
		.amdhsa_exception_fp_ieee_overflow 0
		.amdhsa_exception_fp_ieee_underflow 0
		.amdhsa_exception_fp_ieee_inexact 0
		.amdhsa_exception_int_div_zero 0
	.end_amdhsa_kernel
	.section	.text._ZL37rocblas_syrkx_herkx_restricted_kernelIldLi16ELi32ELi8ELi1ELin1ELb0ELc78ELc76EKPKdKPdEviT_PT9_S5_lS7_S5_lPT10_S5_li,"axG",@progbits,_ZL37rocblas_syrkx_herkx_restricted_kernelIldLi16ELi32ELi8ELi1ELin1ELb0ELc78ELc76EKPKdKPdEviT_PT9_S5_lS7_S5_lPT10_S5_li,comdat
.Lfunc_end1473:
	.size	_ZL37rocblas_syrkx_herkx_restricted_kernelIldLi16ELi32ELi8ELi1ELin1ELb0ELc78ELc76EKPKdKPdEviT_PT9_S5_lS7_S5_lPT10_S5_li, .Lfunc_end1473-_ZL37rocblas_syrkx_herkx_restricted_kernelIldLi16ELi32ELi8ELi1ELin1ELb0ELc78ELc76EKPKdKPdEviT_PT9_S5_lS7_S5_lPT10_S5_li
                                        ; -- End function
	.set _ZL37rocblas_syrkx_herkx_restricted_kernelIldLi16ELi32ELi8ELi1ELin1ELb0ELc78ELc76EKPKdKPdEviT_PT9_S5_lS7_S5_lPT10_S5_li.num_vgpr, 38
	.set _ZL37rocblas_syrkx_herkx_restricted_kernelIldLi16ELi32ELi8ELi1ELin1ELb0ELc78ELc76EKPKdKPdEviT_PT9_S5_lS7_S5_lPT10_S5_li.num_agpr, 0
	.set _ZL37rocblas_syrkx_herkx_restricted_kernelIldLi16ELi32ELi8ELi1ELin1ELb0ELc78ELc76EKPKdKPdEviT_PT9_S5_lS7_S5_lPT10_S5_li.numbered_sgpr, 22
	.set _ZL37rocblas_syrkx_herkx_restricted_kernelIldLi16ELi32ELi8ELi1ELin1ELb0ELc78ELc76EKPKdKPdEviT_PT9_S5_lS7_S5_lPT10_S5_li.num_named_barrier, 0
	.set _ZL37rocblas_syrkx_herkx_restricted_kernelIldLi16ELi32ELi8ELi1ELin1ELb0ELc78ELc76EKPKdKPdEviT_PT9_S5_lS7_S5_lPT10_S5_li.private_seg_size, 0
	.set _ZL37rocblas_syrkx_herkx_restricted_kernelIldLi16ELi32ELi8ELi1ELin1ELb0ELc78ELc76EKPKdKPdEviT_PT9_S5_lS7_S5_lPT10_S5_li.uses_vcc, 1
	.set _ZL37rocblas_syrkx_herkx_restricted_kernelIldLi16ELi32ELi8ELi1ELin1ELb0ELc78ELc76EKPKdKPdEviT_PT9_S5_lS7_S5_lPT10_S5_li.uses_flat_scratch, 0
	.set _ZL37rocblas_syrkx_herkx_restricted_kernelIldLi16ELi32ELi8ELi1ELin1ELb0ELc78ELc76EKPKdKPdEviT_PT9_S5_lS7_S5_lPT10_S5_li.has_dyn_sized_stack, 0
	.set _ZL37rocblas_syrkx_herkx_restricted_kernelIldLi16ELi32ELi8ELi1ELin1ELb0ELc78ELc76EKPKdKPdEviT_PT9_S5_lS7_S5_lPT10_S5_li.has_recursion, 0
	.set _ZL37rocblas_syrkx_herkx_restricted_kernelIldLi16ELi32ELi8ELi1ELin1ELb0ELc78ELc76EKPKdKPdEviT_PT9_S5_lS7_S5_lPT10_S5_li.has_indirect_call, 0
	.section	.AMDGPU.csdata,"",@progbits
; Kernel info:
; codeLenInByte = 1364
; TotalNumSgprs: 26
; NumVgprs: 38
; ScratchSize: 0
; MemoryBound: 0
; FloatMode: 240
; IeeeMode: 1
; LDSByteSize: 4096 bytes/workgroup (compile time only)
; SGPRBlocks: 3
; VGPRBlocks: 9
; NumSGPRsForWavesPerEU: 26
; NumVGPRsForWavesPerEU: 38
; Occupancy: 6
; WaveLimiterHint : 1
; COMPUTE_PGM_RSRC2:SCRATCH_EN: 0
; COMPUTE_PGM_RSRC2:USER_SGPR: 6
; COMPUTE_PGM_RSRC2:TRAP_HANDLER: 0
; COMPUTE_PGM_RSRC2:TGID_X_EN: 1
; COMPUTE_PGM_RSRC2:TGID_Y_EN: 1
; COMPUTE_PGM_RSRC2:TGID_Z_EN: 1
; COMPUTE_PGM_RSRC2:TIDIG_COMP_CNT: 1
	.section	.text._ZL37rocblas_syrkx_herkx_restricted_kernelIldLi16ELi32ELi8ELi1ELin1ELb0ELc84ELc85EKPKdKPdEviT_PT9_S5_lS7_S5_lPT10_S5_li,"axG",@progbits,_ZL37rocblas_syrkx_herkx_restricted_kernelIldLi16ELi32ELi8ELi1ELin1ELb0ELc84ELc85EKPKdKPdEviT_PT9_S5_lS7_S5_lPT10_S5_li,comdat
	.globl	_ZL37rocblas_syrkx_herkx_restricted_kernelIldLi16ELi32ELi8ELi1ELin1ELb0ELc84ELc85EKPKdKPdEviT_PT9_S5_lS7_S5_lPT10_S5_li ; -- Begin function _ZL37rocblas_syrkx_herkx_restricted_kernelIldLi16ELi32ELi8ELi1ELin1ELb0ELc84ELc85EKPKdKPdEviT_PT9_S5_lS7_S5_lPT10_S5_li
	.p2align	8
	.type	_ZL37rocblas_syrkx_herkx_restricted_kernelIldLi16ELi32ELi8ELi1ELin1ELb0ELc84ELc85EKPKdKPdEviT_PT9_S5_lS7_S5_lPT10_S5_li,@function
_ZL37rocblas_syrkx_herkx_restricted_kernelIldLi16ELi32ELi8ELi1ELin1ELb0ELc84ELc85EKPKdKPdEviT_PT9_S5_lS7_S5_lPT10_S5_li: ; @_ZL37rocblas_syrkx_herkx_restricted_kernelIldLi16ELi32ELi8ELi1ELin1ELb0ELc84ELc85EKPKdKPdEviT_PT9_S5_lS7_S5_lPT10_S5_li
; %bb.0:
	s_load_dwordx4 s[0:3], s[4:5], 0x40
	s_load_dwordx4 s[12:15], s[4:5], 0x8
	s_mov_b32 s9, 0
	s_lshl_b64 s[10:11], s[8:9], 3
	s_waitcnt lgkmcnt(0)
	s_add_u32 s0, s0, s10
	s_addc_u32 s1, s1, s11
	s_load_dwordx2 s[8:9], s[0:1], 0x0
	v_cmp_lt_i64_e64 s[0:1], s[12:13], 1
	s_lshl_b32 s16, s6, 5
	s_lshl_b32 s17, s7, 5
	s_and_b64 vcc, exec, s[0:1]
	s_cbranch_vccnz .LBB1474_3
; %bb.1:
	s_load_dwordx2 s[0:1], s[4:5], 0x18
	s_load_dwordx4 s[20:23], s[4:5], 0x28
	v_lshl_add_u32 v4, v1, 4, v0
	v_lshrrev_b32_e32 v8, 3, v4
	v_add_u32_e32 v5, s17, v8
	s_add_u32 s6, s14, s10
	v_ashrrev_i32_e32 v6, 31, v5
	v_and_b32_e32 v2, 7, v0
	v_mov_b32_e32 v3, 0
	s_addc_u32 s7, s15, s11
	s_waitcnt lgkmcnt(0)
	v_mul_lo_u32 v9, s22, v6
	v_mul_lo_u32 v10, s23, v5
	v_mad_u64_u32 v[6:7], s[14:15], s22, v5, v[2:3]
	v_lshlrev_b32_e32 v2, 3, v2
	v_lshl_or_b32 v2, v8, 6, v2
	v_add3_u32 v7, v10, v7, v9
	v_and_b32_e32 v9, 31, v4
	v_add_u32_e32 v8, s16, v9
	v_lshrrev_b32_e32 v4, 5, v4
	v_mov_b32_e32 v5, v3
	v_lshlrev_b32_e32 v3, 3, v9
	v_add_u32_e32 v15, 0x800, v2
	v_ashrrev_i32_e32 v2, 31, v8
	v_lshl_or_b32 v14, v4, 8, v3
	v_mul_lo_u32 v9, s0, v2
	v_mad_u64_u32 v[2:3], s[14:15], s0, v8, v[4:5]
	v_mul_lo_u32 v4, s1, v8
	s_load_dwordx2 s[6:7], s[6:7], 0x0
	s_add_u32 s10, s20, s10
	s_addc_u32 s11, s21, s11
	v_add3_u32 v3, v4, v3, v9
	s_load_dwordx2 s[10:11], s[10:11], 0x0
	v_lshlrev_b64 v[2:3], 3, v[2:3]
	v_mov_b32_e32 v5, 0x800
	v_lshl_add_u32 v17, v1, 6, v5
	s_waitcnt lgkmcnt(0)
	v_mov_b32_e32 v5, s7
	v_add_co_u32_e32 v4, vcc, s6, v2
	v_addc_co_u32_e32 v5, vcc, v5, v3, vcc
	v_lshlrev_b64 v[2:3], 3, v[6:7]
	v_mov_b32_e32 v7, s11
	v_add_co_u32_e32 v6, vcc, s10, v2
	v_addc_co_u32_e32 v7, vcc, v7, v3, vcc
	v_mov_b32_e32 v2, 0
	v_mov_b32_e32 v8, 0
	;; [unrolled: 1-line block ×4, first 2 shown]
	v_lshlrev_b32_e32 v16, 3, v0
	v_mov_b32_e32 v3, 0
	v_mov_b32_e32 v9, 0
	;; [unrolled: 1-line block ×4, first 2 shown]
	s_mov_b64 s[6:7], 0
.LBB1474_2:                             ; =>This Inner Loop Header: Depth=1
	flat_load_dwordx2 v[18:19], v[4:5]
	s_add_u32 s6, s6, 8
	s_addc_u32 s7, s7, 0
	v_add_co_u32_e64 v4, s[0:1], 64, v4
	v_addc_co_u32_e64 v5, s[0:1], 0, v5, s[0:1]
	s_waitcnt vmcnt(0) lgkmcnt(0)
	ds_write_b64 v14, v[18:19]
	flat_load_dwordx2 v[18:19], v[6:7]
	v_add_co_u32_e64 v6, s[0:1], 64, v6
	v_addc_co_u32_e64 v7, s[0:1], 0, v7, s[0:1]
	s_waitcnt vmcnt(0) lgkmcnt(0)
	ds_write_b64 v15, v[18:19]
	s_waitcnt lgkmcnt(0)
	s_barrier
	ds_read2_b64 v[18:21], v16 offset1:16
	ds_read_b128 v[22:25], v17
	ds_read_b128 v[26:29], v17 offset:1024
	ds_read_b128 v[30:33], v17 offset:16
	s_waitcnt lgkmcnt(2)
	v_fma_f64 v[34:35], v[18:19], v[22:23], v[12:13]
	v_fma_f64 v[22:23], v[20:21], v[22:23], v[10:11]
	s_waitcnt lgkmcnt(1)
	v_fma_f64 v[8:9], v[18:19], v[26:27], v[8:9]
	v_fma_f64 v[2:3], v[20:21], v[26:27], v[2:3]
	ds_read2_b64 v[18:21], v16 offset0:32 offset1:48
	ds_read_b128 v[10:13], v17 offset:1040
	s_waitcnt lgkmcnt(1)
	v_fma_f64 v[26:27], v[18:19], v[24:25], v[34:35]
	v_fma_f64 v[34:35], v[20:21], v[24:25], v[22:23]
	;; [unrolled: 1-line block ×4, first 2 shown]
	ds_read2_b64 v[18:21], v16 offset0:64 offset1:80
	ds_read2_b64 v[22:25], v16 offset0:96 offset1:112
	s_waitcnt lgkmcnt(1)
	v_fma_f64 v[26:27], v[18:19], v[30:31], v[26:27]
	v_fma_f64 v[28:29], v[20:21], v[30:31], v[34:35]
	;; [unrolled: 1-line block ×4, first 2 shown]
	ds_read2_b64 v[8:11], v16 offset0:128 offset1:144
	ds_read_b128 v[18:21], v17 offset:32
	s_waitcnt lgkmcnt(2)
	v_fma_f64 v[34:35], v[22:23], v[32:33], v[26:27]
	v_fma_f64 v[32:33], v[24:25], v[32:33], v[28:29]
	;; [unrolled: 1-line block ×4, first 2 shown]
	ds_read_b128 v[22:25], v17 offset:1056
	ds_read_b128 v[26:29], v17 offset:48
	s_waitcnt lgkmcnt(2)
	v_fma_f64 v[12:13], v[8:9], v[18:19], v[34:35]
	v_fma_f64 v[18:19], v[10:11], v[18:19], v[32:33]
	s_waitcnt lgkmcnt(1)
	v_fma_f64 v[34:35], v[8:9], v[22:23], v[36:37]
	v_fma_f64 v[2:3], v[10:11], v[22:23], v[2:3]
	ds_read2_b64 v[8:11], v16 offset0:160 offset1:176
	ds_read_b128 v[30:33], v17 offset:1072
	s_waitcnt lgkmcnt(1)
	v_fma_f64 v[12:13], v[8:9], v[20:21], v[12:13]
	v_fma_f64 v[18:19], v[10:11], v[20:21], v[18:19]
	v_mov_b32_e32 v21, s7
	v_mov_b32_e32 v20, s6
	v_cmp_le_u64_e32 vcc, s[12:13], v[20:21]
	v_fma_f64 v[20:21], v[8:9], v[24:25], v[34:35]
	v_fma_f64 v[2:3], v[10:11], v[24:25], v[2:3]
	ds_read2_b64 v[8:11], v16 offset0:192 offset1:208
	s_and_b64 vcc, exec, vcc
	s_waitcnt lgkmcnt(0)
	v_fma_f64 v[12:13], v[8:9], v[26:27], v[12:13]
	v_fma_f64 v[22:23], v[10:11], v[26:27], v[18:19]
	;; [unrolled: 1-line block ×4, first 2 shown]
	ds_read2_b64 v[18:21], v16 offset0:224 offset1:240
	s_waitcnt lgkmcnt(0)
	s_barrier
	v_fma_f64 v[12:13], v[18:19], v[28:29], v[12:13]
	v_fma_f64 v[10:11], v[20:21], v[28:29], v[22:23]
	;; [unrolled: 1-line block ×4, first 2 shown]
	s_cbranch_vccz .LBB1474_2
	s_branch .LBB1474_4
.LBB1474_3:
	v_mov_b32_e32 v12, 0
	v_mov_b32_e32 v10, 0
	;; [unrolled: 1-line block ×8, first 2 shown]
.LBB1474_4:
	v_add_u32_e32 v6, s17, v1
	v_ashrrev_i32_e32 v1, 31, v6
	v_mul_lo_u32 v1, s2, v1
	v_mul_lo_u32 v7, s3, v6
	v_mad_u64_u32 v[4:5], s[0:1], s2, v6, 0
	s_load_dword s6, s[4:5], 0x0
	v_add_u32_e32 v0, s16, v0
	v_add3_u32 v5, v5, v1, v7
	v_lshlrev_b64 v[4:5], 3, v[4:5]
	s_waitcnt lgkmcnt(0)
	v_mov_b32_e32 v1, s9
	v_add_co_u32_e64 v7, s[0:1], s8, v4
	v_addc_co_u32_e64 v14, s[0:1], v1, v5, s[0:1]
	v_cmp_gt_i32_e32 vcc, s6, v6
	v_cmp_le_i32_e64 s[0:1], v0, v6
	s_and_b64 s[0:1], vcc, s[0:1]
	s_and_saveexec_b64 s[4:5], s[0:1]
	s_cbranch_execz .LBB1474_6
; %bb.5:
	v_ashrrev_i32_e32 v1, 31, v0
	v_lshlrev_b64 v[4:5], 3, v[0:1]
	v_add_co_u32_e64 v4, s[0:1], v7, v4
	v_addc_co_u32_e64 v5, s[0:1], v14, v5, s[0:1]
	flat_load_dwordx2 v[15:16], v[4:5]
	s_waitcnt vmcnt(0) lgkmcnt(0)
	v_add_f64 v[12:13], v[12:13], -v[15:16]
	flat_store_dwordx2 v[4:5], v[12:13]
.LBB1474_6:
	s_or_b64 exec, exec, s[4:5]
	v_add_u32_e32 v4, 16, v0
	v_cmp_le_i32_e64 s[0:1], v4, v6
	s_and_b64 s[4:5], vcc, s[0:1]
	s_and_saveexec_b64 s[0:1], s[4:5]
	s_cbranch_execz .LBB1474_8
; %bb.7:
	v_ashrrev_i32_e32 v5, 31, v4
	v_lshlrev_b64 v[12:13], 3, v[4:5]
	v_add_co_u32_e32 v12, vcc, v7, v12
	v_addc_co_u32_e32 v13, vcc, v14, v13, vcc
	flat_load_dwordx2 v[14:15], v[12:13]
	s_waitcnt vmcnt(0) lgkmcnt(0)
	v_add_f64 v[10:11], v[10:11], -v[14:15]
	flat_store_dwordx2 v[12:13], v[10:11]
.LBB1474_8:
	s_or_b64 exec, exec, s[0:1]
	v_add_u32_e32 v5, 16, v6
	v_ashrrev_i32_e32 v1, 31, v5
	v_mul_lo_u32 v1, s2, v1
	v_mul_lo_u32 v10, s3, v5
	v_mad_u64_u32 v[6:7], s[0:1], s2, v5, 0
	v_cmp_gt_i32_e32 vcc, s6, v5
	v_add3_u32 v7, v7, v1, v10
	v_lshlrev_b64 v[6:7], 3, v[6:7]
	v_mov_b32_e32 v1, s9
	v_add_co_u32_e64 v6, s[0:1], s8, v6
	v_addc_co_u32_e64 v7, s[0:1], v1, v7, s[0:1]
	v_cmp_le_i32_e64 s[0:1], v0, v5
	s_and_b64 s[0:1], vcc, s[0:1]
	s_and_saveexec_b64 s[2:3], s[0:1]
	s_cbranch_execz .LBB1474_10
; %bb.9:
	v_ashrrev_i32_e32 v1, 31, v0
	v_lshlrev_b64 v[0:1], 3, v[0:1]
	v_add_co_u32_e64 v0, s[0:1], v6, v0
	v_addc_co_u32_e64 v1, s[0:1], v7, v1, s[0:1]
	flat_load_dwordx2 v[10:11], v[0:1]
	s_waitcnt vmcnt(0) lgkmcnt(0)
	v_add_f64 v[8:9], v[8:9], -v[10:11]
	flat_store_dwordx2 v[0:1], v[8:9]
.LBB1474_10:
	s_or_b64 exec, exec, s[2:3]
	v_cmp_le_i32_e64 s[0:1], v4, v5
	s_and_b64 s[0:1], vcc, s[0:1]
	s_and_saveexec_b64 s[2:3], s[0:1]
	s_cbranch_execz .LBB1474_12
; %bb.11:
	v_ashrrev_i32_e32 v5, 31, v4
	v_lshlrev_b64 v[0:1], 3, v[4:5]
	v_add_co_u32_e32 v0, vcc, v6, v0
	v_addc_co_u32_e32 v1, vcc, v7, v1, vcc
	flat_load_dwordx2 v[4:5], v[0:1]
	s_waitcnt vmcnt(0) lgkmcnt(0)
	v_add_f64 v[2:3], v[2:3], -v[4:5]
	flat_store_dwordx2 v[0:1], v[2:3]
.LBB1474_12:
	s_endpgm
	.section	.rodata,"a",@progbits
	.p2align	6, 0x0
	.amdhsa_kernel _ZL37rocblas_syrkx_herkx_restricted_kernelIldLi16ELi32ELi8ELi1ELin1ELb0ELc84ELc85EKPKdKPdEviT_PT9_S5_lS7_S5_lPT10_S5_li
		.amdhsa_group_segment_fixed_size 4096
		.amdhsa_private_segment_fixed_size 0
		.amdhsa_kernarg_size 92
		.amdhsa_user_sgpr_count 6
		.amdhsa_user_sgpr_private_segment_buffer 1
		.amdhsa_user_sgpr_dispatch_ptr 0
		.amdhsa_user_sgpr_queue_ptr 0
		.amdhsa_user_sgpr_kernarg_segment_ptr 1
		.amdhsa_user_sgpr_dispatch_id 0
		.amdhsa_user_sgpr_flat_scratch_init 0
		.amdhsa_user_sgpr_private_segment_size 0
		.amdhsa_uses_dynamic_stack 0
		.amdhsa_system_sgpr_private_segment_wavefront_offset 0
		.amdhsa_system_sgpr_workgroup_id_x 1
		.amdhsa_system_sgpr_workgroup_id_y 1
		.amdhsa_system_sgpr_workgroup_id_z 1
		.amdhsa_system_sgpr_workgroup_info 0
		.amdhsa_system_vgpr_workitem_id 1
		.amdhsa_next_free_vgpr 38
		.amdhsa_next_free_sgpr 24
		.amdhsa_reserve_vcc 1
		.amdhsa_reserve_flat_scratch 0
		.amdhsa_float_round_mode_32 0
		.amdhsa_float_round_mode_16_64 0
		.amdhsa_float_denorm_mode_32 3
		.amdhsa_float_denorm_mode_16_64 3
		.amdhsa_dx10_clamp 1
		.amdhsa_ieee_mode 1
		.amdhsa_fp16_overflow 0
		.amdhsa_exception_fp_ieee_invalid_op 0
		.amdhsa_exception_fp_denorm_src 0
		.amdhsa_exception_fp_ieee_div_zero 0
		.amdhsa_exception_fp_ieee_overflow 0
		.amdhsa_exception_fp_ieee_underflow 0
		.amdhsa_exception_fp_ieee_inexact 0
		.amdhsa_exception_int_div_zero 0
	.end_amdhsa_kernel
	.section	.text._ZL37rocblas_syrkx_herkx_restricted_kernelIldLi16ELi32ELi8ELi1ELin1ELb0ELc84ELc85EKPKdKPdEviT_PT9_S5_lS7_S5_lPT10_S5_li,"axG",@progbits,_ZL37rocblas_syrkx_herkx_restricted_kernelIldLi16ELi32ELi8ELi1ELin1ELb0ELc84ELc85EKPKdKPdEviT_PT9_S5_lS7_S5_lPT10_S5_li,comdat
.Lfunc_end1474:
	.size	_ZL37rocblas_syrkx_herkx_restricted_kernelIldLi16ELi32ELi8ELi1ELin1ELb0ELc84ELc85EKPKdKPdEviT_PT9_S5_lS7_S5_lPT10_S5_li, .Lfunc_end1474-_ZL37rocblas_syrkx_herkx_restricted_kernelIldLi16ELi32ELi8ELi1ELin1ELb0ELc84ELc85EKPKdKPdEviT_PT9_S5_lS7_S5_lPT10_S5_li
                                        ; -- End function
	.set _ZL37rocblas_syrkx_herkx_restricted_kernelIldLi16ELi32ELi8ELi1ELin1ELb0ELc84ELc85EKPKdKPdEviT_PT9_S5_lS7_S5_lPT10_S5_li.num_vgpr, 38
	.set _ZL37rocblas_syrkx_herkx_restricted_kernelIldLi16ELi32ELi8ELi1ELin1ELb0ELc84ELc85EKPKdKPdEviT_PT9_S5_lS7_S5_lPT10_S5_li.num_agpr, 0
	.set _ZL37rocblas_syrkx_herkx_restricted_kernelIldLi16ELi32ELi8ELi1ELin1ELb0ELc84ELc85EKPKdKPdEviT_PT9_S5_lS7_S5_lPT10_S5_li.numbered_sgpr, 24
	.set _ZL37rocblas_syrkx_herkx_restricted_kernelIldLi16ELi32ELi8ELi1ELin1ELb0ELc84ELc85EKPKdKPdEviT_PT9_S5_lS7_S5_lPT10_S5_li.num_named_barrier, 0
	.set _ZL37rocblas_syrkx_herkx_restricted_kernelIldLi16ELi32ELi8ELi1ELin1ELb0ELc84ELc85EKPKdKPdEviT_PT9_S5_lS7_S5_lPT10_S5_li.private_seg_size, 0
	.set _ZL37rocblas_syrkx_herkx_restricted_kernelIldLi16ELi32ELi8ELi1ELin1ELb0ELc84ELc85EKPKdKPdEviT_PT9_S5_lS7_S5_lPT10_S5_li.uses_vcc, 1
	.set _ZL37rocblas_syrkx_herkx_restricted_kernelIldLi16ELi32ELi8ELi1ELin1ELb0ELc84ELc85EKPKdKPdEviT_PT9_S5_lS7_S5_lPT10_S5_li.uses_flat_scratch, 0
	.set _ZL37rocblas_syrkx_herkx_restricted_kernelIldLi16ELi32ELi8ELi1ELin1ELb0ELc84ELc85EKPKdKPdEviT_PT9_S5_lS7_S5_lPT10_S5_li.has_dyn_sized_stack, 0
	.set _ZL37rocblas_syrkx_herkx_restricted_kernelIldLi16ELi32ELi8ELi1ELin1ELb0ELc84ELc85EKPKdKPdEviT_PT9_S5_lS7_S5_lPT10_S5_li.has_recursion, 0
	.set _ZL37rocblas_syrkx_herkx_restricted_kernelIldLi16ELi32ELi8ELi1ELin1ELb0ELc84ELc85EKPKdKPdEviT_PT9_S5_lS7_S5_lPT10_S5_li.has_indirect_call, 0
	.section	.AMDGPU.csdata,"",@progbits
; Kernel info:
; codeLenInByte = 1404
; TotalNumSgprs: 28
; NumVgprs: 38
; ScratchSize: 0
; MemoryBound: 0
; FloatMode: 240
; IeeeMode: 1
; LDSByteSize: 4096 bytes/workgroup (compile time only)
; SGPRBlocks: 3
; VGPRBlocks: 9
; NumSGPRsForWavesPerEU: 28
; NumVGPRsForWavesPerEU: 38
; Occupancy: 6
; WaveLimiterHint : 1
; COMPUTE_PGM_RSRC2:SCRATCH_EN: 0
; COMPUTE_PGM_RSRC2:USER_SGPR: 6
; COMPUTE_PGM_RSRC2:TRAP_HANDLER: 0
; COMPUTE_PGM_RSRC2:TGID_X_EN: 1
; COMPUTE_PGM_RSRC2:TGID_Y_EN: 1
; COMPUTE_PGM_RSRC2:TGID_Z_EN: 1
; COMPUTE_PGM_RSRC2:TIDIG_COMP_CNT: 1
	.section	.text._ZL37rocblas_syrkx_herkx_restricted_kernelIldLi16ELi32ELi8ELi1ELin1ELb0ELc67ELc85EKPKdKPdEviT_PT9_S5_lS7_S5_lPT10_S5_li,"axG",@progbits,_ZL37rocblas_syrkx_herkx_restricted_kernelIldLi16ELi32ELi8ELi1ELin1ELb0ELc67ELc85EKPKdKPdEviT_PT9_S5_lS7_S5_lPT10_S5_li,comdat
	.globl	_ZL37rocblas_syrkx_herkx_restricted_kernelIldLi16ELi32ELi8ELi1ELin1ELb0ELc67ELc85EKPKdKPdEviT_PT9_S5_lS7_S5_lPT10_S5_li ; -- Begin function _ZL37rocblas_syrkx_herkx_restricted_kernelIldLi16ELi32ELi8ELi1ELin1ELb0ELc67ELc85EKPKdKPdEviT_PT9_S5_lS7_S5_lPT10_S5_li
	.p2align	8
	.type	_ZL37rocblas_syrkx_herkx_restricted_kernelIldLi16ELi32ELi8ELi1ELin1ELb0ELc67ELc85EKPKdKPdEviT_PT9_S5_lS7_S5_lPT10_S5_li,@function
_ZL37rocblas_syrkx_herkx_restricted_kernelIldLi16ELi32ELi8ELi1ELin1ELb0ELc67ELc85EKPKdKPdEviT_PT9_S5_lS7_S5_lPT10_S5_li: ; @_ZL37rocblas_syrkx_herkx_restricted_kernelIldLi16ELi32ELi8ELi1ELin1ELb0ELc67ELc85EKPKdKPdEviT_PT9_S5_lS7_S5_lPT10_S5_li
; %bb.0:
	s_load_dwordx4 s[0:3], s[4:5], 0x40
	s_load_dwordx4 s[12:15], s[4:5], 0x8
	s_mov_b32 s9, 0
	s_lshl_b64 s[10:11], s[8:9], 3
	s_waitcnt lgkmcnt(0)
	s_add_u32 s0, s0, s10
	s_addc_u32 s1, s1, s11
	s_load_dwordx2 s[8:9], s[0:1], 0x0
	v_cmp_lt_i64_e64 s[0:1], s[12:13], 1
	s_lshl_b32 s16, s6, 5
	s_lshl_b32 s17, s7, 5
	s_and_b64 vcc, exec, s[0:1]
	s_cbranch_vccnz .LBB1475_3
; %bb.1:
	s_load_dwordx2 s[0:1], s[4:5], 0x18
	s_load_dwordx4 s[20:23], s[4:5], 0x28
	v_lshl_add_u32 v4, v1, 4, v0
	v_lshrrev_b32_e32 v8, 3, v4
	v_add_u32_e32 v5, s17, v8
	s_add_u32 s6, s14, s10
	v_ashrrev_i32_e32 v6, 31, v5
	v_and_b32_e32 v2, 7, v0
	v_mov_b32_e32 v3, 0
	s_addc_u32 s7, s15, s11
	s_waitcnt lgkmcnt(0)
	v_mul_lo_u32 v9, s22, v6
	v_mul_lo_u32 v10, s23, v5
	v_mad_u64_u32 v[6:7], s[14:15], s22, v5, v[2:3]
	v_lshlrev_b32_e32 v2, 3, v2
	v_lshl_or_b32 v2, v8, 6, v2
	v_add3_u32 v7, v10, v7, v9
	v_and_b32_e32 v9, 31, v4
	v_add_u32_e32 v8, s16, v9
	v_lshrrev_b32_e32 v4, 5, v4
	v_mov_b32_e32 v5, v3
	v_lshlrev_b32_e32 v3, 3, v9
	v_add_u32_e32 v15, 0x800, v2
	v_ashrrev_i32_e32 v2, 31, v8
	v_lshl_or_b32 v14, v4, 8, v3
	v_mul_lo_u32 v9, s0, v2
	v_mad_u64_u32 v[2:3], s[14:15], s0, v8, v[4:5]
	v_mul_lo_u32 v4, s1, v8
	s_load_dwordx2 s[6:7], s[6:7], 0x0
	s_add_u32 s10, s20, s10
	s_addc_u32 s11, s21, s11
	v_add3_u32 v3, v4, v3, v9
	s_load_dwordx2 s[10:11], s[10:11], 0x0
	v_lshlrev_b64 v[2:3], 3, v[2:3]
	v_mov_b32_e32 v5, 0x800
	v_lshl_add_u32 v17, v1, 6, v5
	s_waitcnt lgkmcnt(0)
	v_mov_b32_e32 v5, s7
	v_add_co_u32_e32 v4, vcc, s6, v2
	v_addc_co_u32_e32 v5, vcc, v5, v3, vcc
	v_lshlrev_b64 v[2:3], 3, v[6:7]
	v_mov_b32_e32 v7, s11
	v_add_co_u32_e32 v6, vcc, s10, v2
	v_addc_co_u32_e32 v7, vcc, v7, v3, vcc
	v_mov_b32_e32 v2, 0
	v_mov_b32_e32 v8, 0
	;; [unrolled: 1-line block ×4, first 2 shown]
	v_lshlrev_b32_e32 v16, 3, v0
	v_mov_b32_e32 v3, 0
	v_mov_b32_e32 v9, 0
	v_mov_b32_e32 v11, 0
	v_mov_b32_e32 v13, 0
	s_mov_b64 s[6:7], 0
.LBB1475_2:                             ; =>This Inner Loop Header: Depth=1
	flat_load_dwordx2 v[18:19], v[4:5]
	s_add_u32 s6, s6, 8
	s_addc_u32 s7, s7, 0
	v_add_co_u32_e64 v4, s[0:1], 64, v4
	v_addc_co_u32_e64 v5, s[0:1], 0, v5, s[0:1]
	s_waitcnt vmcnt(0) lgkmcnt(0)
	ds_write_b64 v14, v[18:19]
	flat_load_dwordx2 v[18:19], v[6:7]
	v_add_co_u32_e64 v6, s[0:1], 64, v6
	v_addc_co_u32_e64 v7, s[0:1], 0, v7, s[0:1]
	s_waitcnt vmcnt(0) lgkmcnt(0)
	ds_write_b64 v15, v[18:19]
	s_waitcnt lgkmcnt(0)
	s_barrier
	ds_read2_b64 v[18:21], v16 offset1:16
	ds_read_b128 v[22:25], v17
	ds_read_b128 v[26:29], v17 offset:1024
	ds_read_b128 v[30:33], v17 offset:16
	s_waitcnt lgkmcnt(2)
	v_fma_f64 v[34:35], v[18:19], v[22:23], v[12:13]
	v_fma_f64 v[22:23], v[20:21], v[22:23], v[10:11]
	s_waitcnt lgkmcnt(1)
	v_fma_f64 v[8:9], v[18:19], v[26:27], v[8:9]
	v_fma_f64 v[2:3], v[20:21], v[26:27], v[2:3]
	ds_read2_b64 v[18:21], v16 offset0:32 offset1:48
	ds_read_b128 v[10:13], v17 offset:1040
	s_waitcnt lgkmcnt(1)
	v_fma_f64 v[26:27], v[18:19], v[24:25], v[34:35]
	v_fma_f64 v[34:35], v[20:21], v[24:25], v[22:23]
	;; [unrolled: 1-line block ×4, first 2 shown]
	ds_read2_b64 v[18:21], v16 offset0:64 offset1:80
	ds_read2_b64 v[22:25], v16 offset0:96 offset1:112
	s_waitcnt lgkmcnt(1)
	v_fma_f64 v[26:27], v[18:19], v[30:31], v[26:27]
	v_fma_f64 v[28:29], v[20:21], v[30:31], v[34:35]
	;; [unrolled: 1-line block ×4, first 2 shown]
	ds_read2_b64 v[8:11], v16 offset0:128 offset1:144
	ds_read_b128 v[18:21], v17 offset:32
	s_waitcnt lgkmcnt(2)
	v_fma_f64 v[34:35], v[22:23], v[32:33], v[26:27]
	v_fma_f64 v[32:33], v[24:25], v[32:33], v[28:29]
	;; [unrolled: 1-line block ×4, first 2 shown]
	ds_read_b128 v[22:25], v17 offset:1056
	ds_read_b128 v[26:29], v17 offset:48
	s_waitcnt lgkmcnt(2)
	v_fma_f64 v[12:13], v[8:9], v[18:19], v[34:35]
	v_fma_f64 v[18:19], v[10:11], v[18:19], v[32:33]
	s_waitcnt lgkmcnt(1)
	v_fma_f64 v[34:35], v[8:9], v[22:23], v[36:37]
	v_fma_f64 v[2:3], v[10:11], v[22:23], v[2:3]
	ds_read2_b64 v[8:11], v16 offset0:160 offset1:176
	ds_read_b128 v[30:33], v17 offset:1072
	s_waitcnt lgkmcnt(1)
	v_fma_f64 v[12:13], v[8:9], v[20:21], v[12:13]
	v_fma_f64 v[18:19], v[10:11], v[20:21], v[18:19]
	v_mov_b32_e32 v21, s7
	v_mov_b32_e32 v20, s6
	v_cmp_le_u64_e32 vcc, s[12:13], v[20:21]
	v_fma_f64 v[20:21], v[8:9], v[24:25], v[34:35]
	v_fma_f64 v[2:3], v[10:11], v[24:25], v[2:3]
	ds_read2_b64 v[8:11], v16 offset0:192 offset1:208
	s_and_b64 vcc, exec, vcc
	s_waitcnt lgkmcnt(0)
	v_fma_f64 v[12:13], v[8:9], v[26:27], v[12:13]
	v_fma_f64 v[22:23], v[10:11], v[26:27], v[18:19]
	;; [unrolled: 1-line block ×4, first 2 shown]
	ds_read2_b64 v[18:21], v16 offset0:224 offset1:240
	s_waitcnt lgkmcnt(0)
	s_barrier
	v_fma_f64 v[12:13], v[18:19], v[28:29], v[12:13]
	v_fma_f64 v[10:11], v[20:21], v[28:29], v[22:23]
	v_fma_f64 v[8:9], v[18:19], v[32:33], v[8:9]
	v_fma_f64 v[2:3], v[20:21], v[32:33], v[2:3]
	s_cbranch_vccz .LBB1475_2
	s_branch .LBB1475_4
.LBB1475_3:
	v_mov_b32_e32 v12, 0
	v_mov_b32_e32 v10, 0
	;; [unrolled: 1-line block ×8, first 2 shown]
.LBB1475_4:
	v_add_u32_e32 v6, s17, v1
	v_ashrrev_i32_e32 v1, 31, v6
	v_mul_lo_u32 v1, s2, v1
	v_mul_lo_u32 v7, s3, v6
	v_mad_u64_u32 v[4:5], s[0:1], s2, v6, 0
	s_load_dword s6, s[4:5], 0x0
	v_add_u32_e32 v0, s16, v0
	v_add3_u32 v5, v5, v1, v7
	v_lshlrev_b64 v[4:5], 3, v[4:5]
	s_waitcnt lgkmcnt(0)
	v_mov_b32_e32 v1, s9
	v_add_co_u32_e64 v7, s[0:1], s8, v4
	v_addc_co_u32_e64 v14, s[0:1], v1, v5, s[0:1]
	v_cmp_gt_i32_e32 vcc, s6, v6
	v_cmp_le_i32_e64 s[0:1], v0, v6
	s_and_b64 s[0:1], vcc, s[0:1]
	s_and_saveexec_b64 s[4:5], s[0:1]
	s_cbranch_execz .LBB1475_6
; %bb.5:
	v_ashrrev_i32_e32 v1, 31, v0
	v_lshlrev_b64 v[4:5], 3, v[0:1]
	v_add_co_u32_e64 v4, s[0:1], v7, v4
	v_addc_co_u32_e64 v5, s[0:1], v14, v5, s[0:1]
	flat_load_dwordx2 v[15:16], v[4:5]
	s_waitcnt vmcnt(0) lgkmcnt(0)
	v_add_f64 v[12:13], v[12:13], -v[15:16]
	flat_store_dwordx2 v[4:5], v[12:13]
.LBB1475_6:
	s_or_b64 exec, exec, s[4:5]
	v_add_u32_e32 v4, 16, v0
	v_cmp_le_i32_e64 s[0:1], v4, v6
	s_and_b64 s[4:5], vcc, s[0:1]
	s_and_saveexec_b64 s[0:1], s[4:5]
	s_cbranch_execz .LBB1475_8
; %bb.7:
	v_ashrrev_i32_e32 v5, 31, v4
	v_lshlrev_b64 v[12:13], 3, v[4:5]
	v_add_co_u32_e32 v12, vcc, v7, v12
	v_addc_co_u32_e32 v13, vcc, v14, v13, vcc
	flat_load_dwordx2 v[14:15], v[12:13]
	s_waitcnt vmcnt(0) lgkmcnt(0)
	v_add_f64 v[10:11], v[10:11], -v[14:15]
	flat_store_dwordx2 v[12:13], v[10:11]
.LBB1475_8:
	s_or_b64 exec, exec, s[0:1]
	v_add_u32_e32 v5, 16, v6
	v_ashrrev_i32_e32 v1, 31, v5
	v_mul_lo_u32 v1, s2, v1
	v_mul_lo_u32 v10, s3, v5
	v_mad_u64_u32 v[6:7], s[0:1], s2, v5, 0
	v_cmp_gt_i32_e32 vcc, s6, v5
	v_add3_u32 v7, v7, v1, v10
	v_lshlrev_b64 v[6:7], 3, v[6:7]
	v_mov_b32_e32 v1, s9
	v_add_co_u32_e64 v6, s[0:1], s8, v6
	v_addc_co_u32_e64 v7, s[0:1], v1, v7, s[0:1]
	v_cmp_le_i32_e64 s[0:1], v0, v5
	s_and_b64 s[0:1], vcc, s[0:1]
	s_and_saveexec_b64 s[2:3], s[0:1]
	s_cbranch_execz .LBB1475_10
; %bb.9:
	v_ashrrev_i32_e32 v1, 31, v0
	v_lshlrev_b64 v[0:1], 3, v[0:1]
	v_add_co_u32_e64 v0, s[0:1], v6, v0
	v_addc_co_u32_e64 v1, s[0:1], v7, v1, s[0:1]
	flat_load_dwordx2 v[10:11], v[0:1]
	s_waitcnt vmcnt(0) lgkmcnt(0)
	v_add_f64 v[8:9], v[8:9], -v[10:11]
	flat_store_dwordx2 v[0:1], v[8:9]
.LBB1475_10:
	s_or_b64 exec, exec, s[2:3]
	v_cmp_le_i32_e64 s[0:1], v4, v5
	s_and_b64 s[0:1], vcc, s[0:1]
	s_and_saveexec_b64 s[2:3], s[0:1]
	s_cbranch_execz .LBB1475_12
; %bb.11:
	v_ashrrev_i32_e32 v5, 31, v4
	v_lshlrev_b64 v[0:1], 3, v[4:5]
	v_add_co_u32_e32 v0, vcc, v6, v0
	v_addc_co_u32_e32 v1, vcc, v7, v1, vcc
	flat_load_dwordx2 v[4:5], v[0:1]
	s_waitcnt vmcnt(0) lgkmcnt(0)
	v_add_f64 v[2:3], v[2:3], -v[4:5]
	flat_store_dwordx2 v[0:1], v[2:3]
.LBB1475_12:
	s_endpgm
	.section	.rodata,"a",@progbits
	.p2align	6, 0x0
	.amdhsa_kernel _ZL37rocblas_syrkx_herkx_restricted_kernelIldLi16ELi32ELi8ELi1ELin1ELb0ELc67ELc85EKPKdKPdEviT_PT9_S5_lS7_S5_lPT10_S5_li
		.amdhsa_group_segment_fixed_size 4096
		.amdhsa_private_segment_fixed_size 0
		.amdhsa_kernarg_size 92
		.amdhsa_user_sgpr_count 6
		.amdhsa_user_sgpr_private_segment_buffer 1
		.amdhsa_user_sgpr_dispatch_ptr 0
		.amdhsa_user_sgpr_queue_ptr 0
		.amdhsa_user_sgpr_kernarg_segment_ptr 1
		.amdhsa_user_sgpr_dispatch_id 0
		.amdhsa_user_sgpr_flat_scratch_init 0
		.amdhsa_user_sgpr_private_segment_size 0
		.amdhsa_uses_dynamic_stack 0
		.amdhsa_system_sgpr_private_segment_wavefront_offset 0
		.amdhsa_system_sgpr_workgroup_id_x 1
		.amdhsa_system_sgpr_workgroup_id_y 1
		.amdhsa_system_sgpr_workgroup_id_z 1
		.amdhsa_system_sgpr_workgroup_info 0
		.amdhsa_system_vgpr_workitem_id 1
		.amdhsa_next_free_vgpr 38
		.amdhsa_next_free_sgpr 24
		.amdhsa_reserve_vcc 1
		.amdhsa_reserve_flat_scratch 0
		.amdhsa_float_round_mode_32 0
		.amdhsa_float_round_mode_16_64 0
		.amdhsa_float_denorm_mode_32 3
		.amdhsa_float_denorm_mode_16_64 3
		.amdhsa_dx10_clamp 1
		.amdhsa_ieee_mode 1
		.amdhsa_fp16_overflow 0
		.amdhsa_exception_fp_ieee_invalid_op 0
		.amdhsa_exception_fp_denorm_src 0
		.amdhsa_exception_fp_ieee_div_zero 0
		.amdhsa_exception_fp_ieee_overflow 0
		.amdhsa_exception_fp_ieee_underflow 0
		.amdhsa_exception_fp_ieee_inexact 0
		.amdhsa_exception_int_div_zero 0
	.end_amdhsa_kernel
	.section	.text._ZL37rocblas_syrkx_herkx_restricted_kernelIldLi16ELi32ELi8ELi1ELin1ELb0ELc67ELc85EKPKdKPdEviT_PT9_S5_lS7_S5_lPT10_S5_li,"axG",@progbits,_ZL37rocblas_syrkx_herkx_restricted_kernelIldLi16ELi32ELi8ELi1ELin1ELb0ELc67ELc85EKPKdKPdEviT_PT9_S5_lS7_S5_lPT10_S5_li,comdat
.Lfunc_end1475:
	.size	_ZL37rocblas_syrkx_herkx_restricted_kernelIldLi16ELi32ELi8ELi1ELin1ELb0ELc67ELc85EKPKdKPdEviT_PT9_S5_lS7_S5_lPT10_S5_li, .Lfunc_end1475-_ZL37rocblas_syrkx_herkx_restricted_kernelIldLi16ELi32ELi8ELi1ELin1ELb0ELc67ELc85EKPKdKPdEviT_PT9_S5_lS7_S5_lPT10_S5_li
                                        ; -- End function
	.set _ZL37rocblas_syrkx_herkx_restricted_kernelIldLi16ELi32ELi8ELi1ELin1ELb0ELc67ELc85EKPKdKPdEviT_PT9_S5_lS7_S5_lPT10_S5_li.num_vgpr, 38
	.set _ZL37rocblas_syrkx_herkx_restricted_kernelIldLi16ELi32ELi8ELi1ELin1ELb0ELc67ELc85EKPKdKPdEviT_PT9_S5_lS7_S5_lPT10_S5_li.num_agpr, 0
	.set _ZL37rocblas_syrkx_herkx_restricted_kernelIldLi16ELi32ELi8ELi1ELin1ELb0ELc67ELc85EKPKdKPdEviT_PT9_S5_lS7_S5_lPT10_S5_li.numbered_sgpr, 24
	.set _ZL37rocblas_syrkx_herkx_restricted_kernelIldLi16ELi32ELi8ELi1ELin1ELb0ELc67ELc85EKPKdKPdEviT_PT9_S5_lS7_S5_lPT10_S5_li.num_named_barrier, 0
	.set _ZL37rocblas_syrkx_herkx_restricted_kernelIldLi16ELi32ELi8ELi1ELin1ELb0ELc67ELc85EKPKdKPdEviT_PT9_S5_lS7_S5_lPT10_S5_li.private_seg_size, 0
	.set _ZL37rocblas_syrkx_herkx_restricted_kernelIldLi16ELi32ELi8ELi1ELin1ELb0ELc67ELc85EKPKdKPdEviT_PT9_S5_lS7_S5_lPT10_S5_li.uses_vcc, 1
	.set _ZL37rocblas_syrkx_herkx_restricted_kernelIldLi16ELi32ELi8ELi1ELin1ELb0ELc67ELc85EKPKdKPdEviT_PT9_S5_lS7_S5_lPT10_S5_li.uses_flat_scratch, 0
	.set _ZL37rocblas_syrkx_herkx_restricted_kernelIldLi16ELi32ELi8ELi1ELin1ELb0ELc67ELc85EKPKdKPdEviT_PT9_S5_lS7_S5_lPT10_S5_li.has_dyn_sized_stack, 0
	.set _ZL37rocblas_syrkx_herkx_restricted_kernelIldLi16ELi32ELi8ELi1ELin1ELb0ELc67ELc85EKPKdKPdEviT_PT9_S5_lS7_S5_lPT10_S5_li.has_recursion, 0
	.set _ZL37rocblas_syrkx_herkx_restricted_kernelIldLi16ELi32ELi8ELi1ELin1ELb0ELc67ELc85EKPKdKPdEviT_PT9_S5_lS7_S5_lPT10_S5_li.has_indirect_call, 0
	.section	.AMDGPU.csdata,"",@progbits
; Kernel info:
; codeLenInByte = 1404
; TotalNumSgprs: 28
; NumVgprs: 38
; ScratchSize: 0
; MemoryBound: 0
; FloatMode: 240
; IeeeMode: 1
; LDSByteSize: 4096 bytes/workgroup (compile time only)
; SGPRBlocks: 3
; VGPRBlocks: 9
; NumSGPRsForWavesPerEU: 28
; NumVGPRsForWavesPerEU: 38
; Occupancy: 6
; WaveLimiterHint : 1
; COMPUTE_PGM_RSRC2:SCRATCH_EN: 0
; COMPUTE_PGM_RSRC2:USER_SGPR: 6
; COMPUTE_PGM_RSRC2:TRAP_HANDLER: 0
; COMPUTE_PGM_RSRC2:TGID_X_EN: 1
; COMPUTE_PGM_RSRC2:TGID_Y_EN: 1
; COMPUTE_PGM_RSRC2:TGID_Z_EN: 1
; COMPUTE_PGM_RSRC2:TIDIG_COMP_CNT: 1
	.section	.text._ZL37rocblas_syrkx_herkx_restricted_kernelIldLi16ELi32ELi8ELi1ELin1ELb0ELc78ELc85EKPKdKPdEviT_PT9_S5_lS7_S5_lPT10_S5_li,"axG",@progbits,_ZL37rocblas_syrkx_herkx_restricted_kernelIldLi16ELi32ELi8ELi1ELin1ELb0ELc78ELc85EKPKdKPdEviT_PT9_S5_lS7_S5_lPT10_S5_li,comdat
	.globl	_ZL37rocblas_syrkx_herkx_restricted_kernelIldLi16ELi32ELi8ELi1ELin1ELb0ELc78ELc85EKPKdKPdEviT_PT9_S5_lS7_S5_lPT10_S5_li ; -- Begin function _ZL37rocblas_syrkx_herkx_restricted_kernelIldLi16ELi32ELi8ELi1ELin1ELb0ELc78ELc85EKPKdKPdEviT_PT9_S5_lS7_S5_lPT10_S5_li
	.p2align	8
	.type	_ZL37rocblas_syrkx_herkx_restricted_kernelIldLi16ELi32ELi8ELi1ELin1ELb0ELc78ELc85EKPKdKPdEviT_PT9_S5_lS7_S5_lPT10_S5_li,@function
_ZL37rocblas_syrkx_herkx_restricted_kernelIldLi16ELi32ELi8ELi1ELin1ELb0ELc78ELc85EKPKdKPdEviT_PT9_S5_lS7_S5_lPT10_S5_li: ; @_ZL37rocblas_syrkx_herkx_restricted_kernelIldLi16ELi32ELi8ELi1ELin1ELb0ELc78ELc85EKPKdKPdEviT_PT9_S5_lS7_S5_lPT10_S5_li
; %bb.0:
	s_load_dwordx4 s[0:3], s[4:5], 0x40
	s_load_dwordx4 s[12:15], s[4:5], 0x8
	s_mov_b32 s9, 0
	s_lshl_b64 s[18:19], s[8:9], 3
	s_waitcnt lgkmcnt(0)
	s_add_u32 s0, s0, s18
	s_addc_u32 s1, s1, s19
	s_load_dwordx2 s[16:17], s[0:1], 0x0
	v_cmp_lt_i64_e64 s[0:1], s[12:13], 1
	s_lshl_b32 s20, s6, 5
	s_lshl_b32 s21, s7, 5
	s_and_b64 vcc, exec, s[0:1]
	s_cbranch_vccnz .LBB1476_3
; %bb.1:
	s_load_dwordx2 s[0:1], s[4:5], 0x18
	s_load_dwordx4 s[8:11], s[4:5], 0x28
	v_lshl_add_u32 v5, v1, 4, v0
	v_lshrrev_b32_e32 v7, 3, v5
	v_add_u32_e32 v2, s21, v7
	v_and_b32_e32 v6, 7, v0
	v_ashrrev_i32_e32 v3, 31, v2
	s_waitcnt lgkmcnt(0)
	v_mad_u64_u32 v[2:3], s[6:7], s10, v6, v[2:3]
	s_add_u32 s6, s14, s18
	s_addc_u32 s7, s15, s19
	v_mad_u64_u32 v[3:4], s[14:15], s11, v6, v[3:4]
	v_and_b32_e32 v4, 31, v5
	v_lshrrev_b32_e32 v8, 5, v5
	v_lshlrev_b32_e32 v5, 3, v4
	v_add_u32_e32 v4, s20, v4
	v_lshl_or_b32 v14, v8, 8, v5
	v_ashrrev_i32_e32 v5, 31, v4
	v_mad_u64_u32 v[4:5], s[14:15], s0, v8, v[4:5]
	v_lshlrev_b32_e32 v6, 3, v6
	v_lshl_or_b32 v6, v7, 6, v6
	v_add_u32_e32 v15, 0x800, v6
	v_mad_u64_u32 v[5:6], s[14:15], s1, v8, v[5:6]
	s_load_dwordx2 s[6:7], s[6:7], 0x0
	s_add_u32 s8, s8, s18
	s_addc_u32 s9, s9, s19
	s_load_dwordx2 s[8:9], s[8:9], 0x0
	v_lshlrev_b64 v[4:5], 3, v[4:5]
	v_mov_b32_e32 v6, 0x800
	v_lshl_add_u32 v17, v1, 6, v6
	s_waitcnt lgkmcnt(0)
	v_mov_b32_e32 v6, s7
	v_add_co_u32_e32 v4, vcc, s6, v4
	v_lshlrev_b64 v[2:3], 3, v[2:3]
	v_addc_co_u32_e32 v5, vcc, v6, v5, vcc
	v_mov_b32_e32 v7, s9
	v_add_co_u32_e32 v6, vcc, s8, v2
	s_lshl_b64 s[6:7], s[0:1], 6
	v_addc_co_u32_e32 v7, vcc, v7, v3, vcc
	s_lshl_b64 s[8:9], s[10:11], 6
	v_mov_b32_e32 v2, 0
	v_mov_b32_e32 v8, 0
	;; [unrolled: 1-line block ×4, first 2 shown]
	v_lshlrev_b32_e32 v16, 3, v0
	v_mov_b32_e32 v3, 0
	s_mov_b64 s[10:11], 0
	v_mov_b32_e32 v18, s7
	v_mov_b32_e32 v9, 0
	;; [unrolled: 1-line block ×5, first 2 shown]
.LBB1476_2:                             ; =>This Inner Loop Header: Depth=1
	flat_load_dwordx2 v[20:21], v[4:5]
	s_add_u32 s10, s10, 8
	v_add_co_u32_e32 v4, vcc, s6, v4
	s_addc_u32 s11, s11, 0
	v_addc_co_u32_e32 v5, vcc, v5, v18, vcc
	s_waitcnt vmcnt(0) lgkmcnt(0)
	ds_write_b64 v14, v[20:21]
	flat_load_dwordx2 v[20:21], v[6:7]
	v_add_co_u32_e64 v6, s[0:1], s8, v6
	v_addc_co_u32_e64 v7, s[0:1], v7, v19, s[0:1]
	s_waitcnt vmcnt(0) lgkmcnt(0)
	ds_write_b64 v15, v[20:21]
	s_waitcnt lgkmcnt(0)
	s_barrier
	ds_read2_b64 v[20:23], v16 offset1:16
	ds_read_b128 v[24:27], v17
	ds_read_b128 v[28:31], v17 offset:16
	s_waitcnt lgkmcnt(1)
	v_fma_f64 v[36:37], v[20:21], v[24:25], v[12:13]
	v_fma_f64 v[24:25], v[22:23], v[24:25], v[10:11]
	ds_read_b128 v[10:13], v17 offset:1024
	ds_read_b128 v[32:35], v17 offset:1040
	s_waitcnt lgkmcnt(1)
	v_fma_f64 v[20:21], v[20:21], v[10:11], v[8:9]
	v_fma_f64 v[2:3], v[22:23], v[10:11], v[2:3]
	ds_read2_b64 v[8:11], v16 offset0:32 offset1:48
	s_waitcnt lgkmcnt(0)
	v_fma_f64 v[22:23], v[8:9], v[26:27], v[36:37]
	v_fma_f64 v[24:25], v[10:11], v[26:27], v[24:25]
	v_fma_f64 v[20:21], v[8:9], v[12:13], v[20:21]
	v_fma_f64 v[2:3], v[10:11], v[12:13], v[2:3]
	ds_read2_b64 v[8:11], v16 offset0:64 offset1:80
	s_waitcnt lgkmcnt(0)
	v_fma_f64 v[12:13], v[8:9], v[28:29], v[22:23]
	v_fma_f64 v[22:23], v[10:11], v[28:29], v[24:25]
	;; [unrolled: 6-line block ×3, first 2 shown]
	ds_read2_b64 v[20:23], v16 offset0:128 offset1:144
	v_fma_f64 v[36:37], v[8:9], v[34:35], v[24:25]
	v_fma_f64 v[2:3], v[10:11], v[34:35], v[2:3]
	ds_read_b128 v[8:11], v17 offset:32
	ds_read_b128 v[24:27], v17 offset:48
	s_waitcnt lgkmcnt(1)
	v_fma_f64 v[12:13], v[20:21], v[8:9], v[12:13]
	v_fma_f64 v[8:9], v[22:23], v[8:9], v[28:29]
	ds_read_b128 v[28:31], v17 offset:1056
	ds_read_b128 v[32:35], v17 offset:1072
	s_waitcnt lgkmcnt(1)
	v_fma_f64 v[36:37], v[20:21], v[28:29], v[36:37]
	v_fma_f64 v[2:3], v[22:23], v[28:29], v[2:3]
	ds_read2_b64 v[20:23], v16 offset0:160 offset1:176
	s_waitcnt lgkmcnt(0)
	v_fma_f64 v[12:13], v[20:21], v[10:11], v[12:13]
	v_fma_f64 v[28:29], v[22:23], v[10:11], v[8:9]
	;; [unrolled: 1-line block ×4, first 2 shown]
	v_mov_b32_e32 v8, s10
	v_mov_b32_e32 v9, s11
	v_cmp_le_u64_e32 vcc, s[12:13], v[8:9]
	ds_read2_b64 v[8:11], v16 offset0:192 offset1:208
	s_and_b64 vcc, exec, vcc
	s_waitcnt lgkmcnt(0)
	v_fma_f64 v[12:13], v[8:9], v[24:25], v[12:13]
	v_fma_f64 v[24:25], v[10:11], v[24:25], v[28:29]
	;; [unrolled: 1-line block ×4, first 2 shown]
	ds_read2_b64 v[20:23], v16 offset0:224 offset1:240
	s_waitcnt lgkmcnt(0)
	s_barrier
	v_fma_f64 v[12:13], v[20:21], v[26:27], v[12:13]
	v_fma_f64 v[10:11], v[22:23], v[26:27], v[24:25]
	;; [unrolled: 1-line block ×4, first 2 shown]
	s_cbranch_vccz .LBB1476_2
	s_branch .LBB1476_4
.LBB1476_3:
	v_mov_b32_e32 v12, 0
	v_mov_b32_e32 v10, 0
	;; [unrolled: 1-line block ×8, first 2 shown]
.LBB1476_4:
	v_add_u32_e32 v6, s21, v1
	v_ashrrev_i32_e32 v1, 31, v6
	v_mul_lo_u32 v1, s2, v1
	v_mul_lo_u32 v7, s3, v6
	v_mad_u64_u32 v[4:5], s[0:1], s2, v6, 0
	s_load_dword s6, s[4:5], 0x0
	v_add_u32_e32 v0, s20, v0
	v_add3_u32 v5, v5, v1, v7
	v_lshlrev_b64 v[4:5], 3, v[4:5]
	s_waitcnt lgkmcnt(0)
	v_mov_b32_e32 v1, s17
	v_add_co_u32_e64 v7, s[0:1], s16, v4
	v_addc_co_u32_e64 v14, s[0:1], v1, v5, s[0:1]
	v_cmp_gt_i32_e32 vcc, s6, v6
	v_cmp_le_i32_e64 s[0:1], v0, v6
	s_and_b64 s[0:1], vcc, s[0:1]
	s_and_saveexec_b64 s[4:5], s[0:1]
	s_cbranch_execz .LBB1476_6
; %bb.5:
	v_ashrrev_i32_e32 v1, 31, v0
	v_lshlrev_b64 v[4:5], 3, v[0:1]
	v_add_co_u32_e64 v4, s[0:1], v7, v4
	v_addc_co_u32_e64 v5, s[0:1], v14, v5, s[0:1]
	flat_load_dwordx2 v[15:16], v[4:5]
	s_waitcnt vmcnt(0) lgkmcnt(0)
	v_add_f64 v[12:13], v[12:13], -v[15:16]
	flat_store_dwordx2 v[4:5], v[12:13]
.LBB1476_6:
	s_or_b64 exec, exec, s[4:5]
	v_add_u32_e32 v4, 16, v0
	v_cmp_le_i32_e64 s[0:1], v4, v6
	s_and_b64 s[4:5], vcc, s[0:1]
	s_and_saveexec_b64 s[0:1], s[4:5]
	s_cbranch_execz .LBB1476_8
; %bb.7:
	v_ashrrev_i32_e32 v5, 31, v4
	v_lshlrev_b64 v[12:13], 3, v[4:5]
	v_add_co_u32_e32 v12, vcc, v7, v12
	v_addc_co_u32_e32 v13, vcc, v14, v13, vcc
	flat_load_dwordx2 v[14:15], v[12:13]
	s_waitcnt vmcnt(0) lgkmcnt(0)
	v_add_f64 v[10:11], v[10:11], -v[14:15]
	flat_store_dwordx2 v[12:13], v[10:11]
.LBB1476_8:
	s_or_b64 exec, exec, s[0:1]
	v_add_u32_e32 v5, 16, v6
	v_ashrrev_i32_e32 v1, 31, v5
	v_mul_lo_u32 v1, s2, v1
	v_mul_lo_u32 v10, s3, v5
	v_mad_u64_u32 v[6:7], s[0:1], s2, v5, 0
	v_cmp_gt_i32_e32 vcc, s6, v5
	v_add3_u32 v7, v7, v1, v10
	v_lshlrev_b64 v[6:7], 3, v[6:7]
	v_mov_b32_e32 v1, s17
	v_add_co_u32_e64 v6, s[0:1], s16, v6
	v_addc_co_u32_e64 v7, s[0:1], v1, v7, s[0:1]
	v_cmp_le_i32_e64 s[0:1], v0, v5
	s_and_b64 s[0:1], vcc, s[0:1]
	s_and_saveexec_b64 s[2:3], s[0:1]
	s_cbranch_execz .LBB1476_10
; %bb.9:
	v_ashrrev_i32_e32 v1, 31, v0
	v_lshlrev_b64 v[0:1], 3, v[0:1]
	v_add_co_u32_e64 v0, s[0:1], v6, v0
	v_addc_co_u32_e64 v1, s[0:1], v7, v1, s[0:1]
	flat_load_dwordx2 v[10:11], v[0:1]
	s_waitcnt vmcnt(0) lgkmcnt(0)
	v_add_f64 v[8:9], v[8:9], -v[10:11]
	flat_store_dwordx2 v[0:1], v[8:9]
.LBB1476_10:
	s_or_b64 exec, exec, s[2:3]
	v_cmp_le_i32_e64 s[0:1], v4, v5
	s_and_b64 s[0:1], vcc, s[0:1]
	s_and_saveexec_b64 s[2:3], s[0:1]
	s_cbranch_execz .LBB1476_12
; %bb.11:
	v_ashrrev_i32_e32 v5, 31, v4
	v_lshlrev_b64 v[0:1], 3, v[4:5]
	v_add_co_u32_e32 v0, vcc, v6, v0
	v_addc_co_u32_e32 v1, vcc, v7, v1, vcc
	flat_load_dwordx2 v[4:5], v[0:1]
	s_waitcnt vmcnt(0) lgkmcnt(0)
	v_add_f64 v[2:3], v[2:3], -v[4:5]
	flat_store_dwordx2 v[0:1], v[2:3]
.LBB1476_12:
	s_endpgm
	.section	.rodata,"a",@progbits
	.p2align	6, 0x0
	.amdhsa_kernel _ZL37rocblas_syrkx_herkx_restricted_kernelIldLi16ELi32ELi8ELi1ELin1ELb0ELc78ELc85EKPKdKPdEviT_PT9_S5_lS7_S5_lPT10_S5_li
		.amdhsa_group_segment_fixed_size 4096
		.amdhsa_private_segment_fixed_size 0
		.amdhsa_kernarg_size 92
		.amdhsa_user_sgpr_count 6
		.amdhsa_user_sgpr_private_segment_buffer 1
		.amdhsa_user_sgpr_dispatch_ptr 0
		.amdhsa_user_sgpr_queue_ptr 0
		.amdhsa_user_sgpr_kernarg_segment_ptr 1
		.amdhsa_user_sgpr_dispatch_id 0
		.amdhsa_user_sgpr_flat_scratch_init 0
		.amdhsa_user_sgpr_private_segment_size 0
		.amdhsa_uses_dynamic_stack 0
		.amdhsa_system_sgpr_private_segment_wavefront_offset 0
		.amdhsa_system_sgpr_workgroup_id_x 1
		.amdhsa_system_sgpr_workgroup_id_y 1
		.amdhsa_system_sgpr_workgroup_id_z 1
		.amdhsa_system_sgpr_workgroup_info 0
		.amdhsa_system_vgpr_workitem_id 1
		.amdhsa_next_free_vgpr 38
		.amdhsa_next_free_sgpr 22
		.amdhsa_reserve_vcc 1
		.amdhsa_reserve_flat_scratch 0
		.amdhsa_float_round_mode_32 0
		.amdhsa_float_round_mode_16_64 0
		.amdhsa_float_denorm_mode_32 3
		.amdhsa_float_denorm_mode_16_64 3
		.amdhsa_dx10_clamp 1
		.amdhsa_ieee_mode 1
		.amdhsa_fp16_overflow 0
		.amdhsa_exception_fp_ieee_invalid_op 0
		.amdhsa_exception_fp_denorm_src 0
		.amdhsa_exception_fp_ieee_div_zero 0
		.amdhsa_exception_fp_ieee_overflow 0
		.amdhsa_exception_fp_ieee_underflow 0
		.amdhsa_exception_fp_ieee_inexact 0
		.amdhsa_exception_int_div_zero 0
	.end_amdhsa_kernel
	.section	.text._ZL37rocblas_syrkx_herkx_restricted_kernelIldLi16ELi32ELi8ELi1ELin1ELb0ELc78ELc85EKPKdKPdEviT_PT9_S5_lS7_S5_lPT10_S5_li,"axG",@progbits,_ZL37rocblas_syrkx_herkx_restricted_kernelIldLi16ELi32ELi8ELi1ELin1ELb0ELc78ELc85EKPKdKPdEviT_PT9_S5_lS7_S5_lPT10_S5_li,comdat
.Lfunc_end1476:
	.size	_ZL37rocblas_syrkx_herkx_restricted_kernelIldLi16ELi32ELi8ELi1ELin1ELb0ELc78ELc85EKPKdKPdEviT_PT9_S5_lS7_S5_lPT10_S5_li, .Lfunc_end1476-_ZL37rocblas_syrkx_herkx_restricted_kernelIldLi16ELi32ELi8ELi1ELin1ELb0ELc78ELc85EKPKdKPdEviT_PT9_S5_lS7_S5_lPT10_S5_li
                                        ; -- End function
	.set _ZL37rocblas_syrkx_herkx_restricted_kernelIldLi16ELi32ELi8ELi1ELin1ELb0ELc78ELc85EKPKdKPdEviT_PT9_S5_lS7_S5_lPT10_S5_li.num_vgpr, 38
	.set _ZL37rocblas_syrkx_herkx_restricted_kernelIldLi16ELi32ELi8ELi1ELin1ELb0ELc78ELc85EKPKdKPdEviT_PT9_S5_lS7_S5_lPT10_S5_li.num_agpr, 0
	.set _ZL37rocblas_syrkx_herkx_restricted_kernelIldLi16ELi32ELi8ELi1ELin1ELb0ELc78ELc85EKPKdKPdEviT_PT9_S5_lS7_S5_lPT10_S5_li.numbered_sgpr, 22
	.set _ZL37rocblas_syrkx_herkx_restricted_kernelIldLi16ELi32ELi8ELi1ELin1ELb0ELc78ELc85EKPKdKPdEviT_PT9_S5_lS7_S5_lPT10_S5_li.num_named_barrier, 0
	.set _ZL37rocblas_syrkx_herkx_restricted_kernelIldLi16ELi32ELi8ELi1ELin1ELb0ELc78ELc85EKPKdKPdEviT_PT9_S5_lS7_S5_lPT10_S5_li.private_seg_size, 0
	.set _ZL37rocblas_syrkx_herkx_restricted_kernelIldLi16ELi32ELi8ELi1ELin1ELb0ELc78ELc85EKPKdKPdEviT_PT9_S5_lS7_S5_lPT10_S5_li.uses_vcc, 1
	.set _ZL37rocblas_syrkx_herkx_restricted_kernelIldLi16ELi32ELi8ELi1ELin1ELb0ELc78ELc85EKPKdKPdEviT_PT9_S5_lS7_S5_lPT10_S5_li.uses_flat_scratch, 0
	.set _ZL37rocblas_syrkx_herkx_restricted_kernelIldLi16ELi32ELi8ELi1ELin1ELb0ELc78ELc85EKPKdKPdEviT_PT9_S5_lS7_S5_lPT10_S5_li.has_dyn_sized_stack, 0
	.set _ZL37rocblas_syrkx_herkx_restricted_kernelIldLi16ELi32ELi8ELi1ELin1ELb0ELc78ELc85EKPKdKPdEviT_PT9_S5_lS7_S5_lPT10_S5_li.has_recursion, 0
	.set _ZL37rocblas_syrkx_herkx_restricted_kernelIldLi16ELi32ELi8ELi1ELin1ELb0ELc78ELc85EKPKdKPdEviT_PT9_S5_lS7_S5_lPT10_S5_li.has_indirect_call, 0
	.section	.AMDGPU.csdata,"",@progbits
; Kernel info:
; codeLenInByte = 1372
; TotalNumSgprs: 26
; NumVgprs: 38
; ScratchSize: 0
; MemoryBound: 0
; FloatMode: 240
; IeeeMode: 1
; LDSByteSize: 4096 bytes/workgroup (compile time only)
; SGPRBlocks: 3
; VGPRBlocks: 9
; NumSGPRsForWavesPerEU: 26
; NumVGPRsForWavesPerEU: 38
; Occupancy: 6
; WaveLimiterHint : 1
; COMPUTE_PGM_RSRC2:SCRATCH_EN: 0
; COMPUTE_PGM_RSRC2:USER_SGPR: 6
; COMPUTE_PGM_RSRC2:TRAP_HANDLER: 0
; COMPUTE_PGM_RSRC2:TGID_X_EN: 1
; COMPUTE_PGM_RSRC2:TGID_Y_EN: 1
; COMPUTE_PGM_RSRC2:TGID_Z_EN: 1
; COMPUTE_PGM_RSRC2:TIDIG_COMP_CNT: 1
	.section	.text._ZL37rocblas_syrkx_herkx_restricted_kernelIldLi16ELi32ELi8ELi1ELi0ELb0ELc84ELc76EKPKdKPdEviT_PT9_S5_lS7_S5_lPT10_S5_li,"axG",@progbits,_ZL37rocblas_syrkx_herkx_restricted_kernelIldLi16ELi32ELi8ELi1ELi0ELb0ELc84ELc76EKPKdKPdEviT_PT9_S5_lS7_S5_lPT10_S5_li,comdat
	.globl	_ZL37rocblas_syrkx_herkx_restricted_kernelIldLi16ELi32ELi8ELi1ELi0ELb0ELc84ELc76EKPKdKPdEviT_PT9_S5_lS7_S5_lPT10_S5_li ; -- Begin function _ZL37rocblas_syrkx_herkx_restricted_kernelIldLi16ELi32ELi8ELi1ELi0ELb0ELc84ELc76EKPKdKPdEviT_PT9_S5_lS7_S5_lPT10_S5_li
	.p2align	8
	.type	_ZL37rocblas_syrkx_herkx_restricted_kernelIldLi16ELi32ELi8ELi1ELi0ELb0ELc84ELc76EKPKdKPdEviT_PT9_S5_lS7_S5_lPT10_S5_li,@function
_ZL37rocblas_syrkx_herkx_restricted_kernelIldLi16ELi32ELi8ELi1ELi0ELb0ELc84ELc76EKPKdKPdEviT_PT9_S5_lS7_S5_lPT10_S5_li: ; @_ZL37rocblas_syrkx_herkx_restricted_kernelIldLi16ELi32ELi8ELi1ELi0ELb0ELc84ELc76EKPKdKPdEviT_PT9_S5_lS7_S5_lPT10_S5_li
; %bb.0:
	s_load_dwordx4 s[12:15], s[4:5], 0x40
	s_load_dwordx4 s[16:19], s[4:5], 0x8
	s_mov_b32 s9, 0
	s_lshl_b64 s[0:1], s[8:9], 3
	s_waitcnt lgkmcnt(0)
	s_add_u32 s2, s12, s0
	s_addc_u32 s3, s13, s1
	s_load_dwordx2 s[8:9], s[2:3], 0x0
	v_cmp_lt_i64_e64 s[2:3], s[16:17], 1
	s_lshl_b32 s6, s6, 5
	s_lshl_b32 s7, s7, 5
	s_and_b64 vcc, exec, s[2:3]
	s_cbranch_vccnz .LBB1477_3
; %bb.1:
	s_load_dwordx2 s[2:3], s[4:5], 0x18
	s_load_dwordx4 s[20:23], s[4:5], 0x28
	v_lshl_add_u32 v6, v1, 4, v0
	v_lshrrev_b32_e32 v8, 3, v6
	v_add_u32_e32 v4, s7, v8
	v_ashrrev_i32_e32 v5, 31, v4
	v_and_b32_e32 v2, 7, v0
	v_mov_b32_e32 v3, 0
	s_waitcnt lgkmcnt(0)
	v_mul_lo_u32 v7, s22, v5
	v_mul_lo_u32 v9, s23, v4
	v_mad_u64_u32 v[4:5], s[12:13], s22, v4, v[2:3]
	v_lshlrev_b32_e32 v2, 3, v2
	v_lshl_or_b32 v2, v8, 6, v2
	v_add3_u32 v5, v9, v5, v7
	v_and_b32_e32 v9, 31, v6
	v_add_u32_e32 v8, s6, v9
	v_lshrrev_b32_e32 v6, 5, v6
	v_mov_b32_e32 v7, v3
	v_lshlrev_b32_e32 v3, 3, v9
	v_add_u32_e32 v15, 0x800, v2
	v_ashrrev_i32_e32 v2, 31, v8
	s_add_u32 s10, s18, s0
	v_lshl_or_b32 v14, v6, 8, v3
	v_mul_lo_u32 v9, s2, v2
	v_mad_u64_u32 v[2:3], s[12:13], s2, v8, v[6:7]
	v_mul_lo_u32 v6, s3, v8
	s_addc_u32 s11, s19, s1
	s_load_dwordx2 s[10:11], s[10:11], 0x0
	s_add_u32 s0, s20, s0
	s_addc_u32 s1, s21, s1
	s_load_dwordx2 s[0:1], s[0:1], 0x0
	v_add3_u32 v3, v6, v3, v9
	v_lshlrev_b64 v[2:3], 3, v[2:3]
	s_waitcnt lgkmcnt(0)
	v_mov_b32_e32 v6, s11
	v_add_co_u32_e32 v2, vcc, s10, v2
	v_lshlrev_b64 v[4:5], 3, v[4:5]
	v_mov_b32_e32 v7, 0x800
	v_addc_co_u32_e32 v3, vcc, v6, v3, vcc
	v_lshl_add_u32 v17, v1, 6, v7
	v_mov_b32_e32 v7, s1
	v_add_co_u32_e32 v6, vcc, s0, v4
	v_addc_co_u32_e32 v7, vcc, v7, v5, vcc
	v_mov_b32_e32 v4, 0
	v_mov_b32_e32 v8, 0
	;; [unrolled: 1-line block ×4, first 2 shown]
	v_lshlrev_b32_e32 v16, 3, v0
	v_mov_b32_e32 v5, 0
	v_mov_b32_e32 v9, 0
	;; [unrolled: 1-line block ×4, first 2 shown]
	s_mov_b64 s[2:3], 0
.LBB1477_2:                             ; =>This Inner Loop Header: Depth=1
	flat_load_dwordx2 v[18:19], v[2:3]
	s_add_u32 s2, s2, 8
	s_addc_u32 s3, s3, 0
	v_add_co_u32_e64 v2, s[0:1], 64, v2
	v_addc_co_u32_e64 v3, s[0:1], 0, v3, s[0:1]
	s_waitcnt vmcnt(0) lgkmcnt(0)
	ds_write_b64 v14, v[18:19]
	flat_load_dwordx2 v[18:19], v[6:7]
	v_add_co_u32_e64 v6, s[0:1], 64, v6
	v_addc_co_u32_e64 v7, s[0:1], 0, v7, s[0:1]
	s_waitcnt vmcnt(0) lgkmcnt(0)
	ds_write_b64 v15, v[18:19]
	s_waitcnt lgkmcnt(0)
	s_barrier
	ds_read2_b64 v[18:21], v16 offset1:16
	ds_read_b128 v[22:25], v17
	ds_read_b128 v[26:29], v17 offset:1024
	ds_read_b128 v[30:33], v17 offset:16
	s_waitcnt lgkmcnt(2)
	v_fma_f64 v[34:35], v[18:19], v[22:23], v[12:13]
	v_fma_f64 v[22:23], v[20:21], v[22:23], v[10:11]
	s_waitcnt lgkmcnt(1)
	v_fma_f64 v[8:9], v[18:19], v[26:27], v[8:9]
	v_fma_f64 v[4:5], v[20:21], v[26:27], v[4:5]
	ds_read2_b64 v[18:21], v16 offset0:32 offset1:48
	ds_read_b128 v[10:13], v17 offset:1040
	s_waitcnt lgkmcnt(1)
	v_fma_f64 v[26:27], v[18:19], v[24:25], v[34:35]
	v_fma_f64 v[34:35], v[20:21], v[24:25], v[22:23]
	v_fma_f64 v[8:9], v[18:19], v[28:29], v[8:9]
	v_fma_f64 v[4:5], v[20:21], v[28:29], v[4:5]
	ds_read2_b64 v[18:21], v16 offset0:64 offset1:80
	ds_read2_b64 v[22:25], v16 offset0:96 offset1:112
	s_waitcnt lgkmcnt(1)
	v_fma_f64 v[26:27], v[18:19], v[30:31], v[26:27]
	v_fma_f64 v[28:29], v[20:21], v[30:31], v[34:35]
	v_fma_f64 v[30:31], v[18:19], v[10:11], v[8:9]
	v_fma_f64 v[4:5], v[20:21], v[10:11], v[4:5]
	ds_read2_b64 v[8:11], v16 offset0:128 offset1:144
	ds_read_b128 v[18:21], v17 offset:32
	s_waitcnt lgkmcnt(2)
	v_fma_f64 v[34:35], v[22:23], v[32:33], v[26:27]
	v_fma_f64 v[32:33], v[24:25], v[32:33], v[28:29]
	v_fma_f64 v[36:37], v[22:23], v[12:13], v[30:31]
	v_fma_f64 v[4:5], v[24:25], v[12:13], v[4:5]
	ds_read_b128 v[22:25], v17 offset:1056
	ds_read_b128 v[26:29], v17 offset:48
	s_waitcnt lgkmcnt(2)
	v_fma_f64 v[12:13], v[8:9], v[18:19], v[34:35]
	v_fma_f64 v[18:19], v[10:11], v[18:19], v[32:33]
	s_waitcnt lgkmcnt(1)
	v_fma_f64 v[34:35], v[8:9], v[22:23], v[36:37]
	v_fma_f64 v[4:5], v[10:11], v[22:23], v[4:5]
	ds_read2_b64 v[8:11], v16 offset0:160 offset1:176
	ds_read_b128 v[30:33], v17 offset:1072
	s_waitcnt lgkmcnt(1)
	v_fma_f64 v[12:13], v[8:9], v[20:21], v[12:13]
	v_fma_f64 v[18:19], v[10:11], v[20:21], v[18:19]
	v_mov_b32_e32 v21, s3
	v_mov_b32_e32 v20, s2
	v_cmp_le_u64_e32 vcc, s[16:17], v[20:21]
	v_fma_f64 v[20:21], v[8:9], v[24:25], v[34:35]
	v_fma_f64 v[4:5], v[10:11], v[24:25], v[4:5]
	ds_read2_b64 v[8:11], v16 offset0:192 offset1:208
	s_and_b64 vcc, exec, vcc
	s_waitcnt lgkmcnt(0)
	v_fma_f64 v[12:13], v[8:9], v[26:27], v[12:13]
	v_fma_f64 v[22:23], v[10:11], v[26:27], v[18:19]
	;; [unrolled: 1-line block ×4, first 2 shown]
	ds_read2_b64 v[18:21], v16 offset0:224 offset1:240
	s_waitcnt lgkmcnt(0)
	s_barrier
	v_fma_f64 v[12:13], v[18:19], v[28:29], v[12:13]
	v_fma_f64 v[10:11], v[20:21], v[28:29], v[22:23]
	;; [unrolled: 1-line block ×4, first 2 shown]
	s_cbranch_vccz .LBB1477_2
	s_branch .LBB1477_4
.LBB1477_3:
	v_mov_b32_e32 v12, 0
	v_mov_b32_e32 v10, 0
	;; [unrolled: 1-line block ×8, first 2 shown]
.LBB1477_4:
	v_add_u32_e32 v6, s7, v1
	v_ashrrev_i32_e32 v1, 31, v6
	v_mul_lo_u32 v3, s14, v1
	v_mul_lo_u32 v7, s15, v6
	v_mad_u64_u32 v[1:2], s[0:1], s14, v6, 0
	s_load_dword s4, s[4:5], 0x0
	v_add_u32_e32 v0, s6, v0
	v_add3_u32 v2, v2, v3, v7
	v_lshlrev_b64 v[1:2], 3, v[1:2]
	s_waitcnt lgkmcnt(0)
	v_mov_b32_e32 v3, s9
	v_add_co_u32_e32 v7, vcc, s8, v1
	v_addc_co_u32_e32 v14, vcc, v3, v2, vcc
	v_cmp_le_i32_e64 s[0:1], v6, v0
	v_cmp_gt_i32_e32 vcc, s4, v0
	s_and_b64 s[0:1], s[0:1], vcc
	s_and_saveexec_b64 s[2:3], s[0:1]
	s_cbranch_execz .LBB1477_6
; %bb.5:
	v_ashrrev_i32_e32 v1, 31, v0
	v_lshlrev_b64 v[1:2], 3, v[0:1]
	v_add_co_u32_e64 v1, s[0:1], v7, v1
	v_addc_co_u32_e64 v2, s[0:1], v14, v2, s[0:1]
	flat_store_dwordx2 v[1:2], v[12:13]
.LBB1477_6:
	s_or_b64 exec, exec, s[2:3]
	v_add_u32_e32 v2, 16, v0
	v_cmp_le_i32_e64 s[2:3], v6, v2
	v_cmp_gt_i32_e64 s[0:1], s4, v2
	s_and_b64 s[2:3], s[2:3], s[0:1]
	s_and_saveexec_b64 s[4:5], s[2:3]
	s_cbranch_execz .LBB1477_8
; %bb.7:
	v_ashrrev_i32_e32 v3, 31, v2
	v_lshlrev_b64 v[12:13], 3, v[2:3]
	v_add_co_u32_e64 v12, s[2:3], v7, v12
	v_addc_co_u32_e64 v13, s[2:3], v14, v13, s[2:3]
	flat_store_dwordx2 v[12:13], v[10:11]
.LBB1477_8:
	s_or_b64 exec, exec, s[4:5]
	v_add_u32_e32 v3, 16, v6
	v_ashrrev_i32_e32 v1, 31, v3
	v_mul_lo_u32 v10, s15, v3
	v_mad_u64_u32 v[6:7], s[2:3], s14, v3, 0
	v_mul_lo_u32 v1, s14, v1
	v_add3_u32 v7, v7, v1, v10
	v_lshlrev_b64 v[6:7], 3, v[6:7]
	v_mov_b32_e32 v1, s9
	v_add_co_u32_e64 v6, s[2:3], s8, v6
	v_addc_co_u32_e64 v7, s[2:3], v1, v7, s[2:3]
	v_cmp_le_i32_e64 s[2:3], v3, v0
	s_and_b64 s[4:5], s[2:3], vcc
	s_and_saveexec_b64 s[2:3], s[4:5]
	s_cbranch_execz .LBB1477_10
; %bb.9:
	v_ashrrev_i32_e32 v1, 31, v0
	v_lshlrev_b64 v[0:1], 3, v[0:1]
	v_add_co_u32_e32 v0, vcc, v6, v0
	v_addc_co_u32_e32 v1, vcc, v7, v1, vcc
	flat_store_dwordx2 v[0:1], v[8:9]
.LBB1477_10:
	s_or_b64 exec, exec, s[2:3]
	v_cmp_le_i32_e32 vcc, v3, v2
	s_and_b64 s[0:1], vcc, s[0:1]
	s_and_saveexec_b64 s[2:3], s[0:1]
	s_cbranch_execz .LBB1477_12
; %bb.11:
	v_ashrrev_i32_e32 v3, 31, v2
	v_lshlrev_b64 v[0:1], 3, v[2:3]
	v_add_co_u32_e32 v0, vcc, v6, v0
	v_addc_co_u32_e32 v1, vcc, v7, v1, vcc
	flat_store_dwordx2 v[0:1], v[4:5]
.LBB1477_12:
	s_endpgm
	.section	.rodata,"a",@progbits
	.p2align	6, 0x0
	.amdhsa_kernel _ZL37rocblas_syrkx_herkx_restricted_kernelIldLi16ELi32ELi8ELi1ELi0ELb0ELc84ELc76EKPKdKPdEviT_PT9_S5_lS7_S5_lPT10_S5_li
		.amdhsa_group_segment_fixed_size 4096
		.amdhsa_private_segment_fixed_size 0
		.amdhsa_kernarg_size 92
		.amdhsa_user_sgpr_count 6
		.amdhsa_user_sgpr_private_segment_buffer 1
		.amdhsa_user_sgpr_dispatch_ptr 0
		.amdhsa_user_sgpr_queue_ptr 0
		.amdhsa_user_sgpr_kernarg_segment_ptr 1
		.amdhsa_user_sgpr_dispatch_id 0
		.amdhsa_user_sgpr_flat_scratch_init 0
		.amdhsa_user_sgpr_private_segment_size 0
		.amdhsa_uses_dynamic_stack 0
		.amdhsa_system_sgpr_private_segment_wavefront_offset 0
		.amdhsa_system_sgpr_workgroup_id_x 1
		.amdhsa_system_sgpr_workgroup_id_y 1
		.amdhsa_system_sgpr_workgroup_id_z 1
		.amdhsa_system_sgpr_workgroup_info 0
		.amdhsa_system_vgpr_workitem_id 1
		.amdhsa_next_free_vgpr 38
		.amdhsa_next_free_sgpr 24
		.amdhsa_reserve_vcc 1
		.amdhsa_reserve_flat_scratch 0
		.amdhsa_float_round_mode_32 0
		.amdhsa_float_round_mode_16_64 0
		.amdhsa_float_denorm_mode_32 3
		.amdhsa_float_denorm_mode_16_64 3
		.amdhsa_dx10_clamp 1
		.amdhsa_ieee_mode 1
		.amdhsa_fp16_overflow 0
		.amdhsa_exception_fp_ieee_invalid_op 0
		.amdhsa_exception_fp_denorm_src 0
		.amdhsa_exception_fp_ieee_div_zero 0
		.amdhsa_exception_fp_ieee_overflow 0
		.amdhsa_exception_fp_ieee_underflow 0
		.amdhsa_exception_fp_ieee_inexact 0
		.amdhsa_exception_int_div_zero 0
	.end_amdhsa_kernel
	.section	.text._ZL37rocblas_syrkx_herkx_restricted_kernelIldLi16ELi32ELi8ELi1ELi0ELb0ELc84ELc76EKPKdKPdEviT_PT9_S5_lS7_S5_lPT10_S5_li,"axG",@progbits,_ZL37rocblas_syrkx_herkx_restricted_kernelIldLi16ELi32ELi8ELi1ELi0ELb0ELc84ELc76EKPKdKPdEviT_PT9_S5_lS7_S5_lPT10_S5_li,comdat
.Lfunc_end1477:
	.size	_ZL37rocblas_syrkx_herkx_restricted_kernelIldLi16ELi32ELi8ELi1ELi0ELb0ELc84ELc76EKPKdKPdEviT_PT9_S5_lS7_S5_lPT10_S5_li, .Lfunc_end1477-_ZL37rocblas_syrkx_herkx_restricted_kernelIldLi16ELi32ELi8ELi1ELi0ELb0ELc84ELc76EKPKdKPdEviT_PT9_S5_lS7_S5_lPT10_S5_li
                                        ; -- End function
	.set _ZL37rocblas_syrkx_herkx_restricted_kernelIldLi16ELi32ELi8ELi1ELi0ELb0ELc84ELc76EKPKdKPdEviT_PT9_S5_lS7_S5_lPT10_S5_li.num_vgpr, 38
	.set _ZL37rocblas_syrkx_herkx_restricted_kernelIldLi16ELi32ELi8ELi1ELi0ELb0ELc84ELc76EKPKdKPdEviT_PT9_S5_lS7_S5_lPT10_S5_li.num_agpr, 0
	.set _ZL37rocblas_syrkx_herkx_restricted_kernelIldLi16ELi32ELi8ELi1ELi0ELb0ELc84ELc76EKPKdKPdEviT_PT9_S5_lS7_S5_lPT10_S5_li.numbered_sgpr, 24
	.set _ZL37rocblas_syrkx_herkx_restricted_kernelIldLi16ELi32ELi8ELi1ELi0ELb0ELc84ELc76EKPKdKPdEviT_PT9_S5_lS7_S5_lPT10_S5_li.num_named_barrier, 0
	.set _ZL37rocblas_syrkx_herkx_restricted_kernelIldLi16ELi32ELi8ELi1ELi0ELb0ELc84ELc76EKPKdKPdEviT_PT9_S5_lS7_S5_lPT10_S5_li.private_seg_size, 0
	.set _ZL37rocblas_syrkx_herkx_restricted_kernelIldLi16ELi32ELi8ELi1ELi0ELb0ELc84ELc76EKPKdKPdEviT_PT9_S5_lS7_S5_lPT10_S5_li.uses_vcc, 1
	.set _ZL37rocblas_syrkx_herkx_restricted_kernelIldLi16ELi32ELi8ELi1ELi0ELb0ELc84ELc76EKPKdKPdEviT_PT9_S5_lS7_S5_lPT10_S5_li.uses_flat_scratch, 0
	.set _ZL37rocblas_syrkx_herkx_restricted_kernelIldLi16ELi32ELi8ELi1ELi0ELb0ELc84ELc76EKPKdKPdEviT_PT9_S5_lS7_S5_lPT10_S5_li.has_dyn_sized_stack, 0
	.set _ZL37rocblas_syrkx_herkx_restricted_kernelIldLi16ELi32ELi8ELi1ELi0ELb0ELc84ELc76EKPKdKPdEviT_PT9_S5_lS7_S5_lPT10_S5_li.has_recursion, 0
	.set _ZL37rocblas_syrkx_herkx_restricted_kernelIldLi16ELi32ELi8ELi1ELi0ELb0ELc84ELc76EKPKdKPdEviT_PT9_S5_lS7_S5_lPT10_S5_li.has_indirect_call, 0
	.section	.AMDGPU.csdata,"",@progbits
; Kernel info:
; codeLenInByte = 1316
; TotalNumSgprs: 28
; NumVgprs: 38
; ScratchSize: 0
; MemoryBound: 0
; FloatMode: 240
; IeeeMode: 1
; LDSByteSize: 4096 bytes/workgroup (compile time only)
; SGPRBlocks: 3
; VGPRBlocks: 9
; NumSGPRsForWavesPerEU: 28
; NumVGPRsForWavesPerEU: 38
; Occupancy: 6
; WaveLimiterHint : 1
; COMPUTE_PGM_RSRC2:SCRATCH_EN: 0
; COMPUTE_PGM_RSRC2:USER_SGPR: 6
; COMPUTE_PGM_RSRC2:TRAP_HANDLER: 0
; COMPUTE_PGM_RSRC2:TGID_X_EN: 1
; COMPUTE_PGM_RSRC2:TGID_Y_EN: 1
; COMPUTE_PGM_RSRC2:TGID_Z_EN: 1
; COMPUTE_PGM_RSRC2:TIDIG_COMP_CNT: 1
	.section	.text._ZL37rocblas_syrkx_herkx_restricted_kernelIldLi16ELi32ELi8ELi1ELi0ELb0ELc67ELc76EKPKdKPdEviT_PT9_S5_lS7_S5_lPT10_S5_li,"axG",@progbits,_ZL37rocblas_syrkx_herkx_restricted_kernelIldLi16ELi32ELi8ELi1ELi0ELb0ELc67ELc76EKPKdKPdEviT_PT9_S5_lS7_S5_lPT10_S5_li,comdat
	.globl	_ZL37rocblas_syrkx_herkx_restricted_kernelIldLi16ELi32ELi8ELi1ELi0ELb0ELc67ELc76EKPKdKPdEviT_PT9_S5_lS7_S5_lPT10_S5_li ; -- Begin function _ZL37rocblas_syrkx_herkx_restricted_kernelIldLi16ELi32ELi8ELi1ELi0ELb0ELc67ELc76EKPKdKPdEviT_PT9_S5_lS7_S5_lPT10_S5_li
	.p2align	8
	.type	_ZL37rocblas_syrkx_herkx_restricted_kernelIldLi16ELi32ELi8ELi1ELi0ELb0ELc67ELc76EKPKdKPdEviT_PT9_S5_lS7_S5_lPT10_S5_li,@function
_ZL37rocblas_syrkx_herkx_restricted_kernelIldLi16ELi32ELi8ELi1ELi0ELb0ELc67ELc76EKPKdKPdEviT_PT9_S5_lS7_S5_lPT10_S5_li: ; @_ZL37rocblas_syrkx_herkx_restricted_kernelIldLi16ELi32ELi8ELi1ELi0ELb0ELc67ELc76EKPKdKPdEviT_PT9_S5_lS7_S5_lPT10_S5_li
; %bb.0:
	s_load_dwordx4 s[12:15], s[4:5], 0x40
	s_load_dwordx4 s[16:19], s[4:5], 0x8
	s_mov_b32 s9, 0
	s_lshl_b64 s[0:1], s[8:9], 3
	s_waitcnt lgkmcnt(0)
	s_add_u32 s2, s12, s0
	s_addc_u32 s3, s13, s1
	s_load_dwordx2 s[8:9], s[2:3], 0x0
	v_cmp_lt_i64_e64 s[2:3], s[16:17], 1
	s_lshl_b32 s6, s6, 5
	s_lshl_b32 s7, s7, 5
	s_and_b64 vcc, exec, s[2:3]
	s_cbranch_vccnz .LBB1478_3
; %bb.1:
	s_load_dwordx2 s[2:3], s[4:5], 0x18
	s_load_dwordx4 s[20:23], s[4:5], 0x28
	v_lshl_add_u32 v6, v1, 4, v0
	v_lshrrev_b32_e32 v8, 3, v6
	v_add_u32_e32 v4, s7, v8
	v_ashrrev_i32_e32 v5, 31, v4
	v_and_b32_e32 v2, 7, v0
	v_mov_b32_e32 v3, 0
	s_waitcnt lgkmcnt(0)
	v_mul_lo_u32 v7, s22, v5
	v_mul_lo_u32 v9, s23, v4
	v_mad_u64_u32 v[4:5], s[12:13], s22, v4, v[2:3]
	v_lshlrev_b32_e32 v2, 3, v2
	v_lshl_or_b32 v2, v8, 6, v2
	v_add3_u32 v5, v9, v5, v7
	v_and_b32_e32 v9, 31, v6
	v_add_u32_e32 v8, s6, v9
	v_lshrrev_b32_e32 v6, 5, v6
	v_mov_b32_e32 v7, v3
	v_lshlrev_b32_e32 v3, 3, v9
	v_add_u32_e32 v15, 0x800, v2
	v_ashrrev_i32_e32 v2, 31, v8
	s_add_u32 s10, s18, s0
	v_lshl_or_b32 v14, v6, 8, v3
	v_mul_lo_u32 v9, s2, v2
	v_mad_u64_u32 v[2:3], s[12:13], s2, v8, v[6:7]
	v_mul_lo_u32 v6, s3, v8
	s_addc_u32 s11, s19, s1
	s_load_dwordx2 s[10:11], s[10:11], 0x0
	s_add_u32 s0, s20, s0
	s_addc_u32 s1, s21, s1
	s_load_dwordx2 s[0:1], s[0:1], 0x0
	v_add3_u32 v3, v6, v3, v9
	v_lshlrev_b64 v[2:3], 3, v[2:3]
	s_waitcnt lgkmcnt(0)
	v_mov_b32_e32 v6, s11
	v_add_co_u32_e32 v2, vcc, s10, v2
	v_lshlrev_b64 v[4:5], 3, v[4:5]
	v_mov_b32_e32 v7, 0x800
	v_addc_co_u32_e32 v3, vcc, v6, v3, vcc
	v_lshl_add_u32 v17, v1, 6, v7
	v_mov_b32_e32 v7, s1
	v_add_co_u32_e32 v6, vcc, s0, v4
	v_addc_co_u32_e32 v7, vcc, v7, v5, vcc
	v_mov_b32_e32 v4, 0
	v_mov_b32_e32 v8, 0
	v_mov_b32_e32 v10, 0
	v_mov_b32_e32 v12, 0
	v_lshlrev_b32_e32 v16, 3, v0
	v_mov_b32_e32 v5, 0
	v_mov_b32_e32 v9, 0
	;; [unrolled: 1-line block ×4, first 2 shown]
	s_mov_b64 s[2:3], 0
.LBB1478_2:                             ; =>This Inner Loop Header: Depth=1
	flat_load_dwordx2 v[18:19], v[2:3]
	s_add_u32 s2, s2, 8
	s_addc_u32 s3, s3, 0
	v_add_co_u32_e64 v2, s[0:1], 64, v2
	v_addc_co_u32_e64 v3, s[0:1], 0, v3, s[0:1]
	s_waitcnt vmcnt(0) lgkmcnt(0)
	ds_write_b64 v14, v[18:19]
	flat_load_dwordx2 v[18:19], v[6:7]
	v_add_co_u32_e64 v6, s[0:1], 64, v6
	v_addc_co_u32_e64 v7, s[0:1], 0, v7, s[0:1]
	s_waitcnt vmcnt(0) lgkmcnt(0)
	ds_write_b64 v15, v[18:19]
	s_waitcnt lgkmcnt(0)
	s_barrier
	ds_read2_b64 v[18:21], v16 offset1:16
	ds_read_b128 v[22:25], v17
	ds_read_b128 v[26:29], v17 offset:1024
	ds_read_b128 v[30:33], v17 offset:16
	s_waitcnt lgkmcnt(2)
	v_fma_f64 v[34:35], v[18:19], v[22:23], v[12:13]
	v_fma_f64 v[22:23], v[20:21], v[22:23], v[10:11]
	s_waitcnt lgkmcnt(1)
	v_fma_f64 v[8:9], v[18:19], v[26:27], v[8:9]
	v_fma_f64 v[4:5], v[20:21], v[26:27], v[4:5]
	ds_read2_b64 v[18:21], v16 offset0:32 offset1:48
	ds_read_b128 v[10:13], v17 offset:1040
	s_waitcnt lgkmcnt(1)
	v_fma_f64 v[26:27], v[18:19], v[24:25], v[34:35]
	v_fma_f64 v[34:35], v[20:21], v[24:25], v[22:23]
	;; [unrolled: 1-line block ×4, first 2 shown]
	ds_read2_b64 v[18:21], v16 offset0:64 offset1:80
	ds_read2_b64 v[22:25], v16 offset0:96 offset1:112
	s_waitcnt lgkmcnt(1)
	v_fma_f64 v[26:27], v[18:19], v[30:31], v[26:27]
	v_fma_f64 v[28:29], v[20:21], v[30:31], v[34:35]
	;; [unrolled: 1-line block ×4, first 2 shown]
	ds_read2_b64 v[8:11], v16 offset0:128 offset1:144
	ds_read_b128 v[18:21], v17 offset:32
	s_waitcnt lgkmcnt(2)
	v_fma_f64 v[34:35], v[22:23], v[32:33], v[26:27]
	v_fma_f64 v[32:33], v[24:25], v[32:33], v[28:29]
	;; [unrolled: 1-line block ×4, first 2 shown]
	ds_read_b128 v[22:25], v17 offset:1056
	ds_read_b128 v[26:29], v17 offset:48
	s_waitcnt lgkmcnt(2)
	v_fma_f64 v[12:13], v[8:9], v[18:19], v[34:35]
	v_fma_f64 v[18:19], v[10:11], v[18:19], v[32:33]
	s_waitcnt lgkmcnt(1)
	v_fma_f64 v[34:35], v[8:9], v[22:23], v[36:37]
	v_fma_f64 v[4:5], v[10:11], v[22:23], v[4:5]
	ds_read2_b64 v[8:11], v16 offset0:160 offset1:176
	ds_read_b128 v[30:33], v17 offset:1072
	s_waitcnt lgkmcnt(1)
	v_fma_f64 v[12:13], v[8:9], v[20:21], v[12:13]
	v_fma_f64 v[18:19], v[10:11], v[20:21], v[18:19]
	v_mov_b32_e32 v21, s3
	v_mov_b32_e32 v20, s2
	v_cmp_le_u64_e32 vcc, s[16:17], v[20:21]
	v_fma_f64 v[20:21], v[8:9], v[24:25], v[34:35]
	v_fma_f64 v[4:5], v[10:11], v[24:25], v[4:5]
	ds_read2_b64 v[8:11], v16 offset0:192 offset1:208
	s_and_b64 vcc, exec, vcc
	s_waitcnt lgkmcnt(0)
	v_fma_f64 v[12:13], v[8:9], v[26:27], v[12:13]
	v_fma_f64 v[22:23], v[10:11], v[26:27], v[18:19]
	;; [unrolled: 1-line block ×4, first 2 shown]
	ds_read2_b64 v[18:21], v16 offset0:224 offset1:240
	s_waitcnt lgkmcnt(0)
	s_barrier
	v_fma_f64 v[12:13], v[18:19], v[28:29], v[12:13]
	v_fma_f64 v[10:11], v[20:21], v[28:29], v[22:23]
	;; [unrolled: 1-line block ×4, first 2 shown]
	s_cbranch_vccz .LBB1478_2
	s_branch .LBB1478_4
.LBB1478_3:
	v_mov_b32_e32 v12, 0
	v_mov_b32_e32 v10, 0
	;; [unrolled: 1-line block ×8, first 2 shown]
.LBB1478_4:
	v_add_u32_e32 v6, s7, v1
	v_ashrrev_i32_e32 v1, 31, v6
	v_mul_lo_u32 v3, s14, v1
	v_mul_lo_u32 v7, s15, v6
	v_mad_u64_u32 v[1:2], s[0:1], s14, v6, 0
	s_load_dword s4, s[4:5], 0x0
	v_add_u32_e32 v0, s6, v0
	v_add3_u32 v2, v2, v3, v7
	v_lshlrev_b64 v[1:2], 3, v[1:2]
	s_waitcnt lgkmcnt(0)
	v_mov_b32_e32 v3, s9
	v_add_co_u32_e32 v7, vcc, s8, v1
	v_addc_co_u32_e32 v14, vcc, v3, v2, vcc
	v_cmp_le_i32_e64 s[0:1], v6, v0
	v_cmp_gt_i32_e32 vcc, s4, v0
	s_and_b64 s[0:1], s[0:1], vcc
	s_and_saveexec_b64 s[2:3], s[0:1]
	s_cbranch_execz .LBB1478_6
; %bb.5:
	v_ashrrev_i32_e32 v1, 31, v0
	v_lshlrev_b64 v[1:2], 3, v[0:1]
	v_add_co_u32_e64 v1, s[0:1], v7, v1
	v_addc_co_u32_e64 v2, s[0:1], v14, v2, s[0:1]
	flat_store_dwordx2 v[1:2], v[12:13]
.LBB1478_6:
	s_or_b64 exec, exec, s[2:3]
	v_add_u32_e32 v2, 16, v0
	v_cmp_le_i32_e64 s[2:3], v6, v2
	v_cmp_gt_i32_e64 s[0:1], s4, v2
	s_and_b64 s[2:3], s[2:3], s[0:1]
	s_and_saveexec_b64 s[4:5], s[2:3]
	s_cbranch_execz .LBB1478_8
; %bb.7:
	v_ashrrev_i32_e32 v3, 31, v2
	v_lshlrev_b64 v[12:13], 3, v[2:3]
	v_add_co_u32_e64 v12, s[2:3], v7, v12
	v_addc_co_u32_e64 v13, s[2:3], v14, v13, s[2:3]
	flat_store_dwordx2 v[12:13], v[10:11]
.LBB1478_8:
	s_or_b64 exec, exec, s[4:5]
	v_add_u32_e32 v3, 16, v6
	v_ashrrev_i32_e32 v1, 31, v3
	v_mul_lo_u32 v10, s15, v3
	v_mad_u64_u32 v[6:7], s[2:3], s14, v3, 0
	v_mul_lo_u32 v1, s14, v1
	v_add3_u32 v7, v7, v1, v10
	v_lshlrev_b64 v[6:7], 3, v[6:7]
	v_mov_b32_e32 v1, s9
	v_add_co_u32_e64 v6, s[2:3], s8, v6
	v_addc_co_u32_e64 v7, s[2:3], v1, v7, s[2:3]
	v_cmp_le_i32_e64 s[2:3], v3, v0
	s_and_b64 s[4:5], s[2:3], vcc
	s_and_saveexec_b64 s[2:3], s[4:5]
	s_cbranch_execz .LBB1478_10
; %bb.9:
	v_ashrrev_i32_e32 v1, 31, v0
	v_lshlrev_b64 v[0:1], 3, v[0:1]
	v_add_co_u32_e32 v0, vcc, v6, v0
	v_addc_co_u32_e32 v1, vcc, v7, v1, vcc
	flat_store_dwordx2 v[0:1], v[8:9]
.LBB1478_10:
	s_or_b64 exec, exec, s[2:3]
	v_cmp_le_i32_e32 vcc, v3, v2
	s_and_b64 s[0:1], vcc, s[0:1]
	s_and_saveexec_b64 s[2:3], s[0:1]
	s_cbranch_execz .LBB1478_12
; %bb.11:
	v_ashrrev_i32_e32 v3, 31, v2
	v_lshlrev_b64 v[0:1], 3, v[2:3]
	v_add_co_u32_e32 v0, vcc, v6, v0
	v_addc_co_u32_e32 v1, vcc, v7, v1, vcc
	flat_store_dwordx2 v[0:1], v[4:5]
.LBB1478_12:
	s_endpgm
	.section	.rodata,"a",@progbits
	.p2align	6, 0x0
	.amdhsa_kernel _ZL37rocblas_syrkx_herkx_restricted_kernelIldLi16ELi32ELi8ELi1ELi0ELb0ELc67ELc76EKPKdKPdEviT_PT9_S5_lS7_S5_lPT10_S5_li
		.amdhsa_group_segment_fixed_size 4096
		.amdhsa_private_segment_fixed_size 0
		.amdhsa_kernarg_size 92
		.amdhsa_user_sgpr_count 6
		.amdhsa_user_sgpr_private_segment_buffer 1
		.amdhsa_user_sgpr_dispatch_ptr 0
		.amdhsa_user_sgpr_queue_ptr 0
		.amdhsa_user_sgpr_kernarg_segment_ptr 1
		.amdhsa_user_sgpr_dispatch_id 0
		.amdhsa_user_sgpr_flat_scratch_init 0
		.amdhsa_user_sgpr_private_segment_size 0
		.amdhsa_uses_dynamic_stack 0
		.amdhsa_system_sgpr_private_segment_wavefront_offset 0
		.amdhsa_system_sgpr_workgroup_id_x 1
		.amdhsa_system_sgpr_workgroup_id_y 1
		.amdhsa_system_sgpr_workgroup_id_z 1
		.amdhsa_system_sgpr_workgroup_info 0
		.amdhsa_system_vgpr_workitem_id 1
		.amdhsa_next_free_vgpr 38
		.amdhsa_next_free_sgpr 24
		.amdhsa_reserve_vcc 1
		.amdhsa_reserve_flat_scratch 0
		.amdhsa_float_round_mode_32 0
		.amdhsa_float_round_mode_16_64 0
		.amdhsa_float_denorm_mode_32 3
		.amdhsa_float_denorm_mode_16_64 3
		.amdhsa_dx10_clamp 1
		.amdhsa_ieee_mode 1
		.amdhsa_fp16_overflow 0
		.amdhsa_exception_fp_ieee_invalid_op 0
		.amdhsa_exception_fp_denorm_src 0
		.amdhsa_exception_fp_ieee_div_zero 0
		.amdhsa_exception_fp_ieee_overflow 0
		.amdhsa_exception_fp_ieee_underflow 0
		.amdhsa_exception_fp_ieee_inexact 0
		.amdhsa_exception_int_div_zero 0
	.end_amdhsa_kernel
	.section	.text._ZL37rocblas_syrkx_herkx_restricted_kernelIldLi16ELi32ELi8ELi1ELi0ELb0ELc67ELc76EKPKdKPdEviT_PT9_S5_lS7_S5_lPT10_S5_li,"axG",@progbits,_ZL37rocblas_syrkx_herkx_restricted_kernelIldLi16ELi32ELi8ELi1ELi0ELb0ELc67ELc76EKPKdKPdEviT_PT9_S5_lS7_S5_lPT10_S5_li,comdat
.Lfunc_end1478:
	.size	_ZL37rocblas_syrkx_herkx_restricted_kernelIldLi16ELi32ELi8ELi1ELi0ELb0ELc67ELc76EKPKdKPdEviT_PT9_S5_lS7_S5_lPT10_S5_li, .Lfunc_end1478-_ZL37rocblas_syrkx_herkx_restricted_kernelIldLi16ELi32ELi8ELi1ELi0ELb0ELc67ELc76EKPKdKPdEviT_PT9_S5_lS7_S5_lPT10_S5_li
                                        ; -- End function
	.set _ZL37rocblas_syrkx_herkx_restricted_kernelIldLi16ELi32ELi8ELi1ELi0ELb0ELc67ELc76EKPKdKPdEviT_PT9_S5_lS7_S5_lPT10_S5_li.num_vgpr, 38
	.set _ZL37rocblas_syrkx_herkx_restricted_kernelIldLi16ELi32ELi8ELi1ELi0ELb0ELc67ELc76EKPKdKPdEviT_PT9_S5_lS7_S5_lPT10_S5_li.num_agpr, 0
	.set _ZL37rocblas_syrkx_herkx_restricted_kernelIldLi16ELi32ELi8ELi1ELi0ELb0ELc67ELc76EKPKdKPdEviT_PT9_S5_lS7_S5_lPT10_S5_li.numbered_sgpr, 24
	.set _ZL37rocblas_syrkx_herkx_restricted_kernelIldLi16ELi32ELi8ELi1ELi0ELb0ELc67ELc76EKPKdKPdEviT_PT9_S5_lS7_S5_lPT10_S5_li.num_named_barrier, 0
	.set _ZL37rocblas_syrkx_herkx_restricted_kernelIldLi16ELi32ELi8ELi1ELi0ELb0ELc67ELc76EKPKdKPdEviT_PT9_S5_lS7_S5_lPT10_S5_li.private_seg_size, 0
	.set _ZL37rocblas_syrkx_herkx_restricted_kernelIldLi16ELi32ELi8ELi1ELi0ELb0ELc67ELc76EKPKdKPdEviT_PT9_S5_lS7_S5_lPT10_S5_li.uses_vcc, 1
	.set _ZL37rocblas_syrkx_herkx_restricted_kernelIldLi16ELi32ELi8ELi1ELi0ELb0ELc67ELc76EKPKdKPdEviT_PT9_S5_lS7_S5_lPT10_S5_li.uses_flat_scratch, 0
	.set _ZL37rocblas_syrkx_herkx_restricted_kernelIldLi16ELi32ELi8ELi1ELi0ELb0ELc67ELc76EKPKdKPdEviT_PT9_S5_lS7_S5_lPT10_S5_li.has_dyn_sized_stack, 0
	.set _ZL37rocblas_syrkx_herkx_restricted_kernelIldLi16ELi32ELi8ELi1ELi0ELb0ELc67ELc76EKPKdKPdEviT_PT9_S5_lS7_S5_lPT10_S5_li.has_recursion, 0
	.set _ZL37rocblas_syrkx_herkx_restricted_kernelIldLi16ELi32ELi8ELi1ELi0ELb0ELc67ELc76EKPKdKPdEviT_PT9_S5_lS7_S5_lPT10_S5_li.has_indirect_call, 0
	.section	.AMDGPU.csdata,"",@progbits
; Kernel info:
; codeLenInByte = 1316
; TotalNumSgprs: 28
; NumVgprs: 38
; ScratchSize: 0
; MemoryBound: 0
; FloatMode: 240
; IeeeMode: 1
; LDSByteSize: 4096 bytes/workgroup (compile time only)
; SGPRBlocks: 3
; VGPRBlocks: 9
; NumSGPRsForWavesPerEU: 28
; NumVGPRsForWavesPerEU: 38
; Occupancy: 6
; WaveLimiterHint : 1
; COMPUTE_PGM_RSRC2:SCRATCH_EN: 0
; COMPUTE_PGM_RSRC2:USER_SGPR: 6
; COMPUTE_PGM_RSRC2:TRAP_HANDLER: 0
; COMPUTE_PGM_RSRC2:TGID_X_EN: 1
; COMPUTE_PGM_RSRC2:TGID_Y_EN: 1
; COMPUTE_PGM_RSRC2:TGID_Z_EN: 1
; COMPUTE_PGM_RSRC2:TIDIG_COMP_CNT: 1
	.section	.text._ZL37rocblas_syrkx_herkx_restricted_kernelIldLi16ELi32ELi8ELi1ELi0ELb0ELc78ELc76EKPKdKPdEviT_PT9_S5_lS7_S5_lPT10_S5_li,"axG",@progbits,_ZL37rocblas_syrkx_herkx_restricted_kernelIldLi16ELi32ELi8ELi1ELi0ELb0ELc78ELc76EKPKdKPdEviT_PT9_S5_lS7_S5_lPT10_S5_li,comdat
	.globl	_ZL37rocblas_syrkx_herkx_restricted_kernelIldLi16ELi32ELi8ELi1ELi0ELb0ELc78ELc76EKPKdKPdEviT_PT9_S5_lS7_S5_lPT10_S5_li ; -- Begin function _ZL37rocblas_syrkx_herkx_restricted_kernelIldLi16ELi32ELi8ELi1ELi0ELb0ELc78ELc76EKPKdKPdEviT_PT9_S5_lS7_S5_lPT10_S5_li
	.p2align	8
	.type	_ZL37rocblas_syrkx_herkx_restricted_kernelIldLi16ELi32ELi8ELi1ELi0ELb0ELc78ELc76EKPKdKPdEviT_PT9_S5_lS7_S5_lPT10_S5_li,@function
_ZL37rocblas_syrkx_herkx_restricted_kernelIldLi16ELi32ELi8ELi1ELi0ELb0ELc78ELc76EKPKdKPdEviT_PT9_S5_lS7_S5_lPT10_S5_li: ; @_ZL37rocblas_syrkx_herkx_restricted_kernelIldLi16ELi32ELi8ELi1ELi0ELb0ELc78ELc76EKPKdKPdEviT_PT9_S5_lS7_S5_lPT10_S5_li
; %bb.0:
	s_load_dwordx4 s[12:15], s[4:5], 0x40
	s_load_dwordx4 s[16:19], s[4:5], 0x8
	s_mov_b32 s9, 0
	s_lshl_b64 s[10:11], s[8:9], 3
	s_waitcnt lgkmcnt(0)
	s_add_u32 s0, s12, s10
	s_addc_u32 s1, s13, s11
	s_load_dwordx2 s[8:9], s[0:1], 0x0
	v_cmp_lt_i64_e64 s[0:1], s[16:17], 1
	s_lshl_b32 s12, s6, 5
	s_lshl_b32 s13, s7, 5
	s_and_b64 vcc, exec, s[0:1]
	s_cbranch_vccnz .LBB1479_3
; %bb.1:
	s_load_dwordx2 s[6:7], s[4:5], 0x18
	s_load_dwordx4 s[0:3], s[4:5], 0x28
	v_lshl_add_u32 v7, v1, 4, v0
	v_lshrrev_b32_e32 v8, 3, v7
	v_add_u32_e32 v2, s13, v8
	v_and_b32_e32 v6, 7, v0
	v_ashrrev_i32_e32 v3, 31, v2
	s_waitcnt lgkmcnt(0)
	v_mad_u64_u32 v[4:5], s[20:21], s2, v6, v[2:3]
	s_add_u32 s18, s18, s10
	s_addc_u32 s19, s19, s11
	v_mov_b32_e32 v2, v5
	v_mad_u64_u32 v[2:3], s[20:21], s3, v6, v[2:3]
	v_lshrrev_b32_e32 v9, 5, v7
	s_add_u32 s0, s0, s10
	v_mov_b32_e32 v5, v2
	v_and_b32_e32 v2, 31, v7
	v_lshlrev_b32_e32 v3, 3, v2
	v_add_u32_e32 v2, s12, v2
	v_lshl_or_b32 v14, v9, 8, v3
	v_ashrrev_i32_e32 v3, 31, v2
	s_addc_u32 s1, s1, s11
	v_mad_u64_u32 v[2:3], s[10:11], s6, v9, v[2:3]
	v_lshlrev_b32_e32 v6, 3, v6
	v_lshl_or_b32 v6, v8, 6, v6
	v_add_u32_e32 v15, 0x800, v6
	v_mad_u64_u32 v[6:7], s[10:11], s7, v9, v[3:4]
	s_load_dwordx2 s[18:19], s[18:19], 0x0
	v_mov_b32_e32 v3, 0x800
	s_load_dwordx2 s[0:1], s[0:1], 0x0
	v_lshl_add_u32 v17, v1, 6, v3
	v_mov_b32_e32 v3, v6
	v_lshlrev_b64 v[2:3], 3, v[2:3]
	s_waitcnt lgkmcnt(0)
	v_mov_b32_e32 v6, s19
	v_add_co_u32_e32 v2, vcc, s18, v2
	v_lshlrev_b64 v[4:5], 3, v[4:5]
	v_addc_co_u32_e32 v3, vcc, v6, v3, vcc
	v_mov_b32_e32 v7, s1
	v_add_co_u32_e32 v6, vcc, s0, v4
	s_lshl_b64 s[6:7], s[6:7], 6
	v_addc_co_u32_e32 v7, vcc, v7, v5, vcc
	s_lshl_b64 s[2:3], s[2:3], 6
	v_mov_b32_e32 v4, 0
	v_mov_b32_e32 v8, 0
	;; [unrolled: 1-line block ×4, first 2 shown]
	v_lshlrev_b32_e32 v16, 3, v0
	v_mov_b32_e32 v5, 0
	s_mov_b64 s[10:11], 0
	v_mov_b32_e32 v18, s7
	v_mov_b32_e32 v9, 0
	;; [unrolled: 1-line block ×5, first 2 shown]
.LBB1479_2:                             ; =>This Inner Loop Header: Depth=1
	flat_load_dwordx2 v[20:21], v[2:3]
	s_add_u32 s10, s10, 8
	v_add_co_u32_e32 v2, vcc, s6, v2
	s_addc_u32 s11, s11, 0
	v_addc_co_u32_e32 v3, vcc, v3, v18, vcc
	s_waitcnt vmcnt(0) lgkmcnt(0)
	ds_write_b64 v14, v[20:21]
	flat_load_dwordx2 v[20:21], v[6:7]
	v_add_co_u32_e64 v6, s[0:1], s2, v6
	v_addc_co_u32_e64 v7, s[0:1], v7, v19, s[0:1]
	s_waitcnt vmcnt(0) lgkmcnt(0)
	ds_write_b64 v15, v[20:21]
	s_waitcnt lgkmcnt(0)
	s_barrier
	ds_read2_b64 v[20:23], v16 offset1:16
	ds_read_b128 v[24:27], v17
	ds_read_b128 v[28:31], v17 offset:16
	s_waitcnt lgkmcnt(1)
	v_fma_f64 v[36:37], v[20:21], v[24:25], v[12:13]
	v_fma_f64 v[24:25], v[22:23], v[24:25], v[10:11]
	ds_read_b128 v[10:13], v17 offset:1024
	ds_read_b128 v[32:35], v17 offset:1040
	s_waitcnt lgkmcnt(1)
	v_fma_f64 v[20:21], v[20:21], v[10:11], v[8:9]
	v_fma_f64 v[4:5], v[22:23], v[10:11], v[4:5]
	ds_read2_b64 v[8:11], v16 offset0:32 offset1:48
	s_waitcnt lgkmcnt(0)
	v_fma_f64 v[22:23], v[8:9], v[26:27], v[36:37]
	v_fma_f64 v[24:25], v[10:11], v[26:27], v[24:25]
	v_fma_f64 v[20:21], v[8:9], v[12:13], v[20:21]
	v_fma_f64 v[4:5], v[10:11], v[12:13], v[4:5]
	ds_read2_b64 v[8:11], v16 offset0:64 offset1:80
	s_waitcnt lgkmcnt(0)
	v_fma_f64 v[12:13], v[8:9], v[28:29], v[22:23]
	v_fma_f64 v[22:23], v[10:11], v[28:29], v[24:25]
	;; [unrolled: 6-line block ×3, first 2 shown]
	ds_read2_b64 v[20:23], v16 offset0:128 offset1:144
	v_fma_f64 v[36:37], v[8:9], v[34:35], v[24:25]
	v_fma_f64 v[4:5], v[10:11], v[34:35], v[4:5]
	ds_read_b128 v[8:11], v17 offset:32
	ds_read_b128 v[24:27], v17 offset:48
	s_waitcnt lgkmcnt(1)
	v_fma_f64 v[12:13], v[20:21], v[8:9], v[12:13]
	v_fma_f64 v[8:9], v[22:23], v[8:9], v[28:29]
	ds_read_b128 v[28:31], v17 offset:1056
	ds_read_b128 v[32:35], v17 offset:1072
	s_waitcnt lgkmcnt(1)
	v_fma_f64 v[36:37], v[20:21], v[28:29], v[36:37]
	v_fma_f64 v[4:5], v[22:23], v[28:29], v[4:5]
	ds_read2_b64 v[20:23], v16 offset0:160 offset1:176
	s_waitcnt lgkmcnt(0)
	v_fma_f64 v[12:13], v[20:21], v[10:11], v[12:13]
	v_fma_f64 v[28:29], v[22:23], v[10:11], v[8:9]
	;; [unrolled: 1-line block ×4, first 2 shown]
	v_mov_b32_e32 v8, s10
	v_mov_b32_e32 v9, s11
	v_cmp_le_u64_e32 vcc, s[16:17], v[8:9]
	ds_read2_b64 v[8:11], v16 offset0:192 offset1:208
	s_and_b64 vcc, exec, vcc
	s_waitcnt lgkmcnt(0)
	v_fma_f64 v[12:13], v[8:9], v[24:25], v[12:13]
	v_fma_f64 v[24:25], v[10:11], v[24:25], v[28:29]
	;; [unrolled: 1-line block ×4, first 2 shown]
	ds_read2_b64 v[20:23], v16 offset0:224 offset1:240
	s_waitcnt lgkmcnt(0)
	s_barrier
	v_fma_f64 v[12:13], v[20:21], v[26:27], v[12:13]
	v_fma_f64 v[10:11], v[22:23], v[26:27], v[24:25]
	;; [unrolled: 1-line block ×4, first 2 shown]
	s_cbranch_vccz .LBB1479_2
	s_branch .LBB1479_4
.LBB1479_3:
	v_mov_b32_e32 v12, 0
	v_mov_b32_e32 v10, 0
	;; [unrolled: 1-line block ×8, first 2 shown]
.LBB1479_4:
	v_add_u32_e32 v6, s13, v1
	v_ashrrev_i32_e32 v1, 31, v6
	v_mul_lo_u32 v3, s14, v1
	v_mul_lo_u32 v7, s15, v6
	v_mad_u64_u32 v[1:2], s[0:1], s14, v6, 0
	s_load_dword s4, s[4:5], 0x0
	v_add_u32_e32 v0, s12, v0
	v_add3_u32 v2, v2, v3, v7
	v_lshlrev_b64 v[1:2], 3, v[1:2]
	s_waitcnt lgkmcnt(0)
	v_mov_b32_e32 v3, s9
	v_add_co_u32_e32 v7, vcc, s8, v1
	v_addc_co_u32_e32 v14, vcc, v3, v2, vcc
	v_cmp_le_i32_e64 s[0:1], v6, v0
	v_cmp_gt_i32_e32 vcc, s4, v0
	s_and_b64 s[0:1], s[0:1], vcc
	s_and_saveexec_b64 s[2:3], s[0:1]
	s_cbranch_execz .LBB1479_6
; %bb.5:
	v_ashrrev_i32_e32 v1, 31, v0
	v_lshlrev_b64 v[1:2], 3, v[0:1]
	v_add_co_u32_e64 v1, s[0:1], v7, v1
	v_addc_co_u32_e64 v2, s[0:1], v14, v2, s[0:1]
	flat_store_dwordx2 v[1:2], v[12:13]
.LBB1479_6:
	s_or_b64 exec, exec, s[2:3]
	v_add_u32_e32 v2, 16, v0
	v_cmp_le_i32_e64 s[2:3], v6, v2
	v_cmp_gt_i32_e64 s[0:1], s4, v2
	s_and_b64 s[2:3], s[2:3], s[0:1]
	s_and_saveexec_b64 s[4:5], s[2:3]
	s_cbranch_execz .LBB1479_8
; %bb.7:
	v_ashrrev_i32_e32 v3, 31, v2
	v_lshlrev_b64 v[12:13], 3, v[2:3]
	v_add_co_u32_e64 v12, s[2:3], v7, v12
	v_addc_co_u32_e64 v13, s[2:3], v14, v13, s[2:3]
	flat_store_dwordx2 v[12:13], v[10:11]
.LBB1479_8:
	s_or_b64 exec, exec, s[4:5]
	v_add_u32_e32 v3, 16, v6
	v_ashrrev_i32_e32 v1, 31, v3
	v_mul_lo_u32 v10, s15, v3
	v_mad_u64_u32 v[6:7], s[2:3], s14, v3, 0
	v_mul_lo_u32 v1, s14, v1
	v_add3_u32 v7, v7, v1, v10
	v_lshlrev_b64 v[6:7], 3, v[6:7]
	v_mov_b32_e32 v1, s9
	v_add_co_u32_e64 v6, s[2:3], s8, v6
	v_addc_co_u32_e64 v7, s[2:3], v1, v7, s[2:3]
	v_cmp_le_i32_e64 s[2:3], v3, v0
	s_and_b64 s[4:5], s[2:3], vcc
	s_and_saveexec_b64 s[2:3], s[4:5]
	s_cbranch_execz .LBB1479_10
; %bb.9:
	v_ashrrev_i32_e32 v1, 31, v0
	v_lshlrev_b64 v[0:1], 3, v[0:1]
	v_add_co_u32_e32 v0, vcc, v6, v0
	v_addc_co_u32_e32 v1, vcc, v7, v1, vcc
	flat_store_dwordx2 v[0:1], v[8:9]
.LBB1479_10:
	s_or_b64 exec, exec, s[2:3]
	v_cmp_le_i32_e32 vcc, v3, v2
	s_and_b64 s[0:1], vcc, s[0:1]
	s_and_saveexec_b64 s[2:3], s[0:1]
	s_cbranch_execz .LBB1479_12
; %bb.11:
	v_ashrrev_i32_e32 v3, 31, v2
	v_lshlrev_b64 v[0:1], 3, v[2:3]
	v_add_co_u32_e32 v0, vcc, v6, v0
	v_addc_co_u32_e32 v1, vcc, v7, v1, vcc
	flat_store_dwordx2 v[0:1], v[4:5]
.LBB1479_12:
	s_endpgm
	.section	.rodata,"a",@progbits
	.p2align	6, 0x0
	.amdhsa_kernel _ZL37rocblas_syrkx_herkx_restricted_kernelIldLi16ELi32ELi8ELi1ELi0ELb0ELc78ELc76EKPKdKPdEviT_PT9_S5_lS7_S5_lPT10_S5_li
		.amdhsa_group_segment_fixed_size 4096
		.amdhsa_private_segment_fixed_size 0
		.amdhsa_kernarg_size 92
		.amdhsa_user_sgpr_count 6
		.amdhsa_user_sgpr_private_segment_buffer 1
		.amdhsa_user_sgpr_dispatch_ptr 0
		.amdhsa_user_sgpr_queue_ptr 0
		.amdhsa_user_sgpr_kernarg_segment_ptr 1
		.amdhsa_user_sgpr_dispatch_id 0
		.amdhsa_user_sgpr_flat_scratch_init 0
		.amdhsa_user_sgpr_private_segment_size 0
		.amdhsa_uses_dynamic_stack 0
		.amdhsa_system_sgpr_private_segment_wavefront_offset 0
		.amdhsa_system_sgpr_workgroup_id_x 1
		.amdhsa_system_sgpr_workgroup_id_y 1
		.amdhsa_system_sgpr_workgroup_id_z 1
		.amdhsa_system_sgpr_workgroup_info 0
		.amdhsa_system_vgpr_workitem_id 1
		.amdhsa_next_free_vgpr 38
		.amdhsa_next_free_sgpr 22
		.amdhsa_reserve_vcc 1
		.amdhsa_reserve_flat_scratch 0
		.amdhsa_float_round_mode_32 0
		.amdhsa_float_round_mode_16_64 0
		.amdhsa_float_denorm_mode_32 3
		.amdhsa_float_denorm_mode_16_64 3
		.amdhsa_dx10_clamp 1
		.amdhsa_ieee_mode 1
		.amdhsa_fp16_overflow 0
		.amdhsa_exception_fp_ieee_invalid_op 0
		.amdhsa_exception_fp_denorm_src 0
		.amdhsa_exception_fp_ieee_div_zero 0
		.amdhsa_exception_fp_ieee_overflow 0
		.amdhsa_exception_fp_ieee_underflow 0
		.amdhsa_exception_fp_ieee_inexact 0
		.amdhsa_exception_int_div_zero 0
	.end_amdhsa_kernel
	.section	.text._ZL37rocblas_syrkx_herkx_restricted_kernelIldLi16ELi32ELi8ELi1ELi0ELb0ELc78ELc76EKPKdKPdEviT_PT9_S5_lS7_S5_lPT10_S5_li,"axG",@progbits,_ZL37rocblas_syrkx_herkx_restricted_kernelIldLi16ELi32ELi8ELi1ELi0ELb0ELc78ELc76EKPKdKPdEviT_PT9_S5_lS7_S5_lPT10_S5_li,comdat
.Lfunc_end1479:
	.size	_ZL37rocblas_syrkx_herkx_restricted_kernelIldLi16ELi32ELi8ELi1ELi0ELb0ELc78ELc76EKPKdKPdEviT_PT9_S5_lS7_S5_lPT10_S5_li, .Lfunc_end1479-_ZL37rocblas_syrkx_herkx_restricted_kernelIldLi16ELi32ELi8ELi1ELi0ELb0ELc78ELc76EKPKdKPdEviT_PT9_S5_lS7_S5_lPT10_S5_li
                                        ; -- End function
	.set _ZL37rocblas_syrkx_herkx_restricted_kernelIldLi16ELi32ELi8ELi1ELi0ELb0ELc78ELc76EKPKdKPdEviT_PT9_S5_lS7_S5_lPT10_S5_li.num_vgpr, 38
	.set _ZL37rocblas_syrkx_herkx_restricted_kernelIldLi16ELi32ELi8ELi1ELi0ELb0ELc78ELc76EKPKdKPdEviT_PT9_S5_lS7_S5_lPT10_S5_li.num_agpr, 0
	.set _ZL37rocblas_syrkx_herkx_restricted_kernelIldLi16ELi32ELi8ELi1ELi0ELb0ELc78ELc76EKPKdKPdEviT_PT9_S5_lS7_S5_lPT10_S5_li.numbered_sgpr, 22
	.set _ZL37rocblas_syrkx_herkx_restricted_kernelIldLi16ELi32ELi8ELi1ELi0ELb0ELc78ELc76EKPKdKPdEviT_PT9_S5_lS7_S5_lPT10_S5_li.num_named_barrier, 0
	.set _ZL37rocblas_syrkx_herkx_restricted_kernelIldLi16ELi32ELi8ELi1ELi0ELb0ELc78ELc76EKPKdKPdEviT_PT9_S5_lS7_S5_lPT10_S5_li.private_seg_size, 0
	.set _ZL37rocblas_syrkx_herkx_restricted_kernelIldLi16ELi32ELi8ELi1ELi0ELb0ELc78ELc76EKPKdKPdEviT_PT9_S5_lS7_S5_lPT10_S5_li.uses_vcc, 1
	.set _ZL37rocblas_syrkx_herkx_restricted_kernelIldLi16ELi32ELi8ELi1ELi0ELb0ELc78ELc76EKPKdKPdEviT_PT9_S5_lS7_S5_lPT10_S5_li.uses_flat_scratch, 0
	.set _ZL37rocblas_syrkx_herkx_restricted_kernelIldLi16ELi32ELi8ELi1ELi0ELb0ELc78ELc76EKPKdKPdEviT_PT9_S5_lS7_S5_lPT10_S5_li.has_dyn_sized_stack, 0
	.set _ZL37rocblas_syrkx_herkx_restricted_kernelIldLi16ELi32ELi8ELi1ELi0ELb0ELc78ELc76EKPKdKPdEviT_PT9_S5_lS7_S5_lPT10_S5_li.has_recursion, 0
	.set _ZL37rocblas_syrkx_herkx_restricted_kernelIldLi16ELi32ELi8ELi1ELi0ELb0ELc78ELc76EKPKdKPdEviT_PT9_S5_lS7_S5_lPT10_S5_li.has_indirect_call, 0
	.section	.AMDGPU.csdata,"",@progbits
; Kernel info:
; codeLenInByte = 1296
; TotalNumSgprs: 26
; NumVgprs: 38
; ScratchSize: 0
; MemoryBound: 0
; FloatMode: 240
; IeeeMode: 1
; LDSByteSize: 4096 bytes/workgroup (compile time only)
; SGPRBlocks: 3
; VGPRBlocks: 9
; NumSGPRsForWavesPerEU: 26
; NumVGPRsForWavesPerEU: 38
; Occupancy: 6
; WaveLimiterHint : 1
; COMPUTE_PGM_RSRC2:SCRATCH_EN: 0
; COMPUTE_PGM_RSRC2:USER_SGPR: 6
; COMPUTE_PGM_RSRC2:TRAP_HANDLER: 0
; COMPUTE_PGM_RSRC2:TGID_X_EN: 1
; COMPUTE_PGM_RSRC2:TGID_Y_EN: 1
; COMPUTE_PGM_RSRC2:TGID_Z_EN: 1
; COMPUTE_PGM_RSRC2:TIDIG_COMP_CNT: 1
	.section	.text._ZL37rocblas_syrkx_herkx_restricted_kernelIldLi16ELi32ELi8ELi1ELi0ELb0ELc84ELc85EKPKdKPdEviT_PT9_S5_lS7_S5_lPT10_S5_li,"axG",@progbits,_ZL37rocblas_syrkx_herkx_restricted_kernelIldLi16ELi32ELi8ELi1ELi0ELb0ELc84ELc85EKPKdKPdEviT_PT9_S5_lS7_S5_lPT10_S5_li,comdat
	.globl	_ZL37rocblas_syrkx_herkx_restricted_kernelIldLi16ELi32ELi8ELi1ELi0ELb0ELc84ELc85EKPKdKPdEviT_PT9_S5_lS7_S5_lPT10_S5_li ; -- Begin function _ZL37rocblas_syrkx_herkx_restricted_kernelIldLi16ELi32ELi8ELi1ELi0ELb0ELc84ELc85EKPKdKPdEviT_PT9_S5_lS7_S5_lPT10_S5_li
	.p2align	8
	.type	_ZL37rocblas_syrkx_herkx_restricted_kernelIldLi16ELi32ELi8ELi1ELi0ELb0ELc84ELc85EKPKdKPdEviT_PT9_S5_lS7_S5_lPT10_S5_li,@function
_ZL37rocblas_syrkx_herkx_restricted_kernelIldLi16ELi32ELi8ELi1ELi0ELb0ELc84ELc85EKPKdKPdEviT_PT9_S5_lS7_S5_lPT10_S5_li: ; @_ZL37rocblas_syrkx_herkx_restricted_kernelIldLi16ELi32ELi8ELi1ELi0ELb0ELc84ELc85EKPKdKPdEviT_PT9_S5_lS7_S5_lPT10_S5_li
; %bb.0:
	s_load_dwordx4 s[0:3], s[4:5], 0x40
	s_load_dwordx4 s[12:15], s[4:5], 0x8
	s_mov_b32 s9, 0
	s_lshl_b64 s[10:11], s[8:9], 3
	s_waitcnt lgkmcnt(0)
	s_add_u32 s0, s0, s10
	s_addc_u32 s1, s1, s11
	s_load_dwordx2 s[8:9], s[0:1], 0x0
	v_cmp_lt_i64_e64 s[0:1], s[12:13], 1
	s_lshl_b32 s16, s6, 5
	s_lshl_b32 s17, s7, 5
	s_and_b64 vcc, exec, s[0:1]
	s_cbranch_vccnz .LBB1480_3
; %bb.1:
	s_load_dwordx2 s[0:1], s[4:5], 0x18
	s_load_dwordx4 s[20:23], s[4:5], 0x28
	v_lshl_add_u32 v6, v1, 4, v0
	v_lshrrev_b32_e32 v8, 3, v6
	v_add_u32_e32 v4, s17, v8
	s_add_u32 s6, s14, s10
	v_ashrrev_i32_e32 v5, 31, v4
	v_and_b32_e32 v2, 7, v0
	v_mov_b32_e32 v3, 0
	s_addc_u32 s7, s15, s11
	s_waitcnt lgkmcnt(0)
	v_mul_lo_u32 v7, s22, v5
	v_mul_lo_u32 v9, s23, v4
	v_mad_u64_u32 v[4:5], s[14:15], s22, v4, v[2:3]
	v_lshlrev_b32_e32 v2, 3, v2
	v_lshl_or_b32 v2, v8, 6, v2
	v_add3_u32 v5, v9, v5, v7
	v_and_b32_e32 v9, 31, v6
	v_add_u32_e32 v8, s16, v9
	v_lshrrev_b32_e32 v6, 5, v6
	v_mov_b32_e32 v7, v3
	v_lshlrev_b32_e32 v3, 3, v9
	v_add_u32_e32 v15, 0x800, v2
	v_ashrrev_i32_e32 v2, 31, v8
	v_lshl_or_b32 v14, v6, 8, v3
	v_mul_lo_u32 v9, s0, v2
	v_mad_u64_u32 v[2:3], s[14:15], s0, v8, v[6:7]
	v_mul_lo_u32 v6, s1, v8
	s_load_dwordx2 s[6:7], s[6:7], 0x0
	s_add_u32 s10, s20, s10
	s_addc_u32 s11, s21, s11
	s_load_dwordx2 s[10:11], s[10:11], 0x0
	v_add3_u32 v3, v6, v3, v9
	v_lshlrev_b64 v[2:3], 3, v[2:3]
	s_waitcnt lgkmcnt(0)
	v_mov_b32_e32 v6, s7
	v_add_co_u32_e32 v2, vcc, s6, v2
	v_lshlrev_b64 v[4:5], 3, v[4:5]
	v_mov_b32_e32 v7, 0x800
	v_addc_co_u32_e32 v3, vcc, v6, v3, vcc
	v_lshl_add_u32 v17, v1, 6, v7
	v_mov_b32_e32 v7, s11
	v_add_co_u32_e32 v6, vcc, s10, v4
	v_addc_co_u32_e32 v7, vcc, v7, v5, vcc
	v_mov_b32_e32 v4, 0
	v_mov_b32_e32 v8, 0
	;; [unrolled: 1-line block ×4, first 2 shown]
	v_lshlrev_b32_e32 v16, 3, v0
	v_mov_b32_e32 v5, 0
	v_mov_b32_e32 v9, 0
	;; [unrolled: 1-line block ×4, first 2 shown]
	s_mov_b64 s[6:7], 0
.LBB1480_2:                             ; =>This Inner Loop Header: Depth=1
	flat_load_dwordx2 v[18:19], v[2:3]
	s_add_u32 s6, s6, 8
	s_addc_u32 s7, s7, 0
	v_add_co_u32_e64 v2, s[0:1], 64, v2
	v_addc_co_u32_e64 v3, s[0:1], 0, v3, s[0:1]
	s_waitcnt vmcnt(0) lgkmcnt(0)
	ds_write_b64 v14, v[18:19]
	flat_load_dwordx2 v[18:19], v[6:7]
	v_add_co_u32_e64 v6, s[0:1], 64, v6
	v_addc_co_u32_e64 v7, s[0:1], 0, v7, s[0:1]
	s_waitcnt vmcnt(0) lgkmcnt(0)
	ds_write_b64 v15, v[18:19]
	s_waitcnt lgkmcnt(0)
	s_barrier
	ds_read2_b64 v[18:21], v16 offset1:16
	ds_read_b128 v[22:25], v17
	ds_read_b128 v[26:29], v17 offset:1024
	ds_read_b128 v[30:33], v17 offset:16
	s_waitcnt lgkmcnt(2)
	v_fma_f64 v[34:35], v[18:19], v[22:23], v[12:13]
	v_fma_f64 v[22:23], v[20:21], v[22:23], v[10:11]
	s_waitcnt lgkmcnt(1)
	v_fma_f64 v[8:9], v[18:19], v[26:27], v[8:9]
	v_fma_f64 v[4:5], v[20:21], v[26:27], v[4:5]
	ds_read2_b64 v[18:21], v16 offset0:32 offset1:48
	ds_read_b128 v[10:13], v17 offset:1040
	s_waitcnt lgkmcnt(1)
	v_fma_f64 v[26:27], v[18:19], v[24:25], v[34:35]
	v_fma_f64 v[34:35], v[20:21], v[24:25], v[22:23]
	;; [unrolled: 1-line block ×4, first 2 shown]
	ds_read2_b64 v[18:21], v16 offset0:64 offset1:80
	ds_read2_b64 v[22:25], v16 offset0:96 offset1:112
	s_waitcnt lgkmcnt(1)
	v_fma_f64 v[26:27], v[18:19], v[30:31], v[26:27]
	v_fma_f64 v[28:29], v[20:21], v[30:31], v[34:35]
	;; [unrolled: 1-line block ×4, first 2 shown]
	ds_read2_b64 v[8:11], v16 offset0:128 offset1:144
	ds_read_b128 v[18:21], v17 offset:32
	s_waitcnt lgkmcnt(2)
	v_fma_f64 v[34:35], v[22:23], v[32:33], v[26:27]
	v_fma_f64 v[32:33], v[24:25], v[32:33], v[28:29]
	;; [unrolled: 1-line block ×4, first 2 shown]
	ds_read_b128 v[22:25], v17 offset:1056
	ds_read_b128 v[26:29], v17 offset:48
	s_waitcnt lgkmcnt(2)
	v_fma_f64 v[12:13], v[8:9], v[18:19], v[34:35]
	v_fma_f64 v[18:19], v[10:11], v[18:19], v[32:33]
	s_waitcnt lgkmcnt(1)
	v_fma_f64 v[34:35], v[8:9], v[22:23], v[36:37]
	v_fma_f64 v[4:5], v[10:11], v[22:23], v[4:5]
	ds_read2_b64 v[8:11], v16 offset0:160 offset1:176
	ds_read_b128 v[30:33], v17 offset:1072
	s_waitcnt lgkmcnt(1)
	v_fma_f64 v[12:13], v[8:9], v[20:21], v[12:13]
	v_fma_f64 v[18:19], v[10:11], v[20:21], v[18:19]
	v_mov_b32_e32 v21, s7
	v_mov_b32_e32 v20, s6
	v_cmp_le_u64_e32 vcc, s[12:13], v[20:21]
	v_fma_f64 v[20:21], v[8:9], v[24:25], v[34:35]
	v_fma_f64 v[4:5], v[10:11], v[24:25], v[4:5]
	ds_read2_b64 v[8:11], v16 offset0:192 offset1:208
	s_and_b64 vcc, exec, vcc
	s_waitcnt lgkmcnt(0)
	v_fma_f64 v[12:13], v[8:9], v[26:27], v[12:13]
	v_fma_f64 v[22:23], v[10:11], v[26:27], v[18:19]
	;; [unrolled: 1-line block ×4, first 2 shown]
	ds_read2_b64 v[18:21], v16 offset0:224 offset1:240
	s_waitcnt lgkmcnt(0)
	s_barrier
	v_fma_f64 v[12:13], v[18:19], v[28:29], v[12:13]
	v_fma_f64 v[10:11], v[20:21], v[28:29], v[22:23]
	;; [unrolled: 1-line block ×4, first 2 shown]
	s_cbranch_vccz .LBB1480_2
	s_branch .LBB1480_4
.LBB1480_3:
	v_mov_b32_e32 v12, 0
	v_mov_b32_e32 v10, 0
	;; [unrolled: 1-line block ×8, first 2 shown]
.LBB1480_4:
	v_add_u32_e32 v6, s17, v1
	v_ashrrev_i32_e32 v1, 31, v6
	v_mul_lo_u32 v3, s2, v1
	v_mul_lo_u32 v7, s3, v6
	v_mad_u64_u32 v[1:2], s[0:1], s2, v6, 0
	s_load_dword s6, s[4:5], 0x0
	v_add_u32_e32 v0, s16, v0
	v_add3_u32 v2, v2, v3, v7
	v_lshlrev_b64 v[1:2], 3, v[1:2]
	s_waitcnt lgkmcnt(0)
	v_mov_b32_e32 v3, s9
	v_add_co_u32_e64 v7, s[0:1], s8, v1
	v_addc_co_u32_e64 v14, s[0:1], v3, v2, s[0:1]
	v_cmp_gt_i32_e32 vcc, s6, v6
	v_cmp_le_i32_e64 s[0:1], v0, v6
	s_and_b64 s[0:1], vcc, s[0:1]
	s_and_saveexec_b64 s[4:5], s[0:1]
	s_cbranch_execz .LBB1480_6
; %bb.5:
	v_ashrrev_i32_e32 v1, 31, v0
	v_lshlrev_b64 v[1:2], 3, v[0:1]
	v_add_co_u32_e64 v1, s[0:1], v7, v1
	v_addc_co_u32_e64 v2, s[0:1], v14, v2, s[0:1]
	flat_store_dwordx2 v[1:2], v[12:13]
.LBB1480_6:
	s_or_b64 exec, exec, s[4:5]
	v_add_u32_e32 v2, 16, v0
	v_cmp_le_i32_e64 s[0:1], v2, v6
	s_and_b64 s[4:5], vcc, s[0:1]
	s_and_saveexec_b64 s[0:1], s[4:5]
	s_cbranch_execz .LBB1480_8
; %bb.7:
	v_ashrrev_i32_e32 v3, 31, v2
	v_lshlrev_b64 v[12:13], 3, v[2:3]
	v_add_co_u32_e32 v12, vcc, v7, v12
	v_addc_co_u32_e32 v13, vcc, v14, v13, vcc
	flat_store_dwordx2 v[12:13], v[10:11]
.LBB1480_8:
	s_or_b64 exec, exec, s[0:1]
	v_add_u32_e32 v3, 16, v6
	v_ashrrev_i32_e32 v1, 31, v3
	v_mul_lo_u32 v1, s2, v1
	v_mul_lo_u32 v10, s3, v3
	v_mad_u64_u32 v[6:7], s[0:1], s2, v3, 0
	v_cmp_gt_i32_e32 vcc, s6, v3
	v_add3_u32 v7, v7, v1, v10
	v_lshlrev_b64 v[6:7], 3, v[6:7]
	v_mov_b32_e32 v1, s9
	v_add_co_u32_e64 v6, s[0:1], s8, v6
	v_addc_co_u32_e64 v7, s[0:1], v1, v7, s[0:1]
	v_cmp_le_i32_e64 s[0:1], v0, v3
	s_and_b64 s[0:1], vcc, s[0:1]
	s_and_saveexec_b64 s[2:3], s[0:1]
	s_cbranch_execz .LBB1480_10
; %bb.9:
	v_ashrrev_i32_e32 v1, 31, v0
	v_lshlrev_b64 v[0:1], 3, v[0:1]
	v_add_co_u32_e64 v0, s[0:1], v6, v0
	v_addc_co_u32_e64 v1, s[0:1], v7, v1, s[0:1]
	flat_store_dwordx2 v[0:1], v[8:9]
.LBB1480_10:
	s_or_b64 exec, exec, s[2:3]
	v_cmp_le_i32_e64 s[0:1], v2, v3
	s_and_b64 s[0:1], vcc, s[0:1]
	s_and_saveexec_b64 s[2:3], s[0:1]
	s_cbranch_execz .LBB1480_12
; %bb.11:
	v_ashrrev_i32_e32 v3, 31, v2
	v_lshlrev_b64 v[0:1], 3, v[2:3]
	v_add_co_u32_e32 v0, vcc, v6, v0
	v_addc_co_u32_e32 v1, vcc, v7, v1, vcc
	flat_store_dwordx2 v[0:1], v[4:5]
.LBB1480_12:
	s_endpgm
	.section	.rodata,"a",@progbits
	.p2align	6, 0x0
	.amdhsa_kernel _ZL37rocblas_syrkx_herkx_restricted_kernelIldLi16ELi32ELi8ELi1ELi0ELb0ELc84ELc85EKPKdKPdEviT_PT9_S5_lS7_S5_lPT10_S5_li
		.amdhsa_group_segment_fixed_size 4096
		.amdhsa_private_segment_fixed_size 0
		.amdhsa_kernarg_size 92
		.amdhsa_user_sgpr_count 6
		.amdhsa_user_sgpr_private_segment_buffer 1
		.amdhsa_user_sgpr_dispatch_ptr 0
		.amdhsa_user_sgpr_queue_ptr 0
		.amdhsa_user_sgpr_kernarg_segment_ptr 1
		.amdhsa_user_sgpr_dispatch_id 0
		.amdhsa_user_sgpr_flat_scratch_init 0
		.amdhsa_user_sgpr_private_segment_size 0
		.amdhsa_uses_dynamic_stack 0
		.amdhsa_system_sgpr_private_segment_wavefront_offset 0
		.amdhsa_system_sgpr_workgroup_id_x 1
		.amdhsa_system_sgpr_workgroup_id_y 1
		.amdhsa_system_sgpr_workgroup_id_z 1
		.amdhsa_system_sgpr_workgroup_info 0
		.amdhsa_system_vgpr_workitem_id 1
		.amdhsa_next_free_vgpr 38
		.amdhsa_next_free_sgpr 24
		.amdhsa_reserve_vcc 1
		.amdhsa_reserve_flat_scratch 0
		.amdhsa_float_round_mode_32 0
		.amdhsa_float_round_mode_16_64 0
		.amdhsa_float_denorm_mode_32 3
		.amdhsa_float_denorm_mode_16_64 3
		.amdhsa_dx10_clamp 1
		.amdhsa_ieee_mode 1
		.amdhsa_fp16_overflow 0
		.amdhsa_exception_fp_ieee_invalid_op 0
		.amdhsa_exception_fp_denorm_src 0
		.amdhsa_exception_fp_ieee_div_zero 0
		.amdhsa_exception_fp_ieee_overflow 0
		.amdhsa_exception_fp_ieee_underflow 0
		.amdhsa_exception_fp_ieee_inexact 0
		.amdhsa_exception_int_div_zero 0
	.end_amdhsa_kernel
	.section	.text._ZL37rocblas_syrkx_herkx_restricted_kernelIldLi16ELi32ELi8ELi1ELi0ELb0ELc84ELc85EKPKdKPdEviT_PT9_S5_lS7_S5_lPT10_S5_li,"axG",@progbits,_ZL37rocblas_syrkx_herkx_restricted_kernelIldLi16ELi32ELi8ELi1ELi0ELb0ELc84ELc85EKPKdKPdEviT_PT9_S5_lS7_S5_lPT10_S5_li,comdat
.Lfunc_end1480:
	.size	_ZL37rocblas_syrkx_herkx_restricted_kernelIldLi16ELi32ELi8ELi1ELi0ELb0ELc84ELc85EKPKdKPdEviT_PT9_S5_lS7_S5_lPT10_S5_li, .Lfunc_end1480-_ZL37rocblas_syrkx_herkx_restricted_kernelIldLi16ELi32ELi8ELi1ELi0ELb0ELc84ELc85EKPKdKPdEviT_PT9_S5_lS7_S5_lPT10_S5_li
                                        ; -- End function
	.set _ZL37rocblas_syrkx_herkx_restricted_kernelIldLi16ELi32ELi8ELi1ELi0ELb0ELc84ELc85EKPKdKPdEviT_PT9_S5_lS7_S5_lPT10_S5_li.num_vgpr, 38
	.set _ZL37rocblas_syrkx_herkx_restricted_kernelIldLi16ELi32ELi8ELi1ELi0ELb0ELc84ELc85EKPKdKPdEviT_PT9_S5_lS7_S5_lPT10_S5_li.num_agpr, 0
	.set _ZL37rocblas_syrkx_herkx_restricted_kernelIldLi16ELi32ELi8ELi1ELi0ELb0ELc84ELc85EKPKdKPdEviT_PT9_S5_lS7_S5_lPT10_S5_li.numbered_sgpr, 24
	.set _ZL37rocblas_syrkx_herkx_restricted_kernelIldLi16ELi32ELi8ELi1ELi0ELb0ELc84ELc85EKPKdKPdEviT_PT9_S5_lS7_S5_lPT10_S5_li.num_named_barrier, 0
	.set _ZL37rocblas_syrkx_herkx_restricted_kernelIldLi16ELi32ELi8ELi1ELi0ELb0ELc84ELc85EKPKdKPdEviT_PT9_S5_lS7_S5_lPT10_S5_li.private_seg_size, 0
	.set _ZL37rocblas_syrkx_herkx_restricted_kernelIldLi16ELi32ELi8ELi1ELi0ELb0ELc84ELc85EKPKdKPdEviT_PT9_S5_lS7_S5_lPT10_S5_li.uses_vcc, 1
	.set _ZL37rocblas_syrkx_herkx_restricted_kernelIldLi16ELi32ELi8ELi1ELi0ELb0ELc84ELc85EKPKdKPdEviT_PT9_S5_lS7_S5_lPT10_S5_li.uses_flat_scratch, 0
	.set _ZL37rocblas_syrkx_herkx_restricted_kernelIldLi16ELi32ELi8ELi1ELi0ELb0ELc84ELc85EKPKdKPdEviT_PT9_S5_lS7_S5_lPT10_S5_li.has_dyn_sized_stack, 0
	.set _ZL37rocblas_syrkx_herkx_restricted_kernelIldLi16ELi32ELi8ELi1ELi0ELb0ELc84ELc85EKPKdKPdEviT_PT9_S5_lS7_S5_lPT10_S5_li.has_recursion, 0
	.set _ZL37rocblas_syrkx_herkx_restricted_kernelIldLi16ELi32ELi8ELi1ELi0ELb0ELc84ELc85EKPKdKPdEviT_PT9_S5_lS7_S5_lPT10_S5_li.has_indirect_call, 0
	.section	.AMDGPU.csdata,"",@progbits
; Kernel info:
; codeLenInByte = 1324
; TotalNumSgprs: 28
; NumVgprs: 38
; ScratchSize: 0
; MemoryBound: 0
; FloatMode: 240
; IeeeMode: 1
; LDSByteSize: 4096 bytes/workgroup (compile time only)
; SGPRBlocks: 3
; VGPRBlocks: 9
; NumSGPRsForWavesPerEU: 28
; NumVGPRsForWavesPerEU: 38
; Occupancy: 6
; WaveLimiterHint : 1
; COMPUTE_PGM_RSRC2:SCRATCH_EN: 0
; COMPUTE_PGM_RSRC2:USER_SGPR: 6
; COMPUTE_PGM_RSRC2:TRAP_HANDLER: 0
; COMPUTE_PGM_RSRC2:TGID_X_EN: 1
; COMPUTE_PGM_RSRC2:TGID_Y_EN: 1
; COMPUTE_PGM_RSRC2:TGID_Z_EN: 1
; COMPUTE_PGM_RSRC2:TIDIG_COMP_CNT: 1
	.section	.text._ZL37rocblas_syrkx_herkx_restricted_kernelIldLi16ELi32ELi8ELi1ELi0ELb0ELc67ELc85EKPKdKPdEviT_PT9_S5_lS7_S5_lPT10_S5_li,"axG",@progbits,_ZL37rocblas_syrkx_herkx_restricted_kernelIldLi16ELi32ELi8ELi1ELi0ELb0ELc67ELc85EKPKdKPdEviT_PT9_S5_lS7_S5_lPT10_S5_li,comdat
	.globl	_ZL37rocblas_syrkx_herkx_restricted_kernelIldLi16ELi32ELi8ELi1ELi0ELb0ELc67ELc85EKPKdKPdEviT_PT9_S5_lS7_S5_lPT10_S5_li ; -- Begin function _ZL37rocblas_syrkx_herkx_restricted_kernelIldLi16ELi32ELi8ELi1ELi0ELb0ELc67ELc85EKPKdKPdEviT_PT9_S5_lS7_S5_lPT10_S5_li
	.p2align	8
	.type	_ZL37rocblas_syrkx_herkx_restricted_kernelIldLi16ELi32ELi8ELi1ELi0ELb0ELc67ELc85EKPKdKPdEviT_PT9_S5_lS7_S5_lPT10_S5_li,@function
_ZL37rocblas_syrkx_herkx_restricted_kernelIldLi16ELi32ELi8ELi1ELi0ELb0ELc67ELc85EKPKdKPdEviT_PT9_S5_lS7_S5_lPT10_S5_li: ; @_ZL37rocblas_syrkx_herkx_restricted_kernelIldLi16ELi32ELi8ELi1ELi0ELb0ELc67ELc85EKPKdKPdEviT_PT9_S5_lS7_S5_lPT10_S5_li
; %bb.0:
	s_load_dwordx4 s[0:3], s[4:5], 0x40
	s_load_dwordx4 s[12:15], s[4:5], 0x8
	s_mov_b32 s9, 0
	s_lshl_b64 s[10:11], s[8:9], 3
	s_waitcnt lgkmcnt(0)
	s_add_u32 s0, s0, s10
	s_addc_u32 s1, s1, s11
	s_load_dwordx2 s[8:9], s[0:1], 0x0
	v_cmp_lt_i64_e64 s[0:1], s[12:13], 1
	s_lshl_b32 s16, s6, 5
	s_lshl_b32 s17, s7, 5
	s_and_b64 vcc, exec, s[0:1]
	s_cbranch_vccnz .LBB1481_3
; %bb.1:
	s_load_dwordx2 s[0:1], s[4:5], 0x18
	s_load_dwordx4 s[20:23], s[4:5], 0x28
	v_lshl_add_u32 v6, v1, 4, v0
	v_lshrrev_b32_e32 v8, 3, v6
	v_add_u32_e32 v4, s17, v8
	s_add_u32 s6, s14, s10
	v_ashrrev_i32_e32 v5, 31, v4
	v_and_b32_e32 v2, 7, v0
	v_mov_b32_e32 v3, 0
	s_addc_u32 s7, s15, s11
	s_waitcnt lgkmcnt(0)
	v_mul_lo_u32 v7, s22, v5
	v_mul_lo_u32 v9, s23, v4
	v_mad_u64_u32 v[4:5], s[14:15], s22, v4, v[2:3]
	v_lshlrev_b32_e32 v2, 3, v2
	v_lshl_or_b32 v2, v8, 6, v2
	v_add3_u32 v5, v9, v5, v7
	v_and_b32_e32 v9, 31, v6
	v_add_u32_e32 v8, s16, v9
	v_lshrrev_b32_e32 v6, 5, v6
	v_mov_b32_e32 v7, v3
	v_lshlrev_b32_e32 v3, 3, v9
	v_add_u32_e32 v15, 0x800, v2
	v_ashrrev_i32_e32 v2, 31, v8
	v_lshl_or_b32 v14, v6, 8, v3
	v_mul_lo_u32 v9, s0, v2
	v_mad_u64_u32 v[2:3], s[14:15], s0, v8, v[6:7]
	v_mul_lo_u32 v6, s1, v8
	s_load_dwordx2 s[6:7], s[6:7], 0x0
	s_add_u32 s10, s20, s10
	s_addc_u32 s11, s21, s11
	s_load_dwordx2 s[10:11], s[10:11], 0x0
	v_add3_u32 v3, v6, v3, v9
	v_lshlrev_b64 v[2:3], 3, v[2:3]
	s_waitcnt lgkmcnt(0)
	v_mov_b32_e32 v6, s7
	v_add_co_u32_e32 v2, vcc, s6, v2
	v_lshlrev_b64 v[4:5], 3, v[4:5]
	v_mov_b32_e32 v7, 0x800
	v_addc_co_u32_e32 v3, vcc, v6, v3, vcc
	v_lshl_add_u32 v17, v1, 6, v7
	v_mov_b32_e32 v7, s11
	v_add_co_u32_e32 v6, vcc, s10, v4
	v_addc_co_u32_e32 v7, vcc, v7, v5, vcc
	v_mov_b32_e32 v4, 0
	v_mov_b32_e32 v8, 0
	;; [unrolled: 1-line block ×4, first 2 shown]
	v_lshlrev_b32_e32 v16, 3, v0
	v_mov_b32_e32 v5, 0
	v_mov_b32_e32 v9, 0
	;; [unrolled: 1-line block ×4, first 2 shown]
	s_mov_b64 s[6:7], 0
.LBB1481_2:                             ; =>This Inner Loop Header: Depth=1
	flat_load_dwordx2 v[18:19], v[2:3]
	s_add_u32 s6, s6, 8
	s_addc_u32 s7, s7, 0
	v_add_co_u32_e64 v2, s[0:1], 64, v2
	v_addc_co_u32_e64 v3, s[0:1], 0, v3, s[0:1]
	s_waitcnt vmcnt(0) lgkmcnt(0)
	ds_write_b64 v14, v[18:19]
	flat_load_dwordx2 v[18:19], v[6:7]
	v_add_co_u32_e64 v6, s[0:1], 64, v6
	v_addc_co_u32_e64 v7, s[0:1], 0, v7, s[0:1]
	s_waitcnt vmcnt(0) lgkmcnt(0)
	ds_write_b64 v15, v[18:19]
	s_waitcnt lgkmcnt(0)
	s_barrier
	ds_read2_b64 v[18:21], v16 offset1:16
	ds_read_b128 v[22:25], v17
	ds_read_b128 v[26:29], v17 offset:1024
	ds_read_b128 v[30:33], v17 offset:16
	s_waitcnt lgkmcnt(2)
	v_fma_f64 v[34:35], v[18:19], v[22:23], v[12:13]
	v_fma_f64 v[22:23], v[20:21], v[22:23], v[10:11]
	s_waitcnt lgkmcnt(1)
	v_fma_f64 v[8:9], v[18:19], v[26:27], v[8:9]
	v_fma_f64 v[4:5], v[20:21], v[26:27], v[4:5]
	ds_read2_b64 v[18:21], v16 offset0:32 offset1:48
	ds_read_b128 v[10:13], v17 offset:1040
	s_waitcnt lgkmcnt(1)
	v_fma_f64 v[26:27], v[18:19], v[24:25], v[34:35]
	v_fma_f64 v[34:35], v[20:21], v[24:25], v[22:23]
	;; [unrolled: 1-line block ×4, first 2 shown]
	ds_read2_b64 v[18:21], v16 offset0:64 offset1:80
	ds_read2_b64 v[22:25], v16 offset0:96 offset1:112
	s_waitcnt lgkmcnt(1)
	v_fma_f64 v[26:27], v[18:19], v[30:31], v[26:27]
	v_fma_f64 v[28:29], v[20:21], v[30:31], v[34:35]
	;; [unrolled: 1-line block ×4, first 2 shown]
	ds_read2_b64 v[8:11], v16 offset0:128 offset1:144
	ds_read_b128 v[18:21], v17 offset:32
	s_waitcnt lgkmcnt(2)
	v_fma_f64 v[34:35], v[22:23], v[32:33], v[26:27]
	v_fma_f64 v[32:33], v[24:25], v[32:33], v[28:29]
	;; [unrolled: 1-line block ×4, first 2 shown]
	ds_read_b128 v[22:25], v17 offset:1056
	ds_read_b128 v[26:29], v17 offset:48
	s_waitcnt lgkmcnt(2)
	v_fma_f64 v[12:13], v[8:9], v[18:19], v[34:35]
	v_fma_f64 v[18:19], v[10:11], v[18:19], v[32:33]
	s_waitcnt lgkmcnt(1)
	v_fma_f64 v[34:35], v[8:9], v[22:23], v[36:37]
	v_fma_f64 v[4:5], v[10:11], v[22:23], v[4:5]
	ds_read2_b64 v[8:11], v16 offset0:160 offset1:176
	ds_read_b128 v[30:33], v17 offset:1072
	s_waitcnt lgkmcnt(1)
	v_fma_f64 v[12:13], v[8:9], v[20:21], v[12:13]
	v_fma_f64 v[18:19], v[10:11], v[20:21], v[18:19]
	v_mov_b32_e32 v21, s7
	v_mov_b32_e32 v20, s6
	v_cmp_le_u64_e32 vcc, s[12:13], v[20:21]
	v_fma_f64 v[20:21], v[8:9], v[24:25], v[34:35]
	v_fma_f64 v[4:5], v[10:11], v[24:25], v[4:5]
	ds_read2_b64 v[8:11], v16 offset0:192 offset1:208
	s_and_b64 vcc, exec, vcc
	s_waitcnt lgkmcnt(0)
	v_fma_f64 v[12:13], v[8:9], v[26:27], v[12:13]
	v_fma_f64 v[22:23], v[10:11], v[26:27], v[18:19]
	;; [unrolled: 1-line block ×4, first 2 shown]
	ds_read2_b64 v[18:21], v16 offset0:224 offset1:240
	s_waitcnt lgkmcnt(0)
	s_barrier
	v_fma_f64 v[12:13], v[18:19], v[28:29], v[12:13]
	v_fma_f64 v[10:11], v[20:21], v[28:29], v[22:23]
	v_fma_f64 v[8:9], v[18:19], v[32:33], v[8:9]
	v_fma_f64 v[4:5], v[20:21], v[32:33], v[4:5]
	s_cbranch_vccz .LBB1481_2
	s_branch .LBB1481_4
.LBB1481_3:
	v_mov_b32_e32 v12, 0
	v_mov_b32_e32 v10, 0
	;; [unrolled: 1-line block ×8, first 2 shown]
.LBB1481_4:
	v_add_u32_e32 v6, s17, v1
	v_ashrrev_i32_e32 v1, 31, v6
	v_mul_lo_u32 v3, s2, v1
	v_mul_lo_u32 v7, s3, v6
	v_mad_u64_u32 v[1:2], s[0:1], s2, v6, 0
	s_load_dword s6, s[4:5], 0x0
	v_add_u32_e32 v0, s16, v0
	v_add3_u32 v2, v2, v3, v7
	v_lshlrev_b64 v[1:2], 3, v[1:2]
	s_waitcnt lgkmcnt(0)
	v_mov_b32_e32 v3, s9
	v_add_co_u32_e64 v7, s[0:1], s8, v1
	v_addc_co_u32_e64 v14, s[0:1], v3, v2, s[0:1]
	v_cmp_gt_i32_e32 vcc, s6, v6
	v_cmp_le_i32_e64 s[0:1], v0, v6
	s_and_b64 s[0:1], vcc, s[0:1]
	s_and_saveexec_b64 s[4:5], s[0:1]
	s_cbranch_execz .LBB1481_6
; %bb.5:
	v_ashrrev_i32_e32 v1, 31, v0
	v_lshlrev_b64 v[1:2], 3, v[0:1]
	v_add_co_u32_e64 v1, s[0:1], v7, v1
	v_addc_co_u32_e64 v2, s[0:1], v14, v2, s[0:1]
	flat_store_dwordx2 v[1:2], v[12:13]
.LBB1481_6:
	s_or_b64 exec, exec, s[4:5]
	v_add_u32_e32 v2, 16, v0
	v_cmp_le_i32_e64 s[0:1], v2, v6
	s_and_b64 s[4:5], vcc, s[0:1]
	s_and_saveexec_b64 s[0:1], s[4:5]
	s_cbranch_execz .LBB1481_8
; %bb.7:
	v_ashrrev_i32_e32 v3, 31, v2
	v_lshlrev_b64 v[12:13], 3, v[2:3]
	v_add_co_u32_e32 v12, vcc, v7, v12
	v_addc_co_u32_e32 v13, vcc, v14, v13, vcc
	flat_store_dwordx2 v[12:13], v[10:11]
.LBB1481_8:
	s_or_b64 exec, exec, s[0:1]
	v_add_u32_e32 v3, 16, v6
	v_ashrrev_i32_e32 v1, 31, v3
	v_mul_lo_u32 v1, s2, v1
	v_mul_lo_u32 v10, s3, v3
	v_mad_u64_u32 v[6:7], s[0:1], s2, v3, 0
	v_cmp_gt_i32_e32 vcc, s6, v3
	v_add3_u32 v7, v7, v1, v10
	v_lshlrev_b64 v[6:7], 3, v[6:7]
	v_mov_b32_e32 v1, s9
	v_add_co_u32_e64 v6, s[0:1], s8, v6
	v_addc_co_u32_e64 v7, s[0:1], v1, v7, s[0:1]
	v_cmp_le_i32_e64 s[0:1], v0, v3
	s_and_b64 s[0:1], vcc, s[0:1]
	s_and_saveexec_b64 s[2:3], s[0:1]
	s_cbranch_execz .LBB1481_10
; %bb.9:
	v_ashrrev_i32_e32 v1, 31, v0
	v_lshlrev_b64 v[0:1], 3, v[0:1]
	v_add_co_u32_e64 v0, s[0:1], v6, v0
	v_addc_co_u32_e64 v1, s[0:1], v7, v1, s[0:1]
	flat_store_dwordx2 v[0:1], v[8:9]
.LBB1481_10:
	s_or_b64 exec, exec, s[2:3]
	v_cmp_le_i32_e64 s[0:1], v2, v3
	s_and_b64 s[0:1], vcc, s[0:1]
	s_and_saveexec_b64 s[2:3], s[0:1]
	s_cbranch_execz .LBB1481_12
; %bb.11:
	v_ashrrev_i32_e32 v3, 31, v2
	v_lshlrev_b64 v[0:1], 3, v[2:3]
	v_add_co_u32_e32 v0, vcc, v6, v0
	v_addc_co_u32_e32 v1, vcc, v7, v1, vcc
	flat_store_dwordx2 v[0:1], v[4:5]
.LBB1481_12:
	s_endpgm
	.section	.rodata,"a",@progbits
	.p2align	6, 0x0
	.amdhsa_kernel _ZL37rocblas_syrkx_herkx_restricted_kernelIldLi16ELi32ELi8ELi1ELi0ELb0ELc67ELc85EKPKdKPdEviT_PT9_S5_lS7_S5_lPT10_S5_li
		.amdhsa_group_segment_fixed_size 4096
		.amdhsa_private_segment_fixed_size 0
		.amdhsa_kernarg_size 92
		.amdhsa_user_sgpr_count 6
		.amdhsa_user_sgpr_private_segment_buffer 1
		.amdhsa_user_sgpr_dispatch_ptr 0
		.amdhsa_user_sgpr_queue_ptr 0
		.amdhsa_user_sgpr_kernarg_segment_ptr 1
		.amdhsa_user_sgpr_dispatch_id 0
		.amdhsa_user_sgpr_flat_scratch_init 0
		.amdhsa_user_sgpr_private_segment_size 0
		.amdhsa_uses_dynamic_stack 0
		.amdhsa_system_sgpr_private_segment_wavefront_offset 0
		.amdhsa_system_sgpr_workgroup_id_x 1
		.amdhsa_system_sgpr_workgroup_id_y 1
		.amdhsa_system_sgpr_workgroup_id_z 1
		.amdhsa_system_sgpr_workgroup_info 0
		.amdhsa_system_vgpr_workitem_id 1
		.amdhsa_next_free_vgpr 38
		.amdhsa_next_free_sgpr 24
		.amdhsa_reserve_vcc 1
		.amdhsa_reserve_flat_scratch 0
		.amdhsa_float_round_mode_32 0
		.amdhsa_float_round_mode_16_64 0
		.amdhsa_float_denorm_mode_32 3
		.amdhsa_float_denorm_mode_16_64 3
		.amdhsa_dx10_clamp 1
		.amdhsa_ieee_mode 1
		.amdhsa_fp16_overflow 0
		.amdhsa_exception_fp_ieee_invalid_op 0
		.amdhsa_exception_fp_denorm_src 0
		.amdhsa_exception_fp_ieee_div_zero 0
		.amdhsa_exception_fp_ieee_overflow 0
		.amdhsa_exception_fp_ieee_underflow 0
		.amdhsa_exception_fp_ieee_inexact 0
		.amdhsa_exception_int_div_zero 0
	.end_amdhsa_kernel
	.section	.text._ZL37rocblas_syrkx_herkx_restricted_kernelIldLi16ELi32ELi8ELi1ELi0ELb0ELc67ELc85EKPKdKPdEviT_PT9_S5_lS7_S5_lPT10_S5_li,"axG",@progbits,_ZL37rocblas_syrkx_herkx_restricted_kernelIldLi16ELi32ELi8ELi1ELi0ELb0ELc67ELc85EKPKdKPdEviT_PT9_S5_lS7_S5_lPT10_S5_li,comdat
.Lfunc_end1481:
	.size	_ZL37rocblas_syrkx_herkx_restricted_kernelIldLi16ELi32ELi8ELi1ELi0ELb0ELc67ELc85EKPKdKPdEviT_PT9_S5_lS7_S5_lPT10_S5_li, .Lfunc_end1481-_ZL37rocblas_syrkx_herkx_restricted_kernelIldLi16ELi32ELi8ELi1ELi0ELb0ELc67ELc85EKPKdKPdEviT_PT9_S5_lS7_S5_lPT10_S5_li
                                        ; -- End function
	.set _ZL37rocblas_syrkx_herkx_restricted_kernelIldLi16ELi32ELi8ELi1ELi0ELb0ELc67ELc85EKPKdKPdEviT_PT9_S5_lS7_S5_lPT10_S5_li.num_vgpr, 38
	.set _ZL37rocblas_syrkx_herkx_restricted_kernelIldLi16ELi32ELi8ELi1ELi0ELb0ELc67ELc85EKPKdKPdEviT_PT9_S5_lS7_S5_lPT10_S5_li.num_agpr, 0
	.set _ZL37rocblas_syrkx_herkx_restricted_kernelIldLi16ELi32ELi8ELi1ELi0ELb0ELc67ELc85EKPKdKPdEviT_PT9_S5_lS7_S5_lPT10_S5_li.numbered_sgpr, 24
	.set _ZL37rocblas_syrkx_herkx_restricted_kernelIldLi16ELi32ELi8ELi1ELi0ELb0ELc67ELc85EKPKdKPdEviT_PT9_S5_lS7_S5_lPT10_S5_li.num_named_barrier, 0
	.set _ZL37rocblas_syrkx_herkx_restricted_kernelIldLi16ELi32ELi8ELi1ELi0ELb0ELc67ELc85EKPKdKPdEviT_PT9_S5_lS7_S5_lPT10_S5_li.private_seg_size, 0
	.set _ZL37rocblas_syrkx_herkx_restricted_kernelIldLi16ELi32ELi8ELi1ELi0ELb0ELc67ELc85EKPKdKPdEviT_PT9_S5_lS7_S5_lPT10_S5_li.uses_vcc, 1
	.set _ZL37rocblas_syrkx_herkx_restricted_kernelIldLi16ELi32ELi8ELi1ELi0ELb0ELc67ELc85EKPKdKPdEviT_PT9_S5_lS7_S5_lPT10_S5_li.uses_flat_scratch, 0
	.set _ZL37rocblas_syrkx_herkx_restricted_kernelIldLi16ELi32ELi8ELi1ELi0ELb0ELc67ELc85EKPKdKPdEviT_PT9_S5_lS7_S5_lPT10_S5_li.has_dyn_sized_stack, 0
	.set _ZL37rocblas_syrkx_herkx_restricted_kernelIldLi16ELi32ELi8ELi1ELi0ELb0ELc67ELc85EKPKdKPdEviT_PT9_S5_lS7_S5_lPT10_S5_li.has_recursion, 0
	.set _ZL37rocblas_syrkx_herkx_restricted_kernelIldLi16ELi32ELi8ELi1ELi0ELb0ELc67ELc85EKPKdKPdEviT_PT9_S5_lS7_S5_lPT10_S5_li.has_indirect_call, 0
	.section	.AMDGPU.csdata,"",@progbits
; Kernel info:
; codeLenInByte = 1324
; TotalNumSgprs: 28
; NumVgprs: 38
; ScratchSize: 0
; MemoryBound: 0
; FloatMode: 240
; IeeeMode: 1
; LDSByteSize: 4096 bytes/workgroup (compile time only)
; SGPRBlocks: 3
; VGPRBlocks: 9
; NumSGPRsForWavesPerEU: 28
; NumVGPRsForWavesPerEU: 38
; Occupancy: 6
; WaveLimiterHint : 1
; COMPUTE_PGM_RSRC2:SCRATCH_EN: 0
; COMPUTE_PGM_RSRC2:USER_SGPR: 6
; COMPUTE_PGM_RSRC2:TRAP_HANDLER: 0
; COMPUTE_PGM_RSRC2:TGID_X_EN: 1
; COMPUTE_PGM_RSRC2:TGID_Y_EN: 1
; COMPUTE_PGM_RSRC2:TGID_Z_EN: 1
; COMPUTE_PGM_RSRC2:TIDIG_COMP_CNT: 1
	.section	.text._ZL37rocblas_syrkx_herkx_restricted_kernelIldLi16ELi32ELi8ELi1ELi0ELb0ELc78ELc85EKPKdKPdEviT_PT9_S5_lS7_S5_lPT10_S5_li,"axG",@progbits,_ZL37rocblas_syrkx_herkx_restricted_kernelIldLi16ELi32ELi8ELi1ELi0ELb0ELc78ELc85EKPKdKPdEviT_PT9_S5_lS7_S5_lPT10_S5_li,comdat
	.globl	_ZL37rocblas_syrkx_herkx_restricted_kernelIldLi16ELi32ELi8ELi1ELi0ELb0ELc78ELc85EKPKdKPdEviT_PT9_S5_lS7_S5_lPT10_S5_li ; -- Begin function _ZL37rocblas_syrkx_herkx_restricted_kernelIldLi16ELi32ELi8ELi1ELi0ELb0ELc78ELc85EKPKdKPdEviT_PT9_S5_lS7_S5_lPT10_S5_li
	.p2align	8
	.type	_ZL37rocblas_syrkx_herkx_restricted_kernelIldLi16ELi32ELi8ELi1ELi0ELb0ELc78ELc85EKPKdKPdEviT_PT9_S5_lS7_S5_lPT10_S5_li,@function
_ZL37rocblas_syrkx_herkx_restricted_kernelIldLi16ELi32ELi8ELi1ELi0ELb0ELc78ELc85EKPKdKPdEviT_PT9_S5_lS7_S5_lPT10_S5_li: ; @_ZL37rocblas_syrkx_herkx_restricted_kernelIldLi16ELi32ELi8ELi1ELi0ELb0ELc78ELc85EKPKdKPdEviT_PT9_S5_lS7_S5_lPT10_S5_li
; %bb.0:
	s_load_dwordx4 s[0:3], s[4:5], 0x40
	s_load_dwordx4 s[12:15], s[4:5], 0x8
	s_mov_b32 s9, 0
	s_lshl_b64 s[18:19], s[8:9], 3
	s_waitcnt lgkmcnt(0)
	s_add_u32 s0, s0, s18
	s_addc_u32 s1, s1, s19
	s_load_dwordx2 s[16:17], s[0:1], 0x0
	v_cmp_lt_i64_e64 s[0:1], s[12:13], 1
	s_lshl_b32 s20, s6, 5
	s_lshl_b32 s21, s7, 5
	s_and_b64 vcc, exec, s[0:1]
	s_cbranch_vccnz .LBB1482_3
; %bb.1:
	s_load_dwordx2 s[0:1], s[4:5], 0x18
	s_load_dwordx4 s[8:11], s[4:5], 0x28
	v_lshl_add_u32 v7, v1, 4, v0
	v_lshrrev_b32_e32 v8, 3, v7
	v_add_u32_e32 v2, s21, v8
	v_and_b32_e32 v6, 7, v0
	v_ashrrev_i32_e32 v3, 31, v2
	s_waitcnt lgkmcnt(0)
	v_mad_u64_u32 v[4:5], s[6:7], s10, v6, v[2:3]
	s_add_u32 s6, s14, s18
	s_addc_u32 s7, s15, s19
	v_mov_b32_e32 v2, v5
	v_mad_u64_u32 v[2:3], s[14:15], s11, v6, v[2:3]
	v_lshrrev_b32_e32 v9, 5, v7
	v_lshlrev_b32_e32 v6, 3, v6
	v_mov_b32_e32 v5, v2
	v_and_b32_e32 v2, 31, v7
	v_lshlrev_b32_e32 v3, 3, v2
	v_add_u32_e32 v2, s20, v2
	v_lshl_or_b32 v14, v9, 8, v3
	v_ashrrev_i32_e32 v3, 31, v2
	v_mad_u64_u32 v[2:3], s[14:15], s0, v9, v[2:3]
	v_lshl_or_b32 v6, v8, 6, v6
	v_add_u32_e32 v15, 0x800, v6
	v_mad_u64_u32 v[6:7], s[14:15], s1, v9, v[3:4]
	s_load_dwordx2 s[6:7], s[6:7], 0x0
	s_add_u32 s8, s8, s18
	s_addc_u32 s9, s9, s19
	v_mov_b32_e32 v3, 0x800
	s_load_dwordx2 s[8:9], s[8:9], 0x0
	v_lshl_add_u32 v17, v1, 6, v3
	v_mov_b32_e32 v3, v6
	v_lshlrev_b64 v[2:3], 3, v[2:3]
	s_waitcnt lgkmcnt(0)
	v_mov_b32_e32 v6, s7
	v_add_co_u32_e32 v2, vcc, s6, v2
	v_lshlrev_b64 v[4:5], 3, v[4:5]
	v_addc_co_u32_e32 v3, vcc, v6, v3, vcc
	v_mov_b32_e32 v7, s9
	v_add_co_u32_e32 v6, vcc, s8, v4
	s_lshl_b64 s[6:7], s[0:1], 6
	v_addc_co_u32_e32 v7, vcc, v7, v5, vcc
	s_lshl_b64 s[8:9], s[10:11], 6
	v_mov_b32_e32 v4, 0
	v_mov_b32_e32 v8, 0
	v_mov_b32_e32 v10, 0
	v_mov_b32_e32 v12, 0
	v_lshlrev_b32_e32 v16, 3, v0
	v_mov_b32_e32 v5, 0
	s_mov_b64 s[10:11], 0
	v_mov_b32_e32 v18, s7
	v_mov_b32_e32 v9, 0
	;; [unrolled: 1-line block ×5, first 2 shown]
.LBB1482_2:                             ; =>This Inner Loop Header: Depth=1
	flat_load_dwordx2 v[20:21], v[2:3]
	s_add_u32 s10, s10, 8
	v_add_co_u32_e32 v2, vcc, s6, v2
	s_addc_u32 s11, s11, 0
	v_addc_co_u32_e32 v3, vcc, v3, v18, vcc
	s_waitcnt vmcnt(0) lgkmcnt(0)
	ds_write_b64 v14, v[20:21]
	flat_load_dwordx2 v[20:21], v[6:7]
	v_add_co_u32_e64 v6, s[0:1], s8, v6
	v_addc_co_u32_e64 v7, s[0:1], v7, v19, s[0:1]
	s_waitcnt vmcnt(0) lgkmcnt(0)
	ds_write_b64 v15, v[20:21]
	s_waitcnt lgkmcnt(0)
	s_barrier
	ds_read2_b64 v[20:23], v16 offset1:16
	ds_read_b128 v[24:27], v17
	ds_read_b128 v[28:31], v17 offset:16
	s_waitcnt lgkmcnt(1)
	v_fma_f64 v[36:37], v[20:21], v[24:25], v[12:13]
	v_fma_f64 v[24:25], v[22:23], v[24:25], v[10:11]
	ds_read_b128 v[10:13], v17 offset:1024
	ds_read_b128 v[32:35], v17 offset:1040
	s_waitcnt lgkmcnt(1)
	v_fma_f64 v[20:21], v[20:21], v[10:11], v[8:9]
	v_fma_f64 v[4:5], v[22:23], v[10:11], v[4:5]
	ds_read2_b64 v[8:11], v16 offset0:32 offset1:48
	s_waitcnt lgkmcnt(0)
	v_fma_f64 v[22:23], v[8:9], v[26:27], v[36:37]
	v_fma_f64 v[24:25], v[10:11], v[26:27], v[24:25]
	v_fma_f64 v[20:21], v[8:9], v[12:13], v[20:21]
	v_fma_f64 v[4:5], v[10:11], v[12:13], v[4:5]
	ds_read2_b64 v[8:11], v16 offset0:64 offset1:80
	s_waitcnt lgkmcnt(0)
	v_fma_f64 v[12:13], v[8:9], v[28:29], v[22:23]
	v_fma_f64 v[22:23], v[10:11], v[28:29], v[24:25]
	;; [unrolled: 6-line block ×3, first 2 shown]
	ds_read2_b64 v[20:23], v16 offset0:128 offset1:144
	v_fma_f64 v[36:37], v[8:9], v[34:35], v[24:25]
	v_fma_f64 v[4:5], v[10:11], v[34:35], v[4:5]
	ds_read_b128 v[8:11], v17 offset:32
	ds_read_b128 v[24:27], v17 offset:48
	s_waitcnt lgkmcnt(1)
	v_fma_f64 v[12:13], v[20:21], v[8:9], v[12:13]
	v_fma_f64 v[8:9], v[22:23], v[8:9], v[28:29]
	ds_read_b128 v[28:31], v17 offset:1056
	ds_read_b128 v[32:35], v17 offset:1072
	s_waitcnt lgkmcnt(1)
	v_fma_f64 v[36:37], v[20:21], v[28:29], v[36:37]
	v_fma_f64 v[4:5], v[22:23], v[28:29], v[4:5]
	ds_read2_b64 v[20:23], v16 offset0:160 offset1:176
	s_waitcnt lgkmcnt(0)
	v_fma_f64 v[12:13], v[20:21], v[10:11], v[12:13]
	v_fma_f64 v[28:29], v[22:23], v[10:11], v[8:9]
	;; [unrolled: 1-line block ×4, first 2 shown]
	v_mov_b32_e32 v8, s10
	v_mov_b32_e32 v9, s11
	v_cmp_le_u64_e32 vcc, s[12:13], v[8:9]
	ds_read2_b64 v[8:11], v16 offset0:192 offset1:208
	s_and_b64 vcc, exec, vcc
	s_waitcnt lgkmcnt(0)
	v_fma_f64 v[12:13], v[8:9], v[24:25], v[12:13]
	v_fma_f64 v[24:25], v[10:11], v[24:25], v[28:29]
	;; [unrolled: 1-line block ×4, first 2 shown]
	ds_read2_b64 v[20:23], v16 offset0:224 offset1:240
	s_waitcnt lgkmcnt(0)
	s_barrier
	v_fma_f64 v[12:13], v[20:21], v[26:27], v[12:13]
	v_fma_f64 v[10:11], v[22:23], v[26:27], v[24:25]
	;; [unrolled: 1-line block ×4, first 2 shown]
	s_cbranch_vccz .LBB1482_2
	s_branch .LBB1482_4
.LBB1482_3:
	v_mov_b32_e32 v12, 0
	v_mov_b32_e32 v10, 0
	;; [unrolled: 1-line block ×8, first 2 shown]
.LBB1482_4:
	v_add_u32_e32 v6, s21, v1
	v_ashrrev_i32_e32 v1, 31, v6
	v_mul_lo_u32 v3, s2, v1
	v_mul_lo_u32 v7, s3, v6
	v_mad_u64_u32 v[1:2], s[0:1], s2, v6, 0
	s_load_dword s6, s[4:5], 0x0
	v_add_u32_e32 v0, s20, v0
	v_add3_u32 v2, v2, v3, v7
	v_lshlrev_b64 v[1:2], 3, v[1:2]
	s_waitcnt lgkmcnt(0)
	v_mov_b32_e32 v3, s17
	v_add_co_u32_e64 v7, s[0:1], s16, v1
	v_addc_co_u32_e64 v14, s[0:1], v3, v2, s[0:1]
	v_cmp_gt_i32_e32 vcc, s6, v6
	v_cmp_le_i32_e64 s[0:1], v0, v6
	s_and_b64 s[0:1], vcc, s[0:1]
	s_and_saveexec_b64 s[4:5], s[0:1]
	s_cbranch_execz .LBB1482_6
; %bb.5:
	v_ashrrev_i32_e32 v1, 31, v0
	v_lshlrev_b64 v[1:2], 3, v[0:1]
	v_add_co_u32_e64 v1, s[0:1], v7, v1
	v_addc_co_u32_e64 v2, s[0:1], v14, v2, s[0:1]
	flat_store_dwordx2 v[1:2], v[12:13]
.LBB1482_6:
	s_or_b64 exec, exec, s[4:5]
	v_add_u32_e32 v2, 16, v0
	v_cmp_le_i32_e64 s[0:1], v2, v6
	s_and_b64 s[4:5], vcc, s[0:1]
	s_and_saveexec_b64 s[0:1], s[4:5]
	s_cbranch_execz .LBB1482_8
; %bb.7:
	v_ashrrev_i32_e32 v3, 31, v2
	v_lshlrev_b64 v[12:13], 3, v[2:3]
	v_add_co_u32_e32 v12, vcc, v7, v12
	v_addc_co_u32_e32 v13, vcc, v14, v13, vcc
	flat_store_dwordx2 v[12:13], v[10:11]
.LBB1482_8:
	s_or_b64 exec, exec, s[0:1]
	v_add_u32_e32 v3, 16, v6
	v_ashrrev_i32_e32 v1, 31, v3
	v_mul_lo_u32 v1, s2, v1
	v_mul_lo_u32 v10, s3, v3
	v_mad_u64_u32 v[6:7], s[0:1], s2, v3, 0
	v_cmp_gt_i32_e32 vcc, s6, v3
	v_add3_u32 v7, v7, v1, v10
	v_lshlrev_b64 v[6:7], 3, v[6:7]
	v_mov_b32_e32 v1, s17
	v_add_co_u32_e64 v6, s[0:1], s16, v6
	v_addc_co_u32_e64 v7, s[0:1], v1, v7, s[0:1]
	v_cmp_le_i32_e64 s[0:1], v0, v3
	s_and_b64 s[0:1], vcc, s[0:1]
	s_and_saveexec_b64 s[2:3], s[0:1]
	s_cbranch_execz .LBB1482_10
; %bb.9:
	v_ashrrev_i32_e32 v1, 31, v0
	v_lshlrev_b64 v[0:1], 3, v[0:1]
	v_add_co_u32_e64 v0, s[0:1], v6, v0
	v_addc_co_u32_e64 v1, s[0:1], v7, v1, s[0:1]
	flat_store_dwordx2 v[0:1], v[8:9]
.LBB1482_10:
	s_or_b64 exec, exec, s[2:3]
	v_cmp_le_i32_e64 s[0:1], v2, v3
	s_and_b64 s[0:1], vcc, s[0:1]
	s_and_saveexec_b64 s[2:3], s[0:1]
	s_cbranch_execz .LBB1482_12
; %bb.11:
	v_ashrrev_i32_e32 v3, 31, v2
	v_lshlrev_b64 v[0:1], 3, v[2:3]
	v_add_co_u32_e32 v0, vcc, v6, v0
	v_addc_co_u32_e32 v1, vcc, v7, v1, vcc
	flat_store_dwordx2 v[0:1], v[4:5]
.LBB1482_12:
	s_endpgm
	.section	.rodata,"a",@progbits
	.p2align	6, 0x0
	.amdhsa_kernel _ZL37rocblas_syrkx_herkx_restricted_kernelIldLi16ELi32ELi8ELi1ELi0ELb0ELc78ELc85EKPKdKPdEviT_PT9_S5_lS7_S5_lPT10_S5_li
		.amdhsa_group_segment_fixed_size 4096
		.amdhsa_private_segment_fixed_size 0
		.amdhsa_kernarg_size 92
		.amdhsa_user_sgpr_count 6
		.amdhsa_user_sgpr_private_segment_buffer 1
		.amdhsa_user_sgpr_dispatch_ptr 0
		.amdhsa_user_sgpr_queue_ptr 0
		.amdhsa_user_sgpr_kernarg_segment_ptr 1
		.amdhsa_user_sgpr_dispatch_id 0
		.amdhsa_user_sgpr_flat_scratch_init 0
		.amdhsa_user_sgpr_private_segment_size 0
		.amdhsa_uses_dynamic_stack 0
		.amdhsa_system_sgpr_private_segment_wavefront_offset 0
		.amdhsa_system_sgpr_workgroup_id_x 1
		.amdhsa_system_sgpr_workgroup_id_y 1
		.amdhsa_system_sgpr_workgroup_id_z 1
		.amdhsa_system_sgpr_workgroup_info 0
		.amdhsa_system_vgpr_workitem_id 1
		.amdhsa_next_free_vgpr 38
		.amdhsa_next_free_sgpr 22
		.amdhsa_reserve_vcc 1
		.amdhsa_reserve_flat_scratch 0
		.amdhsa_float_round_mode_32 0
		.amdhsa_float_round_mode_16_64 0
		.amdhsa_float_denorm_mode_32 3
		.amdhsa_float_denorm_mode_16_64 3
		.amdhsa_dx10_clamp 1
		.amdhsa_ieee_mode 1
		.amdhsa_fp16_overflow 0
		.amdhsa_exception_fp_ieee_invalid_op 0
		.amdhsa_exception_fp_denorm_src 0
		.amdhsa_exception_fp_ieee_div_zero 0
		.amdhsa_exception_fp_ieee_overflow 0
		.amdhsa_exception_fp_ieee_underflow 0
		.amdhsa_exception_fp_ieee_inexact 0
		.amdhsa_exception_int_div_zero 0
	.end_amdhsa_kernel
	.section	.text._ZL37rocblas_syrkx_herkx_restricted_kernelIldLi16ELi32ELi8ELi1ELi0ELb0ELc78ELc85EKPKdKPdEviT_PT9_S5_lS7_S5_lPT10_S5_li,"axG",@progbits,_ZL37rocblas_syrkx_herkx_restricted_kernelIldLi16ELi32ELi8ELi1ELi0ELb0ELc78ELc85EKPKdKPdEviT_PT9_S5_lS7_S5_lPT10_S5_li,comdat
.Lfunc_end1482:
	.size	_ZL37rocblas_syrkx_herkx_restricted_kernelIldLi16ELi32ELi8ELi1ELi0ELb0ELc78ELc85EKPKdKPdEviT_PT9_S5_lS7_S5_lPT10_S5_li, .Lfunc_end1482-_ZL37rocblas_syrkx_herkx_restricted_kernelIldLi16ELi32ELi8ELi1ELi0ELb0ELc78ELc85EKPKdKPdEviT_PT9_S5_lS7_S5_lPT10_S5_li
                                        ; -- End function
	.set _ZL37rocblas_syrkx_herkx_restricted_kernelIldLi16ELi32ELi8ELi1ELi0ELb0ELc78ELc85EKPKdKPdEviT_PT9_S5_lS7_S5_lPT10_S5_li.num_vgpr, 38
	.set _ZL37rocblas_syrkx_herkx_restricted_kernelIldLi16ELi32ELi8ELi1ELi0ELb0ELc78ELc85EKPKdKPdEviT_PT9_S5_lS7_S5_lPT10_S5_li.num_agpr, 0
	.set _ZL37rocblas_syrkx_herkx_restricted_kernelIldLi16ELi32ELi8ELi1ELi0ELb0ELc78ELc85EKPKdKPdEviT_PT9_S5_lS7_S5_lPT10_S5_li.numbered_sgpr, 22
	.set _ZL37rocblas_syrkx_herkx_restricted_kernelIldLi16ELi32ELi8ELi1ELi0ELb0ELc78ELc85EKPKdKPdEviT_PT9_S5_lS7_S5_lPT10_S5_li.num_named_barrier, 0
	.set _ZL37rocblas_syrkx_herkx_restricted_kernelIldLi16ELi32ELi8ELi1ELi0ELb0ELc78ELc85EKPKdKPdEviT_PT9_S5_lS7_S5_lPT10_S5_li.private_seg_size, 0
	.set _ZL37rocblas_syrkx_herkx_restricted_kernelIldLi16ELi32ELi8ELi1ELi0ELb0ELc78ELc85EKPKdKPdEviT_PT9_S5_lS7_S5_lPT10_S5_li.uses_vcc, 1
	.set _ZL37rocblas_syrkx_herkx_restricted_kernelIldLi16ELi32ELi8ELi1ELi0ELb0ELc78ELc85EKPKdKPdEviT_PT9_S5_lS7_S5_lPT10_S5_li.uses_flat_scratch, 0
	.set _ZL37rocblas_syrkx_herkx_restricted_kernelIldLi16ELi32ELi8ELi1ELi0ELb0ELc78ELc85EKPKdKPdEviT_PT9_S5_lS7_S5_lPT10_S5_li.has_dyn_sized_stack, 0
	.set _ZL37rocblas_syrkx_herkx_restricted_kernelIldLi16ELi32ELi8ELi1ELi0ELb0ELc78ELc85EKPKdKPdEviT_PT9_S5_lS7_S5_lPT10_S5_li.has_recursion, 0
	.set _ZL37rocblas_syrkx_herkx_restricted_kernelIldLi16ELi32ELi8ELi1ELi0ELb0ELc78ELc85EKPKdKPdEviT_PT9_S5_lS7_S5_lPT10_S5_li.has_indirect_call, 0
	.section	.AMDGPU.csdata,"",@progbits
; Kernel info:
; codeLenInByte = 1304
; TotalNumSgprs: 26
; NumVgprs: 38
; ScratchSize: 0
; MemoryBound: 0
; FloatMode: 240
; IeeeMode: 1
; LDSByteSize: 4096 bytes/workgroup (compile time only)
; SGPRBlocks: 3
; VGPRBlocks: 9
; NumSGPRsForWavesPerEU: 26
; NumVGPRsForWavesPerEU: 38
; Occupancy: 6
; WaveLimiterHint : 1
; COMPUTE_PGM_RSRC2:SCRATCH_EN: 0
; COMPUTE_PGM_RSRC2:USER_SGPR: 6
; COMPUTE_PGM_RSRC2:TRAP_HANDLER: 0
; COMPUTE_PGM_RSRC2:TGID_X_EN: 1
; COMPUTE_PGM_RSRC2:TGID_Y_EN: 1
; COMPUTE_PGM_RSRC2:TGID_Z_EN: 1
; COMPUTE_PGM_RSRC2:TIDIG_COMP_CNT: 1
	.section	.text._ZL37rocblas_syrkx_herkx_restricted_kernelIldLi16ELi32ELi8ELin1ELi0ELb0ELc84ELc76EKPKdKPdEviT_PT9_S5_lS7_S5_lPT10_S5_li,"axG",@progbits,_ZL37rocblas_syrkx_herkx_restricted_kernelIldLi16ELi32ELi8ELin1ELi0ELb0ELc84ELc76EKPKdKPdEviT_PT9_S5_lS7_S5_lPT10_S5_li,comdat
	.globl	_ZL37rocblas_syrkx_herkx_restricted_kernelIldLi16ELi32ELi8ELin1ELi0ELb0ELc84ELc76EKPKdKPdEviT_PT9_S5_lS7_S5_lPT10_S5_li ; -- Begin function _ZL37rocblas_syrkx_herkx_restricted_kernelIldLi16ELi32ELi8ELin1ELi0ELb0ELc84ELc76EKPKdKPdEviT_PT9_S5_lS7_S5_lPT10_S5_li
	.p2align	8
	.type	_ZL37rocblas_syrkx_herkx_restricted_kernelIldLi16ELi32ELi8ELin1ELi0ELb0ELc84ELc76EKPKdKPdEviT_PT9_S5_lS7_S5_lPT10_S5_li,@function
_ZL37rocblas_syrkx_herkx_restricted_kernelIldLi16ELi32ELi8ELin1ELi0ELb0ELc84ELc76EKPKdKPdEviT_PT9_S5_lS7_S5_lPT10_S5_li: ; @_ZL37rocblas_syrkx_herkx_restricted_kernelIldLi16ELi32ELi8ELin1ELi0ELb0ELc84ELc76EKPKdKPdEviT_PT9_S5_lS7_S5_lPT10_S5_li
; %bb.0:
	s_load_dwordx4 s[12:15], s[4:5], 0x40
	s_load_dwordx4 s[16:19], s[4:5], 0x8
	s_mov_b32 s9, 0
	s_lshl_b64 s[0:1], s[8:9], 3
	s_waitcnt lgkmcnt(0)
	s_add_u32 s2, s12, s0
	s_addc_u32 s3, s13, s1
	s_load_dwordx2 s[8:9], s[2:3], 0x0
	v_cmp_lt_i64_e64 s[2:3], s[16:17], 1
	s_lshl_b32 s6, s6, 5
	s_lshl_b32 s7, s7, 5
	s_and_b64 vcc, exec, s[2:3]
	s_cbranch_vccnz .LBB1483_3
; %bb.1:
	s_load_dwordx2 s[2:3], s[4:5], 0x18
	s_load_dwordx4 s[20:23], s[4:5], 0x28
	v_lshl_add_u32 v4, v1, 4, v0
	v_lshrrev_b32_e32 v8, 3, v4
	v_add_u32_e32 v5, s7, v8
	v_ashrrev_i32_e32 v6, 31, v5
	v_and_b32_e32 v2, 7, v0
	v_mov_b32_e32 v3, 0
	s_waitcnt lgkmcnt(0)
	v_mul_lo_u32 v9, s22, v6
	v_mul_lo_u32 v10, s23, v5
	v_mad_u64_u32 v[6:7], s[12:13], s22, v5, v[2:3]
	v_lshlrev_b32_e32 v2, 3, v2
	v_lshl_or_b32 v2, v8, 6, v2
	v_add3_u32 v7, v10, v7, v9
	v_and_b32_e32 v9, 31, v4
	v_add_u32_e32 v8, s6, v9
	v_lshrrev_b32_e32 v4, 5, v4
	v_mov_b32_e32 v5, v3
	v_lshlrev_b32_e32 v3, 3, v9
	v_add_u32_e32 v15, 0x800, v2
	v_ashrrev_i32_e32 v2, 31, v8
	s_add_u32 s10, s18, s0
	v_lshl_or_b32 v14, v4, 8, v3
	v_mul_lo_u32 v9, s2, v2
	v_mad_u64_u32 v[2:3], s[12:13], s2, v8, v[4:5]
	v_mul_lo_u32 v4, s3, v8
	s_addc_u32 s11, s19, s1
	s_load_dwordx2 s[10:11], s[10:11], 0x0
	s_add_u32 s0, s20, s0
	s_addc_u32 s1, s21, s1
	v_add3_u32 v3, v4, v3, v9
	s_load_dwordx2 s[0:1], s[0:1], 0x0
	v_lshlrev_b64 v[2:3], 3, v[2:3]
	v_mov_b32_e32 v5, 0x800
	v_lshl_add_u32 v17, v1, 6, v5
	s_waitcnt lgkmcnt(0)
	v_mov_b32_e32 v5, s11
	v_add_co_u32_e32 v4, vcc, s10, v2
	v_addc_co_u32_e32 v5, vcc, v5, v3, vcc
	v_lshlrev_b64 v[2:3], 3, v[6:7]
	v_mov_b32_e32 v7, s1
	v_add_co_u32_e32 v6, vcc, s0, v2
	v_addc_co_u32_e32 v7, vcc, v7, v3, vcc
	v_mov_b32_e32 v2, 0
	v_mov_b32_e32 v8, 0
	;; [unrolled: 1-line block ×4, first 2 shown]
	v_lshlrev_b32_e32 v16, 3, v0
	v_mov_b32_e32 v3, 0
	v_mov_b32_e32 v9, 0
	;; [unrolled: 1-line block ×4, first 2 shown]
	s_mov_b64 s[2:3], 0
.LBB1483_2:                             ; =>This Inner Loop Header: Depth=1
	flat_load_dwordx2 v[18:19], v[4:5]
	s_add_u32 s2, s2, 8
	s_addc_u32 s3, s3, 0
	v_add_co_u32_e64 v4, s[0:1], 64, v4
	v_addc_co_u32_e64 v5, s[0:1], 0, v5, s[0:1]
	s_waitcnt vmcnt(0) lgkmcnt(0)
	ds_write_b64 v14, v[18:19]
	flat_load_dwordx2 v[18:19], v[6:7]
	v_add_co_u32_e64 v6, s[0:1], 64, v6
	v_addc_co_u32_e64 v7, s[0:1], 0, v7, s[0:1]
	s_waitcnt vmcnt(0) lgkmcnt(0)
	ds_write_b64 v15, v[18:19]
	s_waitcnt lgkmcnt(0)
	s_barrier
	ds_read2_b64 v[18:21], v16 offset1:16
	ds_read_b128 v[22:25], v17
	ds_read_b128 v[26:29], v17 offset:1024
	ds_read_b128 v[30:33], v17 offset:16
	s_waitcnt lgkmcnt(2)
	v_fma_f64 v[34:35], v[18:19], v[22:23], v[12:13]
	v_fma_f64 v[22:23], v[20:21], v[22:23], v[10:11]
	s_waitcnt lgkmcnt(1)
	v_fma_f64 v[8:9], v[18:19], v[26:27], v[8:9]
	v_fma_f64 v[2:3], v[20:21], v[26:27], v[2:3]
	ds_read2_b64 v[18:21], v16 offset0:32 offset1:48
	ds_read_b128 v[10:13], v17 offset:1040
	s_waitcnt lgkmcnt(1)
	v_fma_f64 v[26:27], v[18:19], v[24:25], v[34:35]
	v_fma_f64 v[34:35], v[20:21], v[24:25], v[22:23]
	;; [unrolled: 1-line block ×4, first 2 shown]
	ds_read2_b64 v[18:21], v16 offset0:64 offset1:80
	ds_read2_b64 v[22:25], v16 offset0:96 offset1:112
	s_waitcnt lgkmcnt(1)
	v_fma_f64 v[26:27], v[18:19], v[30:31], v[26:27]
	v_fma_f64 v[28:29], v[20:21], v[30:31], v[34:35]
	;; [unrolled: 1-line block ×4, first 2 shown]
	ds_read2_b64 v[8:11], v16 offset0:128 offset1:144
	ds_read_b128 v[18:21], v17 offset:32
	s_waitcnt lgkmcnt(2)
	v_fma_f64 v[34:35], v[22:23], v[32:33], v[26:27]
	v_fma_f64 v[32:33], v[24:25], v[32:33], v[28:29]
	;; [unrolled: 1-line block ×4, first 2 shown]
	ds_read_b128 v[22:25], v17 offset:1056
	ds_read_b128 v[26:29], v17 offset:48
	s_waitcnt lgkmcnt(2)
	v_fma_f64 v[12:13], v[8:9], v[18:19], v[34:35]
	v_fma_f64 v[18:19], v[10:11], v[18:19], v[32:33]
	s_waitcnt lgkmcnt(1)
	v_fma_f64 v[34:35], v[8:9], v[22:23], v[36:37]
	v_fma_f64 v[2:3], v[10:11], v[22:23], v[2:3]
	ds_read2_b64 v[8:11], v16 offset0:160 offset1:176
	ds_read_b128 v[30:33], v17 offset:1072
	s_waitcnt lgkmcnt(1)
	v_fma_f64 v[12:13], v[8:9], v[20:21], v[12:13]
	v_fma_f64 v[18:19], v[10:11], v[20:21], v[18:19]
	v_mov_b32_e32 v21, s3
	v_mov_b32_e32 v20, s2
	v_cmp_le_u64_e32 vcc, s[16:17], v[20:21]
	v_fma_f64 v[20:21], v[8:9], v[24:25], v[34:35]
	v_fma_f64 v[2:3], v[10:11], v[24:25], v[2:3]
	ds_read2_b64 v[8:11], v16 offset0:192 offset1:208
	s_and_b64 vcc, exec, vcc
	s_waitcnt lgkmcnt(0)
	v_fma_f64 v[12:13], v[8:9], v[26:27], v[12:13]
	v_fma_f64 v[22:23], v[10:11], v[26:27], v[18:19]
	;; [unrolled: 1-line block ×4, first 2 shown]
	ds_read2_b64 v[18:21], v16 offset0:224 offset1:240
	s_waitcnt lgkmcnt(0)
	s_barrier
	v_fma_f64 v[12:13], v[18:19], v[28:29], v[12:13]
	v_fma_f64 v[10:11], v[20:21], v[28:29], v[22:23]
	;; [unrolled: 1-line block ×4, first 2 shown]
	s_cbranch_vccz .LBB1483_2
	s_branch .LBB1483_4
.LBB1483_3:
	v_mov_b32_e32 v12, 0
	v_mov_b32_e32 v10, 0
	;; [unrolled: 1-line block ×8, first 2 shown]
.LBB1483_4:
	v_add_u32_e32 v6, s7, v1
	v_ashrrev_i32_e32 v1, 31, v6
	v_mul_lo_u32 v1, s14, v1
	v_mul_lo_u32 v7, s15, v6
	v_mad_u64_u32 v[4:5], s[0:1], s14, v6, 0
	s_load_dword s4, s[4:5], 0x0
	v_add_u32_e32 v0, s6, v0
	v_add3_u32 v5, v5, v1, v7
	v_lshlrev_b64 v[4:5], 3, v[4:5]
	s_waitcnt lgkmcnt(0)
	v_mov_b32_e32 v1, s9
	v_add_co_u32_e32 v7, vcc, s8, v4
	v_addc_co_u32_e32 v14, vcc, v1, v5, vcc
	v_cmp_le_i32_e64 s[0:1], v6, v0
	v_cmp_gt_i32_e32 vcc, s4, v0
	s_and_b64 s[0:1], s[0:1], vcc
	s_and_saveexec_b64 s[2:3], s[0:1]
	s_cbranch_execz .LBB1483_6
; %bb.5:
	v_ashrrev_i32_e32 v1, 31, v0
	v_lshlrev_b64 v[4:5], 3, v[0:1]
	v_xor_b32_e32 v13, 0x80000000, v13
	v_add_co_u32_e64 v4, s[0:1], v7, v4
	v_addc_co_u32_e64 v5, s[0:1], v14, v5, s[0:1]
	flat_store_dwordx2 v[4:5], v[12:13]
.LBB1483_6:
	s_or_b64 exec, exec, s[2:3]
	v_add_u32_e32 v4, 16, v0
	v_cmp_le_i32_e64 s[2:3], v6, v4
	v_cmp_gt_i32_e64 s[0:1], s4, v4
	s_and_b64 s[2:3], s[2:3], s[0:1]
	s_and_saveexec_b64 s[4:5], s[2:3]
	s_cbranch_execz .LBB1483_8
; %bb.7:
	v_ashrrev_i32_e32 v5, 31, v4
	v_lshlrev_b64 v[12:13], 3, v[4:5]
	v_xor_b32_e32 v11, 0x80000000, v11
	v_add_co_u32_e64 v12, s[2:3], v7, v12
	v_addc_co_u32_e64 v13, s[2:3], v14, v13, s[2:3]
	flat_store_dwordx2 v[12:13], v[10:11]
.LBB1483_8:
	s_or_b64 exec, exec, s[4:5]
	v_add_u32_e32 v5, 16, v6
	v_ashrrev_i32_e32 v1, 31, v5
	v_mul_lo_u32 v10, s15, v5
	v_mad_u64_u32 v[6:7], s[2:3], s14, v5, 0
	v_mul_lo_u32 v1, s14, v1
	v_add3_u32 v7, v7, v1, v10
	v_lshlrev_b64 v[6:7], 3, v[6:7]
	v_mov_b32_e32 v1, s9
	v_add_co_u32_e64 v6, s[2:3], s8, v6
	v_addc_co_u32_e64 v7, s[2:3], v1, v7, s[2:3]
	v_cmp_le_i32_e64 s[2:3], v5, v0
	s_and_b64 s[4:5], s[2:3], vcc
	s_and_saveexec_b64 s[2:3], s[4:5]
	s_cbranch_execz .LBB1483_10
; %bb.9:
	v_ashrrev_i32_e32 v1, 31, v0
	v_lshlrev_b64 v[0:1], 3, v[0:1]
	v_xor_b32_e32 v9, 0x80000000, v9
	v_add_co_u32_e32 v0, vcc, v6, v0
	v_addc_co_u32_e32 v1, vcc, v7, v1, vcc
	flat_store_dwordx2 v[0:1], v[8:9]
.LBB1483_10:
	s_or_b64 exec, exec, s[2:3]
	v_cmp_le_i32_e32 vcc, v5, v4
	s_and_b64 s[0:1], vcc, s[0:1]
	s_and_saveexec_b64 s[2:3], s[0:1]
	s_cbranch_execz .LBB1483_12
; %bb.11:
	v_ashrrev_i32_e32 v5, 31, v4
	v_lshlrev_b64 v[0:1], 3, v[4:5]
	v_xor_b32_e32 v3, 0x80000000, v3
	v_add_co_u32_e32 v0, vcc, v6, v0
	v_addc_co_u32_e32 v1, vcc, v7, v1, vcc
	flat_store_dwordx2 v[0:1], v[2:3]
.LBB1483_12:
	s_endpgm
	.section	.rodata,"a",@progbits
	.p2align	6, 0x0
	.amdhsa_kernel _ZL37rocblas_syrkx_herkx_restricted_kernelIldLi16ELi32ELi8ELin1ELi0ELb0ELc84ELc76EKPKdKPdEviT_PT9_S5_lS7_S5_lPT10_S5_li
		.amdhsa_group_segment_fixed_size 4096
		.amdhsa_private_segment_fixed_size 0
		.amdhsa_kernarg_size 92
		.amdhsa_user_sgpr_count 6
		.amdhsa_user_sgpr_private_segment_buffer 1
		.amdhsa_user_sgpr_dispatch_ptr 0
		.amdhsa_user_sgpr_queue_ptr 0
		.amdhsa_user_sgpr_kernarg_segment_ptr 1
		.amdhsa_user_sgpr_dispatch_id 0
		.amdhsa_user_sgpr_flat_scratch_init 0
		.amdhsa_user_sgpr_private_segment_size 0
		.amdhsa_uses_dynamic_stack 0
		.amdhsa_system_sgpr_private_segment_wavefront_offset 0
		.amdhsa_system_sgpr_workgroup_id_x 1
		.amdhsa_system_sgpr_workgroup_id_y 1
		.amdhsa_system_sgpr_workgroup_id_z 1
		.amdhsa_system_sgpr_workgroup_info 0
		.amdhsa_system_vgpr_workitem_id 1
		.amdhsa_next_free_vgpr 38
		.amdhsa_next_free_sgpr 24
		.amdhsa_reserve_vcc 1
		.amdhsa_reserve_flat_scratch 0
		.amdhsa_float_round_mode_32 0
		.amdhsa_float_round_mode_16_64 0
		.amdhsa_float_denorm_mode_32 3
		.amdhsa_float_denorm_mode_16_64 3
		.amdhsa_dx10_clamp 1
		.amdhsa_ieee_mode 1
		.amdhsa_fp16_overflow 0
		.amdhsa_exception_fp_ieee_invalid_op 0
		.amdhsa_exception_fp_denorm_src 0
		.amdhsa_exception_fp_ieee_div_zero 0
		.amdhsa_exception_fp_ieee_overflow 0
		.amdhsa_exception_fp_ieee_underflow 0
		.amdhsa_exception_fp_ieee_inexact 0
		.amdhsa_exception_int_div_zero 0
	.end_amdhsa_kernel
	.section	.text._ZL37rocblas_syrkx_herkx_restricted_kernelIldLi16ELi32ELi8ELin1ELi0ELb0ELc84ELc76EKPKdKPdEviT_PT9_S5_lS7_S5_lPT10_S5_li,"axG",@progbits,_ZL37rocblas_syrkx_herkx_restricted_kernelIldLi16ELi32ELi8ELin1ELi0ELb0ELc84ELc76EKPKdKPdEviT_PT9_S5_lS7_S5_lPT10_S5_li,comdat
.Lfunc_end1483:
	.size	_ZL37rocblas_syrkx_herkx_restricted_kernelIldLi16ELi32ELi8ELin1ELi0ELb0ELc84ELc76EKPKdKPdEviT_PT9_S5_lS7_S5_lPT10_S5_li, .Lfunc_end1483-_ZL37rocblas_syrkx_herkx_restricted_kernelIldLi16ELi32ELi8ELin1ELi0ELb0ELc84ELc76EKPKdKPdEviT_PT9_S5_lS7_S5_lPT10_S5_li
                                        ; -- End function
	.set _ZL37rocblas_syrkx_herkx_restricted_kernelIldLi16ELi32ELi8ELin1ELi0ELb0ELc84ELc76EKPKdKPdEviT_PT9_S5_lS7_S5_lPT10_S5_li.num_vgpr, 38
	.set _ZL37rocblas_syrkx_herkx_restricted_kernelIldLi16ELi32ELi8ELin1ELi0ELb0ELc84ELc76EKPKdKPdEviT_PT9_S5_lS7_S5_lPT10_S5_li.num_agpr, 0
	.set _ZL37rocblas_syrkx_herkx_restricted_kernelIldLi16ELi32ELi8ELin1ELi0ELb0ELc84ELc76EKPKdKPdEviT_PT9_S5_lS7_S5_lPT10_S5_li.numbered_sgpr, 24
	.set _ZL37rocblas_syrkx_herkx_restricted_kernelIldLi16ELi32ELi8ELin1ELi0ELb0ELc84ELc76EKPKdKPdEviT_PT9_S5_lS7_S5_lPT10_S5_li.num_named_barrier, 0
	.set _ZL37rocblas_syrkx_herkx_restricted_kernelIldLi16ELi32ELi8ELin1ELi0ELb0ELc84ELc76EKPKdKPdEviT_PT9_S5_lS7_S5_lPT10_S5_li.private_seg_size, 0
	.set _ZL37rocblas_syrkx_herkx_restricted_kernelIldLi16ELi32ELi8ELin1ELi0ELb0ELc84ELc76EKPKdKPdEviT_PT9_S5_lS7_S5_lPT10_S5_li.uses_vcc, 1
	.set _ZL37rocblas_syrkx_herkx_restricted_kernelIldLi16ELi32ELi8ELin1ELi0ELb0ELc84ELc76EKPKdKPdEviT_PT9_S5_lS7_S5_lPT10_S5_li.uses_flat_scratch, 0
	.set _ZL37rocblas_syrkx_herkx_restricted_kernelIldLi16ELi32ELi8ELin1ELi0ELb0ELc84ELc76EKPKdKPdEviT_PT9_S5_lS7_S5_lPT10_S5_li.has_dyn_sized_stack, 0
	.set _ZL37rocblas_syrkx_herkx_restricted_kernelIldLi16ELi32ELi8ELin1ELi0ELb0ELc84ELc76EKPKdKPdEviT_PT9_S5_lS7_S5_lPT10_S5_li.has_recursion, 0
	.set _ZL37rocblas_syrkx_herkx_restricted_kernelIldLi16ELi32ELi8ELin1ELi0ELb0ELc84ELc76EKPKdKPdEviT_PT9_S5_lS7_S5_lPT10_S5_li.has_indirect_call, 0
	.section	.AMDGPU.csdata,"",@progbits
; Kernel info:
; codeLenInByte = 1348
; TotalNumSgprs: 28
; NumVgprs: 38
; ScratchSize: 0
; MemoryBound: 0
; FloatMode: 240
; IeeeMode: 1
; LDSByteSize: 4096 bytes/workgroup (compile time only)
; SGPRBlocks: 3
; VGPRBlocks: 9
; NumSGPRsForWavesPerEU: 28
; NumVGPRsForWavesPerEU: 38
; Occupancy: 6
; WaveLimiterHint : 1
; COMPUTE_PGM_RSRC2:SCRATCH_EN: 0
; COMPUTE_PGM_RSRC2:USER_SGPR: 6
; COMPUTE_PGM_RSRC2:TRAP_HANDLER: 0
; COMPUTE_PGM_RSRC2:TGID_X_EN: 1
; COMPUTE_PGM_RSRC2:TGID_Y_EN: 1
; COMPUTE_PGM_RSRC2:TGID_Z_EN: 1
; COMPUTE_PGM_RSRC2:TIDIG_COMP_CNT: 1
	.section	.text._ZL37rocblas_syrkx_herkx_restricted_kernelIldLi16ELi32ELi8ELin1ELi0ELb0ELc67ELc76EKPKdKPdEviT_PT9_S5_lS7_S5_lPT10_S5_li,"axG",@progbits,_ZL37rocblas_syrkx_herkx_restricted_kernelIldLi16ELi32ELi8ELin1ELi0ELb0ELc67ELc76EKPKdKPdEviT_PT9_S5_lS7_S5_lPT10_S5_li,comdat
	.globl	_ZL37rocblas_syrkx_herkx_restricted_kernelIldLi16ELi32ELi8ELin1ELi0ELb0ELc67ELc76EKPKdKPdEviT_PT9_S5_lS7_S5_lPT10_S5_li ; -- Begin function _ZL37rocblas_syrkx_herkx_restricted_kernelIldLi16ELi32ELi8ELin1ELi0ELb0ELc67ELc76EKPKdKPdEviT_PT9_S5_lS7_S5_lPT10_S5_li
	.p2align	8
	.type	_ZL37rocblas_syrkx_herkx_restricted_kernelIldLi16ELi32ELi8ELin1ELi0ELb0ELc67ELc76EKPKdKPdEviT_PT9_S5_lS7_S5_lPT10_S5_li,@function
_ZL37rocblas_syrkx_herkx_restricted_kernelIldLi16ELi32ELi8ELin1ELi0ELb0ELc67ELc76EKPKdKPdEviT_PT9_S5_lS7_S5_lPT10_S5_li: ; @_ZL37rocblas_syrkx_herkx_restricted_kernelIldLi16ELi32ELi8ELin1ELi0ELb0ELc67ELc76EKPKdKPdEviT_PT9_S5_lS7_S5_lPT10_S5_li
; %bb.0:
	s_load_dwordx4 s[12:15], s[4:5], 0x40
	s_load_dwordx4 s[16:19], s[4:5], 0x8
	s_mov_b32 s9, 0
	s_lshl_b64 s[0:1], s[8:9], 3
	s_waitcnt lgkmcnt(0)
	s_add_u32 s2, s12, s0
	s_addc_u32 s3, s13, s1
	s_load_dwordx2 s[8:9], s[2:3], 0x0
	v_cmp_lt_i64_e64 s[2:3], s[16:17], 1
	s_lshl_b32 s6, s6, 5
	s_lshl_b32 s7, s7, 5
	s_and_b64 vcc, exec, s[2:3]
	s_cbranch_vccnz .LBB1484_3
; %bb.1:
	s_load_dwordx2 s[2:3], s[4:5], 0x18
	s_load_dwordx4 s[20:23], s[4:5], 0x28
	v_lshl_add_u32 v4, v1, 4, v0
	v_lshrrev_b32_e32 v8, 3, v4
	v_add_u32_e32 v5, s7, v8
	v_ashrrev_i32_e32 v6, 31, v5
	v_and_b32_e32 v2, 7, v0
	v_mov_b32_e32 v3, 0
	s_waitcnt lgkmcnt(0)
	v_mul_lo_u32 v9, s22, v6
	v_mul_lo_u32 v10, s23, v5
	v_mad_u64_u32 v[6:7], s[12:13], s22, v5, v[2:3]
	v_lshlrev_b32_e32 v2, 3, v2
	v_lshl_or_b32 v2, v8, 6, v2
	v_add3_u32 v7, v10, v7, v9
	v_and_b32_e32 v9, 31, v4
	v_add_u32_e32 v8, s6, v9
	v_lshrrev_b32_e32 v4, 5, v4
	v_mov_b32_e32 v5, v3
	v_lshlrev_b32_e32 v3, 3, v9
	v_add_u32_e32 v15, 0x800, v2
	v_ashrrev_i32_e32 v2, 31, v8
	s_add_u32 s10, s18, s0
	v_lshl_or_b32 v14, v4, 8, v3
	v_mul_lo_u32 v9, s2, v2
	v_mad_u64_u32 v[2:3], s[12:13], s2, v8, v[4:5]
	v_mul_lo_u32 v4, s3, v8
	s_addc_u32 s11, s19, s1
	s_load_dwordx2 s[10:11], s[10:11], 0x0
	s_add_u32 s0, s20, s0
	s_addc_u32 s1, s21, s1
	v_add3_u32 v3, v4, v3, v9
	s_load_dwordx2 s[0:1], s[0:1], 0x0
	v_lshlrev_b64 v[2:3], 3, v[2:3]
	v_mov_b32_e32 v5, 0x800
	v_lshl_add_u32 v17, v1, 6, v5
	s_waitcnt lgkmcnt(0)
	v_mov_b32_e32 v5, s11
	v_add_co_u32_e32 v4, vcc, s10, v2
	v_addc_co_u32_e32 v5, vcc, v5, v3, vcc
	v_lshlrev_b64 v[2:3], 3, v[6:7]
	v_mov_b32_e32 v7, s1
	v_add_co_u32_e32 v6, vcc, s0, v2
	v_addc_co_u32_e32 v7, vcc, v7, v3, vcc
	v_mov_b32_e32 v2, 0
	v_mov_b32_e32 v8, 0
	;; [unrolled: 1-line block ×4, first 2 shown]
	v_lshlrev_b32_e32 v16, 3, v0
	v_mov_b32_e32 v3, 0
	v_mov_b32_e32 v9, 0
	;; [unrolled: 1-line block ×4, first 2 shown]
	s_mov_b64 s[2:3], 0
.LBB1484_2:                             ; =>This Inner Loop Header: Depth=1
	flat_load_dwordx2 v[18:19], v[4:5]
	s_add_u32 s2, s2, 8
	s_addc_u32 s3, s3, 0
	v_add_co_u32_e64 v4, s[0:1], 64, v4
	v_addc_co_u32_e64 v5, s[0:1], 0, v5, s[0:1]
	s_waitcnt vmcnt(0) lgkmcnt(0)
	ds_write_b64 v14, v[18:19]
	flat_load_dwordx2 v[18:19], v[6:7]
	v_add_co_u32_e64 v6, s[0:1], 64, v6
	v_addc_co_u32_e64 v7, s[0:1], 0, v7, s[0:1]
	s_waitcnt vmcnt(0) lgkmcnt(0)
	ds_write_b64 v15, v[18:19]
	s_waitcnt lgkmcnt(0)
	s_barrier
	ds_read2_b64 v[18:21], v16 offset1:16
	ds_read_b128 v[22:25], v17
	ds_read_b128 v[26:29], v17 offset:1024
	ds_read_b128 v[30:33], v17 offset:16
	s_waitcnt lgkmcnt(2)
	v_fma_f64 v[34:35], v[18:19], v[22:23], v[12:13]
	v_fma_f64 v[22:23], v[20:21], v[22:23], v[10:11]
	s_waitcnt lgkmcnt(1)
	v_fma_f64 v[8:9], v[18:19], v[26:27], v[8:9]
	v_fma_f64 v[2:3], v[20:21], v[26:27], v[2:3]
	ds_read2_b64 v[18:21], v16 offset0:32 offset1:48
	ds_read_b128 v[10:13], v17 offset:1040
	s_waitcnt lgkmcnt(1)
	v_fma_f64 v[26:27], v[18:19], v[24:25], v[34:35]
	v_fma_f64 v[34:35], v[20:21], v[24:25], v[22:23]
	;; [unrolled: 1-line block ×4, first 2 shown]
	ds_read2_b64 v[18:21], v16 offset0:64 offset1:80
	ds_read2_b64 v[22:25], v16 offset0:96 offset1:112
	s_waitcnt lgkmcnt(1)
	v_fma_f64 v[26:27], v[18:19], v[30:31], v[26:27]
	v_fma_f64 v[28:29], v[20:21], v[30:31], v[34:35]
	;; [unrolled: 1-line block ×4, first 2 shown]
	ds_read2_b64 v[8:11], v16 offset0:128 offset1:144
	ds_read_b128 v[18:21], v17 offset:32
	s_waitcnt lgkmcnt(2)
	v_fma_f64 v[34:35], v[22:23], v[32:33], v[26:27]
	v_fma_f64 v[32:33], v[24:25], v[32:33], v[28:29]
	;; [unrolled: 1-line block ×4, first 2 shown]
	ds_read_b128 v[22:25], v17 offset:1056
	ds_read_b128 v[26:29], v17 offset:48
	s_waitcnt lgkmcnt(2)
	v_fma_f64 v[12:13], v[8:9], v[18:19], v[34:35]
	v_fma_f64 v[18:19], v[10:11], v[18:19], v[32:33]
	s_waitcnt lgkmcnt(1)
	v_fma_f64 v[34:35], v[8:9], v[22:23], v[36:37]
	v_fma_f64 v[2:3], v[10:11], v[22:23], v[2:3]
	ds_read2_b64 v[8:11], v16 offset0:160 offset1:176
	ds_read_b128 v[30:33], v17 offset:1072
	s_waitcnt lgkmcnt(1)
	v_fma_f64 v[12:13], v[8:9], v[20:21], v[12:13]
	v_fma_f64 v[18:19], v[10:11], v[20:21], v[18:19]
	v_mov_b32_e32 v21, s3
	v_mov_b32_e32 v20, s2
	v_cmp_le_u64_e32 vcc, s[16:17], v[20:21]
	v_fma_f64 v[20:21], v[8:9], v[24:25], v[34:35]
	v_fma_f64 v[2:3], v[10:11], v[24:25], v[2:3]
	ds_read2_b64 v[8:11], v16 offset0:192 offset1:208
	s_and_b64 vcc, exec, vcc
	s_waitcnt lgkmcnt(0)
	v_fma_f64 v[12:13], v[8:9], v[26:27], v[12:13]
	v_fma_f64 v[22:23], v[10:11], v[26:27], v[18:19]
	;; [unrolled: 1-line block ×4, first 2 shown]
	ds_read2_b64 v[18:21], v16 offset0:224 offset1:240
	s_waitcnt lgkmcnt(0)
	s_barrier
	v_fma_f64 v[12:13], v[18:19], v[28:29], v[12:13]
	v_fma_f64 v[10:11], v[20:21], v[28:29], v[22:23]
	;; [unrolled: 1-line block ×4, first 2 shown]
	s_cbranch_vccz .LBB1484_2
	s_branch .LBB1484_4
.LBB1484_3:
	v_mov_b32_e32 v12, 0
	v_mov_b32_e32 v10, 0
	;; [unrolled: 1-line block ×8, first 2 shown]
.LBB1484_4:
	v_add_u32_e32 v6, s7, v1
	v_ashrrev_i32_e32 v1, 31, v6
	v_mul_lo_u32 v1, s14, v1
	v_mul_lo_u32 v7, s15, v6
	v_mad_u64_u32 v[4:5], s[0:1], s14, v6, 0
	s_load_dword s4, s[4:5], 0x0
	v_add_u32_e32 v0, s6, v0
	v_add3_u32 v5, v5, v1, v7
	v_lshlrev_b64 v[4:5], 3, v[4:5]
	s_waitcnt lgkmcnt(0)
	v_mov_b32_e32 v1, s9
	v_add_co_u32_e32 v7, vcc, s8, v4
	v_addc_co_u32_e32 v14, vcc, v1, v5, vcc
	v_cmp_le_i32_e64 s[0:1], v6, v0
	v_cmp_gt_i32_e32 vcc, s4, v0
	s_and_b64 s[0:1], s[0:1], vcc
	s_and_saveexec_b64 s[2:3], s[0:1]
	s_cbranch_execz .LBB1484_6
; %bb.5:
	v_ashrrev_i32_e32 v1, 31, v0
	v_lshlrev_b64 v[4:5], 3, v[0:1]
	v_xor_b32_e32 v13, 0x80000000, v13
	v_add_co_u32_e64 v4, s[0:1], v7, v4
	v_addc_co_u32_e64 v5, s[0:1], v14, v5, s[0:1]
	flat_store_dwordx2 v[4:5], v[12:13]
.LBB1484_6:
	s_or_b64 exec, exec, s[2:3]
	v_add_u32_e32 v4, 16, v0
	v_cmp_le_i32_e64 s[2:3], v6, v4
	v_cmp_gt_i32_e64 s[0:1], s4, v4
	s_and_b64 s[2:3], s[2:3], s[0:1]
	s_and_saveexec_b64 s[4:5], s[2:3]
	s_cbranch_execz .LBB1484_8
; %bb.7:
	v_ashrrev_i32_e32 v5, 31, v4
	v_lshlrev_b64 v[12:13], 3, v[4:5]
	v_xor_b32_e32 v11, 0x80000000, v11
	v_add_co_u32_e64 v12, s[2:3], v7, v12
	v_addc_co_u32_e64 v13, s[2:3], v14, v13, s[2:3]
	flat_store_dwordx2 v[12:13], v[10:11]
.LBB1484_8:
	s_or_b64 exec, exec, s[4:5]
	v_add_u32_e32 v5, 16, v6
	v_ashrrev_i32_e32 v1, 31, v5
	v_mul_lo_u32 v10, s15, v5
	v_mad_u64_u32 v[6:7], s[2:3], s14, v5, 0
	v_mul_lo_u32 v1, s14, v1
	v_add3_u32 v7, v7, v1, v10
	v_lshlrev_b64 v[6:7], 3, v[6:7]
	v_mov_b32_e32 v1, s9
	v_add_co_u32_e64 v6, s[2:3], s8, v6
	v_addc_co_u32_e64 v7, s[2:3], v1, v7, s[2:3]
	v_cmp_le_i32_e64 s[2:3], v5, v0
	s_and_b64 s[4:5], s[2:3], vcc
	s_and_saveexec_b64 s[2:3], s[4:5]
	s_cbranch_execz .LBB1484_10
; %bb.9:
	v_ashrrev_i32_e32 v1, 31, v0
	v_lshlrev_b64 v[0:1], 3, v[0:1]
	v_xor_b32_e32 v9, 0x80000000, v9
	v_add_co_u32_e32 v0, vcc, v6, v0
	v_addc_co_u32_e32 v1, vcc, v7, v1, vcc
	flat_store_dwordx2 v[0:1], v[8:9]
.LBB1484_10:
	s_or_b64 exec, exec, s[2:3]
	v_cmp_le_i32_e32 vcc, v5, v4
	s_and_b64 s[0:1], vcc, s[0:1]
	s_and_saveexec_b64 s[2:3], s[0:1]
	s_cbranch_execz .LBB1484_12
; %bb.11:
	v_ashrrev_i32_e32 v5, 31, v4
	v_lshlrev_b64 v[0:1], 3, v[4:5]
	v_xor_b32_e32 v3, 0x80000000, v3
	v_add_co_u32_e32 v0, vcc, v6, v0
	v_addc_co_u32_e32 v1, vcc, v7, v1, vcc
	flat_store_dwordx2 v[0:1], v[2:3]
.LBB1484_12:
	s_endpgm
	.section	.rodata,"a",@progbits
	.p2align	6, 0x0
	.amdhsa_kernel _ZL37rocblas_syrkx_herkx_restricted_kernelIldLi16ELi32ELi8ELin1ELi0ELb0ELc67ELc76EKPKdKPdEviT_PT9_S5_lS7_S5_lPT10_S5_li
		.amdhsa_group_segment_fixed_size 4096
		.amdhsa_private_segment_fixed_size 0
		.amdhsa_kernarg_size 92
		.amdhsa_user_sgpr_count 6
		.amdhsa_user_sgpr_private_segment_buffer 1
		.amdhsa_user_sgpr_dispatch_ptr 0
		.amdhsa_user_sgpr_queue_ptr 0
		.amdhsa_user_sgpr_kernarg_segment_ptr 1
		.amdhsa_user_sgpr_dispatch_id 0
		.amdhsa_user_sgpr_flat_scratch_init 0
		.amdhsa_user_sgpr_private_segment_size 0
		.amdhsa_uses_dynamic_stack 0
		.amdhsa_system_sgpr_private_segment_wavefront_offset 0
		.amdhsa_system_sgpr_workgroup_id_x 1
		.amdhsa_system_sgpr_workgroup_id_y 1
		.amdhsa_system_sgpr_workgroup_id_z 1
		.amdhsa_system_sgpr_workgroup_info 0
		.amdhsa_system_vgpr_workitem_id 1
		.amdhsa_next_free_vgpr 38
		.amdhsa_next_free_sgpr 24
		.amdhsa_reserve_vcc 1
		.amdhsa_reserve_flat_scratch 0
		.amdhsa_float_round_mode_32 0
		.amdhsa_float_round_mode_16_64 0
		.amdhsa_float_denorm_mode_32 3
		.amdhsa_float_denorm_mode_16_64 3
		.amdhsa_dx10_clamp 1
		.amdhsa_ieee_mode 1
		.amdhsa_fp16_overflow 0
		.amdhsa_exception_fp_ieee_invalid_op 0
		.amdhsa_exception_fp_denorm_src 0
		.amdhsa_exception_fp_ieee_div_zero 0
		.amdhsa_exception_fp_ieee_overflow 0
		.amdhsa_exception_fp_ieee_underflow 0
		.amdhsa_exception_fp_ieee_inexact 0
		.amdhsa_exception_int_div_zero 0
	.end_amdhsa_kernel
	.section	.text._ZL37rocblas_syrkx_herkx_restricted_kernelIldLi16ELi32ELi8ELin1ELi0ELb0ELc67ELc76EKPKdKPdEviT_PT9_S5_lS7_S5_lPT10_S5_li,"axG",@progbits,_ZL37rocblas_syrkx_herkx_restricted_kernelIldLi16ELi32ELi8ELin1ELi0ELb0ELc67ELc76EKPKdKPdEviT_PT9_S5_lS7_S5_lPT10_S5_li,comdat
.Lfunc_end1484:
	.size	_ZL37rocblas_syrkx_herkx_restricted_kernelIldLi16ELi32ELi8ELin1ELi0ELb0ELc67ELc76EKPKdKPdEviT_PT9_S5_lS7_S5_lPT10_S5_li, .Lfunc_end1484-_ZL37rocblas_syrkx_herkx_restricted_kernelIldLi16ELi32ELi8ELin1ELi0ELb0ELc67ELc76EKPKdKPdEviT_PT9_S5_lS7_S5_lPT10_S5_li
                                        ; -- End function
	.set _ZL37rocblas_syrkx_herkx_restricted_kernelIldLi16ELi32ELi8ELin1ELi0ELb0ELc67ELc76EKPKdKPdEviT_PT9_S5_lS7_S5_lPT10_S5_li.num_vgpr, 38
	.set _ZL37rocblas_syrkx_herkx_restricted_kernelIldLi16ELi32ELi8ELin1ELi0ELb0ELc67ELc76EKPKdKPdEviT_PT9_S5_lS7_S5_lPT10_S5_li.num_agpr, 0
	.set _ZL37rocblas_syrkx_herkx_restricted_kernelIldLi16ELi32ELi8ELin1ELi0ELb0ELc67ELc76EKPKdKPdEviT_PT9_S5_lS7_S5_lPT10_S5_li.numbered_sgpr, 24
	.set _ZL37rocblas_syrkx_herkx_restricted_kernelIldLi16ELi32ELi8ELin1ELi0ELb0ELc67ELc76EKPKdKPdEviT_PT9_S5_lS7_S5_lPT10_S5_li.num_named_barrier, 0
	.set _ZL37rocblas_syrkx_herkx_restricted_kernelIldLi16ELi32ELi8ELin1ELi0ELb0ELc67ELc76EKPKdKPdEviT_PT9_S5_lS7_S5_lPT10_S5_li.private_seg_size, 0
	.set _ZL37rocblas_syrkx_herkx_restricted_kernelIldLi16ELi32ELi8ELin1ELi0ELb0ELc67ELc76EKPKdKPdEviT_PT9_S5_lS7_S5_lPT10_S5_li.uses_vcc, 1
	.set _ZL37rocblas_syrkx_herkx_restricted_kernelIldLi16ELi32ELi8ELin1ELi0ELb0ELc67ELc76EKPKdKPdEviT_PT9_S5_lS7_S5_lPT10_S5_li.uses_flat_scratch, 0
	.set _ZL37rocblas_syrkx_herkx_restricted_kernelIldLi16ELi32ELi8ELin1ELi0ELb0ELc67ELc76EKPKdKPdEviT_PT9_S5_lS7_S5_lPT10_S5_li.has_dyn_sized_stack, 0
	.set _ZL37rocblas_syrkx_herkx_restricted_kernelIldLi16ELi32ELi8ELin1ELi0ELb0ELc67ELc76EKPKdKPdEviT_PT9_S5_lS7_S5_lPT10_S5_li.has_recursion, 0
	.set _ZL37rocblas_syrkx_herkx_restricted_kernelIldLi16ELi32ELi8ELin1ELi0ELb0ELc67ELc76EKPKdKPdEviT_PT9_S5_lS7_S5_lPT10_S5_li.has_indirect_call, 0
	.section	.AMDGPU.csdata,"",@progbits
; Kernel info:
; codeLenInByte = 1348
; TotalNumSgprs: 28
; NumVgprs: 38
; ScratchSize: 0
; MemoryBound: 0
; FloatMode: 240
; IeeeMode: 1
; LDSByteSize: 4096 bytes/workgroup (compile time only)
; SGPRBlocks: 3
; VGPRBlocks: 9
; NumSGPRsForWavesPerEU: 28
; NumVGPRsForWavesPerEU: 38
; Occupancy: 6
; WaveLimiterHint : 1
; COMPUTE_PGM_RSRC2:SCRATCH_EN: 0
; COMPUTE_PGM_RSRC2:USER_SGPR: 6
; COMPUTE_PGM_RSRC2:TRAP_HANDLER: 0
; COMPUTE_PGM_RSRC2:TGID_X_EN: 1
; COMPUTE_PGM_RSRC2:TGID_Y_EN: 1
; COMPUTE_PGM_RSRC2:TGID_Z_EN: 1
; COMPUTE_PGM_RSRC2:TIDIG_COMP_CNT: 1
	.section	.text._ZL37rocblas_syrkx_herkx_restricted_kernelIldLi16ELi32ELi8ELin1ELi0ELb0ELc78ELc76EKPKdKPdEviT_PT9_S5_lS7_S5_lPT10_S5_li,"axG",@progbits,_ZL37rocblas_syrkx_herkx_restricted_kernelIldLi16ELi32ELi8ELin1ELi0ELb0ELc78ELc76EKPKdKPdEviT_PT9_S5_lS7_S5_lPT10_S5_li,comdat
	.globl	_ZL37rocblas_syrkx_herkx_restricted_kernelIldLi16ELi32ELi8ELin1ELi0ELb0ELc78ELc76EKPKdKPdEviT_PT9_S5_lS7_S5_lPT10_S5_li ; -- Begin function _ZL37rocblas_syrkx_herkx_restricted_kernelIldLi16ELi32ELi8ELin1ELi0ELb0ELc78ELc76EKPKdKPdEviT_PT9_S5_lS7_S5_lPT10_S5_li
	.p2align	8
	.type	_ZL37rocblas_syrkx_herkx_restricted_kernelIldLi16ELi32ELi8ELin1ELi0ELb0ELc78ELc76EKPKdKPdEviT_PT9_S5_lS7_S5_lPT10_S5_li,@function
_ZL37rocblas_syrkx_herkx_restricted_kernelIldLi16ELi32ELi8ELin1ELi0ELb0ELc78ELc76EKPKdKPdEviT_PT9_S5_lS7_S5_lPT10_S5_li: ; @_ZL37rocblas_syrkx_herkx_restricted_kernelIldLi16ELi32ELi8ELin1ELi0ELb0ELc78ELc76EKPKdKPdEviT_PT9_S5_lS7_S5_lPT10_S5_li
; %bb.0:
	s_load_dwordx4 s[12:15], s[4:5], 0x40
	s_load_dwordx4 s[16:19], s[4:5], 0x8
	s_mov_b32 s9, 0
	s_lshl_b64 s[10:11], s[8:9], 3
	s_waitcnt lgkmcnt(0)
	s_add_u32 s0, s12, s10
	s_addc_u32 s1, s13, s11
	s_load_dwordx2 s[8:9], s[0:1], 0x0
	v_cmp_lt_i64_e64 s[0:1], s[16:17], 1
	s_lshl_b32 s12, s6, 5
	s_lshl_b32 s13, s7, 5
	s_and_b64 vcc, exec, s[0:1]
	s_cbranch_vccnz .LBB1485_3
; %bb.1:
	s_load_dwordx2 s[6:7], s[4:5], 0x18
	s_load_dwordx4 s[0:3], s[4:5], 0x28
	v_lshl_add_u32 v5, v1, 4, v0
	v_lshrrev_b32_e32 v7, 3, v5
	v_add_u32_e32 v2, s13, v7
	v_and_b32_e32 v6, 7, v0
	v_ashrrev_i32_e32 v3, 31, v2
	s_waitcnt lgkmcnt(0)
	v_mad_u64_u32 v[2:3], s[20:21], s2, v6, v[2:3]
	s_add_u32 s18, s18, s10
	s_addc_u32 s19, s19, s11
	v_mad_u64_u32 v[3:4], s[20:21], s3, v6, v[3:4]
	v_and_b32_e32 v4, 31, v5
	v_lshrrev_b32_e32 v8, 5, v5
	v_lshlrev_b32_e32 v5, 3, v4
	v_add_u32_e32 v4, s12, v4
	s_add_u32 s0, s0, s10
	v_lshl_or_b32 v14, v8, 8, v5
	v_ashrrev_i32_e32 v5, 31, v4
	s_addc_u32 s1, s1, s11
	v_mad_u64_u32 v[4:5], s[10:11], s6, v8, v[4:5]
	v_lshlrev_b32_e32 v6, 3, v6
	v_lshl_or_b32 v6, v7, 6, v6
	v_add_u32_e32 v15, 0x800, v6
	v_mad_u64_u32 v[5:6], s[10:11], s7, v8, v[5:6]
	s_load_dwordx2 s[18:19], s[18:19], 0x0
	v_mov_b32_e32 v6, 0x800
	s_load_dwordx2 s[0:1], s[0:1], 0x0
	v_lshlrev_b64 v[4:5], 3, v[4:5]
	v_lshl_add_u32 v17, v1, 6, v6
	s_waitcnt lgkmcnt(0)
	v_mov_b32_e32 v6, s19
	v_add_co_u32_e32 v4, vcc, s18, v4
	v_lshlrev_b64 v[2:3], 3, v[2:3]
	v_addc_co_u32_e32 v5, vcc, v6, v5, vcc
	v_mov_b32_e32 v7, s1
	v_add_co_u32_e32 v6, vcc, s0, v2
	s_lshl_b64 s[6:7], s[6:7], 6
	v_addc_co_u32_e32 v7, vcc, v7, v3, vcc
	s_lshl_b64 s[2:3], s[2:3], 6
	v_mov_b32_e32 v2, 0
	v_mov_b32_e32 v8, 0
	;; [unrolled: 1-line block ×4, first 2 shown]
	v_lshlrev_b32_e32 v16, 3, v0
	v_mov_b32_e32 v3, 0
	s_mov_b64 s[10:11], 0
	v_mov_b32_e32 v18, s7
	v_mov_b32_e32 v9, 0
	;; [unrolled: 1-line block ×5, first 2 shown]
.LBB1485_2:                             ; =>This Inner Loop Header: Depth=1
	flat_load_dwordx2 v[20:21], v[4:5]
	s_add_u32 s10, s10, 8
	v_add_co_u32_e32 v4, vcc, s6, v4
	s_addc_u32 s11, s11, 0
	v_addc_co_u32_e32 v5, vcc, v5, v18, vcc
	s_waitcnt vmcnt(0) lgkmcnt(0)
	ds_write_b64 v14, v[20:21]
	flat_load_dwordx2 v[20:21], v[6:7]
	v_add_co_u32_e64 v6, s[0:1], s2, v6
	v_addc_co_u32_e64 v7, s[0:1], v7, v19, s[0:1]
	s_waitcnt vmcnt(0) lgkmcnt(0)
	ds_write_b64 v15, v[20:21]
	s_waitcnt lgkmcnt(0)
	s_barrier
	ds_read2_b64 v[20:23], v16 offset1:16
	ds_read_b128 v[24:27], v17
	ds_read_b128 v[28:31], v17 offset:16
	s_waitcnt lgkmcnt(1)
	v_fma_f64 v[36:37], v[20:21], v[24:25], v[12:13]
	v_fma_f64 v[24:25], v[22:23], v[24:25], v[10:11]
	ds_read_b128 v[10:13], v17 offset:1024
	ds_read_b128 v[32:35], v17 offset:1040
	s_waitcnt lgkmcnt(1)
	v_fma_f64 v[20:21], v[20:21], v[10:11], v[8:9]
	v_fma_f64 v[2:3], v[22:23], v[10:11], v[2:3]
	ds_read2_b64 v[8:11], v16 offset0:32 offset1:48
	s_waitcnt lgkmcnt(0)
	v_fma_f64 v[22:23], v[8:9], v[26:27], v[36:37]
	v_fma_f64 v[24:25], v[10:11], v[26:27], v[24:25]
	v_fma_f64 v[20:21], v[8:9], v[12:13], v[20:21]
	v_fma_f64 v[2:3], v[10:11], v[12:13], v[2:3]
	ds_read2_b64 v[8:11], v16 offset0:64 offset1:80
	s_waitcnt lgkmcnt(0)
	v_fma_f64 v[12:13], v[8:9], v[28:29], v[22:23]
	v_fma_f64 v[22:23], v[10:11], v[28:29], v[24:25]
	v_fma_f64 v[24:25], v[8:9], v[32:33], v[20:21]
	v_fma_f64 v[2:3], v[10:11], v[32:33], v[2:3]
	ds_read2_b64 v[8:11], v16 offset0:96 offset1:112
	s_waitcnt lgkmcnt(0)
	v_fma_f64 v[12:13], v[8:9], v[30:31], v[12:13]
	v_fma_f64 v[28:29], v[10:11], v[30:31], v[22:23]
	ds_read2_b64 v[20:23], v16 offset0:128 offset1:144
	v_fma_f64 v[36:37], v[8:9], v[34:35], v[24:25]
	v_fma_f64 v[2:3], v[10:11], v[34:35], v[2:3]
	ds_read_b128 v[8:11], v17 offset:32
	ds_read_b128 v[24:27], v17 offset:48
	s_waitcnt lgkmcnt(1)
	v_fma_f64 v[12:13], v[20:21], v[8:9], v[12:13]
	v_fma_f64 v[8:9], v[22:23], v[8:9], v[28:29]
	ds_read_b128 v[28:31], v17 offset:1056
	ds_read_b128 v[32:35], v17 offset:1072
	s_waitcnt lgkmcnt(1)
	v_fma_f64 v[36:37], v[20:21], v[28:29], v[36:37]
	v_fma_f64 v[2:3], v[22:23], v[28:29], v[2:3]
	ds_read2_b64 v[20:23], v16 offset0:160 offset1:176
	s_waitcnt lgkmcnt(0)
	v_fma_f64 v[12:13], v[20:21], v[10:11], v[12:13]
	v_fma_f64 v[28:29], v[22:23], v[10:11], v[8:9]
	;; [unrolled: 1-line block ×4, first 2 shown]
	v_mov_b32_e32 v8, s10
	v_mov_b32_e32 v9, s11
	v_cmp_le_u64_e32 vcc, s[16:17], v[8:9]
	ds_read2_b64 v[8:11], v16 offset0:192 offset1:208
	s_and_b64 vcc, exec, vcc
	s_waitcnt lgkmcnt(0)
	v_fma_f64 v[12:13], v[8:9], v[24:25], v[12:13]
	v_fma_f64 v[24:25], v[10:11], v[24:25], v[28:29]
	;; [unrolled: 1-line block ×4, first 2 shown]
	ds_read2_b64 v[20:23], v16 offset0:224 offset1:240
	s_waitcnt lgkmcnt(0)
	s_barrier
	v_fma_f64 v[12:13], v[20:21], v[26:27], v[12:13]
	v_fma_f64 v[10:11], v[22:23], v[26:27], v[24:25]
	;; [unrolled: 1-line block ×4, first 2 shown]
	s_cbranch_vccz .LBB1485_2
	s_branch .LBB1485_4
.LBB1485_3:
	v_mov_b32_e32 v12, 0
	v_mov_b32_e32 v10, 0
	;; [unrolled: 1-line block ×8, first 2 shown]
.LBB1485_4:
	v_add_u32_e32 v6, s13, v1
	v_ashrrev_i32_e32 v1, 31, v6
	v_mul_lo_u32 v1, s14, v1
	v_mul_lo_u32 v7, s15, v6
	v_mad_u64_u32 v[4:5], s[0:1], s14, v6, 0
	s_load_dword s4, s[4:5], 0x0
	v_add_u32_e32 v0, s12, v0
	v_add3_u32 v5, v5, v1, v7
	v_lshlrev_b64 v[4:5], 3, v[4:5]
	s_waitcnt lgkmcnt(0)
	v_mov_b32_e32 v1, s9
	v_add_co_u32_e32 v7, vcc, s8, v4
	v_addc_co_u32_e32 v14, vcc, v1, v5, vcc
	v_cmp_le_i32_e64 s[0:1], v6, v0
	v_cmp_gt_i32_e32 vcc, s4, v0
	s_and_b64 s[0:1], s[0:1], vcc
	s_and_saveexec_b64 s[2:3], s[0:1]
	s_cbranch_execz .LBB1485_6
; %bb.5:
	v_ashrrev_i32_e32 v1, 31, v0
	v_lshlrev_b64 v[4:5], 3, v[0:1]
	v_xor_b32_e32 v13, 0x80000000, v13
	v_add_co_u32_e64 v4, s[0:1], v7, v4
	v_addc_co_u32_e64 v5, s[0:1], v14, v5, s[0:1]
	flat_store_dwordx2 v[4:5], v[12:13]
.LBB1485_6:
	s_or_b64 exec, exec, s[2:3]
	v_add_u32_e32 v4, 16, v0
	v_cmp_le_i32_e64 s[2:3], v6, v4
	v_cmp_gt_i32_e64 s[0:1], s4, v4
	s_and_b64 s[2:3], s[2:3], s[0:1]
	s_and_saveexec_b64 s[4:5], s[2:3]
	s_cbranch_execz .LBB1485_8
; %bb.7:
	v_ashrrev_i32_e32 v5, 31, v4
	v_lshlrev_b64 v[12:13], 3, v[4:5]
	v_xor_b32_e32 v11, 0x80000000, v11
	v_add_co_u32_e64 v12, s[2:3], v7, v12
	v_addc_co_u32_e64 v13, s[2:3], v14, v13, s[2:3]
	flat_store_dwordx2 v[12:13], v[10:11]
.LBB1485_8:
	s_or_b64 exec, exec, s[4:5]
	v_add_u32_e32 v5, 16, v6
	v_ashrrev_i32_e32 v1, 31, v5
	v_mul_lo_u32 v10, s15, v5
	v_mad_u64_u32 v[6:7], s[2:3], s14, v5, 0
	v_mul_lo_u32 v1, s14, v1
	v_add3_u32 v7, v7, v1, v10
	v_lshlrev_b64 v[6:7], 3, v[6:7]
	v_mov_b32_e32 v1, s9
	v_add_co_u32_e64 v6, s[2:3], s8, v6
	v_addc_co_u32_e64 v7, s[2:3], v1, v7, s[2:3]
	v_cmp_le_i32_e64 s[2:3], v5, v0
	s_and_b64 s[4:5], s[2:3], vcc
	s_and_saveexec_b64 s[2:3], s[4:5]
	s_cbranch_execz .LBB1485_10
; %bb.9:
	v_ashrrev_i32_e32 v1, 31, v0
	v_lshlrev_b64 v[0:1], 3, v[0:1]
	v_xor_b32_e32 v9, 0x80000000, v9
	v_add_co_u32_e32 v0, vcc, v6, v0
	v_addc_co_u32_e32 v1, vcc, v7, v1, vcc
	flat_store_dwordx2 v[0:1], v[8:9]
.LBB1485_10:
	s_or_b64 exec, exec, s[2:3]
	v_cmp_le_i32_e32 vcc, v5, v4
	s_and_b64 s[0:1], vcc, s[0:1]
	s_and_saveexec_b64 s[2:3], s[0:1]
	s_cbranch_execz .LBB1485_12
; %bb.11:
	v_ashrrev_i32_e32 v5, 31, v4
	v_lshlrev_b64 v[0:1], 3, v[4:5]
	v_xor_b32_e32 v3, 0x80000000, v3
	v_add_co_u32_e32 v0, vcc, v6, v0
	v_addc_co_u32_e32 v1, vcc, v7, v1, vcc
	flat_store_dwordx2 v[0:1], v[2:3]
.LBB1485_12:
	s_endpgm
	.section	.rodata,"a",@progbits
	.p2align	6, 0x0
	.amdhsa_kernel _ZL37rocblas_syrkx_herkx_restricted_kernelIldLi16ELi32ELi8ELin1ELi0ELb0ELc78ELc76EKPKdKPdEviT_PT9_S5_lS7_S5_lPT10_S5_li
		.amdhsa_group_segment_fixed_size 4096
		.amdhsa_private_segment_fixed_size 0
		.amdhsa_kernarg_size 92
		.amdhsa_user_sgpr_count 6
		.amdhsa_user_sgpr_private_segment_buffer 1
		.amdhsa_user_sgpr_dispatch_ptr 0
		.amdhsa_user_sgpr_queue_ptr 0
		.amdhsa_user_sgpr_kernarg_segment_ptr 1
		.amdhsa_user_sgpr_dispatch_id 0
		.amdhsa_user_sgpr_flat_scratch_init 0
		.amdhsa_user_sgpr_private_segment_size 0
		.amdhsa_uses_dynamic_stack 0
		.amdhsa_system_sgpr_private_segment_wavefront_offset 0
		.amdhsa_system_sgpr_workgroup_id_x 1
		.amdhsa_system_sgpr_workgroup_id_y 1
		.amdhsa_system_sgpr_workgroup_id_z 1
		.amdhsa_system_sgpr_workgroup_info 0
		.amdhsa_system_vgpr_workitem_id 1
		.amdhsa_next_free_vgpr 38
		.amdhsa_next_free_sgpr 22
		.amdhsa_reserve_vcc 1
		.amdhsa_reserve_flat_scratch 0
		.amdhsa_float_round_mode_32 0
		.amdhsa_float_round_mode_16_64 0
		.amdhsa_float_denorm_mode_32 3
		.amdhsa_float_denorm_mode_16_64 3
		.amdhsa_dx10_clamp 1
		.amdhsa_ieee_mode 1
		.amdhsa_fp16_overflow 0
		.amdhsa_exception_fp_ieee_invalid_op 0
		.amdhsa_exception_fp_denorm_src 0
		.amdhsa_exception_fp_ieee_div_zero 0
		.amdhsa_exception_fp_ieee_overflow 0
		.amdhsa_exception_fp_ieee_underflow 0
		.amdhsa_exception_fp_ieee_inexact 0
		.amdhsa_exception_int_div_zero 0
	.end_amdhsa_kernel
	.section	.text._ZL37rocblas_syrkx_herkx_restricted_kernelIldLi16ELi32ELi8ELin1ELi0ELb0ELc78ELc76EKPKdKPdEviT_PT9_S5_lS7_S5_lPT10_S5_li,"axG",@progbits,_ZL37rocblas_syrkx_herkx_restricted_kernelIldLi16ELi32ELi8ELin1ELi0ELb0ELc78ELc76EKPKdKPdEviT_PT9_S5_lS7_S5_lPT10_S5_li,comdat
.Lfunc_end1485:
	.size	_ZL37rocblas_syrkx_herkx_restricted_kernelIldLi16ELi32ELi8ELin1ELi0ELb0ELc78ELc76EKPKdKPdEviT_PT9_S5_lS7_S5_lPT10_S5_li, .Lfunc_end1485-_ZL37rocblas_syrkx_herkx_restricted_kernelIldLi16ELi32ELi8ELin1ELi0ELb0ELc78ELc76EKPKdKPdEviT_PT9_S5_lS7_S5_lPT10_S5_li
                                        ; -- End function
	.set _ZL37rocblas_syrkx_herkx_restricted_kernelIldLi16ELi32ELi8ELin1ELi0ELb0ELc78ELc76EKPKdKPdEviT_PT9_S5_lS7_S5_lPT10_S5_li.num_vgpr, 38
	.set _ZL37rocblas_syrkx_herkx_restricted_kernelIldLi16ELi32ELi8ELin1ELi0ELb0ELc78ELc76EKPKdKPdEviT_PT9_S5_lS7_S5_lPT10_S5_li.num_agpr, 0
	.set _ZL37rocblas_syrkx_herkx_restricted_kernelIldLi16ELi32ELi8ELin1ELi0ELb0ELc78ELc76EKPKdKPdEviT_PT9_S5_lS7_S5_lPT10_S5_li.numbered_sgpr, 22
	.set _ZL37rocblas_syrkx_herkx_restricted_kernelIldLi16ELi32ELi8ELin1ELi0ELb0ELc78ELc76EKPKdKPdEviT_PT9_S5_lS7_S5_lPT10_S5_li.num_named_barrier, 0
	.set _ZL37rocblas_syrkx_herkx_restricted_kernelIldLi16ELi32ELi8ELin1ELi0ELb0ELc78ELc76EKPKdKPdEviT_PT9_S5_lS7_S5_lPT10_S5_li.private_seg_size, 0
	.set _ZL37rocblas_syrkx_herkx_restricted_kernelIldLi16ELi32ELi8ELin1ELi0ELb0ELc78ELc76EKPKdKPdEviT_PT9_S5_lS7_S5_lPT10_S5_li.uses_vcc, 1
	.set _ZL37rocblas_syrkx_herkx_restricted_kernelIldLi16ELi32ELi8ELin1ELi0ELb0ELc78ELc76EKPKdKPdEviT_PT9_S5_lS7_S5_lPT10_S5_li.uses_flat_scratch, 0
	.set _ZL37rocblas_syrkx_herkx_restricted_kernelIldLi16ELi32ELi8ELin1ELi0ELb0ELc78ELc76EKPKdKPdEviT_PT9_S5_lS7_S5_lPT10_S5_li.has_dyn_sized_stack, 0
	.set _ZL37rocblas_syrkx_herkx_restricted_kernelIldLi16ELi32ELi8ELin1ELi0ELb0ELc78ELc76EKPKdKPdEviT_PT9_S5_lS7_S5_lPT10_S5_li.has_recursion, 0
	.set _ZL37rocblas_syrkx_herkx_restricted_kernelIldLi16ELi32ELi8ELin1ELi0ELb0ELc78ELc76EKPKdKPdEviT_PT9_S5_lS7_S5_lPT10_S5_li.has_indirect_call, 0
	.section	.AMDGPU.csdata,"",@progbits
; Kernel info:
; codeLenInByte = 1316
; TotalNumSgprs: 26
; NumVgprs: 38
; ScratchSize: 0
; MemoryBound: 0
; FloatMode: 240
; IeeeMode: 1
; LDSByteSize: 4096 bytes/workgroup (compile time only)
; SGPRBlocks: 3
; VGPRBlocks: 9
; NumSGPRsForWavesPerEU: 26
; NumVGPRsForWavesPerEU: 38
; Occupancy: 6
; WaveLimiterHint : 1
; COMPUTE_PGM_RSRC2:SCRATCH_EN: 0
; COMPUTE_PGM_RSRC2:USER_SGPR: 6
; COMPUTE_PGM_RSRC2:TRAP_HANDLER: 0
; COMPUTE_PGM_RSRC2:TGID_X_EN: 1
; COMPUTE_PGM_RSRC2:TGID_Y_EN: 1
; COMPUTE_PGM_RSRC2:TGID_Z_EN: 1
; COMPUTE_PGM_RSRC2:TIDIG_COMP_CNT: 1
	.section	.text._ZL37rocblas_syrkx_herkx_restricted_kernelIldLi16ELi32ELi8ELin1ELi0ELb0ELc84ELc85EKPKdKPdEviT_PT9_S5_lS7_S5_lPT10_S5_li,"axG",@progbits,_ZL37rocblas_syrkx_herkx_restricted_kernelIldLi16ELi32ELi8ELin1ELi0ELb0ELc84ELc85EKPKdKPdEviT_PT9_S5_lS7_S5_lPT10_S5_li,comdat
	.globl	_ZL37rocblas_syrkx_herkx_restricted_kernelIldLi16ELi32ELi8ELin1ELi0ELb0ELc84ELc85EKPKdKPdEviT_PT9_S5_lS7_S5_lPT10_S5_li ; -- Begin function _ZL37rocblas_syrkx_herkx_restricted_kernelIldLi16ELi32ELi8ELin1ELi0ELb0ELc84ELc85EKPKdKPdEviT_PT9_S5_lS7_S5_lPT10_S5_li
	.p2align	8
	.type	_ZL37rocblas_syrkx_herkx_restricted_kernelIldLi16ELi32ELi8ELin1ELi0ELb0ELc84ELc85EKPKdKPdEviT_PT9_S5_lS7_S5_lPT10_S5_li,@function
_ZL37rocblas_syrkx_herkx_restricted_kernelIldLi16ELi32ELi8ELin1ELi0ELb0ELc84ELc85EKPKdKPdEviT_PT9_S5_lS7_S5_lPT10_S5_li: ; @_ZL37rocblas_syrkx_herkx_restricted_kernelIldLi16ELi32ELi8ELin1ELi0ELb0ELc84ELc85EKPKdKPdEviT_PT9_S5_lS7_S5_lPT10_S5_li
; %bb.0:
	s_load_dwordx4 s[0:3], s[4:5], 0x40
	s_load_dwordx4 s[12:15], s[4:5], 0x8
	s_mov_b32 s9, 0
	s_lshl_b64 s[10:11], s[8:9], 3
	s_waitcnt lgkmcnt(0)
	s_add_u32 s0, s0, s10
	s_addc_u32 s1, s1, s11
	s_load_dwordx2 s[8:9], s[0:1], 0x0
	v_cmp_lt_i64_e64 s[0:1], s[12:13], 1
	s_lshl_b32 s16, s6, 5
	s_lshl_b32 s17, s7, 5
	s_and_b64 vcc, exec, s[0:1]
	s_cbranch_vccnz .LBB1486_3
; %bb.1:
	s_load_dwordx2 s[0:1], s[4:5], 0x18
	s_load_dwordx4 s[20:23], s[4:5], 0x28
	v_lshl_add_u32 v4, v1, 4, v0
	v_lshrrev_b32_e32 v8, 3, v4
	v_add_u32_e32 v5, s17, v8
	s_add_u32 s6, s14, s10
	v_ashrrev_i32_e32 v6, 31, v5
	v_and_b32_e32 v2, 7, v0
	v_mov_b32_e32 v3, 0
	s_addc_u32 s7, s15, s11
	s_waitcnt lgkmcnt(0)
	v_mul_lo_u32 v9, s22, v6
	v_mul_lo_u32 v10, s23, v5
	v_mad_u64_u32 v[6:7], s[14:15], s22, v5, v[2:3]
	v_lshlrev_b32_e32 v2, 3, v2
	v_lshl_or_b32 v2, v8, 6, v2
	v_add3_u32 v7, v10, v7, v9
	v_and_b32_e32 v9, 31, v4
	v_add_u32_e32 v8, s16, v9
	v_lshrrev_b32_e32 v4, 5, v4
	v_mov_b32_e32 v5, v3
	v_lshlrev_b32_e32 v3, 3, v9
	v_add_u32_e32 v15, 0x800, v2
	v_ashrrev_i32_e32 v2, 31, v8
	v_lshl_or_b32 v14, v4, 8, v3
	v_mul_lo_u32 v9, s0, v2
	v_mad_u64_u32 v[2:3], s[14:15], s0, v8, v[4:5]
	v_mul_lo_u32 v4, s1, v8
	s_load_dwordx2 s[6:7], s[6:7], 0x0
	s_add_u32 s10, s20, s10
	s_addc_u32 s11, s21, s11
	v_add3_u32 v3, v4, v3, v9
	s_load_dwordx2 s[10:11], s[10:11], 0x0
	v_lshlrev_b64 v[2:3], 3, v[2:3]
	v_mov_b32_e32 v5, 0x800
	v_lshl_add_u32 v17, v1, 6, v5
	s_waitcnt lgkmcnt(0)
	v_mov_b32_e32 v5, s7
	v_add_co_u32_e32 v4, vcc, s6, v2
	v_addc_co_u32_e32 v5, vcc, v5, v3, vcc
	v_lshlrev_b64 v[2:3], 3, v[6:7]
	v_mov_b32_e32 v7, s11
	v_add_co_u32_e32 v6, vcc, s10, v2
	v_addc_co_u32_e32 v7, vcc, v7, v3, vcc
	v_mov_b32_e32 v2, 0
	v_mov_b32_e32 v8, 0
	v_mov_b32_e32 v10, 0
	v_mov_b32_e32 v12, 0
	v_lshlrev_b32_e32 v16, 3, v0
	v_mov_b32_e32 v3, 0
	v_mov_b32_e32 v9, 0
	;; [unrolled: 1-line block ×4, first 2 shown]
	s_mov_b64 s[6:7], 0
.LBB1486_2:                             ; =>This Inner Loop Header: Depth=1
	flat_load_dwordx2 v[18:19], v[4:5]
	s_add_u32 s6, s6, 8
	s_addc_u32 s7, s7, 0
	v_add_co_u32_e64 v4, s[0:1], 64, v4
	v_addc_co_u32_e64 v5, s[0:1], 0, v5, s[0:1]
	s_waitcnt vmcnt(0) lgkmcnt(0)
	ds_write_b64 v14, v[18:19]
	flat_load_dwordx2 v[18:19], v[6:7]
	v_add_co_u32_e64 v6, s[0:1], 64, v6
	v_addc_co_u32_e64 v7, s[0:1], 0, v7, s[0:1]
	s_waitcnt vmcnt(0) lgkmcnt(0)
	ds_write_b64 v15, v[18:19]
	s_waitcnt lgkmcnt(0)
	s_barrier
	ds_read2_b64 v[18:21], v16 offset1:16
	ds_read_b128 v[22:25], v17
	ds_read_b128 v[26:29], v17 offset:1024
	ds_read_b128 v[30:33], v17 offset:16
	s_waitcnt lgkmcnt(2)
	v_fma_f64 v[34:35], v[18:19], v[22:23], v[12:13]
	v_fma_f64 v[22:23], v[20:21], v[22:23], v[10:11]
	s_waitcnt lgkmcnt(1)
	v_fma_f64 v[8:9], v[18:19], v[26:27], v[8:9]
	v_fma_f64 v[2:3], v[20:21], v[26:27], v[2:3]
	ds_read2_b64 v[18:21], v16 offset0:32 offset1:48
	ds_read_b128 v[10:13], v17 offset:1040
	s_waitcnt lgkmcnt(1)
	v_fma_f64 v[26:27], v[18:19], v[24:25], v[34:35]
	v_fma_f64 v[34:35], v[20:21], v[24:25], v[22:23]
	;; [unrolled: 1-line block ×4, first 2 shown]
	ds_read2_b64 v[18:21], v16 offset0:64 offset1:80
	ds_read2_b64 v[22:25], v16 offset0:96 offset1:112
	s_waitcnt lgkmcnt(1)
	v_fma_f64 v[26:27], v[18:19], v[30:31], v[26:27]
	v_fma_f64 v[28:29], v[20:21], v[30:31], v[34:35]
	;; [unrolled: 1-line block ×4, first 2 shown]
	ds_read2_b64 v[8:11], v16 offset0:128 offset1:144
	ds_read_b128 v[18:21], v17 offset:32
	s_waitcnt lgkmcnt(2)
	v_fma_f64 v[34:35], v[22:23], v[32:33], v[26:27]
	v_fma_f64 v[32:33], v[24:25], v[32:33], v[28:29]
	;; [unrolled: 1-line block ×4, first 2 shown]
	ds_read_b128 v[22:25], v17 offset:1056
	ds_read_b128 v[26:29], v17 offset:48
	s_waitcnt lgkmcnt(2)
	v_fma_f64 v[12:13], v[8:9], v[18:19], v[34:35]
	v_fma_f64 v[18:19], v[10:11], v[18:19], v[32:33]
	s_waitcnt lgkmcnt(1)
	v_fma_f64 v[34:35], v[8:9], v[22:23], v[36:37]
	v_fma_f64 v[2:3], v[10:11], v[22:23], v[2:3]
	ds_read2_b64 v[8:11], v16 offset0:160 offset1:176
	ds_read_b128 v[30:33], v17 offset:1072
	s_waitcnt lgkmcnt(1)
	v_fma_f64 v[12:13], v[8:9], v[20:21], v[12:13]
	v_fma_f64 v[18:19], v[10:11], v[20:21], v[18:19]
	v_mov_b32_e32 v21, s7
	v_mov_b32_e32 v20, s6
	v_cmp_le_u64_e32 vcc, s[12:13], v[20:21]
	v_fma_f64 v[20:21], v[8:9], v[24:25], v[34:35]
	v_fma_f64 v[2:3], v[10:11], v[24:25], v[2:3]
	ds_read2_b64 v[8:11], v16 offset0:192 offset1:208
	s_and_b64 vcc, exec, vcc
	s_waitcnt lgkmcnt(0)
	v_fma_f64 v[12:13], v[8:9], v[26:27], v[12:13]
	v_fma_f64 v[22:23], v[10:11], v[26:27], v[18:19]
	;; [unrolled: 1-line block ×4, first 2 shown]
	ds_read2_b64 v[18:21], v16 offset0:224 offset1:240
	s_waitcnt lgkmcnt(0)
	s_barrier
	v_fma_f64 v[12:13], v[18:19], v[28:29], v[12:13]
	v_fma_f64 v[10:11], v[20:21], v[28:29], v[22:23]
	;; [unrolled: 1-line block ×4, first 2 shown]
	s_cbranch_vccz .LBB1486_2
	s_branch .LBB1486_4
.LBB1486_3:
	v_mov_b32_e32 v12, 0
	v_mov_b32_e32 v10, 0
	v_mov_b32_e32 v8, 0
	v_mov_b32_e32 v2, 0
	v_mov_b32_e32 v13, 0
	v_mov_b32_e32 v11, 0
	v_mov_b32_e32 v9, 0
	v_mov_b32_e32 v3, 0
.LBB1486_4:
	v_add_u32_e32 v6, s17, v1
	v_ashrrev_i32_e32 v1, 31, v6
	v_mul_lo_u32 v1, s2, v1
	v_mul_lo_u32 v7, s3, v6
	v_mad_u64_u32 v[4:5], s[0:1], s2, v6, 0
	s_load_dword s6, s[4:5], 0x0
	v_add_u32_e32 v0, s16, v0
	v_add3_u32 v5, v5, v1, v7
	v_lshlrev_b64 v[4:5], 3, v[4:5]
	s_waitcnt lgkmcnt(0)
	v_mov_b32_e32 v1, s9
	v_add_co_u32_e64 v7, s[0:1], s8, v4
	v_addc_co_u32_e64 v14, s[0:1], v1, v5, s[0:1]
	v_cmp_gt_i32_e32 vcc, s6, v6
	v_cmp_le_i32_e64 s[0:1], v0, v6
	s_and_b64 s[0:1], vcc, s[0:1]
	s_and_saveexec_b64 s[4:5], s[0:1]
	s_cbranch_execz .LBB1486_6
; %bb.5:
	v_ashrrev_i32_e32 v1, 31, v0
	v_lshlrev_b64 v[4:5], 3, v[0:1]
	v_xor_b32_e32 v13, 0x80000000, v13
	v_add_co_u32_e64 v4, s[0:1], v7, v4
	v_addc_co_u32_e64 v5, s[0:1], v14, v5, s[0:1]
	flat_store_dwordx2 v[4:5], v[12:13]
.LBB1486_6:
	s_or_b64 exec, exec, s[4:5]
	v_add_u32_e32 v4, 16, v0
	v_cmp_le_i32_e64 s[0:1], v4, v6
	s_and_b64 s[4:5], vcc, s[0:1]
	s_and_saveexec_b64 s[0:1], s[4:5]
	s_cbranch_execz .LBB1486_8
; %bb.7:
	v_ashrrev_i32_e32 v5, 31, v4
	v_lshlrev_b64 v[12:13], 3, v[4:5]
	v_xor_b32_e32 v11, 0x80000000, v11
	v_add_co_u32_e32 v12, vcc, v7, v12
	v_addc_co_u32_e32 v13, vcc, v14, v13, vcc
	flat_store_dwordx2 v[12:13], v[10:11]
.LBB1486_8:
	s_or_b64 exec, exec, s[0:1]
	v_add_u32_e32 v5, 16, v6
	v_ashrrev_i32_e32 v1, 31, v5
	v_mul_lo_u32 v1, s2, v1
	v_mul_lo_u32 v10, s3, v5
	v_mad_u64_u32 v[6:7], s[0:1], s2, v5, 0
	v_cmp_gt_i32_e32 vcc, s6, v5
	v_add3_u32 v7, v7, v1, v10
	v_lshlrev_b64 v[6:7], 3, v[6:7]
	v_mov_b32_e32 v1, s9
	v_add_co_u32_e64 v6, s[0:1], s8, v6
	v_addc_co_u32_e64 v7, s[0:1], v1, v7, s[0:1]
	v_cmp_le_i32_e64 s[0:1], v0, v5
	s_and_b64 s[0:1], vcc, s[0:1]
	s_and_saveexec_b64 s[2:3], s[0:1]
	s_cbranch_execz .LBB1486_10
; %bb.9:
	v_ashrrev_i32_e32 v1, 31, v0
	v_lshlrev_b64 v[0:1], 3, v[0:1]
	v_xor_b32_e32 v9, 0x80000000, v9
	v_add_co_u32_e64 v0, s[0:1], v6, v0
	v_addc_co_u32_e64 v1, s[0:1], v7, v1, s[0:1]
	flat_store_dwordx2 v[0:1], v[8:9]
.LBB1486_10:
	s_or_b64 exec, exec, s[2:3]
	v_cmp_le_i32_e64 s[0:1], v4, v5
	s_and_b64 s[0:1], vcc, s[0:1]
	s_and_saveexec_b64 s[2:3], s[0:1]
	s_cbranch_execz .LBB1486_12
; %bb.11:
	v_ashrrev_i32_e32 v5, 31, v4
	v_lshlrev_b64 v[0:1], 3, v[4:5]
	v_xor_b32_e32 v3, 0x80000000, v3
	v_add_co_u32_e32 v0, vcc, v6, v0
	v_addc_co_u32_e32 v1, vcc, v7, v1, vcc
	flat_store_dwordx2 v[0:1], v[2:3]
.LBB1486_12:
	s_endpgm
	.section	.rodata,"a",@progbits
	.p2align	6, 0x0
	.amdhsa_kernel _ZL37rocblas_syrkx_herkx_restricted_kernelIldLi16ELi32ELi8ELin1ELi0ELb0ELc84ELc85EKPKdKPdEviT_PT9_S5_lS7_S5_lPT10_S5_li
		.amdhsa_group_segment_fixed_size 4096
		.amdhsa_private_segment_fixed_size 0
		.amdhsa_kernarg_size 92
		.amdhsa_user_sgpr_count 6
		.amdhsa_user_sgpr_private_segment_buffer 1
		.amdhsa_user_sgpr_dispatch_ptr 0
		.amdhsa_user_sgpr_queue_ptr 0
		.amdhsa_user_sgpr_kernarg_segment_ptr 1
		.amdhsa_user_sgpr_dispatch_id 0
		.amdhsa_user_sgpr_flat_scratch_init 0
		.amdhsa_user_sgpr_private_segment_size 0
		.amdhsa_uses_dynamic_stack 0
		.amdhsa_system_sgpr_private_segment_wavefront_offset 0
		.amdhsa_system_sgpr_workgroup_id_x 1
		.amdhsa_system_sgpr_workgroup_id_y 1
		.amdhsa_system_sgpr_workgroup_id_z 1
		.amdhsa_system_sgpr_workgroup_info 0
		.amdhsa_system_vgpr_workitem_id 1
		.amdhsa_next_free_vgpr 38
		.amdhsa_next_free_sgpr 24
		.amdhsa_reserve_vcc 1
		.amdhsa_reserve_flat_scratch 0
		.amdhsa_float_round_mode_32 0
		.amdhsa_float_round_mode_16_64 0
		.amdhsa_float_denorm_mode_32 3
		.amdhsa_float_denorm_mode_16_64 3
		.amdhsa_dx10_clamp 1
		.amdhsa_ieee_mode 1
		.amdhsa_fp16_overflow 0
		.amdhsa_exception_fp_ieee_invalid_op 0
		.amdhsa_exception_fp_denorm_src 0
		.amdhsa_exception_fp_ieee_div_zero 0
		.amdhsa_exception_fp_ieee_overflow 0
		.amdhsa_exception_fp_ieee_underflow 0
		.amdhsa_exception_fp_ieee_inexact 0
		.amdhsa_exception_int_div_zero 0
	.end_amdhsa_kernel
	.section	.text._ZL37rocblas_syrkx_herkx_restricted_kernelIldLi16ELi32ELi8ELin1ELi0ELb0ELc84ELc85EKPKdKPdEviT_PT9_S5_lS7_S5_lPT10_S5_li,"axG",@progbits,_ZL37rocblas_syrkx_herkx_restricted_kernelIldLi16ELi32ELi8ELin1ELi0ELb0ELc84ELc85EKPKdKPdEviT_PT9_S5_lS7_S5_lPT10_S5_li,comdat
.Lfunc_end1486:
	.size	_ZL37rocblas_syrkx_herkx_restricted_kernelIldLi16ELi32ELi8ELin1ELi0ELb0ELc84ELc85EKPKdKPdEviT_PT9_S5_lS7_S5_lPT10_S5_li, .Lfunc_end1486-_ZL37rocblas_syrkx_herkx_restricted_kernelIldLi16ELi32ELi8ELin1ELi0ELb0ELc84ELc85EKPKdKPdEviT_PT9_S5_lS7_S5_lPT10_S5_li
                                        ; -- End function
	.set _ZL37rocblas_syrkx_herkx_restricted_kernelIldLi16ELi32ELi8ELin1ELi0ELb0ELc84ELc85EKPKdKPdEviT_PT9_S5_lS7_S5_lPT10_S5_li.num_vgpr, 38
	.set _ZL37rocblas_syrkx_herkx_restricted_kernelIldLi16ELi32ELi8ELin1ELi0ELb0ELc84ELc85EKPKdKPdEviT_PT9_S5_lS7_S5_lPT10_S5_li.num_agpr, 0
	.set _ZL37rocblas_syrkx_herkx_restricted_kernelIldLi16ELi32ELi8ELin1ELi0ELb0ELc84ELc85EKPKdKPdEviT_PT9_S5_lS7_S5_lPT10_S5_li.numbered_sgpr, 24
	.set _ZL37rocblas_syrkx_herkx_restricted_kernelIldLi16ELi32ELi8ELin1ELi0ELb0ELc84ELc85EKPKdKPdEviT_PT9_S5_lS7_S5_lPT10_S5_li.num_named_barrier, 0
	.set _ZL37rocblas_syrkx_herkx_restricted_kernelIldLi16ELi32ELi8ELin1ELi0ELb0ELc84ELc85EKPKdKPdEviT_PT9_S5_lS7_S5_lPT10_S5_li.private_seg_size, 0
	.set _ZL37rocblas_syrkx_herkx_restricted_kernelIldLi16ELi32ELi8ELin1ELi0ELb0ELc84ELc85EKPKdKPdEviT_PT9_S5_lS7_S5_lPT10_S5_li.uses_vcc, 1
	.set _ZL37rocblas_syrkx_herkx_restricted_kernelIldLi16ELi32ELi8ELin1ELi0ELb0ELc84ELc85EKPKdKPdEviT_PT9_S5_lS7_S5_lPT10_S5_li.uses_flat_scratch, 0
	.set _ZL37rocblas_syrkx_herkx_restricted_kernelIldLi16ELi32ELi8ELin1ELi0ELb0ELc84ELc85EKPKdKPdEviT_PT9_S5_lS7_S5_lPT10_S5_li.has_dyn_sized_stack, 0
	.set _ZL37rocblas_syrkx_herkx_restricted_kernelIldLi16ELi32ELi8ELin1ELi0ELb0ELc84ELc85EKPKdKPdEviT_PT9_S5_lS7_S5_lPT10_S5_li.has_recursion, 0
	.set _ZL37rocblas_syrkx_herkx_restricted_kernelIldLi16ELi32ELi8ELin1ELi0ELb0ELc84ELc85EKPKdKPdEviT_PT9_S5_lS7_S5_lPT10_S5_li.has_indirect_call, 0
	.section	.AMDGPU.csdata,"",@progbits
; Kernel info:
; codeLenInByte = 1356
; TotalNumSgprs: 28
; NumVgprs: 38
; ScratchSize: 0
; MemoryBound: 0
; FloatMode: 240
; IeeeMode: 1
; LDSByteSize: 4096 bytes/workgroup (compile time only)
; SGPRBlocks: 3
; VGPRBlocks: 9
; NumSGPRsForWavesPerEU: 28
; NumVGPRsForWavesPerEU: 38
; Occupancy: 6
; WaveLimiterHint : 1
; COMPUTE_PGM_RSRC2:SCRATCH_EN: 0
; COMPUTE_PGM_RSRC2:USER_SGPR: 6
; COMPUTE_PGM_RSRC2:TRAP_HANDLER: 0
; COMPUTE_PGM_RSRC2:TGID_X_EN: 1
; COMPUTE_PGM_RSRC2:TGID_Y_EN: 1
; COMPUTE_PGM_RSRC2:TGID_Z_EN: 1
; COMPUTE_PGM_RSRC2:TIDIG_COMP_CNT: 1
	.section	.text._ZL37rocblas_syrkx_herkx_restricted_kernelIldLi16ELi32ELi8ELin1ELi0ELb0ELc67ELc85EKPKdKPdEviT_PT9_S5_lS7_S5_lPT10_S5_li,"axG",@progbits,_ZL37rocblas_syrkx_herkx_restricted_kernelIldLi16ELi32ELi8ELin1ELi0ELb0ELc67ELc85EKPKdKPdEviT_PT9_S5_lS7_S5_lPT10_S5_li,comdat
	.globl	_ZL37rocblas_syrkx_herkx_restricted_kernelIldLi16ELi32ELi8ELin1ELi0ELb0ELc67ELc85EKPKdKPdEviT_PT9_S5_lS7_S5_lPT10_S5_li ; -- Begin function _ZL37rocblas_syrkx_herkx_restricted_kernelIldLi16ELi32ELi8ELin1ELi0ELb0ELc67ELc85EKPKdKPdEviT_PT9_S5_lS7_S5_lPT10_S5_li
	.p2align	8
	.type	_ZL37rocblas_syrkx_herkx_restricted_kernelIldLi16ELi32ELi8ELin1ELi0ELb0ELc67ELc85EKPKdKPdEviT_PT9_S5_lS7_S5_lPT10_S5_li,@function
_ZL37rocblas_syrkx_herkx_restricted_kernelIldLi16ELi32ELi8ELin1ELi0ELb0ELc67ELc85EKPKdKPdEviT_PT9_S5_lS7_S5_lPT10_S5_li: ; @_ZL37rocblas_syrkx_herkx_restricted_kernelIldLi16ELi32ELi8ELin1ELi0ELb0ELc67ELc85EKPKdKPdEviT_PT9_S5_lS7_S5_lPT10_S5_li
; %bb.0:
	s_load_dwordx4 s[0:3], s[4:5], 0x40
	s_load_dwordx4 s[12:15], s[4:5], 0x8
	s_mov_b32 s9, 0
	s_lshl_b64 s[10:11], s[8:9], 3
	s_waitcnt lgkmcnt(0)
	s_add_u32 s0, s0, s10
	s_addc_u32 s1, s1, s11
	s_load_dwordx2 s[8:9], s[0:1], 0x0
	v_cmp_lt_i64_e64 s[0:1], s[12:13], 1
	s_lshl_b32 s16, s6, 5
	s_lshl_b32 s17, s7, 5
	s_and_b64 vcc, exec, s[0:1]
	s_cbranch_vccnz .LBB1487_3
; %bb.1:
	s_load_dwordx2 s[0:1], s[4:5], 0x18
	s_load_dwordx4 s[20:23], s[4:5], 0x28
	v_lshl_add_u32 v4, v1, 4, v0
	v_lshrrev_b32_e32 v8, 3, v4
	v_add_u32_e32 v5, s17, v8
	s_add_u32 s6, s14, s10
	v_ashrrev_i32_e32 v6, 31, v5
	v_and_b32_e32 v2, 7, v0
	v_mov_b32_e32 v3, 0
	s_addc_u32 s7, s15, s11
	s_waitcnt lgkmcnt(0)
	v_mul_lo_u32 v9, s22, v6
	v_mul_lo_u32 v10, s23, v5
	v_mad_u64_u32 v[6:7], s[14:15], s22, v5, v[2:3]
	v_lshlrev_b32_e32 v2, 3, v2
	v_lshl_or_b32 v2, v8, 6, v2
	v_add3_u32 v7, v10, v7, v9
	v_and_b32_e32 v9, 31, v4
	v_add_u32_e32 v8, s16, v9
	v_lshrrev_b32_e32 v4, 5, v4
	v_mov_b32_e32 v5, v3
	v_lshlrev_b32_e32 v3, 3, v9
	v_add_u32_e32 v15, 0x800, v2
	v_ashrrev_i32_e32 v2, 31, v8
	v_lshl_or_b32 v14, v4, 8, v3
	v_mul_lo_u32 v9, s0, v2
	v_mad_u64_u32 v[2:3], s[14:15], s0, v8, v[4:5]
	v_mul_lo_u32 v4, s1, v8
	s_load_dwordx2 s[6:7], s[6:7], 0x0
	s_add_u32 s10, s20, s10
	s_addc_u32 s11, s21, s11
	v_add3_u32 v3, v4, v3, v9
	s_load_dwordx2 s[10:11], s[10:11], 0x0
	v_lshlrev_b64 v[2:3], 3, v[2:3]
	v_mov_b32_e32 v5, 0x800
	v_lshl_add_u32 v17, v1, 6, v5
	s_waitcnt lgkmcnt(0)
	v_mov_b32_e32 v5, s7
	v_add_co_u32_e32 v4, vcc, s6, v2
	v_addc_co_u32_e32 v5, vcc, v5, v3, vcc
	v_lshlrev_b64 v[2:3], 3, v[6:7]
	v_mov_b32_e32 v7, s11
	v_add_co_u32_e32 v6, vcc, s10, v2
	v_addc_co_u32_e32 v7, vcc, v7, v3, vcc
	v_mov_b32_e32 v2, 0
	v_mov_b32_e32 v8, 0
	;; [unrolled: 1-line block ×4, first 2 shown]
	v_lshlrev_b32_e32 v16, 3, v0
	v_mov_b32_e32 v3, 0
	v_mov_b32_e32 v9, 0
	;; [unrolled: 1-line block ×4, first 2 shown]
	s_mov_b64 s[6:7], 0
.LBB1487_2:                             ; =>This Inner Loop Header: Depth=1
	flat_load_dwordx2 v[18:19], v[4:5]
	s_add_u32 s6, s6, 8
	s_addc_u32 s7, s7, 0
	v_add_co_u32_e64 v4, s[0:1], 64, v4
	v_addc_co_u32_e64 v5, s[0:1], 0, v5, s[0:1]
	s_waitcnt vmcnt(0) lgkmcnt(0)
	ds_write_b64 v14, v[18:19]
	flat_load_dwordx2 v[18:19], v[6:7]
	v_add_co_u32_e64 v6, s[0:1], 64, v6
	v_addc_co_u32_e64 v7, s[0:1], 0, v7, s[0:1]
	s_waitcnt vmcnt(0) lgkmcnt(0)
	ds_write_b64 v15, v[18:19]
	s_waitcnt lgkmcnt(0)
	s_barrier
	ds_read2_b64 v[18:21], v16 offset1:16
	ds_read_b128 v[22:25], v17
	ds_read_b128 v[26:29], v17 offset:1024
	ds_read_b128 v[30:33], v17 offset:16
	s_waitcnt lgkmcnt(2)
	v_fma_f64 v[34:35], v[18:19], v[22:23], v[12:13]
	v_fma_f64 v[22:23], v[20:21], v[22:23], v[10:11]
	s_waitcnt lgkmcnt(1)
	v_fma_f64 v[8:9], v[18:19], v[26:27], v[8:9]
	v_fma_f64 v[2:3], v[20:21], v[26:27], v[2:3]
	ds_read2_b64 v[18:21], v16 offset0:32 offset1:48
	ds_read_b128 v[10:13], v17 offset:1040
	s_waitcnt lgkmcnt(1)
	v_fma_f64 v[26:27], v[18:19], v[24:25], v[34:35]
	v_fma_f64 v[34:35], v[20:21], v[24:25], v[22:23]
	;; [unrolled: 1-line block ×4, first 2 shown]
	ds_read2_b64 v[18:21], v16 offset0:64 offset1:80
	ds_read2_b64 v[22:25], v16 offset0:96 offset1:112
	s_waitcnt lgkmcnt(1)
	v_fma_f64 v[26:27], v[18:19], v[30:31], v[26:27]
	v_fma_f64 v[28:29], v[20:21], v[30:31], v[34:35]
	v_fma_f64 v[30:31], v[18:19], v[10:11], v[8:9]
	v_fma_f64 v[2:3], v[20:21], v[10:11], v[2:3]
	ds_read2_b64 v[8:11], v16 offset0:128 offset1:144
	ds_read_b128 v[18:21], v17 offset:32
	s_waitcnt lgkmcnt(2)
	v_fma_f64 v[34:35], v[22:23], v[32:33], v[26:27]
	v_fma_f64 v[32:33], v[24:25], v[32:33], v[28:29]
	;; [unrolled: 1-line block ×4, first 2 shown]
	ds_read_b128 v[22:25], v17 offset:1056
	ds_read_b128 v[26:29], v17 offset:48
	s_waitcnt lgkmcnt(2)
	v_fma_f64 v[12:13], v[8:9], v[18:19], v[34:35]
	v_fma_f64 v[18:19], v[10:11], v[18:19], v[32:33]
	s_waitcnt lgkmcnt(1)
	v_fma_f64 v[34:35], v[8:9], v[22:23], v[36:37]
	v_fma_f64 v[2:3], v[10:11], v[22:23], v[2:3]
	ds_read2_b64 v[8:11], v16 offset0:160 offset1:176
	ds_read_b128 v[30:33], v17 offset:1072
	s_waitcnt lgkmcnt(1)
	v_fma_f64 v[12:13], v[8:9], v[20:21], v[12:13]
	v_fma_f64 v[18:19], v[10:11], v[20:21], v[18:19]
	v_mov_b32_e32 v21, s7
	v_mov_b32_e32 v20, s6
	v_cmp_le_u64_e32 vcc, s[12:13], v[20:21]
	v_fma_f64 v[20:21], v[8:9], v[24:25], v[34:35]
	v_fma_f64 v[2:3], v[10:11], v[24:25], v[2:3]
	ds_read2_b64 v[8:11], v16 offset0:192 offset1:208
	s_and_b64 vcc, exec, vcc
	s_waitcnt lgkmcnt(0)
	v_fma_f64 v[12:13], v[8:9], v[26:27], v[12:13]
	v_fma_f64 v[22:23], v[10:11], v[26:27], v[18:19]
	;; [unrolled: 1-line block ×4, first 2 shown]
	ds_read2_b64 v[18:21], v16 offset0:224 offset1:240
	s_waitcnt lgkmcnt(0)
	s_barrier
	v_fma_f64 v[12:13], v[18:19], v[28:29], v[12:13]
	v_fma_f64 v[10:11], v[20:21], v[28:29], v[22:23]
	;; [unrolled: 1-line block ×4, first 2 shown]
	s_cbranch_vccz .LBB1487_2
	s_branch .LBB1487_4
.LBB1487_3:
	v_mov_b32_e32 v12, 0
	v_mov_b32_e32 v10, 0
	v_mov_b32_e32 v8, 0
	v_mov_b32_e32 v2, 0
	v_mov_b32_e32 v13, 0
	v_mov_b32_e32 v11, 0
	v_mov_b32_e32 v9, 0
	v_mov_b32_e32 v3, 0
.LBB1487_4:
	v_add_u32_e32 v6, s17, v1
	v_ashrrev_i32_e32 v1, 31, v6
	v_mul_lo_u32 v1, s2, v1
	v_mul_lo_u32 v7, s3, v6
	v_mad_u64_u32 v[4:5], s[0:1], s2, v6, 0
	s_load_dword s6, s[4:5], 0x0
	v_add_u32_e32 v0, s16, v0
	v_add3_u32 v5, v5, v1, v7
	v_lshlrev_b64 v[4:5], 3, v[4:5]
	s_waitcnt lgkmcnt(0)
	v_mov_b32_e32 v1, s9
	v_add_co_u32_e64 v7, s[0:1], s8, v4
	v_addc_co_u32_e64 v14, s[0:1], v1, v5, s[0:1]
	v_cmp_gt_i32_e32 vcc, s6, v6
	v_cmp_le_i32_e64 s[0:1], v0, v6
	s_and_b64 s[0:1], vcc, s[0:1]
	s_and_saveexec_b64 s[4:5], s[0:1]
	s_cbranch_execz .LBB1487_6
; %bb.5:
	v_ashrrev_i32_e32 v1, 31, v0
	v_lshlrev_b64 v[4:5], 3, v[0:1]
	v_xor_b32_e32 v13, 0x80000000, v13
	v_add_co_u32_e64 v4, s[0:1], v7, v4
	v_addc_co_u32_e64 v5, s[0:1], v14, v5, s[0:1]
	flat_store_dwordx2 v[4:5], v[12:13]
.LBB1487_6:
	s_or_b64 exec, exec, s[4:5]
	v_add_u32_e32 v4, 16, v0
	v_cmp_le_i32_e64 s[0:1], v4, v6
	s_and_b64 s[4:5], vcc, s[0:1]
	s_and_saveexec_b64 s[0:1], s[4:5]
	s_cbranch_execz .LBB1487_8
; %bb.7:
	v_ashrrev_i32_e32 v5, 31, v4
	v_lshlrev_b64 v[12:13], 3, v[4:5]
	v_xor_b32_e32 v11, 0x80000000, v11
	v_add_co_u32_e32 v12, vcc, v7, v12
	v_addc_co_u32_e32 v13, vcc, v14, v13, vcc
	flat_store_dwordx2 v[12:13], v[10:11]
.LBB1487_8:
	s_or_b64 exec, exec, s[0:1]
	v_add_u32_e32 v5, 16, v6
	v_ashrrev_i32_e32 v1, 31, v5
	v_mul_lo_u32 v1, s2, v1
	v_mul_lo_u32 v10, s3, v5
	v_mad_u64_u32 v[6:7], s[0:1], s2, v5, 0
	v_cmp_gt_i32_e32 vcc, s6, v5
	v_add3_u32 v7, v7, v1, v10
	v_lshlrev_b64 v[6:7], 3, v[6:7]
	v_mov_b32_e32 v1, s9
	v_add_co_u32_e64 v6, s[0:1], s8, v6
	v_addc_co_u32_e64 v7, s[0:1], v1, v7, s[0:1]
	v_cmp_le_i32_e64 s[0:1], v0, v5
	s_and_b64 s[0:1], vcc, s[0:1]
	s_and_saveexec_b64 s[2:3], s[0:1]
	s_cbranch_execz .LBB1487_10
; %bb.9:
	v_ashrrev_i32_e32 v1, 31, v0
	v_lshlrev_b64 v[0:1], 3, v[0:1]
	v_xor_b32_e32 v9, 0x80000000, v9
	v_add_co_u32_e64 v0, s[0:1], v6, v0
	v_addc_co_u32_e64 v1, s[0:1], v7, v1, s[0:1]
	flat_store_dwordx2 v[0:1], v[8:9]
.LBB1487_10:
	s_or_b64 exec, exec, s[2:3]
	v_cmp_le_i32_e64 s[0:1], v4, v5
	s_and_b64 s[0:1], vcc, s[0:1]
	s_and_saveexec_b64 s[2:3], s[0:1]
	s_cbranch_execz .LBB1487_12
; %bb.11:
	v_ashrrev_i32_e32 v5, 31, v4
	v_lshlrev_b64 v[0:1], 3, v[4:5]
	v_xor_b32_e32 v3, 0x80000000, v3
	v_add_co_u32_e32 v0, vcc, v6, v0
	v_addc_co_u32_e32 v1, vcc, v7, v1, vcc
	flat_store_dwordx2 v[0:1], v[2:3]
.LBB1487_12:
	s_endpgm
	.section	.rodata,"a",@progbits
	.p2align	6, 0x0
	.amdhsa_kernel _ZL37rocblas_syrkx_herkx_restricted_kernelIldLi16ELi32ELi8ELin1ELi0ELb0ELc67ELc85EKPKdKPdEviT_PT9_S5_lS7_S5_lPT10_S5_li
		.amdhsa_group_segment_fixed_size 4096
		.amdhsa_private_segment_fixed_size 0
		.amdhsa_kernarg_size 92
		.amdhsa_user_sgpr_count 6
		.amdhsa_user_sgpr_private_segment_buffer 1
		.amdhsa_user_sgpr_dispatch_ptr 0
		.amdhsa_user_sgpr_queue_ptr 0
		.amdhsa_user_sgpr_kernarg_segment_ptr 1
		.amdhsa_user_sgpr_dispatch_id 0
		.amdhsa_user_sgpr_flat_scratch_init 0
		.amdhsa_user_sgpr_private_segment_size 0
		.amdhsa_uses_dynamic_stack 0
		.amdhsa_system_sgpr_private_segment_wavefront_offset 0
		.amdhsa_system_sgpr_workgroup_id_x 1
		.amdhsa_system_sgpr_workgroup_id_y 1
		.amdhsa_system_sgpr_workgroup_id_z 1
		.amdhsa_system_sgpr_workgroup_info 0
		.amdhsa_system_vgpr_workitem_id 1
		.amdhsa_next_free_vgpr 38
		.amdhsa_next_free_sgpr 24
		.amdhsa_reserve_vcc 1
		.amdhsa_reserve_flat_scratch 0
		.amdhsa_float_round_mode_32 0
		.amdhsa_float_round_mode_16_64 0
		.amdhsa_float_denorm_mode_32 3
		.amdhsa_float_denorm_mode_16_64 3
		.amdhsa_dx10_clamp 1
		.amdhsa_ieee_mode 1
		.amdhsa_fp16_overflow 0
		.amdhsa_exception_fp_ieee_invalid_op 0
		.amdhsa_exception_fp_denorm_src 0
		.amdhsa_exception_fp_ieee_div_zero 0
		.amdhsa_exception_fp_ieee_overflow 0
		.amdhsa_exception_fp_ieee_underflow 0
		.amdhsa_exception_fp_ieee_inexact 0
		.amdhsa_exception_int_div_zero 0
	.end_amdhsa_kernel
	.section	.text._ZL37rocblas_syrkx_herkx_restricted_kernelIldLi16ELi32ELi8ELin1ELi0ELb0ELc67ELc85EKPKdKPdEviT_PT9_S5_lS7_S5_lPT10_S5_li,"axG",@progbits,_ZL37rocblas_syrkx_herkx_restricted_kernelIldLi16ELi32ELi8ELin1ELi0ELb0ELc67ELc85EKPKdKPdEviT_PT9_S5_lS7_S5_lPT10_S5_li,comdat
.Lfunc_end1487:
	.size	_ZL37rocblas_syrkx_herkx_restricted_kernelIldLi16ELi32ELi8ELin1ELi0ELb0ELc67ELc85EKPKdKPdEviT_PT9_S5_lS7_S5_lPT10_S5_li, .Lfunc_end1487-_ZL37rocblas_syrkx_herkx_restricted_kernelIldLi16ELi32ELi8ELin1ELi0ELb0ELc67ELc85EKPKdKPdEviT_PT9_S5_lS7_S5_lPT10_S5_li
                                        ; -- End function
	.set _ZL37rocblas_syrkx_herkx_restricted_kernelIldLi16ELi32ELi8ELin1ELi0ELb0ELc67ELc85EKPKdKPdEviT_PT9_S5_lS7_S5_lPT10_S5_li.num_vgpr, 38
	.set _ZL37rocblas_syrkx_herkx_restricted_kernelIldLi16ELi32ELi8ELin1ELi0ELb0ELc67ELc85EKPKdKPdEviT_PT9_S5_lS7_S5_lPT10_S5_li.num_agpr, 0
	.set _ZL37rocblas_syrkx_herkx_restricted_kernelIldLi16ELi32ELi8ELin1ELi0ELb0ELc67ELc85EKPKdKPdEviT_PT9_S5_lS7_S5_lPT10_S5_li.numbered_sgpr, 24
	.set _ZL37rocblas_syrkx_herkx_restricted_kernelIldLi16ELi32ELi8ELin1ELi0ELb0ELc67ELc85EKPKdKPdEviT_PT9_S5_lS7_S5_lPT10_S5_li.num_named_barrier, 0
	.set _ZL37rocblas_syrkx_herkx_restricted_kernelIldLi16ELi32ELi8ELin1ELi0ELb0ELc67ELc85EKPKdKPdEviT_PT9_S5_lS7_S5_lPT10_S5_li.private_seg_size, 0
	.set _ZL37rocblas_syrkx_herkx_restricted_kernelIldLi16ELi32ELi8ELin1ELi0ELb0ELc67ELc85EKPKdKPdEviT_PT9_S5_lS7_S5_lPT10_S5_li.uses_vcc, 1
	.set _ZL37rocblas_syrkx_herkx_restricted_kernelIldLi16ELi32ELi8ELin1ELi0ELb0ELc67ELc85EKPKdKPdEviT_PT9_S5_lS7_S5_lPT10_S5_li.uses_flat_scratch, 0
	.set _ZL37rocblas_syrkx_herkx_restricted_kernelIldLi16ELi32ELi8ELin1ELi0ELb0ELc67ELc85EKPKdKPdEviT_PT9_S5_lS7_S5_lPT10_S5_li.has_dyn_sized_stack, 0
	.set _ZL37rocblas_syrkx_herkx_restricted_kernelIldLi16ELi32ELi8ELin1ELi0ELb0ELc67ELc85EKPKdKPdEviT_PT9_S5_lS7_S5_lPT10_S5_li.has_recursion, 0
	.set _ZL37rocblas_syrkx_herkx_restricted_kernelIldLi16ELi32ELi8ELin1ELi0ELb0ELc67ELc85EKPKdKPdEviT_PT9_S5_lS7_S5_lPT10_S5_li.has_indirect_call, 0
	.section	.AMDGPU.csdata,"",@progbits
; Kernel info:
; codeLenInByte = 1356
; TotalNumSgprs: 28
; NumVgprs: 38
; ScratchSize: 0
; MemoryBound: 0
; FloatMode: 240
; IeeeMode: 1
; LDSByteSize: 4096 bytes/workgroup (compile time only)
; SGPRBlocks: 3
; VGPRBlocks: 9
; NumSGPRsForWavesPerEU: 28
; NumVGPRsForWavesPerEU: 38
; Occupancy: 6
; WaveLimiterHint : 1
; COMPUTE_PGM_RSRC2:SCRATCH_EN: 0
; COMPUTE_PGM_RSRC2:USER_SGPR: 6
; COMPUTE_PGM_RSRC2:TRAP_HANDLER: 0
; COMPUTE_PGM_RSRC2:TGID_X_EN: 1
; COMPUTE_PGM_RSRC2:TGID_Y_EN: 1
; COMPUTE_PGM_RSRC2:TGID_Z_EN: 1
; COMPUTE_PGM_RSRC2:TIDIG_COMP_CNT: 1
	.section	.text._ZL37rocblas_syrkx_herkx_restricted_kernelIldLi16ELi32ELi8ELin1ELi0ELb0ELc78ELc85EKPKdKPdEviT_PT9_S5_lS7_S5_lPT10_S5_li,"axG",@progbits,_ZL37rocblas_syrkx_herkx_restricted_kernelIldLi16ELi32ELi8ELin1ELi0ELb0ELc78ELc85EKPKdKPdEviT_PT9_S5_lS7_S5_lPT10_S5_li,comdat
	.globl	_ZL37rocblas_syrkx_herkx_restricted_kernelIldLi16ELi32ELi8ELin1ELi0ELb0ELc78ELc85EKPKdKPdEviT_PT9_S5_lS7_S5_lPT10_S5_li ; -- Begin function _ZL37rocblas_syrkx_herkx_restricted_kernelIldLi16ELi32ELi8ELin1ELi0ELb0ELc78ELc85EKPKdKPdEviT_PT9_S5_lS7_S5_lPT10_S5_li
	.p2align	8
	.type	_ZL37rocblas_syrkx_herkx_restricted_kernelIldLi16ELi32ELi8ELin1ELi0ELb0ELc78ELc85EKPKdKPdEviT_PT9_S5_lS7_S5_lPT10_S5_li,@function
_ZL37rocblas_syrkx_herkx_restricted_kernelIldLi16ELi32ELi8ELin1ELi0ELb0ELc78ELc85EKPKdKPdEviT_PT9_S5_lS7_S5_lPT10_S5_li: ; @_ZL37rocblas_syrkx_herkx_restricted_kernelIldLi16ELi32ELi8ELin1ELi0ELb0ELc78ELc85EKPKdKPdEviT_PT9_S5_lS7_S5_lPT10_S5_li
; %bb.0:
	s_load_dwordx4 s[0:3], s[4:5], 0x40
	s_load_dwordx4 s[12:15], s[4:5], 0x8
	s_mov_b32 s9, 0
	s_lshl_b64 s[18:19], s[8:9], 3
	s_waitcnt lgkmcnt(0)
	s_add_u32 s0, s0, s18
	s_addc_u32 s1, s1, s19
	s_load_dwordx2 s[16:17], s[0:1], 0x0
	v_cmp_lt_i64_e64 s[0:1], s[12:13], 1
	s_lshl_b32 s20, s6, 5
	s_lshl_b32 s21, s7, 5
	s_and_b64 vcc, exec, s[0:1]
	s_cbranch_vccnz .LBB1488_3
; %bb.1:
	s_load_dwordx2 s[0:1], s[4:5], 0x18
	s_load_dwordx4 s[8:11], s[4:5], 0x28
	v_lshl_add_u32 v5, v1, 4, v0
	v_lshrrev_b32_e32 v7, 3, v5
	v_add_u32_e32 v2, s21, v7
	v_and_b32_e32 v6, 7, v0
	v_ashrrev_i32_e32 v3, 31, v2
	s_waitcnt lgkmcnt(0)
	v_mad_u64_u32 v[2:3], s[6:7], s10, v6, v[2:3]
	s_add_u32 s6, s14, s18
	s_addc_u32 s7, s15, s19
	v_mad_u64_u32 v[3:4], s[14:15], s11, v6, v[3:4]
	v_and_b32_e32 v4, 31, v5
	v_lshrrev_b32_e32 v8, 5, v5
	v_lshlrev_b32_e32 v5, 3, v4
	v_add_u32_e32 v4, s20, v4
	v_lshl_or_b32 v14, v8, 8, v5
	v_ashrrev_i32_e32 v5, 31, v4
	v_mad_u64_u32 v[4:5], s[14:15], s0, v8, v[4:5]
	v_lshlrev_b32_e32 v6, 3, v6
	v_lshl_or_b32 v6, v7, 6, v6
	v_add_u32_e32 v15, 0x800, v6
	v_mad_u64_u32 v[5:6], s[14:15], s1, v8, v[5:6]
	s_load_dwordx2 s[6:7], s[6:7], 0x0
	s_add_u32 s8, s8, s18
	s_addc_u32 s9, s9, s19
	s_load_dwordx2 s[8:9], s[8:9], 0x0
	v_lshlrev_b64 v[4:5], 3, v[4:5]
	v_mov_b32_e32 v6, 0x800
	v_lshl_add_u32 v17, v1, 6, v6
	s_waitcnt lgkmcnt(0)
	v_mov_b32_e32 v6, s7
	v_add_co_u32_e32 v4, vcc, s6, v4
	v_lshlrev_b64 v[2:3], 3, v[2:3]
	v_addc_co_u32_e32 v5, vcc, v6, v5, vcc
	v_mov_b32_e32 v7, s9
	v_add_co_u32_e32 v6, vcc, s8, v2
	s_lshl_b64 s[6:7], s[0:1], 6
	v_addc_co_u32_e32 v7, vcc, v7, v3, vcc
	s_lshl_b64 s[8:9], s[10:11], 6
	v_mov_b32_e32 v2, 0
	v_mov_b32_e32 v8, 0
	;; [unrolled: 1-line block ×4, first 2 shown]
	v_lshlrev_b32_e32 v16, 3, v0
	v_mov_b32_e32 v3, 0
	s_mov_b64 s[10:11], 0
	v_mov_b32_e32 v18, s7
	v_mov_b32_e32 v9, 0
	;; [unrolled: 1-line block ×5, first 2 shown]
.LBB1488_2:                             ; =>This Inner Loop Header: Depth=1
	flat_load_dwordx2 v[20:21], v[4:5]
	s_add_u32 s10, s10, 8
	v_add_co_u32_e32 v4, vcc, s6, v4
	s_addc_u32 s11, s11, 0
	v_addc_co_u32_e32 v5, vcc, v5, v18, vcc
	s_waitcnt vmcnt(0) lgkmcnt(0)
	ds_write_b64 v14, v[20:21]
	flat_load_dwordx2 v[20:21], v[6:7]
	v_add_co_u32_e64 v6, s[0:1], s8, v6
	v_addc_co_u32_e64 v7, s[0:1], v7, v19, s[0:1]
	s_waitcnt vmcnt(0) lgkmcnt(0)
	ds_write_b64 v15, v[20:21]
	s_waitcnt lgkmcnt(0)
	s_barrier
	ds_read2_b64 v[20:23], v16 offset1:16
	ds_read_b128 v[24:27], v17
	ds_read_b128 v[28:31], v17 offset:16
	s_waitcnt lgkmcnt(1)
	v_fma_f64 v[36:37], v[20:21], v[24:25], v[12:13]
	v_fma_f64 v[24:25], v[22:23], v[24:25], v[10:11]
	ds_read_b128 v[10:13], v17 offset:1024
	ds_read_b128 v[32:35], v17 offset:1040
	s_waitcnt lgkmcnt(1)
	v_fma_f64 v[20:21], v[20:21], v[10:11], v[8:9]
	v_fma_f64 v[2:3], v[22:23], v[10:11], v[2:3]
	ds_read2_b64 v[8:11], v16 offset0:32 offset1:48
	s_waitcnt lgkmcnt(0)
	v_fma_f64 v[22:23], v[8:9], v[26:27], v[36:37]
	v_fma_f64 v[24:25], v[10:11], v[26:27], v[24:25]
	v_fma_f64 v[20:21], v[8:9], v[12:13], v[20:21]
	v_fma_f64 v[2:3], v[10:11], v[12:13], v[2:3]
	ds_read2_b64 v[8:11], v16 offset0:64 offset1:80
	s_waitcnt lgkmcnt(0)
	v_fma_f64 v[12:13], v[8:9], v[28:29], v[22:23]
	v_fma_f64 v[22:23], v[10:11], v[28:29], v[24:25]
	;; [unrolled: 6-line block ×3, first 2 shown]
	ds_read2_b64 v[20:23], v16 offset0:128 offset1:144
	v_fma_f64 v[36:37], v[8:9], v[34:35], v[24:25]
	v_fma_f64 v[2:3], v[10:11], v[34:35], v[2:3]
	ds_read_b128 v[8:11], v17 offset:32
	ds_read_b128 v[24:27], v17 offset:48
	s_waitcnt lgkmcnt(1)
	v_fma_f64 v[12:13], v[20:21], v[8:9], v[12:13]
	v_fma_f64 v[8:9], v[22:23], v[8:9], v[28:29]
	ds_read_b128 v[28:31], v17 offset:1056
	ds_read_b128 v[32:35], v17 offset:1072
	s_waitcnt lgkmcnt(1)
	v_fma_f64 v[36:37], v[20:21], v[28:29], v[36:37]
	v_fma_f64 v[2:3], v[22:23], v[28:29], v[2:3]
	ds_read2_b64 v[20:23], v16 offset0:160 offset1:176
	s_waitcnt lgkmcnt(0)
	v_fma_f64 v[12:13], v[20:21], v[10:11], v[12:13]
	v_fma_f64 v[28:29], v[22:23], v[10:11], v[8:9]
	;; [unrolled: 1-line block ×4, first 2 shown]
	v_mov_b32_e32 v8, s10
	v_mov_b32_e32 v9, s11
	v_cmp_le_u64_e32 vcc, s[12:13], v[8:9]
	ds_read2_b64 v[8:11], v16 offset0:192 offset1:208
	s_and_b64 vcc, exec, vcc
	s_waitcnt lgkmcnt(0)
	v_fma_f64 v[12:13], v[8:9], v[24:25], v[12:13]
	v_fma_f64 v[24:25], v[10:11], v[24:25], v[28:29]
	;; [unrolled: 1-line block ×4, first 2 shown]
	ds_read2_b64 v[20:23], v16 offset0:224 offset1:240
	s_waitcnt lgkmcnt(0)
	s_barrier
	v_fma_f64 v[12:13], v[20:21], v[26:27], v[12:13]
	v_fma_f64 v[10:11], v[22:23], v[26:27], v[24:25]
	;; [unrolled: 1-line block ×4, first 2 shown]
	s_cbranch_vccz .LBB1488_2
	s_branch .LBB1488_4
.LBB1488_3:
	v_mov_b32_e32 v12, 0
	v_mov_b32_e32 v10, 0
	;; [unrolled: 1-line block ×8, first 2 shown]
.LBB1488_4:
	v_add_u32_e32 v6, s21, v1
	v_ashrrev_i32_e32 v1, 31, v6
	v_mul_lo_u32 v1, s2, v1
	v_mul_lo_u32 v7, s3, v6
	v_mad_u64_u32 v[4:5], s[0:1], s2, v6, 0
	s_load_dword s6, s[4:5], 0x0
	v_add_u32_e32 v0, s20, v0
	v_add3_u32 v5, v5, v1, v7
	v_lshlrev_b64 v[4:5], 3, v[4:5]
	s_waitcnt lgkmcnt(0)
	v_mov_b32_e32 v1, s17
	v_add_co_u32_e64 v7, s[0:1], s16, v4
	v_addc_co_u32_e64 v14, s[0:1], v1, v5, s[0:1]
	v_cmp_gt_i32_e32 vcc, s6, v6
	v_cmp_le_i32_e64 s[0:1], v0, v6
	s_and_b64 s[0:1], vcc, s[0:1]
	s_and_saveexec_b64 s[4:5], s[0:1]
	s_cbranch_execz .LBB1488_6
; %bb.5:
	v_ashrrev_i32_e32 v1, 31, v0
	v_lshlrev_b64 v[4:5], 3, v[0:1]
	v_xor_b32_e32 v13, 0x80000000, v13
	v_add_co_u32_e64 v4, s[0:1], v7, v4
	v_addc_co_u32_e64 v5, s[0:1], v14, v5, s[0:1]
	flat_store_dwordx2 v[4:5], v[12:13]
.LBB1488_6:
	s_or_b64 exec, exec, s[4:5]
	v_add_u32_e32 v4, 16, v0
	v_cmp_le_i32_e64 s[0:1], v4, v6
	s_and_b64 s[4:5], vcc, s[0:1]
	s_and_saveexec_b64 s[0:1], s[4:5]
	s_cbranch_execz .LBB1488_8
; %bb.7:
	v_ashrrev_i32_e32 v5, 31, v4
	v_lshlrev_b64 v[12:13], 3, v[4:5]
	v_xor_b32_e32 v11, 0x80000000, v11
	v_add_co_u32_e32 v12, vcc, v7, v12
	v_addc_co_u32_e32 v13, vcc, v14, v13, vcc
	flat_store_dwordx2 v[12:13], v[10:11]
.LBB1488_8:
	s_or_b64 exec, exec, s[0:1]
	v_add_u32_e32 v5, 16, v6
	v_ashrrev_i32_e32 v1, 31, v5
	v_mul_lo_u32 v1, s2, v1
	v_mul_lo_u32 v10, s3, v5
	v_mad_u64_u32 v[6:7], s[0:1], s2, v5, 0
	v_cmp_gt_i32_e32 vcc, s6, v5
	v_add3_u32 v7, v7, v1, v10
	v_lshlrev_b64 v[6:7], 3, v[6:7]
	v_mov_b32_e32 v1, s17
	v_add_co_u32_e64 v6, s[0:1], s16, v6
	v_addc_co_u32_e64 v7, s[0:1], v1, v7, s[0:1]
	v_cmp_le_i32_e64 s[0:1], v0, v5
	s_and_b64 s[0:1], vcc, s[0:1]
	s_and_saveexec_b64 s[2:3], s[0:1]
	s_cbranch_execz .LBB1488_10
; %bb.9:
	v_ashrrev_i32_e32 v1, 31, v0
	v_lshlrev_b64 v[0:1], 3, v[0:1]
	v_xor_b32_e32 v9, 0x80000000, v9
	v_add_co_u32_e64 v0, s[0:1], v6, v0
	v_addc_co_u32_e64 v1, s[0:1], v7, v1, s[0:1]
	flat_store_dwordx2 v[0:1], v[8:9]
.LBB1488_10:
	s_or_b64 exec, exec, s[2:3]
	v_cmp_le_i32_e64 s[0:1], v4, v5
	s_and_b64 s[0:1], vcc, s[0:1]
	s_and_saveexec_b64 s[2:3], s[0:1]
	s_cbranch_execz .LBB1488_12
; %bb.11:
	v_ashrrev_i32_e32 v5, 31, v4
	v_lshlrev_b64 v[0:1], 3, v[4:5]
	v_xor_b32_e32 v3, 0x80000000, v3
	v_add_co_u32_e32 v0, vcc, v6, v0
	v_addc_co_u32_e32 v1, vcc, v7, v1, vcc
	flat_store_dwordx2 v[0:1], v[2:3]
.LBB1488_12:
	s_endpgm
	.section	.rodata,"a",@progbits
	.p2align	6, 0x0
	.amdhsa_kernel _ZL37rocblas_syrkx_herkx_restricted_kernelIldLi16ELi32ELi8ELin1ELi0ELb0ELc78ELc85EKPKdKPdEviT_PT9_S5_lS7_S5_lPT10_S5_li
		.amdhsa_group_segment_fixed_size 4096
		.amdhsa_private_segment_fixed_size 0
		.amdhsa_kernarg_size 92
		.amdhsa_user_sgpr_count 6
		.amdhsa_user_sgpr_private_segment_buffer 1
		.amdhsa_user_sgpr_dispatch_ptr 0
		.amdhsa_user_sgpr_queue_ptr 0
		.amdhsa_user_sgpr_kernarg_segment_ptr 1
		.amdhsa_user_sgpr_dispatch_id 0
		.amdhsa_user_sgpr_flat_scratch_init 0
		.amdhsa_user_sgpr_private_segment_size 0
		.amdhsa_uses_dynamic_stack 0
		.amdhsa_system_sgpr_private_segment_wavefront_offset 0
		.amdhsa_system_sgpr_workgroup_id_x 1
		.amdhsa_system_sgpr_workgroup_id_y 1
		.amdhsa_system_sgpr_workgroup_id_z 1
		.amdhsa_system_sgpr_workgroup_info 0
		.amdhsa_system_vgpr_workitem_id 1
		.amdhsa_next_free_vgpr 38
		.amdhsa_next_free_sgpr 22
		.amdhsa_reserve_vcc 1
		.amdhsa_reserve_flat_scratch 0
		.amdhsa_float_round_mode_32 0
		.amdhsa_float_round_mode_16_64 0
		.amdhsa_float_denorm_mode_32 3
		.amdhsa_float_denorm_mode_16_64 3
		.amdhsa_dx10_clamp 1
		.amdhsa_ieee_mode 1
		.amdhsa_fp16_overflow 0
		.amdhsa_exception_fp_ieee_invalid_op 0
		.amdhsa_exception_fp_denorm_src 0
		.amdhsa_exception_fp_ieee_div_zero 0
		.amdhsa_exception_fp_ieee_overflow 0
		.amdhsa_exception_fp_ieee_underflow 0
		.amdhsa_exception_fp_ieee_inexact 0
		.amdhsa_exception_int_div_zero 0
	.end_amdhsa_kernel
	.section	.text._ZL37rocblas_syrkx_herkx_restricted_kernelIldLi16ELi32ELi8ELin1ELi0ELb0ELc78ELc85EKPKdKPdEviT_PT9_S5_lS7_S5_lPT10_S5_li,"axG",@progbits,_ZL37rocblas_syrkx_herkx_restricted_kernelIldLi16ELi32ELi8ELin1ELi0ELb0ELc78ELc85EKPKdKPdEviT_PT9_S5_lS7_S5_lPT10_S5_li,comdat
.Lfunc_end1488:
	.size	_ZL37rocblas_syrkx_herkx_restricted_kernelIldLi16ELi32ELi8ELin1ELi0ELb0ELc78ELc85EKPKdKPdEviT_PT9_S5_lS7_S5_lPT10_S5_li, .Lfunc_end1488-_ZL37rocblas_syrkx_herkx_restricted_kernelIldLi16ELi32ELi8ELin1ELi0ELb0ELc78ELc85EKPKdKPdEviT_PT9_S5_lS7_S5_lPT10_S5_li
                                        ; -- End function
	.set _ZL37rocblas_syrkx_herkx_restricted_kernelIldLi16ELi32ELi8ELin1ELi0ELb0ELc78ELc85EKPKdKPdEviT_PT9_S5_lS7_S5_lPT10_S5_li.num_vgpr, 38
	.set _ZL37rocblas_syrkx_herkx_restricted_kernelIldLi16ELi32ELi8ELin1ELi0ELb0ELc78ELc85EKPKdKPdEviT_PT9_S5_lS7_S5_lPT10_S5_li.num_agpr, 0
	.set _ZL37rocblas_syrkx_herkx_restricted_kernelIldLi16ELi32ELi8ELin1ELi0ELb0ELc78ELc85EKPKdKPdEviT_PT9_S5_lS7_S5_lPT10_S5_li.numbered_sgpr, 22
	.set _ZL37rocblas_syrkx_herkx_restricted_kernelIldLi16ELi32ELi8ELin1ELi0ELb0ELc78ELc85EKPKdKPdEviT_PT9_S5_lS7_S5_lPT10_S5_li.num_named_barrier, 0
	.set _ZL37rocblas_syrkx_herkx_restricted_kernelIldLi16ELi32ELi8ELin1ELi0ELb0ELc78ELc85EKPKdKPdEviT_PT9_S5_lS7_S5_lPT10_S5_li.private_seg_size, 0
	.set _ZL37rocblas_syrkx_herkx_restricted_kernelIldLi16ELi32ELi8ELin1ELi0ELb0ELc78ELc85EKPKdKPdEviT_PT9_S5_lS7_S5_lPT10_S5_li.uses_vcc, 1
	.set _ZL37rocblas_syrkx_herkx_restricted_kernelIldLi16ELi32ELi8ELin1ELi0ELb0ELc78ELc85EKPKdKPdEviT_PT9_S5_lS7_S5_lPT10_S5_li.uses_flat_scratch, 0
	.set _ZL37rocblas_syrkx_herkx_restricted_kernelIldLi16ELi32ELi8ELin1ELi0ELb0ELc78ELc85EKPKdKPdEviT_PT9_S5_lS7_S5_lPT10_S5_li.has_dyn_sized_stack, 0
	.set _ZL37rocblas_syrkx_herkx_restricted_kernelIldLi16ELi32ELi8ELin1ELi0ELb0ELc78ELc85EKPKdKPdEviT_PT9_S5_lS7_S5_lPT10_S5_li.has_recursion, 0
	.set _ZL37rocblas_syrkx_herkx_restricted_kernelIldLi16ELi32ELi8ELin1ELi0ELb0ELc78ELc85EKPKdKPdEviT_PT9_S5_lS7_S5_lPT10_S5_li.has_indirect_call, 0
	.section	.AMDGPU.csdata,"",@progbits
; Kernel info:
; codeLenInByte = 1324
; TotalNumSgprs: 26
; NumVgprs: 38
; ScratchSize: 0
; MemoryBound: 0
; FloatMode: 240
; IeeeMode: 1
; LDSByteSize: 4096 bytes/workgroup (compile time only)
; SGPRBlocks: 3
; VGPRBlocks: 9
; NumSGPRsForWavesPerEU: 26
; NumVGPRsForWavesPerEU: 38
; Occupancy: 6
; WaveLimiterHint : 1
; COMPUTE_PGM_RSRC2:SCRATCH_EN: 0
; COMPUTE_PGM_RSRC2:USER_SGPR: 6
; COMPUTE_PGM_RSRC2:TRAP_HANDLER: 0
; COMPUTE_PGM_RSRC2:TGID_X_EN: 1
; COMPUTE_PGM_RSRC2:TGID_Y_EN: 1
; COMPUTE_PGM_RSRC2:TGID_Z_EN: 1
; COMPUTE_PGM_RSRC2:TIDIG_COMP_CNT: 1
	.section	.text._ZL37rocblas_syrkx_herkx_restricted_kernelIldLi16ELi32ELi8ELb1ELb0ELc84ELc76EKPKdKPdEviT_T0_PT8_S5_lS8_S5_lS6_PT9_S5_li,"axG",@progbits,_ZL37rocblas_syrkx_herkx_restricted_kernelIldLi16ELi32ELi8ELb1ELb0ELc84ELc76EKPKdKPdEviT_T0_PT8_S5_lS8_S5_lS6_PT9_S5_li,comdat
	.globl	_ZL37rocblas_syrkx_herkx_restricted_kernelIldLi16ELi32ELi8ELb1ELb0ELc84ELc76EKPKdKPdEviT_T0_PT8_S5_lS8_S5_lS6_PT9_S5_li ; -- Begin function _ZL37rocblas_syrkx_herkx_restricted_kernelIldLi16ELi32ELi8ELb1ELb0ELc84ELc76EKPKdKPdEviT_T0_PT8_S5_lS8_S5_lS6_PT9_S5_li
	.p2align	8
	.type	_ZL37rocblas_syrkx_herkx_restricted_kernelIldLi16ELi32ELi8ELb1ELb0ELc84ELc76EKPKdKPdEviT_T0_PT8_S5_lS8_S5_lS6_PT9_S5_li,@function
_ZL37rocblas_syrkx_herkx_restricted_kernelIldLi16ELi32ELi8ELb1ELb0ELc84ELc76EKPKdKPdEviT_T0_PT8_S5_lS8_S5_lS6_PT9_S5_li: ; @_ZL37rocblas_syrkx_herkx_restricted_kernelIldLi16ELi32ELi8ELb1ELb0ELc84ELc76EKPKdKPdEviT_T0_PT8_S5_lS8_S5_lS6_PT9_S5_li
; %bb.0:
	s_load_dwordx4 s[20:23], s[4:5], 0x50
	s_load_dwordx8 s[12:19], s[4:5], 0x8
	s_mov_b32 s9, 0
	s_lshl_b64 s[0:1], s[8:9], 3
	s_waitcnt lgkmcnt(0)
	s_add_u32 s2, s20, s0
	s_addc_u32 s3, s21, s1
	s_load_dwordx2 s[8:9], s[2:3], 0x0
	v_cmp_lt_i64_e64 s[2:3], s[12:13], 1
	s_lshl_b32 s6, s6, 5
	s_lshl_b32 s7, s7, 5
	s_and_b64 vcc, exec, s[2:3]
	s_cbranch_vccnz .LBB1489_3
; %bb.1:
	s_load_dwordx4 s[24:27], s[4:5], 0x30
	v_lshl_add_u32 v3, v1, 4, v0
	v_and_b32_e32 v7, 31, v3
	v_lshrrev_b32_e32 v6, 3, v3
	v_lshrrev_b32_e32 v2, 5, v3
	v_and_b32_e32 v4, 7, v0
	v_lshlrev_b32_e32 v10, 3, v7
	v_add_u32_e32 v8, s7, v6
	v_lshl_or_b32 v14, v2, 8, v10
	v_lshlrev_b32_e32 v10, 3, v4
	v_ashrrev_i32_e32 v9, 31, v8
	v_mov_b32_e32 v5, 0
	v_lshl_or_b32 v6, v6, 6, v10
	v_mov_b32_e32 v3, v5
	v_add_u32_e32 v15, 0x800, v6
	s_waitcnt lgkmcnt(0)
	v_mul_lo_u32 v6, s26, v9
	v_mul_lo_u32 v9, s27, v8
	v_mad_u64_u32 v[4:5], s[10:11], s26, v8, v[4:5]
	s_add_u32 s2, s16, s0
	s_addc_u32 s3, s17, s1
	s_add_u32 s0, s24, s0
	s_addc_u32 s1, s25, s1
	v_add3_u32 v5, v9, v5, v6
	v_add_u32_e32 v9, s6, v7
	s_load_dwordx2 s[0:1], s[0:1], 0x0
	v_ashrrev_i32_e32 v6, 31, v9
	v_mul_lo_u32 v10, s18, v6
	v_mad_u64_u32 v[6:7], s[10:11], s18, v9, v[2:3]
	v_mul_lo_u32 v9, s19, v9
	s_load_dwordx2 s[2:3], s[2:3], 0x0
	v_lshlrev_b64 v[4:5], 3, v[4:5]
	v_mov_b32_e32 v8, 0x800
	v_lshl_add_u32 v17, v1, 6, v8
	s_waitcnt lgkmcnt(0)
	v_mov_b32_e32 v8, s1
	v_add_co_u32_e32 v2, vcc, s0, v4
	v_add3_u32 v7, v9, v7, v10
	v_addc_co_u32_e32 v3, vcc, v8, v5, vcc
	v_lshlrev_b64 v[4:5], 3, v[6:7]
	v_mov_b32_e32 v6, s3
	v_add_co_u32_e32 v4, vcc, s2, v4
	v_addc_co_u32_e32 v5, vcc, v6, v5, vcc
	v_mov_b32_e32 v6, 0
	v_mov_b32_e32 v8, 0
	;; [unrolled: 1-line block ×4, first 2 shown]
	v_lshlrev_b32_e32 v16, 3, v0
	v_mov_b32_e32 v7, 0
	v_mov_b32_e32 v9, 0
	;; [unrolled: 1-line block ×4, first 2 shown]
	s_mov_b64 s[2:3], 0
.LBB1489_2:                             ; =>This Inner Loop Header: Depth=1
	flat_load_dwordx2 v[18:19], v[4:5]
	s_add_u32 s2, s2, 8
	s_addc_u32 s3, s3, 0
	v_add_co_u32_e64 v4, s[0:1], 64, v4
	v_addc_co_u32_e64 v5, s[0:1], 0, v5, s[0:1]
	s_waitcnt vmcnt(0) lgkmcnt(0)
	ds_write_b64 v14, v[18:19]
	flat_load_dwordx2 v[18:19], v[2:3]
	v_add_co_u32_e64 v2, s[0:1], 64, v2
	v_addc_co_u32_e64 v3, s[0:1], 0, v3, s[0:1]
	s_waitcnt vmcnt(0) lgkmcnt(0)
	ds_write_b64 v15, v[18:19]
	s_waitcnt lgkmcnt(0)
	s_barrier
	ds_read2_b64 v[18:21], v16 offset1:16
	ds_read_b128 v[22:25], v17
	ds_read_b128 v[26:29], v17 offset:1024
	ds_read_b128 v[30:33], v17 offset:16
	s_waitcnt lgkmcnt(2)
	v_fma_f64 v[34:35], v[18:19], v[22:23], v[12:13]
	v_fma_f64 v[22:23], v[20:21], v[22:23], v[10:11]
	s_waitcnt lgkmcnt(1)
	v_fma_f64 v[18:19], v[18:19], v[26:27], v[8:9]
	v_fma_f64 v[20:21], v[20:21], v[26:27], v[6:7]
	ds_read2_b64 v[6:9], v16 offset0:32 offset1:48
	ds_read_b128 v[10:13], v17 offset:1040
	s_waitcnt lgkmcnt(1)
	v_fma_f64 v[26:27], v[6:7], v[24:25], v[34:35]
	v_fma_f64 v[22:23], v[8:9], v[24:25], v[22:23]
	;; [unrolled: 1-line block ×4, first 2 shown]
	ds_read2_b64 v[6:9], v16 offset0:64 offset1:80
	ds_read2_b64 v[18:21], v16 offset0:96 offset1:112
	s_waitcnt lgkmcnt(1)
	v_fma_f64 v[26:27], v[6:7], v[30:31], v[26:27]
	v_fma_f64 v[22:23], v[8:9], v[30:31], v[22:23]
	;; [unrolled: 1-line block ×4, first 2 shown]
	ds_read2_b64 v[6:9], v16 offset0:128 offset1:144
	s_waitcnt lgkmcnt(1)
	v_fma_f64 v[26:27], v[18:19], v[32:33], v[26:27]
	v_fma_f64 v[28:29], v[20:21], v[32:33], v[22:23]
	;; [unrolled: 1-line block ×4, first 2 shown]
	ds_read_b128 v[22:25], v17 offset:32
	ds_read_b128 v[10:13], v17 offset:1056
	;; [unrolled: 1-line block ×3, first 2 shown]
	s_waitcnt lgkmcnt(2)
	v_fma_f64 v[34:35], v[6:7], v[22:23], v[26:27]
	v_fma_f64 v[22:23], v[8:9], v[22:23], v[28:29]
	s_waitcnt lgkmcnt(1)
	v_fma_f64 v[30:31], v[6:7], v[10:11], v[30:31]
	v_fma_f64 v[10:11], v[8:9], v[10:11], v[32:33]
	ds_read2_b64 v[6:9], v16 offset0:160 offset1:176
	ds_read_b128 v[26:29], v17 offset:1072
	s_waitcnt lgkmcnt(1)
	v_fma_f64 v[32:33], v[6:7], v[24:25], v[34:35]
	v_fma_f64 v[22:23], v[8:9], v[24:25], v[22:23]
	v_mov_b32_e32 v25, s3
	v_mov_b32_e32 v24, s2
	v_cmp_le_u64_e32 vcc, s[12:13], v[24:25]
	v_fma_f64 v[24:25], v[6:7], v[12:13], v[30:31]
	v_fma_f64 v[10:11], v[8:9], v[12:13], v[10:11]
	ds_read2_b64 v[6:9], v16 offset0:192 offset1:208
	s_and_b64 vcc, exec, vcc
	s_waitcnt lgkmcnt(0)
	v_fma_f64 v[12:13], v[6:7], v[18:19], v[32:33]
	v_fma_f64 v[18:19], v[8:9], v[18:19], v[22:23]
	;; [unrolled: 1-line block ×4, first 2 shown]
	ds_read2_b64 v[22:25], v16 offset0:224 offset1:240
	s_waitcnt lgkmcnt(0)
	s_barrier
	v_fma_f64 v[12:13], v[22:23], v[20:21], v[12:13]
	v_fma_f64 v[10:11], v[24:25], v[20:21], v[18:19]
	v_fma_f64 v[8:9], v[22:23], v[28:29], v[6:7]
	v_fma_f64 v[6:7], v[24:25], v[28:29], v[26:27]
	s_cbranch_vccz .LBB1489_2
	s_branch .LBB1489_4
.LBB1489_3:
	v_mov_b32_e32 v12, 0
	v_mov_b32_e32 v10, 0
	;; [unrolled: 1-line block ×8, first 2 shown]
.LBB1489_4:
	v_add_u32_e32 v4, s7, v1
	v_ashrrev_i32_e32 v1, 31, v4
	v_mul_lo_u32 v3, s22, v1
	v_mul_lo_u32 v5, s23, v4
	v_mad_u64_u32 v[1:2], s[0:1], s22, v4, 0
	s_load_dword s4, s[4:5], 0x0
	v_add_u32_e32 v0, s6, v0
	v_add3_u32 v2, v2, v3, v5
	v_lshlrev_b64 v[1:2], 3, v[1:2]
	s_waitcnt lgkmcnt(0)
	v_mov_b32_e32 v3, s9
	v_add_co_u32_e32 v5, vcc, s8, v1
	v_addc_co_u32_e32 v14, vcc, v3, v2, vcc
	v_cmp_le_i32_e64 s[0:1], v4, v0
	v_cmp_gt_i32_e32 vcc, s4, v0
	s_and_b64 s[0:1], s[0:1], vcc
	s_and_saveexec_b64 s[2:3], s[0:1]
	s_cbranch_execz .LBB1489_6
; %bb.5:
	v_mul_f64 v[2:3], s[14:15], v[12:13]
	v_ashrrev_i32_e32 v1, 31, v0
	v_lshlrev_b64 v[12:13], 3, v[0:1]
	v_add_co_u32_e64 v12, s[0:1], v5, v12
	v_addc_co_u32_e64 v13, s[0:1], v14, v13, s[0:1]
	flat_store_dwordx2 v[12:13], v[2:3]
.LBB1489_6:
	s_or_b64 exec, exec, s[2:3]
	v_add_u32_e32 v2, 16, v0
	v_cmp_le_i32_e64 s[2:3], v4, v2
	v_cmp_gt_i32_e64 s[0:1], s4, v2
	s_and_b64 s[2:3], s[2:3], s[0:1]
	s_and_saveexec_b64 s[4:5], s[2:3]
	s_cbranch_execz .LBB1489_8
; %bb.7:
	v_mul_f64 v[10:11], s[14:15], v[10:11]
	v_ashrrev_i32_e32 v3, 31, v2
	v_lshlrev_b64 v[12:13], 3, v[2:3]
	v_add_co_u32_e64 v12, s[2:3], v5, v12
	v_addc_co_u32_e64 v13, s[2:3], v14, v13, s[2:3]
	flat_store_dwordx2 v[12:13], v[10:11]
.LBB1489_8:
	s_or_b64 exec, exec, s[4:5]
	v_add_u32_e32 v3, 16, v4
	v_ashrrev_i32_e32 v1, 31, v3
	v_mul_lo_u32 v10, s23, v3
	v_mad_u64_u32 v[4:5], s[2:3], s22, v3, 0
	v_mul_lo_u32 v1, s22, v1
	v_add3_u32 v5, v5, v1, v10
	v_lshlrev_b64 v[4:5], 3, v[4:5]
	v_mov_b32_e32 v1, s9
	v_add_co_u32_e64 v4, s[2:3], s8, v4
	v_addc_co_u32_e64 v5, s[2:3], v1, v5, s[2:3]
	v_cmp_le_i32_e64 s[2:3], v3, v0
	s_and_b64 s[4:5], s[2:3], vcc
	s_and_saveexec_b64 s[2:3], s[4:5]
	s_cbranch_execz .LBB1489_10
; %bb.9:
	v_mul_f64 v[8:9], s[14:15], v[8:9]
	v_ashrrev_i32_e32 v1, 31, v0
	v_lshlrev_b64 v[0:1], 3, v[0:1]
	v_add_co_u32_e32 v0, vcc, v4, v0
	v_addc_co_u32_e32 v1, vcc, v5, v1, vcc
	flat_store_dwordx2 v[0:1], v[8:9]
.LBB1489_10:
	s_or_b64 exec, exec, s[2:3]
	v_cmp_le_i32_e32 vcc, v3, v2
	s_and_b64 s[0:1], vcc, s[0:1]
	s_and_saveexec_b64 s[2:3], s[0:1]
	s_cbranch_execz .LBB1489_12
; %bb.11:
	v_mul_f64 v[0:1], s[14:15], v[6:7]
	v_ashrrev_i32_e32 v3, 31, v2
	v_lshlrev_b64 v[2:3], 3, v[2:3]
	v_add_co_u32_e32 v2, vcc, v4, v2
	v_addc_co_u32_e32 v3, vcc, v5, v3, vcc
	flat_store_dwordx2 v[2:3], v[0:1]
.LBB1489_12:
	s_endpgm
	.section	.rodata,"a",@progbits
	.p2align	6, 0x0
	.amdhsa_kernel _ZL37rocblas_syrkx_herkx_restricted_kernelIldLi16ELi32ELi8ELb1ELb0ELc84ELc76EKPKdKPdEviT_T0_PT8_S5_lS8_S5_lS6_PT9_S5_li
		.amdhsa_group_segment_fixed_size 4096
		.amdhsa_private_segment_fixed_size 0
		.amdhsa_kernarg_size 108
		.amdhsa_user_sgpr_count 6
		.amdhsa_user_sgpr_private_segment_buffer 1
		.amdhsa_user_sgpr_dispatch_ptr 0
		.amdhsa_user_sgpr_queue_ptr 0
		.amdhsa_user_sgpr_kernarg_segment_ptr 1
		.amdhsa_user_sgpr_dispatch_id 0
		.amdhsa_user_sgpr_flat_scratch_init 0
		.amdhsa_user_sgpr_private_segment_size 0
		.amdhsa_uses_dynamic_stack 0
		.amdhsa_system_sgpr_private_segment_wavefront_offset 0
		.amdhsa_system_sgpr_workgroup_id_x 1
		.amdhsa_system_sgpr_workgroup_id_y 1
		.amdhsa_system_sgpr_workgroup_id_z 1
		.amdhsa_system_sgpr_workgroup_info 0
		.amdhsa_system_vgpr_workitem_id 1
		.amdhsa_next_free_vgpr 36
		.amdhsa_next_free_sgpr 28
		.amdhsa_reserve_vcc 1
		.amdhsa_reserve_flat_scratch 0
		.amdhsa_float_round_mode_32 0
		.amdhsa_float_round_mode_16_64 0
		.amdhsa_float_denorm_mode_32 3
		.amdhsa_float_denorm_mode_16_64 3
		.amdhsa_dx10_clamp 1
		.amdhsa_ieee_mode 1
		.amdhsa_fp16_overflow 0
		.amdhsa_exception_fp_ieee_invalid_op 0
		.amdhsa_exception_fp_denorm_src 0
		.amdhsa_exception_fp_ieee_div_zero 0
		.amdhsa_exception_fp_ieee_overflow 0
		.amdhsa_exception_fp_ieee_underflow 0
		.amdhsa_exception_fp_ieee_inexact 0
		.amdhsa_exception_int_div_zero 0
	.end_amdhsa_kernel
	.section	.text._ZL37rocblas_syrkx_herkx_restricted_kernelIldLi16ELi32ELi8ELb1ELb0ELc84ELc76EKPKdKPdEviT_T0_PT8_S5_lS8_S5_lS6_PT9_S5_li,"axG",@progbits,_ZL37rocblas_syrkx_herkx_restricted_kernelIldLi16ELi32ELi8ELb1ELb0ELc84ELc76EKPKdKPdEviT_T0_PT8_S5_lS8_S5_lS6_PT9_S5_li,comdat
.Lfunc_end1489:
	.size	_ZL37rocblas_syrkx_herkx_restricted_kernelIldLi16ELi32ELi8ELb1ELb0ELc84ELc76EKPKdKPdEviT_T0_PT8_S5_lS8_S5_lS6_PT9_S5_li, .Lfunc_end1489-_ZL37rocblas_syrkx_herkx_restricted_kernelIldLi16ELi32ELi8ELb1ELb0ELc84ELc76EKPKdKPdEviT_T0_PT8_S5_lS8_S5_lS6_PT9_S5_li
                                        ; -- End function
	.set _ZL37rocblas_syrkx_herkx_restricted_kernelIldLi16ELi32ELi8ELb1ELb0ELc84ELc76EKPKdKPdEviT_T0_PT8_S5_lS8_S5_lS6_PT9_S5_li.num_vgpr, 36
	.set _ZL37rocblas_syrkx_herkx_restricted_kernelIldLi16ELi32ELi8ELb1ELb0ELc84ELc76EKPKdKPdEviT_T0_PT8_S5_lS8_S5_lS6_PT9_S5_li.num_agpr, 0
	.set _ZL37rocblas_syrkx_herkx_restricted_kernelIldLi16ELi32ELi8ELb1ELb0ELc84ELc76EKPKdKPdEviT_T0_PT8_S5_lS8_S5_lS6_PT9_S5_li.numbered_sgpr, 28
	.set _ZL37rocblas_syrkx_herkx_restricted_kernelIldLi16ELi32ELi8ELb1ELb0ELc84ELc76EKPKdKPdEviT_T0_PT8_S5_lS8_S5_lS6_PT9_S5_li.num_named_barrier, 0
	.set _ZL37rocblas_syrkx_herkx_restricted_kernelIldLi16ELi32ELi8ELb1ELb0ELc84ELc76EKPKdKPdEviT_T0_PT8_S5_lS8_S5_lS6_PT9_S5_li.private_seg_size, 0
	.set _ZL37rocblas_syrkx_herkx_restricted_kernelIldLi16ELi32ELi8ELb1ELb0ELc84ELc76EKPKdKPdEviT_T0_PT8_S5_lS8_S5_lS6_PT9_S5_li.uses_vcc, 1
	.set _ZL37rocblas_syrkx_herkx_restricted_kernelIldLi16ELi32ELi8ELb1ELb0ELc84ELc76EKPKdKPdEviT_T0_PT8_S5_lS8_S5_lS6_PT9_S5_li.uses_flat_scratch, 0
	.set _ZL37rocblas_syrkx_herkx_restricted_kernelIldLi16ELi32ELi8ELb1ELb0ELc84ELc76EKPKdKPdEviT_T0_PT8_S5_lS8_S5_lS6_PT9_S5_li.has_dyn_sized_stack, 0
	.set _ZL37rocblas_syrkx_herkx_restricted_kernelIldLi16ELi32ELi8ELb1ELb0ELc84ELc76EKPKdKPdEviT_T0_PT8_S5_lS8_S5_lS6_PT9_S5_li.has_recursion, 0
	.set _ZL37rocblas_syrkx_herkx_restricted_kernelIldLi16ELi32ELi8ELb1ELb0ELc84ELc76EKPKdKPdEviT_T0_PT8_S5_lS8_S5_lS6_PT9_S5_li.has_indirect_call, 0
	.section	.AMDGPU.csdata,"",@progbits
; Kernel info:
; codeLenInByte = 1340
; TotalNumSgprs: 32
; NumVgprs: 36
; ScratchSize: 0
; MemoryBound: 0
; FloatMode: 240
; IeeeMode: 1
; LDSByteSize: 4096 bytes/workgroup (compile time only)
; SGPRBlocks: 3
; VGPRBlocks: 8
; NumSGPRsForWavesPerEU: 32
; NumVGPRsForWavesPerEU: 36
; Occupancy: 7
; WaveLimiterHint : 1
; COMPUTE_PGM_RSRC2:SCRATCH_EN: 0
; COMPUTE_PGM_RSRC2:USER_SGPR: 6
; COMPUTE_PGM_RSRC2:TRAP_HANDLER: 0
; COMPUTE_PGM_RSRC2:TGID_X_EN: 1
; COMPUTE_PGM_RSRC2:TGID_Y_EN: 1
; COMPUTE_PGM_RSRC2:TGID_Z_EN: 1
; COMPUTE_PGM_RSRC2:TIDIG_COMP_CNT: 1
	.section	.text._ZL37rocblas_syrkx_herkx_restricted_kernelIldLi16ELi32ELi8ELb1ELb0ELc67ELc76EKPKdKPdEviT_T0_PT8_S5_lS8_S5_lS6_PT9_S5_li,"axG",@progbits,_ZL37rocblas_syrkx_herkx_restricted_kernelIldLi16ELi32ELi8ELb1ELb0ELc67ELc76EKPKdKPdEviT_T0_PT8_S5_lS8_S5_lS6_PT9_S5_li,comdat
	.globl	_ZL37rocblas_syrkx_herkx_restricted_kernelIldLi16ELi32ELi8ELb1ELb0ELc67ELc76EKPKdKPdEviT_T0_PT8_S5_lS8_S5_lS6_PT9_S5_li ; -- Begin function _ZL37rocblas_syrkx_herkx_restricted_kernelIldLi16ELi32ELi8ELb1ELb0ELc67ELc76EKPKdKPdEviT_T0_PT8_S5_lS8_S5_lS6_PT9_S5_li
	.p2align	8
	.type	_ZL37rocblas_syrkx_herkx_restricted_kernelIldLi16ELi32ELi8ELb1ELb0ELc67ELc76EKPKdKPdEviT_T0_PT8_S5_lS8_S5_lS6_PT9_S5_li,@function
_ZL37rocblas_syrkx_herkx_restricted_kernelIldLi16ELi32ELi8ELb1ELb0ELc67ELc76EKPKdKPdEviT_T0_PT8_S5_lS8_S5_lS6_PT9_S5_li: ; @_ZL37rocblas_syrkx_herkx_restricted_kernelIldLi16ELi32ELi8ELb1ELb0ELc67ELc76EKPKdKPdEviT_T0_PT8_S5_lS8_S5_lS6_PT9_S5_li
; %bb.0:
	s_load_dwordx4 s[20:23], s[4:5], 0x50
	s_load_dwordx8 s[12:19], s[4:5], 0x8
	s_mov_b32 s9, 0
	s_lshl_b64 s[0:1], s[8:9], 3
	s_waitcnt lgkmcnt(0)
	s_add_u32 s2, s20, s0
	s_addc_u32 s3, s21, s1
	s_load_dwordx2 s[8:9], s[2:3], 0x0
	v_cmp_lt_i64_e64 s[2:3], s[12:13], 1
	s_lshl_b32 s6, s6, 5
	s_lshl_b32 s7, s7, 5
	s_and_b64 vcc, exec, s[2:3]
	s_cbranch_vccnz .LBB1490_3
; %bb.1:
	s_load_dwordx4 s[24:27], s[4:5], 0x30
	v_lshl_add_u32 v3, v1, 4, v0
	v_and_b32_e32 v7, 31, v3
	v_lshrrev_b32_e32 v6, 3, v3
	v_lshrrev_b32_e32 v2, 5, v3
	v_and_b32_e32 v4, 7, v0
	v_lshlrev_b32_e32 v10, 3, v7
	v_add_u32_e32 v8, s7, v6
	v_lshl_or_b32 v14, v2, 8, v10
	v_lshlrev_b32_e32 v10, 3, v4
	v_ashrrev_i32_e32 v9, 31, v8
	v_mov_b32_e32 v5, 0
	v_lshl_or_b32 v6, v6, 6, v10
	v_mov_b32_e32 v3, v5
	v_add_u32_e32 v15, 0x800, v6
	s_waitcnt lgkmcnt(0)
	v_mul_lo_u32 v6, s26, v9
	v_mul_lo_u32 v9, s27, v8
	v_mad_u64_u32 v[4:5], s[10:11], s26, v8, v[4:5]
	s_add_u32 s2, s16, s0
	s_addc_u32 s3, s17, s1
	s_add_u32 s0, s24, s0
	s_addc_u32 s1, s25, s1
	v_add3_u32 v5, v9, v5, v6
	v_add_u32_e32 v9, s6, v7
	s_load_dwordx2 s[0:1], s[0:1], 0x0
	v_ashrrev_i32_e32 v6, 31, v9
	v_mul_lo_u32 v10, s18, v6
	v_mad_u64_u32 v[6:7], s[10:11], s18, v9, v[2:3]
	v_mul_lo_u32 v9, s19, v9
	s_load_dwordx2 s[2:3], s[2:3], 0x0
	v_lshlrev_b64 v[4:5], 3, v[4:5]
	v_mov_b32_e32 v8, 0x800
	v_lshl_add_u32 v17, v1, 6, v8
	s_waitcnt lgkmcnt(0)
	v_mov_b32_e32 v8, s1
	v_add_co_u32_e32 v2, vcc, s0, v4
	v_add3_u32 v7, v9, v7, v10
	v_addc_co_u32_e32 v3, vcc, v8, v5, vcc
	v_lshlrev_b64 v[4:5], 3, v[6:7]
	v_mov_b32_e32 v6, s3
	v_add_co_u32_e32 v4, vcc, s2, v4
	v_addc_co_u32_e32 v5, vcc, v6, v5, vcc
	v_mov_b32_e32 v6, 0
	v_mov_b32_e32 v8, 0
	v_mov_b32_e32 v10, 0
	v_mov_b32_e32 v12, 0
	v_lshlrev_b32_e32 v16, 3, v0
	v_mov_b32_e32 v7, 0
	v_mov_b32_e32 v9, 0
	;; [unrolled: 1-line block ×4, first 2 shown]
	s_mov_b64 s[2:3], 0
.LBB1490_2:                             ; =>This Inner Loop Header: Depth=1
	flat_load_dwordx2 v[18:19], v[4:5]
	s_add_u32 s2, s2, 8
	s_addc_u32 s3, s3, 0
	v_add_co_u32_e64 v4, s[0:1], 64, v4
	v_addc_co_u32_e64 v5, s[0:1], 0, v5, s[0:1]
	s_waitcnt vmcnt(0) lgkmcnt(0)
	ds_write_b64 v14, v[18:19]
	flat_load_dwordx2 v[18:19], v[2:3]
	v_add_co_u32_e64 v2, s[0:1], 64, v2
	v_addc_co_u32_e64 v3, s[0:1], 0, v3, s[0:1]
	s_waitcnt vmcnt(0) lgkmcnt(0)
	ds_write_b64 v15, v[18:19]
	s_waitcnt lgkmcnt(0)
	s_barrier
	ds_read2_b64 v[18:21], v16 offset1:16
	ds_read_b128 v[22:25], v17
	ds_read_b128 v[26:29], v17 offset:1024
	ds_read_b128 v[30:33], v17 offset:16
	s_waitcnt lgkmcnt(2)
	v_fma_f64 v[34:35], v[18:19], v[22:23], v[12:13]
	v_fma_f64 v[22:23], v[20:21], v[22:23], v[10:11]
	s_waitcnt lgkmcnt(1)
	v_fma_f64 v[18:19], v[18:19], v[26:27], v[8:9]
	v_fma_f64 v[20:21], v[20:21], v[26:27], v[6:7]
	ds_read2_b64 v[6:9], v16 offset0:32 offset1:48
	ds_read_b128 v[10:13], v17 offset:1040
	s_waitcnt lgkmcnt(1)
	v_fma_f64 v[26:27], v[6:7], v[24:25], v[34:35]
	v_fma_f64 v[22:23], v[8:9], v[24:25], v[22:23]
	;; [unrolled: 1-line block ×4, first 2 shown]
	ds_read2_b64 v[6:9], v16 offset0:64 offset1:80
	ds_read2_b64 v[18:21], v16 offset0:96 offset1:112
	s_waitcnt lgkmcnt(1)
	v_fma_f64 v[26:27], v[6:7], v[30:31], v[26:27]
	v_fma_f64 v[22:23], v[8:9], v[30:31], v[22:23]
	v_fma_f64 v[30:31], v[6:7], v[10:11], v[24:25]
	v_fma_f64 v[10:11], v[8:9], v[10:11], v[28:29]
	ds_read2_b64 v[6:9], v16 offset0:128 offset1:144
	s_waitcnt lgkmcnt(1)
	v_fma_f64 v[26:27], v[18:19], v[32:33], v[26:27]
	v_fma_f64 v[28:29], v[20:21], v[32:33], v[22:23]
	;; [unrolled: 1-line block ×4, first 2 shown]
	ds_read_b128 v[22:25], v17 offset:32
	ds_read_b128 v[10:13], v17 offset:1056
	;; [unrolled: 1-line block ×3, first 2 shown]
	s_waitcnt lgkmcnt(2)
	v_fma_f64 v[34:35], v[6:7], v[22:23], v[26:27]
	v_fma_f64 v[22:23], v[8:9], v[22:23], v[28:29]
	s_waitcnt lgkmcnt(1)
	v_fma_f64 v[30:31], v[6:7], v[10:11], v[30:31]
	v_fma_f64 v[10:11], v[8:9], v[10:11], v[32:33]
	ds_read2_b64 v[6:9], v16 offset0:160 offset1:176
	ds_read_b128 v[26:29], v17 offset:1072
	s_waitcnt lgkmcnt(1)
	v_fma_f64 v[32:33], v[6:7], v[24:25], v[34:35]
	v_fma_f64 v[22:23], v[8:9], v[24:25], v[22:23]
	v_mov_b32_e32 v25, s3
	v_mov_b32_e32 v24, s2
	v_cmp_le_u64_e32 vcc, s[12:13], v[24:25]
	v_fma_f64 v[24:25], v[6:7], v[12:13], v[30:31]
	v_fma_f64 v[10:11], v[8:9], v[12:13], v[10:11]
	ds_read2_b64 v[6:9], v16 offset0:192 offset1:208
	s_and_b64 vcc, exec, vcc
	s_waitcnt lgkmcnt(0)
	v_fma_f64 v[12:13], v[6:7], v[18:19], v[32:33]
	v_fma_f64 v[18:19], v[8:9], v[18:19], v[22:23]
	v_fma_f64 v[6:7], v[6:7], v[26:27], v[24:25]
	v_fma_f64 v[26:27], v[8:9], v[26:27], v[10:11]
	ds_read2_b64 v[22:25], v16 offset0:224 offset1:240
	s_waitcnt lgkmcnt(0)
	s_barrier
	v_fma_f64 v[12:13], v[22:23], v[20:21], v[12:13]
	v_fma_f64 v[10:11], v[24:25], v[20:21], v[18:19]
	;; [unrolled: 1-line block ×4, first 2 shown]
	s_cbranch_vccz .LBB1490_2
	s_branch .LBB1490_4
.LBB1490_3:
	v_mov_b32_e32 v12, 0
	v_mov_b32_e32 v10, 0
	;; [unrolled: 1-line block ×8, first 2 shown]
.LBB1490_4:
	v_add_u32_e32 v4, s7, v1
	v_ashrrev_i32_e32 v1, 31, v4
	v_mul_lo_u32 v3, s22, v1
	v_mul_lo_u32 v5, s23, v4
	v_mad_u64_u32 v[1:2], s[0:1], s22, v4, 0
	s_load_dword s4, s[4:5], 0x0
	v_add_u32_e32 v0, s6, v0
	v_add3_u32 v2, v2, v3, v5
	v_lshlrev_b64 v[1:2], 3, v[1:2]
	s_waitcnt lgkmcnt(0)
	v_mov_b32_e32 v3, s9
	v_add_co_u32_e32 v5, vcc, s8, v1
	v_addc_co_u32_e32 v14, vcc, v3, v2, vcc
	v_cmp_le_i32_e64 s[0:1], v4, v0
	v_cmp_gt_i32_e32 vcc, s4, v0
	s_and_b64 s[0:1], s[0:1], vcc
	s_and_saveexec_b64 s[2:3], s[0:1]
	s_cbranch_execz .LBB1490_6
; %bb.5:
	v_mul_f64 v[2:3], s[14:15], v[12:13]
	v_ashrrev_i32_e32 v1, 31, v0
	v_lshlrev_b64 v[12:13], 3, v[0:1]
	v_add_co_u32_e64 v12, s[0:1], v5, v12
	v_addc_co_u32_e64 v13, s[0:1], v14, v13, s[0:1]
	flat_store_dwordx2 v[12:13], v[2:3]
.LBB1490_6:
	s_or_b64 exec, exec, s[2:3]
	v_add_u32_e32 v2, 16, v0
	v_cmp_le_i32_e64 s[2:3], v4, v2
	v_cmp_gt_i32_e64 s[0:1], s4, v2
	s_and_b64 s[2:3], s[2:3], s[0:1]
	s_and_saveexec_b64 s[4:5], s[2:3]
	s_cbranch_execz .LBB1490_8
; %bb.7:
	v_mul_f64 v[10:11], s[14:15], v[10:11]
	v_ashrrev_i32_e32 v3, 31, v2
	v_lshlrev_b64 v[12:13], 3, v[2:3]
	v_add_co_u32_e64 v12, s[2:3], v5, v12
	v_addc_co_u32_e64 v13, s[2:3], v14, v13, s[2:3]
	flat_store_dwordx2 v[12:13], v[10:11]
.LBB1490_8:
	s_or_b64 exec, exec, s[4:5]
	v_add_u32_e32 v3, 16, v4
	v_ashrrev_i32_e32 v1, 31, v3
	v_mul_lo_u32 v10, s23, v3
	v_mad_u64_u32 v[4:5], s[2:3], s22, v3, 0
	v_mul_lo_u32 v1, s22, v1
	v_add3_u32 v5, v5, v1, v10
	v_lshlrev_b64 v[4:5], 3, v[4:5]
	v_mov_b32_e32 v1, s9
	v_add_co_u32_e64 v4, s[2:3], s8, v4
	v_addc_co_u32_e64 v5, s[2:3], v1, v5, s[2:3]
	v_cmp_le_i32_e64 s[2:3], v3, v0
	s_and_b64 s[4:5], s[2:3], vcc
	s_and_saveexec_b64 s[2:3], s[4:5]
	s_cbranch_execz .LBB1490_10
; %bb.9:
	v_mul_f64 v[8:9], s[14:15], v[8:9]
	v_ashrrev_i32_e32 v1, 31, v0
	v_lshlrev_b64 v[0:1], 3, v[0:1]
	v_add_co_u32_e32 v0, vcc, v4, v0
	v_addc_co_u32_e32 v1, vcc, v5, v1, vcc
	flat_store_dwordx2 v[0:1], v[8:9]
.LBB1490_10:
	s_or_b64 exec, exec, s[2:3]
	v_cmp_le_i32_e32 vcc, v3, v2
	s_and_b64 s[0:1], vcc, s[0:1]
	s_and_saveexec_b64 s[2:3], s[0:1]
	s_cbranch_execz .LBB1490_12
; %bb.11:
	v_mul_f64 v[0:1], s[14:15], v[6:7]
	v_ashrrev_i32_e32 v3, 31, v2
	v_lshlrev_b64 v[2:3], 3, v[2:3]
	v_add_co_u32_e32 v2, vcc, v4, v2
	v_addc_co_u32_e32 v3, vcc, v5, v3, vcc
	flat_store_dwordx2 v[2:3], v[0:1]
.LBB1490_12:
	s_endpgm
	.section	.rodata,"a",@progbits
	.p2align	6, 0x0
	.amdhsa_kernel _ZL37rocblas_syrkx_herkx_restricted_kernelIldLi16ELi32ELi8ELb1ELb0ELc67ELc76EKPKdKPdEviT_T0_PT8_S5_lS8_S5_lS6_PT9_S5_li
		.amdhsa_group_segment_fixed_size 4096
		.amdhsa_private_segment_fixed_size 0
		.amdhsa_kernarg_size 108
		.amdhsa_user_sgpr_count 6
		.amdhsa_user_sgpr_private_segment_buffer 1
		.amdhsa_user_sgpr_dispatch_ptr 0
		.amdhsa_user_sgpr_queue_ptr 0
		.amdhsa_user_sgpr_kernarg_segment_ptr 1
		.amdhsa_user_sgpr_dispatch_id 0
		.amdhsa_user_sgpr_flat_scratch_init 0
		.amdhsa_user_sgpr_private_segment_size 0
		.amdhsa_uses_dynamic_stack 0
		.amdhsa_system_sgpr_private_segment_wavefront_offset 0
		.amdhsa_system_sgpr_workgroup_id_x 1
		.amdhsa_system_sgpr_workgroup_id_y 1
		.amdhsa_system_sgpr_workgroup_id_z 1
		.amdhsa_system_sgpr_workgroup_info 0
		.amdhsa_system_vgpr_workitem_id 1
		.amdhsa_next_free_vgpr 36
		.amdhsa_next_free_sgpr 28
		.amdhsa_reserve_vcc 1
		.amdhsa_reserve_flat_scratch 0
		.amdhsa_float_round_mode_32 0
		.amdhsa_float_round_mode_16_64 0
		.amdhsa_float_denorm_mode_32 3
		.amdhsa_float_denorm_mode_16_64 3
		.amdhsa_dx10_clamp 1
		.amdhsa_ieee_mode 1
		.amdhsa_fp16_overflow 0
		.amdhsa_exception_fp_ieee_invalid_op 0
		.amdhsa_exception_fp_denorm_src 0
		.amdhsa_exception_fp_ieee_div_zero 0
		.amdhsa_exception_fp_ieee_overflow 0
		.amdhsa_exception_fp_ieee_underflow 0
		.amdhsa_exception_fp_ieee_inexact 0
		.amdhsa_exception_int_div_zero 0
	.end_amdhsa_kernel
	.section	.text._ZL37rocblas_syrkx_herkx_restricted_kernelIldLi16ELi32ELi8ELb1ELb0ELc67ELc76EKPKdKPdEviT_T0_PT8_S5_lS8_S5_lS6_PT9_S5_li,"axG",@progbits,_ZL37rocblas_syrkx_herkx_restricted_kernelIldLi16ELi32ELi8ELb1ELb0ELc67ELc76EKPKdKPdEviT_T0_PT8_S5_lS8_S5_lS6_PT9_S5_li,comdat
.Lfunc_end1490:
	.size	_ZL37rocblas_syrkx_herkx_restricted_kernelIldLi16ELi32ELi8ELb1ELb0ELc67ELc76EKPKdKPdEviT_T0_PT8_S5_lS8_S5_lS6_PT9_S5_li, .Lfunc_end1490-_ZL37rocblas_syrkx_herkx_restricted_kernelIldLi16ELi32ELi8ELb1ELb0ELc67ELc76EKPKdKPdEviT_T0_PT8_S5_lS8_S5_lS6_PT9_S5_li
                                        ; -- End function
	.set _ZL37rocblas_syrkx_herkx_restricted_kernelIldLi16ELi32ELi8ELb1ELb0ELc67ELc76EKPKdKPdEviT_T0_PT8_S5_lS8_S5_lS6_PT9_S5_li.num_vgpr, 36
	.set _ZL37rocblas_syrkx_herkx_restricted_kernelIldLi16ELi32ELi8ELb1ELb0ELc67ELc76EKPKdKPdEviT_T0_PT8_S5_lS8_S5_lS6_PT9_S5_li.num_agpr, 0
	.set _ZL37rocblas_syrkx_herkx_restricted_kernelIldLi16ELi32ELi8ELb1ELb0ELc67ELc76EKPKdKPdEviT_T0_PT8_S5_lS8_S5_lS6_PT9_S5_li.numbered_sgpr, 28
	.set _ZL37rocblas_syrkx_herkx_restricted_kernelIldLi16ELi32ELi8ELb1ELb0ELc67ELc76EKPKdKPdEviT_T0_PT8_S5_lS8_S5_lS6_PT9_S5_li.num_named_barrier, 0
	.set _ZL37rocblas_syrkx_herkx_restricted_kernelIldLi16ELi32ELi8ELb1ELb0ELc67ELc76EKPKdKPdEviT_T0_PT8_S5_lS8_S5_lS6_PT9_S5_li.private_seg_size, 0
	.set _ZL37rocblas_syrkx_herkx_restricted_kernelIldLi16ELi32ELi8ELb1ELb0ELc67ELc76EKPKdKPdEviT_T0_PT8_S5_lS8_S5_lS6_PT9_S5_li.uses_vcc, 1
	.set _ZL37rocblas_syrkx_herkx_restricted_kernelIldLi16ELi32ELi8ELb1ELb0ELc67ELc76EKPKdKPdEviT_T0_PT8_S5_lS8_S5_lS6_PT9_S5_li.uses_flat_scratch, 0
	.set _ZL37rocblas_syrkx_herkx_restricted_kernelIldLi16ELi32ELi8ELb1ELb0ELc67ELc76EKPKdKPdEviT_T0_PT8_S5_lS8_S5_lS6_PT9_S5_li.has_dyn_sized_stack, 0
	.set _ZL37rocblas_syrkx_herkx_restricted_kernelIldLi16ELi32ELi8ELb1ELb0ELc67ELc76EKPKdKPdEviT_T0_PT8_S5_lS8_S5_lS6_PT9_S5_li.has_recursion, 0
	.set _ZL37rocblas_syrkx_herkx_restricted_kernelIldLi16ELi32ELi8ELb1ELb0ELc67ELc76EKPKdKPdEviT_T0_PT8_S5_lS8_S5_lS6_PT9_S5_li.has_indirect_call, 0
	.section	.AMDGPU.csdata,"",@progbits
; Kernel info:
; codeLenInByte = 1340
; TotalNumSgprs: 32
; NumVgprs: 36
; ScratchSize: 0
; MemoryBound: 0
; FloatMode: 240
; IeeeMode: 1
; LDSByteSize: 4096 bytes/workgroup (compile time only)
; SGPRBlocks: 3
; VGPRBlocks: 8
; NumSGPRsForWavesPerEU: 32
; NumVGPRsForWavesPerEU: 36
; Occupancy: 7
; WaveLimiterHint : 1
; COMPUTE_PGM_RSRC2:SCRATCH_EN: 0
; COMPUTE_PGM_RSRC2:USER_SGPR: 6
; COMPUTE_PGM_RSRC2:TRAP_HANDLER: 0
; COMPUTE_PGM_RSRC2:TGID_X_EN: 1
; COMPUTE_PGM_RSRC2:TGID_Y_EN: 1
; COMPUTE_PGM_RSRC2:TGID_Z_EN: 1
; COMPUTE_PGM_RSRC2:TIDIG_COMP_CNT: 1
	.section	.text._ZL37rocblas_syrkx_herkx_restricted_kernelIldLi16ELi32ELi8ELb1ELb0ELc78ELc76EKPKdKPdEviT_T0_PT8_S5_lS8_S5_lS6_PT9_S5_li,"axG",@progbits,_ZL37rocblas_syrkx_herkx_restricted_kernelIldLi16ELi32ELi8ELb1ELb0ELc78ELc76EKPKdKPdEviT_T0_PT8_S5_lS8_S5_lS6_PT9_S5_li,comdat
	.globl	_ZL37rocblas_syrkx_herkx_restricted_kernelIldLi16ELi32ELi8ELb1ELb0ELc78ELc76EKPKdKPdEviT_T0_PT8_S5_lS8_S5_lS6_PT9_S5_li ; -- Begin function _ZL37rocblas_syrkx_herkx_restricted_kernelIldLi16ELi32ELi8ELb1ELb0ELc78ELc76EKPKdKPdEviT_T0_PT8_S5_lS8_S5_lS6_PT9_S5_li
	.p2align	8
	.type	_ZL37rocblas_syrkx_herkx_restricted_kernelIldLi16ELi32ELi8ELb1ELb0ELc78ELc76EKPKdKPdEviT_T0_PT8_S5_lS8_S5_lS6_PT9_S5_li,@function
_ZL37rocblas_syrkx_herkx_restricted_kernelIldLi16ELi32ELi8ELb1ELb0ELc78ELc76EKPKdKPdEviT_T0_PT8_S5_lS8_S5_lS6_PT9_S5_li: ; @_ZL37rocblas_syrkx_herkx_restricted_kernelIldLi16ELi32ELi8ELb1ELb0ELc78ELc76EKPKdKPdEviT_T0_PT8_S5_lS8_S5_lS6_PT9_S5_li
; %bb.0:
	s_load_dwordx4 s[20:23], s[4:5], 0x50
	s_load_dwordx8 s[12:19], s[4:5], 0x8
	s_mov_b32 s9, 0
	s_lshl_b64 s[10:11], s[8:9], 3
	s_waitcnt lgkmcnt(0)
	s_add_u32 s0, s20, s10
	s_addc_u32 s1, s21, s11
	s_load_dwordx2 s[8:9], s[0:1], 0x0
	v_cmp_lt_i64_e64 s[0:1], s[12:13], 1
	s_lshl_b32 s20, s6, 5
	s_lshl_b32 s21, s7, 5
	s_and_b64 vcc, exec, s[0:1]
	s_cbranch_vccnz .LBB1491_3
; %bb.1:
	s_load_dwordx4 s[0:3], s[4:5], 0x30
	v_lshl_add_u32 v2, v1, 4, v0
	s_add_u32 s6, s16, s10
	v_lshrrev_b32_e32 v4, 3, v2
	s_addc_u32 s7, s17, s11
	v_lshrrev_b32_e32 v6, 5, v2
	v_and_b32_e32 v7, 31, v2
	v_add_u32_e32 v2, s21, v4
	s_waitcnt lgkmcnt(0)
	s_add_u32 s0, s0, s10
	v_and_b32_e32 v5, 7, v0
	v_ashrrev_i32_e32 v3, 31, v2
	s_addc_u32 s1, s1, s11
	v_lshlrev_b32_e32 v8, 3, v7
	v_mad_u64_u32 v[2:3], s[10:11], s2, v5, v[2:3]
	v_lshl_or_b32 v14, v6, 8, v8
	v_lshlrev_b32_e32 v8, 3, v5
	v_lshl_or_b32 v4, v4, 6, v8
	v_add_u32_e32 v15, 0x800, v4
	v_mov_b32_e32 v4, 0x800
	v_lshl_add_u32 v17, v1, 6, v4
	v_mad_u64_u32 v[3:4], s[10:11], s3, v5, v[3:4]
	v_add_u32_e32 v4, s20, v7
	v_ashrrev_i32_e32 v5, 31, v4
	v_mad_u64_u32 v[4:5], s[10:11], s18, v6, v[4:5]
	s_load_dwordx2 s[0:1], s[0:1], 0x0
	v_lshlrev_b64 v[2:3], 3, v[2:3]
	v_mad_u64_u32 v[5:6], s[10:11], s19, v6, v[5:6]
	s_load_dwordx2 s[6:7], s[6:7], 0x0
	s_waitcnt lgkmcnt(0)
	v_mov_b32_e32 v7, s1
	v_add_co_u32_e32 v2, vcc, s0, v2
	v_lshlrev_b64 v[4:5], 3, v[4:5]
	v_addc_co_u32_e32 v3, vcc, v7, v3, vcc
	v_mov_b32_e32 v7, s7
	v_add_co_u32_e32 v6, vcc, s6, v4
	s_lshl_b64 s[2:3], s[2:3], 6
	v_addc_co_u32_e32 v7, vcc, v7, v5, vcc
	s_lshl_b64 s[6:7], s[18:19], 6
	v_mov_b32_e32 v4, 0
	v_mov_b32_e32 v8, 0
	;; [unrolled: 1-line block ×4, first 2 shown]
	v_lshlrev_b32_e32 v16, 3, v0
	v_mov_b32_e32 v5, 0
	s_mov_b64 s[10:11], 0
	v_mov_b32_e32 v18, s3
	v_mov_b32_e32 v9, 0
	;; [unrolled: 1-line block ×5, first 2 shown]
.LBB1491_2:                             ; =>This Inner Loop Header: Depth=1
	flat_load_dwordx2 v[20:21], v[6:7]
	s_add_u32 s10, s10, 8
	v_add_co_u32_e32 v6, vcc, s6, v6
	s_addc_u32 s11, s11, 0
	v_addc_co_u32_e32 v7, vcc, v7, v19, vcc
	s_waitcnt vmcnt(0) lgkmcnt(0)
	ds_write_b64 v14, v[20:21]
	flat_load_dwordx2 v[20:21], v[2:3]
	v_add_co_u32_e64 v2, s[0:1], s2, v2
	v_addc_co_u32_e64 v3, s[0:1], v3, v18, s[0:1]
	s_waitcnt vmcnt(0) lgkmcnt(0)
	ds_write_b64 v15, v[20:21]
	s_waitcnt lgkmcnt(0)
	s_barrier
	ds_read2_b64 v[20:23], v16 offset1:16
	ds_read_b128 v[24:27], v17
	ds_read_b128 v[28:31], v17 offset:16
	s_waitcnt lgkmcnt(1)
	v_fma_f64 v[36:37], v[20:21], v[24:25], v[12:13]
	v_fma_f64 v[24:25], v[22:23], v[24:25], v[10:11]
	ds_read_b128 v[10:13], v17 offset:1024
	ds_read_b128 v[32:35], v17 offset:1040
	s_waitcnt lgkmcnt(1)
	v_fma_f64 v[20:21], v[20:21], v[10:11], v[8:9]
	v_fma_f64 v[4:5], v[22:23], v[10:11], v[4:5]
	ds_read2_b64 v[8:11], v16 offset0:32 offset1:48
	s_waitcnt lgkmcnt(0)
	v_fma_f64 v[22:23], v[8:9], v[26:27], v[36:37]
	v_fma_f64 v[24:25], v[10:11], v[26:27], v[24:25]
	v_fma_f64 v[20:21], v[8:9], v[12:13], v[20:21]
	v_fma_f64 v[4:5], v[10:11], v[12:13], v[4:5]
	ds_read2_b64 v[8:11], v16 offset0:64 offset1:80
	s_waitcnt lgkmcnt(0)
	v_fma_f64 v[12:13], v[8:9], v[28:29], v[22:23]
	v_fma_f64 v[22:23], v[10:11], v[28:29], v[24:25]
	;; [unrolled: 6-line block ×3, first 2 shown]
	ds_read2_b64 v[20:23], v16 offset0:128 offset1:144
	v_fma_f64 v[36:37], v[8:9], v[34:35], v[24:25]
	v_fma_f64 v[4:5], v[10:11], v[34:35], v[4:5]
	ds_read_b128 v[8:11], v17 offset:32
	ds_read_b128 v[24:27], v17 offset:48
	s_waitcnt lgkmcnt(1)
	v_fma_f64 v[12:13], v[20:21], v[8:9], v[12:13]
	v_fma_f64 v[8:9], v[22:23], v[8:9], v[28:29]
	ds_read_b128 v[28:31], v17 offset:1056
	ds_read_b128 v[32:35], v17 offset:1072
	s_waitcnt lgkmcnt(1)
	v_fma_f64 v[36:37], v[20:21], v[28:29], v[36:37]
	v_fma_f64 v[4:5], v[22:23], v[28:29], v[4:5]
	ds_read2_b64 v[20:23], v16 offset0:160 offset1:176
	s_waitcnt lgkmcnt(0)
	v_fma_f64 v[12:13], v[20:21], v[10:11], v[12:13]
	v_fma_f64 v[28:29], v[22:23], v[10:11], v[8:9]
	v_fma_f64 v[20:21], v[20:21], v[30:31], v[36:37]
	v_fma_f64 v[4:5], v[22:23], v[30:31], v[4:5]
	v_mov_b32_e32 v8, s10
	v_mov_b32_e32 v9, s11
	v_cmp_le_u64_e32 vcc, s[12:13], v[8:9]
	ds_read2_b64 v[8:11], v16 offset0:192 offset1:208
	s_and_b64 vcc, exec, vcc
	s_waitcnt lgkmcnt(0)
	v_fma_f64 v[12:13], v[8:9], v[24:25], v[12:13]
	v_fma_f64 v[24:25], v[10:11], v[24:25], v[28:29]
	;; [unrolled: 1-line block ×4, first 2 shown]
	ds_read2_b64 v[20:23], v16 offset0:224 offset1:240
	s_waitcnt lgkmcnt(0)
	s_barrier
	v_fma_f64 v[12:13], v[20:21], v[26:27], v[12:13]
	v_fma_f64 v[10:11], v[22:23], v[26:27], v[24:25]
	;; [unrolled: 1-line block ×4, first 2 shown]
	s_cbranch_vccz .LBB1491_2
	s_branch .LBB1491_4
.LBB1491_3:
	v_mov_b32_e32 v12, 0
	v_mov_b32_e32 v10, 0
	v_mov_b32_e32 v8, 0
	v_mov_b32_e32 v4, 0
	v_mov_b32_e32 v13, 0
	v_mov_b32_e32 v11, 0
	v_mov_b32_e32 v9, 0
	v_mov_b32_e32 v5, 0
.LBB1491_4:
	v_add_u32_e32 v6, s21, v1
	v_ashrrev_i32_e32 v1, 31, v6
	v_mul_lo_u32 v3, s22, v1
	v_mul_lo_u32 v7, s23, v6
	v_mad_u64_u32 v[1:2], s[0:1], s22, v6, 0
	s_load_dword s4, s[4:5], 0x0
	v_add_u32_e32 v0, s20, v0
	v_add3_u32 v2, v2, v3, v7
	v_lshlrev_b64 v[1:2], 3, v[1:2]
	s_waitcnt lgkmcnt(0)
	v_mov_b32_e32 v3, s9
	v_add_co_u32_e32 v7, vcc, s8, v1
	v_addc_co_u32_e32 v14, vcc, v3, v2, vcc
	v_cmp_le_i32_e64 s[0:1], v6, v0
	v_cmp_gt_i32_e32 vcc, s4, v0
	s_and_b64 s[0:1], s[0:1], vcc
	s_and_saveexec_b64 s[2:3], s[0:1]
	s_cbranch_execz .LBB1491_6
; %bb.5:
	v_mul_f64 v[2:3], s[14:15], v[12:13]
	v_ashrrev_i32_e32 v1, 31, v0
	v_lshlrev_b64 v[12:13], 3, v[0:1]
	v_add_co_u32_e64 v12, s[0:1], v7, v12
	v_addc_co_u32_e64 v13, s[0:1], v14, v13, s[0:1]
	flat_store_dwordx2 v[12:13], v[2:3]
.LBB1491_6:
	s_or_b64 exec, exec, s[2:3]
	v_add_u32_e32 v2, 16, v0
	v_cmp_le_i32_e64 s[2:3], v6, v2
	v_cmp_gt_i32_e64 s[0:1], s4, v2
	s_and_b64 s[2:3], s[2:3], s[0:1]
	s_and_saveexec_b64 s[4:5], s[2:3]
	s_cbranch_execz .LBB1491_8
; %bb.7:
	v_mul_f64 v[10:11], s[14:15], v[10:11]
	v_ashrrev_i32_e32 v3, 31, v2
	v_lshlrev_b64 v[12:13], 3, v[2:3]
	v_add_co_u32_e64 v12, s[2:3], v7, v12
	v_addc_co_u32_e64 v13, s[2:3], v14, v13, s[2:3]
	flat_store_dwordx2 v[12:13], v[10:11]
.LBB1491_8:
	s_or_b64 exec, exec, s[4:5]
	v_add_u32_e32 v3, 16, v6
	v_ashrrev_i32_e32 v1, 31, v3
	v_mul_lo_u32 v10, s23, v3
	v_mad_u64_u32 v[6:7], s[2:3], s22, v3, 0
	v_mul_lo_u32 v1, s22, v1
	v_add3_u32 v7, v7, v1, v10
	v_lshlrev_b64 v[6:7], 3, v[6:7]
	v_mov_b32_e32 v1, s9
	v_add_co_u32_e64 v6, s[2:3], s8, v6
	v_addc_co_u32_e64 v7, s[2:3], v1, v7, s[2:3]
	v_cmp_le_i32_e64 s[2:3], v3, v0
	s_and_b64 s[4:5], s[2:3], vcc
	s_and_saveexec_b64 s[2:3], s[4:5]
	s_cbranch_execz .LBB1491_10
; %bb.9:
	v_mul_f64 v[8:9], s[14:15], v[8:9]
	v_ashrrev_i32_e32 v1, 31, v0
	v_lshlrev_b64 v[0:1], 3, v[0:1]
	v_add_co_u32_e32 v0, vcc, v6, v0
	v_addc_co_u32_e32 v1, vcc, v7, v1, vcc
	flat_store_dwordx2 v[0:1], v[8:9]
.LBB1491_10:
	s_or_b64 exec, exec, s[2:3]
	v_cmp_le_i32_e32 vcc, v3, v2
	s_and_b64 s[0:1], vcc, s[0:1]
	s_and_saveexec_b64 s[2:3], s[0:1]
	s_cbranch_execz .LBB1491_12
; %bb.11:
	v_mul_f64 v[0:1], s[14:15], v[4:5]
	v_ashrrev_i32_e32 v3, 31, v2
	v_lshlrev_b64 v[2:3], 3, v[2:3]
	v_add_co_u32_e32 v2, vcc, v6, v2
	v_addc_co_u32_e32 v3, vcc, v7, v3, vcc
	flat_store_dwordx2 v[2:3], v[0:1]
.LBB1491_12:
	s_endpgm
	.section	.rodata,"a",@progbits
	.p2align	6, 0x0
	.amdhsa_kernel _ZL37rocblas_syrkx_herkx_restricted_kernelIldLi16ELi32ELi8ELb1ELb0ELc78ELc76EKPKdKPdEviT_T0_PT8_S5_lS8_S5_lS6_PT9_S5_li
		.amdhsa_group_segment_fixed_size 4096
		.amdhsa_private_segment_fixed_size 0
		.amdhsa_kernarg_size 108
		.amdhsa_user_sgpr_count 6
		.amdhsa_user_sgpr_private_segment_buffer 1
		.amdhsa_user_sgpr_dispatch_ptr 0
		.amdhsa_user_sgpr_queue_ptr 0
		.amdhsa_user_sgpr_kernarg_segment_ptr 1
		.amdhsa_user_sgpr_dispatch_id 0
		.amdhsa_user_sgpr_flat_scratch_init 0
		.amdhsa_user_sgpr_private_segment_size 0
		.amdhsa_uses_dynamic_stack 0
		.amdhsa_system_sgpr_private_segment_wavefront_offset 0
		.amdhsa_system_sgpr_workgroup_id_x 1
		.amdhsa_system_sgpr_workgroup_id_y 1
		.amdhsa_system_sgpr_workgroup_id_z 1
		.amdhsa_system_sgpr_workgroup_info 0
		.amdhsa_system_vgpr_workitem_id 1
		.amdhsa_next_free_vgpr 38
		.amdhsa_next_free_sgpr 24
		.amdhsa_reserve_vcc 1
		.amdhsa_reserve_flat_scratch 0
		.amdhsa_float_round_mode_32 0
		.amdhsa_float_round_mode_16_64 0
		.amdhsa_float_denorm_mode_32 3
		.amdhsa_float_denorm_mode_16_64 3
		.amdhsa_dx10_clamp 1
		.amdhsa_ieee_mode 1
		.amdhsa_fp16_overflow 0
		.amdhsa_exception_fp_ieee_invalid_op 0
		.amdhsa_exception_fp_denorm_src 0
		.amdhsa_exception_fp_ieee_div_zero 0
		.amdhsa_exception_fp_ieee_overflow 0
		.amdhsa_exception_fp_ieee_underflow 0
		.amdhsa_exception_fp_ieee_inexact 0
		.amdhsa_exception_int_div_zero 0
	.end_amdhsa_kernel
	.section	.text._ZL37rocblas_syrkx_herkx_restricted_kernelIldLi16ELi32ELi8ELb1ELb0ELc78ELc76EKPKdKPdEviT_T0_PT8_S5_lS8_S5_lS6_PT9_S5_li,"axG",@progbits,_ZL37rocblas_syrkx_herkx_restricted_kernelIldLi16ELi32ELi8ELb1ELb0ELc78ELc76EKPKdKPdEviT_T0_PT8_S5_lS8_S5_lS6_PT9_S5_li,comdat
.Lfunc_end1491:
	.size	_ZL37rocblas_syrkx_herkx_restricted_kernelIldLi16ELi32ELi8ELb1ELb0ELc78ELc76EKPKdKPdEviT_T0_PT8_S5_lS8_S5_lS6_PT9_S5_li, .Lfunc_end1491-_ZL37rocblas_syrkx_herkx_restricted_kernelIldLi16ELi32ELi8ELb1ELb0ELc78ELc76EKPKdKPdEviT_T0_PT8_S5_lS8_S5_lS6_PT9_S5_li
                                        ; -- End function
	.set _ZL37rocblas_syrkx_herkx_restricted_kernelIldLi16ELi32ELi8ELb1ELb0ELc78ELc76EKPKdKPdEviT_T0_PT8_S5_lS8_S5_lS6_PT9_S5_li.num_vgpr, 38
	.set _ZL37rocblas_syrkx_herkx_restricted_kernelIldLi16ELi32ELi8ELb1ELb0ELc78ELc76EKPKdKPdEviT_T0_PT8_S5_lS8_S5_lS6_PT9_S5_li.num_agpr, 0
	.set _ZL37rocblas_syrkx_herkx_restricted_kernelIldLi16ELi32ELi8ELb1ELb0ELc78ELc76EKPKdKPdEviT_T0_PT8_S5_lS8_S5_lS6_PT9_S5_li.numbered_sgpr, 24
	.set _ZL37rocblas_syrkx_herkx_restricted_kernelIldLi16ELi32ELi8ELb1ELb0ELc78ELc76EKPKdKPdEviT_T0_PT8_S5_lS8_S5_lS6_PT9_S5_li.num_named_barrier, 0
	.set _ZL37rocblas_syrkx_herkx_restricted_kernelIldLi16ELi32ELi8ELb1ELb0ELc78ELc76EKPKdKPdEviT_T0_PT8_S5_lS8_S5_lS6_PT9_S5_li.private_seg_size, 0
	.set _ZL37rocblas_syrkx_herkx_restricted_kernelIldLi16ELi32ELi8ELb1ELb0ELc78ELc76EKPKdKPdEviT_T0_PT8_S5_lS8_S5_lS6_PT9_S5_li.uses_vcc, 1
	.set _ZL37rocblas_syrkx_herkx_restricted_kernelIldLi16ELi32ELi8ELb1ELb0ELc78ELc76EKPKdKPdEviT_T0_PT8_S5_lS8_S5_lS6_PT9_S5_li.uses_flat_scratch, 0
	.set _ZL37rocblas_syrkx_herkx_restricted_kernelIldLi16ELi32ELi8ELb1ELb0ELc78ELc76EKPKdKPdEviT_T0_PT8_S5_lS8_S5_lS6_PT9_S5_li.has_dyn_sized_stack, 0
	.set _ZL37rocblas_syrkx_herkx_restricted_kernelIldLi16ELi32ELi8ELb1ELb0ELc78ELc76EKPKdKPdEviT_T0_PT8_S5_lS8_S5_lS6_PT9_S5_li.has_recursion, 0
	.set _ZL37rocblas_syrkx_herkx_restricted_kernelIldLi16ELi32ELi8ELb1ELb0ELc78ELc76EKPKdKPdEviT_T0_PT8_S5_lS8_S5_lS6_PT9_S5_li.has_indirect_call, 0
	.section	.AMDGPU.csdata,"",@progbits
; Kernel info:
; codeLenInByte = 1308
; TotalNumSgprs: 28
; NumVgprs: 38
; ScratchSize: 0
; MemoryBound: 0
; FloatMode: 240
; IeeeMode: 1
; LDSByteSize: 4096 bytes/workgroup (compile time only)
; SGPRBlocks: 3
; VGPRBlocks: 9
; NumSGPRsForWavesPerEU: 28
; NumVGPRsForWavesPerEU: 38
; Occupancy: 6
; WaveLimiterHint : 1
; COMPUTE_PGM_RSRC2:SCRATCH_EN: 0
; COMPUTE_PGM_RSRC2:USER_SGPR: 6
; COMPUTE_PGM_RSRC2:TRAP_HANDLER: 0
; COMPUTE_PGM_RSRC2:TGID_X_EN: 1
; COMPUTE_PGM_RSRC2:TGID_Y_EN: 1
; COMPUTE_PGM_RSRC2:TGID_Z_EN: 1
; COMPUTE_PGM_RSRC2:TIDIG_COMP_CNT: 1
	.section	.text._ZL37rocblas_syrkx_herkx_restricted_kernelIldLi16ELi32ELi8ELb1ELb0ELc84ELc85EKPKdKPdEviT_T0_PT8_S5_lS8_S5_lS6_PT9_S5_li,"axG",@progbits,_ZL37rocblas_syrkx_herkx_restricted_kernelIldLi16ELi32ELi8ELb1ELb0ELc84ELc85EKPKdKPdEviT_T0_PT8_S5_lS8_S5_lS6_PT9_S5_li,comdat
	.globl	_ZL37rocblas_syrkx_herkx_restricted_kernelIldLi16ELi32ELi8ELb1ELb0ELc84ELc85EKPKdKPdEviT_T0_PT8_S5_lS8_S5_lS6_PT9_S5_li ; -- Begin function _ZL37rocblas_syrkx_herkx_restricted_kernelIldLi16ELi32ELi8ELb1ELb0ELc84ELc85EKPKdKPdEviT_T0_PT8_S5_lS8_S5_lS6_PT9_S5_li
	.p2align	8
	.type	_ZL37rocblas_syrkx_herkx_restricted_kernelIldLi16ELi32ELi8ELb1ELb0ELc84ELc85EKPKdKPdEviT_T0_PT8_S5_lS8_S5_lS6_PT9_S5_li,@function
_ZL37rocblas_syrkx_herkx_restricted_kernelIldLi16ELi32ELi8ELb1ELb0ELc84ELc85EKPKdKPdEviT_T0_PT8_S5_lS8_S5_lS6_PT9_S5_li: ; @_ZL37rocblas_syrkx_herkx_restricted_kernelIldLi16ELi32ELi8ELb1ELb0ELc84ELc85EKPKdKPdEviT_T0_PT8_S5_lS8_S5_lS6_PT9_S5_li
; %bb.0:
	s_load_dwordx4 s[0:3], s[4:5], 0x50
	s_load_dwordx8 s[12:19], s[4:5], 0x8
	s_mov_b32 s9, 0
	s_lshl_b64 s[10:11], s[8:9], 3
	s_waitcnt lgkmcnt(0)
	s_add_u32 s0, s0, s10
	s_addc_u32 s1, s1, s11
	s_load_dwordx2 s[8:9], s[0:1], 0x0
	v_cmp_lt_i64_e64 s[0:1], s[12:13], 1
	s_lshl_b32 s20, s6, 5
	s_lshl_b32 s21, s7, 5
	s_and_b64 vcc, exec, s[0:1]
	s_cbranch_vccnz .LBB1492_3
; %bb.1:
	s_load_dwordx4 s[24:27], s[4:5], 0x30
	v_lshl_add_u32 v3, v1, 4, v0
	v_and_b32_e32 v7, 31, v3
	s_add_u32 s0, s16, s10
	v_lshrrev_b32_e32 v6, 3, v3
	v_lshrrev_b32_e32 v2, 5, v3
	v_and_b32_e32 v4, 7, v0
	v_lshlrev_b32_e32 v10, 3, v7
	s_addc_u32 s1, s17, s11
	v_add_u32_e32 v8, s21, v6
	v_lshl_or_b32 v14, v2, 8, v10
	v_lshlrev_b32_e32 v10, 3, v4
	s_waitcnt lgkmcnt(0)
	s_add_u32 s6, s24, s10
	v_ashrrev_i32_e32 v9, 31, v8
	v_mov_b32_e32 v5, 0
	v_lshl_or_b32 v6, v6, 6, v10
	s_addc_u32 s7, s25, s11
	v_mov_b32_e32 v3, v5
	v_add_u32_e32 v15, 0x800, v6
	v_mul_lo_u32 v6, s26, v9
	v_mul_lo_u32 v9, s27, v8
	v_mad_u64_u32 v[4:5], s[10:11], s26, v8, v[4:5]
	s_load_dwordx2 s[6:7], s[6:7], 0x0
	v_mov_b32_e32 v8, 0x800
	v_add3_u32 v5, v9, v5, v6
	v_add_u32_e32 v9, s20, v7
	v_ashrrev_i32_e32 v6, 31, v9
	v_mul_lo_u32 v10, s18, v6
	v_mad_u64_u32 v[6:7], s[10:11], s18, v9, v[2:3]
	v_mul_lo_u32 v9, s19, v9
	s_load_dwordx2 s[0:1], s[0:1], 0x0
	v_lshlrev_b64 v[4:5], 3, v[4:5]
	v_lshl_add_u32 v17, v1, 6, v8
	s_waitcnt lgkmcnt(0)
	v_mov_b32_e32 v8, s7
	v_add_co_u32_e32 v2, vcc, s6, v4
	v_add3_u32 v7, v9, v7, v10
	v_addc_co_u32_e32 v3, vcc, v8, v5, vcc
	v_lshlrev_b64 v[4:5], 3, v[6:7]
	v_mov_b32_e32 v6, s1
	v_add_co_u32_e32 v4, vcc, s0, v4
	v_addc_co_u32_e32 v5, vcc, v6, v5, vcc
	v_mov_b32_e32 v6, 0
	v_mov_b32_e32 v8, 0
	;; [unrolled: 1-line block ×4, first 2 shown]
	v_lshlrev_b32_e32 v16, 3, v0
	v_mov_b32_e32 v7, 0
	v_mov_b32_e32 v9, 0
	;; [unrolled: 1-line block ×4, first 2 shown]
	s_mov_b64 s[6:7], 0
.LBB1492_2:                             ; =>This Inner Loop Header: Depth=1
	flat_load_dwordx2 v[18:19], v[4:5]
	s_add_u32 s6, s6, 8
	s_addc_u32 s7, s7, 0
	v_add_co_u32_e64 v4, s[0:1], 64, v4
	v_addc_co_u32_e64 v5, s[0:1], 0, v5, s[0:1]
	s_waitcnt vmcnt(0) lgkmcnt(0)
	ds_write_b64 v14, v[18:19]
	flat_load_dwordx2 v[18:19], v[2:3]
	v_add_co_u32_e64 v2, s[0:1], 64, v2
	v_addc_co_u32_e64 v3, s[0:1], 0, v3, s[0:1]
	s_waitcnt vmcnt(0) lgkmcnt(0)
	ds_write_b64 v15, v[18:19]
	s_waitcnt lgkmcnt(0)
	s_barrier
	ds_read2_b64 v[18:21], v16 offset1:16
	ds_read_b128 v[22:25], v17
	ds_read_b128 v[26:29], v17 offset:1024
	ds_read_b128 v[30:33], v17 offset:16
	s_waitcnt lgkmcnt(2)
	v_fma_f64 v[34:35], v[18:19], v[22:23], v[12:13]
	v_fma_f64 v[22:23], v[20:21], v[22:23], v[10:11]
	s_waitcnt lgkmcnt(1)
	v_fma_f64 v[18:19], v[18:19], v[26:27], v[8:9]
	v_fma_f64 v[20:21], v[20:21], v[26:27], v[6:7]
	ds_read2_b64 v[6:9], v16 offset0:32 offset1:48
	ds_read_b128 v[10:13], v17 offset:1040
	s_waitcnt lgkmcnt(1)
	v_fma_f64 v[26:27], v[6:7], v[24:25], v[34:35]
	v_fma_f64 v[22:23], v[8:9], v[24:25], v[22:23]
	;; [unrolled: 1-line block ×4, first 2 shown]
	ds_read2_b64 v[6:9], v16 offset0:64 offset1:80
	ds_read2_b64 v[18:21], v16 offset0:96 offset1:112
	s_waitcnt lgkmcnt(1)
	v_fma_f64 v[26:27], v[6:7], v[30:31], v[26:27]
	v_fma_f64 v[22:23], v[8:9], v[30:31], v[22:23]
	;; [unrolled: 1-line block ×4, first 2 shown]
	ds_read2_b64 v[6:9], v16 offset0:128 offset1:144
	s_waitcnt lgkmcnt(1)
	v_fma_f64 v[26:27], v[18:19], v[32:33], v[26:27]
	v_fma_f64 v[28:29], v[20:21], v[32:33], v[22:23]
	;; [unrolled: 1-line block ×4, first 2 shown]
	ds_read_b128 v[22:25], v17 offset:32
	ds_read_b128 v[10:13], v17 offset:1056
	ds_read_b128 v[18:21], v17 offset:48
	s_waitcnt lgkmcnt(2)
	v_fma_f64 v[34:35], v[6:7], v[22:23], v[26:27]
	v_fma_f64 v[22:23], v[8:9], v[22:23], v[28:29]
	s_waitcnt lgkmcnt(1)
	v_fma_f64 v[30:31], v[6:7], v[10:11], v[30:31]
	v_fma_f64 v[10:11], v[8:9], v[10:11], v[32:33]
	ds_read2_b64 v[6:9], v16 offset0:160 offset1:176
	ds_read_b128 v[26:29], v17 offset:1072
	s_waitcnt lgkmcnt(1)
	v_fma_f64 v[32:33], v[6:7], v[24:25], v[34:35]
	v_fma_f64 v[22:23], v[8:9], v[24:25], v[22:23]
	v_mov_b32_e32 v25, s7
	v_mov_b32_e32 v24, s6
	v_cmp_le_u64_e32 vcc, s[12:13], v[24:25]
	v_fma_f64 v[24:25], v[6:7], v[12:13], v[30:31]
	v_fma_f64 v[10:11], v[8:9], v[12:13], v[10:11]
	ds_read2_b64 v[6:9], v16 offset0:192 offset1:208
	s_and_b64 vcc, exec, vcc
	s_waitcnt lgkmcnt(0)
	v_fma_f64 v[12:13], v[6:7], v[18:19], v[32:33]
	v_fma_f64 v[18:19], v[8:9], v[18:19], v[22:23]
	;; [unrolled: 1-line block ×4, first 2 shown]
	ds_read2_b64 v[22:25], v16 offset0:224 offset1:240
	s_waitcnt lgkmcnt(0)
	s_barrier
	v_fma_f64 v[12:13], v[22:23], v[20:21], v[12:13]
	v_fma_f64 v[10:11], v[24:25], v[20:21], v[18:19]
	v_fma_f64 v[8:9], v[22:23], v[28:29], v[6:7]
	v_fma_f64 v[6:7], v[24:25], v[28:29], v[26:27]
	s_cbranch_vccz .LBB1492_2
	s_branch .LBB1492_4
.LBB1492_3:
	v_mov_b32_e32 v12, 0
	v_mov_b32_e32 v10, 0
	v_mov_b32_e32 v8, 0
	v_mov_b32_e32 v6, 0
	v_mov_b32_e32 v13, 0
	v_mov_b32_e32 v11, 0
	v_mov_b32_e32 v9, 0
	v_mov_b32_e32 v7, 0
.LBB1492_4:
	v_add_u32_e32 v4, s21, v1
	v_ashrrev_i32_e32 v1, 31, v4
	v_mul_lo_u32 v3, s2, v1
	v_mul_lo_u32 v5, s3, v4
	v_mad_u64_u32 v[1:2], s[0:1], s2, v4, 0
	s_load_dword s6, s[4:5], 0x0
	v_add_u32_e32 v0, s20, v0
	v_add3_u32 v2, v2, v3, v5
	v_lshlrev_b64 v[1:2], 3, v[1:2]
	s_waitcnt lgkmcnt(0)
	v_mov_b32_e32 v3, s9
	v_add_co_u32_e64 v5, s[0:1], s8, v1
	v_addc_co_u32_e64 v14, s[0:1], v3, v2, s[0:1]
	v_cmp_gt_i32_e32 vcc, s6, v4
	v_cmp_le_i32_e64 s[0:1], v0, v4
	s_and_b64 s[0:1], vcc, s[0:1]
	s_and_saveexec_b64 s[4:5], s[0:1]
	s_cbranch_execz .LBB1492_6
; %bb.5:
	v_mul_f64 v[2:3], s[14:15], v[12:13]
	v_ashrrev_i32_e32 v1, 31, v0
	v_lshlrev_b64 v[12:13], 3, v[0:1]
	v_add_co_u32_e64 v12, s[0:1], v5, v12
	v_addc_co_u32_e64 v13, s[0:1], v14, v13, s[0:1]
	flat_store_dwordx2 v[12:13], v[2:3]
.LBB1492_6:
	s_or_b64 exec, exec, s[4:5]
	v_add_u32_e32 v2, 16, v0
	v_cmp_le_i32_e64 s[0:1], v2, v4
	s_and_b64 s[4:5], vcc, s[0:1]
	s_and_saveexec_b64 s[0:1], s[4:5]
	s_cbranch_execz .LBB1492_8
; %bb.7:
	v_mul_f64 v[10:11], s[14:15], v[10:11]
	v_ashrrev_i32_e32 v3, 31, v2
	v_lshlrev_b64 v[12:13], 3, v[2:3]
	v_add_co_u32_e32 v12, vcc, v5, v12
	v_addc_co_u32_e32 v13, vcc, v14, v13, vcc
	flat_store_dwordx2 v[12:13], v[10:11]
.LBB1492_8:
	s_or_b64 exec, exec, s[0:1]
	v_add_u32_e32 v3, 16, v4
	v_ashrrev_i32_e32 v1, 31, v3
	v_mul_lo_u32 v1, s2, v1
	v_mul_lo_u32 v10, s3, v3
	v_mad_u64_u32 v[4:5], s[0:1], s2, v3, 0
	v_cmp_gt_i32_e32 vcc, s6, v3
	v_add3_u32 v5, v5, v1, v10
	v_lshlrev_b64 v[4:5], 3, v[4:5]
	v_mov_b32_e32 v1, s9
	v_add_co_u32_e64 v4, s[0:1], s8, v4
	v_addc_co_u32_e64 v5, s[0:1], v1, v5, s[0:1]
	v_cmp_le_i32_e64 s[0:1], v0, v3
	s_and_b64 s[0:1], vcc, s[0:1]
	s_and_saveexec_b64 s[2:3], s[0:1]
	s_cbranch_execz .LBB1492_10
; %bb.9:
	v_mul_f64 v[8:9], s[14:15], v[8:9]
	v_ashrrev_i32_e32 v1, 31, v0
	v_lshlrev_b64 v[0:1], 3, v[0:1]
	v_add_co_u32_e64 v0, s[0:1], v4, v0
	v_addc_co_u32_e64 v1, s[0:1], v5, v1, s[0:1]
	flat_store_dwordx2 v[0:1], v[8:9]
.LBB1492_10:
	s_or_b64 exec, exec, s[2:3]
	v_cmp_le_i32_e64 s[0:1], v2, v3
	s_and_b64 s[0:1], vcc, s[0:1]
	s_and_saveexec_b64 s[2:3], s[0:1]
	s_cbranch_execz .LBB1492_12
; %bb.11:
	v_mul_f64 v[0:1], s[14:15], v[6:7]
	v_ashrrev_i32_e32 v3, 31, v2
	v_lshlrev_b64 v[2:3], 3, v[2:3]
	v_add_co_u32_e32 v2, vcc, v4, v2
	v_addc_co_u32_e32 v3, vcc, v5, v3, vcc
	flat_store_dwordx2 v[2:3], v[0:1]
.LBB1492_12:
	s_endpgm
	.section	.rodata,"a",@progbits
	.p2align	6, 0x0
	.amdhsa_kernel _ZL37rocblas_syrkx_herkx_restricted_kernelIldLi16ELi32ELi8ELb1ELb0ELc84ELc85EKPKdKPdEviT_T0_PT8_S5_lS8_S5_lS6_PT9_S5_li
		.amdhsa_group_segment_fixed_size 4096
		.amdhsa_private_segment_fixed_size 0
		.amdhsa_kernarg_size 108
		.amdhsa_user_sgpr_count 6
		.amdhsa_user_sgpr_private_segment_buffer 1
		.amdhsa_user_sgpr_dispatch_ptr 0
		.amdhsa_user_sgpr_queue_ptr 0
		.amdhsa_user_sgpr_kernarg_segment_ptr 1
		.amdhsa_user_sgpr_dispatch_id 0
		.amdhsa_user_sgpr_flat_scratch_init 0
		.amdhsa_user_sgpr_private_segment_size 0
		.amdhsa_uses_dynamic_stack 0
		.amdhsa_system_sgpr_private_segment_wavefront_offset 0
		.amdhsa_system_sgpr_workgroup_id_x 1
		.amdhsa_system_sgpr_workgroup_id_y 1
		.amdhsa_system_sgpr_workgroup_id_z 1
		.amdhsa_system_sgpr_workgroup_info 0
		.amdhsa_system_vgpr_workitem_id 1
		.amdhsa_next_free_vgpr 36
		.amdhsa_next_free_sgpr 28
		.amdhsa_reserve_vcc 1
		.amdhsa_reserve_flat_scratch 0
		.amdhsa_float_round_mode_32 0
		.amdhsa_float_round_mode_16_64 0
		.amdhsa_float_denorm_mode_32 3
		.amdhsa_float_denorm_mode_16_64 3
		.amdhsa_dx10_clamp 1
		.amdhsa_ieee_mode 1
		.amdhsa_fp16_overflow 0
		.amdhsa_exception_fp_ieee_invalid_op 0
		.amdhsa_exception_fp_denorm_src 0
		.amdhsa_exception_fp_ieee_div_zero 0
		.amdhsa_exception_fp_ieee_overflow 0
		.amdhsa_exception_fp_ieee_underflow 0
		.amdhsa_exception_fp_ieee_inexact 0
		.amdhsa_exception_int_div_zero 0
	.end_amdhsa_kernel
	.section	.text._ZL37rocblas_syrkx_herkx_restricted_kernelIldLi16ELi32ELi8ELb1ELb0ELc84ELc85EKPKdKPdEviT_T0_PT8_S5_lS8_S5_lS6_PT9_S5_li,"axG",@progbits,_ZL37rocblas_syrkx_herkx_restricted_kernelIldLi16ELi32ELi8ELb1ELb0ELc84ELc85EKPKdKPdEviT_T0_PT8_S5_lS8_S5_lS6_PT9_S5_li,comdat
.Lfunc_end1492:
	.size	_ZL37rocblas_syrkx_herkx_restricted_kernelIldLi16ELi32ELi8ELb1ELb0ELc84ELc85EKPKdKPdEviT_T0_PT8_S5_lS8_S5_lS6_PT9_S5_li, .Lfunc_end1492-_ZL37rocblas_syrkx_herkx_restricted_kernelIldLi16ELi32ELi8ELb1ELb0ELc84ELc85EKPKdKPdEviT_T0_PT8_S5_lS8_S5_lS6_PT9_S5_li
                                        ; -- End function
	.set _ZL37rocblas_syrkx_herkx_restricted_kernelIldLi16ELi32ELi8ELb1ELb0ELc84ELc85EKPKdKPdEviT_T0_PT8_S5_lS8_S5_lS6_PT9_S5_li.num_vgpr, 36
	.set _ZL37rocblas_syrkx_herkx_restricted_kernelIldLi16ELi32ELi8ELb1ELb0ELc84ELc85EKPKdKPdEviT_T0_PT8_S5_lS8_S5_lS6_PT9_S5_li.num_agpr, 0
	.set _ZL37rocblas_syrkx_herkx_restricted_kernelIldLi16ELi32ELi8ELb1ELb0ELc84ELc85EKPKdKPdEviT_T0_PT8_S5_lS8_S5_lS6_PT9_S5_li.numbered_sgpr, 28
	.set _ZL37rocblas_syrkx_herkx_restricted_kernelIldLi16ELi32ELi8ELb1ELb0ELc84ELc85EKPKdKPdEviT_T0_PT8_S5_lS8_S5_lS6_PT9_S5_li.num_named_barrier, 0
	.set _ZL37rocblas_syrkx_herkx_restricted_kernelIldLi16ELi32ELi8ELb1ELb0ELc84ELc85EKPKdKPdEviT_T0_PT8_S5_lS8_S5_lS6_PT9_S5_li.private_seg_size, 0
	.set _ZL37rocblas_syrkx_herkx_restricted_kernelIldLi16ELi32ELi8ELb1ELb0ELc84ELc85EKPKdKPdEviT_T0_PT8_S5_lS8_S5_lS6_PT9_S5_li.uses_vcc, 1
	.set _ZL37rocblas_syrkx_herkx_restricted_kernelIldLi16ELi32ELi8ELb1ELb0ELc84ELc85EKPKdKPdEviT_T0_PT8_S5_lS8_S5_lS6_PT9_S5_li.uses_flat_scratch, 0
	.set _ZL37rocblas_syrkx_herkx_restricted_kernelIldLi16ELi32ELi8ELb1ELb0ELc84ELc85EKPKdKPdEviT_T0_PT8_S5_lS8_S5_lS6_PT9_S5_li.has_dyn_sized_stack, 0
	.set _ZL37rocblas_syrkx_herkx_restricted_kernelIldLi16ELi32ELi8ELb1ELb0ELc84ELc85EKPKdKPdEviT_T0_PT8_S5_lS8_S5_lS6_PT9_S5_li.has_recursion, 0
	.set _ZL37rocblas_syrkx_herkx_restricted_kernelIldLi16ELi32ELi8ELb1ELb0ELc84ELc85EKPKdKPdEviT_T0_PT8_S5_lS8_S5_lS6_PT9_S5_li.has_indirect_call, 0
	.section	.AMDGPU.csdata,"",@progbits
; Kernel info:
; codeLenInByte = 1348
; TotalNumSgprs: 32
; NumVgprs: 36
; ScratchSize: 0
; MemoryBound: 0
; FloatMode: 240
; IeeeMode: 1
; LDSByteSize: 4096 bytes/workgroup (compile time only)
; SGPRBlocks: 3
; VGPRBlocks: 8
; NumSGPRsForWavesPerEU: 32
; NumVGPRsForWavesPerEU: 36
; Occupancy: 7
; WaveLimiterHint : 1
; COMPUTE_PGM_RSRC2:SCRATCH_EN: 0
; COMPUTE_PGM_RSRC2:USER_SGPR: 6
; COMPUTE_PGM_RSRC2:TRAP_HANDLER: 0
; COMPUTE_PGM_RSRC2:TGID_X_EN: 1
; COMPUTE_PGM_RSRC2:TGID_Y_EN: 1
; COMPUTE_PGM_RSRC2:TGID_Z_EN: 1
; COMPUTE_PGM_RSRC2:TIDIG_COMP_CNT: 1
	.section	.text._ZL37rocblas_syrkx_herkx_restricted_kernelIldLi16ELi32ELi8ELb1ELb0ELc67ELc85EKPKdKPdEviT_T0_PT8_S5_lS8_S5_lS6_PT9_S5_li,"axG",@progbits,_ZL37rocblas_syrkx_herkx_restricted_kernelIldLi16ELi32ELi8ELb1ELb0ELc67ELc85EKPKdKPdEviT_T0_PT8_S5_lS8_S5_lS6_PT9_S5_li,comdat
	.globl	_ZL37rocblas_syrkx_herkx_restricted_kernelIldLi16ELi32ELi8ELb1ELb0ELc67ELc85EKPKdKPdEviT_T0_PT8_S5_lS8_S5_lS6_PT9_S5_li ; -- Begin function _ZL37rocblas_syrkx_herkx_restricted_kernelIldLi16ELi32ELi8ELb1ELb0ELc67ELc85EKPKdKPdEviT_T0_PT8_S5_lS8_S5_lS6_PT9_S5_li
	.p2align	8
	.type	_ZL37rocblas_syrkx_herkx_restricted_kernelIldLi16ELi32ELi8ELb1ELb0ELc67ELc85EKPKdKPdEviT_T0_PT8_S5_lS8_S5_lS6_PT9_S5_li,@function
_ZL37rocblas_syrkx_herkx_restricted_kernelIldLi16ELi32ELi8ELb1ELb0ELc67ELc85EKPKdKPdEviT_T0_PT8_S5_lS8_S5_lS6_PT9_S5_li: ; @_ZL37rocblas_syrkx_herkx_restricted_kernelIldLi16ELi32ELi8ELb1ELb0ELc67ELc85EKPKdKPdEviT_T0_PT8_S5_lS8_S5_lS6_PT9_S5_li
; %bb.0:
	s_load_dwordx4 s[0:3], s[4:5], 0x50
	s_load_dwordx8 s[12:19], s[4:5], 0x8
	s_mov_b32 s9, 0
	s_lshl_b64 s[10:11], s[8:9], 3
	s_waitcnt lgkmcnt(0)
	s_add_u32 s0, s0, s10
	s_addc_u32 s1, s1, s11
	s_load_dwordx2 s[8:9], s[0:1], 0x0
	v_cmp_lt_i64_e64 s[0:1], s[12:13], 1
	s_lshl_b32 s20, s6, 5
	s_lshl_b32 s21, s7, 5
	s_and_b64 vcc, exec, s[0:1]
	s_cbranch_vccnz .LBB1493_3
; %bb.1:
	s_load_dwordx4 s[24:27], s[4:5], 0x30
	v_lshl_add_u32 v3, v1, 4, v0
	v_and_b32_e32 v7, 31, v3
	s_add_u32 s0, s16, s10
	v_lshrrev_b32_e32 v6, 3, v3
	v_lshrrev_b32_e32 v2, 5, v3
	v_and_b32_e32 v4, 7, v0
	v_lshlrev_b32_e32 v10, 3, v7
	s_addc_u32 s1, s17, s11
	v_add_u32_e32 v8, s21, v6
	v_lshl_or_b32 v14, v2, 8, v10
	v_lshlrev_b32_e32 v10, 3, v4
	s_waitcnt lgkmcnt(0)
	s_add_u32 s6, s24, s10
	v_ashrrev_i32_e32 v9, 31, v8
	v_mov_b32_e32 v5, 0
	v_lshl_or_b32 v6, v6, 6, v10
	s_addc_u32 s7, s25, s11
	v_mov_b32_e32 v3, v5
	v_add_u32_e32 v15, 0x800, v6
	v_mul_lo_u32 v6, s26, v9
	v_mul_lo_u32 v9, s27, v8
	v_mad_u64_u32 v[4:5], s[10:11], s26, v8, v[4:5]
	s_load_dwordx2 s[6:7], s[6:7], 0x0
	v_mov_b32_e32 v8, 0x800
	v_add3_u32 v5, v9, v5, v6
	v_add_u32_e32 v9, s20, v7
	v_ashrrev_i32_e32 v6, 31, v9
	v_mul_lo_u32 v10, s18, v6
	v_mad_u64_u32 v[6:7], s[10:11], s18, v9, v[2:3]
	v_mul_lo_u32 v9, s19, v9
	s_load_dwordx2 s[0:1], s[0:1], 0x0
	v_lshlrev_b64 v[4:5], 3, v[4:5]
	v_lshl_add_u32 v17, v1, 6, v8
	s_waitcnt lgkmcnt(0)
	v_mov_b32_e32 v8, s7
	v_add_co_u32_e32 v2, vcc, s6, v4
	v_add3_u32 v7, v9, v7, v10
	v_addc_co_u32_e32 v3, vcc, v8, v5, vcc
	v_lshlrev_b64 v[4:5], 3, v[6:7]
	v_mov_b32_e32 v6, s1
	v_add_co_u32_e32 v4, vcc, s0, v4
	v_addc_co_u32_e32 v5, vcc, v6, v5, vcc
	v_mov_b32_e32 v6, 0
	v_mov_b32_e32 v8, 0
	;; [unrolled: 1-line block ×4, first 2 shown]
	v_lshlrev_b32_e32 v16, 3, v0
	v_mov_b32_e32 v7, 0
	v_mov_b32_e32 v9, 0
	;; [unrolled: 1-line block ×4, first 2 shown]
	s_mov_b64 s[6:7], 0
.LBB1493_2:                             ; =>This Inner Loop Header: Depth=1
	flat_load_dwordx2 v[18:19], v[4:5]
	s_add_u32 s6, s6, 8
	s_addc_u32 s7, s7, 0
	v_add_co_u32_e64 v4, s[0:1], 64, v4
	v_addc_co_u32_e64 v5, s[0:1], 0, v5, s[0:1]
	s_waitcnt vmcnt(0) lgkmcnt(0)
	ds_write_b64 v14, v[18:19]
	flat_load_dwordx2 v[18:19], v[2:3]
	v_add_co_u32_e64 v2, s[0:1], 64, v2
	v_addc_co_u32_e64 v3, s[0:1], 0, v3, s[0:1]
	s_waitcnt vmcnt(0) lgkmcnt(0)
	ds_write_b64 v15, v[18:19]
	s_waitcnt lgkmcnt(0)
	s_barrier
	ds_read2_b64 v[18:21], v16 offset1:16
	ds_read_b128 v[22:25], v17
	ds_read_b128 v[26:29], v17 offset:1024
	ds_read_b128 v[30:33], v17 offset:16
	s_waitcnt lgkmcnt(2)
	v_fma_f64 v[34:35], v[18:19], v[22:23], v[12:13]
	v_fma_f64 v[22:23], v[20:21], v[22:23], v[10:11]
	s_waitcnt lgkmcnt(1)
	v_fma_f64 v[18:19], v[18:19], v[26:27], v[8:9]
	v_fma_f64 v[20:21], v[20:21], v[26:27], v[6:7]
	ds_read2_b64 v[6:9], v16 offset0:32 offset1:48
	ds_read_b128 v[10:13], v17 offset:1040
	s_waitcnt lgkmcnt(1)
	v_fma_f64 v[26:27], v[6:7], v[24:25], v[34:35]
	v_fma_f64 v[22:23], v[8:9], v[24:25], v[22:23]
	;; [unrolled: 1-line block ×4, first 2 shown]
	ds_read2_b64 v[6:9], v16 offset0:64 offset1:80
	ds_read2_b64 v[18:21], v16 offset0:96 offset1:112
	s_waitcnt lgkmcnt(1)
	v_fma_f64 v[26:27], v[6:7], v[30:31], v[26:27]
	v_fma_f64 v[22:23], v[8:9], v[30:31], v[22:23]
	;; [unrolled: 1-line block ×4, first 2 shown]
	ds_read2_b64 v[6:9], v16 offset0:128 offset1:144
	s_waitcnt lgkmcnt(1)
	v_fma_f64 v[26:27], v[18:19], v[32:33], v[26:27]
	v_fma_f64 v[28:29], v[20:21], v[32:33], v[22:23]
	;; [unrolled: 1-line block ×4, first 2 shown]
	ds_read_b128 v[22:25], v17 offset:32
	ds_read_b128 v[10:13], v17 offset:1056
	;; [unrolled: 1-line block ×3, first 2 shown]
	s_waitcnt lgkmcnt(2)
	v_fma_f64 v[34:35], v[6:7], v[22:23], v[26:27]
	v_fma_f64 v[22:23], v[8:9], v[22:23], v[28:29]
	s_waitcnt lgkmcnt(1)
	v_fma_f64 v[30:31], v[6:7], v[10:11], v[30:31]
	v_fma_f64 v[10:11], v[8:9], v[10:11], v[32:33]
	ds_read2_b64 v[6:9], v16 offset0:160 offset1:176
	ds_read_b128 v[26:29], v17 offset:1072
	s_waitcnt lgkmcnt(1)
	v_fma_f64 v[32:33], v[6:7], v[24:25], v[34:35]
	v_fma_f64 v[22:23], v[8:9], v[24:25], v[22:23]
	v_mov_b32_e32 v25, s7
	v_mov_b32_e32 v24, s6
	v_cmp_le_u64_e32 vcc, s[12:13], v[24:25]
	v_fma_f64 v[24:25], v[6:7], v[12:13], v[30:31]
	v_fma_f64 v[10:11], v[8:9], v[12:13], v[10:11]
	ds_read2_b64 v[6:9], v16 offset0:192 offset1:208
	s_and_b64 vcc, exec, vcc
	s_waitcnt lgkmcnt(0)
	v_fma_f64 v[12:13], v[6:7], v[18:19], v[32:33]
	v_fma_f64 v[18:19], v[8:9], v[18:19], v[22:23]
	v_fma_f64 v[6:7], v[6:7], v[26:27], v[24:25]
	v_fma_f64 v[26:27], v[8:9], v[26:27], v[10:11]
	ds_read2_b64 v[22:25], v16 offset0:224 offset1:240
	s_waitcnt lgkmcnt(0)
	s_barrier
	v_fma_f64 v[12:13], v[22:23], v[20:21], v[12:13]
	v_fma_f64 v[10:11], v[24:25], v[20:21], v[18:19]
	v_fma_f64 v[8:9], v[22:23], v[28:29], v[6:7]
	v_fma_f64 v[6:7], v[24:25], v[28:29], v[26:27]
	s_cbranch_vccz .LBB1493_2
	s_branch .LBB1493_4
.LBB1493_3:
	v_mov_b32_e32 v12, 0
	v_mov_b32_e32 v10, 0
	;; [unrolled: 1-line block ×8, first 2 shown]
.LBB1493_4:
	v_add_u32_e32 v4, s21, v1
	v_ashrrev_i32_e32 v1, 31, v4
	v_mul_lo_u32 v3, s2, v1
	v_mul_lo_u32 v5, s3, v4
	v_mad_u64_u32 v[1:2], s[0:1], s2, v4, 0
	s_load_dword s6, s[4:5], 0x0
	v_add_u32_e32 v0, s20, v0
	v_add3_u32 v2, v2, v3, v5
	v_lshlrev_b64 v[1:2], 3, v[1:2]
	s_waitcnt lgkmcnt(0)
	v_mov_b32_e32 v3, s9
	v_add_co_u32_e64 v5, s[0:1], s8, v1
	v_addc_co_u32_e64 v14, s[0:1], v3, v2, s[0:1]
	v_cmp_gt_i32_e32 vcc, s6, v4
	v_cmp_le_i32_e64 s[0:1], v0, v4
	s_and_b64 s[0:1], vcc, s[0:1]
	s_and_saveexec_b64 s[4:5], s[0:1]
	s_cbranch_execz .LBB1493_6
; %bb.5:
	v_mul_f64 v[2:3], s[14:15], v[12:13]
	v_ashrrev_i32_e32 v1, 31, v0
	v_lshlrev_b64 v[12:13], 3, v[0:1]
	v_add_co_u32_e64 v12, s[0:1], v5, v12
	v_addc_co_u32_e64 v13, s[0:1], v14, v13, s[0:1]
	flat_store_dwordx2 v[12:13], v[2:3]
.LBB1493_6:
	s_or_b64 exec, exec, s[4:5]
	v_add_u32_e32 v2, 16, v0
	v_cmp_le_i32_e64 s[0:1], v2, v4
	s_and_b64 s[4:5], vcc, s[0:1]
	s_and_saveexec_b64 s[0:1], s[4:5]
	s_cbranch_execz .LBB1493_8
; %bb.7:
	v_mul_f64 v[10:11], s[14:15], v[10:11]
	v_ashrrev_i32_e32 v3, 31, v2
	v_lshlrev_b64 v[12:13], 3, v[2:3]
	v_add_co_u32_e32 v12, vcc, v5, v12
	v_addc_co_u32_e32 v13, vcc, v14, v13, vcc
	flat_store_dwordx2 v[12:13], v[10:11]
.LBB1493_8:
	s_or_b64 exec, exec, s[0:1]
	v_add_u32_e32 v3, 16, v4
	v_ashrrev_i32_e32 v1, 31, v3
	v_mul_lo_u32 v1, s2, v1
	v_mul_lo_u32 v10, s3, v3
	v_mad_u64_u32 v[4:5], s[0:1], s2, v3, 0
	v_cmp_gt_i32_e32 vcc, s6, v3
	v_add3_u32 v5, v5, v1, v10
	v_lshlrev_b64 v[4:5], 3, v[4:5]
	v_mov_b32_e32 v1, s9
	v_add_co_u32_e64 v4, s[0:1], s8, v4
	v_addc_co_u32_e64 v5, s[0:1], v1, v5, s[0:1]
	v_cmp_le_i32_e64 s[0:1], v0, v3
	s_and_b64 s[0:1], vcc, s[0:1]
	s_and_saveexec_b64 s[2:3], s[0:1]
	s_cbranch_execz .LBB1493_10
; %bb.9:
	v_mul_f64 v[8:9], s[14:15], v[8:9]
	v_ashrrev_i32_e32 v1, 31, v0
	v_lshlrev_b64 v[0:1], 3, v[0:1]
	v_add_co_u32_e64 v0, s[0:1], v4, v0
	v_addc_co_u32_e64 v1, s[0:1], v5, v1, s[0:1]
	flat_store_dwordx2 v[0:1], v[8:9]
.LBB1493_10:
	s_or_b64 exec, exec, s[2:3]
	v_cmp_le_i32_e64 s[0:1], v2, v3
	s_and_b64 s[0:1], vcc, s[0:1]
	s_and_saveexec_b64 s[2:3], s[0:1]
	s_cbranch_execz .LBB1493_12
; %bb.11:
	v_mul_f64 v[0:1], s[14:15], v[6:7]
	v_ashrrev_i32_e32 v3, 31, v2
	v_lshlrev_b64 v[2:3], 3, v[2:3]
	v_add_co_u32_e32 v2, vcc, v4, v2
	v_addc_co_u32_e32 v3, vcc, v5, v3, vcc
	flat_store_dwordx2 v[2:3], v[0:1]
.LBB1493_12:
	s_endpgm
	.section	.rodata,"a",@progbits
	.p2align	6, 0x0
	.amdhsa_kernel _ZL37rocblas_syrkx_herkx_restricted_kernelIldLi16ELi32ELi8ELb1ELb0ELc67ELc85EKPKdKPdEviT_T0_PT8_S5_lS8_S5_lS6_PT9_S5_li
		.amdhsa_group_segment_fixed_size 4096
		.amdhsa_private_segment_fixed_size 0
		.amdhsa_kernarg_size 108
		.amdhsa_user_sgpr_count 6
		.amdhsa_user_sgpr_private_segment_buffer 1
		.amdhsa_user_sgpr_dispatch_ptr 0
		.amdhsa_user_sgpr_queue_ptr 0
		.amdhsa_user_sgpr_kernarg_segment_ptr 1
		.amdhsa_user_sgpr_dispatch_id 0
		.amdhsa_user_sgpr_flat_scratch_init 0
		.amdhsa_user_sgpr_private_segment_size 0
		.amdhsa_uses_dynamic_stack 0
		.amdhsa_system_sgpr_private_segment_wavefront_offset 0
		.amdhsa_system_sgpr_workgroup_id_x 1
		.amdhsa_system_sgpr_workgroup_id_y 1
		.amdhsa_system_sgpr_workgroup_id_z 1
		.amdhsa_system_sgpr_workgroup_info 0
		.amdhsa_system_vgpr_workitem_id 1
		.amdhsa_next_free_vgpr 36
		.amdhsa_next_free_sgpr 28
		.amdhsa_reserve_vcc 1
		.amdhsa_reserve_flat_scratch 0
		.amdhsa_float_round_mode_32 0
		.amdhsa_float_round_mode_16_64 0
		.amdhsa_float_denorm_mode_32 3
		.amdhsa_float_denorm_mode_16_64 3
		.amdhsa_dx10_clamp 1
		.amdhsa_ieee_mode 1
		.amdhsa_fp16_overflow 0
		.amdhsa_exception_fp_ieee_invalid_op 0
		.amdhsa_exception_fp_denorm_src 0
		.amdhsa_exception_fp_ieee_div_zero 0
		.amdhsa_exception_fp_ieee_overflow 0
		.amdhsa_exception_fp_ieee_underflow 0
		.amdhsa_exception_fp_ieee_inexact 0
		.amdhsa_exception_int_div_zero 0
	.end_amdhsa_kernel
	.section	.text._ZL37rocblas_syrkx_herkx_restricted_kernelIldLi16ELi32ELi8ELb1ELb0ELc67ELc85EKPKdKPdEviT_T0_PT8_S5_lS8_S5_lS6_PT9_S5_li,"axG",@progbits,_ZL37rocblas_syrkx_herkx_restricted_kernelIldLi16ELi32ELi8ELb1ELb0ELc67ELc85EKPKdKPdEviT_T0_PT8_S5_lS8_S5_lS6_PT9_S5_li,comdat
.Lfunc_end1493:
	.size	_ZL37rocblas_syrkx_herkx_restricted_kernelIldLi16ELi32ELi8ELb1ELb0ELc67ELc85EKPKdKPdEviT_T0_PT8_S5_lS8_S5_lS6_PT9_S5_li, .Lfunc_end1493-_ZL37rocblas_syrkx_herkx_restricted_kernelIldLi16ELi32ELi8ELb1ELb0ELc67ELc85EKPKdKPdEviT_T0_PT8_S5_lS8_S5_lS6_PT9_S5_li
                                        ; -- End function
	.set _ZL37rocblas_syrkx_herkx_restricted_kernelIldLi16ELi32ELi8ELb1ELb0ELc67ELc85EKPKdKPdEviT_T0_PT8_S5_lS8_S5_lS6_PT9_S5_li.num_vgpr, 36
	.set _ZL37rocblas_syrkx_herkx_restricted_kernelIldLi16ELi32ELi8ELb1ELb0ELc67ELc85EKPKdKPdEviT_T0_PT8_S5_lS8_S5_lS6_PT9_S5_li.num_agpr, 0
	.set _ZL37rocblas_syrkx_herkx_restricted_kernelIldLi16ELi32ELi8ELb1ELb0ELc67ELc85EKPKdKPdEviT_T0_PT8_S5_lS8_S5_lS6_PT9_S5_li.numbered_sgpr, 28
	.set _ZL37rocblas_syrkx_herkx_restricted_kernelIldLi16ELi32ELi8ELb1ELb0ELc67ELc85EKPKdKPdEviT_T0_PT8_S5_lS8_S5_lS6_PT9_S5_li.num_named_barrier, 0
	.set _ZL37rocblas_syrkx_herkx_restricted_kernelIldLi16ELi32ELi8ELb1ELb0ELc67ELc85EKPKdKPdEviT_T0_PT8_S5_lS8_S5_lS6_PT9_S5_li.private_seg_size, 0
	.set _ZL37rocblas_syrkx_herkx_restricted_kernelIldLi16ELi32ELi8ELb1ELb0ELc67ELc85EKPKdKPdEviT_T0_PT8_S5_lS8_S5_lS6_PT9_S5_li.uses_vcc, 1
	.set _ZL37rocblas_syrkx_herkx_restricted_kernelIldLi16ELi32ELi8ELb1ELb0ELc67ELc85EKPKdKPdEviT_T0_PT8_S5_lS8_S5_lS6_PT9_S5_li.uses_flat_scratch, 0
	.set _ZL37rocblas_syrkx_herkx_restricted_kernelIldLi16ELi32ELi8ELb1ELb0ELc67ELc85EKPKdKPdEviT_T0_PT8_S5_lS8_S5_lS6_PT9_S5_li.has_dyn_sized_stack, 0
	.set _ZL37rocblas_syrkx_herkx_restricted_kernelIldLi16ELi32ELi8ELb1ELb0ELc67ELc85EKPKdKPdEviT_T0_PT8_S5_lS8_S5_lS6_PT9_S5_li.has_recursion, 0
	.set _ZL37rocblas_syrkx_herkx_restricted_kernelIldLi16ELi32ELi8ELb1ELb0ELc67ELc85EKPKdKPdEviT_T0_PT8_S5_lS8_S5_lS6_PT9_S5_li.has_indirect_call, 0
	.section	.AMDGPU.csdata,"",@progbits
; Kernel info:
; codeLenInByte = 1348
; TotalNumSgprs: 32
; NumVgprs: 36
; ScratchSize: 0
; MemoryBound: 0
; FloatMode: 240
; IeeeMode: 1
; LDSByteSize: 4096 bytes/workgroup (compile time only)
; SGPRBlocks: 3
; VGPRBlocks: 8
; NumSGPRsForWavesPerEU: 32
; NumVGPRsForWavesPerEU: 36
; Occupancy: 7
; WaveLimiterHint : 1
; COMPUTE_PGM_RSRC2:SCRATCH_EN: 0
; COMPUTE_PGM_RSRC2:USER_SGPR: 6
; COMPUTE_PGM_RSRC2:TRAP_HANDLER: 0
; COMPUTE_PGM_RSRC2:TGID_X_EN: 1
; COMPUTE_PGM_RSRC2:TGID_Y_EN: 1
; COMPUTE_PGM_RSRC2:TGID_Z_EN: 1
; COMPUTE_PGM_RSRC2:TIDIG_COMP_CNT: 1
	.section	.text._ZL37rocblas_syrkx_herkx_restricted_kernelIldLi16ELi32ELi8ELb1ELb0ELc78ELc85EKPKdKPdEviT_T0_PT8_S5_lS8_S5_lS6_PT9_S5_li,"axG",@progbits,_ZL37rocblas_syrkx_herkx_restricted_kernelIldLi16ELi32ELi8ELb1ELb0ELc78ELc85EKPKdKPdEviT_T0_PT8_S5_lS8_S5_lS6_PT9_S5_li,comdat
	.globl	_ZL37rocblas_syrkx_herkx_restricted_kernelIldLi16ELi32ELi8ELb1ELb0ELc78ELc85EKPKdKPdEviT_T0_PT8_S5_lS8_S5_lS6_PT9_S5_li ; -- Begin function _ZL37rocblas_syrkx_herkx_restricted_kernelIldLi16ELi32ELi8ELb1ELb0ELc78ELc85EKPKdKPdEviT_T0_PT8_S5_lS8_S5_lS6_PT9_S5_li
	.p2align	8
	.type	_ZL37rocblas_syrkx_herkx_restricted_kernelIldLi16ELi32ELi8ELb1ELb0ELc78ELc85EKPKdKPdEviT_T0_PT8_S5_lS8_S5_lS6_PT9_S5_li,@function
_ZL37rocblas_syrkx_herkx_restricted_kernelIldLi16ELi32ELi8ELb1ELb0ELc78ELc85EKPKdKPdEviT_T0_PT8_S5_lS8_S5_lS6_PT9_S5_li: ; @_ZL37rocblas_syrkx_herkx_restricted_kernelIldLi16ELi32ELi8ELb1ELb0ELc78ELc85EKPKdKPdEviT_T0_PT8_S5_lS8_S5_lS6_PT9_S5_li
; %bb.0:
	s_load_dwordx4 s[0:3], s[4:5], 0x50
	s_load_dwordx8 s[12:19], s[4:5], 0x8
	s_mov_b32 s9, 0
	s_lshl_b64 s[22:23], s[8:9], 3
	s_waitcnt lgkmcnt(0)
	s_add_u32 s0, s0, s22
	s_addc_u32 s1, s1, s23
	s_load_dwordx2 s[20:21], s[0:1], 0x0
	v_cmp_lt_i64_e64 s[0:1], s[12:13], 1
	s_lshl_b32 s24, s6, 5
	s_lshl_b32 s25, s7, 5
	s_and_b64 vcc, exec, s[0:1]
	s_cbranch_vccnz .LBB1494_3
; %bb.1:
	s_load_dwordx4 s[8:11], s[4:5], 0x30
	v_lshl_add_u32 v2, v1, 4, v0
	s_add_u32 s0, s16, s22
	v_lshrrev_b32_e32 v4, 3, v2
	s_addc_u32 s1, s17, s23
	v_lshrrev_b32_e32 v6, 5, v2
	v_and_b32_e32 v7, 31, v2
	v_add_u32_e32 v2, s25, v4
	s_waitcnt lgkmcnt(0)
	s_add_u32 s6, s8, s22
	v_and_b32_e32 v5, 7, v0
	v_ashrrev_i32_e32 v3, 31, v2
	s_addc_u32 s7, s9, s23
	v_lshlrev_b32_e32 v8, 3, v7
	v_mad_u64_u32 v[2:3], s[8:9], s10, v5, v[2:3]
	v_lshl_or_b32 v14, v6, 8, v8
	v_lshlrev_b32_e32 v8, 3, v5
	v_lshl_or_b32 v4, v4, 6, v8
	v_add_u32_e32 v15, 0x800, v4
	v_mov_b32_e32 v4, 0x800
	v_lshl_add_u32 v17, v1, 6, v4
	v_mad_u64_u32 v[3:4], s[8:9], s11, v5, v[3:4]
	v_add_u32_e32 v4, s24, v7
	v_ashrrev_i32_e32 v5, 31, v4
	v_mad_u64_u32 v[4:5], s[8:9], s18, v6, v[4:5]
	s_load_dwordx2 s[6:7], s[6:7], 0x0
	v_lshlrev_b64 v[2:3], 3, v[2:3]
	v_mad_u64_u32 v[5:6], s[8:9], s19, v6, v[5:6]
	s_load_dwordx2 s[0:1], s[0:1], 0x0
	s_waitcnt lgkmcnt(0)
	v_mov_b32_e32 v7, s7
	v_add_co_u32_e32 v2, vcc, s6, v2
	v_lshlrev_b64 v[4:5], 3, v[4:5]
	v_addc_co_u32_e32 v3, vcc, v7, v3, vcc
	v_mov_b32_e32 v7, s1
	v_add_co_u32_e32 v6, vcc, s0, v4
	s_lshl_b64 s[6:7], s[10:11], 6
	v_addc_co_u32_e32 v7, vcc, v7, v5, vcc
	s_lshl_b64 s[8:9], s[18:19], 6
	v_mov_b32_e32 v4, 0
	v_mov_b32_e32 v8, 0
	;; [unrolled: 1-line block ×4, first 2 shown]
	v_lshlrev_b32_e32 v16, 3, v0
	v_mov_b32_e32 v5, 0
	s_mov_b64 s[10:11], 0
	v_mov_b32_e32 v18, s7
	v_mov_b32_e32 v9, 0
	;; [unrolled: 1-line block ×5, first 2 shown]
.LBB1494_2:                             ; =>This Inner Loop Header: Depth=1
	flat_load_dwordx2 v[20:21], v[6:7]
	s_add_u32 s10, s10, 8
	v_add_co_u32_e32 v6, vcc, s8, v6
	s_addc_u32 s11, s11, 0
	v_addc_co_u32_e32 v7, vcc, v7, v19, vcc
	s_waitcnt vmcnt(0) lgkmcnt(0)
	ds_write_b64 v14, v[20:21]
	flat_load_dwordx2 v[20:21], v[2:3]
	v_add_co_u32_e64 v2, s[0:1], s6, v2
	v_addc_co_u32_e64 v3, s[0:1], v3, v18, s[0:1]
	s_waitcnt vmcnt(0) lgkmcnt(0)
	ds_write_b64 v15, v[20:21]
	s_waitcnt lgkmcnt(0)
	s_barrier
	ds_read2_b64 v[20:23], v16 offset1:16
	ds_read_b128 v[24:27], v17
	ds_read_b128 v[28:31], v17 offset:16
	s_waitcnt lgkmcnt(1)
	v_fma_f64 v[36:37], v[20:21], v[24:25], v[12:13]
	v_fma_f64 v[24:25], v[22:23], v[24:25], v[10:11]
	ds_read_b128 v[10:13], v17 offset:1024
	ds_read_b128 v[32:35], v17 offset:1040
	s_waitcnt lgkmcnt(1)
	v_fma_f64 v[20:21], v[20:21], v[10:11], v[8:9]
	v_fma_f64 v[4:5], v[22:23], v[10:11], v[4:5]
	ds_read2_b64 v[8:11], v16 offset0:32 offset1:48
	s_waitcnt lgkmcnt(0)
	v_fma_f64 v[22:23], v[8:9], v[26:27], v[36:37]
	v_fma_f64 v[24:25], v[10:11], v[26:27], v[24:25]
	v_fma_f64 v[20:21], v[8:9], v[12:13], v[20:21]
	v_fma_f64 v[4:5], v[10:11], v[12:13], v[4:5]
	ds_read2_b64 v[8:11], v16 offset0:64 offset1:80
	s_waitcnt lgkmcnt(0)
	v_fma_f64 v[12:13], v[8:9], v[28:29], v[22:23]
	v_fma_f64 v[22:23], v[10:11], v[28:29], v[24:25]
	;; [unrolled: 6-line block ×3, first 2 shown]
	ds_read2_b64 v[20:23], v16 offset0:128 offset1:144
	v_fma_f64 v[36:37], v[8:9], v[34:35], v[24:25]
	v_fma_f64 v[4:5], v[10:11], v[34:35], v[4:5]
	ds_read_b128 v[8:11], v17 offset:32
	ds_read_b128 v[24:27], v17 offset:48
	s_waitcnt lgkmcnt(1)
	v_fma_f64 v[12:13], v[20:21], v[8:9], v[12:13]
	v_fma_f64 v[8:9], v[22:23], v[8:9], v[28:29]
	ds_read_b128 v[28:31], v17 offset:1056
	ds_read_b128 v[32:35], v17 offset:1072
	s_waitcnt lgkmcnt(1)
	v_fma_f64 v[36:37], v[20:21], v[28:29], v[36:37]
	v_fma_f64 v[4:5], v[22:23], v[28:29], v[4:5]
	ds_read2_b64 v[20:23], v16 offset0:160 offset1:176
	s_waitcnt lgkmcnt(0)
	v_fma_f64 v[12:13], v[20:21], v[10:11], v[12:13]
	v_fma_f64 v[28:29], v[22:23], v[10:11], v[8:9]
	;; [unrolled: 1-line block ×4, first 2 shown]
	v_mov_b32_e32 v8, s10
	v_mov_b32_e32 v9, s11
	v_cmp_le_u64_e32 vcc, s[12:13], v[8:9]
	ds_read2_b64 v[8:11], v16 offset0:192 offset1:208
	s_and_b64 vcc, exec, vcc
	s_waitcnt lgkmcnt(0)
	v_fma_f64 v[12:13], v[8:9], v[24:25], v[12:13]
	v_fma_f64 v[24:25], v[10:11], v[24:25], v[28:29]
	;; [unrolled: 1-line block ×4, first 2 shown]
	ds_read2_b64 v[20:23], v16 offset0:224 offset1:240
	s_waitcnt lgkmcnt(0)
	s_barrier
	v_fma_f64 v[12:13], v[20:21], v[26:27], v[12:13]
	v_fma_f64 v[10:11], v[22:23], v[26:27], v[24:25]
	;; [unrolled: 1-line block ×4, first 2 shown]
	s_cbranch_vccz .LBB1494_2
	s_branch .LBB1494_4
.LBB1494_3:
	v_mov_b32_e32 v12, 0
	v_mov_b32_e32 v10, 0
	;; [unrolled: 1-line block ×8, first 2 shown]
.LBB1494_4:
	v_add_u32_e32 v6, s25, v1
	v_ashrrev_i32_e32 v1, 31, v6
	v_mul_lo_u32 v3, s2, v1
	v_mul_lo_u32 v7, s3, v6
	v_mad_u64_u32 v[1:2], s[0:1], s2, v6, 0
	s_load_dword s6, s[4:5], 0x0
	v_add_u32_e32 v0, s24, v0
	v_add3_u32 v2, v2, v3, v7
	v_lshlrev_b64 v[1:2], 3, v[1:2]
	s_waitcnt lgkmcnt(0)
	v_mov_b32_e32 v3, s21
	v_add_co_u32_e64 v7, s[0:1], s20, v1
	v_addc_co_u32_e64 v14, s[0:1], v3, v2, s[0:1]
	v_cmp_gt_i32_e32 vcc, s6, v6
	v_cmp_le_i32_e64 s[0:1], v0, v6
	s_and_b64 s[0:1], vcc, s[0:1]
	s_and_saveexec_b64 s[4:5], s[0:1]
	s_cbranch_execz .LBB1494_6
; %bb.5:
	v_mul_f64 v[2:3], s[14:15], v[12:13]
	v_ashrrev_i32_e32 v1, 31, v0
	v_lshlrev_b64 v[12:13], 3, v[0:1]
	v_add_co_u32_e64 v12, s[0:1], v7, v12
	v_addc_co_u32_e64 v13, s[0:1], v14, v13, s[0:1]
	flat_store_dwordx2 v[12:13], v[2:3]
.LBB1494_6:
	s_or_b64 exec, exec, s[4:5]
	v_add_u32_e32 v2, 16, v0
	v_cmp_le_i32_e64 s[0:1], v2, v6
	s_and_b64 s[4:5], vcc, s[0:1]
	s_and_saveexec_b64 s[0:1], s[4:5]
	s_cbranch_execz .LBB1494_8
; %bb.7:
	v_mul_f64 v[10:11], s[14:15], v[10:11]
	v_ashrrev_i32_e32 v3, 31, v2
	v_lshlrev_b64 v[12:13], 3, v[2:3]
	v_add_co_u32_e32 v12, vcc, v7, v12
	v_addc_co_u32_e32 v13, vcc, v14, v13, vcc
	flat_store_dwordx2 v[12:13], v[10:11]
.LBB1494_8:
	s_or_b64 exec, exec, s[0:1]
	v_add_u32_e32 v3, 16, v6
	v_ashrrev_i32_e32 v1, 31, v3
	v_mul_lo_u32 v1, s2, v1
	v_mul_lo_u32 v10, s3, v3
	v_mad_u64_u32 v[6:7], s[0:1], s2, v3, 0
	v_cmp_gt_i32_e32 vcc, s6, v3
	v_add3_u32 v7, v7, v1, v10
	v_lshlrev_b64 v[6:7], 3, v[6:7]
	v_mov_b32_e32 v1, s21
	v_add_co_u32_e64 v6, s[0:1], s20, v6
	v_addc_co_u32_e64 v7, s[0:1], v1, v7, s[0:1]
	v_cmp_le_i32_e64 s[0:1], v0, v3
	s_and_b64 s[0:1], vcc, s[0:1]
	s_and_saveexec_b64 s[2:3], s[0:1]
	s_cbranch_execz .LBB1494_10
; %bb.9:
	v_mul_f64 v[8:9], s[14:15], v[8:9]
	v_ashrrev_i32_e32 v1, 31, v0
	v_lshlrev_b64 v[0:1], 3, v[0:1]
	v_add_co_u32_e64 v0, s[0:1], v6, v0
	v_addc_co_u32_e64 v1, s[0:1], v7, v1, s[0:1]
	flat_store_dwordx2 v[0:1], v[8:9]
.LBB1494_10:
	s_or_b64 exec, exec, s[2:3]
	v_cmp_le_i32_e64 s[0:1], v2, v3
	s_and_b64 s[0:1], vcc, s[0:1]
	s_and_saveexec_b64 s[2:3], s[0:1]
	s_cbranch_execz .LBB1494_12
; %bb.11:
	v_mul_f64 v[0:1], s[14:15], v[4:5]
	v_ashrrev_i32_e32 v3, 31, v2
	v_lshlrev_b64 v[2:3], 3, v[2:3]
	v_add_co_u32_e32 v2, vcc, v6, v2
	v_addc_co_u32_e32 v3, vcc, v7, v3, vcc
	flat_store_dwordx2 v[2:3], v[0:1]
.LBB1494_12:
	s_endpgm
	.section	.rodata,"a",@progbits
	.p2align	6, 0x0
	.amdhsa_kernel _ZL37rocblas_syrkx_herkx_restricted_kernelIldLi16ELi32ELi8ELb1ELb0ELc78ELc85EKPKdKPdEviT_T0_PT8_S5_lS8_S5_lS6_PT9_S5_li
		.amdhsa_group_segment_fixed_size 4096
		.amdhsa_private_segment_fixed_size 0
		.amdhsa_kernarg_size 108
		.amdhsa_user_sgpr_count 6
		.amdhsa_user_sgpr_private_segment_buffer 1
		.amdhsa_user_sgpr_dispatch_ptr 0
		.amdhsa_user_sgpr_queue_ptr 0
		.amdhsa_user_sgpr_kernarg_segment_ptr 1
		.amdhsa_user_sgpr_dispatch_id 0
		.amdhsa_user_sgpr_flat_scratch_init 0
		.amdhsa_user_sgpr_private_segment_size 0
		.amdhsa_uses_dynamic_stack 0
		.amdhsa_system_sgpr_private_segment_wavefront_offset 0
		.amdhsa_system_sgpr_workgroup_id_x 1
		.amdhsa_system_sgpr_workgroup_id_y 1
		.amdhsa_system_sgpr_workgroup_id_z 1
		.amdhsa_system_sgpr_workgroup_info 0
		.amdhsa_system_vgpr_workitem_id 1
		.amdhsa_next_free_vgpr 38
		.amdhsa_next_free_sgpr 26
		.amdhsa_reserve_vcc 1
		.amdhsa_reserve_flat_scratch 0
		.amdhsa_float_round_mode_32 0
		.amdhsa_float_round_mode_16_64 0
		.amdhsa_float_denorm_mode_32 3
		.amdhsa_float_denorm_mode_16_64 3
		.amdhsa_dx10_clamp 1
		.amdhsa_ieee_mode 1
		.amdhsa_fp16_overflow 0
		.amdhsa_exception_fp_ieee_invalid_op 0
		.amdhsa_exception_fp_denorm_src 0
		.amdhsa_exception_fp_ieee_div_zero 0
		.amdhsa_exception_fp_ieee_overflow 0
		.amdhsa_exception_fp_ieee_underflow 0
		.amdhsa_exception_fp_ieee_inexact 0
		.amdhsa_exception_int_div_zero 0
	.end_amdhsa_kernel
	.section	.text._ZL37rocblas_syrkx_herkx_restricted_kernelIldLi16ELi32ELi8ELb1ELb0ELc78ELc85EKPKdKPdEviT_T0_PT8_S5_lS8_S5_lS6_PT9_S5_li,"axG",@progbits,_ZL37rocblas_syrkx_herkx_restricted_kernelIldLi16ELi32ELi8ELb1ELb0ELc78ELc85EKPKdKPdEviT_T0_PT8_S5_lS8_S5_lS6_PT9_S5_li,comdat
.Lfunc_end1494:
	.size	_ZL37rocblas_syrkx_herkx_restricted_kernelIldLi16ELi32ELi8ELb1ELb0ELc78ELc85EKPKdKPdEviT_T0_PT8_S5_lS8_S5_lS6_PT9_S5_li, .Lfunc_end1494-_ZL37rocblas_syrkx_herkx_restricted_kernelIldLi16ELi32ELi8ELb1ELb0ELc78ELc85EKPKdKPdEviT_T0_PT8_S5_lS8_S5_lS6_PT9_S5_li
                                        ; -- End function
	.set _ZL37rocblas_syrkx_herkx_restricted_kernelIldLi16ELi32ELi8ELb1ELb0ELc78ELc85EKPKdKPdEviT_T0_PT8_S5_lS8_S5_lS6_PT9_S5_li.num_vgpr, 38
	.set _ZL37rocblas_syrkx_herkx_restricted_kernelIldLi16ELi32ELi8ELb1ELb0ELc78ELc85EKPKdKPdEviT_T0_PT8_S5_lS8_S5_lS6_PT9_S5_li.num_agpr, 0
	.set _ZL37rocblas_syrkx_herkx_restricted_kernelIldLi16ELi32ELi8ELb1ELb0ELc78ELc85EKPKdKPdEviT_T0_PT8_S5_lS8_S5_lS6_PT9_S5_li.numbered_sgpr, 26
	.set _ZL37rocblas_syrkx_herkx_restricted_kernelIldLi16ELi32ELi8ELb1ELb0ELc78ELc85EKPKdKPdEviT_T0_PT8_S5_lS8_S5_lS6_PT9_S5_li.num_named_barrier, 0
	.set _ZL37rocblas_syrkx_herkx_restricted_kernelIldLi16ELi32ELi8ELb1ELb0ELc78ELc85EKPKdKPdEviT_T0_PT8_S5_lS8_S5_lS6_PT9_S5_li.private_seg_size, 0
	.set _ZL37rocblas_syrkx_herkx_restricted_kernelIldLi16ELi32ELi8ELb1ELb0ELc78ELc85EKPKdKPdEviT_T0_PT8_S5_lS8_S5_lS6_PT9_S5_li.uses_vcc, 1
	.set _ZL37rocblas_syrkx_herkx_restricted_kernelIldLi16ELi32ELi8ELb1ELb0ELc78ELc85EKPKdKPdEviT_T0_PT8_S5_lS8_S5_lS6_PT9_S5_li.uses_flat_scratch, 0
	.set _ZL37rocblas_syrkx_herkx_restricted_kernelIldLi16ELi32ELi8ELb1ELb0ELc78ELc85EKPKdKPdEviT_T0_PT8_S5_lS8_S5_lS6_PT9_S5_li.has_dyn_sized_stack, 0
	.set _ZL37rocblas_syrkx_herkx_restricted_kernelIldLi16ELi32ELi8ELb1ELb0ELc78ELc85EKPKdKPdEviT_T0_PT8_S5_lS8_S5_lS6_PT9_S5_li.has_recursion, 0
	.set _ZL37rocblas_syrkx_herkx_restricted_kernelIldLi16ELi32ELi8ELb1ELb0ELc78ELc85EKPKdKPdEviT_T0_PT8_S5_lS8_S5_lS6_PT9_S5_li.has_indirect_call, 0
	.section	.AMDGPU.csdata,"",@progbits
; Kernel info:
; codeLenInByte = 1316
; TotalNumSgprs: 30
; NumVgprs: 38
; ScratchSize: 0
; MemoryBound: 0
; FloatMode: 240
; IeeeMode: 1
; LDSByteSize: 4096 bytes/workgroup (compile time only)
; SGPRBlocks: 3
; VGPRBlocks: 9
; NumSGPRsForWavesPerEU: 30
; NumVGPRsForWavesPerEU: 38
; Occupancy: 6
; WaveLimiterHint : 1
; COMPUTE_PGM_RSRC2:SCRATCH_EN: 0
; COMPUTE_PGM_RSRC2:USER_SGPR: 6
; COMPUTE_PGM_RSRC2:TRAP_HANDLER: 0
; COMPUTE_PGM_RSRC2:TGID_X_EN: 1
; COMPUTE_PGM_RSRC2:TGID_Y_EN: 1
; COMPUTE_PGM_RSRC2:TGID_Z_EN: 1
; COMPUTE_PGM_RSRC2:TIDIG_COMP_CNT: 1
	.section	.text._ZL37rocblas_syrkx_herkx_restricted_kernelIldLi16ELi32ELi8ELb0ELb0ELc84ELc76EKPKdKPdEviT_T0_PT8_S5_lS8_S5_lS6_PT9_S5_li,"axG",@progbits,_ZL37rocblas_syrkx_herkx_restricted_kernelIldLi16ELi32ELi8ELb0ELb0ELc84ELc76EKPKdKPdEviT_T0_PT8_S5_lS8_S5_lS6_PT9_S5_li,comdat
	.globl	_ZL37rocblas_syrkx_herkx_restricted_kernelIldLi16ELi32ELi8ELb0ELb0ELc84ELc76EKPKdKPdEviT_T0_PT8_S5_lS8_S5_lS6_PT9_S5_li ; -- Begin function _ZL37rocblas_syrkx_herkx_restricted_kernelIldLi16ELi32ELi8ELb0ELb0ELc84ELc76EKPKdKPdEviT_T0_PT8_S5_lS8_S5_lS6_PT9_S5_li
	.p2align	8
	.type	_ZL37rocblas_syrkx_herkx_restricted_kernelIldLi16ELi32ELi8ELb0ELb0ELc84ELc76EKPKdKPdEviT_T0_PT8_S5_lS8_S5_lS6_PT9_S5_li,@function
_ZL37rocblas_syrkx_herkx_restricted_kernelIldLi16ELi32ELi8ELb0ELb0ELc84ELc76EKPKdKPdEviT_T0_PT8_S5_lS8_S5_lS6_PT9_S5_li: ; @_ZL37rocblas_syrkx_herkx_restricted_kernelIldLi16ELi32ELi8ELb0ELb0ELc84ELc76EKPKdKPdEviT_T0_PT8_S5_lS8_S5_lS6_PT9_S5_li
; %bb.0:
	s_load_dwordx4 s[20:23], s[4:5], 0x48
	s_load_dwordx2 s[10:11], s[4:5], 0x58
	s_load_dwordx8 s[12:19], s[4:5], 0x8
	s_mov_b32 s9, 0
	s_lshl_b64 s[0:1], s[8:9], 3
	s_waitcnt lgkmcnt(0)
	s_add_u32 s2, s22, s0
	s_addc_u32 s3, s23, s1
	s_load_dwordx2 s[8:9], s[2:3], 0x0
	v_cmp_lt_i64_e64 s[2:3], s[12:13], 1
	s_lshl_b32 s6, s6, 5
	s_lshl_b32 s7, s7, 5
	s_and_b64 vcc, exec, s[2:3]
	s_cbranch_vccnz .LBB1495_3
; %bb.1:
	s_load_dwordx4 s[24:27], s[4:5], 0x30
	v_lshl_add_u32 v3, v1, 4, v0
	v_and_b32_e32 v7, 31, v3
	v_lshrrev_b32_e32 v6, 3, v3
	v_lshrrev_b32_e32 v2, 5, v3
	v_and_b32_e32 v4, 7, v0
	v_lshlrev_b32_e32 v10, 3, v7
	s_add_u32 s2, s16, s0
	v_add_u32_e32 v8, s7, v6
	v_lshl_or_b32 v14, v2, 8, v10
	v_lshlrev_b32_e32 v10, 3, v4
	s_addc_u32 s3, s17, s1
	v_ashrrev_i32_e32 v9, 31, v8
	v_mov_b32_e32 v5, 0
	v_lshl_or_b32 v6, v6, 6, v10
	s_waitcnt lgkmcnt(0)
	s_add_u32 s0, s24, s0
	v_mov_b32_e32 v3, v5
	v_add_u32_e32 v15, 0x800, v6
	v_mul_lo_u32 v6, s26, v9
	v_mul_lo_u32 v9, s27, v8
	v_mad_u64_u32 v[4:5], s[16:17], s26, v8, v[4:5]
	v_mov_b32_e32 v8, 0x800
	v_add_u32_e32 v7, s6, v7
	s_addc_u32 s1, s25, s1
	v_lshl_add_u32 v17, v1, 6, v8
	v_ashrrev_i32_e32 v8, 31, v7
	s_load_dwordx2 s[0:1], s[0:1], 0x0
	v_mul_lo_u32 v8, s18, v8
	v_mad_u64_u32 v[2:3], s[16:17], s18, v7, v[2:3]
	v_mul_lo_u32 v7, s19, v7
	s_load_dwordx2 s[2:3], s[2:3], 0x0
	v_add3_u32 v5, v9, v5, v6
	v_lshlrev_b64 v[4:5], 3, v[4:5]
	v_add3_u32 v3, v7, v3, v8
	s_waitcnt lgkmcnt(0)
	v_mov_b32_e32 v6, s1
	v_add_co_u32_e32 v4, vcc, s0, v4
	v_lshlrev_b64 v[2:3], 3, v[2:3]
	v_addc_co_u32_e32 v5, vcc, v6, v5, vcc
	v_mov_b32_e32 v7, s3
	v_add_co_u32_e32 v6, vcc, s2, v2
	v_addc_co_u32_e32 v7, vcc, v7, v3, vcc
	v_mov_b32_e32 v2, 0
	v_mov_b32_e32 v8, 0
	;; [unrolled: 1-line block ×4, first 2 shown]
	v_lshlrev_b32_e32 v16, 3, v0
	v_mov_b32_e32 v3, 0
	v_mov_b32_e32 v9, 0
	;; [unrolled: 1-line block ×4, first 2 shown]
	s_mov_b64 s[2:3], 0
.LBB1495_2:                             ; =>This Inner Loop Header: Depth=1
	flat_load_dwordx2 v[18:19], v[6:7]
	s_add_u32 s2, s2, 8
	s_addc_u32 s3, s3, 0
	v_add_co_u32_e64 v6, s[0:1], 64, v6
	v_addc_co_u32_e64 v7, s[0:1], 0, v7, s[0:1]
	s_waitcnt vmcnt(0) lgkmcnt(0)
	ds_write_b64 v14, v[18:19]
	flat_load_dwordx2 v[18:19], v[4:5]
	v_add_co_u32_e64 v4, s[0:1], 64, v4
	v_addc_co_u32_e64 v5, s[0:1], 0, v5, s[0:1]
	s_waitcnt vmcnt(0) lgkmcnt(0)
	ds_write_b64 v15, v[18:19]
	s_waitcnt lgkmcnt(0)
	s_barrier
	ds_read2_b64 v[18:21], v16 offset1:16
	ds_read_b128 v[22:25], v17
	ds_read_b128 v[26:29], v17 offset:1024
	ds_read_b128 v[30:33], v17 offset:16
	s_waitcnt lgkmcnt(2)
	v_fma_f64 v[34:35], v[18:19], v[22:23], v[12:13]
	v_fma_f64 v[22:23], v[20:21], v[22:23], v[10:11]
	s_waitcnt lgkmcnt(1)
	v_fma_f64 v[8:9], v[18:19], v[26:27], v[8:9]
	v_fma_f64 v[2:3], v[20:21], v[26:27], v[2:3]
	ds_read2_b64 v[18:21], v16 offset0:32 offset1:48
	ds_read_b128 v[10:13], v17 offset:1040
	s_waitcnt lgkmcnt(1)
	v_fma_f64 v[26:27], v[18:19], v[24:25], v[34:35]
	v_fma_f64 v[34:35], v[20:21], v[24:25], v[22:23]
	v_fma_f64 v[8:9], v[18:19], v[28:29], v[8:9]
	v_fma_f64 v[2:3], v[20:21], v[28:29], v[2:3]
	ds_read2_b64 v[18:21], v16 offset0:64 offset1:80
	ds_read2_b64 v[22:25], v16 offset0:96 offset1:112
	s_waitcnt lgkmcnt(1)
	v_fma_f64 v[26:27], v[18:19], v[30:31], v[26:27]
	v_fma_f64 v[28:29], v[20:21], v[30:31], v[34:35]
	v_fma_f64 v[30:31], v[18:19], v[10:11], v[8:9]
	v_fma_f64 v[2:3], v[20:21], v[10:11], v[2:3]
	ds_read2_b64 v[8:11], v16 offset0:128 offset1:144
	ds_read_b128 v[18:21], v17 offset:32
	s_waitcnt lgkmcnt(2)
	v_fma_f64 v[34:35], v[22:23], v[32:33], v[26:27]
	v_fma_f64 v[32:33], v[24:25], v[32:33], v[28:29]
	;; [unrolled: 1-line block ×4, first 2 shown]
	ds_read_b128 v[22:25], v17 offset:1056
	ds_read_b128 v[26:29], v17 offset:48
	s_waitcnt lgkmcnt(2)
	v_fma_f64 v[12:13], v[8:9], v[18:19], v[34:35]
	v_fma_f64 v[18:19], v[10:11], v[18:19], v[32:33]
	s_waitcnt lgkmcnt(1)
	v_fma_f64 v[34:35], v[8:9], v[22:23], v[36:37]
	v_fma_f64 v[2:3], v[10:11], v[22:23], v[2:3]
	ds_read2_b64 v[8:11], v16 offset0:160 offset1:176
	ds_read_b128 v[30:33], v17 offset:1072
	s_waitcnt lgkmcnt(1)
	v_fma_f64 v[12:13], v[8:9], v[20:21], v[12:13]
	v_fma_f64 v[18:19], v[10:11], v[20:21], v[18:19]
	v_mov_b32_e32 v21, s3
	v_mov_b32_e32 v20, s2
	v_cmp_le_u64_e32 vcc, s[12:13], v[20:21]
	v_fma_f64 v[20:21], v[8:9], v[24:25], v[34:35]
	v_fma_f64 v[2:3], v[10:11], v[24:25], v[2:3]
	ds_read2_b64 v[8:11], v16 offset0:192 offset1:208
	s_and_b64 vcc, exec, vcc
	s_waitcnt lgkmcnt(0)
	v_fma_f64 v[12:13], v[8:9], v[26:27], v[12:13]
	v_fma_f64 v[22:23], v[10:11], v[26:27], v[18:19]
	;; [unrolled: 1-line block ×4, first 2 shown]
	ds_read2_b64 v[18:21], v16 offset0:224 offset1:240
	s_waitcnt lgkmcnt(0)
	s_barrier
	v_fma_f64 v[12:13], v[18:19], v[28:29], v[12:13]
	v_fma_f64 v[10:11], v[20:21], v[28:29], v[22:23]
	;; [unrolled: 1-line block ×4, first 2 shown]
	s_cbranch_vccz .LBB1495_2
	s_branch .LBB1495_4
.LBB1495_3:
	v_mov_b32_e32 v12, 0
	v_mov_b32_e32 v10, 0
	;; [unrolled: 1-line block ×8, first 2 shown]
.LBB1495_4:
	v_add_u32_e32 v6, s7, v1
	v_ashrrev_i32_e32 v1, 31, v6
	v_mul_lo_u32 v1, s10, v1
	v_mul_lo_u32 v7, s11, v6
	v_mad_u64_u32 v[4:5], s[0:1], s10, v6, 0
	s_load_dword s4, s[4:5], 0x0
	v_add_u32_e32 v0, s6, v0
	v_add3_u32 v5, v5, v1, v7
	v_lshlrev_b64 v[4:5], 3, v[4:5]
	s_waitcnt lgkmcnt(0)
	v_mov_b32_e32 v1, s9
	v_add_co_u32_e32 v7, vcc, s8, v4
	v_addc_co_u32_e32 v14, vcc, v1, v5, vcc
	v_cmp_le_i32_e64 s[0:1], v6, v0
	v_cmp_gt_i32_e32 vcc, s4, v0
	s_and_b64 s[0:1], s[0:1], vcc
	s_and_saveexec_b64 s[2:3], s[0:1]
	s_cbranch_execz .LBB1495_6
; %bb.5:
	v_ashrrev_i32_e32 v1, 31, v0
	v_lshlrev_b64 v[4:5], 3, v[0:1]
	v_add_co_u32_e64 v4, s[0:1], v7, v4
	v_addc_co_u32_e64 v5, s[0:1], v14, v5, s[0:1]
	flat_load_dwordx2 v[15:16], v[4:5]
	s_waitcnt vmcnt(0) lgkmcnt(0)
	v_mul_f64 v[15:16], s[20:21], v[15:16]
	v_fma_f64 v[12:13], s[14:15], v[12:13], v[15:16]
	flat_store_dwordx2 v[4:5], v[12:13]
.LBB1495_6:
	s_or_b64 exec, exec, s[2:3]
	v_add_u32_e32 v4, 16, v0
	v_cmp_le_i32_e64 s[2:3], v6, v4
	v_cmp_gt_i32_e64 s[0:1], s4, v4
	s_and_b64 s[2:3], s[2:3], s[0:1]
	s_and_saveexec_b64 s[4:5], s[2:3]
	s_cbranch_execz .LBB1495_8
; %bb.7:
	v_ashrrev_i32_e32 v5, 31, v4
	v_lshlrev_b64 v[12:13], 3, v[4:5]
	v_add_co_u32_e64 v12, s[2:3], v7, v12
	v_addc_co_u32_e64 v13, s[2:3], v14, v13, s[2:3]
	flat_load_dwordx2 v[14:15], v[12:13]
	s_waitcnt vmcnt(0) lgkmcnt(0)
	v_mul_f64 v[14:15], s[20:21], v[14:15]
	v_fma_f64 v[10:11], s[14:15], v[10:11], v[14:15]
	flat_store_dwordx2 v[12:13], v[10:11]
.LBB1495_8:
	s_or_b64 exec, exec, s[4:5]
	v_add_u32_e32 v5, 16, v6
	v_ashrrev_i32_e32 v1, 31, v5
	v_mul_lo_u32 v10, s11, v5
	v_mad_u64_u32 v[6:7], s[2:3], s10, v5, 0
	v_mul_lo_u32 v1, s10, v1
	v_add3_u32 v7, v7, v1, v10
	v_lshlrev_b64 v[6:7], 3, v[6:7]
	v_mov_b32_e32 v1, s9
	v_add_co_u32_e64 v6, s[2:3], s8, v6
	v_addc_co_u32_e64 v7, s[2:3], v1, v7, s[2:3]
	v_cmp_le_i32_e64 s[2:3], v5, v0
	s_and_b64 s[4:5], s[2:3], vcc
	s_and_saveexec_b64 s[2:3], s[4:5]
	s_cbranch_execz .LBB1495_10
; %bb.9:
	v_ashrrev_i32_e32 v1, 31, v0
	v_lshlrev_b64 v[0:1], 3, v[0:1]
	v_add_co_u32_e32 v0, vcc, v6, v0
	v_addc_co_u32_e32 v1, vcc, v7, v1, vcc
	flat_load_dwordx2 v[10:11], v[0:1]
	s_waitcnt vmcnt(0) lgkmcnt(0)
	v_mul_f64 v[10:11], s[20:21], v[10:11]
	v_fma_f64 v[8:9], s[14:15], v[8:9], v[10:11]
	flat_store_dwordx2 v[0:1], v[8:9]
.LBB1495_10:
	s_or_b64 exec, exec, s[2:3]
	v_cmp_le_i32_e32 vcc, v5, v4
	s_and_b64 s[0:1], vcc, s[0:1]
	s_and_saveexec_b64 s[2:3], s[0:1]
	s_cbranch_execz .LBB1495_12
; %bb.11:
	v_ashrrev_i32_e32 v5, 31, v4
	v_lshlrev_b64 v[0:1], 3, v[4:5]
	v_add_co_u32_e32 v0, vcc, v6, v0
	v_addc_co_u32_e32 v1, vcc, v7, v1, vcc
	flat_load_dwordx2 v[4:5], v[0:1]
	s_waitcnt vmcnt(0) lgkmcnt(0)
	v_mul_f64 v[4:5], s[20:21], v[4:5]
	v_fma_f64 v[2:3], s[14:15], v[2:3], v[4:5]
	flat_store_dwordx2 v[0:1], v[2:3]
.LBB1495_12:
	s_endpgm
	.section	.rodata,"a",@progbits
	.p2align	6, 0x0
	.amdhsa_kernel _ZL37rocblas_syrkx_herkx_restricted_kernelIldLi16ELi32ELi8ELb0ELb0ELc84ELc76EKPKdKPdEviT_T0_PT8_S5_lS8_S5_lS6_PT9_S5_li
		.amdhsa_group_segment_fixed_size 4096
		.amdhsa_private_segment_fixed_size 0
		.amdhsa_kernarg_size 108
		.amdhsa_user_sgpr_count 6
		.amdhsa_user_sgpr_private_segment_buffer 1
		.amdhsa_user_sgpr_dispatch_ptr 0
		.amdhsa_user_sgpr_queue_ptr 0
		.amdhsa_user_sgpr_kernarg_segment_ptr 1
		.amdhsa_user_sgpr_dispatch_id 0
		.amdhsa_user_sgpr_flat_scratch_init 0
		.amdhsa_user_sgpr_private_segment_size 0
		.amdhsa_uses_dynamic_stack 0
		.amdhsa_system_sgpr_private_segment_wavefront_offset 0
		.amdhsa_system_sgpr_workgroup_id_x 1
		.amdhsa_system_sgpr_workgroup_id_y 1
		.amdhsa_system_sgpr_workgroup_id_z 1
		.amdhsa_system_sgpr_workgroup_info 0
		.amdhsa_system_vgpr_workitem_id 1
		.amdhsa_next_free_vgpr 38
		.amdhsa_next_free_sgpr 28
		.amdhsa_reserve_vcc 1
		.amdhsa_reserve_flat_scratch 0
		.amdhsa_float_round_mode_32 0
		.amdhsa_float_round_mode_16_64 0
		.amdhsa_float_denorm_mode_32 3
		.amdhsa_float_denorm_mode_16_64 3
		.amdhsa_dx10_clamp 1
		.amdhsa_ieee_mode 1
		.amdhsa_fp16_overflow 0
		.amdhsa_exception_fp_ieee_invalid_op 0
		.amdhsa_exception_fp_denorm_src 0
		.amdhsa_exception_fp_ieee_div_zero 0
		.amdhsa_exception_fp_ieee_overflow 0
		.amdhsa_exception_fp_ieee_underflow 0
		.amdhsa_exception_fp_ieee_inexact 0
		.amdhsa_exception_int_div_zero 0
	.end_amdhsa_kernel
	.section	.text._ZL37rocblas_syrkx_herkx_restricted_kernelIldLi16ELi32ELi8ELb0ELb0ELc84ELc76EKPKdKPdEviT_T0_PT8_S5_lS8_S5_lS6_PT9_S5_li,"axG",@progbits,_ZL37rocblas_syrkx_herkx_restricted_kernelIldLi16ELi32ELi8ELb0ELb0ELc84ELc76EKPKdKPdEviT_T0_PT8_S5_lS8_S5_lS6_PT9_S5_li,comdat
.Lfunc_end1495:
	.size	_ZL37rocblas_syrkx_herkx_restricted_kernelIldLi16ELi32ELi8ELb0ELb0ELc84ELc76EKPKdKPdEviT_T0_PT8_S5_lS8_S5_lS6_PT9_S5_li, .Lfunc_end1495-_ZL37rocblas_syrkx_herkx_restricted_kernelIldLi16ELi32ELi8ELb0ELb0ELc84ELc76EKPKdKPdEviT_T0_PT8_S5_lS8_S5_lS6_PT9_S5_li
                                        ; -- End function
	.set _ZL37rocblas_syrkx_herkx_restricted_kernelIldLi16ELi32ELi8ELb0ELb0ELc84ELc76EKPKdKPdEviT_T0_PT8_S5_lS8_S5_lS6_PT9_S5_li.num_vgpr, 38
	.set _ZL37rocblas_syrkx_herkx_restricted_kernelIldLi16ELi32ELi8ELb0ELb0ELc84ELc76EKPKdKPdEviT_T0_PT8_S5_lS8_S5_lS6_PT9_S5_li.num_agpr, 0
	.set _ZL37rocblas_syrkx_herkx_restricted_kernelIldLi16ELi32ELi8ELb0ELb0ELc84ELc76EKPKdKPdEviT_T0_PT8_S5_lS8_S5_lS6_PT9_S5_li.numbered_sgpr, 28
	.set _ZL37rocblas_syrkx_herkx_restricted_kernelIldLi16ELi32ELi8ELb0ELb0ELc84ELc76EKPKdKPdEviT_T0_PT8_S5_lS8_S5_lS6_PT9_S5_li.num_named_barrier, 0
	.set _ZL37rocblas_syrkx_herkx_restricted_kernelIldLi16ELi32ELi8ELb0ELb0ELc84ELc76EKPKdKPdEviT_T0_PT8_S5_lS8_S5_lS6_PT9_S5_li.private_seg_size, 0
	.set _ZL37rocblas_syrkx_herkx_restricted_kernelIldLi16ELi32ELi8ELb0ELb0ELc84ELc76EKPKdKPdEviT_T0_PT8_S5_lS8_S5_lS6_PT9_S5_li.uses_vcc, 1
	.set _ZL37rocblas_syrkx_herkx_restricted_kernelIldLi16ELi32ELi8ELb0ELb0ELc84ELc76EKPKdKPdEviT_T0_PT8_S5_lS8_S5_lS6_PT9_S5_li.uses_flat_scratch, 0
	.set _ZL37rocblas_syrkx_herkx_restricted_kernelIldLi16ELi32ELi8ELb0ELb0ELc84ELc76EKPKdKPdEviT_T0_PT8_S5_lS8_S5_lS6_PT9_S5_li.has_dyn_sized_stack, 0
	.set _ZL37rocblas_syrkx_herkx_restricted_kernelIldLi16ELi32ELi8ELb0ELb0ELc84ELc76EKPKdKPdEviT_T0_PT8_S5_lS8_S5_lS6_PT9_S5_li.has_recursion, 0
	.set _ZL37rocblas_syrkx_herkx_restricted_kernelIldLi16ELi32ELi8ELb0ELb0ELc84ELc76EKPKdKPdEviT_T0_PT8_S5_lS8_S5_lS6_PT9_S5_li.has_indirect_call, 0
	.section	.AMDGPU.csdata,"",@progbits
; Kernel info:
; codeLenInByte = 1428
; TotalNumSgprs: 32
; NumVgprs: 38
; ScratchSize: 0
; MemoryBound: 0
; FloatMode: 240
; IeeeMode: 1
; LDSByteSize: 4096 bytes/workgroup (compile time only)
; SGPRBlocks: 3
; VGPRBlocks: 9
; NumSGPRsForWavesPerEU: 32
; NumVGPRsForWavesPerEU: 38
; Occupancy: 6
; WaveLimiterHint : 1
; COMPUTE_PGM_RSRC2:SCRATCH_EN: 0
; COMPUTE_PGM_RSRC2:USER_SGPR: 6
; COMPUTE_PGM_RSRC2:TRAP_HANDLER: 0
; COMPUTE_PGM_RSRC2:TGID_X_EN: 1
; COMPUTE_PGM_RSRC2:TGID_Y_EN: 1
; COMPUTE_PGM_RSRC2:TGID_Z_EN: 1
; COMPUTE_PGM_RSRC2:TIDIG_COMP_CNT: 1
	.section	.text._ZL37rocblas_syrkx_herkx_restricted_kernelIldLi16ELi32ELi8ELb0ELb0ELc67ELc76EKPKdKPdEviT_T0_PT8_S5_lS8_S5_lS6_PT9_S5_li,"axG",@progbits,_ZL37rocblas_syrkx_herkx_restricted_kernelIldLi16ELi32ELi8ELb0ELb0ELc67ELc76EKPKdKPdEviT_T0_PT8_S5_lS8_S5_lS6_PT9_S5_li,comdat
	.globl	_ZL37rocblas_syrkx_herkx_restricted_kernelIldLi16ELi32ELi8ELb0ELb0ELc67ELc76EKPKdKPdEviT_T0_PT8_S5_lS8_S5_lS6_PT9_S5_li ; -- Begin function _ZL37rocblas_syrkx_herkx_restricted_kernelIldLi16ELi32ELi8ELb0ELb0ELc67ELc76EKPKdKPdEviT_T0_PT8_S5_lS8_S5_lS6_PT9_S5_li
	.p2align	8
	.type	_ZL37rocblas_syrkx_herkx_restricted_kernelIldLi16ELi32ELi8ELb0ELb0ELc67ELc76EKPKdKPdEviT_T0_PT8_S5_lS8_S5_lS6_PT9_S5_li,@function
_ZL37rocblas_syrkx_herkx_restricted_kernelIldLi16ELi32ELi8ELb0ELb0ELc67ELc76EKPKdKPdEviT_T0_PT8_S5_lS8_S5_lS6_PT9_S5_li: ; @_ZL37rocblas_syrkx_herkx_restricted_kernelIldLi16ELi32ELi8ELb0ELb0ELc67ELc76EKPKdKPdEviT_T0_PT8_S5_lS8_S5_lS6_PT9_S5_li
; %bb.0:
	s_load_dwordx4 s[20:23], s[4:5], 0x48
	s_load_dwordx2 s[10:11], s[4:5], 0x58
	s_load_dwordx8 s[12:19], s[4:5], 0x8
	s_mov_b32 s9, 0
	s_lshl_b64 s[0:1], s[8:9], 3
	s_waitcnt lgkmcnt(0)
	s_add_u32 s2, s22, s0
	s_addc_u32 s3, s23, s1
	s_load_dwordx2 s[8:9], s[2:3], 0x0
	v_cmp_lt_i64_e64 s[2:3], s[12:13], 1
	s_lshl_b32 s6, s6, 5
	s_lshl_b32 s7, s7, 5
	s_and_b64 vcc, exec, s[2:3]
	s_cbranch_vccnz .LBB1496_3
; %bb.1:
	s_load_dwordx4 s[24:27], s[4:5], 0x30
	v_lshl_add_u32 v3, v1, 4, v0
	v_and_b32_e32 v7, 31, v3
	v_lshrrev_b32_e32 v6, 3, v3
	v_lshrrev_b32_e32 v2, 5, v3
	v_and_b32_e32 v4, 7, v0
	v_lshlrev_b32_e32 v10, 3, v7
	s_add_u32 s2, s16, s0
	v_add_u32_e32 v8, s7, v6
	v_lshl_or_b32 v14, v2, 8, v10
	v_lshlrev_b32_e32 v10, 3, v4
	s_addc_u32 s3, s17, s1
	v_ashrrev_i32_e32 v9, 31, v8
	v_mov_b32_e32 v5, 0
	v_lshl_or_b32 v6, v6, 6, v10
	s_waitcnt lgkmcnt(0)
	s_add_u32 s0, s24, s0
	v_mov_b32_e32 v3, v5
	v_add_u32_e32 v15, 0x800, v6
	v_mul_lo_u32 v6, s26, v9
	v_mul_lo_u32 v9, s27, v8
	v_mad_u64_u32 v[4:5], s[16:17], s26, v8, v[4:5]
	v_mov_b32_e32 v8, 0x800
	v_add_u32_e32 v7, s6, v7
	s_addc_u32 s1, s25, s1
	v_lshl_add_u32 v17, v1, 6, v8
	v_ashrrev_i32_e32 v8, 31, v7
	s_load_dwordx2 s[0:1], s[0:1], 0x0
	v_mul_lo_u32 v8, s18, v8
	v_mad_u64_u32 v[2:3], s[16:17], s18, v7, v[2:3]
	v_mul_lo_u32 v7, s19, v7
	s_load_dwordx2 s[2:3], s[2:3], 0x0
	v_add3_u32 v5, v9, v5, v6
	v_lshlrev_b64 v[4:5], 3, v[4:5]
	v_add3_u32 v3, v7, v3, v8
	s_waitcnt lgkmcnt(0)
	v_mov_b32_e32 v6, s1
	v_add_co_u32_e32 v4, vcc, s0, v4
	v_lshlrev_b64 v[2:3], 3, v[2:3]
	v_addc_co_u32_e32 v5, vcc, v6, v5, vcc
	v_mov_b32_e32 v7, s3
	v_add_co_u32_e32 v6, vcc, s2, v2
	v_addc_co_u32_e32 v7, vcc, v7, v3, vcc
	v_mov_b32_e32 v2, 0
	v_mov_b32_e32 v8, 0
	;; [unrolled: 1-line block ×4, first 2 shown]
	v_lshlrev_b32_e32 v16, 3, v0
	v_mov_b32_e32 v3, 0
	v_mov_b32_e32 v9, 0
	;; [unrolled: 1-line block ×4, first 2 shown]
	s_mov_b64 s[2:3], 0
.LBB1496_2:                             ; =>This Inner Loop Header: Depth=1
	flat_load_dwordx2 v[18:19], v[6:7]
	s_add_u32 s2, s2, 8
	s_addc_u32 s3, s3, 0
	v_add_co_u32_e64 v6, s[0:1], 64, v6
	v_addc_co_u32_e64 v7, s[0:1], 0, v7, s[0:1]
	s_waitcnt vmcnt(0) lgkmcnt(0)
	ds_write_b64 v14, v[18:19]
	flat_load_dwordx2 v[18:19], v[4:5]
	v_add_co_u32_e64 v4, s[0:1], 64, v4
	v_addc_co_u32_e64 v5, s[0:1], 0, v5, s[0:1]
	s_waitcnt vmcnt(0) lgkmcnt(0)
	ds_write_b64 v15, v[18:19]
	s_waitcnt lgkmcnt(0)
	s_barrier
	ds_read2_b64 v[18:21], v16 offset1:16
	ds_read_b128 v[22:25], v17
	ds_read_b128 v[26:29], v17 offset:1024
	ds_read_b128 v[30:33], v17 offset:16
	s_waitcnt lgkmcnt(2)
	v_fma_f64 v[34:35], v[18:19], v[22:23], v[12:13]
	v_fma_f64 v[22:23], v[20:21], v[22:23], v[10:11]
	s_waitcnt lgkmcnt(1)
	v_fma_f64 v[8:9], v[18:19], v[26:27], v[8:9]
	v_fma_f64 v[2:3], v[20:21], v[26:27], v[2:3]
	ds_read2_b64 v[18:21], v16 offset0:32 offset1:48
	ds_read_b128 v[10:13], v17 offset:1040
	s_waitcnt lgkmcnt(1)
	v_fma_f64 v[26:27], v[18:19], v[24:25], v[34:35]
	v_fma_f64 v[34:35], v[20:21], v[24:25], v[22:23]
	;; [unrolled: 1-line block ×4, first 2 shown]
	ds_read2_b64 v[18:21], v16 offset0:64 offset1:80
	ds_read2_b64 v[22:25], v16 offset0:96 offset1:112
	s_waitcnt lgkmcnt(1)
	v_fma_f64 v[26:27], v[18:19], v[30:31], v[26:27]
	v_fma_f64 v[28:29], v[20:21], v[30:31], v[34:35]
	;; [unrolled: 1-line block ×4, first 2 shown]
	ds_read2_b64 v[8:11], v16 offset0:128 offset1:144
	ds_read_b128 v[18:21], v17 offset:32
	s_waitcnt lgkmcnt(2)
	v_fma_f64 v[34:35], v[22:23], v[32:33], v[26:27]
	v_fma_f64 v[32:33], v[24:25], v[32:33], v[28:29]
	;; [unrolled: 1-line block ×4, first 2 shown]
	ds_read_b128 v[22:25], v17 offset:1056
	ds_read_b128 v[26:29], v17 offset:48
	s_waitcnt lgkmcnt(2)
	v_fma_f64 v[12:13], v[8:9], v[18:19], v[34:35]
	v_fma_f64 v[18:19], v[10:11], v[18:19], v[32:33]
	s_waitcnt lgkmcnt(1)
	v_fma_f64 v[34:35], v[8:9], v[22:23], v[36:37]
	v_fma_f64 v[2:3], v[10:11], v[22:23], v[2:3]
	ds_read2_b64 v[8:11], v16 offset0:160 offset1:176
	ds_read_b128 v[30:33], v17 offset:1072
	s_waitcnt lgkmcnt(1)
	v_fma_f64 v[12:13], v[8:9], v[20:21], v[12:13]
	v_fma_f64 v[18:19], v[10:11], v[20:21], v[18:19]
	v_mov_b32_e32 v21, s3
	v_mov_b32_e32 v20, s2
	v_cmp_le_u64_e32 vcc, s[12:13], v[20:21]
	v_fma_f64 v[20:21], v[8:9], v[24:25], v[34:35]
	v_fma_f64 v[2:3], v[10:11], v[24:25], v[2:3]
	ds_read2_b64 v[8:11], v16 offset0:192 offset1:208
	s_and_b64 vcc, exec, vcc
	s_waitcnt lgkmcnt(0)
	v_fma_f64 v[12:13], v[8:9], v[26:27], v[12:13]
	v_fma_f64 v[22:23], v[10:11], v[26:27], v[18:19]
	;; [unrolled: 1-line block ×4, first 2 shown]
	ds_read2_b64 v[18:21], v16 offset0:224 offset1:240
	s_waitcnt lgkmcnt(0)
	s_barrier
	v_fma_f64 v[12:13], v[18:19], v[28:29], v[12:13]
	v_fma_f64 v[10:11], v[20:21], v[28:29], v[22:23]
	;; [unrolled: 1-line block ×4, first 2 shown]
	s_cbranch_vccz .LBB1496_2
	s_branch .LBB1496_4
.LBB1496_3:
	v_mov_b32_e32 v12, 0
	v_mov_b32_e32 v10, 0
	;; [unrolled: 1-line block ×8, first 2 shown]
.LBB1496_4:
	v_add_u32_e32 v6, s7, v1
	v_ashrrev_i32_e32 v1, 31, v6
	v_mul_lo_u32 v1, s10, v1
	v_mul_lo_u32 v7, s11, v6
	v_mad_u64_u32 v[4:5], s[0:1], s10, v6, 0
	s_load_dword s4, s[4:5], 0x0
	v_add_u32_e32 v0, s6, v0
	v_add3_u32 v5, v5, v1, v7
	v_lshlrev_b64 v[4:5], 3, v[4:5]
	s_waitcnt lgkmcnt(0)
	v_mov_b32_e32 v1, s9
	v_add_co_u32_e32 v7, vcc, s8, v4
	v_addc_co_u32_e32 v14, vcc, v1, v5, vcc
	v_cmp_le_i32_e64 s[0:1], v6, v0
	v_cmp_gt_i32_e32 vcc, s4, v0
	s_and_b64 s[0:1], s[0:1], vcc
	s_and_saveexec_b64 s[2:3], s[0:1]
	s_cbranch_execz .LBB1496_6
; %bb.5:
	v_ashrrev_i32_e32 v1, 31, v0
	v_lshlrev_b64 v[4:5], 3, v[0:1]
	v_add_co_u32_e64 v4, s[0:1], v7, v4
	v_addc_co_u32_e64 v5, s[0:1], v14, v5, s[0:1]
	flat_load_dwordx2 v[15:16], v[4:5]
	s_waitcnt vmcnt(0) lgkmcnt(0)
	v_mul_f64 v[15:16], s[20:21], v[15:16]
	v_fma_f64 v[12:13], s[14:15], v[12:13], v[15:16]
	flat_store_dwordx2 v[4:5], v[12:13]
.LBB1496_6:
	s_or_b64 exec, exec, s[2:3]
	v_add_u32_e32 v4, 16, v0
	v_cmp_le_i32_e64 s[2:3], v6, v4
	v_cmp_gt_i32_e64 s[0:1], s4, v4
	s_and_b64 s[2:3], s[2:3], s[0:1]
	s_and_saveexec_b64 s[4:5], s[2:3]
	s_cbranch_execz .LBB1496_8
; %bb.7:
	v_ashrrev_i32_e32 v5, 31, v4
	v_lshlrev_b64 v[12:13], 3, v[4:5]
	v_add_co_u32_e64 v12, s[2:3], v7, v12
	v_addc_co_u32_e64 v13, s[2:3], v14, v13, s[2:3]
	flat_load_dwordx2 v[14:15], v[12:13]
	s_waitcnt vmcnt(0) lgkmcnt(0)
	v_mul_f64 v[14:15], s[20:21], v[14:15]
	v_fma_f64 v[10:11], s[14:15], v[10:11], v[14:15]
	flat_store_dwordx2 v[12:13], v[10:11]
.LBB1496_8:
	s_or_b64 exec, exec, s[4:5]
	v_add_u32_e32 v5, 16, v6
	v_ashrrev_i32_e32 v1, 31, v5
	v_mul_lo_u32 v10, s11, v5
	v_mad_u64_u32 v[6:7], s[2:3], s10, v5, 0
	v_mul_lo_u32 v1, s10, v1
	v_add3_u32 v7, v7, v1, v10
	v_lshlrev_b64 v[6:7], 3, v[6:7]
	v_mov_b32_e32 v1, s9
	v_add_co_u32_e64 v6, s[2:3], s8, v6
	v_addc_co_u32_e64 v7, s[2:3], v1, v7, s[2:3]
	v_cmp_le_i32_e64 s[2:3], v5, v0
	s_and_b64 s[4:5], s[2:3], vcc
	s_and_saveexec_b64 s[2:3], s[4:5]
	s_cbranch_execz .LBB1496_10
; %bb.9:
	v_ashrrev_i32_e32 v1, 31, v0
	v_lshlrev_b64 v[0:1], 3, v[0:1]
	v_add_co_u32_e32 v0, vcc, v6, v0
	v_addc_co_u32_e32 v1, vcc, v7, v1, vcc
	flat_load_dwordx2 v[10:11], v[0:1]
	s_waitcnt vmcnt(0) lgkmcnt(0)
	v_mul_f64 v[10:11], s[20:21], v[10:11]
	v_fma_f64 v[8:9], s[14:15], v[8:9], v[10:11]
	flat_store_dwordx2 v[0:1], v[8:9]
.LBB1496_10:
	s_or_b64 exec, exec, s[2:3]
	v_cmp_le_i32_e32 vcc, v5, v4
	s_and_b64 s[0:1], vcc, s[0:1]
	s_and_saveexec_b64 s[2:3], s[0:1]
	s_cbranch_execz .LBB1496_12
; %bb.11:
	v_ashrrev_i32_e32 v5, 31, v4
	v_lshlrev_b64 v[0:1], 3, v[4:5]
	v_add_co_u32_e32 v0, vcc, v6, v0
	v_addc_co_u32_e32 v1, vcc, v7, v1, vcc
	flat_load_dwordx2 v[4:5], v[0:1]
	s_waitcnt vmcnt(0) lgkmcnt(0)
	v_mul_f64 v[4:5], s[20:21], v[4:5]
	v_fma_f64 v[2:3], s[14:15], v[2:3], v[4:5]
	flat_store_dwordx2 v[0:1], v[2:3]
.LBB1496_12:
	s_endpgm
	.section	.rodata,"a",@progbits
	.p2align	6, 0x0
	.amdhsa_kernel _ZL37rocblas_syrkx_herkx_restricted_kernelIldLi16ELi32ELi8ELb0ELb0ELc67ELc76EKPKdKPdEviT_T0_PT8_S5_lS8_S5_lS6_PT9_S5_li
		.amdhsa_group_segment_fixed_size 4096
		.amdhsa_private_segment_fixed_size 0
		.amdhsa_kernarg_size 108
		.amdhsa_user_sgpr_count 6
		.amdhsa_user_sgpr_private_segment_buffer 1
		.amdhsa_user_sgpr_dispatch_ptr 0
		.amdhsa_user_sgpr_queue_ptr 0
		.amdhsa_user_sgpr_kernarg_segment_ptr 1
		.amdhsa_user_sgpr_dispatch_id 0
		.amdhsa_user_sgpr_flat_scratch_init 0
		.amdhsa_user_sgpr_private_segment_size 0
		.amdhsa_uses_dynamic_stack 0
		.amdhsa_system_sgpr_private_segment_wavefront_offset 0
		.amdhsa_system_sgpr_workgroup_id_x 1
		.amdhsa_system_sgpr_workgroup_id_y 1
		.amdhsa_system_sgpr_workgroup_id_z 1
		.amdhsa_system_sgpr_workgroup_info 0
		.amdhsa_system_vgpr_workitem_id 1
		.amdhsa_next_free_vgpr 38
		.amdhsa_next_free_sgpr 28
		.amdhsa_reserve_vcc 1
		.amdhsa_reserve_flat_scratch 0
		.amdhsa_float_round_mode_32 0
		.amdhsa_float_round_mode_16_64 0
		.amdhsa_float_denorm_mode_32 3
		.amdhsa_float_denorm_mode_16_64 3
		.amdhsa_dx10_clamp 1
		.amdhsa_ieee_mode 1
		.amdhsa_fp16_overflow 0
		.amdhsa_exception_fp_ieee_invalid_op 0
		.amdhsa_exception_fp_denorm_src 0
		.amdhsa_exception_fp_ieee_div_zero 0
		.amdhsa_exception_fp_ieee_overflow 0
		.amdhsa_exception_fp_ieee_underflow 0
		.amdhsa_exception_fp_ieee_inexact 0
		.amdhsa_exception_int_div_zero 0
	.end_amdhsa_kernel
	.section	.text._ZL37rocblas_syrkx_herkx_restricted_kernelIldLi16ELi32ELi8ELb0ELb0ELc67ELc76EKPKdKPdEviT_T0_PT8_S5_lS8_S5_lS6_PT9_S5_li,"axG",@progbits,_ZL37rocblas_syrkx_herkx_restricted_kernelIldLi16ELi32ELi8ELb0ELb0ELc67ELc76EKPKdKPdEviT_T0_PT8_S5_lS8_S5_lS6_PT9_S5_li,comdat
.Lfunc_end1496:
	.size	_ZL37rocblas_syrkx_herkx_restricted_kernelIldLi16ELi32ELi8ELb0ELb0ELc67ELc76EKPKdKPdEviT_T0_PT8_S5_lS8_S5_lS6_PT9_S5_li, .Lfunc_end1496-_ZL37rocblas_syrkx_herkx_restricted_kernelIldLi16ELi32ELi8ELb0ELb0ELc67ELc76EKPKdKPdEviT_T0_PT8_S5_lS8_S5_lS6_PT9_S5_li
                                        ; -- End function
	.set _ZL37rocblas_syrkx_herkx_restricted_kernelIldLi16ELi32ELi8ELb0ELb0ELc67ELc76EKPKdKPdEviT_T0_PT8_S5_lS8_S5_lS6_PT9_S5_li.num_vgpr, 38
	.set _ZL37rocblas_syrkx_herkx_restricted_kernelIldLi16ELi32ELi8ELb0ELb0ELc67ELc76EKPKdKPdEviT_T0_PT8_S5_lS8_S5_lS6_PT9_S5_li.num_agpr, 0
	.set _ZL37rocblas_syrkx_herkx_restricted_kernelIldLi16ELi32ELi8ELb0ELb0ELc67ELc76EKPKdKPdEviT_T0_PT8_S5_lS8_S5_lS6_PT9_S5_li.numbered_sgpr, 28
	.set _ZL37rocblas_syrkx_herkx_restricted_kernelIldLi16ELi32ELi8ELb0ELb0ELc67ELc76EKPKdKPdEviT_T0_PT8_S5_lS8_S5_lS6_PT9_S5_li.num_named_barrier, 0
	.set _ZL37rocblas_syrkx_herkx_restricted_kernelIldLi16ELi32ELi8ELb0ELb0ELc67ELc76EKPKdKPdEviT_T0_PT8_S5_lS8_S5_lS6_PT9_S5_li.private_seg_size, 0
	.set _ZL37rocblas_syrkx_herkx_restricted_kernelIldLi16ELi32ELi8ELb0ELb0ELc67ELc76EKPKdKPdEviT_T0_PT8_S5_lS8_S5_lS6_PT9_S5_li.uses_vcc, 1
	.set _ZL37rocblas_syrkx_herkx_restricted_kernelIldLi16ELi32ELi8ELb0ELb0ELc67ELc76EKPKdKPdEviT_T0_PT8_S5_lS8_S5_lS6_PT9_S5_li.uses_flat_scratch, 0
	.set _ZL37rocblas_syrkx_herkx_restricted_kernelIldLi16ELi32ELi8ELb0ELb0ELc67ELc76EKPKdKPdEviT_T0_PT8_S5_lS8_S5_lS6_PT9_S5_li.has_dyn_sized_stack, 0
	.set _ZL37rocblas_syrkx_herkx_restricted_kernelIldLi16ELi32ELi8ELb0ELb0ELc67ELc76EKPKdKPdEviT_T0_PT8_S5_lS8_S5_lS6_PT9_S5_li.has_recursion, 0
	.set _ZL37rocblas_syrkx_herkx_restricted_kernelIldLi16ELi32ELi8ELb0ELb0ELc67ELc76EKPKdKPdEviT_T0_PT8_S5_lS8_S5_lS6_PT9_S5_li.has_indirect_call, 0
	.section	.AMDGPU.csdata,"",@progbits
; Kernel info:
; codeLenInByte = 1428
; TotalNumSgprs: 32
; NumVgprs: 38
; ScratchSize: 0
; MemoryBound: 0
; FloatMode: 240
; IeeeMode: 1
; LDSByteSize: 4096 bytes/workgroup (compile time only)
; SGPRBlocks: 3
; VGPRBlocks: 9
; NumSGPRsForWavesPerEU: 32
; NumVGPRsForWavesPerEU: 38
; Occupancy: 6
; WaveLimiterHint : 1
; COMPUTE_PGM_RSRC2:SCRATCH_EN: 0
; COMPUTE_PGM_RSRC2:USER_SGPR: 6
; COMPUTE_PGM_RSRC2:TRAP_HANDLER: 0
; COMPUTE_PGM_RSRC2:TGID_X_EN: 1
; COMPUTE_PGM_RSRC2:TGID_Y_EN: 1
; COMPUTE_PGM_RSRC2:TGID_Z_EN: 1
; COMPUTE_PGM_RSRC2:TIDIG_COMP_CNT: 1
	.section	.text._ZL37rocblas_syrkx_herkx_restricted_kernelIldLi16ELi32ELi8ELb0ELb0ELc78ELc76EKPKdKPdEviT_T0_PT8_S5_lS8_S5_lS6_PT9_S5_li,"axG",@progbits,_ZL37rocblas_syrkx_herkx_restricted_kernelIldLi16ELi32ELi8ELb0ELb0ELc78ELc76EKPKdKPdEviT_T0_PT8_S5_lS8_S5_lS6_PT9_S5_li,comdat
	.globl	_ZL37rocblas_syrkx_herkx_restricted_kernelIldLi16ELi32ELi8ELb0ELb0ELc78ELc76EKPKdKPdEviT_T0_PT8_S5_lS8_S5_lS6_PT9_S5_li ; -- Begin function _ZL37rocblas_syrkx_herkx_restricted_kernelIldLi16ELi32ELi8ELb0ELb0ELc78ELc76EKPKdKPdEviT_T0_PT8_S5_lS8_S5_lS6_PT9_S5_li
	.p2align	8
	.type	_ZL37rocblas_syrkx_herkx_restricted_kernelIldLi16ELi32ELi8ELb0ELb0ELc78ELc76EKPKdKPdEviT_T0_PT8_S5_lS8_S5_lS6_PT9_S5_li,@function
_ZL37rocblas_syrkx_herkx_restricted_kernelIldLi16ELi32ELi8ELb0ELb0ELc78ELc76EKPKdKPdEviT_T0_PT8_S5_lS8_S5_lS6_PT9_S5_li: ; @_ZL37rocblas_syrkx_herkx_restricted_kernelIldLi16ELi32ELi8ELb0ELb0ELc78ELc76EKPKdKPdEviT_T0_PT8_S5_lS8_S5_lS6_PT9_S5_li
; %bb.0:
	s_load_dwordx4 s[20:23], s[4:5], 0x48
	s_load_dwordx2 s[10:11], s[4:5], 0x58
	s_load_dwordx8 s[12:19], s[4:5], 0x8
	s_mov_b32 s9, 0
	s_lshl_b64 s[24:25], s[8:9], 3
	s_waitcnt lgkmcnt(0)
	s_add_u32 s0, s22, s24
	s_addc_u32 s1, s23, s25
	s_load_dwordx2 s[8:9], s[0:1], 0x0
	v_cmp_lt_i64_e64 s[0:1], s[12:13], 1
	s_lshl_b32 s22, s6, 5
	s_lshl_b32 s23, s7, 5
	s_and_b64 vcc, exec, s[0:1]
	s_cbranch_vccnz .LBB1497_3
; %bb.1:
	s_load_dwordx4 s[0:3], s[4:5], 0x30
	v_lshl_add_u32 v2, v1, 4, v0
	v_lshrrev_b32_e32 v4, 3, v2
	v_lshrrev_b32_e32 v8, 5, v2
	v_and_b32_e32 v6, 31, v2
	v_add_u32_e32 v2, s23, v4
	s_add_u32 s6, s16, s24
	v_and_b32_e32 v5, 7, v0
	v_ashrrev_i32_e32 v3, 31, v2
	s_addc_u32 s7, s17, s25
	v_lshlrev_b32_e32 v7, 3, v6
	s_waitcnt lgkmcnt(0)
	v_mad_u64_u32 v[2:3], s[16:17], s2, v5, v[2:3]
	v_lshl_or_b32 v14, v8, 8, v7
	v_lshlrev_b32_e32 v7, 3, v5
	v_lshl_or_b32 v4, v4, 6, v7
	v_add_u32_e32 v15, 0x800, v4
	v_mov_b32_e32 v4, 0x800
	s_add_u32 s0, s0, s24
	v_lshl_add_u32 v17, v1, 6, v4
	v_mad_u64_u32 v[3:4], s[16:17], s3, v5, v[3:4]
	s_addc_u32 s1, s1, s25
	v_add_u32_e32 v4, s22, v6
	s_load_dwordx2 s[0:1], s[0:1], 0x0
	v_ashrrev_i32_e32 v5, 31, v4
	v_mad_u64_u32 v[6:7], s[16:17], s18, v8, v[4:5]
	s_load_dwordx2 s[6:7], s[6:7], 0x0
	s_waitcnt lgkmcnt(0)
	v_mov_b32_e32 v5, s1
	v_mov_b32_e32 v4, v7
	v_mad_u64_u32 v[7:8], s[16:17], s19, v8, v[4:5]
	v_lshlrev_b64 v[2:3], 3, v[2:3]
	s_lshl_b64 s[2:3], s[2:3], 6
	v_add_co_u32_e32 v4, vcc, s0, v2
	v_addc_co_u32_e32 v5, vcc, v5, v3, vcc
	v_lshlrev_b64 v[2:3], 3, v[6:7]
	v_mov_b32_e32 v7, s7
	v_add_co_u32_e32 v6, vcc, s6, v2
	v_addc_co_u32_e32 v7, vcc, v7, v3, vcc
	s_lshl_b64 s[6:7], s[18:19], 6
	v_mov_b32_e32 v2, 0
	v_mov_b32_e32 v8, 0
	;; [unrolled: 1-line block ×4, first 2 shown]
	v_lshlrev_b32_e32 v16, 3, v0
	v_mov_b32_e32 v3, 0
	s_mov_b64 s[16:17], 0
	v_mov_b32_e32 v18, s3
	v_mov_b32_e32 v9, 0
	;; [unrolled: 1-line block ×5, first 2 shown]
.LBB1497_2:                             ; =>This Inner Loop Header: Depth=1
	flat_load_dwordx2 v[20:21], v[6:7]
	s_add_u32 s16, s16, 8
	v_add_co_u32_e32 v6, vcc, s6, v6
	s_addc_u32 s17, s17, 0
	v_addc_co_u32_e32 v7, vcc, v7, v19, vcc
	s_waitcnt vmcnt(0) lgkmcnt(0)
	ds_write_b64 v14, v[20:21]
	flat_load_dwordx2 v[20:21], v[4:5]
	v_add_co_u32_e64 v4, s[0:1], s2, v4
	v_addc_co_u32_e64 v5, s[0:1], v5, v18, s[0:1]
	s_waitcnt vmcnt(0) lgkmcnt(0)
	ds_write_b64 v15, v[20:21]
	s_waitcnt lgkmcnt(0)
	s_barrier
	ds_read2_b64 v[20:23], v16 offset1:16
	ds_read_b128 v[24:27], v17
	ds_read_b128 v[28:31], v17 offset:16
	s_waitcnt lgkmcnt(1)
	v_fma_f64 v[36:37], v[20:21], v[24:25], v[12:13]
	v_fma_f64 v[24:25], v[22:23], v[24:25], v[10:11]
	ds_read_b128 v[10:13], v17 offset:1024
	ds_read_b128 v[32:35], v17 offset:1040
	s_waitcnt lgkmcnt(1)
	v_fma_f64 v[20:21], v[20:21], v[10:11], v[8:9]
	v_fma_f64 v[2:3], v[22:23], v[10:11], v[2:3]
	ds_read2_b64 v[8:11], v16 offset0:32 offset1:48
	s_waitcnt lgkmcnt(0)
	v_fma_f64 v[22:23], v[8:9], v[26:27], v[36:37]
	v_fma_f64 v[24:25], v[10:11], v[26:27], v[24:25]
	v_fma_f64 v[20:21], v[8:9], v[12:13], v[20:21]
	v_fma_f64 v[2:3], v[10:11], v[12:13], v[2:3]
	ds_read2_b64 v[8:11], v16 offset0:64 offset1:80
	s_waitcnt lgkmcnt(0)
	v_fma_f64 v[12:13], v[8:9], v[28:29], v[22:23]
	v_fma_f64 v[22:23], v[10:11], v[28:29], v[24:25]
	v_fma_f64 v[24:25], v[8:9], v[32:33], v[20:21]
	v_fma_f64 v[2:3], v[10:11], v[32:33], v[2:3]
	ds_read2_b64 v[8:11], v16 offset0:96 offset1:112
	s_waitcnt lgkmcnt(0)
	v_fma_f64 v[12:13], v[8:9], v[30:31], v[12:13]
	v_fma_f64 v[28:29], v[10:11], v[30:31], v[22:23]
	ds_read2_b64 v[20:23], v16 offset0:128 offset1:144
	v_fma_f64 v[36:37], v[8:9], v[34:35], v[24:25]
	v_fma_f64 v[2:3], v[10:11], v[34:35], v[2:3]
	ds_read_b128 v[8:11], v17 offset:32
	ds_read_b128 v[24:27], v17 offset:48
	s_waitcnt lgkmcnt(1)
	v_fma_f64 v[12:13], v[20:21], v[8:9], v[12:13]
	v_fma_f64 v[8:9], v[22:23], v[8:9], v[28:29]
	ds_read_b128 v[28:31], v17 offset:1056
	ds_read_b128 v[32:35], v17 offset:1072
	s_waitcnt lgkmcnt(1)
	v_fma_f64 v[36:37], v[20:21], v[28:29], v[36:37]
	v_fma_f64 v[2:3], v[22:23], v[28:29], v[2:3]
	ds_read2_b64 v[20:23], v16 offset0:160 offset1:176
	s_waitcnt lgkmcnt(0)
	v_fma_f64 v[12:13], v[20:21], v[10:11], v[12:13]
	v_fma_f64 v[28:29], v[22:23], v[10:11], v[8:9]
	;; [unrolled: 1-line block ×4, first 2 shown]
	v_mov_b32_e32 v8, s16
	v_mov_b32_e32 v9, s17
	v_cmp_le_u64_e32 vcc, s[12:13], v[8:9]
	ds_read2_b64 v[8:11], v16 offset0:192 offset1:208
	s_and_b64 vcc, exec, vcc
	s_waitcnt lgkmcnt(0)
	v_fma_f64 v[12:13], v[8:9], v[24:25], v[12:13]
	v_fma_f64 v[24:25], v[10:11], v[24:25], v[28:29]
	;; [unrolled: 1-line block ×4, first 2 shown]
	ds_read2_b64 v[20:23], v16 offset0:224 offset1:240
	s_waitcnt lgkmcnt(0)
	s_barrier
	v_fma_f64 v[12:13], v[20:21], v[26:27], v[12:13]
	v_fma_f64 v[10:11], v[22:23], v[26:27], v[24:25]
	;; [unrolled: 1-line block ×4, first 2 shown]
	s_cbranch_vccz .LBB1497_2
	s_branch .LBB1497_4
.LBB1497_3:
	v_mov_b32_e32 v12, 0
	v_mov_b32_e32 v10, 0
	;; [unrolled: 1-line block ×8, first 2 shown]
.LBB1497_4:
	v_add_u32_e32 v6, s23, v1
	v_ashrrev_i32_e32 v1, 31, v6
	v_mul_lo_u32 v1, s10, v1
	v_mul_lo_u32 v7, s11, v6
	v_mad_u64_u32 v[4:5], s[0:1], s10, v6, 0
	s_load_dword s4, s[4:5], 0x0
	v_add_u32_e32 v0, s22, v0
	v_add3_u32 v5, v5, v1, v7
	v_lshlrev_b64 v[4:5], 3, v[4:5]
	s_waitcnt lgkmcnt(0)
	v_mov_b32_e32 v1, s9
	v_add_co_u32_e32 v7, vcc, s8, v4
	v_addc_co_u32_e32 v14, vcc, v1, v5, vcc
	v_cmp_le_i32_e64 s[0:1], v6, v0
	v_cmp_gt_i32_e32 vcc, s4, v0
	s_and_b64 s[0:1], s[0:1], vcc
	s_and_saveexec_b64 s[2:3], s[0:1]
	s_cbranch_execz .LBB1497_6
; %bb.5:
	v_ashrrev_i32_e32 v1, 31, v0
	v_lshlrev_b64 v[4:5], 3, v[0:1]
	v_add_co_u32_e64 v4, s[0:1], v7, v4
	v_addc_co_u32_e64 v5, s[0:1], v14, v5, s[0:1]
	flat_load_dwordx2 v[15:16], v[4:5]
	s_waitcnt vmcnt(0) lgkmcnt(0)
	v_mul_f64 v[15:16], s[20:21], v[15:16]
	v_fma_f64 v[12:13], s[14:15], v[12:13], v[15:16]
	flat_store_dwordx2 v[4:5], v[12:13]
.LBB1497_6:
	s_or_b64 exec, exec, s[2:3]
	v_add_u32_e32 v4, 16, v0
	v_cmp_le_i32_e64 s[2:3], v6, v4
	v_cmp_gt_i32_e64 s[0:1], s4, v4
	s_and_b64 s[2:3], s[2:3], s[0:1]
	s_and_saveexec_b64 s[4:5], s[2:3]
	s_cbranch_execz .LBB1497_8
; %bb.7:
	v_ashrrev_i32_e32 v5, 31, v4
	v_lshlrev_b64 v[12:13], 3, v[4:5]
	v_add_co_u32_e64 v12, s[2:3], v7, v12
	v_addc_co_u32_e64 v13, s[2:3], v14, v13, s[2:3]
	flat_load_dwordx2 v[14:15], v[12:13]
	s_waitcnt vmcnt(0) lgkmcnt(0)
	v_mul_f64 v[14:15], s[20:21], v[14:15]
	v_fma_f64 v[10:11], s[14:15], v[10:11], v[14:15]
	flat_store_dwordx2 v[12:13], v[10:11]
.LBB1497_8:
	s_or_b64 exec, exec, s[4:5]
	v_add_u32_e32 v5, 16, v6
	v_ashrrev_i32_e32 v1, 31, v5
	v_mul_lo_u32 v10, s11, v5
	v_mad_u64_u32 v[6:7], s[2:3], s10, v5, 0
	v_mul_lo_u32 v1, s10, v1
	v_add3_u32 v7, v7, v1, v10
	v_lshlrev_b64 v[6:7], 3, v[6:7]
	v_mov_b32_e32 v1, s9
	v_add_co_u32_e64 v6, s[2:3], s8, v6
	v_addc_co_u32_e64 v7, s[2:3], v1, v7, s[2:3]
	v_cmp_le_i32_e64 s[2:3], v5, v0
	s_and_b64 s[4:5], s[2:3], vcc
	s_and_saveexec_b64 s[2:3], s[4:5]
	s_cbranch_execz .LBB1497_10
; %bb.9:
	v_ashrrev_i32_e32 v1, 31, v0
	v_lshlrev_b64 v[0:1], 3, v[0:1]
	v_add_co_u32_e32 v0, vcc, v6, v0
	v_addc_co_u32_e32 v1, vcc, v7, v1, vcc
	flat_load_dwordx2 v[10:11], v[0:1]
	s_waitcnt vmcnt(0) lgkmcnt(0)
	v_mul_f64 v[10:11], s[20:21], v[10:11]
	v_fma_f64 v[8:9], s[14:15], v[8:9], v[10:11]
	flat_store_dwordx2 v[0:1], v[8:9]
.LBB1497_10:
	s_or_b64 exec, exec, s[2:3]
	v_cmp_le_i32_e32 vcc, v5, v4
	s_and_b64 s[0:1], vcc, s[0:1]
	s_and_saveexec_b64 s[2:3], s[0:1]
	s_cbranch_execz .LBB1497_12
; %bb.11:
	v_ashrrev_i32_e32 v5, 31, v4
	v_lshlrev_b64 v[0:1], 3, v[4:5]
	v_add_co_u32_e32 v0, vcc, v6, v0
	v_addc_co_u32_e32 v1, vcc, v7, v1, vcc
	flat_load_dwordx2 v[4:5], v[0:1]
	s_waitcnt vmcnt(0) lgkmcnt(0)
	v_mul_f64 v[4:5], s[20:21], v[4:5]
	v_fma_f64 v[2:3], s[14:15], v[2:3], v[4:5]
	flat_store_dwordx2 v[0:1], v[2:3]
.LBB1497_12:
	s_endpgm
	.section	.rodata,"a",@progbits
	.p2align	6, 0x0
	.amdhsa_kernel _ZL37rocblas_syrkx_herkx_restricted_kernelIldLi16ELi32ELi8ELb0ELb0ELc78ELc76EKPKdKPdEviT_T0_PT8_S5_lS8_S5_lS6_PT9_S5_li
		.amdhsa_group_segment_fixed_size 4096
		.amdhsa_private_segment_fixed_size 0
		.amdhsa_kernarg_size 108
		.amdhsa_user_sgpr_count 6
		.amdhsa_user_sgpr_private_segment_buffer 1
		.amdhsa_user_sgpr_dispatch_ptr 0
		.amdhsa_user_sgpr_queue_ptr 0
		.amdhsa_user_sgpr_kernarg_segment_ptr 1
		.amdhsa_user_sgpr_dispatch_id 0
		.amdhsa_user_sgpr_flat_scratch_init 0
		.amdhsa_user_sgpr_private_segment_size 0
		.amdhsa_uses_dynamic_stack 0
		.amdhsa_system_sgpr_private_segment_wavefront_offset 0
		.amdhsa_system_sgpr_workgroup_id_x 1
		.amdhsa_system_sgpr_workgroup_id_y 1
		.amdhsa_system_sgpr_workgroup_id_z 1
		.amdhsa_system_sgpr_workgroup_info 0
		.amdhsa_system_vgpr_workitem_id 1
		.amdhsa_next_free_vgpr 38
		.amdhsa_next_free_sgpr 26
		.amdhsa_reserve_vcc 1
		.amdhsa_reserve_flat_scratch 0
		.amdhsa_float_round_mode_32 0
		.amdhsa_float_round_mode_16_64 0
		.amdhsa_float_denorm_mode_32 3
		.amdhsa_float_denorm_mode_16_64 3
		.amdhsa_dx10_clamp 1
		.amdhsa_ieee_mode 1
		.amdhsa_fp16_overflow 0
		.amdhsa_exception_fp_ieee_invalid_op 0
		.amdhsa_exception_fp_denorm_src 0
		.amdhsa_exception_fp_ieee_div_zero 0
		.amdhsa_exception_fp_ieee_overflow 0
		.amdhsa_exception_fp_ieee_underflow 0
		.amdhsa_exception_fp_ieee_inexact 0
		.amdhsa_exception_int_div_zero 0
	.end_amdhsa_kernel
	.section	.text._ZL37rocblas_syrkx_herkx_restricted_kernelIldLi16ELi32ELi8ELb0ELb0ELc78ELc76EKPKdKPdEviT_T0_PT8_S5_lS8_S5_lS6_PT9_S5_li,"axG",@progbits,_ZL37rocblas_syrkx_herkx_restricted_kernelIldLi16ELi32ELi8ELb0ELb0ELc78ELc76EKPKdKPdEviT_T0_PT8_S5_lS8_S5_lS6_PT9_S5_li,comdat
.Lfunc_end1497:
	.size	_ZL37rocblas_syrkx_herkx_restricted_kernelIldLi16ELi32ELi8ELb0ELb0ELc78ELc76EKPKdKPdEviT_T0_PT8_S5_lS8_S5_lS6_PT9_S5_li, .Lfunc_end1497-_ZL37rocblas_syrkx_herkx_restricted_kernelIldLi16ELi32ELi8ELb0ELb0ELc78ELc76EKPKdKPdEviT_T0_PT8_S5_lS8_S5_lS6_PT9_S5_li
                                        ; -- End function
	.set _ZL37rocblas_syrkx_herkx_restricted_kernelIldLi16ELi32ELi8ELb0ELb0ELc78ELc76EKPKdKPdEviT_T0_PT8_S5_lS8_S5_lS6_PT9_S5_li.num_vgpr, 38
	.set _ZL37rocblas_syrkx_herkx_restricted_kernelIldLi16ELi32ELi8ELb0ELb0ELc78ELc76EKPKdKPdEviT_T0_PT8_S5_lS8_S5_lS6_PT9_S5_li.num_agpr, 0
	.set _ZL37rocblas_syrkx_herkx_restricted_kernelIldLi16ELi32ELi8ELb0ELb0ELc78ELc76EKPKdKPdEviT_T0_PT8_S5_lS8_S5_lS6_PT9_S5_li.numbered_sgpr, 26
	.set _ZL37rocblas_syrkx_herkx_restricted_kernelIldLi16ELi32ELi8ELb0ELb0ELc78ELc76EKPKdKPdEviT_T0_PT8_S5_lS8_S5_lS6_PT9_S5_li.num_named_barrier, 0
	.set _ZL37rocblas_syrkx_herkx_restricted_kernelIldLi16ELi32ELi8ELb0ELb0ELc78ELc76EKPKdKPdEviT_T0_PT8_S5_lS8_S5_lS6_PT9_S5_li.private_seg_size, 0
	.set _ZL37rocblas_syrkx_herkx_restricted_kernelIldLi16ELi32ELi8ELb0ELb0ELc78ELc76EKPKdKPdEviT_T0_PT8_S5_lS8_S5_lS6_PT9_S5_li.uses_vcc, 1
	.set _ZL37rocblas_syrkx_herkx_restricted_kernelIldLi16ELi32ELi8ELb0ELb0ELc78ELc76EKPKdKPdEviT_T0_PT8_S5_lS8_S5_lS6_PT9_S5_li.uses_flat_scratch, 0
	.set _ZL37rocblas_syrkx_herkx_restricted_kernelIldLi16ELi32ELi8ELb0ELb0ELc78ELc76EKPKdKPdEviT_T0_PT8_S5_lS8_S5_lS6_PT9_S5_li.has_dyn_sized_stack, 0
	.set _ZL37rocblas_syrkx_herkx_restricted_kernelIldLi16ELi32ELi8ELb0ELb0ELc78ELc76EKPKdKPdEviT_T0_PT8_S5_lS8_S5_lS6_PT9_S5_li.has_recursion, 0
	.set _ZL37rocblas_syrkx_herkx_restricted_kernelIldLi16ELi32ELi8ELb0ELb0ELc78ELc76EKPKdKPdEviT_T0_PT8_S5_lS8_S5_lS6_PT9_S5_li.has_indirect_call, 0
	.section	.AMDGPU.csdata,"",@progbits
; Kernel info:
; codeLenInByte = 1400
; TotalNumSgprs: 30
; NumVgprs: 38
; ScratchSize: 0
; MemoryBound: 0
; FloatMode: 240
; IeeeMode: 1
; LDSByteSize: 4096 bytes/workgroup (compile time only)
; SGPRBlocks: 3
; VGPRBlocks: 9
; NumSGPRsForWavesPerEU: 30
; NumVGPRsForWavesPerEU: 38
; Occupancy: 6
; WaveLimiterHint : 1
; COMPUTE_PGM_RSRC2:SCRATCH_EN: 0
; COMPUTE_PGM_RSRC2:USER_SGPR: 6
; COMPUTE_PGM_RSRC2:TRAP_HANDLER: 0
; COMPUTE_PGM_RSRC2:TGID_X_EN: 1
; COMPUTE_PGM_RSRC2:TGID_Y_EN: 1
; COMPUTE_PGM_RSRC2:TGID_Z_EN: 1
; COMPUTE_PGM_RSRC2:TIDIG_COMP_CNT: 1
	.section	.text._ZL37rocblas_syrkx_herkx_restricted_kernelIldLi16ELi32ELi8ELb0ELb0ELc84ELc85EKPKdKPdEviT_T0_PT8_S5_lS8_S5_lS6_PT9_S5_li,"axG",@progbits,_ZL37rocblas_syrkx_herkx_restricted_kernelIldLi16ELi32ELi8ELb0ELb0ELc84ELc85EKPKdKPdEviT_T0_PT8_S5_lS8_S5_lS6_PT9_S5_li,comdat
	.globl	_ZL37rocblas_syrkx_herkx_restricted_kernelIldLi16ELi32ELi8ELb0ELb0ELc84ELc85EKPKdKPdEviT_T0_PT8_S5_lS8_S5_lS6_PT9_S5_li ; -- Begin function _ZL37rocblas_syrkx_herkx_restricted_kernelIldLi16ELi32ELi8ELb0ELb0ELc84ELc85EKPKdKPdEviT_T0_PT8_S5_lS8_S5_lS6_PT9_S5_li
	.p2align	8
	.type	_ZL37rocblas_syrkx_herkx_restricted_kernelIldLi16ELi32ELi8ELb0ELb0ELc84ELc85EKPKdKPdEviT_T0_PT8_S5_lS8_S5_lS6_PT9_S5_li,@function
_ZL37rocblas_syrkx_herkx_restricted_kernelIldLi16ELi32ELi8ELb0ELb0ELc84ELc85EKPKdKPdEviT_T0_PT8_S5_lS8_S5_lS6_PT9_S5_li: ; @_ZL37rocblas_syrkx_herkx_restricted_kernelIldLi16ELi32ELi8ELb0ELb0ELc84ELc85EKPKdKPdEviT_T0_PT8_S5_lS8_S5_lS6_PT9_S5_li
; %bb.0:
	s_load_dwordx4 s[20:23], s[4:5], 0x48
	s_load_dwordx2 s[2:3], s[4:5], 0x58
	s_load_dwordx8 s[12:19], s[4:5], 0x8
	s_mov_b32 s9, 0
	s_lshl_b64 s[0:1], s[8:9], 3
	s_waitcnt lgkmcnt(0)
	s_add_u32 s8, s22, s0
	s_addc_u32 s9, s23, s1
	s_load_dwordx2 s[8:9], s[8:9], 0x0
	v_cmp_lt_i64_e64 s[22:23], s[12:13], 1
	s_lshl_b32 s10, s6, 5
	s_lshl_b32 s11, s7, 5
	s_and_b64 vcc, exec, s[22:23]
	s_cbranch_vccnz .LBB1498_3
; %bb.1:
	s_load_dwordx4 s[24:27], s[4:5], 0x30
	v_lshl_add_u32 v3, v1, 4, v0
	v_and_b32_e32 v7, 31, v3
	v_lshrrev_b32_e32 v6, 3, v3
	v_lshrrev_b32_e32 v2, 5, v3
	v_and_b32_e32 v4, 7, v0
	v_lshlrev_b32_e32 v10, 3, v7
	s_add_u32 s6, s16, s0
	v_add_u32_e32 v8, s11, v6
	v_lshl_or_b32 v14, v2, 8, v10
	v_lshlrev_b32_e32 v10, 3, v4
	s_addc_u32 s7, s17, s1
	v_ashrrev_i32_e32 v9, 31, v8
	v_mov_b32_e32 v5, 0
	v_lshl_or_b32 v6, v6, 6, v10
	s_waitcnt lgkmcnt(0)
	s_add_u32 s0, s24, s0
	v_mov_b32_e32 v3, v5
	v_add_u32_e32 v15, 0x800, v6
	v_mul_lo_u32 v6, s26, v9
	v_mul_lo_u32 v9, s27, v8
	v_mad_u64_u32 v[4:5], s[16:17], s26, v8, v[4:5]
	v_mov_b32_e32 v8, 0x800
	v_add_u32_e32 v7, s10, v7
	s_addc_u32 s1, s25, s1
	v_lshl_add_u32 v17, v1, 6, v8
	v_ashrrev_i32_e32 v8, 31, v7
	s_load_dwordx2 s[0:1], s[0:1], 0x0
	v_mul_lo_u32 v8, s18, v8
	v_mad_u64_u32 v[2:3], s[16:17], s18, v7, v[2:3]
	v_mul_lo_u32 v7, s19, v7
	s_load_dwordx2 s[6:7], s[6:7], 0x0
	v_add3_u32 v5, v9, v5, v6
	v_lshlrev_b64 v[4:5], 3, v[4:5]
	v_add3_u32 v3, v7, v3, v8
	s_waitcnt lgkmcnt(0)
	v_mov_b32_e32 v6, s1
	v_add_co_u32_e32 v4, vcc, s0, v4
	v_lshlrev_b64 v[2:3], 3, v[2:3]
	v_addc_co_u32_e32 v5, vcc, v6, v5, vcc
	v_mov_b32_e32 v7, s7
	v_add_co_u32_e32 v6, vcc, s6, v2
	v_addc_co_u32_e32 v7, vcc, v7, v3, vcc
	v_mov_b32_e32 v2, 0
	v_mov_b32_e32 v8, 0
	;; [unrolled: 1-line block ×4, first 2 shown]
	v_lshlrev_b32_e32 v16, 3, v0
	v_mov_b32_e32 v3, 0
	v_mov_b32_e32 v9, 0
	;; [unrolled: 1-line block ×4, first 2 shown]
	s_mov_b64 s[6:7], 0
.LBB1498_2:                             ; =>This Inner Loop Header: Depth=1
	flat_load_dwordx2 v[18:19], v[6:7]
	s_add_u32 s6, s6, 8
	s_addc_u32 s7, s7, 0
	v_add_co_u32_e64 v6, s[0:1], 64, v6
	v_addc_co_u32_e64 v7, s[0:1], 0, v7, s[0:1]
	s_waitcnt vmcnt(0) lgkmcnt(0)
	ds_write_b64 v14, v[18:19]
	flat_load_dwordx2 v[18:19], v[4:5]
	v_add_co_u32_e64 v4, s[0:1], 64, v4
	v_addc_co_u32_e64 v5, s[0:1], 0, v5, s[0:1]
	s_waitcnt vmcnt(0) lgkmcnt(0)
	ds_write_b64 v15, v[18:19]
	s_waitcnt lgkmcnt(0)
	s_barrier
	ds_read2_b64 v[18:21], v16 offset1:16
	ds_read_b128 v[22:25], v17
	ds_read_b128 v[26:29], v17 offset:1024
	ds_read_b128 v[30:33], v17 offset:16
	s_waitcnt lgkmcnt(2)
	v_fma_f64 v[34:35], v[18:19], v[22:23], v[12:13]
	v_fma_f64 v[22:23], v[20:21], v[22:23], v[10:11]
	s_waitcnt lgkmcnt(1)
	v_fma_f64 v[8:9], v[18:19], v[26:27], v[8:9]
	v_fma_f64 v[2:3], v[20:21], v[26:27], v[2:3]
	ds_read2_b64 v[18:21], v16 offset0:32 offset1:48
	ds_read_b128 v[10:13], v17 offset:1040
	s_waitcnt lgkmcnt(1)
	v_fma_f64 v[26:27], v[18:19], v[24:25], v[34:35]
	v_fma_f64 v[34:35], v[20:21], v[24:25], v[22:23]
	;; [unrolled: 1-line block ×4, first 2 shown]
	ds_read2_b64 v[18:21], v16 offset0:64 offset1:80
	ds_read2_b64 v[22:25], v16 offset0:96 offset1:112
	s_waitcnt lgkmcnt(1)
	v_fma_f64 v[26:27], v[18:19], v[30:31], v[26:27]
	v_fma_f64 v[28:29], v[20:21], v[30:31], v[34:35]
	;; [unrolled: 1-line block ×4, first 2 shown]
	ds_read2_b64 v[8:11], v16 offset0:128 offset1:144
	ds_read_b128 v[18:21], v17 offset:32
	s_waitcnt lgkmcnt(2)
	v_fma_f64 v[34:35], v[22:23], v[32:33], v[26:27]
	v_fma_f64 v[32:33], v[24:25], v[32:33], v[28:29]
	v_fma_f64 v[36:37], v[22:23], v[12:13], v[30:31]
	v_fma_f64 v[2:3], v[24:25], v[12:13], v[2:3]
	ds_read_b128 v[22:25], v17 offset:1056
	ds_read_b128 v[26:29], v17 offset:48
	s_waitcnt lgkmcnt(2)
	v_fma_f64 v[12:13], v[8:9], v[18:19], v[34:35]
	v_fma_f64 v[18:19], v[10:11], v[18:19], v[32:33]
	s_waitcnt lgkmcnt(1)
	v_fma_f64 v[34:35], v[8:9], v[22:23], v[36:37]
	v_fma_f64 v[2:3], v[10:11], v[22:23], v[2:3]
	ds_read2_b64 v[8:11], v16 offset0:160 offset1:176
	ds_read_b128 v[30:33], v17 offset:1072
	s_waitcnt lgkmcnt(1)
	v_fma_f64 v[12:13], v[8:9], v[20:21], v[12:13]
	v_fma_f64 v[18:19], v[10:11], v[20:21], v[18:19]
	v_mov_b32_e32 v21, s7
	v_mov_b32_e32 v20, s6
	v_cmp_le_u64_e32 vcc, s[12:13], v[20:21]
	v_fma_f64 v[20:21], v[8:9], v[24:25], v[34:35]
	v_fma_f64 v[2:3], v[10:11], v[24:25], v[2:3]
	ds_read2_b64 v[8:11], v16 offset0:192 offset1:208
	s_and_b64 vcc, exec, vcc
	s_waitcnt lgkmcnt(0)
	v_fma_f64 v[12:13], v[8:9], v[26:27], v[12:13]
	v_fma_f64 v[22:23], v[10:11], v[26:27], v[18:19]
	;; [unrolled: 1-line block ×4, first 2 shown]
	ds_read2_b64 v[18:21], v16 offset0:224 offset1:240
	s_waitcnt lgkmcnt(0)
	s_barrier
	v_fma_f64 v[12:13], v[18:19], v[28:29], v[12:13]
	v_fma_f64 v[10:11], v[20:21], v[28:29], v[22:23]
	;; [unrolled: 1-line block ×4, first 2 shown]
	s_cbranch_vccz .LBB1498_2
	s_branch .LBB1498_4
.LBB1498_3:
	v_mov_b32_e32 v12, 0
	v_mov_b32_e32 v10, 0
	v_mov_b32_e32 v8, 0
	v_mov_b32_e32 v2, 0
	v_mov_b32_e32 v13, 0
	v_mov_b32_e32 v11, 0
	v_mov_b32_e32 v9, 0
	v_mov_b32_e32 v3, 0
.LBB1498_4:
	v_add_u32_e32 v6, s11, v1
	v_ashrrev_i32_e32 v1, 31, v6
	v_mul_lo_u32 v1, s2, v1
	v_mul_lo_u32 v7, s3, v6
	v_mad_u64_u32 v[4:5], s[0:1], s2, v6, 0
	s_load_dword s6, s[4:5], 0x0
	v_add_u32_e32 v0, s10, v0
	v_add3_u32 v5, v5, v1, v7
	v_lshlrev_b64 v[4:5], 3, v[4:5]
	s_waitcnt lgkmcnt(0)
	v_mov_b32_e32 v1, s9
	v_add_co_u32_e64 v7, s[0:1], s8, v4
	v_addc_co_u32_e64 v14, s[0:1], v1, v5, s[0:1]
	v_cmp_gt_i32_e32 vcc, s6, v6
	v_cmp_le_i32_e64 s[0:1], v0, v6
	s_and_b64 s[0:1], vcc, s[0:1]
	s_and_saveexec_b64 s[4:5], s[0:1]
	s_cbranch_execz .LBB1498_6
; %bb.5:
	v_ashrrev_i32_e32 v1, 31, v0
	v_lshlrev_b64 v[4:5], 3, v[0:1]
	v_add_co_u32_e64 v4, s[0:1], v7, v4
	v_addc_co_u32_e64 v5, s[0:1], v14, v5, s[0:1]
	flat_load_dwordx2 v[15:16], v[4:5]
	s_waitcnt vmcnt(0) lgkmcnt(0)
	v_mul_f64 v[15:16], s[20:21], v[15:16]
	v_fma_f64 v[12:13], s[14:15], v[12:13], v[15:16]
	flat_store_dwordx2 v[4:5], v[12:13]
.LBB1498_6:
	s_or_b64 exec, exec, s[4:5]
	v_add_u32_e32 v4, 16, v0
	v_cmp_le_i32_e64 s[0:1], v4, v6
	s_and_b64 s[4:5], vcc, s[0:1]
	s_and_saveexec_b64 s[0:1], s[4:5]
	s_cbranch_execz .LBB1498_8
; %bb.7:
	v_ashrrev_i32_e32 v5, 31, v4
	v_lshlrev_b64 v[12:13], 3, v[4:5]
	v_add_co_u32_e32 v12, vcc, v7, v12
	v_addc_co_u32_e32 v13, vcc, v14, v13, vcc
	flat_load_dwordx2 v[14:15], v[12:13]
	s_waitcnt vmcnt(0) lgkmcnt(0)
	v_mul_f64 v[14:15], s[20:21], v[14:15]
	v_fma_f64 v[10:11], s[14:15], v[10:11], v[14:15]
	flat_store_dwordx2 v[12:13], v[10:11]
.LBB1498_8:
	s_or_b64 exec, exec, s[0:1]
	v_add_u32_e32 v5, 16, v6
	v_ashrrev_i32_e32 v1, 31, v5
	v_mul_lo_u32 v1, s2, v1
	v_mul_lo_u32 v10, s3, v5
	v_mad_u64_u32 v[6:7], s[0:1], s2, v5, 0
	v_cmp_gt_i32_e32 vcc, s6, v5
	v_add3_u32 v7, v7, v1, v10
	v_lshlrev_b64 v[6:7], 3, v[6:7]
	v_mov_b32_e32 v1, s9
	v_add_co_u32_e64 v6, s[0:1], s8, v6
	v_addc_co_u32_e64 v7, s[0:1], v1, v7, s[0:1]
	v_cmp_le_i32_e64 s[0:1], v0, v5
	s_and_b64 s[0:1], vcc, s[0:1]
	s_and_saveexec_b64 s[2:3], s[0:1]
	s_cbranch_execz .LBB1498_10
; %bb.9:
	v_ashrrev_i32_e32 v1, 31, v0
	v_lshlrev_b64 v[0:1], 3, v[0:1]
	v_add_co_u32_e64 v0, s[0:1], v6, v0
	v_addc_co_u32_e64 v1, s[0:1], v7, v1, s[0:1]
	flat_load_dwordx2 v[10:11], v[0:1]
	s_waitcnt vmcnt(0) lgkmcnt(0)
	v_mul_f64 v[10:11], s[20:21], v[10:11]
	v_fma_f64 v[8:9], s[14:15], v[8:9], v[10:11]
	flat_store_dwordx2 v[0:1], v[8:9]
.LBB1498_10:
	s_or_b64 exec, exec, s[2:3]
	v_cmp_le_i32_e64 s[0:1], v4, v5
	s_and_b64 s[0:1], vcc, s[0:1]
	s_and_saveexec_b64 s[2:3], s[0:1]
	s_cbranch_execz .LBB1498_12
; %bb.11:
	v_ashrrev_i32_e32 v5, 31, v4
	v_lshlrev_b64 v[0:1], 3, v[4:5]
	v_add_co_u32_e32 v0, vcc, v6, v0
	v_addc_co_u32_e32 v1, vcc, v7, v1, vcc
	flat_load_dwordx2 v[4:5], v[0:1]
	s_waitcnt vmcnt(0) lgkmcnt(0)
	v_mul_f64 v[4:5], s[20:21], v[4:5]
	v_fma_f64 v[2:3], s[14:15], v[2:3], v[4:5]
	flat_store_dwordx2 v[0:1], v[2:3]
.LBB1498_12:
	s_endpgm
	.section	.rodata,"a",@progbits
	.p2align	6, 0x0
	.amdhsa_kernel _ZL37rocblas_syrkx_herkx_restricted_kernelIldLi16ELi32ELi8ELb0ELb0ELc84ELc85EKPKdKPdEviT_T0_PT8_S5_lS8_S5_lS6_PT9_S5_li
		.amdhsa_group_segment_fixed_size 4096
		.amdhsa_private_segment_fixed_size 0
		.amdhsa_kernarg_size 108
		.amdhsa_user_sgpr_count 6
		.amdhsa_user_sgpr_private_segment_buffer 1
		.amdhsa_user_sgpr_dispatch_ptr 0
		.amdhsa_user_sgpr_queue_ptr 0
		.amdhsa_user_sgpr_kernarg_segment_ptr 1
		.amdhsa_user_sgpr_dispatch_id 0
		.amdhsa_user_sgpr_flat_scratch_init 0
		.amdhsa_user_sgpr_private_segment_size 0
		.amdhsa_uses_dynamic_stack 0
		.amdhsa_system_sgpr_private_segment_wavefront_offset 0
		.amdhsa_system_sgpr_workgroup_id_x 1
		.amdhsa_system_sgpr_workgroup_id_y 1
		.amdhsa_system_sgpr_workgroup_id_z 1
		.amdhsa_system_sgpr_workgroup_info 0
		.amdhsa_system_vgpr_workitem_id 1
		.amdhsa_next_free_vgpr 38
		.amdhsa_next_free_sgpr 28
		.amdhsa_reserve_vcc 1
		.amdhsa_reserve_flat_scratch 0
		.amdhsa_float_round_mode_32 0
		.amdhsa_float_round_mode_16_64 0
		.amdhsa_float_denorm_mode_32 3
		.amdhsa_float_denorm_mode_16_64 3
		.amdhsa_dx10_clamp 1
		.amdhsa_ieee_mode 1
		.amdhsa_fp16_overflow 0
		.amdhsa_exception_fp_ieee_invalid_op 0
		.amdhsa_exception_fp_denorm_src 0
		.amdhsa_exception_fp_ieee_div_zero 0
		.amdhsa_exception_fp_ieee_overflow 0
		.amdhsa_exception_fp_ieee_underflow 0
		.amdhsa_exception_fp_ieee_inexact 0
		.amdhsa_exception_int_div_zero 0
	.end_amdhsa_kernel
	.section	.text._ZL37rocblas_syrkx_herkx_restricted_kernelIldLi16ELi32ELi8ELb0ELb0ELc84ELc85EKPKdKPdEviT_T0_PT8_S5_lS8_S5_lS6_PT9_S5_li,"axG",@progbits,_ZL37rocblas_syrkx_herkx_restricted_kernelIldLi16ELi32ELi8ELb0ELb0ELc84ELc85EKPKdKPdEviT_T0_PT8_S5_lS8_S5_lS6_PT9_S5_li,comdat
.Lfunc_end1498:
	.size	_ZL37rocblas_syrkx_herkx_restricted_kernelIldLi16ELi32ELi8ELb0ELb0ELc84ELc85EKPKdKPdEviT_T0_PT8_S5_lS8_S5_lS6_PT9_S5_li, .Lfunc_end1498-_ZL37rocblas_syrkx_herkx_restricted_kernelIldLi16ELi32ELi8ELb0ELb0ELc84ELc85EKPKdKPdEviT_T0_PT8_S5_lS8_S5_lS6_PT9_S5_li
                                        ; -- End function
	.set _ZL37rocblas_syrkx_herkx_restricted_kernelIldLi16ELi32ELi8ELb0ELb0ELc84ELc85EKPKdKPdEviT_T0_PT8_S5_lS8_S5_lS6_PT9_S5_li.num_vgpr, 38
	.set _ZL37rocblas_syrkx_herkx_restricted_kernelIldLi16ELi32ELi8ELb0ELb0ELc84ELc85EKPKdKPdEviT_T0_PT8_S5_lS8_S5_lS6_PT9_S5_li.num_agpr, 0
	.set _ZL37rocblas_syrkx_herkx_restricted_kernelIldLi16ELi32ELi8ELb0ELb0ELc84ELc85EKPKdKPdEviT_T0_PT8_S5_lS8_S5_lS6_PT9_S5_li.numbered_sgpr, 28
	.set _ZL37rocblas_syrkx_herkx_restricted_kernelIldLi16ELi32ELi8ELb0ELb0ELc84ELc85EKPKdKPdEviT_T0_PT8_S5_lS8_S5_lS6_PT9_S5_li.num_named_barrier, 0
	.set _ZL37rocblas_syrkx_herkx_restricted_kernelIldLi16ELi32ELi8ELb0ELb0ELc84ELc85EKPKdKPdEviT_T0_PT8_S5_lS8_S5_lS6_PT9_S5_li.private_seg_size, 0
	.set _ZL37rocblas_syrkx_herkx_restricted_kernelIldLi16ELi32ELi8ELb0ELb0ELc84ELc85EKPKdKPdEviT_T0_PT8_S5_lS8_S5_lS6_PT9_S5_li.uses_vcc, 1
	.set _ZL37rocblas_syrkx_herkx_restricted_kernelIldLi16ELi32ELi8ELb0ELb0ELc84ELc85EKPKdKPdEviT_T0_PT8_S5_lS8_S5_lS6_PT9_S5_li.uses_flat_scratch, 0
	.set _ZL37rocblas_syrkx_herkx_restricted_kernelIldLi16ELi32ELi8ELb0ELb0ELc84ELc85EKPKdKPdEviT_T0_PT8_S5_lS8_S5_lS6_PT9_S5_li.has_dyn_sized_stack, 0
	.set _ZL37rocblas_syrkx_herkx_restricted_kernelIldLi16ELi32ELi8ELb0ELb0ELc84ELc85EKPKdKPdEviT_T0_PT8_S5_lS8_S5_lS6_PT9_S5_li.has_recursion, 0
	.set _ZL37rocblas_syrkx_herkx_restricted_kernelIldLi16ELi32ELi8ELb0ELb0ELc84ELc85EKPKdKPdEviT_T0_PT8_S5_lS8_S5_lS6_PT9_S5_li.has_indirect_call, 0
	.section	.AMDGPU.csdata,"",@progbits
; Kernel info:
; codeLenInByte = 1436
; TotalNumSgprs: 32
; NumVgprs: 38
; ScratchSize: 0
; MemoryBound: 0
; FloatMode: 240
; IeeeMode: 1
; LDSByteSize: 4096 bytes/workgroup (compile time only)
; SGPRBlocks: 3
; VGPRBlocks: 9
; NumSGPRsForWavesPerEU: 32
; NumVGPRsForWavesPerEU: 38
; Occupancy: 6
; WaveLimiterHint : 1
; COMPUTE_PGM_RSRC2:SCRATCH_EN: 0
; COMPUTE_PGM_RSRC2:USER_SGPR: 6
; COMPUTE_PGM_RSRC2:TRAP_HANDLER: 0
; COMPUTE_PGM_RSRC2:TGID_X_EN: 1
; COMPUTE_PGM_RSRC2:TGID_Y_EN: 1
; COMPUTE_PGM_RSRC2:TGID_Z_EN: 1
; COMPUTE_PGM_RSRC2:TIDIG_COMP_CNT: 1
	.section	.text._ZL37rocblas_syrkx_herkx_restricted_kernelIldLi16ELi32ELi8ELb0ELb0ELc67ELc85EKPKdKPdEviT_T0_PT8_S5_lS8_S5_lS6_PT9_S5_li,"axG",@progbits,_ZL37rocblas_syrkx_herkx_restricted_kernelIldLi16ELi32ELi8ELb0ELb0ELc67ELc85EKPKdKPdEviT_T0_PT8_S5_lS8_S5_lS6_PT9_S5_li,comdat
	.globl	_ZL37rocblas_syrkx_herkx_restricted_kernelIldLi16ELi32ELi8ELb0ELb0ELc67ELc85EKPKdKPdEviT_T0_PT8_S5_lS8_S5_lS6_PT9_S5_li ; -- Begin function _ZL37rocblas_syrkx_herkx_restricted_kernelIldLi16ELi32ELi8ELb0ELb0ELc67ELc85EKPKdKPdEviT_T0_PT8_S5_lS8_S5_lS6_PT9_S5_li
	.p2align	8
	.type	_ZL37rocblas_syrkx_herkx_restricted_kernelIldLi16ELi32ELi8ELb0ELb0ELc67ELc85EKPKdKPdEviT_T0_PT8_S5_lS8_S5_lS6_PT9_S5_li,@function
_ZL37rocblas_syrkx_herkx_restricted_kernelIldLi16ELi32ELi8ELb0ELb0ELc67ELc85EKPKdKPdEviT_T0_PT8_S5_lS8_S5_lS6_PT9_S5_li: ; @_ZL37rocblas_syrkx_herkx_restricted_kernelIldLi16ELi32ELi8ELb0ELb0ELc67ELc85EKPKdKPdEviT_T0_PT8_S5_lS8_S5_lS6_PT9_S5_li
; %bb.0:
	s_load_dwordx4 s[20:23], s[4:5], 0x48
	s_load_dwordx2 s[2:3], s[4:5], 0x58
	s_load_dwordx8 s[12:19], s[4:5], 0x8
	s_mov_b32 s9, 0
	s_lshl_b64 s[0:1], s[8:9], 3
	s_waitcnt lgkmcnt(0)
	s_add_u32 s8, s22, s0
	s_addc_u32 s9, s23, s1
	s_load_dwordx2 s[8:9], s[8:9], 0x0
	v_cmp_lt_i64_e64 s[22:23], s[12:13], 1
	s_lshl_b32 s10, s6, 5
	s_lshl_b32 s11, s7, 5
	s_and_b64 vcc, exec, s[22:23]
	s_cbranch_vccnz .LBB1499_3
; %bb.1:
	s_load_dwordx4 s[24:27], s[4:5], 0x30
	v_lshl_add_u32 v3, v1, 4, v0
	v_and_b32_e32 v7, 31, v3
	v_lshrrev_b32_e32 v6, 3, v3
	v_lshrrev_b32_e32 v2, 5, v3
	v_and_b32_e32 v4, 7, v0
	v_lshlrev_b32_e32 v10, 3, v7
	s_add_u32 s6, s16, s0
	v_add_u32_e32 v8, s11, v6
	v_lshl_or_b32 v14, v2, 8, v10
	v_lshlrev_b32_e32 v10, 3, v4
	s_addc_u32 s7, s17, s1
	v_ashrrev_i32_e32 v9, 31, v8
	v_mov_b32_e32 v5, 0
	v_lshl_or_b32 v6, v6, 6, v10
	s_waitcnt lgkmcnt(0)
	s_add_u32 s0, s24, s0
	v_mov_b32_e32 v3, v5
	v_add_u32_e32 v15, 0x800, v6
	v_mul_lo_u32 v6, s26, v9
	v_mul_lo_u32 v9, s27, v8
	v_mad_u64_u32 v[4:5], s[16:17], s26, v8, v[4:5]
	v_mov_b32_e32 v8, 0x800
	v_add_u32_e32 v7, s10, v7
	s_addc_u32 s1, s25, s1
	v_lshl_add_u32 v17, v1, 6, v8
	v_ashrrev_i32_e32 v8, 31, v7
	s_load_dwordx2 s[0:1], s[0:1], 0x0
	v_mul_lo_u32 v8, s18, v8
	v_mad_u64_u32 v[2:3], s[16:17], s18, v7, v[2:3]
	v_mul_lo_u32 v7, s19, v7
	s_load_dwordx2 s[6:7], s[6:7], 0x0
	v_add3_u32 v5, v9, v5, v6
	v_lshlrev_b64 v[4:5], 3, v[4:5]
	v_add3_u32 v3, v7, v3, v8
	s_waitcnt lgkmcnt(0)
	v_mov_b32_e32 v6, s1
	v_add_co_u32_e32 v4, vcc, s0, v4
	v_lshlrev_b64 v[2:3], 3, v[2:3]
	v_addc_co_u32_e32 v5, vcc, v6, v5, vcc
	v_mov_b32_e32 v7, s7
	v_add_co_u32_e32 v6, vcc, s6, v2
	v_addc_co_u32_e32 v7, vcc, v7, v3, vcc
	v_mov_b32_e32 v2, 0
	v_mov_b32_e32 v8, 0
	;; [unrolled: 1-line block ×4, first 2 shown]
	v_lshlrev_b32_e32 v16, 3, v0
	v_mov_b32_e32 v3, 0
	v_mov_b32_e32 v9, 0
	;; [unrolled: 1-line block ×4, first 2 shown]
	s_mov_b64 s[6:7], 0
.LBB1499_2:                             ; =>This Inner Loop Header: Depth=1
	flat_load_dwordx2 v[18:19], v[6:7]
	s_add_u32 s6, s6, 8
	s_addc_u32 s7, s7, 0
	v_add_co_u32_e64 v6, s[0:1], 64, v6
	v_addc_co_u32_e64 v7, s[0:1], 0, v7, s[0:1]
	s_waitcnt vmcnt(0) lgkmcnt(0)
	ds_write_b64 v14, v[18:19]
	flat_load_dwordx2 v[18:19], v[4:5]
	v_add_co_u32_e64 v4, s[0:1], 64, v4
	v_addc_co_u32_e64 v5, s[0:1], 0, v5, s[0:1]
	s_waitcnt vmcnt(0) lgkmcnt(0)
	ds_write_b64 v15, v[18:19]
	s_waitcnt lgkmcnt(0)
	s_barrier
	ds_read2_b64 v[18:21], v16 offset1:16
	ds_read_b128 v[22:25], v17
	ds_read_b128 v[26:29], v17 offset:1024
	ds_read_b128 v[30:33], v17 offset:16
	s_waitcnt lgkmcnt(2)
	v_fma_f64 v[34:35], v[18:19], v[22:23], v[12:13]
	v_fma_f64 v[22:23], v[20:21], v[22:23], v[10:11]
	s_waitcnt lgkmcnt(1)
	v_fma_f64 v[8:9], v[18:19], v[26:27], v[8:9]
	v_fma_f64 v[2:3], v[20:21], v[26:27], v[2:3]
	ds_read2_b64 v[18:21], v16 offset0:32 offset1:48
	ds_read_b128 v[10:13], v17 offset:1040
	s_waitcnt lgkmcnt(1)
	v_fma_f64 v[26:27], v[18:19], v[24:25], v[34:35]
	v_fma_f64 v[34:35], v[20:21], v[24:25], v[22:23]
	;; [unrolled: 1-line block ×4, first 2 shown]
	ds_read2_b64 v[18:21], v16 offset0:64 offset1:80
	ds_read2_b64 v[22:25], v16 offset0:96 offset1:112
	s_waitcnt lgkmcnt(1)
	v_fma_f64 v[26:27], v[18:19], v[30:31], v[26:27]
	v_fma_f64 v[28:29], v[20:21], v[30:31], v[34:35]
	;; [unrolled: 1-line block ×4, first 2 shown]
	ds_read2_b64 v[8:11], v16 offset0:128 offset1:144
	ds_read_b128 v[18:21], v17 offset:32
	s_waitcnt lgkmcnt(2)
	v_fma_f64 v[34:35], v[22:23], v[32:33], v[26:27]
	v_fma_f64 v[32:33], v[24:25], v[32:33], v[28:29]
	;; [unrolled: 1-line block ×4, first 2 shown]
	ds_read_b128 v[22:25], v17 offset:1056
	ds_read_b128 v[26:29], v17 offset:48
	s_waitcnt lgkmcnt(2)
	v_fma_f64 v[12:13], v[8:9], v[18:19], v[34:35]
	v_fma_f64 v[18:19], v[10:11], v[18:19], v[32:33]
	s_waitcnt lgkmcnt(1)
	v_fma_f64 v[34:35], v[8:9], v[22:23], v[36:37]
	v_fma_f64 v[2:3], v[10:11], v[22:23], v[2:3]
	ds_read2_b64 v[8:11], v16 offset0:160 offset1:176
	ds_read_b128 v[30:33], v17 offset:1072
	s_waitcnt lgkmcnt(1)
	v_fma_f64 v[12:13], v[8:9], v[20:21], v[12:13]
	v_fma_f64 v[18:19], v[10:11], v[20:21], v[18:19]
	v_mov_b32_e32 v21, s7
	v_mov_b32_e32 v20, s6
	v_cmp_le_u64_e32 vcc, s[12:13], v[20:21]
	v_fma_f64 v[20:21], v[8:9], v[24:25], v[34:35]
	v_fma_f64 v[2:3], v[10:11], v[24:25], v[2:3]
	ds_read2_b64 v[8:11], v16 offset0:192 offset1:208
	s_and_b64 vcc, exec, vcc
	s_waitcnt lgkmcnt(0)
	v_fma_f64 v[12:13], v[8:9], v[26:27], v[12:13]
	v_fma_f64 v[22:23], v[10:11], v[26:27], v[18:19]
	;; [unrolled: 1-line block ×4, first 2 shown]
	ds_read2_b64 v[18:21], v16 offset0:224 offset1:240
	s_waitcnt lgkmcnt(0)
	s_barrier
	v_fma_f64 v[12:13], v[18:19], v[28:29], v[12:13]
	v_fma_f64 v[10:11], v[20:21], v[28:29], v[22:23]
	;; [unrolled: 1-line block ×4, first 2 shown]
	s_cbranch_vccz .LBB1499_2
	s_branch .LBB1499_4
.LBB1499_3:
	v_mov_b32_e32 v12, 0
	v_mov_b32_e32 v10, 0
	;; [unrolled: 1-line block ×8, first 2 shown]
.LBB1499_4:
	v_add_u32_e32 v6, s11, v1
	v_ashrrev_i32_e32 v1, 31, v6
	v_mul_lo_u32 v1, s2, v1
	v_mul_lo_u32 v7, s3, v6
	v_mad_u64_u32 v[4:5], s[0:1], s2, v6, 0
	s_load_dword s6, s[4:5], 0x0
	v_add_u32_e32 v0, s10, v0
	v_add3_u32 v5, v5, v1, v7
	v_lshlrev_b64 v[4:5], 3, v[4:5]
	s_waitcnt lgkmcnt(0)
	v_mov_b32_e32 v1, s9
	v_add_co_u32_e64 v7, s[0:1], s8, v4
	v_addc_co_u32_e64 v14, s[0:1], v1, v5, s[0:1]
	v_cmp_gt_i32_e32 vcc, s6, v6
	v_cmp_le_i32_e64 s[0:1], v0, v6
	s_and_b64 s[0:1], vcc, s[0:1]
	s_and_saveexec_b64 s[4:5], s[0:1]
	s_cbranch_execz .LBB1499_6
; %bb.5:
	v_ashrrev_i32_e32 v1, 31, v0
	v_lshlrev_b64 v[4:5], 3, v[0:1]
	v_add_co_u32_e64 v4, s[0:1], v7, v4
	v_addc_co_u32_e64 v5, s[0:1], v14, v5, s[0:1]
	flat_load_dwordx2 v[15:16], v[4:5]
	s_waitcnt vmcnt(0) lgkmcnt(0)
	v_mul_f64 v[15:16], s[20:21], v[15:16]
	v_fma_f64 v[12:13], s[14:15], v[12:13], v[15:16]
	flat_store_dwordx2 v[4:5], v[12:13]
.LBB1499_6:
	s_or_b64 exec, exec, s[4:5]
	v_add_u32_e32 v4, 16, v0
	v_cmp_le_i32_e64 s[0:1], v4, v6
	s_and_b64 s[4:5], vcc, s[0:1]
	s_and_saveexec_b64 s[0:1], s[4:5]
	s_cbranch_execz .LBB1499_8
; %bb.7:
	v_ashrrev_i32_e32 v5, 31, v4
	v_lshlrev_b64 v[12:13], 3, v[4:5]
	v_add_co_u32_e32 v12, vcc, v7, v12
	v_addc_co_u32_e32 v13, vcc, v14, v13, vcc
	flat_load_dwordx2 v[14:15], v[12:13]
	s_waitcnt vmcnt(0) lgkmcnt(0)
	v_mul_f64 v[14:15], s[20:21], v[14:15]
	v_fma_f64 v[10:11], s[14:15], v[10:11], v[14:15]
	flat_store_dwordx2 v[12:13], v[10:11]
.LBB1499_8:
	s_or_b64 exec, exec, s[0:1]
	v_add_u32_e32 v5, 16, v6
	v_ashrrev_i32_e32 v1, 31, v5
	v_mul_lo_u32 v1, s2, v1
	v_mul_lo_u32 v10, s3, v5
	v_mad_u64_u32 v[6:7], s[0:1], s2, v5, 0
	v_cmp_gt_i32_e32 vcc, s6, v5
	v_add3_u32 v7, v7, v1, v10
	v_lshlrev_b64 v[6:7], 3, v[6:7]
	v_mov_b32_e32 v1, s9
	v_add_co_u32_e64 v6, s[0:1], s8, v6
	v_addc_co_u32_e64 v7, s[0:1], v1, v7, s[0:1]
	v_cmp_le_i32_e64 s[0:1], v0, v5
	s_and_b64 s[0:1], vcc, s[0:1]
	s_and_saveexec_b64 s[2:3], s[0:1]
	s_cbranch_execz .LBB1499_10
; %bb.9:
	v_ashrrev_i32_e32 v1, 31, v0
	v_lshlrev_b64 v[0:1], 3, v[0:1]
	v_add_co_u32_e64 v0, s[0:1], v6, v0
	v_addc_co_u32_e64 v1, s[0:1], v7, v1, s[0:1]
	flat_load_dwordx2 v[10:11], v[0:1]
	s_waitcnt vmcnt(0) lgkmcnt(0)
	v_mul_f64 v[10:11], s[20:21], v[10:11]
	v_fma_f64 v[8:9], s[14:15], v[8:9], v[10:11]
	flat_store_dwordx2 v[0:1], v[8:9]
.LBB1499_10:
	s_or_b64 exec, exec, s[2:3]
	v_cmp_le_i32_e64 s[0:1], v4, v5
	s_and_b64 s[0:1], vcc, s[0:1]
	s_and_saveexec_b64 s[2:3], s[0:1]
	s_cbranch_execz .LBB1499_12
; %bb.11:
	v_ashrrev_i32_e32 v5, 31, v4
	v_lshlrev_b64 v[0:1], 3, v[4:5]
	v_add_co_u32_e32 v0, vcc, v6, v0
	v_addc_co_u32_e32 v1, vcc, v7, v1, vcc
	flat_load_dwordx2 v[4:5], v[0:1]
	s_waitcnt vmcnt(0) lgkmcnt(0)
	v_mul_f64 v[4:5], s[20:21], v[4:5]
	v_fma_f64 v[2:3], s[14:15], v[2:3], v[4:5]
	flat_store_dwordx2 v[0:1], v[2:3]
.LBB1499_12:
	s_endpgm
	.section	.rodata,"a",@progbits
	.p2align	6, 0x0
	.amdhsa_kernel _ZL37rocblas_syrkx_herkx_restricted_kernelIldLi16ELi32ELi8ELb0ELb0ELc67ELc85EKPKdKPdEviT_T0_PT8_S5_lS8_S5_lS6_PT9_S5_li
		.amdhsa_group_segment_fixed_size 4096
		.amdhsa_private_segment_fixed_size 0
		.amdhsa_kernarg_size 108
		.amdhsa_user_sgpr_count 6
		.amdhsa_user_sgpr_private_segment_buffer 1
		.amdhsa_user_sgpr_dispatch_ptr 0
		.amdhsa_user_sgpr_queue_ptr 0
		.amdhsa_user_sgpr_kernarg_segment_ptr 1
		.amdhsa_user_sgpr_dispatch_id 0
		.amdhsa_user_sgpr_flat_scratch_init 0
		.amdhsa_user_sgpr_private_segment_size 0
		.amdhsa_uses_dynamic_stack 0
		.amdhsa_system_sgpr_private_segment_wavefront_offset 0
		.amdhsa_system_sgpr_workgroup_id_x 1
		.amdhsa_system_sgpr_workgroup_id_y 1
		.amdhsa_system_sgpr_workgroup_id_z 1
		.amdhsa_system_sgpr_workgroup_info 0
		.amdhsa_system_vgpr_workitem_id 1
		.amdhsa_next_free_vgpr 38
		.amdhsa_next_free_sgpr 28
		.amdhsa_reserve_vcc 1
		.amdhsa_reserve_flat_scratch 0
		.amdhsa_float_round_mode_32 0
		.amdhsa_float_round_mode_16_64 0
		.amdhsa_float_denorm_mode_32 3
		.amdhsa_float_denorm_mode_16_64 3
		.amdhsa_dx10_clamp 1
		.amdhsa_ieee_mode 1
		.amdhsa_fp16_overflow 0
		.amdhsa_exception_fp_ieee_invalid_op 0
		.amdhsa_exception_fp_denorm_src 0
		.amdhsa_exception_fp_ieee_div_zero 0
		.amdhsa_exception_fp_ieee_overflow 0
		.amdhsa_exception_fp_ieee_underflow 0
		.amdhsa_exception_fp_ieee_inexact 0
		.amdhsa_exception_int_div_zero 0
	.end_amdhsa_kernel
	.section	.text._ZL37rocblas_syrkx_herkx_restricted_kernelIldLi16ELi32ELi8ELb0ELb0ELc67ELc85EKPKdKPdEviT_T0_PT8_S5_lS8_S5_lS6_PT9_S5_li,"axG",@progbits,_ZL37rocblas_syrkx_herkx_restricted_kernelIldLi16ELi32ELi8ELb0ELb0ELc67ELc85EKPKdKPdEviT_T0_PT8_S5_lS8_S5_lS6_PT9_S5_li,comdat
.Lfunc_end1499:
	.size	_ZL37rocblas_syrkx_herkx_restricted_kernelIldLi16ELi32ELi8ELb0ELb0ELc67ELc85EKPKdKPdEviT_T0_PT8_S5_lS8_S5_lS6_PT9_S5_li, .Lfunc_end1499-_ZL37rocblas_syrkx_herkx_restricted_kernelIldLi16ELi32ELi8ELb0ELb0ELc67ELc85EKPKdKPdEviT_T0_PT8_S5_lS8_S5_lS6_PT9_S5_li
                                        ; -- End function
	.set _ZL37rocblas_syrkx_herkx_restricted_kernelIldLi16ELi32ELi8ELb0ELb0ELc67ELc85EKPKdKPdEviT_T0_PT8_S5_lS8_S5_lS6_PT9_S5_li.num_vgpr, 38
	.set _ZL37rocblas_syrkx_herkx_restricted_kernelIldLi16ELi32ELi8ELb0ELb0ELc67ELc85EKPKdKPdEviT_T0_PT8_S5_lS8_S5_lS6_PT9_S5_li.num_agpr, 0
	.set _ZL37rocblas_syrkx_herkx_restricted_kernelIldLi16ELi32ELi8ELb0ELb0ELc67ELc85EKPKdKPdEviT_T0_PT8_S5_lS8_S5_lS6_PT9_S5_li.numbered_sgpr, 28
	.set _ZL37rocblas_syrkx_herkx_restricted_kernelIldLi16ELi32ELi8ELb0ELb0ELc67ELc85EKPKdKPdEviT_T0_PT8_S5_lS8_S5_lS6_PT9_S5_li.num_named_barrier, 0
	.set _ZL37rocblas_syrkx_herkx_restricted_kernelIldLi16ELi32ELi8ELb0ELb0ELc67ELc85EKPKdKPdEviT_T0_PT8_S5_lS8_S5_lS6_PT9_S5_li.private_seg_size, 0
	.set _ZL37rocblas_syrkx_herkx_restricted_kernelIldLi16ELi32ELi8ELb0ELb0ELc67ELc85EKPKdKPdEviT_T0_PT8_S5_lS8_S5_lS6_PT9_S5_li.uses_vcc, 1
	.set _ZL37rocblas_syrkx_herkx_restricted_kernelIldLi16ELi32ELi8ELb0ELb0ELc67ELc85EKPKdKPdEviT_T0_PT8_S5_lS8_S5_lS6_PT9_S5_li.uses_flat_scratch, 0
	.set _ZL37rocblas_syrkx_herkx_restricted_kernelIldLi16ELi32ELi8ELb0ELb0ELc67ELc85EKPKdKPdEviT_T0_PT8_S5_lS8_S5_lS6_PT9_S5_li.has_dyn_sized_stack, 0
	.set _ZL37rocblas_syrkx_herkx_restricted_kernelIldLi16ELi32ELi8ELb0ELb0ELc67ELc85EKPKdKPdEviT_T0_PT8_S5_lS8_S5_lS6_PT9_S5_li.has_recursion, 0
	.set _ZL37rocblas_syrkx_herkx_restricted_kernelIldLi16ELi32ELi8ELb0ELb0ELc67ELc85EKPKdKPdEviT_T0_PT8_S5_lS8_S5_lS6_PT9_S5_li.has_indirect_call, 0
	.section	.AMDGPU.csdata,"",@progbits
; Kernel info:
; codeLenInByte = 1436
; TotalNumSgprs: 32
; NumVgprs: 38
; ScratchSize: 0
; MemoryBound: 0
; FloatMode: 240
; IeeeMode: 1
; LDSByteSize: 4096 bytes/workgroup (compile time only)
; SGPRBlocks: 3
; VGPRBlocks: 9
; NumSGPRsForWavesPerEU: 32
; NumVGPRsForWavesPerEU: 38
; Occupancy: 6
; WaveLimiterHint : 1
; COMPUTE_PGM_RSRC2:SCRATCH_EN: 0
; COMPUTE_PGM_RSRC2:USER_SGPR: 6
; COMPUTE_PGM_RSRC2:TRAP_HANDLER: 0
; COMPUTE_PGM_RSRC2:TGID_X_EN: 1
; COMPUTE_PGM_RSRC2:TGID_Y_EN: 1
; COMPUTE_PGM_RSRC2:TGID_Z_EN: 1
; COMPUTE_PGM_RSRC2:TIDIG_COMP_CNT: 1
	.section	.text._ZL37rocblas_syrkx_herkx_restricted_kernelIldLi16ELi32ELi8ELb0ELb0ELc78ELc85EKPKdKPdEviT_T0_PT8_S5_lS8_S5_lS6_PT9_S5_li,"axG",@progbits,_ZL37rocblas_syrkx_herkx_restricted_kernelIldLi16ELi32ELi8ELb0ELb0ELc78ELc85EKPKdKPdEviT_T0_PT8_S5_lS8_S5_lS6_PT9_S5_li,comdat
	.globl	_ZL37rocblas_syrkx_herkx_restricted_kernelIldLi16ELi32ELi8ELb0ELb0ELc78ELc85EKPKdKPdEviT_T0_PT8_S5_lS8_S5_lS6_PT9_S5_li ; -- Begin function _ZL37rocblas_syrkx_herkx_restricted_kernelIldLi16ELi32ELi8ELb0ELb0ELc78ELc85EKPKdKPdEviT_T0_PT8_S5_lS8_S5_lS6_PT9_S5_li
	.p2align	8
	.type	_ZL37rocblas_syrkx_herkx_restricted_kernelIldLi16ELi32ELi8ELb0ELb0ELc78ELc85EKPKdKPdEviT_T0_PT8_S5_lS8_S5_lS6_PT9_S5_li,@function
_ZL37rocblas_syrkx_herkx_restricted_kernelIldLi16ELi32ELi8ELb0ELb0ELc78ELc85EKPKdKPdEviT_T0_PT8_S5_lS8_S5_lS6_PT9_S5_li: ; @_ZL37rocblas_syrkx_herkx_restricted_kernelIldLi16ELi32ELi8ELb0ELb0ELc78ELc85EKPKdKPdEviT_T0_PT8_S5_lS8_S5_lS6_PT9_S5_li
; %bb.0:
	s_load_dwordx4 s[20:23], s[4:5], 0x48
	s_load_dwordx2 s[10:11], s[4:5], 0x58
	s_load_dwordx8 s[12:19], s[4:5], 0x8
	s_mov_b32 s9, 0
	s_lshl_b64 s[24:25], s[8:9], 3
	s_waitcnt lgkmcnt(0)
	s_add_u32 s0, s22, s24
	s_addc_u32 s1, s23, s25
	s_load_dwordx2 s[8:9], s[0:1], 0x0
	v_cmp_lt_i64_e64 s[0:1], s[12:13], 1
	s_lshl_b32 s22, s6, 5
	s_lshl_b32 s23, s7, 5
	s_and_b64 vcc, exec, s[0:1]
	s_cbranch_vccnz .LBB1500_3
; %bb.1:
	s_load_dwordx4 s[0:3], s[4:5], 0x30
	v_lshl_add_u32 v2, v1, 4, v0
	v_lshrrev_b32_e32 v4, 3, v2
	v_lshrrev_b32_e32 v8, 5, v2
	v_and_b32_e32 v6, 31, v2
	v_add_u32_e32 v2, s23, v4
	s_add_u32 s6, s16, s24
	v_and_b32_e32 v5, 7, v0
	v_ashrrev_i32_e32 v3, 31, v2
	s_addc_u32 s7, s17, s25
	v_lshlrev_b32_e32 v7, 3, v6
	s_waitcnt lgkmcnt(0)
	v_mad_u64_u32 v[2:3], s[16:17], s2, v5, v[2:3]
	v_lshl_or_b32 v14, v8, 8, v7
	v_lshlrev_b32_e32 v7, 3, v5
	v_lshl_or_b32 v4, v4, 6, v7
	v_add_u32_e32 v15, 0x800, v4
	v_mov_b32_e32 v4, 0x800
	s_add_u32 s0, s0, s24
	v_lshl_add_u32 v17, v1, 6, v4
	v_mad_u64_u32 v[3:4], s[16:17], s3, v5, v[3:4]
	s_addc_u32 s1, s1, s25
	v_add_u32_e32 v4, s22, v6
	s_load_dwordx2 s[0:1], s[0:1], 0x0
	v_ashrrev_i32_e32 v5, 31, v4
	v_mad_u64_u32 v[6:7], s[16:17], s18, v8, v[4:5]
	s_load_dwordx2 s[6:7], s[6:7], 0x0
	s_waitcnt lgkmcnt(0)
	v_mov_b32_e32 v5, s1
	v_mov_b32_e32 v4, v7
	v_mad_u64_u32 v[7:8], s[16:17], s19, v8, v[4:5]
	v_lshlrev_b64 v[2:3], 3, v[2:3]
	s_lshl_b64 s[2:3], s[2:3], 6
	v_add_co_u32_e32 v4, vcc, s0, v2
	v_addc_co_u32_e32 v5, vcc, v5, v3, vcc
	v_lshlrev_b64 v[2:3], 3, v[6:7]
	v_mov_b32_e32 v7, s7
	v_add_co_u32_e32 v6, vcc, s6, v2
	v_addc_co_u32_e32 v7, vcc, v7, v3, vcc
	s_lshl_b64 s[6:7], s[18:19], 6
	v_mov_b32_e32 v2, 0
	v_mov_b32_e32 v8, 0
	;; [unrolled: 1-line block ×4, first 2 shown]
	v_lshlrev_b32_e32 v16, 3, v0
	v_mov_b32_e32 v3, 0
	s_mov_b64 s[16:17], 0
	v_mov_b32_e32 v18, s3
	v_mov_b32_e32 v9, 0
	;; [unrolled: 1-line block ×5, first 2 shown]
.LBB1500_2:                             ; =>This Inner Loop Header: Depth=1
	flat_load_dwordx2 v[20:21], v[6:7]
	s_add_u32 s16, s16, 8
	v_add_co_u32_e32 v6, vcc, s6, v6
	s_addc_u32 s17, s17, 0
	v_addc_co_u32_e32 v7, vcc, v7, v19, vcc
	s_waitcnt vmcnt(0) lgkmcnt(0)
	ds_write_b64 v14, v[20:21]
	flat_load_dwordx2 v[20:21], v[4:5]
	v_add_co_u32_e64 v4, s[0:1], s2, v4
	v_addc_co_u32_e64 v5, s[0:1], v5, v18, s[0:1]
	s_waitcnt vmcnt(0) lgkmcnt(0)
	ds_write_b64 v15, v[20:21]
	s_waitcnt lgkmcnt(0)
	s_barrier
	ds_read2_b64 v[20:23], v16 offset1:16
	ds_read_b128 v[24:27], v17
	ds_read_b128 v[28:31], v17 offset:16
	s_waitcnt lgkmcnt(1)
	v_fma_f64 v[36:37], v[20:21], v[24:25], v[12:13]
	v_fma_f64 v[24:25], v[22:23], v[24:25], v[10:11]
	ds_read_b128 v[10:13], v17 offset:1024
	ds_read_b128 v[32:35], v17 offset:1040
	s_waitcnt lgkmcnt(1)
	v_fma_f64 v[20:21], v[20:21], v[10:11], v[8:9]
	v_fma_f64 v[2:3], v[22:23], v[10:11], v[2:3]
	ds_read2_b64 v[8:11], v16 offset0:32 offset1:48
	s_waitcnt lgkmcnt(0)
	v_fma_f64 v[22:23], v[8:9], v[26:27], v[36:37]
	v_fma_f64 v[24:25], v[10:11], v[26:27], v[24:25]
	v_fma_f64 v[20:21], v[8:9], v[12:13], v[20:21]
	v_fma_f64 v[2:3], v[10:11], v[12:13], v[2:3]
	ds_read2_b64 v[8:11], v16 offset0:64 offset1:80
	s_waitcnt lgkmcnt(0)
	v_fma_f64 v[12:13], v[8:9], v[28:29], v[22:23]
	v_fma_f64 v[22:23], v[10:11], v[28:29], v[24:25]
	v_fma_f64 v[24:25], v[8:9], v[32:33], v[20:21]
	v_fma_f64 v[2:3], v[10:11], v[32:33], v[2:3]
	ds_read2_b64 v[8:11], v16 offset0:96 offset1:112
	s_waitcnt lgkmcnt(0)
	v_fma_f64 v[12:13], v[8:9], v[30:31], v[12:13]
	v_fma_f64 v[28:29], v[10:11], v[30:31], v[22:23]
	ds_read2_b64 v[20:23], v16 offset0:128 offset1:144
	v_fma_f64 v[36:37], v[8:9], v[34:35], v[24:25]
	v_fma_f64 v[2:3], v[10:11], v[34:35], v[2:3]
	ds_read_b128 v[8:11], v17 offset:32
	ds_read_b128 v[24:27], v17 offset:48
	s_waitcnt lgkmcnt(1)
	v_fma_f64 v[12:13], v[20:21], v[8:9], v[12:13]
	v_fma_f64 v[8:9], v[22:23], v[8:9], v[28:29]
	ds_read_b128 v[28:31], v17 offset:1056
	ds_read_b128 v[32:35], v17 offset:1072
	s_waitcnt lgkmcnt(1)
	v_fma_f64 v[36:37], v[20:21], v[28:29], v[36:37]
	v_fma_f64 v[2:3], v[22:23], v[28:29], v[2:3]
	ds_read2_b64 v[20:23], v16 offset0:160 offset1:176
	s_waitcnt lgkmcnt(0)
	v_fma_f64 v[12:13], v[20:21], v[10:11], v[12:13]
	v_fma_f64 v[28:29], v[22:23], v[10:11], v[8:9]
	;; [unrolled: 1-line block ×4, first 2 shown]
	v_mov_b32_e32 v8, s16
	v_mov_b32_e32 v9, s17
	v_cmp_le_u64_e32 vcc, s[12:13], v[8:9]
	ds_read2_b64 v[8:11], v16 offset0:192 offset1:208
	s_and_b64 vcc, exec, vcc
	s_waitcnt lgkmcnt(0)
	v_fma_f64 v[12:13], v[8:9], v[24:25], v[12:13]
	v_fma_f64 v[24:25], v[10:11], v[24:25], v[28:29]
	;; [unrolled: 1-line block ×4, first 2 shown]
	ds_read2_b64 v[20:23], v16 offset0:224 offset1:240
	s_waitcnt lgkmcnt(0)
	s_barrier
	v_fma_f64 v[12:13], v[20:21], v[26:27], v[12:13]
	v_fma_f64 v[10:11], v[22:23], v[26:27], v[24:25]
	;; [unrolled: 1-line block ×4, first 2 shown]
	s_cbranch_vccz .LBB1500_2
	s_branch .LBB1500_4
.LBB1500_3:
	v_mov_b32_e32 v12, 0
	v_mov_b32_e32 v10, 0
	;; [unrolled: 1-line block ×8, first 2 shown]
.LBB1500_4:
	v_add_u32_e32 v6, s23, v1
	v_ashrrev_i32_e32 v1, 31, v6
	v_mul_lo_u32 v1, s10, v1
	v_mul_lo_u32 v7, s11, v6
	v_mad_u64_u32 v[4:5], s[0:1], s10, v6, 0
	s_load_dword s4, s[4:5], 0x0
	v_add_u32_e32 v0, s22, v0
	v_add3_u32 v5, v5, v1, v7
	v_lshlrev_b64 v[4:5], 3, v[4:5]
	s_waitcnt lgkmcnt(0)
	v_mov_b32_e32 v1, s9
	v_add_co_u32_e64 v7, s[0:1], s8, v4
	v_addc_co_u32_e64 v14, s[0:1], v1, v5, s[0:1]
	v_cmp_gt_i32_e32 vcc, s4, v6
	v_cmp_le_i32_e64 s[0:1], v0, v6
	s_and_b64 s[0:1], vcc, s[0:1]
	s_and_saveexec_b64 s[2:3], s[0:1]
	s_cbranch_execz .LBB1500_6
; %bb.5:
	v_ashrrev_i32_e32 v1, 31, v0
	v_lshlrev_b64 v[4:5], 3, v[0:1]
	v_add_co_u32_e64 v4, s[0:1], v7, v4
	v_addc_co_u32_e64 v5, s[0:1], v14, v5, s[0:1]
	flat_load_dwordx2 v[15:16], v[4:5]
	s_waitcnt vmcnt(0) lgkmcnt(0)
	v_mul_f64 v[15:16], s[20:21], v[15:16]
	v_fma_f64 v[12:13], s[14:15], v[12:13], v[15:16]
	flat_store_dwordx2 v[4:5], v[12:13]
.LBB1500_6:
	s_or_b64 exec, exec, s[2:3]
	v_add_u32_e32 v4, 16, v0
	v_cmp_le_i32_e64 s[0:1], v4, v6
	s_and_b64 s[2:3], vcc, s[0:1]
	s_and_saveexec_b64 s[0:1], s[2:3]
	s_cbranch_execz .LBB1500_8
; %bb.7:
	v_ashrrev_i32_e32 v5, 31, v4
	v_lshlrev_b64 v[12:13], 3, v[4:5]
	v_add_co_u32_e32 v12, vcc, v7, v12
	v_addc_co_u32_e32 v13, vcc, v14, v13, vcc
	flat_load_dwordx2 v[14:15], v[12:13]
	s_waitcnt vmcnt(0) lgkmcnt(0)
	v_mul_f64 v[14:15], s[20:21], v[14:15]
	v_fma_f64 v[10:11], s[14:15], v[10:11], v[14:15]
	flat_store_dwordx2 v[12:13], v[10:11]
.LBB1500_8:
	s_or_b64 exec, exec, s[0:1]
	v_add_u32_e32 v5, 16, v6
	v_ashrrev_i32_e32 v1, 31, v5
	v_mul_lo_u32 v1, s10, v1
	v_mul_lo_u32 v10, s11, v5
	v_mad_u64_u32 v[6:7], s[0:1], s10, v5, 0
	v_cmp_gt_i32_e32 vcc, s4, v5
	v_add3_u32 v7, v7, v1, v10
	v_lshlrev_b64 v[6:7], 3, v[6:7]
	v_mov_b32_e32 v1, s9
	v_add_co_u32_e64 v6, s[0:1], s8, v6
	v_addc_co_u32_e64 v7, s[0:1], v1, v7, s[0:1]
	v_cmp_le_i32_e64 s[0:1], v0, v5
	s_and_b64 s[0:1], vcc, s[0:1]
	s_and_saveexec_b64 s[2:3], s[0:1]
	s_cbranch_execz .LBB1500_10
; %bb.9:
	v_ashrrev_i32_e32 v1, 31, v0
	v_lshlrev_b64 v[0:1], 3, v[0:1]
	v_add_co_u32_e64 v0, s[0:1], v6, v0
	v_addc_co_u32_e64 v1, s[0:1], v7, v1, s[0:1]
	flat_load_dwordx2 v[10:11], v[0:1]
	s_waitcnt vmcnt(0) lgkmcnt(0)
	v_mul_f64 v[10:11], s[20:21], v[10:11]
	v_fma_f64 v[8:9], s[14:15], v[8:9], v[10:11]
	flat_store_dwordx2 v[0:1], v[8:9]
.LBB1500_10:
	s_or_b64 exec, exec, s[2:3]
	v_cmp_le_i32_e64 s[0:1], v4, v5
	s_and_b64 s[0:1], vcc, s[0:1]
	s_and_saveexec_b64 s[2:3], s[0:1]
	s_cbranch_execz .LBB1500_12
; %bb.11:
	v_ashrrev_i32_e32 v5, 31, v4
	v_lshlrev_b64 v[0:1], 3, v[4:5]
	v_add_co_u32_e32 v0, vcc, v6, v0
	v_addc_co_u32_e32 v1, vcc, v7, v1, vcc
	flat_load_dwordx2 v[4:5], v[0:1]
	s_waitcnt vmcnt(0) lgkmcnt(0)
	v_mul_f64 v[4:5], s[20:21], v[4:5]
	v_fma_f64 v[2:3], s[14:15], v[2:3], v[4:5]
	flat_store_dwordx2 v[0:1], v[2:3]
.LBB1500_12:
	s_endpgm
	.section	.rodata,"a",@progbits
	.p2align	6, 0x0
	.amdhsa_kernel _ZL37rocblas_syrkx_herkx_restricted_kernelIldLi16ELi32ELi8ELb0ELb0ELc78ELc85EKPKdKPdEviT_T0_PT8_S5_lS8_S5_lS6_PT9_S5_li
		.amdhsa_group_segment_fixed_size 4096
		.amdhsa_private_segment_fixed_size 0
		.amdhsa_kernarg_size 108
		.amdhsa_user_sgpr_count 6
		.amdhsa_user_sgpr_private_segment_buffer 1
		.amdhsa_user_sgpr_dispatch_ptr 0
		.amdhsa_user_sgpr_queue_ptr 0
		.amdhsa_user_sgpr_kernarg_segment_ptr 1
		.amdhsa_user_sgpr_dispatch_id 0
		.amdhsa_user_sgpr_flat_scratch_init 0
		.amdhsa_user_sgpr_private_segment_size 0
		.amdhsa_uses_dynamic_stack 0
		.amdhsa_system_sgpr_private_segment_wavefront_offset 0
		.amdhsa_system_sgpr_workgroup_id_x 1
		.amdhsa_system_sgpr_workgroup_id_y 1
		.amdhsa_system_sgpr_workgroup_id_z 1
		.amdhsa_system_sgpr_workgroup_info 0
		.amdhsa_system_vgpr_workitem_id 1
		.amdhsa_next_free_vgpr 38
		.amdhsa_next_free_sgpr 26
		.amdhsa_reserve_vcc 1
		.amdhsa_reserve_flat_scratch 0
		.amdhsa_float_round_mode_32 0
		.amdhsa_float_round_mode_16_64 0
		.amdhsa_float_denorm_mode_32 3
		.amdhsa_float_denorm_mode_16_64 3
		.amdhsa_dx10_clamp 1
		.amdhsa_ieee_mode 1
		.amdhsa_fp16_overflow 0
		.amdhsa_exception_fp_ieee_invalid_op 0
		.amdhsa_exception_fp_denorm_src 0
		.amdhsa_exception_fp_ieee_div_zero 0
		.amdhsa_exception_fp_ieee_overflow 0
		.amdhsa_exception_fp_ieee_underflow 0
		.amdhsa_exception_fp_ieee_inexact 0
		.amdhsa_exception_int_div_zero 0
	.end_amdhsa_kernel
	.section	.text._ZL37rocblas_syrkx_herkx_restricted_kernelIldLi16ELi32ELi8ELb0ELb0ELc78ELc85EKPKdKPdEviT_T0_PT8_S5_lS8_S5_lS6_PT9_S5_li,"axG",@progbits,_ZL37rocblas_syrkx_herkx_restricted_kernelIldLi16ELi32ELi8ELb0ELb0ELc78ELc85EKPKdKPdEviT_T0_PT8_S5_lS8_S5_lS6_PT9_S5_li,comdat
.Lfunc_end1500:
	.size	_ZL37rocblas_syrkx_herkx_restricted_kernelIldLi16ELi32ELi8ELb0ELb0ELc78ELc85EKPKdKPdEviT_T0_PT8_S5_lS8_S5_lS6_PT9_S5_li, .Lfunc_end1500-_ZL37rocblas_syrkx_herkx_restricted_kernelIldLi16ELi32ELi8ELb0ELb0ELc78ELc85EKPKdKPdEviT_T0_PT8_S5_lS8_S5_lS6_PT9_S5_li
                                        ; -- End function
	.set _ZL37rocblas_syrkx_herkx_restricted_kernelIldLi16ELi32ELi8ELb0ELb0ELc78ELc85EKPKdKPdEviT_T0_PT8_S5_lS8_S5_lS6_PT9_S5_li.num_vgpr, 38
	.set _ZL37rocblas_syrkx_herkx_restricted_kernelIldLi16ELi32ELi8ELb0ELb0ELc78ELc85EKPKdKPdEviT_T0_PT8_S5_lS8_S5_lS6_PT9_S5_li.num_agpr, 0
	.set _ZL37rocblas_syrkx_herkx_restricted_kernelIldLi16ELi32ELi8ELb0ELb0ELc78ELc85EKPKdKPdEviT_T0_PT8_S5_lS8_S5_lS6_PT9_S5_li.numbered_sgpr, 26
	.set _ZL37rocblas_syrkx_herkx_restricted_kernelIldLi16ELi32ELi8ELb0ELb0ELc78ELc85EKPKdKPdEviT_T0_PT8_S5_lS8_S5_lS6_PT9_S5_li.num_named_barrier, 0
	.set _ZL37rocblas_syrkx_herkx_restricted_kernelIldLi16ELi32ELi8ELb0ELb0ELc78ELc85EKPKdKPdEviT_T0_PT8_S5_lS8_S5_lS6_PT9_S5_li.private_seg_size, 0
	.set _ZL37rocblas_syrkx_herkx_restricted_kernelIldLi16ELi32ELi8ELb0ELb0ELc78ELc85EKPKdKPdEviT_T0_PT8_S5_lS8_S5_lS6_PT9_S5_li.uses_vcc, 1
	.set _ZL37rocblas_syrkx_herkx_restricted_kernelIldLi16ELi32ELi8ELb0ELb0ELc78ELc85EKPKdKPdEviT_T0_PT8_S5_lS8_S5_lS6_PT9_S5_li.uses_flat_scratch, 0
	.set _ZL37rocblas_syrkx_herkx_restricted_kernelIldLi16ELi32ELi8ELb0ELb0ELc78ELc85EKPKdKPdEviT_T0_PT8_S5_lS8_S5_lS6_PT9_S5_li.has_dyn_sized_stack, 0
	.set _ZL37rocblas_syrkx_herkx_restricted_kernelIldLi16ELi32ELi8ELb0ELb0ELc78ELc85EKPKdKPdEviT_T0_PT8_S5_lS8_S5_lS6_PT9_S5_li.has_recursion, 0
	.set _ZL37rocblas_syrkx_herkx_restricted_kernelIldLi16ELi32ELi8ELb0ELb0ELc78ELc85EKPKdKPdEviT_T0_PT8_S5_lS8_S5_lS6_PT9_S5_li.has_indirect_call, 0
	.section	.AMDGPU.csdata,"",@progbits
; Kernel info:
; codeLenInByte = 1408
; TotalNumSgprs: 30
; NumVgprs: 38
; ScratchSize: 0
; MemoryBound: 0
; FloatMode: 240
; IeeeMode: 1
; LDSByteSize: 4096 bytes/workgroup (compile time only)
; SGPRBlocks: 3
; VGPRBlocks: 9
; NumSGPRsForWavesPerEU: 30
; NumVGPRsForWavesPerEU: 38
; Occupancy: 6
; WaveLimiterHint : 1
; COMPUTE_PGM_RSRC2:SCRATCH_EN: 0
; COMPUTE_PGM_RSRC2:USER_SGPR: 6
; COMPUTE_PGM_RSRC2:TRAP_HANDLER: 0
; COMPUTE_PGM_RSRC2:TGID_X_EN: 1
; COMPUTE_PGM_RSRC2:TGID_Y_EN: 1
; COMPUTE_PGM_RSRC2:TGID_Z_EN: 1
; COMPUTE_PGM_RSRC2:TIDIG_COMP_CNT: 1
	.section	.text._ZL41rocblas_syrkx_herkx_small_restrict_kernelIldLi16ELb1ELb0ELc84ELc76EKPKdKPdEviT_T0_PT6_S5_lS8_S5_lS6_PT7_S5_li,"axG",@progbits,_ZL41rocblas_syrkx_herkx_small_restrict_kernelIldLi16ELb1ELb0ELc84ELc76EKPKdKPdEviT_T0_PT6_S5_lS8_S5_lS6_PT7_S5_li,comdat
	.globl	_ZL41rocblas_syrkx_herkx_small_restrict_kernelIldLi16ELb1ELb0ELc84ELc76EKPKdKPdEviT_T0_PT6_S5_lS8_S5_lS6_PT7_S5_li ; -- Begin function _ZL41rocblas_syrkx_herkx_small_restrict_kernelIldLi16ELb1ELb0ELc84ELc76EKPKdKPdEviT_T0_PT6_S5_lS8_S5_lS6_PT7_S5_li
	.p2align	8
	.type	_ZL41rocblas_syrkx_herkx_small_restrict_kernelIldLi16ELb1ELb0ELc84ELc76EKPKdKPdEviT_T0_PT6_S5_lS8_S5_lS6_PT7_S5_li,@function
_ZL41rocblas_syrkx_herkx_small_restrict_kernelIldLi16ELb1ELb0ELc84ELc76EKPKdKPdEviT_T0_PT6_S5_lS8_S5_lS6_PT7_S5_li: ; @_ZL41rocblas_syrkx_herkx_small_restrict_kernelIldLi16ELb1ELb0ELc84ELc76EKPKdKPdEviT_T0_PT6_S5_lS8_S5_lS6_PT7_S5_li
; %bb.0:
	s_load_dwordx4 s[20:23], s[4:5], 0x50
	s_load_dwordx8 s[12:19], s[4:5], 0x8
	s_mov_b32 s9, 0
	s_lshl_b64 s[0:1], s[8:9], 3
	v_lshl_add_u32 v2, s6, 4, v0
	s_waitcnt lgkmcnt(0)
	s_add_u32 s2, s20, s0
	s_addc_u32 s3, s21, s1
	s_load_dwordx2 s[8:9], s[2:3], 0x0
	v_cmp_lt_i64_e64 s[2:3], s[12:13], 1
	v_lshl_add_u32 v10, s7, 4, v1
	s_and_b64 vcc, exec, s[2:3]
	v_ashrrev_i32_e32 v3, 31, v2
	v_ashrrev_i32_e32 v11, 31, v10
	s_cbranch_vccnz .LBB1501_6
; %bb.1:
	s_load_dwordx4 s[4:7], s[4:5], 0x30
	v_mad_u64_u32 v[4:5], s[2:3], s18, v2, 0
	v_mul_lo_u32 v6, s19, v2
	v_mul_lo_u32 v7, s18, v3
	s_waitcnt lgkmcnt(0)
	s_add_u32 s2, s4, s0
	s_addc_u32 s3, s5, s1
	s_add_u32 s0, s16, s0
	s_addc_u32 s1, s17, s1
	s_load_dwordx2 s[0:1], s[0:1], 0x0
	v_lshlrev_b32_e32 v8, 3, v1
	v_add3_u32 v5, v5, v7, v6
	v_lshlrev_b64 v[4:5], 3, v[4:5]
	s_load_dwordx2 s[2:3], s[2:3], 0x0
	s_waitcnt lgkmcnt(0)
	v_mov_b32_e32 v6, s1
	v_add_co_u32_e32 v7, vcc, s0, v8
	v_addc_co_u32_e32 v6, vcc, 0, v6, vcc
	v_add_co_u32_e32 v4, vcc, v7, v4
	v_addc_co_u32_e32 v5, vcc, v6, v5, vcc
	v_mul_lo_u32 v8, s7, v10
	v_mul_lo_u32 v9, s6, v11
	v_mad_u64_u32 v[6:7], s[0:1], s6, v10, 0
	v_lshlrev_b32_e32 v12, 3, v0
	v_mov_b32_e32 v0, s3
	v_add3_u32 v7, v7, v9, v8
	v_add_co_u32_e32 v8, vcc, s2, v12
	v_lshlrev_b32_e32 v14, 7, v1
	v_addc_co_u32_e32 v9, vcc, 0, v0, vcc
	v_lshlrev_b64 v[0:1], 3, v[6:7]
	v_add_u32_e32 v13, v12, v14
	v_add_co_u32_e32 v0, vcc, v8, v0
	v_addc_co_u32_e32 v1, vcc, v9, v1, vcc
	v_add_u32_e32 v14, 0x800, v14
	v_mov_b32_e32 v8, 0
	v_mov_b32_e32 v6, s12
	v_add_u32_e32 v15, v14, v12
	v_mov_b32_e32 v9, 0
	s_mov_b64 s[4:5], 0
	v_mov_b32_e32 v7, s13
.LBB1501_2:                             ; =>This Inner Loop Header: Depth=1
	flat_load_dwordx2 v[16:17], v[4:5]
	s_add_u32 s4, s4, 16
	s_addc_u32 s5, s5, 0
	v_cmp_lt_i64_e32 vcc, s[4:5], v[6:7]
	s_and_b64 s[0:1], exec, vcc
	s_waitcnt vmcnt(0) lgkmcnt(0)
	ds_write_b64 v13, v[16:17]
	flat_load_dwordx2 v[16:17], v[0:1]
	v_add_co_u32_e32 v0, vcc, 0x80, v0
	s_mov_b64 s[2:3], vcc
	v_add_co_u32_e32 v4, vcc, 0x80, v4
	v_addc_co_u32_e32 v5, vcc, 0, v5, vcc
	v_addc_co_u32_e64 v1, s[2:3], 0, v1, s[2:3]
	s_mov_b64 vcc, s[0:1]
	s_waitcnt vmcnt(0) lgkmcnt(0)
	ds_write_b64 v15, v[16:17]
	s_waitcnt lgkmcnt(0)
	s_barrier
	ds_read2_b64 v[16:19], v12 offset1:16
	ds_read_b128 v[20:23], v14
	ds_read_b128 v[24:27], v14 offset:16
	s_waitcnt lgkmcnt(1)
	v_fma_f64 v[8:9], v[16:17], v[20:21], v[8:9]
	v_fma_f64 v[8:9], v[18:19], v[22:23], v[8:9]
	ds_read2_b64 v[16:19], v12 offset0:32 offset1:48
	s_waitcnt lgkmcnt(0)
	v_fma_f64 v[8:9], v[16:17], v[24:25], v[8:9]
	v_fma_f64 v[8:9], v[18:19], v[26:27], v[8:9]
	ds_read2_b64 v[16:19], v12 offset0:64 offset1:80
	ds_read_b128 v[20:23], v14 offset:32
	ds_read_b128 v[24:27], v14 offset:48
	s_waitcnt lgkmcnt(1)
	v_fma_f64 v[8:9], v[16:17], v[20:21], v[8:9]
	v_fma_f64 v[8:9], v[18:19], v[22:23], v[8:9]
	ds_read2_b64 v[16:19], v12 offset0:96 offset1:112
	s_waitcnt lgkmcnt(0)
	v_fma_f64 v[8:9], v[16:17], v[24:25], v[8:9]
	v_fma_f64 v[8:9], v[18:19], v[26:27], v[8:9]
	ds_read2_b64 v[16:19], v12 offset0:128 offset1:144
	ds_read_b128 v[20:23], v14 offset:64
	;; [unrolled: 10-line block ×3, first 2 shown]
	ds_read_b128 v[24:27], v14 offset:112
	s_waitcnt lgkmcnt(1)
	v_fma_f64 v[8:9], v[16:17], v[20:21], v[8:9]
	v_fma_f64 v[8:9], v[18:19], v[22:23], v[8:9]
	ds_read2_b64 v[16:19], v12 offset0:224 offset1:240
	s_waitcnt lgkmcnt(0)
	s_barrier
	v_fma_f64 v[8:9], v[16:17], v[24:25], v[8:9]
	v_fma_f64 v[8:9], v[18:19], v[26:27], v[8:9]
	s_cbranch_vccnz .LBB1501_2
; %bb.3:
	v_cmp_le_i32_e32 vcc, v10, v2
	s_and_saveexec_b64 s[0:1], vcc
	s_cbranch_execz .LBB1501_5
.LBB1501_4:
	v_mul_lo_u32 v6, s23, v10
	v_mul_lo_u32 v7, s22, v11
	v_mad_u64_u32 v[0:1], s[0:1], s22, v10, 0
	v_mul_f64 v[4:5], s[14:15], v[8:9]
	v_add3_u32 v1, v1, v7, v6
	v_lshlrev_b64 v[0:1], 3, v[0:1]
	s_waitcnt lgkmcnt(0)
	v_mov_b32_e32 v6, s9
	v_add_co_u32_e32 v7, vcc, s8, v0
	v_addc_co_u32_e32 v6, vcc, v6, v1, vcc
	v_lshlrev_b64 v[0:1], 3, v[2:3]
	v_add_co_u32_e32 v0, vcc, v7, v0
	v_addc_co_u32_e32 v1, vcc, v6, v1, vcc
	flat_store_dwordx2 v[0:1], v[4:5]
.LBB1501_5:
	s_endpgm
.LBB1501_6:
	v_mov_b32_e32 v8, 0
	v_mov_b32_e32 v9, 0
	v_cmp_le_i32_e32 vcc, v10, v2
	s_and_saveexec_b64 s[0:1], vcc
	s_cbranch_execnz .LBB1501_4
	s_branch .LBB1501_5
	.section	.rodata,"a",@progbits
	.p2align	6, 0x0
	.amdhsa_kernel _ZL41rocblas_syrkx_herkx_small_restrict_kernelIldLi16ELb1ELb0ELc84ELc76EKPKdKPdEviT_T0_PT6_S5_lS8_S5_lS6_PT7_S5_li
		.amdhsa_group_segment_fixed_size 4096
		.amdhsa_private_segment_fixed_size 0
		.amdhsa_kernarg_size 108
		.amdhsa_user_sgpr_count 6
		.amdhsa_user_sgpr_private_segment_buffer 1
		.amdhsa_user_sgpr_dispatch_ptr 0
		.amdhsa_user_sgpr_queue_ptr 0
		.amdhsa_user_sgpr_kernarg_segment_ptr 1
		.amdhsa_user_sgpr_dispatch_id 0
		.amdhsa_user_sgpr_flat_scratch_init 0
		.amdhsa_user_sgpr_private_segment_size 0
		.amdhsa_uses_dynamic_stack 0
		.amdhsa_system_sgpr_private_segment_wavefront_offset 0
		.amdhsa_system_sgpr_workgroup_id_x 1
		.amdhsa_system_sgpr_workgroup_id_y 1
		.amdhsa_system_sgpr_workgroup_id_z 1
		.amdhsa_system_sgpr_workgroup_info 0
		.amdhsa_system_vgpr_workitem_id 1
		.amdhsa_next_free_vgpr 28
		.amdhsa_next_free_sgpr 24
		.amdhsa_reserve_vcc 1
		.amdhsa_reserve_flat_scratch 0
		.amdhsa_float_round_mode_32 0
		.amdhsa_float_round_mode_16_64 0
		.amdhsa_float_denorm_mode_32 3
		.amdhsa_float_denorm_mode_16_64 3
		.amdhsa_dx10_clamp 1
		.amdhsa_ieee_mode 1
		.amdhsa_fp16_overflow 0
		.amdhsa_exception_fp_ieee_invalid_op 0
		.amdhsa_exception_fp_denorm_src 0
		.amdhsa_exception_fp_ieee_div_zero 0
		.amdhsa_exception_fp_ieee_overflow 0
		.amdhsa_exception_fp_ieee_underflow 0
		.amdhsa_exception_fp_ieee_inexact 0
		.amdhsa_exception_int_div_zero 0
	.end_amdhsa_kernel
	.section	.text._ZL41rocblas_syrkx_herkx_small_restrict_kernelIldLi16ELb1ELb0ELc84ELc76EKPKdKPdEviT_T0_PT6_S5_lS8_S5_lS6_PT7_S5_li,"axG",@progbits,_ZL41rocblas_syrkx_herkx_small_restrict_kernelIldLi16ELb1ELb0ELc84ELc76EKPKdKPdEviT_T0_PT6_S5_lS8_S5_lS6_PT7_S5_li,comdat
.Lfunc_end1501:
	.size	_ZL41rocblas_syrkx_herkx_small_restrict_kernelIldLi16ELb1ELb0ELc84ELc76EKPKdKPdEviT_T0_PT6_S5_lS8_S5_lS6_PT7_S5_li, .Lfunc_end1501-_ZL41rocblas_syrkx_herkx_small_restrict_kernelIldLi16ELb1ELb0ELc84ELc76EKPKdKPdEviT_T0_PT6_S5_lS8_S5_lS6_PT7_S5_li
                                        ; -- End function
	.set _ZL41rocblas_syrkx_herkx_small_restrict_kernelIldLi16ELb1ELb0ELc84ELc76EKPKdKPdEviT_T0_PT6_S5_lS8_S5_lS6_PT7_S5_li.num_vgpr, 28
	.set _ZL41rocblas_syrkx_herkx_small_restrict_kernelIldLi16ELb1ELb0ELc84ELc76EKPKdKPdEviT_T0_PT6_S5_lS8_S5_lS6_PT7_S5_li.num_agpr, 0
	.set _ZL41rocblas_syrkx_herkx_small_restrict_kernelIldLi16ELb1ELb0ELc84ELc76EKPKdKPdEviT_T0_PT6_S5_lS8_S5_lS6_PT7_S5_li.numbered_sgpr, 24
	.set _ZL41rocblas_syrkx_herkx_small_restrict_kernelIldLi16ELb1ELb0ELc84ELc76EKPKdKPdEviT_T0_PT6_S5_lS8_S5_lS6_PT7_S5_li.num_named_barrier, 0
	.set _ZL41rocblas_syrkx_herkx_small_restrict_kernelIldLi16ELb1ELb0ELc84ELc76EKPKdKPdEviT_T0_PT6_S5_lS8_S5_lS6_PT7_S5_li.private_seg_size, 0
	.set _ZL41rocblas_syrkx_herkx_small_restrict_kernelIldLi16ELb1ELb0ELc84ELc76EKPKdKPdEviT_T0_PT6_S5_lS8_S5_lS6_PT7_S5_li.uses_vcc, 1
	.set _ZL41rocblas_syrkx_herkx_small_restrict_kernelIldLi16ELb1ELb0ELc84ELc76EKPKdKPdEviT_T0_PT6_S5_lS8_S5_lS6_PT7_S5_li.uses_flat_scratch, 0
	.set _ZL41rocblas_syrkx_herkx_small_restrict_kernelIldLi16ELb1ELb0ELc84ELc76EKPKdKPdEviT_T0_PT6_S5_lS8_S5_lS6_PT7_S5_li.has_dyn_sized_stack, 0
	.set _ZL41rocblas_syrkx_herkx_small_restrict_kernelIldLi16ELb1ELb0ELc84ELc76EKPKdKPdEviT_T0_PT6_S5_lS8_S5_lS6_PT7_S5_li.has_recursion, 0
	.set _ZL41rocblas_syrkx_herkx_small_restrict_kernelIldLi16ELb1ELb0ELc84ELc76EKPKdKPdEviT_T0_PT6_S5_lS8_S5_lS6_PT7_S5_li.has_indirect_call, 0
	.section	.AMDGPU.csdata,"",@progbits
; Kernel info:
; codeLenInByte = 824
; TotalNumSgprs: 28
; NumVgprs: 28
; ScratchSize: 0
; MemoryBound: 0
; FloatMode: 240
; IeeeMode: 1
; LDSByteSize: 4096 bytes/workgroup (compile time only)
; SGPRBlocks: 3
; VGPRBlocks: 6
; NumSGPRsForWavesPerEU: 28
; NumVGPRsForWavesPerEU: 28
; Occupancy: 9
; WaveLimiterHint : 1
; COMPUTE_PGM_RSRC2:SCRATCH_EN: 0
; COMPUTE_PGM_RSRC2:USER_SGPR: 6
; COMPUTE_PGM_RSRC2:TRAP_HANDLER: 0
; COMPUTE_PGM_RSRC2:TGID_X_EN: 1
; COMPUTE_PGM_RSRC2:TGID_Y_EN: 1
; COMPUTE_PGM_RSRC2:TGID_Z_EN: 1
; COMPUTE_PGM_RSRC2:TIDIG_COMP_CNT: 1
	.section	.text._ZL41rocblas_syrkx_herkx_small_restrict_kernelIldLi16ELb1ELb0ELc67ELc76EKPKdKPdEviT_T0_PT6_S5_lS8_S5_lS6_PT7_S5_li,"axG",@progbits,_ZL41rocblas_syrkx_herkx_small_restrict_kernelIldLi16ELb1ELb0ELc67ELc76EKPKdKPdEviT_T0_PT6_S5_lS8_S5_lS6_PT7_S5_li,comdat
	.globl	_ZL41rocblas_syrkx_herkx_small_restrict_kernelIldLi16ELb1ELb0ELc67ELc76EKPKdKPdEviT_T0_PT6_S5_lS8_S5_lS6_PT7_S5_li ; -- Begin function _ZL41rocblas_syrkx_herkx_small_restrict_kernelIldLi16ELb1ELb0ELc67ELc76EKPKdKPdEviT_T0_PT6_S5_lS8_S5_lS6_PT7_S5_li
	.p2align	8
	.type	_ZL41rocblas_syrkx_herkx_small_restrict_kernelIldLi16ELb1ELb0ELc67ELc76EKPKdKPdEviT_T0_PT6_S5_lS8_S5_lS6_PT7_S5_li,@function
_ZL41rocblas_syrkx_herkx_small_restrict_kernelIldLi16ELb1ELb0ELc67ELc76EKPKdKPdEviT_T0_PT6_S5_lS8_S5_lS6_PT7_S5_li: ; @_ZL41rocblas_syrkx_herkx_small_restrict_kernelIldLi16ELb1ELb0ELc67ELc76EKPKdKPdEviT_T0_PT6_S5_lS8_S5_lS6_PT7_S5_li
; %bb.0:
	s_load_dwordx4 s[20:23], s[4:5], 0x50
	s_load_dwordx8 s[12:19], s[4:5], 0x8
	s_mov_b32 s9, 0
	s_lshl_b64 s[0:1], s[8:9], 3
	v_lshl_add_u32 v2, s6, 4, v0
	s_waitcnt lgkmcnt(0)
	s_add_u32 s2, s20, s0
	s_addc_u32 s3, s21, s1
	s_load_dwordx2 s[8:9], s[2:3], 0x0
	v_cmp_lt_i64_e64 s[2:3], s[12:13], 1
	v_lshl_add_u32 v10, s7, 4, v1
	s_and_b64 vcc, exec, s[2:3]
	v_ashrrev_i32_e32 v3, 31, v2
	v_ashrrev_i32_e32 v11, 31, v10
	s_cbranch_vccnz .LBB1502_6
; %bb.1:
	s_load_dwordx4 s[4:7], s[4:5], 0x30
	v_mad_u64_u32 v[4:5], s[2:3], s18, v2, 0
	v_mul_lo_u32 v6, s19, v2
	v_mul_lo_u32 v7, s18, v3
	s_waitcnt lgkmcnt(0)
	s_add_u32 s2, s4, s0
	s_addc_u32 s3, s5, s1
	s_add_u32 s0, s16, s0
	s_addc_u32 s1, s17, s1
	s_load_dwordx2 s[0:1], s[0:1], 0x0
	v_lshlrev_b32_e32 v8, 3, v1
	v_add3_u32 v5, v5, v7, v6
	v_lshlrev_b64 v[4:5], 3, v[4:5]
	s_load_dwordx2 s[2:3], s[2:3], 0x0
	s_waitcnt lgkmcnt(0)
	v_mov_b32_e32 v6, s1
	v_add_co_u32_e32 v7, vcc, s0, v8
	v_addc_co_u32_e32 v6, vcc, 0, v6, vcc
	v_add_co_u32_e32 v4, vcc, v7, v4
	v_addc_co_u32_e32 v5, vcc, v6, v5, vcc
	v_mul_lo_u32 v8, s7, v10
	v_mul_lo_u32 v9, s6, v11
	v_mad_u64_u32 v[6:7], s[0:1], s6, v10, 0
	v_lshlrev_b32_e32 v12, 3, v0
	v_mov_b32_e32 v0, s3
	v_add3_u32 v7, v7, v9, v8
	v_add_co_u32_e32 v8, vcc, s2, v12
	v_lshlrev_b32_e32 v14, 7, v1
	v_addc_co_u32_e32 v9, vcc, 0, v0, vcc
	v_lshlrev_b64 v[0:1], 3, v[6:7]
	v_add_u32_e32 v13, v12, v14
	v_add_co_u32_e32 v0, vcc, v8, v0
	v_addc_co_u32_e32 v1, vcc, v9, v1, vcc
	v_add_u32_e32 v14, 0x800, v14
	v_mov_b32_e32 v8, 0
	v_mov_b32_e32 v6, s12
	v_add_u32_e32 v15, v14, v12
	v_mov_b32_e32 v9, 0
	s_mov_b64 s[4:5], 0
	v_mov_b32_e32 v7, s13
.LBB1502_2:                             ; =>This Inner Loop Header: Depth=1
	flat_load_dwordx2 v[16:17], v[4:5]
	s_add_u32 s4, s4, 16
	s_addc_u32 s5, s5, 0
	v_cmp_lt_i64_e32 vcc, s[4:5], v[6:7]
	s_and_b64 s[0:1], exec, vcc
	s_waitcnt vmcnt(0) lgkmcnt(0)
	ds_write_b64 v13, v[16:17]
	flat_load_dwordx2 v[16:17], v[0:1]
	v_add_co_u32_e32 v0, vcc, 0x80, v0
	s_mov_b64 s[2:3], vcc
	v_add_co_u32_e32 v4, vcc, 0x80, v4
	v_addc_co_u32_e32 v5, vcc, 0, v5, vcc
	v_addc_co_u32_e64 v1, s[2:3], 0, v1, s[2:3]
	s_mov_b64 vcc, s[0:1]
	s_waitcnt vmcnt(0) lgkmcnt(0)
	ds_write_b64 v15, v[16:17]
	s_waitcnt lgkmcnt(0)
	s_barrier
	ds_read2_b64 v[16:19], v12 offset1:16
	ds_read_b128 v[20:23], v14
	ds_read_b128 v[24:27], v14 offset:16
	s_waitcnt lgkmcnt(1)
	v_fma_f64 v[8:9], v[16:17], v[20:21], v[8:9]
	v_fma_f64 v[8:9], v[18:19], v[22:23], v[8:9]
	ds_read2_b64 v[16:19], v12 offset0:32 offset1:48
	s_waitcnt lgkmcnt(0)
	v_fma_f64 v[8:9], v[16:17], v[24:25], v[8:9]
	v_fma_f64 v[8:9], v[18:19], v[26:27], v[8:9]
	ds_read2_b64 v[16:19], v12 offset0:64 offset1:80
	ds_read_b128 v[20:23], v14 offset:32
	ds_read_b128 v[24:27], v14 offset:48
	s_waitcnt lgkmcnt(1)
	v_fma_f64 v[8:9], v[16:17], v[20:21], v[8:9]
	v_fma_f64 v[8:9], v[18:19], v[22:23], v[8:9]
	ds_read2_b64 v[16:19], v12 offset0:96 offset1:112
	s_waitcnt lgkmcnt(0)
	v_fma_f64 v[8:9], v[16:17], v[24:25], v[8:9]
	v_fma_f64 v[8:9], v[18:19], v[26:27], v[8:9]
	ds_read2_b64 v[16:19], v12 offset0:128 offset1:144
	ds_read_b128 v[20:23], v14 offset:64
	;; [unrolled: 10-line block ×3, first 2 shown]
	ds_read_b128 v[24:27], v14 offset:112
	s_waitcnt lgkmcnt(1)
	v_fma_f64 v[8:9], v[16:17], v[20:21], v[8:9]
	v_fma_f64 v[8:9], v[18:19], v[22:23], v[8:9]
	ds_read2_b64 v[16:19], v12 offset0:224 offset1:240
	s_waitcnt lgkmcnt(0)
	s_barrier
	v_fma_f64 v[8:9], v[16:17], v[24:25], v[8:9]
	v_fma_f64 v[8:9], v[18:19], v[26:27], v[8:9]
	s_cbranch_vccnz .LBB1502_2
; %bb.3:
	v_cmp_le_i32_e32 vcc, v10, v2
	s_and_saveexec_b64 s[0:1], vcc
	s_cbranch_execz .LBB1502_5
.LBB1502_4:
	v_mul_lo_u32 v6, s23, v10
	v_mul_lo_u32 v7, s22, v11
	v_mad_u64_u32 v[0:1], s[0:1], s22, v10, 0
	v_mul_f64 v[4:5], s[14:15], v[8:9]
	v_add3_u32 v1, v1, v7, v6
	v_lshlrev_b64 v[0:1], 3, v[0:1]
	s_waitcnt lgkmcnt(0)
	v_mov_b32_e32 v6, s9
	v_add_co_u32_e32 v7, vcc, s8, v0
	v_addc_co_u32_e32 v6, vcc, v6, v1, vcc
	v_lshlrev_b64 v[0:1], 3, v[2:3]
	v_add_co_u32_e32 v0, vcc, v7, v0
	v_addc_co_u32_e32 v1, vcc, v6, v1, vcc
	flat_store_dwordx2 v[0:1], v[4:5]
.LBB1502_5:
	s_endpgm
.LBB1502_6:
	v_mov_b32_e32 v8, 0
	v_mov_b32_e32 v9, 0
	v_cmp_le_i32_e32 vcc, v10, v2
	s_and_saveexec_b64 s[0:1], vcc
	s_cbranch_execnz .LBB1502_4
	s_branch .LBB1502_5
	.section	.rodata,"a",@progbits
	.p2align	6, 0x0
	.amdhsa_kernel _ZL41rocblas_syrkx_herkx_small_restrict_kernelIldLi16ELb1ELb0ELc67ELc76EKPKdKPdEviT_T0_PT6_S5_lS8_S5_lS6_PT7_S5_li
		.amdhsa_group_segment_fixed_size 4096
		.amdhsa_private_segment_fixed_size 0
		.amdhsa_kernarg_size 108
		.amdhsa_user_sgpr_count 6
		.amdhsa_user_sgpr_private_segment_buffer 1
		.amdhsa_user_sgpr_dispatch_ptr 0
		.amdhsa_user_sgpr_queue_ptr 0
		.amdhsa_user_sgpr_kernarg_segment_ptr 1
		.amdhsa_user_sgpr_dispatch_id 0
		.amdhsa_user_sgpr_flat_scratch_init 0
		.amdhsa_user_sgpr_private_segment_size 0
		.amdhsa_uses_dynamic_stack 0
		.amdhsa_system_sgpr_private_segment_wavefront_offset 0
		.amdhsa_system_sgpr_workgroup_id_x 1
		.amdhsa_system_sgpr_workgroup_id_y 1
		.amdhsa_system_sgpr_workgroup_id_z 1
		.amdhsa_system_sgpr_workgroup_info 0
		.amdhsa_system_vgpr_workitem_id 1
		.amdhsa_next_free_vgpr 28
		.amdhsa_next_free_sgpr 24
		.amdhsa_reserve_vcc 1
		.amdhsa_reserve_flat_scratch 0
		.amdhsa_float_round_mode_32 0
		.amdhsa_float_round_mode_16_64 0
		.amdhsa_float_denorm_mode_32 3
		.amdhsa_float_denorm_mode_16_64 3
		.amdhsa_dx10_clamp 1
		.amdhsa_ieee_mode 1
		.amdhsa_fp16_overflow 0
		.amdhsa_exception_fp_ieee_invalid_op 0
		.amdhsa_exception_fp_denorm_src 0
		.amdhsa_exception_fp_ieee_div_zero 0
		.amdhsa_exception_fp_ieee_overflow 0
		.amdhsa_exception_fp_ieee_underflow 0
		.amdhsa_exception_fp_ieee_inexact 0
		.amdhsa_exception_int_div_zero 0
	.end_amdhsa_kernel
	.section	.text._ZL41rocblas_syrkx_herkx_small_restrict_kernelIldLi16ELb1ELb0ELc67ELc76EKPKdKPdEviT_T0_PT6_S5_lS8_S5_lS6_PT7_S5_li,"axG",@progbits,_ZL41rocblas_syrkx_herkx_small_restrict_kernelIldLi16ELb1ELb0ELc67ELc76EKPKdKPdEviT_T0_PT6_S5_lS8_S5_lS6_PT7_S5_li,comdat
.Lfunc_end1502:
	.size	_ZL41rocblas_syrkx_herkx_small_restrict_kernelIldLi16ELb1ELb0ELc67ELc76EKPKdKPdEviT_T0_PT6_S5_lS8_S5_lS6_PT7_S5_li, .Lfunc_end1502-_ZL41rocblas_syrkx_herkx_small_restrict_kernelIldLi16ELb1ELb0ELc67ELc76EKPKdKPdEviT_T0_PT6_S5_lS8_S5_lS6_PT7_S5_li
                                        ; -- End function
	.set _ZL41rocblas_syrkx_herkx_small_restrict_kernelIldLi16ELb1ELb0ELc67ELc76EKPKdKPdEviT_T0_PT6_S5_lS8_S5_lS6_PT7_S5_li.num_vgpr, 28
	.set _ZL41rocblas_syrkx_herkx_small_restrict_kernelIldLi16ELb1ELb0ELc67ELc76EKPKdKPdEviT_T0_PT6_S5_lS8_S5_lS6_PT7_S5_li.num_agpr, 0
	.set _ZL41rocblas_syrkx_herkx_small_restrict_kernelIldLi16ELb1ELb0ELc67ELc76EKPKdKPdEviT_T0_PT6_S5_lS8_S5_lS6_PT7_S5_li.numbered_sgpr, 24
	.set _ZL41rocblas_syrkx_herkx_small_restrict_kernelIldLi16ELb1ELb0ELc67ELc76EKPKdKPdEviT_T0_PT6_S5_lS8_S5_lS6_PT7_S5_li.num_named_barrier, 0
	.set _ZL41rocblas_syrkx_herkx_small_restrict_kernelIldLi16ELb1ELb0ELc67ELc76EKPKdKPdEviT_T0_PT6_S5_lS8_S5_lS6_PT7_S5_li.private_seg_size, 0
	.set _ZL41rocblas_syrkx_herkx_small_restrict_kernelIldLi16ELb1ELb0ELc67ELc76EKPKdKPdEviT_T0_PT6_S5_lS8_S5_lS6_PT7_S5_li.uses_vcc, 1
	.set _ZL41rocblas_syrkx_herkx_small_restrict_kernelIldLi16ELb1ELb0ELc67ELc76EKPKdKPdEviT_T0_PT6_S5_lS8_S5_lS6_PT7_S5_li.uses_flat_scratch, 0
	.set _ZL41rocblas_syrkx_herkx_small_restrict_kernelIldLi16ELb1ELb0ELc67ELc76EKPKdKPdEviT_T0_PT6_S5_lS8_S5_lS6_PT7_S5_li.has_dyn_sized_stack, 0
	.set _ZL41rocblas_syrkx_herkx_small_restrict_kernelIldLi16ELb1ELb0ELc67ELc76EKPKdKPdEviT_T0_PT6_S5_lS8_S5_lS6_PT7_S5_li.has_recursion, 0
	.set _ZL41rocblas_syrkx_herkx_small_restrict_kernelIldLi16ELb1ELb0ELc67ELc76EKPKdKPdEviT_T0_PT6_S5_lS8_S5_lS6_PT7_S5_li.has_indirect_call, 0
	.section	.AMDGPU.csdata,"",@progbits
; Kernel info:
; codeLenInByte = 824
; TotalNumSgprs: 28
; NumVgprs: 28
; ScratchSize: 0
; MemoryBound: 0
; FloatMode: 240
; IeeeMode: 1
; LDSByteSize: 4096 bytes/workgroup (compile time only)
; SGPRBlocks: 3
; VGPRBlocks: 6
; NumSGPRsForWavesPerEU: 28
; NumVGPRsForWavesPerEU: 28
; Occupancy: 9
; WaveLimiterHint : 1
; COMPUTE_PGM_RSRC2:SCRATCH_EN: 0
; COMPUTE_PGM_RSRC2:USER_SGPR: 6
; COMPUTE_PGM_RSRC2:TRAP_HANDLER: 0
; COMPUTE_PGM_RSRC2:TGID_X_EN: 1
; COMPUTE_PGM_RSRC2:TGID_Y_EN: 1
; COMPUTE_PGM_RSRC2:TGID_Z_EN: 1
; COMPUTE_PGM_RSRC2:TIDIG_COMP_CNT: 1
	.section	.text._ZL41rocblas_syrkx_herkx_small_restrict_kernelIldLi16ELb1ELb0ELc78ELc76EKPKdKPdEviT_T0_PT6_S5_lS8_S5_lS6_PT7_S5_li,"axG",@progbits,_ZL41rocblas_syrkx_herkx_small_restrict_kernelIldLi16ELb1ELb0ELc78ELc76EKPKdKPdEviT_T0_PT6_S5_lS8_S5_lS6_PT7_S5_li,comdat
	.globl	_ZL41rocblas_syrkx_herkx_small_restrict_kernelIldLi16ELb1ELb0ELc78ELc76EKPKdKPdEviT_T0_PT6_S5_lS8_S5_lS6_PT7_S5_li ; -- Begin function _ZL41rocblas_syrkx_herkx_small_restrict_kernelIldLi16ELb1ELb0ELc78ELc76EKPKdKPdEviT_T0_PT6_S5_lS8_S5_lS6_PT7_S5_li
	.p2align	8
	.type	_ZL41rocblas_syrkx_herkx_small_restrict_kernelIldLi16ELb1ELb0ELc78ELc76EKPKdKPdEviT_T0_PT6_S5_lS8_S5_lS6_PT7_S5_li,@function
_ZL41rocblas_syrkx_herkx_small_restrict_kernelIldLi16ELb1ELb0ELc78ELc76EKPKdKPdEviT_T0_PT6_S5_lS8_S5_lS6_PT7_S5_li: ; @_ZL41rocblas_syrkx_herkx_small_restrict_kernelIldLi16ELb1ELb0ELc78ELc76EKPKdKPdEviT_T0_PT6_S5_lS8_S5_lS6_PT7_S5_li
; %bb.0:
	s_load_dwordx4 s[0:3], s[4:5], 0x50
	s_load_dwordx8 s[12:19], s[4:5], 0x8
	s_mov_b32 s9, 0
	s_lshl_b64 s[10:11], s[8:9], 3
	v_lshl_add_u32 v2, s6, 4, v0
	s_waitcnt lgkmcnt(0)
	s_add_u32 s0, s0, s10
	s_addc_u32 s1, s1, s11
	s_load_dwordx2 s[8:9], s[0:1], 0x0
	v_cmp_lt_i64_e64 s[0:1], s[12:13], 1
	v_lshl_add_u32 v4, s7, 4, v1
	s_and_b64 vcc, exec, s[0:1]
	v_ashrrev_i32_e32 v3, 31, v2
	v_ashrrev_i32_e32 v5, 31, v4
	s_cbranch_vccnz .LBB1503_6
; %bb.1:
	s_load_dwordx4 s[4:7], s[4:5], 0x30
	v_lshlrev_b32_e32 v9, 7, v1
	v_lshlrev_b32_e32 v12, 3, v0
	v_add_u32_e32 v13, v12, v9
	v_add_u32_e32 v14, 0x800, v9
	s_waitcnt lgkmcnt(0)
	s_add_u32 s0, s4, s10
	v_mad_u64_u32 v[6:7], s[20:21], s6, v0, 0
	s_addc_u32 s1, s5, s11
	s_add_u32 s4, s16, s10
	s_addc_u32 s5, s17, s11
	s_load_dwordx2 s[10:11], s[4:5], 0x0
	v_mad_u64_u32 v[7:8], s[4:5], s7, v0, v[7:8]
	v_mad_u64_u32 v[10:11], s[4:5], s18, v1, 0
	v_lshlrev_b64 v[6:7], 3, v[6:7]
	v_lshlrev_b64 v[8:9], 3, v[4:5]
	s_load_dwordx2 s[0:1], s[0:1], 0x0
	v_add_co_u32_e32 v8, vcc, v6, v8
	v_mov_b32_e32 v0, v11
	v_addc_co_u32_e32 v9, vcc, v7, v9, vcc
	v_mad_u64_u32 v[6:7], s[4:5], s19, v1, v[0:1]
	s_waitcnt lgkmcnt(0)
	v_mov_b32_e32 v16, s1
	v_add_co_u32_e32 v0, vcc, s0, v8
	v_mov_b32_e32 v11, v6
	v_addc_co_u32_e32 v1, vcc, v16, v9, vcc
	v_lshlrev_b64 v[6:7], 3, v[10:11]
	v_lshlrev_b64 v[8:9], 3, v[2:3]
	s_lshl_b64 s[4:5], s[6:7], 7
	v_add_co_u32_e32 v6, vcc, v6, v8
	v_addc_co_u32_e32 v7, vcc, v7, v9, vcc
	v_mov_b32_e32 v8, s11
	v_add_co_u32_e32 v6, vcc, s10, v6
	v_addc_co_u32_e32 v7, vcc, v8, v7, vcc
	s_lshl_b64 s[6:7], s[18:19], 7
	v_mov_b32_e32 v10, 0
	v_mov_b32_e32 v8, s12
	v_add_u32_e32 v15, v14, v12
	v_mov_b32_e32 v11, 0
	s_mov_b64 s[10:11], 0
	v_mov_b32_e32 v16, s5
	v_mov_b32_e32 v17, s7
	;; [unrolled: 1-line block ×3, first 2 shown]
.LBB1503_2:                             ; =>This Inner Loop Header: Depth=1
	flat_load_dwordx2 v[18:19], v[6:7]
	s_add_u32 s10, s10, 16
	v_add_co_u32_e32 v6, vcc, s6, v6
	v_addc_co_u32_e32 v7, vcc, v7, v17, vcc
	s_addc_u32 s11, s11, 0
	v_cmp_lt_i64_e32 vcc, s[10:11], v[8:9]
	s_and_b64 vcc, exec, vcc
	s_waitcnt vmcnt(0) lgkmcnt(0)
	ds_write_b64 v13, v[18:19]
	flat_load_dwordx2 v[18:19], v[0:1]
	v_add_co_u32_e64 v0, s[0:1], s4, v0
	v_addc_co_u32_e64 v1, s[0:1], v1, v16, s[0:1]
	s_waitcnt vmcnt(0) lgkmcnt(0)
	ds_write_b64 v15, v[18:19]
	s_waitcnt lgkmcnt(0)
	s_barrier
	ds_read2_b64 v[18:21], v12 offset1:16
	ds_read_b128 v[22:25], v14
	ds_read_b128 v[26:29], v14 offset:16
	s_waitcnt lgkmcnt(1)
	v_fma_f64 v[10:11], v[18:19], v[22:23], v[10:11]
	v_fma_f64 v[10:11], v[20:21], v[24:25], v[10:11]
	ds_read2_b64 v[18:21], v12 offset0:32 offset1:48
	s_waitcnt lgkmcnt(0)
	v_fma_f64 v[10:11], v[18:19], v[26:27], v[10:11]
	v_fma_f64 v[10:11], v[20:21], v[28:29], v[10:11]
	ds_read2_b64 v[18:21], v12 offset0:64 offset1:80
	ds_read_b128 v[22:25], v14 offset:32
	ds_read_b128 v[26:29], v14 offset:48
	s_waitcnt lgkmcnt(1)
	v_fma_f64 v[10:11], v[18:19], v[22:23], v[10:11]
	v_fma_f64 v[10:11], v[20:21], v[24:25], v[10:11]
	ds_read2_b64 v[18:21], v12 offset0:96 offset1:112
	s_waitcnt lgkmcnt(0)
	v_fma_f64 v[10:11], v[18:19], v[26:27], v[10:11]
	v_fma_f64 v[10:11], v[20:21], v[28:29], v[10:11]
	ds_read2_b64 v[18:21], v12 offset0:128 offset1:144
	ds_read_b128 v[22:25], v14 offset:64
	;; [unrolled: 10-line block ×3, first 2 shown]
	ds_read_b128 v[26:29], v14 offset:112
	s_waitcnt lgkmcnt(1)
	v_fma_f64 v[10:11], v[18:19], v[22:23], v[10:11]
	v_fma_f64 v[10:11], v[20:21], v[24:25], v[10:11]
	ds_read2_b64 v[18:21], v12 offset0:224 offset1:240
	s_waitcnt lgkmcnt(0)
	s_barrier
	v_fma_f64 v[10:11], v[18:19], v[26:27], v[10:11]
	v_fma_f64 v[10:11], v[20:21], v[28:29], v[10:11]
	s_cbranch_vccnz .LBB1503_2
; %bb.3:
	v_cmp_le_i32_e32 vcc, v4, v2
	s_and_saveexec_b64 s[0:1], vcc
	s_cbranch_execz .LBB1503_5
.LBB1503_4:
	v_mul_lo_u32 v6, s3, v4
	v_mul_lo_u32 v7, s2, v5
	v_mad_u64_u32 v[0:1], s[0:1], s2, v4, 0
	v_mul_f64 v[4:5], s[14:15], v[10:11]
	v_add3_u32 v1, v1, v7, v6
	v_lshlrev_b64 v[0:1], 3, v[0:1]
	s_waitcnt lgkmcnt(0)
	v_mov_b32_e32 v6, s9
	v_add_co_u32_e32 v7, vcc, s8, v0
	v_addc_co_u32_e32 v6, vcc, v6, v1, vcc
	v_lshlrev_b64 v[0:1], 3, v[2:3]
	v_add_co_u32_e32 v0, vcc, v7, v0
	v_addc_co_u32_e32 v1, vcc, v6, v1, vcc
	flat_store_dwordx2 v[0:1], v[4:5]
.LBB1503_5:
	s_endpgm
.LBB1503_6:
	v_mov_b32_e32 v10, 0
	v_mov_b32_e32 v11, 0
	v_cmp_le_i32_e32 vcc, v4, v2
	s_and_saveexec_b64 s[0:1], vcc
	s_cbranch_execnz .LBB1503_4
	s_branch .LBB1503_5
	.section	.rodata,"a",@progbits
	.p2align	6, 0x0
	.amdhsa_kernel _ZL41rocblas_syrkx_herkx_small_restrict_kernelIldLi16ELb1ELb0ELc78ELc76EKPKdKPdEviT_T0_PT6_S5_lS8_S5_lS6_PT7_S5_li
		.amdhsa_group_segment_fixed_size 4096
		.amdhsa_private_segment_fixed_size 0
		.amdhsa_kernarg_size 108
		.amdhsa_user_sgpr_count 6
		.amdhsa_user_sgpr_private_segment_buffer 1
		.amdhsa_user_sgpr_dispatch_ptr 0
		.amdhsa_user_sgpr_queue_ptr 0
		.amdhsa_user_sgpr_kernarg_segment_ptr 1
		.amdhsa_user_sgpr_dispatch_id 0
		.amdhsa_user_sgpr_flat_scratch_init 0
		.amdhsa_user_sgpr_private_segment_size 0
		.amdhsa_uses_dynamic_stack 0
		.amdhsa_system_sgpr_private_segment_wavefront_offset 0
		.amdhsa_system_sgpr_workgroup_id_x 1
		.amdhsa_system_sgpr_workgroup_id_y 1
		.amdhsa_system_sgpr_workgroup_id_z 1
		.amdhsa_system_sgpr_workgroup_info 0
		.amdhsa_system_vgpr_workitem_id 1
		.amdhsa_next_free_vgpr 30
		.amdhsa_next_free_sgpr 22
		.amdhsa_reserve_vcc 1
		.amdhsa_reserve_flat_scratch 0
		.amdhsa_float_round_mode_32 0
		.amdhsa_float_round_mode_16_64 0
		.amdhsa_float_denorm_mode_32 3
		.amdhsa_float_denorm_mode_16_64 3
		.amdhsa_dx10_clamp 1
		.amdhsa_ieee_mode 1
		.amdhsa_fp16_overflow 0
		.amdhsa_exception_fp_ieee_invalid_op 0
		.amdhsa_exception_fp_denorm_src 0
		.amdhsa_exception_fp_ieee_div_zero 0
		.amdhsa_exception_fp_ieee_overflow 0
		.amdhsa_exception_fp_ieee_underflow 0
		.amdhsa_exception_fp_ieee_inexact 0
		.amdhsa_exception_int_div_zero 0
	.end_amdhsa_kernel
	.section	.text._ZL41rocblas_syrkx_herkx_small_restrict_kernelIldLi16ELb1ELb0ELc78ELc76EKPKdKPdEviT_T0_PT6_S5_lS8_S5_lS6_PT7_S5_li,"axG",@progbits,_ZL41rocblas_syrkx_herkx_small_restrict_kernelIldLi16ELb1ELb0ELc78ELc76EKPKdKPdEviT_T0_PT6_S5_lS8_S5_lS6_PT7_S5_li,comdat
.Lfunc_end1503:
	.size	_ZL41rocblas_syrkx_herkx_small_restrict_kernelIldLi16ELb1ELb0ELc78ELc76EKPKdKPdEviT_T0_PT6_S5_lS8_S5_lS6_PT7_S5_li, .Lfunc_end1503-_ZL41rocblas_syrkx_herkx_small_restrict_kernelIldLi16ELb1ELb0ELc78ELc76EKPKdKPdEviT_T0_PT6_S5_lS8_S5_lS6_PT7_S5_li
                                        ; -- End function
	.set _ZL41rocblas_syrkx_herkx_small_restrict_kernelIldLi16ELb1ELb0ELc78ELc76EKPKdKPdEviT_T0_PT6_S5_lS8_S5_lS6_PT7_S5_li.num_vgpr, 30
	.set _ZL41rocblas_syrkx_herkx_small_restrict_kernelIldLi16ELb1ELb0ELc78ELc76EKPKdKPdEviT_T0_PT6_S5_lS8_S5_lS6_PT7_S5_li.num_agpr, 0
	.set _ZL41rocblas_syrkx_herkx_small_restrict_kernelIldLi16ELb1ELb0ELc78ELc76EKPKdKPdEviT_T0_PT6_S5_lS8_S5_lS6_PT7_S5_li.numbered_sgpr, 22
	.set _ZL41rocblas_syrkx_herkx_small_restrict_kernelIldLi16ELb1ELb0ELc78ELc76EKPKdKPdEviT_T0_PT6_S5_lS8_S5_lS6_PT7_S5_li.num_named_barrier, 0
	.set _ZL41rocblas_syrkx_herkx_small_restrict_kernelIldLi16ELb1ELb0ELc78ELc76EKPKdKPdEviT_T0_PT6_S5_lS8_S5_lS6_PT7_S5_li.private_seg_size, 0
	.set _ZL41rocblas_syrkx_herkx_small_restrict_kernelIldLi16ELb1ELb0ELc78ELc76EKPKdKPdEviT_T0_PT6_S5_lS8_S5_lS6_PT7_S5_li.uses_vcc, 1
	.set _ZL41rocblas_syrkx_herkx_small_restrict_kernelIldLi16ELb1ELb0ELc78ELc76EKPKdKPdEviT_T0_PT6_S5_lS8_S5_lS6_PT7_S5_li.uses_flat_scratch, 0
	.set _ZL41rocblas_syrkx_herkx_small_restrict_kernelIldLi16ELb1ELb0ELc78ELc76EKPKdKPdEviT_T0_PT6_S5_lS8_S5_lS6_PT7_S5_li.has_dyn_sized_stack, 0
	.set _ZL41rocblas_syrkx_herkx_small_restrict_kernelIldLi16ELb1ELb0ELc78ELc76EKPKdKPdEviT_T0_PT6_S5_lS8_S5_lS6_PT7_S5_li.has_recursion, 0
	.set _ZL41rocblas_syrkx_herkx_small_restrict_kernelIldLi16ELb1ELb0ELc78ELc76EKPKdKPdEviT_T0_PT6_S5_lS8_S5_lS6_PT7_S5_li.has_indirect_call, 0
	.section	.AMDGPU.csdata,"",@progbits
; Kernel info:
; codeLenInByte = 816
; TotalNumSgprs: 26
; NumVgprs: 30
; ScratchSize: 0
; MemoryBound: 0
; FloatMode: 240
; IeeeMode: 1
; LDSByteSize: 4096 bytes/workgroup (compile time only)
; SGPRBlocks: 3
; VGPRBlocks: 7
; NumSGPRsForWavesPerEU: 26
; NumVGPRsForWavesPerEU: 30
; Occupancy: 8
; WaveLimiterHint : 1
; COMPUTE_PGM_RSRC2:SCRATCH_EN: 0
; COMPUTE_PGM_RSRC2:USER_SGPR: 6
; COMPUTE_PGM_RSRC2:TRAP_HANDLER: 0
; COMPUTE_PGM_RSRC2:TGID_X_EN: 1
; COMPUTE_PGM_RSRC2:TGID_Y_EN: 1
; COMPUTE_PGM_RSRC2:TGID_Z_EN: 1
; COMPUTE_PGM_RSRC2:TIDIG_COMP_CNT: 1
	.section	.text._ZL41rocblas_syrkx_herkx_small_restrict_kernelIldLi16ELb1ELb0ELc84ELc85EKPKdKPdEviT_T0_PT6_S5_lS8_S5_lS6_PT7_S5_li,"axG",@progbits,_ZL41rocblas_syrkx_herkx_small_restrict_kernelIldLi16ELb1ELb0ELc84ELc85EKPKdKPdEviT_T0_PT6_S5_lS8_S5_lS6_PT7_S5_li,comdat
	.globl	_ZL41rocblas_syrkx_herkx_small_restrict_kernelIldLi16ELb1ELb0ELc84ELc85EKPKdKPdEviT_T0_PT6_S5_lS8_S5_lS6_PT7_S5_li ; -- Begin function _ZL41rocblas_syrkx_herkx_small_restrict_kernelIldLi16ELb1ELb0ELc84ELc85EKPKdKPdEviT_T0_PT6_S5_lS8_S5_lS6_PT7_S5_li
	.p2align	8
	.type	_ZL41rocblas_syrkx_herkx_small_restrict_kernelIldLi16ELb1ELb0ELc84ELc85EKPKdKPdEviT_T0_PT6_S5_lS8_S5_lS6_PT7_S5_li,@function
_ZL41rocblas_syrkx_herkx_small_restrict_kernelIldLi16ELb1ELb0ELc84ELc85EKPKdKPdEviT_T0_PT6_S5_lS8_S5_lS6_PT7_S5_li: ; @_ZL41rocblas_syrkx_herkx_small_restrict_kernelIldLi16ELb1ELb0ELc84ELc85EKPKdKPdEviT_T0_PT6_S5_lS8_S5_lS6_PT7_S5_li
; %bb.0:
	s_load_dwordx4 s[20:23], s[4:5], 0x50
	s_load_dwordx8 s[12:19], s[4:5], 0x8
	s_mov_b32 s9, 0
	s_lshl_b64 s[0:1], s[8:9], 3
	v_lshl_add_u32 v2, s6, 4, v0
	s_waitcnt lgkmcnt(0)
	s_add_u32 s2, s20, s0
	s_addc_u32 s3, s21, s1
	s_load_dwordx2 s[8:9], s[2:3], 0x0
	v_cmp_lt_i64_e64 s[2:3], s[12:13], 1
	v_lshl_add_u32 v10, s7, 4, v1
	s_and_b64 vcc, exec, s[2:3]
	v_ashrrev_i32_e32 v3, 31, v2
	v_ashrrev_i32_e32 v11, 31, v10
	s_cbranch_vccnz .LBB1504_6
; %bb.1:
	s_load_dwordx4 s[4:7], s[4:5], 0x30
	v_mad_u64_u32 v[4:5], s[2:3], s18, v2, 0
	v_mul_lo_u32 v6, s19, v2
	v_mul_lo_u32 v7, s18, v3
	s_waitcnt lgkmcnt(0)
	s_add_u32 s2, s4, s0
	s_addc_u32 s3, s5, s1
	s_add_u32 s0, s16, s0
	s_addc_u32 s1, s17, s1
	s_load_dwordx2 s[0:1], s[0:1], 0x0
	v_lshlrev_b32_e32 v8, 3, v1
	v_add3_u32 v5, v5, v7, v6
	v_lshlrev_b64 v[4:5], 3, v[4:5]
	s_load_dwordx2 s[2:3], s[2:3], 0x0
	s_waitcnt lgkmcnt(0)
	v_mov_b32_e32 v6, s1
	v_add_co_u32_e32 v7, vcc, s0, v8
	v_addc_co_u32_e32 v6, vcc, 0, v6, vcc
	v_add_co_u32_e32 v4, vcc, v7, v4
	v_addc_co_u32_e32 v5, vcc, v6, v5, vcc
	v_mul_lo_u32 v8, s7, v10
	v_mul_lo_u32 v9, s6, v11
	v_mad_u64_u32 v[6:7], s[0:1], s6, v10, 0
	v_lshlrev_b32_e32 v12, 3, v0
	v_mov_b32_e32 v0, s3
	v_add3_u32 v7, v7, v9, v8
	v_add_co_u32_e32 v8, vcc, s2, v12
	v_lshlrev_b32_e32 v14, 7, v1
	v_addc_co_u32_e32 v9, vcc, 0, v0, vcc
	v_lshlrev_b64 v[0:1], 3, v[6:7]
	v_add_u32_e32 v13, v12, v14
	v_add_co_u32_e32 v0, vcc, v8, v0
	v_addc_co_u32_e32 v1, vcc, v9, v1, vcc
	v_add_u32_e32 v14, 0x800, v14
	v_mov_b32_e32 v8, 0
	v_mov_b32_e32 v6, s12
	v_add_u32_e32 v15, v14, v12
	v_mov_b32_e32 v9, 0
	s_mov_b64 s[4:5], 0
	v_mov_b32_e32 v7, s13
.LBB1504_2:                             ; =>This Inner Loop Header: Depth=1
	flat_load_dwordx2 v[16:17], v[4:5]
	s_add_u32 s4, s4, 16
	s_addc_u32 s5, s5, 0
	v_cmp_lt_i64_e32 vcc, s[4:5], v[6:7]
	s_and_b64 s[0:1], exec, vcc
	s_waitcnt vmcnt(0) lgkmcnt(0)
	ds_write_b64 v13, v[16:17]
	flat_load_dwordx2 v[16:17], v[0:1]
	v_add_co_u32_e32 v0, vcc, 0x80, v0
	s_mov_b64 s[2:3], vcc
	v_add_co_u32_e32 v4, vcc, 0x80, v4
	v_addc_co_u32_e32 v5, vcc, 0, v5, vcc
	v_addc_co_u32_e64 v1, s[2:3], 0, v1, s[2:3]
	s_mov_b64 vcc, s[0:1]
	s_waitcnt vmcnt(0) lgkmcnt(0)
	ds_write_b64 v15, v[16:17]
	s_waitcnt lgkmcnt(0)
	s_barrier
	ds_read2_b64 v[16:19], v12 offset1:16
	ds_read_b128 v[20:23], v14
	ds_read_b128 v[24:27], v14 offset:16
	s_waitcnt lgkmcnt(1)
	v_fma_f64 v[8:9], v[16:17], v[20:21], v[8:9]
	v_fma_f64 v[8:9], v[18:19], v[22:23], v[8:9]
	ds_read2_b64 v[16:19], v12 offset0:32 offset1:48
	s_waitcnt lgkmcnt(0)
	v_fma_f64 v[8:9], v[16:17], v[24:25], v[8:9]
	v_fma_f64 v[8:9], v[18:19], v[26:27], v[8:9]
	ds_read2_b64 v[16:19], v12 offset0:64 offset1:80
	ds_read_b128 v[20:23], v14 offset:32
	ds_read_b128 v[24:27], v14 offset:48
	s_waitcnt lgkmcnt(1)
	v_fma_f64 v[8:9], v[16:17], v[20:21], v[8:9]
	v_fma_f64 v[8:9], v[18:19], v[22:23], v[8:9]
	ds_read2_b64 v[16:19], v12 offset0:96 offset1:112
	s_waitcnt lgkmcnt(0)
	v_fma_f64 v[8:9], v[16:17], v[24:25], v[8:9]
	v_fma_f64 v[8:9], v[18:19], v[26:27], v[8:9]
	ds_read2_b64 v[16:19], v12 offset0:128 offset1:144
	ds_read_b128 v[20:23], v14 offset:64
	ds_read_b128 v[24:27], v14 offset:80
	s_waitcnt lgkmcnt(1)
	v_fma_f64 v[8:9], v[16:17], v[20:21], v[8:9]
	v_fma_f64 v[8:9], v[18:19], v[22:23], v[8:9]
	ds_read2_b64 v[16:19], v12 offset0:160 offset1:176
	s_waitcnt lgkmcnt(0)
	v_fma_f64 v[8:9], v[16:17], v[24:25], v[8:9]
	v_fma_f64 v[8:9], v[18:19], v[26:27], v[8:9]
	ds_read2_b64 v[16:19], v12 offset0:192 offset1:208
	ds_read_b128 v[20:23], v14 offset:96
	ds_read_b128 v[24:27], v14 offset:112
	s_waitcnt lgkmcnt(1)
	v_fma_f64 v[8:9], v[16:17], v[20:21], v[8:9]
	v_fma_f64 v[8:9], v[18:19], v[22:23], v[8:9]
	ds_read2_b64 v[16:19], v12 offset0:224 offset1:240
	s_waitcnt lgkmcnt(0)
	s_barrier
	v_fma_f64 v[8:9], v[16:17], v[24:25], v[8:9]
	v_fma_f64 v[8:9], v[18:19], v[26:27], v[8:9]
	s_cbranch_vccnz .LBB1504_2
; %bb.3:
	v_cmp_le_i32_e32 vcc, v2, v10
	s_and_saveexec_b64 s[0:1], vcc
	s_cbranch_execz .LBB1504_5
.LBB1504_4:
	v_mul_lo_u32 v6, s23, v10
	v_mul_lo_u32 v7, s22, v11
	v_mad_u64_u32 v[0:1], s[0:1], s22, v10, 0
	v_mul_f64 v[4:5], s[14:15], v[8:9]
	v_add3_u32 v1, v1, v7, v6
	v_lshlrev_b64 v[0:1], 3, v[0:1]
	s_waitcnt lgkmcnt(0)
	v_mov_b32_e32 v6, s9
	v_add_co_u32_e32 v7, vcc, s8, v0
	v_addc_co_u32_e32 v6, vcc, v6, v1, vcc
	v_lshlrev_b64 v[0:1], 3, v[2:3]
	v_add_co_u32_e32 v0, vcc, v7, v0
	v_addc_co_u32_e32 v1, vcc, v6, v1, vcc
	flat_store_dwordx2 v[0:1], v[4:5]
.LBB1504_5:
	s_endpgm
.LBB1504_6:
	v_mov_b32_e32 v8, 0
	v_mov_b32_e32 v9, 0
	v_cmp_le_i32_e32 vcc, v2, v10
	s_and_saveexec_b64 s[0:1], vcc
	s_cbranch_execnz .LBB1504_4
	s_branch .LBB1504_5
	.section	.rodata,"a",@progbits
	.p2align	6, 0x0
	.amdhsa_kernel _ZL41rocblas_syrkx_herkx_small_restrict_kernelIldLi16ELb1ELb0ELc84ELc85EKPKdKPdEviT_T0_PT6_S5_lS8_S5_lS6_PT7_S5_li
		.amdhsa_group_segment_fixed_size 4096
		.amdhsa_private_segment_fixed_size 0
		.amdhsa_kernarg_size 108
		.amdhsa_user_sgpr_count 6
		.amdhsa_user_sgpr_private_segment_buffer 1
		.amdhsa_user_sgpr_dispatch_ptr 0
		.amdhsa_user_sgpr_queue_ptr 0
		.amdhsa_user_sgpr_kernarg_segment_ptr 1
		.amdhsa_user_sgpr_dispatch_id 0
		.amdhsa_user_sgpr_flat_scratch_init 0
		.amdhsa_user_sgpr_private_segment_size 0
		.amdhsa_uses_dynamic_stack 0
		.amdhsa_system_sgpr_private_segment_wavefront_offset 0
		.amdhsa_system_sgpr_workgroup_id_x 1
		.amdhsa_system_sgpr_workgroup_id_y 1
		.amdhsa_system_sgpr_workgroup_id_z 1
		.amdhsa_system_sgpr_workgroup_info 0
		.amdhsa_system_vgpr_workitem_id 1
		.amdhsa_next_free_vgpr 28
		.amdhsa_next_free_sgpr 24
		.amdhsa_reserve_vcc 1
		.amdhsa_reserve_flat_scratch 0
		.amdhsa_float_round_mode_32 0
		.amdhsa_float_round_mode_16_64 0
		.amdhsa_float_denorm_mode_32 3
		.amdhsa_float_denorm_mode_16_64 3
		.amdhsa_dx10_clamp 1
		.amdhsa_ieee_mode 1
		.amdhsa_fp16_overflow 0
		.amdhsa_exception_fp_ieee_invalid_op 0
		.amdhsa_exception_fp_denorm_src 0
		.amdhsa_exception_fp_ieee_div_zero 0
		.amdhsa_exception_fp_ieee_overflow 0
		.amdhsa_exception_fp_ieee_underflow 0
		.amdhsa_exception_fp_ieee_inexact 0
		.amdhsa_exception_int_div_zero 0
	.end_amdhsa_kernel
	.section	.text._ZL41rocblas_syrkx_herkx_small_restrict_kernelIldLi16ELb1ELb0ELc84ELc85EKPKdKPdEviT_T0_PT6_S5_lS8_S5_lS6_PT7_S5_li,"axG",@progbits,_ZL41rocblas_syrkx_herkx_small_restrict_kernelIldLi16ELb1ELb0ELc84ELc85EKPKdKPdEviT_T0_PT6_S5_lS8_S5_lS6_PT7_S5_li,comdat
.Lfunc_end1504:
	.size	_ZL41rocblas_syrkx_herkx_small_restrict_kernelIldLi16ELb1ELb0ELc84ELc85EKPKdKPdEviT_T0_PT6_S5_lS8_S5_lS6_PT7_S5_li, .Lfunc_end1504-_ZL41rocblas_syrkx_herkx_small_restrict_kernelIldLi16ELb1ELb0ELc84ELc85EKPKdKPdEviT_T0_PT6_S5_lS8_S5_lS6_PT7_S5_li
                                        ; -- End function
	.set _ZL41rocblas_syrkx_herkx_small_restrict_kernelIldLi16ELb1ELb0ELc84ELc85EKPKdKPdEviT_T0_PT6_S5_lS8_S5_lS6_PT7_S5_li.num_vgpr, 28
	.set _ZL41rocblas_syrkx_herkx_small_restrict_kernelIldLi16ELb1ELb0ELc84ELc85EKPKdKPdEviT_T0_PT6_S5_lS8_S5_lS6_PT7_S5_li.num_agpr, 0
	.set _ZL41rocblas_syrkx_herkx_small_restrict_kernelIldLi16ELb1ELb0ELc84ELc85EKPKdKPdEviT_T0_PT6_S5_lS8_S5_lS6_PT7_S5_li.numbered_sgpr, 24
	.set _ZL41rocblas_syrkx_herkx_small_restrict_kernelIldLi16ELb1ELb0ELc84ELc85EKPKdKPdEviT_T0_PT6_S5_lS8_S5_lS6_PT7_S5_li.num_named_barrier, 0
	.set _ZL41rocblas_syrkx_herkx_small_restrict_kernelIldLi16ELb1ELb0ELc84ELc85EKPKdKPdEviT_T0_PT6_S5_lS8_S5_lS6_PT7_S5_li.private_seg_size, 0
	.set _ZL41rocblas_syrkx_herkx_small_restrict_kernelIldLi16ELb1ELb0ELc84ELc85EKPKdKPdEviT_T0_PT6_S5_lS8_S5_lS6_PT7_S5_li.uses_vcc, 1
	.set _ZL41rocblas_syrkx_herkx_small_restrict_kernelIldLi16ELb1ELb0ELc84ELc85EKPKdKPdEviT_T0_PT6_S5_lS8_S5_lS6_PT7_S5_li.uses_flat_scratch, 0
	.set _ZL41rocblas_syrkx_herkx_small_restrict_kernelIldLi16ELb1ELb0ELc84ELc85EKPKdKPdEviT_T0_PT6_S5_lS8_S5_lS6_PT7_S5_li.has_dyn_sized_stack, 0
	.set _ZL41rocblas_syrkx_herkx_small_restrict_kernelIldLi16ELb1ELb0ELc84ELc85EKPKdKPdEviT_T0_PT6_S5_lS8_S5_lS6_PT7_S5_li.has_recursion, 0
	.set _ZL41rocblas_syrkx_herkx_small_restrict_kernelIldLi16ELb1ELb0ELc84ELc85EKPKdKPdEviT_T0_PT6_S5_lS8_S5_lS6_PT7_S5_li.has_indirect_call, 0
	.section	.AMDGPU.csdata,"",@progbits
; Kernel info:
; codeLenInByte = 824
; TotalNumSgprs: 28
; NumVgprs: 28
; ScratchSize: 0
; MemoryBound: 0
; FloatMode: 240
; IeeeMode: 1
; LDSByteSize: 4096 bytes/workgroup (compile time only)
; SGPRBlocks: 3
; VGPRBlocks: 6
; NumSGPRsForWavesPerEU: 28
; NumVGPRsForWavesPerEU: 28
; Occupancy: 9
; WaveLimiterHint : 1
; COMPUTE_PGM_RSRC2:SCRATCH_EN: 0
; COMPUTE_PGM_RSRC2:USER_SGPR: 6
; COMPUTE_PGM_RSRC2:TRAP_HANDLER: 0
; COMPUTE_PGM_RSRC2:TGID_X_EN: 1
; COMPUTE_PGM_RSRC2:TGID_Y_EN: 1
; COMPUTE_PGM_RSRC2:TGID_Z_EN: 1
; COMPUTE_PGM_RSRC2:TIDIG_COMP_CNT: 1
	.section	.text._ZL41rocblas_syrkx_herkx_small_restrict_kernelIldLi16ELb1ELb0ELc67ELc85EKPKdKPdEviT_T0_PT6_S5_lS8_S5_lS6_PT7_S5_li,"axG",@progbits,_ZL41rocblas_syrkx_herkx_small_restrict_kernelIldLi16ELb1ELb0ELc67ELc85EKPKdKPdEviT_T0_PT6_S5_lS8_S5_lS6_PT7_S5_li,comdat
	.globl	_ZL41rocblas_syrkx_herkx_small_restrict_kernelIldLi16ELb1ELb0ELc67ELc85EKPKdKPdEviT_T0_PT6_S5_lS8_S5_lS6_PT7_S5_li ; -- Begin function _ZL41rocblas_syrkx_herkx_small_restrict_kernelIldLi16ELb1ELb0ELc67ELc85EKPKdKPdEviT_T0_PT6_S5_lS8_S5_lS6_PT7_S5_li
	.p2align	8
	.type	_ZL41rocblas_syrkx_herkx_small_restrict_kernelIldLi16ELb1ELb0ELc67ELc85EKPKdKPdEviT_T0_PT6_S5_lS8_S5_lS6_PT7_S5_li,@function
_ZL41rocblas_syrkx_herkx_small_restrict_kernelIldLi16ELb1ELb0ELc67ELc85EKPKdKPdEviT_T0_PT6_S5_lS8_S5_lS6_PT7_S5_li: ; @_ZL41rocblas_syrkx_herkx_small_restrict_kernelIldLi16ELb1ELb0ELc67ELc85EKPKdKPdEviT_T0_PT6_S5_lS8_S5_lS6_PT7_S5_li
; %bb.0:
	s_load_dwordx4 s[20:23], s[4:5], 0x50
	s_load_dwordx8 s[12:19], s[4:5], 0x8
	s_mov_b32 s9, 0
	s_lshl_b64 s[0:1], s[8:9], 3
	v_lshl_add_u32 v2, s6, 4, v0
	s_waitcnt lgkmcnt(0)
	s_add_u32 s2, s20, s0
	s_addc_u32 s3, s21, s1
	s_load_dwordx2 s[8:9], s[2:3], 0x0
	v_cmp_lt_i64_e64 s[2:3], s[12:13], 1
	v_lshl_add_u32 v10, s7, 4, v1
	s_and_b64 vcc, exec, s[2:3]
	v_ashrrev_i32_e32 v3, 31, v2
	v_ashrrev_i32_e32 v11, 31, v10
	s_cbranch_vccnz .LBB1505_6
; %bb.1:
	s_load_dwordx4 s[4:7], s[4:5], 0x30
	v_mad_u64_u32 v[4:5], s[2:3], s18, v2, 0
	v_mul_lo_u32 v6, s19, v2
	v_mul_lo_u32 v7, s18, v3
	s_waitcnt lgkmcnt(0)
	s_add_u32 s2, s4, s0
	s_addc_u32 s3, s5, s1
	s_add_u32 s0, s16, s0
	s_addc_u32 s1, s17, s1
	s_load_dwordx2 s[0:1], s[0:1], 0x0
	v_lshlrev_b32_e32 v8, 3, v1
	v_add3_u32 v5, v5, v7, v6
	v_lshlrev_b64 v[4:5], 3, v[4:5]
	s_load_dwordx2 s[2:3], s[2:3], 0x0
	s_waitcnt lgkmcnt(0)
	v_mov_b32_e32 v6, s1
	v_add_co_u32_e32 v7, vcc, s0, v8
	v_addc_co_u32_e32 v6, vcc, 0, v6, vcc
	v_add_co_u32_e32 v4, vcc, v7, v4
	v_addc_co_u32_e32 v5, vcc, v6, v5, vcc
	v_mul_lo_u32 v8, s7, v10
	v_mul_lo_u32 v9, s6, v11
	v_mad_u64_u32 v[6:7], s[0:1], s6, v10, 0
	v_lshlrev_b32_e32 v12, 3, v0
	v_mov_b32_e32 v0, s3
	v_add3_u32 v7, v7, v9, v8
	v_add_co_u32_e32 v8, vcc, s2, v12
	v_lshlrev_b32_e32 v14, 7, v1
	v_addc_co_u32_e32 v9, vcc, 0, v0, vcc
	v_lshlrev_b64 v[0:1], 3, v[6:7]
	v_add_u32_e32 v13, v12, v14
	v_add_co_u32_e32 v0, vcc, v8, v0
	v_addc_co_u32_e32 v1, vcc, v9, v1, vcc
	v_add_u32_e32 v14, 0x800, v14
	v_mov_b32_e32 v8, 0
	v_mov_b32_e32 v6, s12
	v_add_u32_e32 v15, v14, v12
	v_mov_b32_e32 v9, 0
	s_mov_b64 s[4:5], 0
	v_mov_b32_e32 v7, s13
.LBB1505_2:                             ; =>This Inner Loop Header: Depth=1
	flat_load_dwordx2 v[16:17], v[4:5]
	s_add_u32 s4, s4, 16
	s_addc_u32 s5, s5, 0
	v_cmp_lt_i64_e32 vcc, s[4:5], v[6:7]
	s_and_b64 s[0:1], exec, vcc
	s_waitcnt vmcnt(0) lgkmcnt(0)
	ds_write_b64 v13, v[16:17]
	flat_load_dwordx2 v[16:17], v[0:1]
	v_add_co_u32_e32 v0, vcc, 0x80, v0
	s_mov_b64 s[2:3], vcc
	v_add_co_u32_e32 v4, vcc, 0x80, v4
	v_addc_co_u32_e32 v5, vcc, 0, v5, vcc
	v_addc_co_u32_e64 v1, s[2:3], 0, v1, s[2:3]
	s_mov_b64 vcc, s[0:1]
	s_waitcnt vmcnt(0) lgkmcnt(0)
	ds_write_b64 v15, v[16:17]
	s_waitcnt lgkmcnt(0)
	s_barrier
	ds_read2_b64 v[16:19], v12 offset1:16
	ds_read_b128 v[20:23], v14
	ds_read_b128 v[24:27], v14 offset:16
	s_waitcnt lgkmcnt(1)
	v_fma_f64 v[8:9], v[16:17], v[20:21], v[8:9]
	v_fma_f64 v[8:9], v[18:19], v[22:23], v[8:9]
	ds_read2_b64 v[16:19], v12 offset0:32 offset1:48
	s_waitcnt lgkmcnt(0)
	v_fma_f64 v[8:9], v[16:17], v[24:25], v[8:9]
	v_fma_f64 v[8:9], v[18:19], v[26:27], v[8:9]
	ds_read2_b64 v[16:19], v12 offset0:64 offset1:80
	ds_read_b128 v[20:23], v14 offset:32
	ds_read_b128 v[24:27], v14 offset:48
	s_waitcnt lgkmcnt(1)
	v_fma_f64 v[8:9], v[16:17], v[20:21], v[8:9]
	v_fma_f64 v[8:9], v[18:19], v[22:23], v[8:9]
	ds_read2_b64 v[16:19], v12 offset0:96 offset1:112
	s_waitcnt lgkmcnt(0)
	v_fma_f64 v[8:9], v[16:17], v[24:25], v[8:9]
	v_fma_f64 v[8:9], v[18:19], v[26:27], v[8:9]
	ds_read2_b64 v[16:19], v12 offset0:128 offset1:144
	ds_read_b128 v[20:23], v14 offset:64
	;; [unrolled: 10-line block ×3, first 2 shown]
	ds_read_b128 v[24:27], v14 offset:112
	s_waitcnt lgkmcnt(1)
	v_fma_f64 v[8:9], v[16:17], v[20:21], v[8:9]
	v_fma_f64 v[8:9], v[18:19], v[22:23], v[8:9]
	ds_read2_b64 v[16:19], v12 offset0:224 offset1:240
	s_waitcnt lgkmcnt(0)
	s_barrier
	v_fma_f64 v[8:9], v[16:17], v[24:25], v[8:9]
	v_fma_f64 v[8:9], v[18:19], v[26:27], v[8:9]
	s_cbranch_vccnz .LBB1505_2
; %bb.3:
	v_cmp_le_i32_e32 vcc, v2, v10
	s_and_saveexec_b64 s[0:1], vcc
	s_cbranch_execz .LBB1505_5
.LBB1505_4:
	v_mul_lo_u32 v6, s23, v10
	v_mul_lo_u32 v7, s22, v11
	v_mad_u64_u32 v[0:1], s[0:1], s22, v10, 0
	v_mul_f64 v[4:5], s[14:15], v[8:9]
	v_add3_u32 v1, v1, v7, v6
	v_lshlrev_b64 v[0:1], 3, v[0:1]
	s_waitcnt lgkmcnt(0)
	v_mov_b32_e32 v6, s9
	v_add_co_u32_e32 v7, vcc, s8, v0
	v_addc_co_u32_e32 v6, vcc, v6, v1, vcc
	v_lshlrev_b64 v[0:1], 3, v[2:3]
	v_add_co_u32_e32 v0, vcc, v7, v0
	v_addc_co_u32_e32 v1, vcc, v6, v1, vcc
	flat_store_dwordx2 v[0:1], v[4:5]
.LBB1505_5:
	s_endpgm
.LBB1505_6:
	v_mov_b32_e32 v8, 0
	v_mov_b32_e32 v9, 0
	v_cmp_le_i32_e32 vcc, v2, v10
	s_and_saveexec_b64 s[0:1], vcc
	s_cbranch_execnz .LBB1505_4
	s_branch .LBB1505_5
	.section	.rodata,"a",@progbits
	.p2align	6, 0x0
	.amdhsa_kernel _ZL41rocblas_syrkx_herkx_small_restrict_kernelIldLi16ELb1ELb0ELc67ELc85EKPKdKPdEviT_T0_PT6_S5_lS8_S5_lS6_PT7_S5_li
		.amdhsa_group_segment_fixed_size 4096
		.amdhsa_private_segment_fixed_size 0
		.amdhsa_kernarg_size 108
		.amdhsa_user_sgpr_count 6
		.amdhsa_user_sgpr_private_segment_buffer 1
		.amdhsa_user_sgpr_dispatch_ptr 0
		.amdhsa_user_sgpr_queue_ptr 0
		.amdhsa_user_sgpr_kernarg_segment_ptr 1
		.amdhsa_user_sgpr_dispatch_id 0
		.amdhsa_user_sgpr_flat_scratch_init 0
		.amdhsa_user_sgpr_private_segment_size 0
		.amdhsa_uses_dynamic_stack 0
		.amdhsa_system_sgpr_private_segment_wavefront_offset 0
		.amdhsa_system_sgpr_workgroup_id_x 1
		.amdhsa_system_sgpr_workgroup_id_y 1
		.amdhsa_system_sgpr_workgroup_id_z 1
		.amdhsa_system_sgpr_workgroup_info 0
		.amdhsa_system_vgpr_workitem_id 1
		.amdhsa_next_free_vgpr 28
		.amdhsa_next_free_sgpr 24
		.amdhsa_reserve_vcc 1
		.amdhsa_reserve_flat_scratch 0
		.amdhsa_float_round_mode_32 0
		.amdhsa_float_round_mode_16_64 0
		.amdhsa_float_denorm_mode_32 3
		.amdhsa_float_denorm_mode_16_64 3
		.amdhsa_dx10_clamp 1
		.amdhsa_ieee_mode 1
		.amdhsa_fp16_overflow 0
		.amdhsa_exception_fp_ieee_invalid_op 0
		.amdhsa_exception_fp_denorm_src 0
		.amdhsa_exception_fp_ieee_div_zero 0
		.amdhsa_exception_fp_ieee_overflow 0
		.amdhsa_exception_fp_ieee_underflow 0
		.amdhsa_exception_fp_ieee_inexact 0
		.amdhsa_exception_int_div_zero 0
	.end_amdhsa_kernel
	.section	.text._ZL41rocblas_syrkx_herkx_small_restrict_kernelIldLi16ELb1ELb0ELc67ELc85EKPKdKPdEviT_T0_PT6_S5_lS8_S5_lS6_PT7_S5_li,"axG",@progbits,_ZL41rocblas_syrkx_herkx_small_restrict_kernelIldLi16ELb1ELb0ELc67ELc85EKPKdKPdEviT_T0_PT6_S5_lS8_S5_lS6_PT7_S5_li,comdat
.Lfunc_end1505:
	.size	_ZL41rocblas_syrkx_herkx_small_restrict_kernelIldLi16ELb1ELb0ELc67ELc85EKPKdKPdEviT_T0_PT6_S5_lS8_S5_lS6_PT7_S5_li, .Lfunc_end1505-_ZL41rocblas_syrkx_herkx_small_restrict_kernelIldLi16ELb1ELb0ELc67ELc85EKPKdKPdEviT_T0_PT6_S5_lS8_S5_lS6_PT7_S5_li
                                        ; -- End function
	.set _ZL41rocblas_syrkx_herkx_small_restrict_kernelIldLi16ELb1ELb0ELc67ELc85EKPKdKPdEviT_T0_PT6_S5_lS8_S5_lS6_PT7_S5_li.num_vgpr, 28
	.set _ZL41rocblas_syrkx_herkx_small_restrict_kernelIldLi16ELb1ELb0ELc67ELc85EKPKdKPdEviT_T0_PT6_S5_lS8_S5_lS6_PT7_S5_li.num_agpr, 0
	.set _ZL41rocblas_syrkx_herkx_small_restrict_kernelIldLi16ELb1ELb0ELc67ELc85EKPKdKPdEviT_T0_PT6_S5_lS8_S5_lS6_PT7_S5_li.numbered_sgpr, 24
	.set _ZL41rocblas_syrkx_herkx_small_restrict_kernelIldLi16ELb1ELb0ELc67ELc85EKPKdKPdEviT_T0_PT6_S5_lS8_S5_lS6_PT7_S5_li.num_named_barrier, 0
	.set _ZL41rocblas_syrkx_herkx_small_restrict_kernelIldLi16ELb1ELb0ELc67ELc85EKPKdKPdEviT_T0_PT6_S5_lS8_S5_lS6_PT7_S5_li.private_seg_size, 0
	.set _ZL41rocblas_syrkx_herkx_small_restrict_kernelIldLi16ELb1ELb0ELc67ELc85EKPKdKPdEviT_T0_PT6_S5_lS8_S5_lS6_PT7_S5_li.uses_vcc, 1
	.set _ZL41rocblas_syrkx_herkx_small_restrict_kernelIldLi16ELb1ELb0ELc67ELc85EKPKdKPdEviT_T0_PT6_S5_lS8_S5_lS6_PT7_S5_li.uses_flat_scratch, 0
	.set _ZL41rocblas_syrkx_herkx_small_restrict_kernelIldLi16ELb1ELb0ELc67ELc85EKPKdKPdEviT_T0_PT6_S5_lS8_S5_lS6_PT7_S5_li.has_dyn_sized_stack, 0
	.set _ZL41rocblas_syrkx_herkx_small_restrict_kernelIldLi16ELb1ELb0ELc67ELc85EKPKdKPdEviT_T0_PT6_S5_lS8_S5_lS6_PT7_S5_li.has_recursion, 0
	.set _ZL41rocblas_syrkx_herkx_small_restrict_kernelIldLi16ELb1ELb0ELc67ELc85EKPKdKPdEviT_T0_PT6_S5_lS8_S5_lS6_PT7_S5_li.has_indirect_call, 0
	.section	.AMDGPU.csdata,"",@progbits
; Kernel info:
; codeLenInByte = 824
; TotalNumSgprs: 28
; NumVgprs: 28
; ScratchSize: 0
; MemoryBound: 0
; FloatMode: 240
; IeeeMode: 1
; LDSByteSize: 4096 bytes/workgroup (compile time only)
; SGPRBlocks: 3
; VGPRBlocks: 6
; NumSGPRsForWavesPerEU: 28
; NumVGPRsForWavesPerEU: 28
; Occupancy: 9
; WaveLimiterHint : 1
; COMPUTE_PGM_RSRC2:SCRATCH_EN: 0
; COMPUTE_PGM_RSRC2:USER_SGPR: 6
; COMPUTE_PGM_RSRC2:TRAP_HANDLER: 0
; COMPUTE_PGM_RSRC2:TGID_X_EN: 1
; COMPUTE_PGM_RSRC2:TGID_Y_EN: 1
; COMPUTE_PGM_RSRC2:TGID_Z_EN: 1
; COMPUTE_PGM_RSRC2:TIDIG_COMP_CNT: 1
	.section	.text._ZL41rocblas_syrkx_herkx_small_restrict_kernelIldLi16ELb1ELb0ELc78ELc85EKPKdKPdEviT_T0_PT6_S5_lS8_S5_lS6_PT7_S5_li,"axG",@progbits,_ZL41rocblas_syrkx_herkx_small_restrict_kernelIldLi16ELb1ELb0ELc78ELc85EKPKdKPdEviT_T0_PT6_S5_lS8_S5_lS6_PT7_S5_li,comdat
	.globl	_ZL41rocblas_syrkx_herkx_small_restrict_kernelIldLi16ELb1ELb0ELc78ELc85EKPKdKPdEviT_T0_PT6_S5_lS8_S5_lS6_PT7_S5_li ; -- Begin function _ZL41rocblas_syrkx_herkx_small_restrict_kernelIldLi16ELb1ELb0ELc78ELc85EKPKdKPdEviT_T0_PT6_S5_lS8_S5_lS6_PT7_S5_li
	.p2align	8
	.type	_ZL41rocblas_syrkx_herkx_small_restrict_kernelIldLi16ELb1ELb0ELc78ELc85EKPKdKPdEviT_T0_PT6_S5_lS8_S5_lS6_PT7_S5_li,@function
_ZL41rocblas_syrkx_herkx_small_restrict_kernelIldLi16ELb1ELb0ELc78ELc85EKPKdKPdEviT_T0_PT6_S5_lS8_S5_lS6_PT7_S5_li: ; @_ZL41rocblas_syrkx_herkx_small_restrict_kernelIldLi16ELb1ELb0ELc78ELc85EKPKdKPdEviT_T0_PT6_S5_lS8_S5_lS6_PT7_S5_li
; %bb.0:
	s_load_dwordx4 s[0:3], s[4:5], 0x50
	s_load_dwordx8 s[12:19], s[4:5], 0x8
	s_mov_b32 s9, 0
	s_lshl_b64 s[10:11], s[8:9], 3
	v_lshl_add_u32 v2, s6, 4, v0
	s_waitcnt lgkmcnt(0)
	s_add_u32 s0, s0, s10
	s_addc_u32 s1, s1, s11
	s_load_dwordx2 s[8:9], s[0:1], 0x0
	v_cmp_lt_i64_e64 s[0:1], s[12:13], 1
	v_lshl_add_u32 v4, s7, 4, v1
	s_and_b64 vcc, exec, s[0:1]
	v_ashrrev_i32_e32 v3, 31, v2
	v_ashrrev_i32_e32 v5, 31, v4
	s_cbranch_vccnz .LBB1506_6
; %bb.1:
	s_load_dwordx4 s[4:7], s[4:5], 0x30
	v_lshlrev_b32_e32 v9, 7, v1
	v_lshlrev_b32_e32 v12, 3, v0
	v_add_u32_e32 v13, v12, v9
	v_add_u32_e32 v14, 0x800, v9
	s_waitcnt lgkmcnt(0)
	s_add_u32 s0, s4, s10
	v_mad_u64_u32 v[6:7], s[20:21], s6, v0, 0
	s_addc_u32 s1, s5, s11
	s_add_u32 s4, s16, s10
	s_addc_u32 s5, s17, s11
	s_load_dwordx2 s[10:11], s[4:5], 0x0
	v_mad_u64_u32 v[7:8], s[4:5], s7, v0, v[7:8]
	v_mad_u64_u32 v[10:11], s[4:5], s18, v1, 0
	v_lshlrev_b64 v[6:7], 3, v[6:7]
	v_lshlrev_b64 v[8:9], 3, v[4:5]
	s_load_dwordx2 s[0:1], s[0:1], 0x0
	v_add_co_u32_e32 v8, vcc, v6, v8
	v_mov_b32_e32 v0, v11
	v_addc_co_u32_e32 v9, vcc, v7, v9, vcc
	v_mad_u64_u32 v[6:7], s[4:5], s19, v1, v[0:1]
	s_waitcnt lgkmcnt(0)
	v_mov_b32_e32 v16, s1
	v_add_co_u32_e32 v0, vcc, s0, v8
	v_mov_b32_e32 v11, v6
	v_addc_co_u32_e32 v1, vcc, v16, v9, vcc
	v_lshlrev_b64 v[6:7], 3, v[10:11]
	v_lshlrev_b64 v[8:9], 3, v[2:3]
	s_lshl_b64 s[4:5], s[6:7], 7
	v_add_co_u32_e32 v6, vcc, v6, v8
	v_addc_co_u32_e32 v7, vcc, v7, v9, vcc
	v_mov_b32_e32 v8, s11
	v_add_co_u32_e32 v6, vcc, s10, v6
	v_addc_co_u32_e32 v7, vcc, v8, v7, vcc
	s_lshl_b64 s[6:7], s[18:19], 7
	v_mov_b32_e32 v10, 0
	v_mov_b32_e32 v8, s12
	v_add_u32_e32 v15, v14, v12
	v_mov_b32_e32 v11, 0
	s_mov_b64 s[10:11], 0
	v_mov_b32_e32 v16, s5
	v_mov_b32_e32 v17, s7
	;; [unrolled: 1-line block ×3, first 2 shown]
.LBB1506_2:                             ; =>This Inner Loop Header: Depth=1
	flat_load_dwordx2 v[18:19], v[6:7]
	s_add_u32 s10, s10, 16
	v_add_co_u32_e32 v6, vcc, s6, v6
	v_addc_co_u32_e32 v7, vcc, v7, v17, vcc
	s_addc_u32 s11, s11, 0
	v_cmp_lt_i64_e32 vcc, s[10:11], v[8:9]
	s_and_b64 vcc, exec, vcc
	s_waitcnt vmcnt(0) lgkmcnt(0)
	ds_write_b64 v13, v[18:19]
	flat_load_dwordx2 v[18:19], v[0:1]
	v_add_co_u32_e64 v0, s[0:1], s4, v0
	v_addc_co_u32_e64 v1, s[0:1], v1, v16, s[0:1]
	s_waitcnt vmcnt(0) lgkmcnt(0)
	ds_write_b64 v15, v[18:19]
	s_waitcnt lgkmcnt(0)
	s_barrier
	ds_read2_b64 v[18:21], v12 offset1:16
	ds_read_b128 v[22:25], v14
	ds_read_b128 v[26:29], v14 offset:16
	s_waitcnt lgkmcnt(1)
	v_fma_f64 v[10:11], v[18:19], v[22:23], v[10:11]
	v_fma_f64 v[10:11], v[20:21], v[24:25], v[10:11]
	ds_read2_b64 v[18:21], v12 offset0:32 offset1:48
	s_waitcnt lgkmcnt(0)
	v_fma_f64 v[10:11], v[18:19], v[26:27], v[10:11]
	v_fma_f64 v[10:11], v[20:21], v[28:29], v[10:11]
	ds_read2_b64 v[18:21], v12 offset0:64 offset1:80
	ds_read_b128 v[22:25], v14 offset:32
	ds_read_b128 v[26:29], v14 offset:48
	s_waitcnt lgkmcnt(1)
	v_fma_f64 v[10:11], v[18:19], v[22:23], v[10:11]
	v_fma_f64 v[10:11], v[20:21], v[24:25], v[10:11]
	ds_read2_b64 v[18:21], v12 offset0:96 offset1:112
	s_waitcnt lgkmcnt(0)
	v_fma_f64 v[10:11], v[18:19], v[26:27], v[10:11]
	v_fma_f64 v[10:11], v[20:21], v[28:29], v[10:11]
	ds_read2_b64 v[18:21], v12 offset0:128 offset1:144
	ds_read_b128 v[22:25], v14 offset:64
	;; [unrolled: 10-line block ×3, first 2 shown]
	ds_read_b128 v[26:29], v14 offset:112
	s_waitcnt lgkmcnt(1)
	v_fma_f64 v[10:11], v[18:19], v[22:23], v[10:11]
	v_fma_f64 v[10:11], v[20:21], v[24:25], v[10:11]
	ds_read2_b64 v[18:21], v12 offset0:224 offset1:240
	s_waitcnt lgkmcnt(0)
	s_barrier
	v_fma_f64 v[10:11], v[18:19], v[26:27], v[10:11]
	v_fma_f64 v[10:11], v[20:21], v[28:29], v[10:11]
	s_cbranch_vccnz .LBB1506_2
; %bb.3:
	v_cmp_le_i32_e32 vcc, v2, v4
	s_and_saveexec_b64 s[0:1], vcc
	s_cbranch_execz .LBB1506_5
.LBB1506_4:
	v_mul_lo_u32 v6, s3, v4
	v_mul_lo_u32 v7, s2, v5
	v_mad_u64_u32 v[0:1], s[0:1], s2, v4, 0
	v_mul_f64 v[4:5], s[14:15], v[10:11]
	v_add3_u32 v1, v1, v7, v6
	v_lshlrev_b64 v[0:1], 3, v[0:1]
	s_waitcnt lgkmcnt(0)
	v_mov_b32_e32 v6, s9
	v_add_co_u32_e32 v7, vcc, s8, v0
	v_addc_co_u32_e32 v6, vcc, v6, v1, vcc
	v_lshlrev_b64 v[0:1], 3, v[2:3]
	v_add_co_u32_e32 v0, vcc, v7, v0
	v_addc_co_u32_e32 v1, vcc, v6, v1, vcc
	flat_store_dwordx2 v[0:1], v[4:5]
.LBB1506_5:
	s_endpgm
.LBB1506_6:
	v_mov_b32_e32 v10, 0
	v_mov_b32_e32 v11, 0
	v_cmp_le_i32_e32 vcc, v2, v4
	s_and_saveexec_b64 s[0:1], vcc
	s_cbranch_execnz .LBB1506_4
	s_branch .LBB1506_5
	.section	.rodata,"a",@progbits
	.p2align	6, 0x0
	.amdhsa_kernel _ZL41rocblas_syrkx_herkx_small_restrict_kernelIldLi16ELb1ELb0ELc78ELc85EKPKdKPdEviT_T0_PT6_S5_lS8_S5_lS6_PT7_S5_li
		.amdhsa_group_segment_fixed_size 4096
		.amdhsa_private_segment_fixed_size 0
		.amdhsa_kernarg_size 108
		.amdhsa_user_sgpr_count 6
		.amdhsa_user_sgpr_private_segment_buffer 1
		.amdhsa_user_sgpr_dispatch_ptr 0
		.amdhsa_user_sgpr_queue_ptr 0
		.amdhsa_user_sgpr_kernarg_segment_ptr 1
		.amdhsa_user_sgpr_dispatch_id 0
		.amdhsa_user_sgpr_flat_scratch_init 0
		.amdhsa_user_sgpr_private_segment_size 0
		.amdhsa_uses_dynamic_stack 0
		.amdhsa_system_sgpr_private_segment_wavefront_offset 0
		.amdhsa_system_sgpr_workgroup_id_x 1
		.amdhsa_system_sgpr_workgroup_id_y 1
		.amdhsa_system_sgpr_workgroup_id_z 1
		.amdhsa_system_sgpr_workgroup_info 0
		.amdhsa_system_vgpr_workitem_id 1
		.amdhsa_next_free_vgpr 30
		.amdhsa_next_free_sgpr 22
		.amdhsa_reserve_vcc 1
		.amdhsa_reserve_flat_scratch 0
		.amdhsa_float_round_mode_32 0
		.amdhsa_float_round_mode_16_64 0
		.amdhsa_float_denorm_mode_32 3
		.amdhsa_float_denorm_mode_16_64 3
		.amdhsa_dx10_clamp 1
		.amdhsa_ieee_mode 1
		.amdhsa_fp16_overflow 0
		.amdhsa_exception_fp_ieee_invalid_op 0
		.amdhsa_exception_fp_denorm_src 0
		.amdhsa_exception_fp_ieee_div_zero 0
		.amdhsa_exception_fp_ieee_overflow 0
		.amdhsa_exception_fp_ieee_underflow 0
		.amdhsa_exception_fp_ieee_inexact 0
		.amdhsa_exception_int_div_zero 0
	.end_amdhsa_kernel
	.section	.text._ZL41rocblas_syrkx_herkx_small_restrict_kernelIldLi16ELb1ELb0ELc78ELc85EKPKdKPdEviT_T0_PT6_S5_lS8_S5_lS6_PT7_S5_li,"axG",@progbits,_ZL41rocblas_syrkx_herkx_small_restrict_kernelIldLi16ELb1ELb0ELc78ELc85EKPKdKPdEviT_T0_PT6_S5_lS8_S5_lS6_PT7_S5_li,comdat
.Lfunc_end1506:
	.size	_ZL41rocblas_syrkx_herkx_small_restrict_kernelIldLi16ELb1ELb0ELc78ELc85EKPKdKPdEviT_T0_PT6_S5_lS8_S5_lS6_PT7_S5_li, .Lfunc_end1506-_ZL41rocblas_syrkx_herkx_small_restrict_kernelIldLi16ELb1ELb0ELc78ELc85EKPKdKPdEviT_T0_PT6_S5_lS8_S5_lS6_PT7_S5_li
                                        ; -- End function
	.set _ZL41rocblas_syrkx_herkx_small_restrict_kernelIldLi16ELb1ELb0ELc78ELc85EKPKdKPdEviT_T0_PT6_S5_lS8_S5_lS6_PT7_S5_li.num_vgpr, 30
	.set _ZL41rocblas_syrkx_herkx_small_restrict_kernelIldLi16ELb1ELb0ELc78ELc85EKPKdKPdEviT_T0_PT6_S5_lS8_S5_lS6_PT7_S5_li.num_agpr, 0
	.set _ZL41rocblas_syrkx_herkx_small_restrict_kernelIldLi16ELb1ELb0ELc78ELc85EKPKdKPdEviT_T0_PT6_S5_lS8_S5_lS6_PT7_S5_li.numbered_sgpr, 22
	.set _ZL41rocblas_syrkx_herkx_small_restrict_kernelIldLi16ELb1ELb0ELc78ELc85EKPKdKPdEviT_T0_PT6_S5_lS8_S5_lS6_PT7_S5_li.num_named_barrier, 0
	.set _ZL41rocblas_syrkx_herkx_small_restrict_kernelIldLi16ELb1ELb0ELc78ELc85EKPKdKPdEviT_T0_PT6_S5_lS8_S5_lS6_PT7_S5_li.private_seg_size, 0
	.set _ZL41rocblas_syrkx_herkx_small_restrict_kernelIldLi16ELb1ELb0ELc78ELc85EKPKdKPdEviT_T0_PT6_S5_lS8_S5_lS6_PT7_S5_li.uses_vcc, 1
	.set _ZL41rocblas_syrkx_herkx_small_restrict_kernelIldLi16ELb1ELb0ELc78ELc85EKPKdKPdEviT_T0_PT6_S5_lS8_S5_lS6_PT7_S5_li.uses_flat_scratch, 0
	.set _ZL41rocblas_syrkx_herkx_small_restrict_kernelIldLi16ELb1ELb0ELc78ELc85EKPKdKPdEviT_T0_PT6_S5_lS8_S5_lS6_PT7_S5_li.has_dyn_sized_stack, 0
	.set _ZL41rocblas_syrkx_herkx_small_restrict_kernelIldLi16ELb1ELb0ELc78ELc85EKPKdKPdEviT_T0_PT6_S5_lS8_S5_lS6_PT7_S5_li.has_recursion, 0
	.set _ZL41rocblas_syrkx_herkx_small_restrict_kernelIldLi16ELb1ELb0ELc78ELc85EKPKdKPdEviT_T0_PT6_S5_lS8_S5_lS6_PT7_S5_li.has_indirect_call, 0
	.section	.AMDGPU.csdata,"",@progbits
; Kernel info:
; codeLenInByte = 816
; TotalNumSgprs: 26
; NumVgprs: 30
; ScratchSize: 0
; MemoryBound: 0
; FloatMode: 240
; IeeeMode: 1
; LDSByteSize: 4096 bytes/workgroup (compile time only)
; SGPRBlocks: 3
; VGPRBlocks: 7
; NumSGPRsForWavesPerEU: 26
; NumVGPRsForWavesPerEU: 30
; Occupancy: 8
; WaveLimiterHint : 1
; COMPUTE_PGM_RSRC2:SCRATCH_EN: 0
; COMPUTE_PGM_RSRC2:USER_SGPR: 6
; COMPUTE_PGM_RSRC2:TRAP_HANDLER: 0
; COMPUTE_PGM_RSRC2:TGID_X_EN: 1
; COMPUTE_PGM_RSRC2:TGID_Y_EN: 1
; COMPUTE_PGM_RSRC2:TGID_Z_EN: 1
; COMPUTE_PGM_RSRC2:TIDIG_COMP_CNT: 1
	.section	.text._ZL41rocblas_syrkx_herkx_small_restrict_kernelIldLi16ELb0ELb0ELc84ELc76EKPKdKPdEviT_T0_PT6_S5_lS8_S5_lS6_PT7_S5_li,"axG",@progbits,_ZL41rocblas_syrkx_herkx_small_restrict_kernelIldLi16ELb0ELb0ELc84ELc76EKPKdKPdEviT_T0_PT6_S5_lS8_S5_lS6_PT7_S5_li,comdat
	.globl	_ZL41rocblas_syrkx_herkx_small_restrict_kernelIldLi16ELb0ELb0ELc84ELc76EKPKdKPdEviT_T0_PT6_S5_lS8_S5_lS6_PT7_S5_li ; -- Begin function _ZL41rocblas_syrkx_herkx_small_restrict_kernelIldLi16ELb0ELb0ELc84ELc76EKPKdKPdEviT_T0_PT6_S5_lS8_S5_lS6_PT7_S5_li
	.p2align	8
	.type	_ZL41rocblas_syrkx_herkx_small_restrict_kernelIldLi16ELb0ELb0ELc84ELc76EKPKdKPdEviT_T0_PT6_S5_lS8_S5_lS6_PT7_S5_li,@function
_ZL41rocblas_syrkx_herkx_small_restrict_kernelIldLi16ELb0ELb0ELc84ELc76EKPKdKPdEviT_T0_PT6_S5_lS8_S5_lS6_PT7_S5_li: ; @_ZL41rocblas_syrkx_herkx_small_restrict_kernelIldLi16ELb0ELb0ELc84ELc76EKPKdKPdEviT_T0_PT6_S5_lS8_S5_lS6_PT7_S5_li
; %bb.0:
	s_load_dwordx4 s[20:23], s[4:5], 0x48
	s_load_dwordx2 s[10:11], s[4:5], 0x58
	s_load_dwordx8 s[12:19], s[4:5], 0x8
	s_mov_b32 s9, 0
	s_lshl_b64 s[0:1], s[8:9], 3
	s_waitcnt lgkmcnt(0)
	s_add_u32 s2, s22, s0
	s_addc_u32 s3, s23, s1
	s_load_dwordx2 s[8:9], s[2:3], 0x0
	v_cmp_lt_i64_e64 s[2:3], s[12:13], 1
	v_lshl_add_u32 v2, s6, 4, v0
	v_lshl_add_u32 v10, s7, 4, v1
	s_and_b64 vcc, exec, s[2:3]
	v_ashrrev_i32_e32 v3, 31, v2
	v_ashrrev_i32_e32 v11, 31, v10
	s_cbranch_vccnz .LBB1507_6
; %bb.1:
	s_load_dwordx4 s[4:7], s[4:5], 0x30
	v_mad_u64_u32 v[4:5], s[2:3], s18, v2, 0
	v_mul_lo_u32 v6, s19, v2
	v_mul_lo_u32 v7, s18, v3
	s_waitcnt lgkmcnt(0)
	s_add_u32 s2, s4, s0
	s_addc_u32 s3, s5, s1
	s_add_u32 s0, s16, s0
	s_addc_u32 s1, s17, s1
	s_load_dwordx2 s[0:1], s[0:1], 0x0
	v_lshlrev_b32_e32 v8, 3, v1
	v_add3_u32 v5, v5, v7, v6
	v_lshlrev_b64 v[4:5], 3, v[4:5]
	s_load_dwordx2 s[2:3], s[2:3], 0x0
	s_waitcnt lgkmcnt(0)
	v_mov_b32_e32 v6, s1
	v_add_co_u32_e32 v7, vcc, s0, v8
	v_addc_co_u32_e32 v6, vcc, 0, v6, vcc
	v_add_co_u32_e32 v4, vcc, v7, v4
	v_addc_co_u32_e32 v5, vcc, v6, v5, vcc
	v_mul_lo_u32 v8, s7, v10
	v_mul_lo_u32 v9, s6, v11
	v_mad_u64_u32 v[6:7], s[0:1], s6, v10, 0
	v_lshlrev_b32_e32 v12, 3, v0
	v_mov_b32_e32 v0, s3
	v_add3_u32 v7, v7, v9, v8
	v_add_co_u32_e32 v8, vcc, s2, v12
	v_lshlrev_b32_e32 v14, 7, v1
	v_addc_co_u32_e32 v9, vcc, 0, v0, vcc
	v_lshlrev_b64 v[0:1], 3, v[6:7]
	v_add_u32_e32 v13, v12, v14
	v_add_co_u32_e32 v0, vcc, v8, v0
	v_addc_co_u32_e32 v1, vcc, v9, v1, vcc
	v_add_u32_e32 v14, 0x800, v14
	v_mov_b32_e32 v8, 0
	v_mov_b32_e32 v6, s12
	v_add_u32_e32 v15, v14, v12
	v_mov_b32_e32 v9, 0
	s_mov_b64 s[4:5], 0
	v_mov_b32_e32 v7, s13
.LBB1507_2:                             ; =>This Inner Loop Header: Depth=1
	flat_load_dwordx2 v[16:17], v[4:5]
	s_add_u32 s4, s4, 16
	s_addc_u32 s5, s5, 0
	v_cmp_lt_i64_e32 vcc, s[4:5], v[6:7]
	s_and_b64 s[0:1], exec, vcc
	s_waitcnt vmcnt(0) lgkmcnt(0)
	ds_write_b64 v13, v[16:17]
	flat_load_dwordx2 v[16:17], v[0:1]
	v_add_co_u32_e32 v0, vcc, 0x80, v0
	s_mov_b64 s[2:3], vcc
	v_add_co_u32_e32 v4, vcc, 0x80, v4
	v_addc_co_u32_e32 v5, vcc, 0, v5, vcc
	v_addc_co_u32_e64 v1, s[2:3], 0, v1, s[2:3]
	s_mov_b64 vcc, s[0:1]
	s_waitcnt vmcnt(0) lgkmcnt(0)
	ds_write_b64 v15, v[16:17]
	s_waitcnt lgkmcnt(0)
	s_barrier
	ds_read2_b64 v[16:19], v12 offset1:16
	ds_read_b128 v[20:23], v14
	ds_read_b128 v[24:27], v14 offset:16
	s_waitcnt lgkmcnt(1)
	v_fma_f64 v[8:9], v[16:17], v[20:21], v[8:9]
	v_fma_f64 v[8:9], v[18:19], v[22:23], v[8:9]
	ds_read2_b64 v[16:19], v12 offset0:32 offset1:48
	s_waitcnt lgkmcnt(0)
	v_fma_f64 v[8:9], v[16:17], v[24:25], v[8:9]
	v_fma_f64 v[8:9], v[18:19], v[26:27], v[8:9]
	ds_read2_b64 v[16:19], v12 offset0:64 offset1:80
	ds_read_b128 v[20:23], v14 offset:32
	ds_read_b128 v[24:27], v14 offset:48
	s_waitcnt lgkmcnt(1)
	v_fma_f64 v[8:9], v[16:17], v[20:21], v[8:9]
	v_fma_f64 v[8:9], v[18:19], v[22:23], v[8:9]
	ds_read2_b64 v[16:19], v12 offset0:96 offset1:112
	s_waitcnt lgkmcnt(0)
	v_fma_f64 v[8:9], v[16:17], v[24:25], v[8:9]
	v_fma_f64 v[8:9], v[18:19], v[26:27], v[8:9]
	ds_read2_b64 v[16:19], v12 offset0:128 offset1:144
	ds_read_b128 v[20:23], v14 offset:64
	;; [unrolled: 10-line block ×3, first 2 shown]
	ds_read_b128 v[24:27], v14 offset:112
	s_waitcnt lgkmcnt(1)
	v_fma_f64 v[8:9], v[16:17], v[20:21], v[8:9]
	v_fma_f64 v[8:9], v[18:19], v[22:23], v[8:9]
	ds_read2_b64 v[16:19], v12 offset0:224 offset1:240
	s_waitcnt lgkmcnt(0)
	s_barrier
	v_fma_f64 v[8:9], v[16:17], v[24:25], v[8:9]
	v_fma_f64 v[8:9], v[18:19], v[26:27], v[8:9]
	s_cbranch_vccnz .LBB1507_2
; %bb.3:
	v_cmp_le_i32_e32 vcc, v10, v2
	s_and_saveexec_b64 s[0:1], vcc
	s_cbranch_execz .LBB1507_5
.LBB1507_4:
	v_mul_lo_u32 v4, s11, v10
	v_mul_lo_u32 v5, s10, v11
	v_mad_u64_u32 v[0:1], s[0:1], s10, v10, 0
	v_add3_u32 v1, v1, v5, v4
	v_lshlrev_b64 v[0:1], 3, v[0:1]
	s_waitcnt lgkmcnt(0)
	v_mov_b32_e32 v4, s9
	v_add_co_u32_e32 v5, vcc, s8, v0
	v_addc_co_u32_e32 v4, vcc, v4, v1, vcc
	v_lshlrev_b64 v[0:1], 3, v[2:3]
	v_add_co_u32_e32 v0, vcc, v5, v0
	v_addc_co_u32_e32 v1, vcc, v4, v1, vcc
	flat_load_dwordx2 v[2:3], v[0:1]
	s_waitcnt vmcnt(0) lgkmcnt(0)
	v_mul_f64 v[2:3], s[20:21], v[2:3]
	v_fma_f64 v[2:3], s[14:15], v[8:9], v[2:3]
	flat_store_dwordx2 v[0:1], v[2:3]
.LBB1507_5:
	s_endpgm
.LBB1507_6:
	v_mov_b32_e32 v8, 0
	v_mov_b32_e32 v9, 0
	v_cmp_le_i32_e32 vcc, v10, v2
	s_and_saveexec_b64 s[0:1], vcc
	s_cbranch_execnz .LBB1507_4
	s_branch .LBB1507_5
	.section	.rodata,"a",@progbits
	.p2align	6, 0x0
	.amdhsa_kernel _ZL41rocblas_syrkx_herkx_small_restrict_kernelIldLi16ELb0ELb0ELc84ELc76EKPKdKPdEviT_T0_PT6_S5_lS8_S5_lS6_PT7_S5_li
		.amdhsa_group_segment_fixed_size 4096
		.amdhsa_private_segment_fixed_size 0
		.amdhsa_kernarg_size 108
		.amdhsa_user_sgpr_count 6
		.amdhsa_user_sgpr_private_segment_buffer 1
		.amdhsa_user_sgpr_dispatch_ptr 0
		.amdhsa_user_sgpr_queue_ptr 0
		.amdhsa_user_sgpr_kernarg_segment_ptr 1
		.amdhsa_user_sgpr_dispatch_id 0
		.amdhsa_user_sgpr_flat_scratch_init 0
		.amdhsa_user_sgpr_private_segment_size 0
		.amdhsa_uses_dynamic_stack 0
		.amdhsa_system_sgpr_private_segment_wavefront_offset 0
		.amdhsa_system_sgpr_workgroup_id_x 1
		.amdhsa_system_sgpr_workgroup_id_y 1
		.amdhsa_system_sgpr_workgroup_id_z 1
		.amdhsa_system_sgpr_workgroup_info 0
		.amdhsa_system_vgpr_workitem_id 1
		.amdhsa_next_free_vgpr 28
		.amdhsa_next_free_sgpr 24
		.amdhsa_reserve_vcc 1
		.amdhsa_reserve_flat_scratch 0
		.amdhsa_float_round_mode_32 0
		.amdhsa_float_round_mode_16_64 0
		.amdhsa_float_denorm_mode_32 3
		.amdhsa_float_denorm_mode_16_64 3
		.amdhsa_dx10_clamp 1
		.amdhsa_ieee_mode 1
		.amdhsa_fp16_overflow 0
		.amdhsa_exception_fp_ieee_invalid_op 0
		.amdhsa_exception_fp_denorm_src 0
		.amdhsa_exception_fp_ieee_div_zero 0
		.amdhsa_exception_fp_ieee_overflow 0
		.amdhsa_exception_fp_ieee_underflow 0
		.amdhsa_exception_fp_ieee_inexact 0
		.amdhsa_exception_int_div_zero 0
	.end_amdhsa_kernel
	.section	.text._ZL41rocblas_syrkx_herkx_small_restrict_kernelIldLi16ELb0ELb0ELc84ELc76EKPKdKPdEviT_T0_PT6_S5_lS8_S5_lS6_PT7_S5_li,"axG",@progbits,_ZL41rocblas_syrkx_herkx_small_restrict_kernelIldLi16ELb0ELb0ELc84ELc76EKPKdKPdEviT_T0_PT6_S5_lS8_S5_lS6_PT7_S5_li,comdat
.Lfunc_end1507:
	.size	_ZL41rocblas_syrkx_herkx_small_restrict_kernelIldLi16ELb0ELb0ELc84ELc76EKPKdKPdEviT_T0_PT6_S5_lS8_S5_lS6_PT7_S5_li, .Lfunc_end1507-_ZL41rocblas_syrkx_herkx_small_restrict_kernelIldLi16ELb0ELb0ELc84ELc76EKPKdKPdEviT_T0_PT6_S5_lS8_S5_lS6_PT7_S5_li
                                        ; -- End function
	.set _ZL41rocblas_syrkx_herkx_small_restrict_kernelIldLi16ELb0ELb0ELc84ELc76EKPKdKPdEviT_T0_PT6_S5_lS8_S5_lS6_PT7_S5_li.num_vgpr, 28
	.set _ZL41rocblas_syrkx_herkx_small_restrict_kernelIldLi16ELb0ELb0ELc84ELc76EKPKdKPdEviT_T0_PT6_S5_lS8_S5_lS6_PT7_S5_li.num_agpr, 0
	.set _ZL41rocblas_syrkx_herkx_small_restrict_kernelIldLi16ELb0ELb0ELc84ELc76EKPKdKPdEviT_T0_PT6_S5_lS8_S5_lS6_PT7_S5_li.numbered_sgpr, 24
	.set _ZL41rocblas_syrkx_herkx_small_restrict_kernelIldLi16ELb0ELb0ELc84ELc76EKPKdKPdEviT_T0_PT6_S5_lS8_S5_lS6_PT7_S5_li.num_named_barrier, 0
	.set _ZL41rocblas_syrkx_herkx_small_restrict_kernelIldLi16ELb0ELb0ELc84ELc76EKPKdKPdEviT_T0_PT6_S5_lS8_S5_lS6_PT7_S5_li.private_seg_size, 0
	.set _ZL41rocblas_syrkx_herkx_small_restrict_kernelIldLi16ELb0ELb0ELc84ELc76EKPKdKPdEviT_T0_PT6_S5_lS8_S5_lS6_PT7_S5_li.uses_vcc, 1
	.set _ZL41rocblas_syrkx_herkx_small_restrict_kernelIldLi16ELb0ELb0ELc84ELc76EKPKdKPdEviT_T0_PT6_S5_lS8_S5_lS6_PT7_S5_li.uses_flat_scratch, 0
	.set _ZL41rocblas_syrkx_herkx_small_restrict_kernelIldLi16ELb0ELb0ELc84ELc76EKPKdKPdEviT_T0_PT6_S5_lS8_S5_lS6_PT7_S5_li.has_dyn_sized_stack, 0
	.set _ZL41rocblas_syrkx_herkx_small_restrict_kernelIldLi16ELb0ELb0ELc84ELc76EKPKdKPdEviT_T0_PT6_S5_lS8_S5_lS6_PT7_S5_li.has_recursion, 0
	.set _ZL41rocblas_syrkx_herkx_small_restrict_kernelIldLi16ELb0ELb0ELc84ELc76EKPKdKPdEviT_T0_PT6_S5_lS8_S5_lS6_PT7_S5_li.has_indirect_call, 0
	.section	.AMDGPU.csdata,"",@progbits
; Kernel info:
; codeLenInByte = 852
; TotalNumSgprs: 28
; NumVgprs: 28
; ScratchSize: 0
; MemoryBound: 0
; FloatMode: 240
; IeeeMode: 1
; LDSByteSize: 4096 bytes/workgroup (compile time only)
; SGPRBlocks: 3
; VGPRBlocks: 6
; NumSGPRsForWavesPerEU: 28
; NumVGPRsForWavesPerEU: 28
; Occupancy: 9
; WaveLimiterHint : 1
; COMPUTE_PGM_RSRC2:SCRATCH_EN: 0
; COMPUTE_PGM_RSRC2:USER_SGPR: 6
; COMPUTE_PGM_RSRC2:TRAP_HANDLER: 0
; COMPUTE_PGM_RSRC2:TGID_X_EN: 1
; COMPUTE_PGM_RSRC2:TGID_Y_EN: 1
; COMPUTE_PGM_RSRC2:TGID_Z_EN: 1
; COMPUTE_PGM_RSRC2:TIDIG_COMP_CNT: 1
	.section	.text._ZL41rocblas_syrkx_herkx_small_restrict_kernelIldLi16ELb0ELb0ELc67ELc76EKPKdKPdEviT_T0_PT6_S5_lS8_S5_lS6_PT7_S5_li,"axG",@progbits,_ZL41rocblas_syrkx_herkx_small_restrict_kernelIldLi16ELb0ELb0ELc67ELc76EKPKdKPdEviT_T0_PT6_S5_lS8_S5_lS6_PT7_S5_li,comdat
	.globl	_ZL41rocblas_syrkx_herkx_small_restrict_kernelIldLi16ELb0ELb0ELc67ELc76EKPKdKPdEviT_T0_PT6_S5_lS8_S5_lS6_PT7_S5_li ; -- Begin function _ZL41rocblas_syrkx_herkx_small_restrict_kernelIldLi16ELb0ELb0ELc67ELc76EKPKdKPdEviT_T0_PT6_S5_lS8_S5_lS6_PT7_S5_li
	.p2align	8
	.type	_ZL41rocblas_syrkx_herkx_small_restrict_kernelIldLi16ELb0ELb0ELc67ELc76EKPKdKPdEviT_T0_PT6_S5_lS8_S5_lS6_PT7_S5_li,@function
_ZL41rocblas_syrkx_herkx_small_restrict_kernelIldLi16ELb0ELb0ELc67ELc76EKPKdKPdEviT_T0_PT6_S5_lS8_S5_lS6_PT7_S5_li: ; @_ZL41rocblas_syrkx_herkx_small_restrict_kernelIldLi16ELb0ELb0ELc67ELc76EKPKdKPdEviT_T0_PT6_S5_lS8_S5_lS6_PT7_S5_li
; %bb.0:
	s_load_dwordx4 s[20:23], s[4:5], 0x48
	s_load_dwordx2 s[10:11], s[4:5], 0x58
	s_load_dwordx8 s[12:19], s[4:5], 0x8
	s_mov_b32 s9, 0
	s_lshl_b64 s[0:1], s[8:9], 3
	s_waitcnt lgkmcnt(0)
	s_add_u32 s2, s22, s0
	s_addc_u32 s3, s23, s1
	s_load_dwordx2 s[8:9], s[2:3], 0x0
	v_cmp_lt_i64_e64 s[2:3], s[12:13], 1
	v_lshl_add_u32 v2, s6, 4, v0
	v_lshl_add_u32 v10, s7, 4, v1
	s_and_b64 vcc, exec, s[2:3]
	v_ashrrev_i32_e32 v3, 31, v2
	v_ashrrev_i32_e32 v11, 31, v10
	s_cbranch_vccnz .LBB1508_6
; %bb.1:
	s_load_dwordx4 s[4:7], s[4:5], 0x30
	v_mad_u64_u32 v[4:5], s[2:3], s18, v2, 0
	v_mul_lo_u32 v6, s19, v2
	v_mul_lo_u32 v7, s18, v3
	s_waitcnt lgkmcnt(0)
	s_add_u32 s2, s4, s0
	s_addc_u32 s3, s5, s1
	s_add_u32 s0, s16, s0
	s_addc_u32 s1, s17, s1
	s_load_dwordx2 s[0:1], s[0:1], 0x0
	v_lshlrev_b32_e32 v8, 3, v1
	v_add3_u32 v5, v5, v7, v6
	v_lshlrev_b64 v[4:5], 3, v[4:5]
	s_load_dwordx2 s[2:3], s[2:3], 0x0
	s_waitcnt lgkmcnt(0)
	v_mov_b32_e32 v6, s1
	v_add_co_u32_e32 v7, vcc, s0, v8
	v_addc_co_u32_e32 v6, vcc, 0, v6, vcc
	v_add_co_u32_e32 v4, vcc, v7, v4
	v_addc_co_u32_e32 v5, vcc, v6, v5, vcc
	v_mul_lo_u32 v8, s7, v10
	v_mul_lo_u32 v9, s6, v11
	v_mad_u64_u32 v[6:7], s[0:1], s6, v10, 0
	v_lshlrev_b32_e32 v12, 3, v0
	v_mov_b32_e32 v0, s3
	v_add3_u32 v7, v7, v9, v8
	v_add_co_u32_e32 v8, vcc, s2, v12
	v_lshlrev_b32_e32 v14, 7, v1
	v_addc_co_u32_e32 v9, vcc, 0, v0, vcc
	v_lshlrev_b64 v[0:1], 3, v[6:7]
	v_add_u32_e32 v13, v12, v14
	v_add_co_u32_e32 v0, vcc, v8, v0
	v_addc_co_u32_e32 v1, vcc, v9, v1, vcc
	v_add_u32_e32 v14, 0x800, v14
	v_mov_b32_e32 v8, 0
	v_mov_b32_e32 v6, s12
	v_add_u32_e32 v15, v14, v12
	v_mov_b32_e32 v9, 0
	s_mov_b64 s[4:5], 0
	v_mov_b32_e32 v7, s13
.LBB1508_2:                             ; =>This Inner Loop Header: Depth=1
	flat_load_dwordx2 v[16:17], v[4:5]
	s_add_u32 s4, s4, 16
	s_addc_u32 s5, s5, 0
	v_cmp_lt_i64_e32 vcc, s[4:5], v[6:7]
	s_and_b64 s[0:1], exec, vcc
	s_waitcnt vmcnt(0) lgkmcnt(0)
	ds_write_b64 v13, v[16:17]
	flat_load_dwordx2 v[16:17], v[0:1]
	v_add_co_u32_e32 v0, vcc, 0x80, v0
	s_mov_b64 s[2:3], vcc
	v_add_co_u32_e32 v4, vcc, 0x80, v4
	v_addc_co_u32_e32 v5, vcc, 0, v5, vcc
	v_addc_co_u32_e64 v1, s[2:3], 0, v1, s[2:3]
	s_mov_b64 vcc, s[0:1]
	s_waitcnt vmcnt(0) lgkmcnt(0)
	ds_write_b64 v15, v[16:17]
	s_waitcnt lgkmcnt(0)
	s_barrier
	ds_read2_b64 v[16:19], v12 offset1:16
	ds_read_b128 v[20:23], v14
	ds_read_b128 v[24:27], v14 offset:16
	s_waitcnt lgkmcnt(1)
	v_fma_f64 v[8:9], v[16:17], v[20:21], v[8:9]
	v_fma_f64 v[8:9], v[18:19], v[22:23], v[8:9]
	ds_read2_b64 v[16:19], v12 offset0:32 offset1:48
	s_waitcnt lgkmcnt(0)
	v_fma_f64 v[8:9], v[16:17], v[24:25], v[8:9]
	v_fma_f64 v[8:9], v[18:19], v[26:27], v[8:9]
	ds_read2_b64 v[16:19], v12 offset0:64 offset1:80
	ds_read_b128 v[20:23], v14 offset:32
	ds_read_b128 v[24:27], v14 offset:48
	s_waitcnt lgkmcnt(1)
	v_fma_f64 v[8:9], v[16:17], v[20:21], v[8:9]
	v_fma_f64 v[8:9], v[18:19], v[22:23], v[8:9]
	ds_read2_b64 v[16:19], v12 offset0:96 offset1:112
	s_waitcnt lgkmcnt(0)
	v_fma_f64 v[8:9], v[16:17], v[24:25], v[8:9]
	v_fma_f64 v[8:9], v[18:19], v[26:27], v[8:9]
	ds_read2_b64 v[16:19], v12 offset0:128 offset1:144
	ds_read_b128 v[20:23], v14 offset:64
	;; [unrolled: 10-line block ×3, first 2 shown]
	ds_read_b128 v[24:27], v14 offset:112
	s_waitcnt lgkmcnt(1)
	v_fma_f64 v[8:9], v[16:17], v[20:21], v[8:9]
	v_fma_f64 v[8:9], v[18:19], v[22:23], v[8:9]
	ds_read2_b64 v[16:19], v12 offset0:224 offset1:240
	s_waitcnt lgkmcnt(0)
	s_barrier
	v_fma_f64 v[8:9], v[16:17], v[24:25], v[8:9]
	v_fma_f64 v[8:9], v[18:19], v[26:27], v[8:9]
	s_cbranch_vccnz .LBB1508_2
; %bb.3:
	v_cmp_le_i32_e32 vcc, v10, v2
	s_and_saveexec_b64 s[0:1], vcc
	s_cbranch_execz .LBB1508_5
.LBB1508_4:
	v_mul_lo_u32 v4, s11, v10
	v_mul_lo_u32 v5, s10, v11
	v_mad_u64_u32 v[0:1], s[0:1], s10, v10, 0
	v_add3_u32 v1, v1, v5, v4
	v_lshlrev_b64 v[0:1], 3, v[0:1]
	s_waitcnt lgkmcnt(0)
	v_mov_b32_e32 v4, s9
	v_add_co_u32_e32 v5, vcc, s8, v0
	v_addc_co_u32_e32 v4, vcc, v4, v1, vcc
	v_lshlrev_b64 v[0:1], 3, v[2:3]
	v_add_co_u32_e32 v0, vcc, v5, v0
	v_addc_co_u32_e32 v1, vcc, v4, v1, vcc
	flat_load_dwordx2 v[2:3], v[0:1]
	s_waitcnt vmcnt(0) lgkmcnt(0)
	v_mul_f64 v[2:3], s[20:21], v[2:3]
	v_fma_f64 v[2:3], s[14:15], v[8:9], v[2:3]
	flat_store_dwordx2 v[0:1], v[2:3]
.LBB1508_5:
	s_endpgm
.LBB1508_6:
	v_mov_b32_e32 v8, 0
	v_mov_b32_e32 v9, 0
	v_cmp_le_i32_e32 vcc, v10, v2
	s_and_saveexec_b64 s[0:1], vcc
	s_cbranch_execnz .LBB1508_4
	s_branch .LBB1508_5
	.section	.rodata,"a",@progbits
	.p2align	6, 0x0
	.amdhsa_kernel _ZL41rocblas_syrkx_herkx_small_restrict_kernelIldLi16ELb0ELb0ELc67ELc76EKPKdKPdEviT_T0_PT6_S5_lS8_S5_lS6_PT7_S5_li
		.amdhsa_group_segment_fixed_size 4096
		.amdhsa_private_segment_fixed_size 0
		.amdhsa_kernarg_size 108
		.amdhsa_user_sgpr_count 6
		.amdhsa_user_sgpr_private_segment_buffer 1
		.amdhsa_user_sgpr_dispatch_ptr 0
		.amdhsa_user_sgpr_queue_ptr 0
		.amdhsa_user_sgpr_kernarg_segment_ptr 1
		.amdhsa_user_sgpr_dispatch_id 0
		.amdhsa_user_sgpr_flat_scratch_init 0
		.amdhsa_user_sgpr_private_segment_size 0
		.amdhsa_uses_dynamic_stack 0
		.amdhsa_system_sgpr_private_segment_wavefront_offset 0
		.amdhsa_system_sgpr_workgroup_id_x 1
		.amdhsa_system_sgpr_workgroup_id_y 1
		.amdhsa_system_sgpr_workgroup_id_z 1
		.amdhsa_system_sgpr_workgroup_info 0
		.amdhsa_system_vgpr_workitem_id 1
		.amdhsa_next_free_vgpr 28
		.amdhsa_next_free_sgpr 24
		.amdhsa_reserve_vcc 1
		.amdhsa_reserve_flat_scratch 0
		.amdhsa_float_round_mode_32 0
		.amdhsa_float_round_mode_16_64 0
		.amdhsa_float_denorm_mode_32 3
		.amdhsa_float_denorm_mode_16_64 3
		.amdhsa_dx10_clamp 1
		.amdhsa_ieee_mode 1
		.amdhsa_fp16_overflow 0
		.amdhsa_exception_fp_ieee_invalid_op 0
		.amdhsa_exception_fp_denorm_src 0
		.amdhsa_exception_fp_ieee_div_zero 0
		.amdhsa_exception_fp_ieee_overflow 0
		.amdhsa_exception_fp_ieee_underflow 0
		.amdhsa_exception_fp_ieee_inexact 0
		.amdhsa_exception_int_div_zero 0
	.end_amdhsa_kernel
	.section	.text._ZL41rocblas_syrkx_herkx_small_restrict_kernelIldLi16ELb0ELb0ELc67ELc76EKPKdKPdEviT_T0_PT6_S5_lS8_S5_lS6_PT7_S5_li,"axG",@progbits,_ZL41rocblas_syrkx_herkx_small_restrict_kernelIldLi16ELb0ELb0ELc67ELc76EKPKdKPdEviT_T0_PT6_S5_lS8_S5_lS6_PT7_S5_li,comdat
.Lfunc_end1508:
	.size	_ZL41rocblas_syrkx_herkx_small_restrict_kernelIldLi16ELb0ELb0ELc67ELc76EKPKdKPdEviT_T0_PT6_S5_lS8_S5_lS6_PT7_S5_li, .Lfunc_end1508-_ZL41rocblas_syrkx_herkx_small_restrict_kernelIldLi16ELb0ELb0ELc67ELc76EKPKdKPdEviT_T0_PT6_S5_lS8_S5_lS6_PT7_S5_li
                                        ; -- End function
	.set _ZL41rocblas_syrkx_herkx_small_restrict_kernelIldLi16ELb0ELb0ELc67ELc76EKPKdKPdEviT_T0_PT6_S5_lS8_S5_lS6_PT7_S5_li.num_vgpr, 28
	.set _ZL41rocblas_syrkx_herkx_small_restrict_kernelIldLi16ELb0ELb0ELc67ELc76EKPKdKPdEviT_T0_PT6_S5_lS8_S5_lS6_PT7_S5_li.num_agpr, 0
	.set _ZL41rocblas_syrkx_herkx_small_restrict_kernelIldLi16ELb0ELb0ELc67ELc76EKPKdKPdEviT_T0_PT6_S5_lS8_S5_lS6_PT7_S5_li.numbered_sgpr, 24
	.set _ZL41rocblas_syrkx_herkx_small_restrict_kernelIldLi16ELb0ELb0ELc67ELc76EKPKdKPdEviT_T0_PT6_S5_lS8_S5_lS6_PT7_S5_li.num_named_barrier, 0
	.set _ZL41rocblas_syrkx_herkx_small_restrict_kernelIldLi16ELb0ELb0ELc67ELc76EKPKdKPdEviT_T0_PT6_S5_lS8_S5_lS6_PT7_S5_li.private_seg_size, 0
	.set _ZL41rocblas_syrkx_herkx_small_restrict_kernelIldLi16ELb0ELb0ELc67ELc76EKPKdKPdEviT_T0_PT6_S5_lS8_S5_lS6_PT7_S5_li.uses_vcc, 1
	.set _ZL41rocblas_syrkx_herkx_small_restrict_kernelIldLi16ELb0ELb0ELc67ELc76EKPKdKPdEviT_T0_PT6_S5_lS8_S5_lS6_PT7_S5_li.uses_flat_scratch, 0
	.set _ZL41rocblas_syrkx_herkx_small_restrict_kernelIldLi16ELb0ELb0ELc67ELc76EKPKdKPdEviT_T0_PT6_S5_lS8_S5_lS6_PT7_S5_li.has_dyn_sized_stack, 0
	.set _ZL41rocblas_syrkx_herkx_small_restrict_kernelIldLi16ELb0ELb0ELc67ELc76EKPKdKPdEviT_T0_PT6_S5_lS8_S5_lS6_PT7_S5_li.has_recursion, 0
	.set _ZL41rocblas_syrkx_herkx_small_restrict_kernelIldLi16ELb0ELb0ELc67ELc76EKPKdKPdEviT_T0_PT6_S5_lS8_S5_lS6_PT7_S5_li.has_indirect_call, 0
	.section	.AMDGPU.csdata,"",@progbits
; Kernel info:
; codeLenInByte = 852
; TotalNumSgprs: 28
; NumVgprs: 28
; ScratchSize: 0
; MemoryBound: 0
; FloatMode: 240
; IeeeMode: 1
; LDSByteSize: 4096 bytes/workgroup (compile time only)
; SGPRBlocks: 3
; VGPRBlocks: 6
; NumSGPRsForWavesPerEU: 28
; NumVGPRsForWavesPerEU: 28
; Occupancy: 9
; WaveLimiterHint : 1
; COMPUTE_PGM_RSRC2:SCRATCH_EN: 0
; COMPUTE_PGM_RSRC2:USER_SGPR: 6
; COMPUTE_PGM_RSRC2:TRAP_HANDLER: 0
; COMPUTE_PGM_RSRC2:TGID_X_EN: 1
; COMPUTE_PGM_RSRC2:TGID_Y_EN: 1
; COMPUTE_PGM_RSRC2:TGID_Z_EN: 1
; COMPUTE_PGM_RSRC2:TIDIG_COMP_CNT: 1
	.section	.text._ZL41rocblas_syrkx_herkx_small_restrict_kernelIldLi16ELb0ELb0ELc78ELc76EKPKdKPdEviT_T0_PT6_S5_lS8_S5_lS6_PT7_S5_li,"axG",@progbits,_ZL41rocblas_syrkx_herkx_small_restrict_kernelIldLi16ELb0ELb0ELc78ELc76EKPKdKPdEviT_T0_PT6_S5_lS8_S5_lS6_PT7_S5_li,comdat
	.globl	_ZL41rocblas_syrkx_herkx_small_restrict_kernelIldLi16ELb0ELb0ELc78ELc76EKPKdKPdEviT_T0_PT6_S5_lS8_S5_lS6_PT7_S5_li ; -- Begin function _ZL41rocblas_syrkx_herkx_small_restrict_kernelIldLi16ELb0ELb0ELc78ELc76EKPKdKPdEviT_T0_PT6_S5_lS8_S5_lS6_PT7_S5_li
	.p2align	8
	.type	_ZL41rocblas_syrkx_herkx_small_restrict_kernelIldLi16ELb0ELb0ELc78ELc76EKPKdKPdEviT_T0_PT6_S5_lS8_S5_lS6_PT7_S5_li,@function
_ZL41rocblas_syrkx_herkx_small_restrict_kernelIldLi16ELb0ELb0ELc78ELc76EKPKdKPdEviT_T0_PT6_S5_lS8_S5_lS6_PT7_S5_li: ; @_ZL41rocblas_syrkx_herkx_small_restrict_kernelIldLi16ELb0ELb0ELc78ELc76EKPKdKPdEviT_T0_PT6_S5_lS8_S5_lS6_PT7_S5_li
; %bb.0:
	s_load_dwordx4 s[20:23], s[4:5], 0x48
	s_load_dwordx2 s[10:11], s[4:5], 0x58
	s_load_dwordx8 s[12:19], s[4:5], 0x8
	s_mov_b32 s9, 0
	s_lshl_b64 s[24:25], s[8:9], 3
	s_waitcnt lgkmcnt(0)
	s_add_u32 s0, s22, s24
	s_addc_u32 s1, s23, s25
	s_load_dwordx2 s[8:9], s[0:1], 0x0
	v_cmp_lt_i64_e64 s[0:1], s[12:13], 1
	v_lshl_add_u32 v2, s6, 4, v0
	v_lshl_add_u32 v4, s7, 4, v1
	s_and_b64 vcc, exec, s[0:1]
	v_ashrrev_i32_e32 v3, 31, v2
	v_ashrrev_i32_e32 v5, 31, v4
	s_cbranch_vccnz .LBB1509_6
; %bb.1:
	s_load_dwordx4 s[0:3], s[4:5], 0x30
	v_mad_u64_u32 v[10:11], s[6:7], s18, v1, 0
	v_lshlrev_b32_e32 v9, 7, v1
	v_lshlrev_b32_e32 v12, 3, v0
	s_waitcnt lgkmcnt(0)
	v_mad_u64_u32 v[6:7], s[4:5], s2, v0, 0
	s_add_u32 s0, s0, s24
	v_add_u32_e32 v13, v12, v9
	v_mad_u64_u32 v[7:8], s[6:7], s3, v0, v[7:8]
	v_add_u32_e32 v14, 0x800, v9
	v_lshlrev_b64 v[8:9], 3, v[4:5]
	v_lshlrev_b64 v[6:7], 3, v[6:7]
	s_addc_u32 s1, s1, s25
	s_load_dwordx2 s[0:1], s[0:1], 0x0
	v_add_co_u32_e32 v8, vcc, v6, v8
	v_mov_b32_e32 v0, v11
	v_addc_co_u32_e32 v9, vcc, v7, v9, vcc
	v_mad_u64_u32 v[6:7], s[6:7], s19, v1, v[0:1]
	s_add_u32 s4, s16, s24
	s_addc_u32 s5, s17, s25
	s_load_dwordx2 s[4:5], s[4:5], 0x0
	s_waitcnt lgkmcnt(0)
	v_mov_b32_e32 v16, s1
	v_add_co_u32_e32 v0, vcc, s0, v8
	v_mov_b32_e32 v11, v6
	v_addc_co_u32_e32 v1, vcc, v16, v9, vcc
	v_lshlrev_b64 v[6:7], 3, v[10:11]
	v_lshlrev_b64 v[8:9], 3, v[2:3]
	s_lshl_b64 s[2:3], s[2:3], 7
	v_add_co_u32_e32 v6, vcc, v6, v8
	v_addc_co_u32_e32 v7, vcc, v7, v9, vcc
	v_mov_b32_e32 v8, s5
	v_add_co_u32_e32 v6, vcc, s4, v6
	v_addc_co_u32_e32 v7, vcc, v8, v7, vcc
	s_lshl_b64 s[4:5], s[18:19], 7
	v_mov_b32_e32 v10, 0
	v_mov_b32_e32 v8, s12
	v_add_u32_e32 v15, v14, v12
	v_mov_b32_e32 v11, 0
	s_mov_b64 s[6:7], 0
	v_mov_b32_e32 v16, s3
	v_mov_b32_e32 v17, s5
	;; [unrolled: 1-line block ×3, first 2 shown]
.LBB1509_2:                             ; =>This Inner Loop Header: Depth=1
	flat_load_dwordx2 v[18:19], v[6:7]
	s_add_u32 s6, s6, 16
	v_add_co_u32_e32 v6, vcc, s4, v6
	v_addc_co_u32_e32 v7, vcc, v7, v17, vcc
	s_addc_u32 s7, s7, 0
	v_cmp_lt_i64_e32 vcc, s[6:7], v[8:9]
	s_and_b64 vcc, exec, vcc
	s_waitcnt vmcnt(0) lgkmcnt(0)
	ds_write_b64 v13, v[18:19]
	flat_load_dwordx2 v[18:19], v[0:1]
	v_add_co_u32_e64 v0, s[0:1], s2, v0
	v_addc_co_u32_e64 v1, s[0:1], v1, v16, s[0:1]
	s_waitcnt vmcnt(0) lgkmcnt(0)
	ds_write_b64 v15, v[18:19]
	s_waitcnt lgkmcnt(0)
	s_barrier
	ds_read2_b64 v[18:21], v12 offset1:16
	ds_read_b128 v[22:25], v14
	ds_read_b128 v[26:29], v14 offset:16
	s_waitcnt lgkmcnt(1)
	v_fma_f64 v[10:11], v[18:19], v[22:23], v[10:11]
	v_fma_f64 v[10:11], v[20:21], v[24:25], v[10:11]
	ds_read2_b64 v[18:21], v12 offset0:32 offset1:48
	s_waitcnt lgkmcnt(0)
	v_fma_f64 v[10:11], v[18:19], v[26:27], v[10:11]
	v_fma_f64 v[10:11], v[20:21], v[28:29], v[10:11]
	ds_read2_b64 v[18:21], v12 offset0:64 offset1:80
	ds_read_b128 v[22:25], v14 offset:32
	ds_read_b128 v[26:29], v14 offset:48
	s_waitcnt lgkmcnt(1)
	v_fma_f64 v[10:11], v[18:19], v[22:23], v[10:11]
	v_fma_f64 v[10:11], v[20:21], v[24:25], v[10:11]
	ds_read2_b64 v[18:21], v12 offset0:96 offset1:112
	s_waitcnt lgkmcnt(0)
	v_fma_f64 v[10:11], v[18:19], v[26:27], v[10:11]
	v_fma_f64 v[10:11], v[20:21], v[28:29], v[10:11]
	ds_read2_b64 v[18:21], v12 offset0:128 offset1:144
	ds_read_b128 v[22:25], v14 offset:64
	;; [unrolled: 10-line block ×3, first 2 shown]
	ds_read_b128 v[26:29], v14 offset:112
	s_waitcnt lgkmcnt(1)
	v_fma_f64 v[10:11], v[18:19], v[22:23], v[10:11]
	v_fma_f64 v[10:11], v[20:21], v[24:25], v[10:11]
	ds_read2_b64 v[18:21], v12 offset0:224 offset1:240
	s_waitcnt lgkmcnt(0)
	s_barrier
	v_fma_f64 v[10:11], v[18:19], v[26:27], v[10:11]
	v_fma_f64 v[10:11], v[20:21], v[28:29], v[10:11]
	s_cbranch_vccnz .LBB1509_2
; %bb.3:
	v_cmp_le_i32_e32 vcc, v4, v2
	s_and_saveexec_b64 s[0:1], vcc
	s_cbranch_execz .LBB1509_5
.LBB1509_4:
	v_mul_lo_u32 v6, s11, v4
	v_mul_lo_u32 v5, s10, v5
	v_mad_u64_u32 v[0:1], s[0:1], s10, v4, 0
	s_waitcnt lgkmcnt(0)
	v_mov_b32_e32 v4, s9
	v_add3_u32 v1, v1, v5, v6
	v_lshlrev_b64 v[0:1], 3, v[0:1]
	v_add_co_u32_e32 v5, vcc, s8, v0
	v_addc_co_u32_e32 v4, vcc, v4, v1, vcc
	v_lshlrev_b64 v[0:1], 3, v[2:3]
	v_add_co_u32_e32 v0, vcc, v5, v0
	v_addc_co_u32_e32 v1, vcc, v4, v1, vcc
	flat_load_dwordx2 v[2:3], v[0:1]
	s_waitcnt vmcnt(0) lgkmcnt(0)
	v_mul_f64 v[2:3], s[20:21], v[2:3]
	v_fma_f64 v[2:3], s[14:15], v[10:11], v[2:3]
	flat_store_dwordx2 v[0:1], v[2:3]
.LBB1509_5:
	s_endpgm
.LBB1509_6:
	v_mov_b32_e32 v10, 0
	v_mov_b32_e32 v11, 0
	v_cmp_le_i32_e32 vcc, v4, v2
	s_and_saveexec_b64 s[0:1], vcc
	s_cbranch_execnz .LBB1509_4
	s_branch .LBB1509_5
	.section	.rodata,"a",@progbits
	.p2align	6, 0x0
	.amdhsa_kernel _ZL41rocblas_syrkx_herkx_small_restrict_kernelIldLi16ELb0ELb0ELc78ELc76EKPKdKPdEviT_T0_PT6_S5_lS8_S5_lS6_PT7_S5_li
		.amdhsa_group_segment_fixed_size 4096
		.amdhsa_private_segment_fixed_size 0
		.amdhsa_kernarg_size 108
		.amdhsa_user_sgpr_count 6
		.amdhsa_user_sgpr_private_segment_buffer 1
		.amdhsa_user_sgpr_dispatch_ptr 0
		.amdhsa_user_sgpr_queue_ptr 0
		.amdhsa_user_sgpr_kernarg_segment_ptr 1
		.amdhsa_user_sgpr_dispatch_id 0
		.amdhsa_user_sgpr_flat_scratch_init 0
		.amdhsa_user_sgpr_private_segment_size 0
		.amdhsa_uses_dynamic_stack 0
		.amdhsa_system_sgpr_private_segment_wavefront_offset 0
		.amdhsa_system_sgpr_workgroup_id_x 1
		.amdhsa_system_sgpr_workgroup_id_y 1
		.amdhsa_system_sgpr_workgroup_id_z 1
		.amdhsa_system_sgpr_workgroup_info 0
		.amdhsa_system_vgpr_workitem_id 1
		.amdhsa_next_free_vgpr 30
		.amdhsa_next_free_sgpr 26
		.amdhsa_reserve_vcc 1
		.amdhsa_reserve_flat_scratch 0
		.amdhsa_float_round_mode_32 0
		.amdhsa_float_round_mode_16_64 0
		.amdhsa_float_denorm_mode_32 3
		.amdhsa_float_denorm_mode_16_64 3
		.amdhsa_dx10_clamp 1
		.amdhsa_ieee_mode 1
		.amdhsa_fp16_overflow 0
		.amdhsa_exception_fp_ieee_invalid_op 0
		.amdhsa_exception_fp_denorm_src 0
		.amdhsa_exception_fp_ieee_div_zero 0
		.amdhsa_exception_fp_ieee_overflow 0
		.amdhsa_exception_fp_ieee_underflow 0
		.amdhsa_exception_fp_ieee_inexact 0
		.amdhsa_exception_int_div_zero 0
	.end_amdhsa_kernel
	.section	.text._ZL41rocblas_syrkx_herkx_small_restrict_kernelIldLi16ELb0ELb0ELc78ELc76EKPKdKPdEviT_T0_PT6_S5_lS8_S5_lS6_PT7_S5_li,"axG",@progbits,_ZL41rocblas_syrkx_herkx_small_restrict_kernelIldLi16ELb0ELb0ELc78ELc76EKPKdKPdEviT_T0_PT6_S5_lS8_S5_lS6_PT7_S5_li,comdat
.Lfunc_end1509:
	.size	_ZL41rocblas_syrkx_herkx_small_restrict_kernelIldLi16ELb0ELb0ELc78ELc76EKPKdKPdEviT_T0_PT6_S5_lS8_S5_lS6_PT7_S5_li, .Lfunc_end1509-_ZL41rocblas_syrkx_herkx_small_restrict_kernelIldLi16ELb0ELb0ELc78ELc76EKPKdKPdEviT_T0_PT6_S5_lS8_S5_lS6_PT7_S5_li
                                        ; -- End function
	.set _ZL41rocblas_syrkx_herkx_small_restrict_kernelIldLi16ELb0ELb0ELc78ELc76EKPKdKPdEviT_T0_PT6_S5_lS8_S5_lS6_PT7_S5_li.num_vgpr, 30
	.set _ZL41rocblas_syrkx_herkx_small_restrict_kernelIldLi16ELb0ELb0ELc78ELc76EKPKdKPdEviT_T0_PT6_S5_lS8_S5_lS6_PT7_S5_li.num_agpr, 0
	.set _ZL41rocblas_syrkx_herkx_small_restrict_kernelIldLi16ELb0ELb0ELc78ELc76EKPKdKPdEviT_T0_PT6_S5_lS8_S5_lS6_PT7_S5_li.numbered_sgpr, 26
	.set _ZL41rocblas_syrkx_herkx_small_restrict_kernelIldLi16ELb0ELb0ELc78ELc76EKPKdKPdEviT_T0_PT6_S5_lS8_S5_lS6_PT7_S5_li.num_named_barrier, 0
	.set _ZL41rocblas_syrkx_herkx_small_restrict_kernelIldLi16ELb0ELb0ELc78ELc76EKPKdKPdEviT_T0_PT6_S5_lS8_S5_lS6_PT7_S5_li.private_seg_size, 0
	.set _ZL41rocblas_syrkx_herkx_small_restrict_kernelIldLi16ELb0ELb0ELc78ELc76EKPKdKPdEviT_T0_PT6_S5_lS8_S5_lS6_PT7_S5_li.uses_vcc, 1
	.set _ZL41rocblas_syrkx_herkx_small_restrict_kernelIldLi16ELb0ELb0ELc78ELc76EKPKdKPdEviT_T0_PT6_S5_lS8_S5_lS6_PT7_S5_li.uses_flat_scratch, 0
	.set _ZL41rocblas_syrkx_herkx_small_restrict_kernelIldLi16ELb0ELb0ELc78ELc76EKPKdKPdEviT_T0_PT6_S5_lS8_S5_lS6_PT7_S5_li.has_dyn_sized_stack, 0
	.set _ZL41rocblas_syrkx_herkx_small_restrict_kernelIldLi16ELb0ELb0ELc78ELc76EKPKdKPdEviT_T0_PT6_S5_lS8_S5_lS6_PT7_S5_li.has_recursion, 0
	.set _ZL41rocblas_syrkx_herkx_small_restrict_kernelIldLi16ELb0ELb0ELc78ELc76EKPKdKPdEviT_T0_PT6_S5_lS8_S5_lS6_PT7_S5_li.has_indirect_call, 0
	.section	.AMDGPU.csdata,"",@progbits
; Kernel info:
; codeLenInByte = 844
; TotalNumSgprs: 30
; NumVgprs: 30
; ScratchSize: 0
; MemoryBound: 0
; FloatMode: 240
; IeeeMode: 1
; LDSByteSize: 4096 bytes/workgroup (compile time only)
; SGPRBlocks: 3
; VGPRBlocks: 7
; NumSGPRsForWavesPerEU: 30
; NumVGPRsForWavesPerEU: 30
; Occupancy: 8
; WaveLimiterHint : 1
; COMPUTE_PGM_RSRC2:SCRATCH_EN: 0
; COMPUTE_PGM_RSRC2:USER_SGPR: 6
; COMPUTE_PGM_RSRC2:TRAP_HANDLER: 0
; COMPUTE_PGM_RSRC2:TGID_X_EN: 1
; COMPUTE_PGM_RSRC2:TGID_Y_EN: 1
; COMPUTE_PGM_RSRC2:TGID_Z_EN: 1
; COMPUTE_PGM_RSRC2:TIDIG_COMP_CNT: 1
	.section	.text._ZL41rocblas_syrkx_herkx_small_restrict_kernelIldLi16ELb0ELb0ELc84ELc85EKPKdKPdEviT_T0_PT6_S5_lS8_S5_lS6_PT7_S5_li,"axG",@progbits,_ZL41rocblas_syrkx_herkx_small_restrict_kernelIldLi16ELb0ELb0ELc84ELc85EKPKdKPdEviT_T0_PT6_S5_lS8_S5_lS6_PT7_S5_li,comdat
	.globl	_ZL41rocblas_syrkx_herkx_small_restrict_kernelIldLi16ELb0ELb0ELc84ELc85EKPKdKPdEviT_T0_PT6_S5_lS8_S5_lS6_PT7_S5_li ; -- Begin function _ZL41rocblas_syrkx_herkx_small_restrict_kernelIldLi16ELb0ELb0ELc84ELc85EKPKdKPdEviT_T0_PT6_S5_lS8_S5_lS6_PT7_S5_li
	.p2align	8
	.type	_ZL41rocblas_syrkx_herkx_small_restrict_kernelIldLi16ELb0ELb0ELc84ELc85EKPKdKPdEviT_T0_PT6_S5_lS8_S5_lS6_PT7_S5_li,@function
_ZL41rocblas_syrkx_herkx_small_restrict_kernelIldLi16ELb0ELb0ELc84ELc85EKPKdKPdEviT_T0_PT6_S5_lS8_S5_lS6_PT7_S5_li: ; @_ZL41rocblas_syrkx_herkx_small_restrict_kernelIldLi16ELb0ELb0ELc84ELc85EKPKdKPdEviT_T0_PT6_S5_lS8_S5_lS6_PT7_S5_li
; %bb.0:
	s_load_dwordx4 s[20:23], s[4:5], 0x48
	s_load_dwordx2 s[10:11], s[4:5], 0x58
	s_load_dwordx8 s[12:19], s[4:5], 0x8
	s_mov_b32 s9, 0
	s_lshl_b64 s[0:1], s[8:9], 3
	s_waitcnt lgkmcnt(0)
	s_add_u32 s2, s22, s0
	s_addc_u32 s3, s23, s1
	s_load_dwordx2 s[8:9], s[2:3], 0x0
	v_cmp_lt_i64_e64 s[2:3], s[12:13], 1
	v_lshl_add_u32 v2, s6, 4, v0
	v_lshl_add_u32 v10, s7, 4, v1
	s_and_b64 vcc, exec, s[2:3]
	v_ashrrev_i32_e32 v3, 31, v2
	v_ashrrev_i32_e32 v11, 31, v10
	s_cbranch_vccnz .LBB1510_6
; %bb.1:
	s_load_dwordx4 s[4:7], s[4:5], 0x30
	v_mad_u64_u32 v[4:5], s[2:3], s18, v2, 0
	v_mul_lo_u32 v6, s19, v2
	v_mul_lo_u32 v7, s18, v3
	s_waitcnt lgkmcnt(0)
	s_add_u32 s2, s4, s0
	s_addc_u32 s3, s5, s1
	s_add_u32 s0, s16, s0
	s_addc_u32 s1, s17, s1
	s_load_dwordx2 s[0:1], s[0:1], 0x0
	v_lshlrev_b32_e32 v8, 3, v1
	v_add3_u32 v5, v5, v7, v6
	v_lshlrev_b64 v[4:5], 3, v[4:5]
	s_load_dwordx2 s[2:3], s[2:3], 0x0
	s_waitcnt lgkmcnt(0)
	v_mov_b32_e32 v6, s1
	v_add_co_u32_e32 v7, vcc, s0, v8
	v_addc_co_u32_e32 v6, vcc, 0, v6, vcc
	v_add_co_u32_e32 v4, vcc, v7, v4
	v_addc_co_u32_e32 v5, vcc, v6, v5, vcc
	v_mul_lo_u32 v8, s7, v10
	v_mul_lo_u32 v9, s6, v11
	v_mad_u64_u32 v[6:7], s[0:1], s6, v10, 0
	v_lshlrev_b32_e32 v12, 3, v0
	v_mov_b32_e32 v0, s3
	v_add3_u32 v7, v7, v9, v8
	v_add_co_u32_e32 v8, vcc, s2, v12
	v_lshlrev_b32_e32 v14, 7, v1
	v_addc_co_u32_e32 v9, vcc, 0, v0, vcc
	v_lshlrev_b64 v[0:1], 3, v[6:7]
	v_add_u32_e32 v13, v12, v14
	v_add_co_u32_e32 v0, vcc, v8, v0
	v_addc_co_u32_e32 v1, vcc, v9, v1, vcc
	v_add_u32_e32 v14, 0x800, v14
	v_mov_b32_e32 v8, 0
	v_mov_b32_e32 v6, s12
	v_add_u32_e32 v15, v14, v12
	v_mov_b32_e32 v9, 0
	s_mov_b64 s[4:5], 0
	v_mov_b32_e32 v7, s13
.LBB1510_2:                             ; =>This Inner Loop Header: Depth=1
	flat_load_dwordx2 v[16:17], v[4:5]
	s_add_u32 s4, s4, 16
	s_addc_u32 s5, s5, 0
	v_cmp_lt_i64_e32 vcc, s[4:5], v[6:7]
	s_and_b64 s[0:1], exec, vcc
	s_waitcnt vmcnt(0) lgkmcnt(0)
	ds_write_b64 v13, v[16:17]
	flat_load_dwordx2 v[16:17], v[0:1]
	v_add_co_u32_e32 v0, vcc, 0x80, v0
	s_mov_b64 s[2:3], vcc
	v_add_co_u32_e32 v4, vcc, 0x80, v4
	v_addc_co_u32_e32 v5, vcc, 0, v5, vcc
	v_addc_co_u32_e64 v1, s[2:3], 0, v1, s[2:3]
	s_mov_b64 vcc, s[0:1]
	s_waitcnt vmcnt(0) lgkmcnt(0)
	ds_write_b64 v15, v[16:17]
	s_waitcnt lgkmcnt(0)
	s_barrier
	ds_read2_b64 v[16:19], v12 offset1:16
	ds_read_b128 v[20:23], v14
	ds_read_b128 v[24:27], v14 offset:16
	s_waitcnt lgkmcnt(1)
	v_fma_f64 v[8:9], v[16:17], v[20:21], v[8:9]
	v_fma_f64 v[8:9], v[18:19], v[22:23], v[8:9]
	ds_read2_b64 v[16:19], v12 offset0:32 offset1:48
	s_waitcnt lgkmcnt(0)
	v_fma_f64 v[8:9], v[16:17], v[24:25], v[8:9]
	v_fma_f64 v[8:9], v[18:19], v[26:27], v[8:9]
	ds_read2_b64 v[16:19], v12 offset0:64 offset1:80
	ds_read_b128 v[20:23], v14 offset:32
	ds_read_b128 v[24:27], v14 offset:48
	s_waitcnt lgkmcnt(1)
	v_fma_f64 v[8:9], v[16:17], v[20:21], v[8:9]
	v_fma_f64 v[8:9], v[18:19], v[22:23], v[8:9]
	ds_read2_b64 v[16:19], v12 offset0:96 offset1:112
	s_waitcnt lgkmcnt(0)
	v_fma_f64 v[8:9], v[16:17], v[24:25], v[8:9]
	v_fma_f64 v[8:9], v[18:19], v[26:27], v[8:9]
	ds_read2_b64 v[16:19], v12 offset0:128 offset1:144
	ds_read_b128 v[20:23], v14 offset:64
	;; [unrolled: 10-line block ×3, first 2 shown]
	ds_read_b128 v[24:27], v14 offset:112
	s_waitcnt lgkmcnt(1)
	v_fma_f64 v[8:9], v[16:17], v[20:21], v[8:9]
	v_fma_f64 v[8:9], v[18:19], v[22:23], v[8:9]
	ds_read2_b64 v[16:19], v12 offset0:224 offset1:240
	s_waitcnt lgkmcnt(0)
	s_barrier
	v_fma_f64 v[8:9], v[16:17], v[24:25], v[8:9]
	v_fma_f64 v[8:9], v[18:19], v[26:27], v[8:9]
	s_cbranch_vccnz .LBB1510_2
; %bb.3:
	v_cmp_le_i32_e32 vcc, v2, v10
	s_and_saveexec_b64 s[0:1], vcc
	s_cbranch_execz .LBB1510_5
.LBB1510_4:
	v_mul_lo_u32 v4, s11, v10
	v_mul_lo_u32 v5, s10, v11
	v_mad_u64_u32 v[0:1], s[0:1], s10, v10, 0
	v_add3_u32 v1, v1, v5, v4
	v_lshlrev_b64 v[0:1], 3, v[0:1]
	s_waitcnt lgkmcnt(0)
	v_mov_b32_e32 v4, s9
	v_add_co_u32_e32 v5, vcc, s8, v0
	v_addc_co_u32_e32 v4, vcc, v4, v1, vcc
	v_lshlrev_b64 v[0:1], 3, v[2:3]
	v_add_co_u32_e32 v0, vcc, v5, v0
	v_addc_co_u32_e32 v1, vcc, v4, v1, vcc
	flat_load_dwordx2 v[2:3], v[0:1]
	s_waitcnt vmcnt(0) lgkmcnt(0)
	v_mul_f64 v[2:3], s[20:21], v[2:3]
	v_fma_f64 v[2:3], s[14:15], v[8:9], v[2:3]
	flat_store_dwordx2 v[0:1], v[2:3]
.LBB1510_5:
	s_endpgm
.LBB1510_6:
	v_mov_b32_e32 v8, 0
	v_mov_b32_e32 v9, 0
	v_cmp_le_i32_e32 vcc, v2, v10
	s_and_saveexec_b64 s[0:1], vcc
	s_cbranch_execnz .LBB1510_4
	s_branch .LBB1510_5
	.section	.rodata,"a",@progbits
	.p2align	6, 0x0
	.amdhsa_kernel _ZL41rocblas_syrkx_herkx_small_restrict_kernelIldLi16ELb0ELb0ELc84ELc85EKPKdKPdEviT_T0_PT6_S5_lS8_S5_lS6_PT7_S5_li
		.amdhsa_group_segment_fixed_size 4096
		.amdhsa_private_segment_fixed_size 0
		.amdhsa_kernarg_size 108
		.amdhsa_user_sgpr_count 6
		.amdhsa_user_sgpr_private_segment_buffer 1
		.amdhsa_user_sgpr_dispatch_ptr 0
		.amdhsa_user_sgpr_queue_ptr 0
		.amdhsa_user_sgpr_kernarg_segment_ptr 1
		.amdhsa_user_sgpr_dispatch_id 0
		.amdhsa_user_sgpr_flat_scratch_init 0
		.amdhsa_user_sgpr_private_segment_size 0
		.amdhsa_uses_dynamic_stack 0
		.amdhsa_system_sgpr_private_segment_wavefront_offset 0
		.amdhsa_system_sgpr_workgroup_id_x 1
		.amdhsa_system_sgpr_workgroup_id_y 1
		.amdhsa_system_sgpr_workgroup_id_z 1
		.amdhsa_system_sgpr_workgroup_info 0
		.amdhsa_system_vgpr_workitem_id 1
		.amdhsa_next_free_vgpr 28
		.amdhsa_next_free_sgpr 24
		.amdhsa_reserve_vcc 1
		.amdhsa_reserve_flat_scratch 0
		.amdhsa_float_round_mode_32 0
		.amdhsa_float_round_mode_16_64 0
		.amdhsa_float_denorm_mode_32 3
		.amdhsa_float_denorm_mode_16_64 3
		.amdhsa_dx10_clamp 1
		.amdhsa_ieee_mode 1
		.amdhsa_fp16_overflow 0
		.amdhsa_exception_fp_ieee_invalid_op 0
		.amdhsa_exception_fp_denorm_src 0
		.amdhsa_exception_fp_ieee_div_zero 0
		.amdhsa_exception_fp_ieee_overflow 0
		.amdhsa_exception_fp_ieee_underflow 0
		.amdhsa_exception_fp_ieee_inexact 0
		.amdhsa_exception_int_div_zero 0
	.end_amdhsa_kernel
	.section	.text._ZL41rocblas_syrkx_herkx_small_restrict_kernelIldLi16ELb0ELb0ELc84ELc85EKPKdKPdEviT_T0_PT6_S5_lS8_S5_lS6_PT7_S5_li,"axG",@progbits,_ZL41rocblas_syrkx_herkx_small_restrict_kernelIldLi16ELb0ELb0ELc84ELc85EKPKdKPdEviT_T0_PT6_S5_lS8_S5_lS6_PT7_S5_li,comdat
.Lfunc_end1510:
	.size	_ZL41rocblas_syrkx_herkx_small_restrict_kernelIldLi16ELb0ELb0ELc84ELc85EKPKdKPdEviT_T0_PT6_S5_lS8_S5_lS6_PT7_S5_li, .Lfunc_end1510-_ZL41rocblas_syrkx_herkx_small_restrict_kernelIldLi16ELb0ELb0ELc84ELc85EKPKdKPdEviT_T0_PT6_S5_lS8_S5_lS6_PT7_S5_li
                                        ; -- End function
	.set _ZL41rocblas_syrkx_herkx_small_restrict_kernelIldLi16ELb0ELb0ELc84ELc85EKPKdKPdEviT_T0_PT6_S5_lS8_S5_lS6_PT7_S5_li.num_vgpr, 28
	.set _ZL41rocblas_syrkx_herkx_small_restrict_kernelIldLi16ELb0ELb0ELc84ELc85EKPKdKPdEviT_T0_PT6_S5_lS8_S5_lS6_PT7_S5_li.num_agpr, 0
	.set _ZL41rocblas_syrkx_herkx_small_restrict_kernelIldLi16ELb0ELb0ELc84ELc85EKPKdKPdEviT_T0_PT6_S5_lS8_S5_lS6_PT7_S5_li.numbered_sgpr, 24
	.set _ZL41rocblas_syrkx_herkx_small_restrict_kernelIldLi16ELb0ELb0ELc84ELc85EKPKdKPdEviT_T0_PT6_S5_lS8_S5_lS6_PT7_S5_li.num_named_barrier, 0
	.set _ZL41rocblas_syrkx_herkx_small_restrict_kernelIldLi16ELb0ELb0ELc84ELc85EKPKdKPdEviT_T0_PT6_S5_lS8_S5_lS6_PT7_S5_li.private_seg_size, 0
	.set _ZL41rocblas_syrkx_herkx_small_restrict_kernelIldLi16ELb0ELb0ELc84ELc85EKPKdKPdEviT_T0_PT6_S5_lS8_S5_lS6_PT7_S5_li.uses_vcc, 1
	.set _ZL41rocblas_syrkx_herkx_small_restrict_kernelIldLi16ELb0ELb0ELc84ELc85EKPKdKPdEviT_T0_PT6_S5_lS8_S5_lS6_PT7_S5_li.uses_flat_scratch, 0
	.set _ZL41rocblas_syrkx_herkx_small_restrict_kernelIldLi16ELb0ELb0ELc84ELc85EKPKdKPdEviT_T0_PT6_S5_lS8_S5_lS6_PT7_S5_li.has_dyn_sized_stack, 0
	.set _ZL41rocblas_syrkx_herkx_small_restrict_kernelIldLi16ELb0ELb0ELc84ELc85EKPKdKPdEviT_T0_PT6_S5_lS8_S5_lS6_PT7_S5_li.has_recursion, 0
	.set _ZL41rocblas_syrkx_herkx_small_restrict_kernelIldLi16ELb0ELb0ELc84ELc85EKPKdKPdEviT_T0_PT6_S5_lS8_S5_lS6_PT7_S5_li.has_indirect_call, 0
	.section	.AMDGPU.csdata,"",@progbits
; Kernel info:
; codeLenInByte = 852
; TotalNumSgprs: 28
; NumVgprs: 28
; ScratchSize: 0
; MemoryBound: 0
; FloatMode: 240
; IeeeMode: 1
; LDSByteSize: 4096 bytes/workgroup (compile time only)
; SGPRBlocks: 3
; VGPRBlocks: 6
; NumSGPRsForWavesPerEU: 28
; NumVGPRsForWavesPerEU: 28
; Occupancy: 9
; WaveLimiterHint : 1
; COMPUTE_PGM_RSRC2:SCRATCH_EN: 0
; COMPUTE_PGM_RSRC2:USER_SGPR: 6
; COMPUTE_PGM_RSRC2:TRAP_HANDLER: 0
; COMPUTE_PGM_RSRC2:TGID_X_EN: 1
; COMPUTE_PGM_RSRC2:TGID_Y_EN: 1
; COMPUTE_PGM_RSRC2:TGID_Z_EN: 1
; COMPUTE_PGM_RSRC2:TIDIG_COMP_CNT: 1
	.section	.text._ZL41rocblas_syrkx_herkx_small_restrict_kernelIldLi16ELb0ELb0ELc67ELc85EKPKdKPdEviT_T0_PT6_S5_lS8_S5_lS6_PT7_S5_li,"axG",@progbits,_ZL41rocblas_syrkx_herkx_small_restrict_kernelIldLi16ELb0ELb0ELc67ELc85EKPKdKPdEviT_T0_PT6_S5_lS8_S5_lS6_PT7_S5_li,comdat
	.globl	_ZL41rocblas_syrkx_herkx_small_restrict_kernelIldLi16ELb0ELb0ELc67ELc85EKPKdKPdEviT_T0_PT6_S5_lS8_S5_lS6_PT7_S5_li ; -- Begin function _ZL41rocblas_syrkx_herkx_small_restrict_kernelIldLi16ELb0ELb0ELc67ELc85EKPKdKPdEviT_T0_PT6_S5_lS8_S5_lS6_PT7_S5_li
	.p2align	8
	.type	_ZL41rocblas_syrkx_herkx_small_restrict_kernelIldLi16ELb0ELb0ELc67ELc85EKPKdKPdEviT_T0_PT6_S5_lS8_S5_lS6_PT7_S5_li,@function
_ZL41rocblas_syrkx_herkx_small_restrict_kernelIldLi16ELb0ELb0ELc67ELc85EKPKdKPdEviT_T0_PT6_S5_lS8_S5_lS6_PT7_S5_li: ; @_ZL41rocblas_syrkx_herkx_small_restrict_kernelIldLi16ELb0ELb0ELc67ELc85EKPKdKPdEviT_T0_PT6_S5_lS8_S5_lS6_PT7_S5_li
; %bb.0:
	s_load_dwordx4 s[20:23], s[4:5], 0x48
	s_load_dwordx2 s[10:11], s[4:5], 0x58
	s_load_dwordx8 s[12:19], s[4:5], 0x8
	s_mov_b32 s9, 0
	s_lshl_b64 s[0:1], s[8:9], 3
	s_waitcnt lgkmcnt(0)
	s_add_u32 s2, s22, s0
	s_addc_u32 s3, s23, s1
	s_load_dwordx2 s[8:9], s[2:3], 0x0
	v_cmp_lt_i64_e64 s[2:3], s[12:13], 1
	v_lshl_add_u32 v2, s6, 4, v0
	v_lshl_add_u32 v10, s7, 4, v1
	s_and_b64 vcc, exec, s[2:3]
	v_ashrrev_i32_e32 v3, 31, v2
	v_ashrrev_i32_e32 v11, 31, v10
	s_cbranch_vccnz .LBB1511_6
; %bb.1:
	s_load_dwordx4 s[4:7], s[4:5], 0x30
	v_mad_u64_u32 v[4:5], s[2:3], s18, v2, 0
	v_mul_lo_u32 v6, s19, v2
	v_mul_lo_u32 v7, s18, v3
	s_waitcnt lgkmcnt(0)
	s_add_u32 s2, s4, s0
	s_addc_u32 s3, s5, s1
	s_add_u32 s0, s16, s0
	s_addc_u32 s1, s17, s1
	s_load_dwordx2 s[0:1], s[0:1], 0x0
	v_lshlrev_b32_e32 v8, 3, v1
	v_add3_u32 v5, v5, v7, v6
	v_lshlrev_b64 v[4:5], 3, v[4:5]
	s_load_dwordx2 s[2:3], s[2:3], 0x0
	s_waitcnt lgkmcnt(0)
	v_mov_b32_e32 v6, s1
	v_add_co_u32_e32 v7, vcc, s0, v8
	v_addc_co_u32_e32 v6, vcc, 0, v6, vcc
	v_add_co_u32_e32 v4, vcc, v7, v4
	v_addc_co_u32_e32 v5, vcc, v6, v5, vcc
	v_mul_lo_u32 v8, s7, v10
	v_mul_lo_u32 v9, s6, v11
	v_mad_u64_u32 v[6:7], s[0:1], s6, v10, 0
	v_lshlrev_b32_e32 v12, 3, v0
	v_mov_b32_e32 v0, s3
	v_add3_u32 v7, v7, v9, v8
	v_add_co_u32_e32 v8, vcc, s2, v12
	v_lshlrev_b32_e32 v14, 7, v1
	v_addc_co_u32_e32 v9, vcc, 0, v0, vcc
	v_lshlrev_b64 v[0:1], 3, v[6:7]
	v_add_u32_e32 v13, v12, v14
	v_add_co_u32_e32 v0, vcc, v8, v0
	v_addc_co_u32_e32 v1, vcc, v9, v1, vcc
	v_add_u32_e32 v14, 0x800, v14
	v_mov_b32_e32 v8, 0
	v_mov_b32_e32 v6, s12
	v_add_u32_e32 v15, v14, v12
	v_mov_b32_e32 v9, 0
	s_mov_b64 s[4:5], 0
	v_mov_b32_e32 v7, s13
.LBB1511_2:                             ; =>This Inner Loop Header: Depth=1
	flat_load_dwordx2 v[16:17], v[4:5]
	s_add_u32 s4, s4, 16
	s_addc_u32 s5, s5, 0
	v_cmp_lt_i64_e32 vcc, s[4:5], v[6:7]
	s_and_b64 s[0:1], exec, vcc
	s_waitcnt vmcnt(0) lgkmcnt(0)
	ds_write_b64 v13, v[16:17]
	flat_load_dwordx2 v[16:17], v[0:1]
	v_add_co_u32_e32 v0, vcc, 0x80, v0
	s_mov_b64 s[2:3], vcc
	v_add_co_u32_e32 v4, vcc, 0x80, v4
	v_addc_co_u32_e32 v5, vcc, 0, v5, vcc
	v_addc_co_u32_e64 v1, s[2:3], 0, v1, s[2:3]
	s_mov_b64 vcc, s[0:1]
	s_waitcnt vmcnt(0) lgkmcnt(0)
	ds_write_b64 v15, v[16:17]
	s_waitcnt lgkmcnt(0)
	s_barrier
	ds_read2_b64 v[16:19], v12 offset1:16
	ds_read_b128 v[20:23], v14
	ds_read_b128 v[24:27], v14 offset:16
	s_waitcnt lgkmcnt(1)
	v_fma_f64 v[8:9], v[16:17], v[20:21], v[8:9]
	v_fma_f64 v[8:9], v[18:19], v[22:23], v[8:9]
	ds_read2_b64 v[16:19], v12 offset0:32 offset1:48
	s_waitcnt lgkmcnt(0)
	v_fma_f64 v[8:9], v[16:17], v[24:25], v[8:9]
	v_fma_f64 v[8:9], v[18:19], v[26:27], v[8:9]
	ds_read2_b64 v[16:19], v12 offset0:64 offset1:80
	ds_read_b128 v[20:23], v14 offset:32
	ds_read_b128 v[24:27], v14 offset:48
	s_waitcnt lgkmcnt(1)
	v_fma_f64 v[8:9], v[16:17], v[20:21], v[8:9]
	v_fma_f64 v[8:9], v[18:19], v[22:23], v[8:9]
	ds_read2_b64 v[16:19], v12 offset0:96 offset1:112
	s_waitcnt lgkmcnt(0)
	v_fma_f64 v[8:9], v[16:17], v[24:25], v[8:9]
	v_fma_f64 v[8:9], v[18:19], v[26:27], v[8:9]
	ds_read2_b64 v[16:19], v12 offset0:128 offset1:144
	ds_read_b128 v[20:23], v14 offset:64
	;; [unrolled: 10-line block ×3, first 2 shown]
	ds_read_b128 v[24:27], v14 offset:112
	s_waitcnt lgkmcnt(1)
	v_fma_f64 v[8:9], v[16:17], v[20:21], v[8:9]
	v_fma_f64 v[8:9], v[18:19], v[22:23], v[8:9]
	ds_read2_b64 v[16:19], v12 offset0:224 offset1:240
	s_waitcnt lgkmcnt(0)
	s_barrier
	v_fma_f64 v[8:9], v[16:17], v[24:25], v[8:9]
	v_fma_f64 v[8:9], v[18:19], v[26:27], v[8:9]
	s_cbranch_vccnz .LBB1511_2
; %bb.3:
	v_cmp_le_i32_e32 vcc, v2, v10
	s_and_saveexec_b64 s[0:1], vcc
	s_cbranch_execz .LBB1511_5
.LBB1511_4:
	v_mul_lo_u32 v4, s11, v10
	v_mul_lo_u32 v5, s10, v11
	v_mad_u64_u32 v[0:1], s[0:1], s10, v10, 0
	v_add3_u32 v1, v1, v5, v4
	v_lshlrev_b64 v[0:1], 3, v[0:1]
	s_waitcnt lgkmcnt(0)
	v_mov_b32_e32 v4, s9
	v_add_co_u32_e32 v5, vcc, s8, v0
	v_addc_co_u32_e32 v4, vcc, v4, v1, vcc
	v_lshlrev_b64 v[0:1], 3, v[2:3]
	v_add_co_u32_e32 v0, vcc, v5, v0
	v_addc_co_u32_e32 v1, vcc, v4, v1, vcc
	flat_load_dwordx2 v[2:3], v[0:1]
	s_waitcnt vmcnt(0) lgkmcnt(0)
	v_mul_f64 v[2:3], s[20:21], v[2:3]
	v_fma_f64 v[2:3], s[14:15], v[8:9], v[2:3]
	flat_store_dwordx2 v[0:1], v[2:3]
.LBB1511_5:
	s_endpgm
.LBB1511_6:
	v_mov_b32_e32 v8, 0
	v_mov_b32_e32 v9, 0
	v_cmp_le_i32_e32 vcc, v2, v10
	s_and_saveexec_b64 s[0:1], vcc
	s_cbranch_execnz .LBB1511_4
	s_branch .LBB1511_5
	.section	.rodata,"a",@progbits
	.p2align	6, 0x0
	.amdhsa_kernel _ZL41rocblas_syrkx_herkx_small_restrict_kernelIldLi16ELb0ELb0ELc67ELc85EKPKdKPdEviT_T0_PT6_S5_lS8_S5_lS6_PT7_S5_li
		.amdhsa_group_segment_fixed_size 4096
		.amdhsa_private_segment_fixed_size 0
		.amdhsa_kernarg_size 108
		.amdhsa_user_sgpr_count 6
		.amdhsa_user_sgpr_private_segment_buffer 1
		.amdhsa_user_sgpr_dispatch_ptr 0
		.amdhsa_user_sgpr_queue_ptr 0
		.amdhsa_user_sgpr_kernarg_segment_ptr 1
		.amdhsa_user_sgpr_dispatch_id 0
		.amdhsa_user_sgpr_flat_scratch_init 0
		.amdhsa_user_sgpr_private_segment_size 0
		.amdhsa_uses_dynamic_stack 0
		.amdhsa_system_sgpr_private_segment_wavefront_offset 0
		.amdhsa_system_sgpr_workgroup_id_x 1
		.amdhsa_system_sgpr_workgroup_id_y 1
		.amdhsa_system_sgpr_workgroup_id_z 1
		.amdhsa_system_sgpr_workgroup_info 0
		.amdhsa_system_vgpr_workitem_id 1
		.amdhsa_next_free_vgpr 28
		.amdhsa_next_free_sgpr 24
		.amdhsa_reserve_vcc 1
		.amdhsa_reserve_flat_scratch 0
		.amdhsa_float_round_mode_32 0
		.amdhsa_float_round_mode_16_64 0
		.amdhsa_float_denorm_mode_32 3
		.amdhsa_float_denorm_mode_16_64 3
		.amdhsa_dx10_clamp 1
		.amdhsa_ieee_mode 1
		.amdhsa_fp16_overflow 0
		.amdhsa_exception_fp_ieee_invalid_op 0
		.amdhsa_exception_fp_denorm_src 0
		.amdhsa_exception_fp_ieee_div_zero 0
		.amdhsa_exception_fp_ieee_overflow 0
		.amdhsa_exception_fp_ieee_underflow 0
		.amdhsa_exception_fp_ieee_inexact 0
		.amdhsa_exception_int_div_zero 0
	.end_amdhsa_kernel
	.section	.text._ZL41rocblas_syrkx_herkx_small_restrict_kernelIldLi16ELb0ELb0ELc67ELc85EKPKdKPdEviT_T0_PT6_S5_lS8_S5_lS6_PT7_S5_li,"axG",@progbits,_ZL41rocblas_syrkx_herkx_small_restrict_kernelIldLi16ELb0ELb0ELc67ELc85EKPKdKPdEviT_T0_PT6_S5_lS8_S5_lS6_PT7_S5_li,comdat
.Lfunc_end1511:
	.size	_ZL41rocblas_syrkx_herkx_small_restrict_kernelIldLi16ELb0ELb0ELc67ELc85EKPKdKPdEviT_T0_PT6_S5_lS8_S5_lS6_PT7_S5_li, .Lfunc_end1511-_ZL41rocblas_syrkx_herkx_small_restrict_kernelIldLi16ELb0ELb0ELc67ELc85EKPKdKPdEviT_T0_PT6_S5_lS8_S5_lS6_PT7_S5_li
                                        ; -- End function
	.set _ZL41rocblas_syrkx_herkx_small_restrict_kernelIldLi16ELb0ELb0ELc67ELc85EKPKdKPdEviT_T0_PT6_S5_lS8_S5_lS6_PT7_S5_li.num_vgpr, 28
	.set _ZL41rocblas_syrkx_herkx_small_restrict_kernelIldLi16ELb0ELb0ELc67ELc85EKPKdKPdEviT_T0_PT6_S5_lS8_S5_lS6_PT7_S5_li.num_agpr, 0
	.set _ZL41rocblas_syrkx_herkx_small_restrict_kernelIldLi16ELb0ELb0ELc67ELc85EKPKdKPdEviT_T0_PT6_S5_lS8_S5_lS6_PT7_S5_li.numbered_sgpr, 24
	.set _ZL41rocblas_syrkx_herkx_small_restrict_kernelIldLi16ELb0ELb0ELc67ELc85EKPKdKPdEviT_T0_PT6_S5_lS8_S5_lS6_PT7_S5_li.num_named_barrier, 0
	.set _ZL41rocblas_syrkx_herkx_small_restrict_kernelIldLi16ELb0ELb0ELc67ELc85EKPKdKPdEviT_T0_PT6_S5_lS8_S5_lS6_PT7_S5_li.private_seg_size, 0
	.set _ZL41rocblas_syrkx_herkx_small_restrict_kernelIldLi16ELb0ELb0ELc67ELc85EKPKdKPdEviT_T0_PT6_S5_lS8_S5_lS6_PT7_S5_li.uses_vcc, 1
	.set _ZL41rocblas_syrkx_herkx_small_restrict_kernelIldLi16ELb0ELb0ELc67ELc85EKPKdKPdEviT_T0_PT6_S5_lS8_S5_lS6_PT7_S5_li.uses_flat_scratch, 0
	.set _ZL41rocblas_syrkx_herkx_small_restrict_kernelIldLi16ELb0ELb0ELc67ELc85EKPKdKPdEviT_T0_PT6_S5_lS8_S5_lS6_PT7_S5_li.has_dyn_sized_stack, 0
	.set _ZL41rocblas_syrkx_herkx_small_restrict_kernelIldLi16ELb0ELb0ELc67ELc85EKPKdKPdEviT_T0_PT6_S5_lS8_S5_lS6_PT7_S5_li.has_recursion, 0
	.set _ZL41rocblas_syrkx_herkx_small_restrict_kernelIldLi16ELb0ELb0ELc67ELc85EKPKdKPdEviT_T0_PT6_S5_lS8_S5_lS6_PT7_S5_li.has_indirect_call, 0
	.section	.AMDGPU.csdata,"",@progbits
; Kernel info:
; codeLenInByte = 852
; TotalNumSgprs: 28
; NumVgprs: 28
; ScratchSize: 0
; MemoryBound: 0
; FloatMode: 240
; IeeeMode: 1
; LDSByteSize: 4096 bytes/workgroup (compile time only)
; SGPRBlocks: 3
; VGPRBlocks: 6
; NumSGPRsForWavesPerEU: 28
; NumVGPRsForWavesPerEU: 28
; Occupancy: 9
; WaveLimiterHint : 1
; COMPUTE_PGM_RSRC2:SCRATCH_EN: 0
; COMPUTE_PGM_RSRC2:USER_SGPR: 6
; COMPUTE_PGM_RSRC2:TRAP_HANDLER: 0
; COMPUTE_PGM_RSRC2:TGID_X_EN: 1
; COMPUTE_PGM_RSRC2:TGID_Y_EN: 1
; COMPUTE_PGM_RSRC2:TGID_Z_EN: 1
; COMPUTE_PGM_RSRC2:TIDIG_COMP_CNT: 1
	.section	.text._ZL41rocblas_syrkx_herkx_small_restrict_kernelIldLi16ELb0ELb0ELc78ELc85EKPKdKPdEviT_T0_PT6_S5_lS8_S5_lS6_PT7_S5_li,"axG",@progbits,_ZL41rocblas_syrkx_herkx_small_restrict_kernelIldLi16ELb0ELb0ELc78ELc85EKPKdKPdEviT_T0_PT6_S5_lS8_S5_lS6_PT7_S5_li,comdat
	.globl	_ZL41rocblas_syrkx_herkx_small_restrict_kernelIldLi16ELb0ELb0ELc78ELc85EKPKdKPdEviT_T0_PT6_S5_lS8_S5_lS6_PT7_S5_li ; -- Begin function _ZL41rocblas_syrkx_herkx_small_restrict_kernelIldLi16ELb0ELb0ELc78ELc85EKPKdKPdEviT_T0_PT6_S5_lS8_S5_lS6_PT7_S5_li
	.p2align	8
	.type	_ZL41rocblas_syrkx_herkx_small_restrict_kernelIldLi16ELb0ELb0ELc78ELc85EKPKdKPdEviT_T0_PT6_S5_lS8_S5_lS6_PT7_S5_li,@function
_ZL41rocblas_syrkx_herkx_small_restrict_kernelIldLi16ELb0ELb0ELc78ELc85EKPKdKPdEviT_T0_PT6_S5_lS8_S5_lS6_PT7_S5_li: ; @_ZL41rocblas_syrkx_herkx_small_restrict_kernelIldLi16ELb0ELb0ELc78ELc85EKPKdKPdEviT_T0_PT6_S5_lS8_S5_lS6_PT7_S5_li
; %bb.0:
	s_load_dwordx4 s[20:23], s[4:5], 0x48
	s_load_dwordx2 s[10:11], s[4:5], 0x58
	s_load_dwordx8 s[12:19], s[4:5], 0x8
	s_mov_b32 s9, 0
	s_lshl_b64 s[24:25], s[8:9], 3
	s_waitcnt lgkmcnt(0)
	s_add_u32 s0, s22, s24
	s_addc_u32 s1, s23, s25
	s_load_dwordx2 s[8:9], s[0:1], 0x0
	v_cmp_lt_i64_e64 s[0:1], s[12:13], 1
	v_lshl_add_u32 v2, s6, 4, v0
	v_lshl_add_u32 v4, s7, 4, v1
	s_and_b64 vcc, exec, s[0:1]
	v_ashrrev_i32_e32 v3, 31, v2
	v_ashrrev_i32_e32 v5, 31, v4
	s_cbranch_vccnz .LBB1512_6
; %bb.1:
	s_load_dwordx4 s[0:3], s[4:5], 0x30
	v_mad_u64_u32 v[10:11], s[6:7], s18, v1, 0
	v_lshlrev_b32_e32 v9, 7, v1
	v_lshlrev_b32_e32 v12, 3, v0
	s_waitcnt lgkmcnt(0)
	v_mad_u64_u32 v[6:7], s[4:5], s2, v0, 0
	s_add_u32 s0, s0, s24
	v_add_u32_e32 v13, v12, v9
	v_mad_u64_u32 v[7:8], s[6:7], s3, v0, v[7:8]
	v_add_u32_e32 v14, 0x800, v9
	v_lshlrev_b64 v[8:9], 3, v[4:5]
	v_lshlrev_b64 v[6:7], 3, v[6:7]
	s_addc_u32 s1, s1, s25
	s_load_dwordx2 s[0:1], s[0:1], 0x0
	v_add_co_u32_e32 v8, vcc, v6, v8
	v_mov_b32_e32 v0, v11
	v_addc_co_u32_e32 v9, vcc, v7, v9, vcc
	v_mad_u64_u32 v[6:7], s[6:7], s19, v1, v[0:1]
	s_add_u32 s4, s16, s24
	s_addc_u32 s5, s17, s25
	s_load_dwordx2 s[4:5], s[4:5], 0x0
	s_waitcnt lgkmcnt(0)
	v_mov_b32_e32 v16, s1
	v_add_co_u32_e32 v0, vcc, s0, v8
	v_mov_b32_e32 v11, v6
	v_addc_co_u32_e32 v1, vcc, v16, v9, vcc
	v_lshlrev_b64 v[6:7], 3, v[10:11]
	v_lshlrev_b64 v[8:9], 3, v[2:3]
	s_lshl_b64 s[2:3], s[2:3], 7
	v_add_co_u32_e32 v6, vcc, v6, v8
	v_addc_co_u32_e32 v7, vcc, v7, v9, vcc
	v_mov_b32_e32 v8, s5
	v_add_co_u32_e32 v6, vcc, s4, v6
	v_addc_co_u32_e32 v7, vcc, v8, v7, vcc
	s_lshl_b64 s[4:5], s[18:19], 7
	v_mov_b32_e32 v10, 0
	v_mov_b32_e32 v8, s12
	v_add_u32_e32 v15, v14, v12
	v_mov_b32_e32 v11, 0
	s_mov_b64 s[6:7], 0
	v_mov_b32_e32 v16, s3
	v_mov_b32_e32 v17, s5
	;; [unrolled: 1-line block ×3, first 2 shown]
.LBB1512_2:                             ; =>This Inner Loop Header: Depth=1
	flat_load_dwordx2 v[18:19], v[6:7]
	s_add_u32 s6, s6, 16
	v_add_co_u32_e32 v6, vcc, s4, v6
	v_addc_co_u32_e32 v7, vcc, v7, v17, vcc
	s_addc_u32 s7, s7, 0
	v_cmp_lt_i64_e32 vcc, s[6:7], v[8:9]
	s_and_b64 vcc, exec, vcc
	s_waitcnt vmcnt(0) lgkmcnt(0)
	ds_write_b64 v13, v[18:19]
	flat_load_dwordx2 v[18:19], v[0:1]
	v_add_co_u32_e64 v0, s[0:1], s2, v0
	v_addc_co_u32_e64 v1, s[0:1], v1, v16, s[0:1]
	s_waitcnt vmcnt(0) lgkmcnt(0)
	ds_write_b64 v15, v[18:19]
	s_waitcnt lgkmcnt(0)
	s_barrier
	ds_read2_b64 v[18:21], v12 offset1:16
	ds_read_b128 v[22:25], v14
	ds_read_b128 v[26:29], v14 offset:16
	s_waitcnt lgkmcnt(1)
	v_fma_f64 v[10:11], v[18:19], v[22:23], v[10:11]
	v_fma_f64 v[10:11], v[20:21], v[24:25], v[10:11]
	ds_read2_b64 v[18:21], v12 offset0:32 offset1:48
	s_waitcnt lgkmcnt(0)
	v_fma_f64 v[10:11], v[18:19], v[26:27], v[10:11]
	v_fma_f64 v[10:11], v[20:21], v[28:29], v[10:11]
	ds_read2_b64 v[18:21], v12 offset0:64 offset1:80
	ds_read_b128 v[22:25], v14 offset:32
	ds_read_b128 v[26:29], v14 offset:48
	s_waitcnt lgkmcnt(1)
	v_fma_f64 v[10:11], v[18:19], v[22:23], v[10:11]
	v_fma_f64 v[10:11], v[20:21], v[24:25], v[10:11]
	ds_read2_b64 v[18:21], v12 offset0:96 offset1:112
	s_waitcnt lgkmcnt(0)
	v_fma_f64 v[10:11], v[18:19], v[26:27], v[10:11]
	v_fma_f64 v[10:11], v[20:21], v[28:29], v[10:11]
	ds_read2_b64 v[18:21], v12 offset0:128 offset1:144
	ds_read_b128 v[22:25], v14 offset:64
	;; [unrolled: 10-line block ×3, first 2 shown]
	ds_read_b128 v[26:29], v14 offset:112
	s_waitcnt lgkmcnt(1)
	v_fma_f64 v[10:11], v[18:19], v[22:23], v[10:11]
	v_fma_f64 v[10:11], v[20:21], v[24:25], v[10:11]
	ds_read2_b64 v[18:21], v12 offset0:224 offset1:240
	s_waitcnt lgkmcnt(0)
	s_barrier
	v_fma_f64 v[10:11], v[18:19], v[26:27], v[10:11]
	v_fma_f64 v[10:11], v[20:21], v[28:29], v[10:11]
	s_cbranch_vccnz .LBB1512_2
; %bb.3:
	v_cmp_le_i32_e32 vcc, v2, v4
	s_and_saveexec_b64 s[0:1], vcc
	s_cbranch_execz .LBB1512_5
.LBB1512_4:
	v_mul_lo_u32 v6, s11, v4
	v_mul_lo_u32 v5, s10, v5
	v_mad_u64_u32 v[0:1], s[0:1], s10, v4, 0
	s_waitcnt lgkmcnt(0)
	v_mov_b32_e32 v4, s9
	v_add3_u32 v1, v1, v5, v6
	v_lshlrev_b64 v[0:1], 3, v[0:1]
	v_add_co_u32_e32 v5, vcc, s8, v0
	v_addc_co_u32_e32 v4, vcc, v4, v1, vcc
	v_lshlrev_b64 v[0:1], 3, v[2:3]
	v_add_co_u32_e32 v0, vcc, v5, v0
	v_addc_co_u32_e32 v1, vcc, v4, v1, vcc
	flat_load_dwordx2 v[2:3], v[0:1]
	s_waitcnt vmcnt(0) lgkmcnt(0)
	v_mul_f64 v[2:3], s[20:21], v[2:3]
	v_fma_f64 v[2:3], s[14:15], v[10:11], v[2:3]
	flat_store_dwordx2 v[0:1], v[2:3]
.LBB1512_5:
	s_endpgm
.LBB1512_6:
	v_mov_b32_e32 v10, 0
	v_mov_b32_e32 v11, 0
	v_cmp_le_i32_e32 vcc, v2, v4
	s_and_saveexec_b64 s[0:1], vcc
	s_cbranch_execnz .LBB1512_4
	s_branch .LBB1512_5
	.section	.rodata,"a",@progbits
	.p2align	6, 0x0
	.amdhsa_kernel _ZL41rocblas_syrkx_herkx_small_restrict_kernelIldLi16ELb0ELb0ELc78ELc85EKPKdKPdEviT_T0_PT6_S5_lS8_S5_lS6_PT7_S5_li
		.amdhsa_group_segment_fixed_size 4096
		.amdhsa_private_segment_fixed_size 0
		.amdhsa_kernarg_size 108
		.amdhsa_user_sgpr_count 6
		.amdhsa_user_sgpr_private_segment_buffer 1
		.amdhsa_user_sgpr_dispatch_ptr 0
		.amdhsa_user_sgpr_queue_ptr 0
		.amdhsa_user_sgpr_kernarg_segment_ptr 1
		.amdhsa_user_sgpr_dispatch_id 0
		.amdhsa_user_sgpr_flat_scratch_init 0
		.amdhsa_user_sgpr_private_segment_size 0
		.amdhsa_uses_dynamic_stack 0
		.amdhsa_system_sgpr_private_segment_wavefront_offset 0
		.amdhsa_system_sgpr_workgroup_id_x 1
		.amdhsa_system_sgpr_workgroup_id_y 1
		.amdhsa_system_sgpr_workgroup_id_z 1
		.amdhsa_system_sgpr_workgroup_info 0
		.amdhsa_system_vgpr_workitem_id 1
		.amdhsa_next_free_vgpr 30
		.amdhsa_next_free_sgpr 26
		.amdhsa_reserve_vcc 1
		.amdhsa_reserve_flat_scratch 0
		.amdhsa_float_round_mode_32 0
		.amdhsa_float_round_mode_16_64 0
		.amdhsa_float_denorm_mode_32 3
		.amdhsa_float_denorm_mode_16_64 3
		.amdhsa_dx10_clamp 1
		.amdhsa_ieee_mode 1
		.amdhsa_fp16_overflow 0
		.amdhsa_exception_fp_ieee_invalid_op 0
		.amdhsa_exception_fp_denorm_src 0
		.amdhsa_exception_fp_ieee_div_zero 0
		.amdhsa_exception_fp_ieee_overflow 0
		.amdhsa_exception_fp_ieee_underflow 0
		.amdhsa_exception_fp_ieee_inexact 0
		.amdhsa_exception_int_div_zero 0
	.end_amdhsa_kernel
	.section	.text._ZL41rocblas_syrkx_herkx_small_restrict_kernelIldLi16ELb0ELb0ELc78ELc85EKPKdKPdEviT_T0_PT6_S5_lS8_S5_lS6_PT7_S5_li,"axG",@progbits,_ZL41rocblas_syrkx_herkx_small_restrict_kernelIldLi16ELb0ELb0ELc78ELc85EKPKdKPdEviT_T0_PT6_S5_lS8_S5_lS6_PT7_S5_li,comdat
.Lfunc_end1512:
	.size	_ZL41rocblas_syrkx_herkx_small_restrict_kernelIldLi16ELb0ELb0ELc78ELc85EKPKdKPdEviT_T0_PT6_S5_lS8_S5_lS6_PT7_S5_li, .Lfunc_end1512-_ZL41rocblas_syrkx_herkx_small_restrict_kernelIldLi16ELb0ELb0ELc78ELc85EKPKdKPdEviT_T0_PT6_S5_lS8_S5_lS6_PT7_S5_li
                                        ; -- End function
	.set _ZL41rocblas_syrkx_herkx_small_restrict_kernelIldLi16ELb0ELb0ELc78ELc85EKPKdKPdEviT_T0_PT6_S5_lS8_S5_lS6_PT7_S5_li.num_vgpr, 30
	.set _ZL41rocblas_syrkx_herkx_small_restrict_kernelIldLi16ELb0ELb0ELc78ELc85EKPKdKPdEviT_T0_PT6_S5_lS8_S5_lS6_PT7_S5_li.num_agpr, 0
	.set _ZL41rocblas_syrkx_herkx_small_restrict_kernelIldLi16ELb0ELb0ELc78ELc85EKPKdKPdEviT_T0_PT6_S5_lS8_S5_lS6_PT7_S5_li.numbered_sgpr, 26
	.set _ZL41rocblas_syrkx_herkx_small_restrict_kernelIldLi16ELb0ELb0ELc78ELc85EKPKdKPdEviT_T0_PT6_S5_lS8_S5_lS6_PT7_S5_li.num_named_barrier, 0
	.set _ZL41rocblas_syrkx_herkx_small_restrict_kernelIldLi16ELb0ELb0ELc78ELc85EKPKdKPdEviT_T0_PT6_S5_lS8_S5_lS6_PT7_S5_li.private_seg_size, 0
	.set _ZL41rocblas_syrkx_herkx_small_restrict_kernelIldLi16ELb0ELb0ELc78ELc85EKPKdKPdEviT_T0_PT6_S5_lS8_S5_lS6_PT7_S5_li.uses_vcc, 1
	.set _ZL41rocblas_syrkx_herkx_small_restrict_kernelIldLi16ELb0ELb0ELc78ELc85EKPKdKPdEviT_T0_PT6_S5_lS8_S5_lS6_PT7_S5_li.uses_flat_scratch, 0
	.set _ZL41rocblas_syrkx_herkx_small_restrict_kernelIldLi16ELb0ELb0ELc78ELc85EKPKdKPdEviT_T0_PT6_S5_lS8_S5_lS6_PT7_S5_li.has_dyn_sized_stack, 0
	.set _ZL41rocblas_syrkx_herkx_small_restrict_kernelIldLi16ELb0ELb0ELc78ELc85EKPKdKPdEviT_T0_PT6_S5_lS8_S5_lS6_PT7_S5_li.has_recursion, 0
	.set _ZL41rocblas_syrkx_herkx_small_restrict_kernelIldLi16ELb0ELb0ELc78ELc85EKPKdKPdEviT_T0_PT6_S5_lS8_S5_lS6_PT7_S5_li.has_indirect_call, 0
	.section	.AMDGPU.csdata,"",@progbits
; Kernel info:
; codeLenInByte = 844
; TotalNumSgprs: 30
; NumVgprs: 30
; ScratchSize: 0
; MemoryBound: 0
; FloatMode: 240
; IeeeMode: 1
; LDSByteSize: 4096 bytes/workgroup (compile time only)
; SGPRBlocks: 3
; VGPRBlocks: 7
; NumSGPRsForWavesPerEU: 30
; NumVGPRsForWavesPerEU: 30
; Occupancy: 8
; WaveLimiterHint : 1
; COMPUTE_PGM_RSRC2:SCRATCH_EN: 0
; COMPUTE_PGM_RSRC2:USER_SGPR: 6
; COMPUTE_PGM_RSRC2:TRAP_HANDLER: 0
; COMPUTE_PGM_RSRC2:TGID_X_EN: 1
; COMPUTE_PGM_RSRC2:TGID_Y_EN: 1
; COMPUTE_PGM_RSRC2:TGID_Z_EN: 1
; COMPUTE_PGM_RSRC2:TIDIG_COMP_CNT: 1
	.section	.text._ZL32rocblas_syrkx_herkx_small_kernelIldLi16ELb1ELb0ELc84ELc76EKPKdKPdEviT_T0_PT6_S5_lS8_S5_lS6_PT7_S5_li,"axG",@progbits,_ZL32rocblas_syrkx_herkx_small_kernelIldLi16ELb1ELb0ELc84ELc76EKPKdKPdEviT_T0_PT6_S5_lS8_S5_lS6_PT7_S5_li,comdat
	.globl	_ZL32rocblas_syrkx_herkx_small_kernelIldLi16ELb1ELb0ELc84ELc76EKPKdKPdEviT_T0_PT6_S5_lS8_S5_lS6_PT7_S5_li ; -- Begin function _ZL32rocblas_syrkx_herkx_small_kernelIldLi16ELb1ELb0ELc84ELc76EKPKdKPdEviT_T0_PT6_S5_lS8_S5_lS6_PT7_S5_li
	.p2align	8
	.type	_ZL32rocblas_syrkx_herkx_small_kernelIldLi16ELb1ELb0ELc84ELc76EKPKdKPdEviT_T0_PT6_S5_lS8_S5_lS6_PT7_S5_li,@function
_ZL32rocblas_syrkx_herkx_small_kernelIldLi16ELb1ELb0ELc84ELc76EKPKdKPdEviT_T0_PT6_S5_lS8_S5_lS6_PT7_S5_li: ; @_ZL32rocblas_syrkx_herkx_small_kernelIldLi16ELb1ELb0ELc84ELc76EKPKdKPdEviT_T0_PT6_S5_lS8_S5_lS6_PT7_S5_li
; %bb.0:
	s_load_dwordx4 s[20:23], s[4:5], 0x50
	s_load_dword s10, s[4:5], 0x0
	s_load_dwordx8 s[12:19], s[4:5], 0x8
	s_mov_b32 s9, 0
	s_lshl_b64 s[2:3], s[8:9], 3
	s_waitcnt lgkmcnt(0)
	s_add_u32 s0, s20, s2
	s_addc_u32 s1, s21, s3
	s_load_dwordx2 s[8:9], s[0:1], 0x0
	v_cmp_lt_i64_e64 s[0:1], s[12:13], 1
	v_lshl_add_u32 v2, s6, 4, v0
	v_lshl_add_u32 v14, s7, 4, v1
	s_and_b64 vcc, exec, s[0:1]
	v_cmp_gt_i32_e64 s[0:1], s10, v2
	v_ashrrev_i32_e32 v3, 31, v2
	v_ashrrev_i32_e32 v15, 31, v14
	s_cbranch_vccnz .LBB1513_7
; %bb.1:
	s_load_dwordx4 s[4:7], s[4:5], 0x30
	v_lshlrev_b32_e32 v6, 7, v1
	v_lshlrev_b32_e32 v16, 3, v0
	v_add_u32_e32 v17, v16, v6
	v_add_u32_e32 v18, 0x800, v6
	s_waitcnt lgkmcnt(0)
	s_add_u32 s4, s4, s2
	s_addc_u32 s5, s5, s3
	s_add_u32 s2, s16, s2
	s_addc_u32 s3, s17, s3
	s_load_dwordx2 s[16:17], s[2:3], 0x0
	v_mul_lo_u32 v7, s7, v14
	v_mul_lo_u32 v8, s6, v15
	v_mad_u64_u32 v[4:5], s[2:3], s6, v14, 0
	s_load_dwordx2 s[4:5], s[4:5], 0x0
	v_mul_lo_u32 v9, s19, v2
	v_add3_u32 v5, v5, v8, v7
	v_mul_lo_u32 v10, s18, v3
	v_mad_u64_u32 v[6:7], s[6:7], s18, v2, 0
	v_lshlrev_b64 v[4:5], 3, v[4:5]
	s_waitcnt lgkmcnt(0)
	v_mov_b32_e32 v8, s5
	v_add_co_u32_e32 v4, vcc, v4, v16
	v_addc_co_u32_e32 v5, vcc, 0, v5, vcc
	v_add3_u32 v7, v7, v10, v9
	v_add_co_u32_e32 v4, vcc, s4, v4
	v_lshlrev_b64 v[6:7], 3, v[6:7]
	v_addc_co_u32_e32 v5, vcc, v8, v5, vcc
	v_lshlrev_b32_e32 v8, 3, v1
	v_add_co_u32_e32 v6, vcc, v6, v8
	v_addc_co_u32_e32 v7, vcc, 0, v7, vcc
	v_mov_b32_e32 v8, s17
	v_add_co_u32_e32 v6, vcc, s16, v6
	v_addc_co_u32_e32 v7, vcc, v8, v7, vcc
	v_mov_b32_e32 v10, 0
	v_mov_b32_e32 v8, s12
	v_cmp_gt_i32_e64 s[2:3], s10, v14
	v_add_u32_e32 v19, v18, v16
	v_mov_b32_e32 v11, 0
	s_mov_b64 s[6:7], 0
	v_mov_b32_e32 v9, s13
	s_branch .LBB1513_3
.LBB1513_2:                             ;   in Loop: Header=BB1513_3 Depth=1
	s_or_b64 exec, exec, s[4:5]
	s_waitcnt vmcnt(0) lgkmcnt(0)
	ds_write_b64 v19, v[12:13]
	s_waitcnt lgkmcnt(0)
	s_barrier
	ds_read2_b64 v[20:23], v16 offset1:16
	ds_read_b128 v[24:27], v18
	ds_read_b128 v[28:31], v18 offset:16
	s_add_u32 s6, s6, 16
	v_add_co_u32_e32 v4, vcc, 0x80, v4
	s_waitcnt lgkmcnt(1)
	v_fma_f64 v[10:11], v[20:21], v[24:25], v[10:11]
	s_addc_u32 s7, s7, 0
	v_addc_co_u32_e32 v5, vcc, 0, v5, vcc
	v_add_co_u32_e32 v6, vcc, 0x80, v6
	v_cmp_ge_i64_e64 s[4:5], s[6:7], v[8:9]
	v_addc_co_u32_e32 v7, vcc, 0, v7, vcc
	v_fma_f64 v[20:21], v[22:23], v[26:27], v[10:11]
	ds_read2_b64 v[10:13], v16 offset0:32 offset1:48
	s_and_b64 vcc, exec, s[4:5]
	s_waitcnt lgkmcnt(0)
	v_fma_f64 v[10:11], v[10:11], v[28:29], v[20:21]
	v_fma_f64 v[28:29], v[12:13], v[30:31], v[10:11]
	ds_read2_b64 v[10:13], v16 offset0:64 offset1:80
	ds_read_b128 v[20:23], v18 offset:32
	ds_read_b128 v[24:27], v18 offset:48
	s_waitcnt lgkmcnt(1)
	v_fma_f64 v[10:11], v[10:11], v[20:21], v[28:29]
	v_fma_f64 v[20:21], v[12:13], v[22:23], v[10:11]
	ds_read2_b64 v[10:13], v16 offset0:96 offset1:112
	s_waitcnt lgkmcnt(0)
	v_fma_f64 v[10:11], v[10:11], v[24:25], v[20:21]
	v_fma_f64 v[28:29], v[12:13], v[26:27], v[10:11]
	ds_read2_b64 v[10:13], v16 offset0:128 offset1:144
	ds_read_b128 v[20:23], v18 offset:64
	ds_read_b128 v[24:27], v18 offset:80
	s_waitcnt lgkmcnt(1)
	v_fma_f64 v[10:11], v[10:11], v[20:21], v[28:29]
	v_fma_f64 v[20:21], v[12:13], v[22:23], v[10:11]
	ds_read2_b64 v[10:13], v16 offset0:160 offset1:176
	;; [unrolled: 10-line block ×3, first 2 shown]
	s_waitcnt lgkmcnt(0)
	s_barrier
	v_fma_f64 v[10:11], v[10:11], v[24:25], v[20:21]
	v_fma_f64 v[10:11], v[12:13], v[26:27], v[10:11]
	s_cbranch_vccnz .LBB1513_8
.LBB1513_3:                             ; =>This Inner Loop Header: Depth=1
	v_mov_b32_e32 v13, s7
	v_add_co_u32_e32 v12, vcc, s6, v1
	v_addc_co_u32_e32 v13, vcc, 0, v13, vcc
	v_cmp_gt_i64_e32 vcc, s[12:13], v[12:13]
	v_mov_b32_e32 v12, 0
	v_mov_b32_e32 v13, 0
	s_and_b64 s[16:17], s[0:1], vcc
	s_and_saveexec_b64 s[4:5], s[16:17]
	s_cbranch_execz .LBB1513_5
; %bb.4:                                ;   in Loop: Header=BB1513_3 Depth=1
	flat_load_dwordx2 v[12:13], v[6:7]
.LBB1513_5:                             ;   in Loop: Header=BB1513_3 Depth=1
	s_or_b64 exec, exec, s[4:5]
	s_waitcnt vmcnt(0) lgkmcnt(0)
	ds_write_b64 v17, v[12:13]
	v_mov_b32_e32 v13, s7
	v_add_co_u32_e32 v12, vcc, s6, v0
	v_addc_co_u32_e32 v13, vcc, 0, v13, vcc
	v_cmp_gt_i64_e32 vcc, s[12:13], v[12:13]
	v_mov_b32_e32 v12, 0
	v_mov_b32_e32 v13, 0
	s_and_b64 s[16:17], s[2:3], vcc
	s_and_saveexec_b64 s[4:5], s[16:17]
	s_cbranch_execz .LBB1513_2
; %bb.6:                                ;   in Loop: Header=BB1513_3 Depth=1
	flat_load_dwordx2 v[12:13], v[4:5]
	s_branch .LBB1513_2
.LBB1513_7:
	v_mov_b32_e32 v10, 0
	v_mov_b32_e32 v11, 0
.LBB1513_8:
	v_cmp_le_i32_e32 vcc, v14, v2
	v_cmp_gt_i32_e64 s[0:1], s10, v2
	s_and_b64 s[0:1], vcc, s[0:1]
	s_and_saveexec_b64 s[2:3], s[0:1]
	s_cbranch_execz .LBB1513_10
; %bb.9:
	v_mul_lo_u32 v6, s23, v14
	v_mul_lo_u32 v7, s22, v15
	v_mad_u64_u32 v[0:1], s[0:1], s22, v14, 0
	v_mul_f64 v[4:5], s[14:15], v[10:11]
	v_add3_u32 v1, v1, v7, v6
	v_lshlrev_b64 v[0:1], 3, v[0:1]
	s_waitcnt lgkmcnt(0)
	v_mov_b32_e32 v6, s9
	v_add_co_u32_e32 v7, vcc, s8, v0
	v_addc_co_u32_e32 v6, vcc, v6, v1, vcc
	v_lshlrev_b64 v[0:1], 3, v[2:3]
	v_add_co_u32_e32 v0, vcc, v7, v0
	v_addc_co_u32_e32 v1, vcc, v6, v1, vcc
	flat_store_dwordx2 v[0:1], v[4:5]
.LBB1513_10:
	s_endpgm
	.section	.rodata,"a",@progbits
	.p2align	6, 0x0
	.amdhsa_kernel _ZL32rocblas_syrkx_herkx_small_kernelIldLi16ELb1ELb0ELc84ELc76EKPKdKPdEviT_T0_PT6_S5_lS8_S5_lS6_PT7_S5_li
		.amdhsa_group_segment_fixed_size 4096
		.amdhsa_private_segment_fixed_size 0
		.amdhsa_kernarg_size 108
		.amdhsa_user_sgpr_count 6
		.amdhsa_user_sgpr_private_segment_buffer 1
		.amdhsa_user_sgpr_dispatch_ptr 0
		.amdhsa_user_sgpr_queue_ptr 0
		.amdhsa_user_sgpr_kernarg_segment_ptr 1
		.amdhsa_user_sgpr_dispatch_id 0
		.amdhsa_user_sgpr_flat_scratch_init 0
		.amdhsa_user_sgpr_private_segment_size 0
		.amdhsa_uses_dynamic_stack 0
		.amdhsa_system_sgpr_private_segment_wavefront_offset 0
		.amdhsa_system_sgpr_workgroup_id_x 1
		.amdhsa_system_sgpr_workgroup_id_y 1
		.amdhsa_system_sgpr_workgroup_id_z 1
		.amdhsa_system_sgpr_workgroup_info 0
		.amdhsa_system_vgpr_workitem_id 1
		.amdhsa_next_free_vgpr 32
		.amdhsa_next_free_sgpr 24
		.amdhsa_reserve_vcc 1
		.amdhsa_reserve_flat_scratch 0
		.amdhsa_float_round_mode_32 0
		.amdhsa_float_round_mode_16_64 0
		.amdhsa_float_denorm_mode_32 3
		.amdhsa_float_denorm_mode_16_64 3
		.amdhsa_dx10_clamp 1
		.amdhsa_ieee_mode 1
		.amdhsa_fp16_overflow 0
		.amdhsa_exception_fp_ieee_invalid_op 0
		.amdhsa_exception_fp_denorm_src 0
		.amdhsa_exception_fp_ieee_div_zero 0
		.amdhsa_exception_fp_ieee_overflow 0
		.amdhsa_exception_fp_ieee_underflow 0
		.amdhsa_exception_fp_ieee_inexact 0
		.amdhsa_exception_int_div_zero 0
	.end_amdhsa_kernel
	.section	.text._ZL32rocblas_syrkx_herkx_small_kernelIldLi16ELb1ELb0ELc84ELc76EKPKdKPdEviT_T0_PT6_S5_lS8_S5_lS6_PT7_S5_li,"axG",@progbits,_ZL32rocblas_syrkx_herkx_small_kernelIldLi16ELb1ELb0ELc84ELc76EKPKdKPdEviT_T0_PT6_S5_lS8_S5_lS6_PT7_S5_li,comdat
.Lfunc_end1513:
	.size	_ZL32rocblas_syrkx_herkx_small_kernelIldLi16ELb1ELb0ELc84ELc76EKPKdKPdEviT_T0_PT6_S5_lS8_S5_lS6_PT7_S5_li, .Lfunc_end1513-_ZL32rocblas_syrkx_herkx_small_kernelIldLi16ELb1ELb0ELc84ELc76EKPKdKPdEviT_T0_PT6_S5_lS8_S5_lS6_PT7_S5_li
                                        ; -- End function
	.set _ZL32rocblas_syrkx_herkx_small_kernelIldLi16ELb1ELb0ELc84ELc76EKPKdKPdEviT_T0_PT6_S5_lS8_S5_lS6_PT7_S5_li.num_vgpr, 32
	.set _ZL32rocblas_syrkx_herkx_small_kernelIldLi16ELb1ELb0ELc84ELc76EKPKdKPdEviT_T0_PT6_S5_lS8_S5_lS6_PT7_S5_li.num_agpr, 0
	.set _ZL32rocblas_syrkx_herkx_small_kernelIldLi16ELb1ELb0ELc84ELc76EKPKdKPdEviT_T0_PT6_S5_lS8_S5_lS6_PT7_S5_li.numbered_sgpr, 24
	.set _ZL32rocblas_syrkx_herkx_small_kernelIldLi16ELb1ELb0ELc84ELc76EKPKdKPdEviT_T0_PT6_S5_lS8_S5_lS6_PT7_S5_li.num_named_barrier, 0
	.set _ZL32rocblas_syrkx_herkx_small_kernelIldLi16ELb1ELb0ELc84ELc76EKPKdKPdEviT_T0_PT6_S5_lS8_S5_lS6_PT7_S5_li.private_seg_size, 0
	.set _ZL32rocblas_syrkx_herkx_small_kernelIldLi16ELb1ELb0ELc84ELc76EKPKdKPdEviT_T0_PT6_S5_lS8_S5_lS6_PT7_S5_li.uses_vcc, 1
	.set _ZL32rocblas_syrkx_herkx_small_kernelIldLi16ELb1ELb0ELc84ELc76EKPKdKPdEviT_T0_PT6_S5_lS8_S5_lS6_PT7_S5_li.uses_flat_scratch, 0
	.set _ZL32rocblas_syrkx_herkx_small_kernelIldLi16ELb1ELb0ELc84ELc76EKPKdKPdEviT_T0_PT6_S5_lS8_S5_lS6_PT7_S5_li.has_dyn_sized_stack, 0
	.set _ZL32rocblas_syrkx_herkx_small_kernelIldLi16ELb1ELb0ELc84ELc76EKPKdKPdEviT_T0_PT6_S5_lS8_S5_lS6_PT7_S5_li.has_recursion, 0
	.set _ZL32rocblas_syrkx_herkx_small_kernelIldLi16ELb1ELb0ELc84ELc76EKPKdKPdEviT_T0_PT6_S5_lS8_S5_lS6_PT7_S5_li.has_indirect_call, 0
	.section	.AMDGPU.csdata,"",@progbits
; Kernel info:
; codeLenInByte = 924
; TotalNumSgprs: 28
; NumVgprs: 32
; ScratchSize: 0
; MemoryBound: 0
; FloatMode: 240
; IeeeMode: 1
; LDSByteSize: 4096 bytes/workgroup (compile time only)
; SGPRBlocks: 3
; VGPRBlocks: 7
; NumSGPRsForWavesPerEU: 28
; NumVGPRsForWavesPerEU: 32
; Occupancy: 8
; WaveLimiterHint : 1
; COMPUTE_PGM_RSRC2:SCRATCH_EN: 0
; COMPUTE_PGM_RSRC2:USER_SGPR: 6
; COMPUTE_PGM_RSRC2:TRAP_HANDLER: 0
; COMPUTE_PGM_RSRC2:TGID_X_EN: 1
; COMPUTE_PGM_RSRC2:TGID_Y_EN: 1
; COMPUTE_PGM_RSRC2:TGID_Z_EN: 1
; COMPUTE_PGM_RSRC2:TIDIG_COMP_CNT: 1
	.section	.text._ZL32rocblas_syrkx_herkx_small_kernelIldLi16ELb1ELb0ELc67ELc76EKPKdKPdEviT_T0_PT6_S5_lS8_S5_lS6_PT7_S5_li,"axG",@progbits,_ZL32rocblas_syrkx_herkx_small_kernelIldLi16ELb1ELb0ELc67ELc76EKPKdKPdEviT_T0_PT6_S5_lS8_S5_lS6_PT7_S5_li,comdat
	.globl	_ZL32rocblas_syrkx_herkx_small_kernelIldLi16ELb1ELb0ELc67ELc76EKPKdKPdEviT_T0_PT6_S5_lS8_S5_lS6_PT7_S5_li ; -- Begin function _ZL32rocblas_syrkx_herkx_small_kernelIldLi16ELb1ELb0ELc67ELc76EKPKdKPdEviT_T0_PT6_S5_lS8_S5_lS6_PT7_S5_li
	.p2align	8
	.type	_ZL32rocblas_syrkx_herkx_small_kernelIldLi16ELb1ELb0ELc67ELc76EKPKdKPdEviT_T0_PT6_S5_lS8_S5_lS6_PT7_S5_li,@function
_ZL32rocblas_syrkx_herkx_small_kernelIldLi16ELb1ELb0ELc67ELc76EKPKdKPdEviT_T0_PT6_S5_lS8_S5_lS6_PT7_S5_li: ; @_ZL32rocblas_syrkx_herkx_small_kernelIldLi16ELb1ELb0ELc67ELc76EKPKdKPdEviT_T0_PT6_S5_lS8_S5_lS6_PT7_S5_li
; %bb.0:
	s_load_dwordx4 s[20:23], s[4:5], 0x50
	s_load_dword s10, s[4:5], 0x0
	s_load_dwordx8 s[12:19], s[4:5], 0x8
	s_mov_b32 s9, 0
	s_lshl_b64 s[2:3], s[8:9], 3
	s_waitcnt lgkmcnt(0)
	s_add_u32 s0, s20, s2
	s_addc_u32 s1, s21, s3
	s_load_dwordx2 s[8:9], s[0:1], 0x0
	v_cmp_lt_i64_e64 s[0:1], s[12:13], 1
	v_lshl_add_u32 v2, s6, 4, v0
	v_lshl_add_u32 v14, s7, 4, v1
	s_and_b64 vcc, exec, s[0:1]
	v_cmp_gt_i32_e64 s[0:1], s10, v2
	v_ashrrev_i32_e32 v3, 31, v2
	v_ashrrev_i32_e32 v15, 31, v14
	s_cbranch_vccnz .LBB1514_7
; %bb.1:
	s_load_dwordx4 s[4:7], s[4:5], 0x30
	v_lshlrev_b32_e32 v6, 7, v1
	v_lshlrev_b32_e32 v16, 3, v0
	v_add_u32_e32 v17, v16, v6
	v_add_u32_e32 v18, 0x800, v6
	s_waitcnt lgkmcnt(0)
	s_add_u32 s4, s4, s2
	s_addc_u32 s5, s5, s3
	s_add_u32 s2, s16, s2
	s_addc_u32 s3, s17, s3
	s_load_dwordx2 s[16:17], s[2:3], 0x0
	v_mul_lo_u32 v7, s7, v14
	v_mul_lo_u32 v8, s6, v15
	v_mad_u64_u32 v[4:5], s[2:3], s6, v14, 0
	s_load_dwordx2 s[4:5], s[4:5], 0x0
	v_mul_lo_u32 v9, s19, v2
	v_add3_u32 v5, v5, v8, v7
	v_mul_lo_u32 v10, s18, v3
	v_mad_u64_u32 v[6:7], s[6:7], s18, v2, 0
	v_lshlrev_b64 v[4:5], 3, v[4:5]
	s_waitcnt lgkmcnt(0)
	v_mov_b32_e32 v8, s5
	v_add_co_u32_e32 v4, vcc, v4, v16
	v_addc_co_u32_e32 v5, vcc, 0, v5, vcc
	v_add3_u32 v7, v7, v10, v9
	v_add_co_u32_e32 v4, vcc, s4, v4
	v_lshlrev_b64 v[6:7], 3, v[6:7]
	v_addc_co_u32_e32 v5, vcc, v8, v5, vcc
	v_lshlrev_b32_e32 v8, 3, v1
	v_add_co_u32_e32 v6, vcc, v6, v8
	v_addc_co_u32_e32 v7, vcc, 0, v7, vcc
	v_mov_b32_e32 v8, s17
	v_add_co_u32_e32 v6, vcc, s16, v6
	v_addc_co_u32_e32 v7, vcc, v8, v7, vcc
	v_mov_b32_e32 v10, 0
	v_mov_b32_e32 v8, s12
	v_cmp_gt_i32_e64 s[2:3], s10, v14
	v_add_u32_e32 v19, v18, v16
	v_mov_b32_e32 v11, 0
	s_mov_b64 s[6:7], 0
	v_mov_b32_e32 v9, s13
	s_branch .LBB1514_3
.LBB1514_2:                             ;   in Loop: Header=BB1514_3 Depth=1
	s_or_b64 exec, exec, s[4:5]
	s_waitcnt vmcnt(0) lgkmcnt(0)
	ds_write_b64 v19, v[12:13]
	s_waitcnt lgkmcnt(0)
	s_barrier
	ds_read2_b64 v[20:23], v16 offset1:16
	ds_read_b128 v[24:27], v18
	ds_read_b128 v[28:31], v18 offset:16
	s_add_u32 s6, s6, 16
	v_add_co_u32_e32 v4, vcc, 0x80, v4
	s_waitcnt lgkmcnt(1)
	v_fma_f64 v[10:11], v[20:21], v[24:25], v[10:11]
	s_addc_u32 s7, s7, 0
	v_addc_co_u32_e32 v5, vcc, 0, v5, vcc
	v_add_co_u32_e32 v6, vcc, 0x80, v6
	v_cmp_ge_i64_e64 s[4:5], s[6:7], v[8:9]
	v_addc_co_u32_e32 v7, vcc, 0, v7, vcc
	v_fma_f64 v[20:21], v[22:23], v[26:27], v[10:11]
	ds_read2_b64 v[10:13], v16 offset0:32 offset1:48
	s_and_b64 vcc, exec, s[4:5]
	s_waitcnt lgkmcnt(0)
	v_fma_f64 v[10:11], v[10:11], v[28:29], v[20:21]
	v_fma_f64 v[28:29], v[12:13], v[30:31], v[10:11]
	ds_read2_b64 v[10:13], v16 offset0:64 offset1:80
	ds_read_b128 v[20:23], v18 offset:32
	ds_read_b128 v[24:27], v18 offset:48
	s_waitcnt lgkmcnt(1)
	v_fma_f64 v[10:11], v[10:11], v[20:21], v[28:29]
	v_fma_f64 v[20:21], v[12:13], v[22:23], v[10:11]
	ds_read2_b64 v[10:13], v16 offset0:96 offset1:112
	s_waitcnt lgkmcnt(0)
	v_fma_f64 v[10:11], v[10:11], v[24:25], v[20:21]
	v_fma_f64 v[28:29], v[12:13], v[26:27], v[10:11]
	ds_read2_b64 v[10:13], v16 offset0:128 offset1:144
	ds_read_b128 v[20:23], v18 offset:64
	ds_read_b128 v[24:27], v18 offset:80
	s_waitcnt lgkmcnt(1)
	v_fma_f64 v[10:11], v[10:11], v[20:21], v[28:29]
	v_fma_f64 v[20:21], v[12:13], v[22:23], v[10:11]
	ds_read2_b64 v[10:13], v16 offset0:160 offset1:176
	;; [unrolled: 10-line block ×3, first 2 shown]
	s_waitcnt lgkmcnt(0)
	s_barrier
	v_fma_f64 v[10:11], v[10:11], v[24:25], v[20:21]
	v_fma_f64 v[10:11], v[12:13], v[26:27], v[10:11]
	s_cbranch_vccnz .LBB1514_8
.LBB1514_3:                             ; =>This Inner Loop Header: Depth=1
	v_mov_b32_e32 v13, s7
	v_add_co_u32_e32 v12, vcc, s6, v1
	v_addc_co_u32_e32 v13, vcc, 0, v13, vcc
	v_cmp_gt_i64_e32 vcc, s[12:13], v[12:13]
	v_mov_b32_e32 v12, 0
	v_mov_b32_e32 v13, 0
	s_and_b64 s[16:17], s[0:1], vcc
	s_and_saveexec_b64 s[4:5], s[16:17]
	s_cbranch_execz .LBB1514_5
; %bb.4:                                ;   in Loop: Header=BB1514_3 Depth=1
	flat_load_dwordx2 v[12:13], v[6:7]
.LBB1514_5:                             ;   in Loop: Header=BB1514_3 Depth=1
	s_or_b64 exec, exec, s[4:5]
	s_waitcnt vmcnt(0) lgkmcnt(0)
	ds_write_b64 v17, v[12:13]
	v_mov_b32_e32 v13, s7
	v_add_co_u32_e32 v12, vcc, s6, v0
	v_addc_co_u32_e32 v13, vcc, 0, v13, vcc
	v_cmp_gt_i64_e32 vcc, s[12:13], v[12:13]
	v_mov_b32_e32 v12, 0
	v_mov_b32_e32 v13, 0
	s_and_b64 s[16:17], s[2:3], vcc
	s_and_saveexec_b64 s[4:5], s[16:17]
	s_cbranch_execz .LBB1514_2
; %bb.6:                                ;   in Loop: Header=BB1514_3 Depth=1
	flat_load_dwordx2 v[12:13], v[4:5]
	s_branch .LBB1514_2
.LBB1514_7:
	v_mov_b32_e32 v10, 0
	v_mov_b32_e32 v11, 0
.LBB1514_8:
	v_cmp_le_i32_e32 vcc, v14, v2
	v_cmp_gt_i32_e64 s[0:1], s10, v2
	s_and_b64 s[0:1], vcc, s[0:1]
	s_and_saveexec_b64 s[2:3], s[0:1]
	s_cbranch_execz .LBB1514_10
; %bb.9:
	v_mul_lo_u32 v6, s23, v14
	v_mul_lo_u32 v7, s22, v15
	v_mad_u64_u32 v[0:1], s[0:1], s22, v14, 0
	v_mul_f64 v[4:5], s[14:15], v[10:11]
	v_add3_u32 v1, v1, v7, v6
	v_lshlrev_b64 v[0:1], 3, v[0:1]
	s_waitcnt lgkmcnt(0)
	v_mov_b32_e32 v6, s9
	v_add_co_u32_e32 v7, vcc, s8, v0
	v_addc_co_u32_e32 v6, vcc, v6, v1, vcc
	v_lshlrev_b64 v[0:1], 3, v[2:3]
	v_add_co_u32_e32 v0, vcc, v7, v0
	v_addc_co_u32_e32 v1, vcc, v6, v1, vcc
	flat_store_dwordx2 v[0:1], v[4:5]
.LBB1514_10:
	s_endpgm
	.section	.rodata,"a",@progbits
	.p2align	6, 0x0
	.amdhsa_kernel _ZL32rocblas_syrkx_herkx_small_kernelIldLi16ELb1ELb0ELc67ELc76EKPKdKPdEviT_T0_PT6_S5_lS8_S5_lS6_PT7_S5_li
		.amdhsa_group_segment_fixed_size 4096
		.amdhsa_private_segment_fixed_size 0
		.amdhsa_kernarg_size 108
		.amdhsa_user_sgpr_count 6
		.amdhsa_user_sgpr_private_segment_buffer 1
		.amdhsa_user_sgpr_dispatch_ptr 0
		.amdhsa_user_sgpr_queue_ptr 0
		.amdhsa_user_sgpr_kernarg_segment_ptr 1
		.amdhsa_user_sgpr_dispatch_id 0
		.amdhsa_user_sgpr_flat_scratch_init 0
		.amdhsa_user_sgpr_private_segment_size 0
		.amdhsa_uses_dynamic_stack 0
		.amdhsa_system_sgpr_private_segment_wavefront_offset 0
		.amdhsa_system_sgpr_workgroup_id_x 1
		.amdhsa_system_sgpr_workgroup_id_y 1
		.amdhsa_system_sgpr_workgroup_id_z 1
		.amdhsa_system_sgpr_workgroup_info 0
		.amdhsa_system_vgpr_workitem_id 1
		.amdhsa_next_free_vgpr 32
		.amdhsa_next_free_sgpr 24
		.amdhsa_reserve_vcc 1
		.amdhsa_reserve_flat_scratch 0
		.amdhsa_float_round_mode_32 0
		.amdhsa_float_round_mode_16_64 0
		.amdhsa_float_denorm_mode_32 3
		.amdhsa_float_denorm_mode_16_64 3
		.amdhsa_dx10_clamp 1
		.amdhsa_ieee_mode 1
		.amdhsa_fp16_overflow 0
		.amdhsa_exception_fp_ieee_invalid_op 0
		.amdhsa_exception_fp_denorm_src 0
		.amdhsa_exception_fp_ieee_div_zero 0
		.amdhsa_exception_fp_ieee_overflow 0
		.amdhsa_exception_fp_ieee_underflow 0
		.amdhsa_exception_fp_ieee_inexact 0
		.amdhsa_exception_int_div_zero 0
	.end_amdhsa_kernel
	.section	.text._ZL32rocblas_syrkx_herkx_small_kernelIldLi16ELb1ELb0ELc67ELc76EKPKdKPdEviT_T0_PT6_S5_lS8_S5_lS6_PT7_S5_li,"axG",@progbits,_ZL32rocblas_syrkx_herkx_small_kernelIldLi16ELb1ELb0ELc67ELc76EKPKdKPdEviT_T0_PT6_S5_lS8_S5_lS6_PT7_S5_li,comdat
.Lfunc_end1514:
	.size	_ZL32rocblas_syrkx_herkx_small_kernelIldLi16ELb1ELb0ELc67ELc76EKPKdKPdEviT_T0_PT6_S5_lS8_S5_lS6_PT7_S5_li, .Lfunc_end1514-_ZL32rocblas_syrkx_herkx_small_kernelIldLi16ELb1ELb0ELc67ELc76EKPKdKPdEviT_T0_PT6_S5_lS8_S5_lS6_PT7_S5_li
                                        ; -- End function
	.set _ZL32rocblas_syrkx_herkx_small_kernelIldLi16ELb1ELb0ELc67ELc76EKPKdKPdEviT_T0_PT6_S5_lS8_S5_lS6_PT7_S5_li.num_vgpr, 32
	.set _ZL32rocblas_syrkx_herkx_small_kernelIldLi16ELb1ELb0ELc67ELc76EKPKdKPdEviT_T0_PT6_S5_lS8_S5_lS6_PT7_S5_li.num_agpr, 0
	.set _ZL32rocblas_syrkx_herkx_small_kernelIldLi16ELb1ELb0ELc67ELc76EKPKdKPdEviT_T0_PT6_S5_lS8_S5_lS6_PT7_S5_li.numbered_sgpr, 24
	.set _ZL32rocblas_syrkx_herkx_small_kernelIldLi16ELb1ELb0ELc67ELc76EKPKdKPdEviT_T0_PT6_S5_lS8_S5_lS6_PT7_S5_li.num_named_barrier, 0
	.set _ZL32rocblas_syrkx_herkx_small_kernelIldLi16ELb1ELb0ELc67ELc76EKPKdKPdEviT_T0_PT6_S5_lS8_S5_lS6_PT7_S5_li.private_seg_size, 0
	.set _ZL32rocblas_syrkx_herkx_small_kernelIldLi16ELb1ELb0ELc67ELc76EKPKdKPdEviT_T0_PT6_S5_lS8_S5_lS6_PT7_S5_li.uses_vcc, 1
	.set _ZL32rocblas_syrkx_herkx_small_kernelIldLi16ELb1ELb0ELc67ELc76EKPKdKPdEviT_T0_PT6_S5_lS8_S5_lS6_PT7_S5_li.uses_flat_scratch, 0
	.set _ZL32rocblas_syrkx_herkx_small_kernelIldLi16ELb1ELb0ELc67ELc76EKPKdKPdEviT_T0_PT6_S5_lS8_S5_lS6_PT7_S5_li.has_dyn_sized_stack, 0
	.set _ZL32rocblas_syrkx_herkx_small_kernelIldLi16ELb1ELb0ELc67ELc76EKPKdKPdEviT_T0_PT6_S5_lS8_S5_lS6_PT7_S5_li.has_recursion, 0
	.set _ZL32rocblas_syrkx_herkx_small_kernelIldLi16ELb1ELb0ELc67ELc76EKPKdKPdEviT_T0_PT6_S5_lS8_S5_lS6_PT7_S5_li.has_indirect_call, 0
	.section	.AMDGPU.csdata,"",@progbits
; Kernel info:
; codeLenInByte = 924
; TotalNumSgprs: 28
; NumVgprs: 32
; ScratchSize: 0
; MemoryBound: 0
; FloatMode: 240
; IeeeMode: 1
; LDSByteSize: 4096 bytes/workgroup (compile time only)
; SGPRBlocks: 3
; VGPRBlocks: 7
; NumSGPRsForWavesPerEU: 28
; NumVGPRsForWavesPerEU: 32
; Occupancy: 8
; WaveLimiterHint : 1
; COMPUTE_PGM_RSRC2:SCRATCH_EN: 0
; COMPUTE_PGM_RSRC2:USER_SGPR: 6
; COMPUTE_PGM_RSRC2:TRAP_HANDLER: 0
; COMPUTE_PGM_RSRC2:TGID_X_EN: 1
; COMPUTE_PGM_RSRC2:TGID_Y_EN: 1
; COMPUTE_PGM_RSRC2:TGID_Z_EN: 1
; COMPUTE_PGM_RSRC2:TIDIG_COMP_CNT: 1
	.section	.text._ZL32rocblas_syrkx_herkx_small_kernelIldLi16ELb1ELb0ELc78ELc76EKPKdKPdEviT_T0_PT6_S5_lS8_S5_lS6_PT7_S5_li,"axG",@progbits,_ZL32rocblas_syrkx_herkx_small_kernelIldLi16ELb1ELb0ELc78ELc76EKPKdKPdEviT_T0_PT6_S5_lS8_S5_lS6_PT7_S5_li,comdat
	.globl	_ZL32rocblas_syrkx_herkx_small_kernelIldLi16ELb1ELb0ELc78ELc76EKPKdKPdEviT_T0_PT6_S5_lS8_S5_lS6_PT7_S5_li ; -- Begin function _ZL32rocblas_syrkx_herkx_small_kernelIldLi16ELb1ELb0ELc78ELc76EKPKdKPdEviT_T0_PT6_S5_lS8_S5_lS6_PT7_S5_li
	.p2align	8
	.type	_ZL32rocblas_syrkx_herkx_small_kernelIldLi16ELb1ELb0ELc78ELc76EKPKdKPdEviT_T0_PT6_S5_lS8_S5_lS6_PT7_S5_li,@function
_ZL32rocblas_syrkx_herkx_small_kernelIldLi16ELb1ELb0ELc78ELc76EKPKdKPdEviT_T0_PT6_S5_lS8_S5_lS6_PT7_S5_li: ; @_ZL32rocblas_syrkx_herkx_small_kernelIldLi16ELb1ELb0ELc78ELc76EKPKdKPdEviT_T0_PT6_S5_lS8_S5_lS6_PT7_S5_li
; %bb.0:
	s_load_dwordx4 s[20:23], s[4:5], 0x50
	s_load_dword s24, s[4:5], 0x0
	s_load_dwordx8 s[12:19], s[4:5], 0x8
	s_mov_b32 s9, 0
	s_lshl_b64 s[2:3], s[8:9], 3
	s_waitcnt lgkmcnt(0)
	s_add_u32 s0, s20, s2
	s_addc_u32 s1, s21, s3
	s_load_dwordx2 s[8:9], s[0:1], 0x0
	v_cmp_lt_i64_e64 s[0:1], s[12:13], 1
	v_lshl_add_u32 v2, s6, 4, v0
	v_lshl_add_u32 v4, s7, 4, v1
	s_and_b64 vcc, exec, s[0:1]
	v_cmp_gt_i32_e64 s[0:1], s24, v2
	v_ashrrev_i32_e32 v3, 31, v2
	v_ashrrev_i32_e32 v5, 31, v4
	s_cbranch_vccnz .LBB1515_7
; %bb.1:
	s_load_dwordx4 s[4:7], s[4:5], 0x30
	v_lshlrev_b32_e32 v9, 7, v1
	v_lshlrev_b32_e32 v16, 3, v0
	v_add_u32_e32 v17, v16, v9
	v_add_u32_e32 v18, 0x800, v9
	s_waitcnt lgkmcnt(0)
	s_add_u32 s4, s4, s2
	v_mad_u64_u32 v[6:7], s[10:11], s6, v0, 0
	s_addc_u32 s5, s5, s3
	s_add_u32 s2, s16, s2
	s_addc_u32 s3, s17, s3
	s_load_dwordx2 s[10:11], s[2:3], 0x0
	v_mad_u64_u32 v[7:8], s[2:3], s7, v0, v[7:8]
	v_mad_u64_u32 v[10:11], s[16:17], s18, v1, 0
	v_lshlrev_b64 v[6:7], 3, v[6:7]
	v_lshlrev_b64 v[8:9], 3, v[4:5]
	s_load_dwordx2 s[4:5], s[4:5], 0x0
	v_add_co_u32_e32 v12, vcc, v6, v8
	v_addc_co_u32_e32 v7, vcc, v7, v9, vcc
	v_mov_b32_e32 v6, v11
	v_mad_u64_u32 v[8:9], s[16:17], s19, v1, v[6:7]
	s_waitcnt lgkmcnt(0)
	v_mov_b32_e32 v13, s5
	v_add_co_u32_e32 v6, vcc, s4, v12
	v_mov_b32_e32 v11, v8
	v_lshlrev_b64 v[8:9], 3, v[10:11]
	v_lshlrev_b64 v[10:11], 3, v[2:3]
	v_addc_co_u32_e32 v7, vcc, v13, v7, vcc
	v_add_co_u32_e32 v8, vcc, v8, v10
	v_addc_co_u32_e32 v9, vcc, v9, v11, vcc
	v_mov_b32_e32 v10, s11
	v_add_co_u32_e32 v8, vcc, s10, v8
	s_lshl_b64 s[6:7], s[6:7], 7
	v_addc_co_u32_e32 v9, vcc, v10, v9, vcc
	s_lshl_b64 s[10:11], s[18:19], 7
	v_mov_b32_e32 v12, 0
	v_mov_b32_e32 v10, s12
	v_cmp_gt_i32_e64 s[2:3], s24, v4
	v_add_u32_e32 v19, v18, v16
	v_mov_b32_e32 v13, 0
	s_mov_b64 s[16:17], 0
	v_mov_b32_e32 v20, s7
	v_mov_b32_e32 v21, s11
	;; [unrolled: 1-line block ×3, first 2 shown]
	s_branch .LBB1515_3
.LBB1515_2:                             ;   in Loop: Header=BB1515_3 Depth=1
	s_or_b64 exec, exec, s[4:5]
	s_waitcnt vmcnt(0) lgkmcnt(0)
	ds_write_b64 v19, v[14:15]
	s_waitcnt lgkmcnt(0)
	s_barrier
	ds_read2_b64 v[22:25], v16 offset1:16
	ds_read_b128 v[26:29], v18
	ds_read_b128 v[30:33], v18 offset:16
	s_add_u32 s16, s16, 16
	v_add_co_u32_e32 v6, vcc, s6, v6
	s_waitcnt lgkmcnt(1)
	v_fma_f64 v[12:13], v[22:23], v[26:27], v[12:13]
	v_addc_co_u32_e32 v7, vcc, v7, v20, vcc
	s_addc_u32 s17, s17, 0
	v_cmp_ge_i64_e32 vcc, s[16:17], v[10:11]
	v_add_co_u32_e64 v8, s[4:5], s10, v8
	v_addc_co_u32_e64 v9, s[4:5], v9, v21, s[4:5]
	v_fma_f64 v[22:23], v[24:25], v[28:29], v[12:13]
	ds_read2_b64 v[12:15], v16 offset0:32 offset1:48
	s_and_b64 vcc, exec, vcc
	s_waitcnt lgkmcnt(0)
	v_fma_f64 v[12:13], v[12:13], v[30:31], v[22:23]
	v_fma_f64 v[30:31], v[14:15], v[32:33], v[12:13]
	ds_read2_b64 v[12:15], v16 offset0:64 offset1:80
	ds_read_b128 v[22:25], v18 offset:32
	ds_read_b128 v[26:29], v18 offset:48
	s_waitcnt lgkmcnt(1)
	v_fma_f64 v[12:13], v[12:13], v[22:23], v[30:31]
	v_fma_f64 v[22:23], v[14:15], v[24:25], v[12:13]
	ds_read2_b64 v[12:15], v16 offset0:96 offset1:112
	s_waitcnt lgkmcnt(0)
	v_fma_f64 v[12:13], v[12:13], v[26:27], v[22:23]
	v_fma_f64 v[30:31], v[14:15], v[28:29], v[12:13]
	ds_read2_b64 v[12:15], v16 offset0:128 offset1:144
	ds_read_b128 v[22:25], v18 offset:64
	ds_read_b128 v[26:29], v18 offset:80
	s_waitcnt lgkmcnt(1)
	v_fma_f64 v[12:13], v[12:13], v[22:23], v[30:31]
	v_fma_f64 v[22:23], v[14:15], v[24:25], v[12:13]
	ds_read2_b64 v[12:15], v16 offset0:160 offset1:176
	;; [unrolled: 10-line block ×3, first 2 shown]
	s_waitcnt lgkmcnt(0)
	s_barrier
	v_fma_f64 v[12:13], v[12:13], v[26:27], v[22:23]
	v_fma_f64 v[12:13], v[14:15], v[28:29], v[12:13]
	s_cbranch_vccnz .LBB1515_8
.LBB1515_3:                             ; =>This Inner Loop Header: Depth=1
	v_mov_b32_e32 v15, s17
	v_add_co_u32_e32 v14, vcc, s16, v1
	v_addc_co_u32_e32 v15, vcc, 0, v15, vcc
	v_cmp_gt_i64_e32 vcc, s[12:13], v[14:15]
	v_mov_b32_e32 v14, 0
	v_mov_b32_e32 v15, 0
	s_and_b64 s[18:19], s[0:1], vcc
	s_and_saveexec_b64 s[4:5], s[18:19]
	s_cbranch_execz .LBB1515_5
; %bb.4:                                ;   in Loop: Header=BB1515_3 Depth=1
	flat_load_dwordx2 v[14:15], v[8:9]
.LBB1515_5:                             ;   in Loop: Header=BB1515_3 Depth=1
	s_or_b64 exec, exec, s[4:5]
	s_waitcnt vmcnt(0) lgkmcnt(0)
	ds_write_b64 v17, v[14:15]
	v_mov_b32_e32 v15, s17
	v_add_co_u32_e32 v14, vcc, s16, v0
	v_addc_co_u32_e32 v15, vcc, 0, v15, vcc
	v_cmp_gt_i64_e32 vcc, s[12:13], v[14:15]
	v_mov_b32_e32 v14, 0
	v_mov_b32_e32 v15, 0
	s_and_b64 s[18:19], s[2:3], vcc
	s_and_saveexec_b64 s[4:5], s[18:19]
	s_cbranch_execz .LBB1515_2
; %bb.6:                                ;   in Loop: Header=BB1515_3 Depth=1
	flat_load_dwordx2 v[14:15], v[6:7]
	s_branch .LBB1515_2
.LBB1515_7:
	v_mov_b32_e32 v12, 0
	v_mov_b32_e32 v13, 0
.LBB1515_8:
	v_cmp_le_i32_e32 vcc, v4, v2
	v_cmp_gt_i32_e64 s[0:1], s24, v2
	s_and_b64 s[0:1], vcc, s[0:1]
	s_and_saveexec_b64 s[2:3], s[0:1]
	s_cbranch_execz .LBB1515_10
; %bb.9:
	v_mul_lo_u32 v6, s23, v4
	v_mul_lo_u32 v7, s22, v5
	v_mad_u64_u32 v[0:1], s[0:1], s22, v4, 0
	v_mul_f64 v[4:5], s[14:15], v[12:13]
	v_add3_u32 v1, v1, v7, v6
	v_lshlrev_b64 v[0:1], 3, v[0:1]
	s_waitcnt lgkmcnt(0)
	v_mov_b32_e32 v6, s9
	v_add_co_u32_e32 v7, vcc, s8, v0
	v_addc_co_u32_e32 v6, vcc, v6, v1, vcc
	v_lshlrev_b64 v[0:1], 3, v[2:3]
	v_add_co_u32_e32 v0, vcc, v7, v0
	v_addc_co_u32_e32 v1, vcc, v6, v1, vcc
	flat_store_dwordx2 v[0:1], v[4:5]
.LBB1515_10:
	s_endpgm
	.section	.rodata,"a",@progbits
	.p2align	6, 0x0
	.amdhsa_kernel _ZL32rocblas_syrkx_herkx_small_kernelIldLi16ELb1ELb0ELc78ELc76EKPKdKPdEviT_T0_PT6_S5_lS8_S5_lS6_PT7_S5_li
		.amdhsa_group_segment_fixed_size 4096
		.amdhsa_private_segment_fixed_size 0
		.amdhsa_kernarg_size 108
		.amdhsa_user_sgpr_count 6
		.amdhsa_user_sgpr_private_segment_buffer 1
		.amdhsa_user_sgpr_dispatch_ptr 0
		.amdhsa_user_sgpr_queue_ptr 0
		.amdhsa_user_sgpr_kernarg_segment_ptr 1
		.amdhsa_user_sgpr_dispatch_id 0
		.amdhsa_user_sgpr_flat_scratch_init 0
		.amdhsa_user_sgpr_private_segment_size 0
		.amdhsa_uses_dynamic_stack 0
		.amdhsa_system_sgpr_private_segment_wavefront_offset 0
		.amdhsa_system_sgpr_workgroup_id_x 1
		.amdhsa_system_sgpr_workgroup_id_y 1
		.amdhsa_system_sgpr_workgroup_id_z 1
		.amdhsa_system_sgpr_workgroup_info 0
		.amdhsa_system_vgpr_workitem_id 1
		.amdhsa_next_free_vgpr 34
		.amdhsa_next_free_sgpr 25
		.amdhsa_reserve_vcc 1
		.amdhsa_reserve_flat_scratch 0
		.amdhsa_float_round_mode_32 0
		.amdhsa_float_round_mode_16_64 0
		.amdhsa_float_denorm_mode_32 3
		.amdhsa_float_denorm_mode_16_64 3
		.amdhsa_dx10_clamp 1
		.amdhsa_ieee_mode 1
		.amdhsa_fp16_overflow 0
		.amdhsa_exception_fp_ieee_invalid_op 0
		.amdhsa_exception_fp_denorm_src 0
		.amdhsa_exception_fp_ieee_div_zero 0
		.amdhsa_exception_fp_ieee_overflow 0
		.amdhsa_exception_fp_ieee_underflow 0
		.amdhsa_exception_fp_ieee_inexact 0
		.amdhsa_exception_int_div_zero 0
	.end_amdhsa_kernel
	.section	.text._ZL32rocblas_syrkx_herkx_small_kernelIldLi16ELb1ELb0ELc78ELc76EKPKdKPdEviT_T0_PT6_S5_lS8_S5_lS6_PT7_S5_li,"axG",@progbits,_ZL32rocblas_syrkx_herkx_small_kernelIldLi16ELb1ELb0ELc78ELc76EKPKdKPdEviT_T0_PT6_S5_lS8_S5_lS6_PT7_S5_li,comdat
.Lfunc_end1515:
	.size	_ZL32rocblas_syrkx_herkx_small_kernelIldLi16ELb1ELb0ELc78ELc76EKPKdKPdEviT_T0_PT6_S5_lS8_S5_lS6_PT7_S5_li, .Lfunc_end1515-_ZL32rocblas_syrkx_herkx_small_kernelIldLi16ELb1ELb0ELc78ELc76EKPKdKPdEviT_T0_PT6_S5_lS8_S5_lS6_PT7_S5_li
                                        ; -- End function
	.set _ZL32rocblas_syrkx_herkx_small_kernelIldLi16ELb1ELb0ELc78ELc76EKPKdKPdEviT_T0_PT6_S5_lS8_S5_lS6_PT7_S5_li.num_vgpr, 34
	.set _ZL32rocblas_syrkx_herkx_small_kernelIldLi16ELb1ELb0ELc78ELc76EKPKdKPdEviT_T0_PT6_S5_lS8_S5_lS6_PT7_S5_li.num_agpr, 0
	.set _ZL32rocblas_syrkx_herkx_small_kernelIldLi16ELb1ELb0ELc78ELc76EKPKdKPdEviT_T0_PT6_S5_lS8_S5_lS6_PT7_S5_li.numbered_sgpr, 25
	.set _ZL32rocblas_syrkx_herkx_small_kernelIldLi16ELb1ELb0ELc78ELc76EKPKdKPdEviT_T0_PT6_S5_lS8_S5_lS6_PT7_S5_li.num_named_barrier, 0
	.set _ZL32rocblas_syrkx_herkx_small_kernelIldLi16ELb1ELb0ELc78ELc76EKPKdKPdEviT_T0_PT6_S5_lS8_S5_lS6_PT7_S5_li.private_seg_size, 0
	.set _ZL32rocblas_syrkx_herkx_small_kernelIldLi16ELb1ELb0ELc78ELc76EKPKdKPdEviT_T0_PT6_S5_lS8_S5_lS6_PT7_S5_li.uses_vcc, 1
	.set _ZL32rocblas_syrkx_herkx_small_kernelIldLi16ELb1ELb0ELc78ELc76EKPKdKPdEviT_T0_PT6_S5_lS8_S5_lS6_PT7_S5_li.uses_flat_scratch, 0
	.set _ZL32rocblas_syrkx_herkx_small_kernelIldLi16ELb1ELb0ELc78ELc76EKPKdKPdEviT_T0_PT6_S5_lS8_S5_lS6_PT7_S5_li.has_dyn_sized_stack, 0
	.set _ZL32rocblas_syrkx_herkx_small_kernelIldLi16ELb1ELb0ELc78ELc76EKPKdKPdEviT_T0_PT6_S5_lS8_S5_lS6_PT7_S5_li.has_recursion, 0
	.set _ZL32rocblas_syrkx_herkx_small_kernelIldLi16ELb1ELb0ELc78ELc76EKPKdKPdEviT_T0_PT6_S5_lS8_S5_lS6_PT7_S5_li.has_indirect_call, 0
	.section	.AMDGPU.csdata,"",@progbits
; Kernel info:
; codeLenInByte = 924
; TotalNumSgprs: 29
; NumVgprs: 34
; ScratchSize: 0
; MemoryBound: 0
; FloatMode: 240
; IeeeMode: 1
; LDSByteSize: 4096 bytes/workgroup (compile time only)
; SGPRBlocks: 3
; VGPRBlocks: 8
; NumSGPRsForWavesPerEU: 29
; NumVGPRsForWavesPerEU: 34
; Occupancy: 7
; WaveLimiterHint : 1
; COMPUTE_PGM_RSRC2:SCRATCH_EN: 0
; COMPUTE_PGM_RSRC2:USER_SGPR: 6
; COMPUTE_PGM_RSRC2:TRAP_HANDLER: 0
; COMPUTE_PGM_RSRC2:TGID_X_EN: 1
; COMPUTE_PGM_RSRC2:TGID_Y_EN: 1
; COMPUTE_PGM_RSRC2:TGID_Z_EN: 1
; COMPUTE_PGM_RSRC2:TIDIG_COMP_CNT: 1
	.section	.text._ZL32rocblas_syrkx_herkx_small_kernelIldLi16ELb1ELb0ELc84ELc85EKPKdKPdEviT_T0_PT6_S5_lS8_S5_lS6_PT7_S5_li,"axG",@progbits,_ZL32rocblas_syrkx_herkx_small_kernelIldLi16ELb1ELb0ELc84ELc85EKPKdKPdEviT_T0_PT6_S5_lS8_S5_lS6_PT7_S5_li,comdat
	.globl	_ZL32rocblas_syrkx_herkx_small_kernelIldLi16ELb1ELb0ELc84ELc85EKPKdKPdEviT_T0_PT6_S5_lS8_S5_lS6_PT7_S5_li ; -- Begin function _ZL32rocblas_syrkx_herkx_small_kernelIldLi16ELb1ELb0ELc84ELc85EKPKdKPdEviT_T0_PT6_S5_lS8_S5_lS6_PT7_S5_li
	.p2align	8
	.type	_ZL32rocblas_syrkx_herkx_small_kernelIldLi16ELb1ELb0ELc84ELc85EKPKdKPdEviT_T0_PT6_S5_lS8_S5_lS6_PT7_S5_li,@function
_ZL32rocblas_syrkx_herkx_small_kernelIldLi16ELb1ELb0ELc84ELc85EKPKdKPdEviT_T0_PT6_S5_lS8_S5_lS6_PT7_S5_li: ; @_ZL32rocblas_syrkx_herkx_small_kernelIldLi16ELb1ELb0ELc84ELc85EKPKdKPdEviT_T0_PT6_S5_lS8_S5_lS6_PT7_S5_li
; %bb.0:
	s_load_dwordx4 s[20:23], s[4:5], 0x50
	s_load_dword s24, s[4:5], 0x0
	s_load_dwordx8 s[12:19], s[4:5], 0x8
	s_mov_b32 s9, 0
	s_lshl_b64 s[10:11], s[8:9], 3
	s_waitcnt lgkmcnt(0)
	s_add_u32 s0, s20, s10
	s_addc_u32 s1, s21, s11
	s_load_dwordx2 s[8:9], s[0:1], 0x0
	v_cmp_lt_i64_e64 s[0:1], s[12:13], 1
	v_lshl_add_u32 v2, s6, 4, v0
	v_lshl_add_u32 v14, s7, 4, v1
	s_and_b64 vcc, exec, s[0:1]
	v_ashrrev_i32_e32 v3, 31, v2
	v_cmp_gt_i32_e64 s[0:1], s24, v14
	v_ashrrev_i32_e32 v15, 31, v14
	s_cbranch_vccnz .LBB1516_7
; %bb.1:
	s_load_dwordx4 s[4:7], s[4:5], 0x30
	v_lshlrev_b32_e32 v6, 7, v1
	v_lshlrev_b32_e32 v16, 3, v0
	v_add_u32_e32 v17, v16, v6
	v_add_u32_e32 v18, 0x800, v6
	s_waitcnt lgkmcnt(0)
	v_mul_lo_u32 v7, s7, v14
	v_mul_lo_u32 v8, s6, v15
	v_mad_u64_u32 v[4:5], s[6:7], s6, v14, 0
	s_add_u32 s4, s4, s10
	s_addc_u32 s5, s5, s11
	s_load_dwordx2 s[4:5], s[4:5], 0x0
	v_add3_u32 v5, v5, v8, v7
	v_mul_lo_u32 v9, s19, v2
	v_mul_lo_u32 v10, s18, v3
	v_mad_u64_u32 v[6:7], s[6:7], s18, v2, 0
	v_lshlrev_b64 v[4:5], 3, v[4:5]
	s_add_u32 s10, s16, s10
	s_addc_u32 s11, s17, s11
	v_add_co_u32_e32 v4, vcc, v4, v16
	s_load_dwordx2 s[10:11], s[10:11], 0x0
	v_addc_co_u32_e32 v5, vcc, 0, v5, vcc
	v_add3_u32 v7, v7, v10, v9
	s_waitcnt lgkmcnt(0)
	v_mov_b32_e32 v8, s5
	v_add_co_u32_e32 v4, vcc, s4, v4
	v_lshlrev_b64 v[6:7], 3, v[6:7]
	v_addc_co_u32_e32 v5, vcc, v8, v5, vcc
	v_lshlrev_b32_e32 v8, 3, v1
	v_add_co_u32_e32 v6, vcc, v6, v8
	v_addc_co_u32_e32 v7, vcc, 0, v7, vcc
	v_mov_b32_e32 v8, s11
	v_add_co_u32_e32 v6, vcc, s10, v6
	v_addc_co_u32_e32 v7, vcc, v8, v7, vcc
	v_mov_b32_e32 v10, 0
	v_mov_b32_e32 v8, s12
	v_cmp_gt_i32_e64 s[2:3], s24, v2
	v_add_u32_e32 v19, v18, v16
	v_mov_b32_e32 v11, 0
	s_mov_b64 s[6:7], 0
	v_mov_b32_e32 v9, s13
	s_branch .LBB1516_3
.LBB1516_2:                             ;   in Loop: Header=BB1516_3 Depth=1
	s_or_b64 exec, exec, s[4:5]
	s_waitcnt vmcnt(0) lgkmcnt(0)
	ds_write_b64 v19, v[12:13]
	s_waitcnt lgkmcnt(0)
	s_barrier
	ds_read2_b64 v[20:23], v16 offset1:16
	ds_read_b128 v[24:27], v18
	ds_read_b128 v[28:31], v18 offset:16
	s_add_u32 s6, s6, 16
	v_add_co_u32_e32 v4, vcc, 0x80, v4
	s_waitcnt lgkmcnt(1)
	v_fma_f64 v[10:11], v[20:21], v[24:25], v[10:11]
	s_addc_u32 s7, s7, 0
	v_addc_co_u32_e32 v5, vcc, 0, v5, vcc
	v_add_co_u32_e32 v6, vcc, 0x80, v6
	v_cmp_ge_i64_e64 s[4:5], s[6:7], v[8:9]
	v_addc_co_u32_e32 v7, vcc, 0, v7, vcc
	v_fma_f64 v[20:21], v[22:23], v[26:27], v[10:11]
	ds_read2_b64 v[10:13], v16 offset0:32 offset1:48
	s_and_b64 vcc, exec, s[4:5]
	s_waitcnt lgkmcnt(0)
	v_fma_f64 v[10:11], v[10:11], v[28:29], v[20:21]
	v_fma_f64 v[28:29], v[12:13], v[30:31], v[10:11]
	ds_read2_b64 v[10:13], v16 offset0:64 offset1:80
	ds_read_b128 v[20:23], v18 offset:32
	ds_read_b128 v[24:27], v18 offset:48
	s_waitcnt lgkmcnt(1)
	v_fma_f64 v[10:11], v[10:11], v[20:21], v[28:29]
	v_fma_f64 v[20:21], v[12:13], v[22:23], v[10:11]
	ds_read2_b64 v[10:13], v16 offset0:96 offset1:112
	s_waitcnt lgkmcnt(0)
	v_fma_f64 v[10:11], v[10:11], v[24:25], v[20:21]
	v_fma_f64 v[28:29], v[12:13], v[26:27], v[10:11]
	ds_read2_b64 v[10:13], v16 offset0:128 offset1:144
	ds_read_b128 v[20:23], v18 offset:64
	ds_read_b128 v[24:27], v18 offset:80
	s_waitcnt lgkmcnt(1)
	v_fma_f64 v[10:11], v[10:11], v[20:21], v[28:29]
	v_fma_f64 v[20:21], v[12:13], v[22:23], v[10:11]
	ds_read2_b64 v[10:13], v16 offset0:160 offset1:176
	;; [unrolled: 10-line block ×3, first 2 shown]
	s_waitcnt lgkmcnt(0)
	s_barrier
	v_fma_f64 v[10:11], v[10:11], v[24:25], v[20:21]
	v_fma_f64 v[10:11], v[12:13], v[26:27], v[10:11]
	s_cbranch_vccnz .LBB1516_8
.LBB1516_3:                             ; =>This Inner Loop Header: Depth=1
	v_mov_b32_e32 v13, s7
	v_add_co_u32_e32 v12, vcc, s6, v1
	v_addc_co_u32_e32 v13, vcc, 0, v13, vcc
	v_cmp_gt_i64_e32 vcc, s[12:13], v[12:13]
	v_mov_b32_e32 v12, 0
	v_mov_b32_e32 v13, 0
	s_and_b64 s[10:11], s[2:3], vcc
	s_and_saveexec_b64 s[4:5], s[10:11]
	s_cbranch_execz .LBB1516_5
; %bb.4:                                ;   in Loop: Header=BB1516_3 Depth=1
	flat_load_dwordx2 v[12:13], v[6:7]
.LBB1516_5:                             ;   in Loop: Header=BB1516_3 Depth=1
	s_or_b64 exec, exec, s[4:5]
	s_waitcnt vmcnt(0) lgkmcnt(0)
	ds_write_b64 v17, v[12:13]
	v_mov_b32_e32 v13, s7
	v_add_co_u32_e32 v12, vcc, s6, v0
	v_addc_co_u32_e32 v13, vcc, 0, v13, vcc
	v_cmp_gt_i64_e32 vcc, s[12:13], v[12:13]
	v_mov_b32_e32 v12, 0
	v_mov_b32_e32 v13, 0
	s_and_b64 s[10:11], s[0:1], vcc
	s_and_saveexec_b64 s[4:5], s[10:11]
	s_cbranch_execz .LBB1516_2
; %bb.6:                                ;   in Loop: Header=BB1516_3 Depth=1
	flat_load_dwordx2 v[12:13], v[4:5]
	s_branch .LBB1516_2
.LBB1516_7:
	v_mov_b32_e32 v10, 0
	v_mov_b32_e32 v11, 0
.LBB1516_8:
	v_cmp_le_i32_e32 vcc, v2, v14
	v_cmp_gt_i32_e64 s[0:1], s24, v14
	s_and_b64 s[0:1], vcc, s[0:1]
	s_and_saveexec_b64 s[2:3], s[0:1]
	s_cbranch_execz .LBB1516_10
; %bb.9:
	v_mul_lo_u32 v6, s23, v14
	v_mul_lo_u32 v7, s22, v15
	v_mad_u64_u32 v[0:1], s[0:1], s22, v14, 0
	v_mul_f64 v[4:5], s[14:15], v[10:11]
	v_add3_u32 v1, v1, v7, v6
	v_lshlrev_b64 v[0:1], 3, v[0:1]
	s_waitcnt lgkmcnt(0)
	v_mov_b32_e32 v6, s9
	v_add_co_u32_e32 v7, vcc, s8, v0
	v_addc_co_u32_e32 v6, vcc, v6, v1, vcc
	v_lshlrev_b64 v[0:1], 3, v[2:3]
	v_add_co_u32_e32 v0, vcc, v7, v0
	v_addc_co_u32_e32 v1, vcc, v6, v1, vcc
	flat_store_dwordx2 v[0:1], v[4:5]
.LBB1516_10:
	s_endpgm
	.section	.rodata,"a",@progbits
	.p2align	6, 0x0
	.amdhsa_kernel _ZL32rocblas_syrkx_herkx_small_kernelIldLi16ELb1ELb0ELc84ELc85EKPKdKPdEviT_T0_PT6_S5_lS8_S5_lS6_PT7_S5_li
		.amdhsa_group_segment_fixed_size 4096
		.amdhsa_private_segment_fixed_size 0
		.amdhsa_kernarg_size 108
		.amdhsa_user_sgpr_count 6
		.amdhsa_user_sgpr_private_segment_buffer 1
		.amdhsa_user_sgpr_dispatch_ptr 0
		.amdhsa_user_sgpr_queue_ptr 0
		.amdhsa_user_sgpr_kernarg_segment_ptr 1
		.amdhsa_user_sgpr_dispatch_id 0
		.amdhsa_user_sgpr_flat_scratch_init 0
		.amdhsa_user_sgpr_private_segment_size 0
		.amdhsa_uses_dynamic_stack 0
		.amdhsa_system_sgpr_private_segment_wavefront_offset 0
		.amdhsa_system_sgpr_workgroup_id_x 1
		.amdhsa_system_sgpr_workgroup_id_y 1
		.amdhsa_system_sgpr_workgroup_id_z 1
		.amdhsa_system_sgpr_workgroup_info 0
		.amdhsa_system_vgpr_workitem_id 1
		.amdhsa_next_free_vgpr 32
		.amdhsa_next_free_sgpr 25
		.amdhsa_reserve_vcc 1
		.amdhsa_reserve_flat_scratch 0
		.amdhsa_float_round_mode_32 0
		.amdhsa_float_round_mode_16_64 0
		.amdhsa_float_denorm_mode_32 3
		.amdhsa_float_denorm_mode_16_64 3
		.amdhsa_dx10_clamp 1
		.amdhsa_ieee_mode 1
		.amdhsa_fp16_overflow 0
		.amdhsa_exception_fp_ieee_invalid_op 0
		.amdhsa_exception_fp_denorm_src 0
		.amdhsa_exception_fp_ieee_div_zero 0
		.amdhsa_exception_fp_ieee_overflow 0
		.amdhsa_exception_fp_ieee_underflow 0
		.amdhsa_exception_fp_ieee_inexact 0
		.amdhsa_exception_int_div_zero 0
	.end_amdhsa_kernel
	.section	.text._ZL32rocblas_syrkx_herkx_small_kernelIldLi16ELb1ELb0ELc84ELc85EKPKdKPdEviT_T0_PT6_S5_lS8_S5_lS6_PT7_S5_li,"axG",@progbits,_ZL32rocblas_syrkx_herkx_small_kernelIldLi16ELb1ELb0ELc84ELc85EKPKdKPdEviT_T0_PT6_S5_lS8_S5_lS6_PT7_S5_li,comdat
.Lfunc_end1516:
	.size	_ZL32rocblas_syrkx_herkx_small_kernelIldLi16ELb1ELb0ELc84ELc85EKPKdKPdEviT_T0_PT6_S5_lS8_S5_lS6_PT7_S5_li, .Lfunc_end1516-_ZL32rocblas_syrkx_herkx_small_kernelIldLi16ELb1ELb0ELc84ELc85EKPKdKPdEviT_T0_PT6_S5_lS8_S5_lS6_PT7_S5_li
                                        ; -- End function
	.set _ZL32rocblas_syrkx_herkx_small_kernelIldLi16ELb1ELb0ELc84ELc85EKPKdKPdEviT_T0_PT6_S5_lS8_S5_lS6_PT7_S5_li.num_vgpr, 32
	.set _ZL32rocblas_syrkx_herkx_small_kernelIldLi16ELb1ELb0ELc84ELc85EKPKdKPdEviT_T0_PT6_S5_lS8_S5_lS6_PT7_S5_li.num_agpr, 0
	.set _ZL32rocblas_syrkx_herkx_small_kernelIldLi16ELb1ELb0ELc84ELc85EKPKdKPdEviT_T0_PT6_S5_lS8_S5_lS6_PT7_S5_li.numbered_sgpr, 25
	.set _ZL32rocblas_syrkx_herkx_small_kernelIldLi16ELb1ELb0ELc84ELc85EKPKdKPdEviT_T0_PT6_S5_lS8_S5_lS6_PT7_S5_li.num_named_barrier, 0
	.set _ZL32rocblas_syrkx_herkx_small_kernelIldLi16ELb1ELb0ELc84ELc85EKPKdKPdEviT_T0_PT6_S5_lS8_S5_lS6_PT7_S5_li.private_seg_size, 0
	.set _ZL32rocblas_syrkx_herkx_small_kernelIldLi16ELb1ELb0ELc84ELc85EKPKdKPdEviT_T0_PT6_S5_lS8_S5_lS6_PT7_S5_li.uses_vcc, 1
	.set _ZL32rocblas_syrkx_herkx_small_kernelIldLi16ELb1ELb0ELc84ELc85EKPKdKPdEviT_T0_PT6_S5_lS8_S5_lS6_PT7_S5_li.uses_flat_scratch, 0
	.set _ZL32rocblas_syrkx_herkx_small_kernelIldLi16ELb1ELb0ELc84ELc85EKPKdKPdEviT_T0_PT6_S5_lS8_S5_lS6_PT7_S5_li.has_dyn_sized_stack, 0
	.set _ZL32rocblas_syrkx_herkx_small_kernelIldLi16ELb1ELb0ELc84ELc85EKPKdKPdEviT_T0_PT6_S5_lS8_S5_lS6_PT7_S5_li.has_recursion, 0
	.set _ZL32rocblas_syrkx_herkx_small_kernelIldLi16ELb1ELb0ELc84ELc85EKPKdKPdEviT_T0_PT6_S5_lS8_S5_lS6_PT7_S5_li.has_indirect_call, 0
	.section	.AMDGPU.csdata,"",@progbits
; Kernel info:
; codeLenInByte = 924
; TotalNumSgprs: 29
; NumVgprs: 32
; ScratchSize: 0
; MemoryBound: 0
; FloatMode: 240
; IeeeMode: 1
; LDSByteSize: 4096 bytes/workgroup (compile time only)
; SGPRBlocks: 3
; VGPRBlocks: 7
; NumSGPRsForWavesPerEU: 29
; NumVGPRsForWavesPerEU: 32
; Occupancy: 8
; WaveLimiterHint : 1
; COMPUTE_PGM_RSRC2:SCRATCH_EN: 0
; COMPUTE_PGM_RSRC2:USER_SGPR: 6
; COMPUTE_PGM_RSRC2:TRAP_HANDLER: 0
; COMPUTE_PGM_RSRC2:TGID_X_EN: 1
; COMPUTE_PGM_RSRC2:TGID_Y_EN: 1
; COMPUTE_PGM_RSRC2:TGID_Z_EN: 1
; COMPUTE_PGM_RSRC2:TIDIG_COMP_CNT: 1
	.section	.text._ZL32rocblas_syrkx_herkx_small_kernelIldLi16ELb1ELb0ELc67ELc85EKPKdKPdEviT_T0_PT6_S5_lS8_S5_lS6_PT7_S5_li,"axG",@progbits,_ZL32rocblas_syrkx_herkx_small_kernelIldLi16ELb1ELb0ELc67ELc85EKPKdKPdEviT_T0_PT6_S5_lS8_S5_lS6_PT7_S5_li,comdat
	.globl	_ZL32rocblas_syrkx_herkx_small_kernelIldLi16ELb1ELb0ELc67ELc85EKPKdKPdEviT_T0_PT6_S5_lS8_S5_lS6_PT7_S5_li ; -- Begin function _ZL32rocblas_syrkx_herkx_small_kernelIldLi16ELb1ELb0ELc67ELc85EKPKdKPdEviT_T0_PT6_S5_lS8_S5_lS6_PT7_S5_li
	.p2align	8
	.type	_ZL32rocblas_syrkx_herkx_small_kernelIldLi16ELb1ELb0ELc67ELc85EKPKdKPdEviT_T0_PT6_S5_lS8_S5_lS6_PT7_S5_li,@function
_ZL32rocblas_syrkx_herkx_small_kernelIldLi16ELb1ELb0ELc67ELc85EKPKdKPdEviT_T0_PT6_S5_lS8_S5_lS6_PT7_S5_li: ; @_ZL32rocblas_syrkx_herkx_small_kernelIldLi16ELb1ELb0ELc67ELc85EKPKdKPdEviT_T0_PT6_S5_lS8_S5_lS6_PT7_S5_li
; %bb.0:
	s_load_dwordx4 s[20:23], s[4:5], 0x50
	s_load_dword s24, s[4:5], 0x0
	s_load_dwordx8 s[12:19], s[4:5], 0x8
	s_mov_b32 s9, 0
	s_lshl_b64 s[10:11], s[8:9], 3
	s_waitcnt lgkmcnt(0)
	s_add_u32 s0, s20, s10
	s_addc_u32 s1, s21, s11
	s_load_dwordx2 s[8:9], s[0:1], 0x0
	v_cmp_lt_i64_e64 s[0:1], s[12:13], 1
	v_lshl_add_u32 v2, s6, 4, v0
	v_lshl_add_u32 v14, s7, 4, v1
	s_and_b64 vcc, exec, s[0:1]
	v_ashrrev_i32_e32 v3, 31, v2
	v_cmp_gt_i32_e64 s[0:1], s24, v14
	v_ashrrev_i32_e32 v15, 31, v14
	s_cbranch_vccnz .LBB1517_7
; %bb.1:
	s_load_dwordx4 s[4:7], s[4:5], 0x30
	v_lshlrev_b32_e32 v6, 7, v1
	v_lshlrev_b32_e32 v16, 3, v0
	v_add_u32_e32 v17, v16, v6
	v_add_u32_e32 v18, 0x800, v6
	s_waitcnt lgkmcnt(0)
	v_mul_lo_u32 v7, s7, v14
	v_mul_lo_u32 v8, s6, v15
	v_mad_u64_u32 v[4:5], s[6:7], s6, v14, 0
	s_add_u32 s4, s4, s10
	s_addc_u32 s5, s5, s11
	s_load_dwordx2 s[4:5], s[4:5], 0x0
	v_add3_u32 v5, v5, v8, v7
	v_mul_lo_u32 v9, s19, v2
	v_mul_lo_u32 v10, s18, v3
	v_mad_u64_u32 v[6:7], s[6:7], s18, v2, 0
	v_lshlrev_b64 v[4:5], 3, v[4:5]
	s_add_u32 s10, s16, s10
	s_addc_u32 s11, s17, s11
	v_add_co_u32_e32 v4, vcc, v4, v16
	s_load_dwordx2 s[10:11], s[10:11], 0x0
	v_addc_co_u32_e32 v5, vcc, 0, v5, vcc
	v_add3_u32 v7, v7, v10, v9
	s_waitcnt lgkmcnt(0)
	v_mov_b32_e32 v8, s5
	v_add_co_u32_e32 v4, vcc, s4, v4
	v_lshlrev_b64 v[6:7], 3, v[6:7]
	v_addc_co_u32_e32 v5, vcc, v8, v5, vcc
	v_lshlrev_b32_e32 v8, 3, v1
	v_add_co_u32_e32 v6, vcc, v6, v8
	v_addc_co_u32_e32 v7, vcc, 0, v7, vcc
	v_mov_b32_e32 v8, s11
	v_add_co_u32_e32 v6, vcc, s10, v6
	v_addc_co_u32_e32 v7, vcc, v8, v7, vcc
	v_mov_b32_e32 v10, 0
	v_mov_b32_e32 v8, s12
	v_cmp_gt_i32_e64 s[2:3], s24, v2
	v_add_u32_e32 v19, v18, v16
	v_mov_b32_e32 v11, 0
	s_mov_b64 s[6:7], 0
	v_mov_b32_e32 v9, s13
	s_branch .LBB1517_3
.LBB1517_2:                             ;   in Loop: Header=BB1517_3 Depth=1
	s_or_b64 exec, exec, s[4:5]
	s_waitcnt vmcnt(0) lgkmcnt(0)
	ds_write_b64 v19, v[12:13]
	s_waitcnt lgkmcnt(0)
	s_barrier
	ds_read2_b64 v[20:23], v16 offset1:16
	ds_read_b128 v[24:27], v18
	ds_read_b128 v[28:31], v18 offset:16
	s_add_u32 s6, s6, 16
	v_add_co_u32_e32 v4, vcc, 0x80, v4
	s_waitcnt lgkmcnt(1)
	v_fma_f64 v[10:11], v[20:21], v[24:25], v[10:11]
	s_addc_u32 s7, s7, 0
	v_addc_co_u32_e32 v5, vcc, 0, v5, vcc
	v_add_co_u32_e32 v6, vcc, 0x80, v6
	v_cmp_ge_i64_e64 s[4:5], s[6:7], v[8:9]
	v_addc_co_u32_e32 v7, vcc, 0, v7, vcc
	v_fma_f64 v[20:21], v[22:23], v[26:27], v[10:11]
	ds_read2_b64 v[10:13], v16 offset0:32 offset1:48
	s_and_b64 vcc, exec, s[4:5]
	s_waitcnt lgkmcnt(0)
	v_fma_f64 v[10:11], v[10:11], v[28:29], v[20:21]
	v_fma_f64 v[28:29], v[12:13], v[30:31], v[10:11]
	ds_read2_b64 v[10:13], v16 offset0:64 offset1:80
	ds_read_b128 v[20:23], v18 offset:32
	ds_read_b128 v[24:27], v18 offset:48
	s_waitcnt lgkmcnt(1)
	v_fma_f64 v[10:11], v[10:11], v[20:21], v[28:29]
	v_fma_f64 v[20:21], v[12:13], v[22:23], v[10:11]
	ds_read2_b64 v[10:13], v16 offset0:96 offset1:112
	s_waitcnt lgkmcnt(0)
	v_fma_f64 v[10:11], v[10:11], v[24:25], v[20:21]
	v_fma_f64 v[28:29], v[12:13], v[26:27], v[10:11]
	ds_read2_b64 v[10:13], v16 offset0:128 offset1:144
	ds_read_b128 v[20:23], v18 offset:64
	ds_read_b128 v[24:27], v18 offset:80
	s_waitcnt lgkmcnt(1)
	v_fma_f64 v[10:11], v[10:11], v[20:21], v[28:29]
	v_fma_f64 v[20:21], v[12:13], v[22:23], v[10:11]
	ds_read2_b64 v[10:13], v16 offset0:160 offset1:176
	;; [unrolled: 10-line block ×3, first 2 shown]
	s_waitcnt lgkmcnt(0)
	s_barrier
	v_fma_f64 v[10:11], v[10:11], v[24:25], v[20:21]
	v_fma_f64 v[10:11], v[12:13], v[26:27], v[10:11]
	s_cbranch_vccnz .LBB1517_8
.LBB1517_3:                             ; =>This Inner Loop Header: Depth=1
	v_mov_b32_e32 v13, s7
	v_add_co_u32_e32 v12, vcc, s6, v1
	v_addc_co_u32_e32 v13, vcc, 0, v13, vcc
	v_cmp_gt_i64_e32 vcc, s[12:13], v[12:13]
	v_mov_b32_e32 v12, 0
	v_mov_b32_e32 v13, 0
	s_and_b64 s[10:11], s[2:3], vcc
	s_and_saveexec_b64 s[4:5], s[10:11]
	s_cbranch_execz .LBB1517_5
; %bb.4:                                ;   in Loop: Header=BB1517_3 Depth=1
	flat_load_dwordx2 v[12:13], v[6:7]
.LBB1517_5:                             ;   in Loop: Header=BB1517_3 Depth=1
	s_or_b64 exec, exec, s[4:5]
	s_waitcnt vmcnt(0) lgkmcnt(0)
	ds_write_b64 v17, v[12:13]
	v_mov_b32_e32 v13, s7
	v_add_co_u32_e32 v12, vcc, s6, v0
	v_addc_co_u32_e32 v13, vcc, 0, v13, vcc
	v_cmp_gt_i64_e32 vcc, s[12:13], v[12:13]
	v_mov_b32_e32 v12, 0
	v_mov_b32_e32 v13, 0
	s_and_b64 s[10:11], s[0:1], vcc
	s_and_saveexec_b64 s[4:5], s[10:11]
	s_cbranch_execz .LBB1517_2
; %bb.6:                                ;   in Loop: Header=BB1517_3 Depth=1
	flat_load_dwordx2 v[12:13], v[4:5]
	s_branch .LBB1517_2
.LBB1517_7:
	v_mov_b32_e32 v10, 0
	v_mov_b32_e32 v11, 0
.LBB1517_8:
	v_cmp_le_i32_e32 vcc, v2, v14
	v_cmp_gt_i32_e64 s[0:1], s24, v14
	s_and_b64 s[0:1], vcc, s[0:1]
	s_and_saveexec_b64 s[2:3], s[0:1]
	s_cbranch_execz .LBB1517_10
; %bb.9:
	v_mul_lo_u32 v6, s23, v14
	v_mul_lo_u32 v7, s22, v15
	v_mad_u64_u32 v[0:1], s[0:1], s22, v14, 0
	v_mul_f64 v[4:5], s[14:15], v[10:11]
	v_add3_u32 v1, v1, v7, v6
	v_lshlrev_b64 v[0:1], 3, v[0:1]
	s_waitcnt lgkmcnt(0)
	v_mov_b32_e32 v6, s9
	v_add_co_u32_e32 v7, vcc, s8, v0
	v_addc_co_u32_e32 v6, vcc, v6, v1, vcc
	v_lshlrev_b64 v[0:1], 3, v[2:3]
	v_add_co_u32_e32 v0, vcc, v7, v0
	v_addc_co_u32_e32 v1, vcc, v6, v1, vcc
	flat_store_dwordx2 v[0:1], v[4:5]
.LBB1517_10:
	s_endpgm
	.section	.rodata,"a",@progbits
	.p2align	6, 0x0
	.amdhsa_kernel _ZL32rocblas_syrkx_herkx_small_kernelIldLi16ELb1ELb0ELc67ELc85EKPKdKPdEviT_T0_PT6_S5_lS8_S5_lS6_PT7_S5_li
		.amdhsa_group_segment_fixed_size 4096
		.amdhsa_private_segment_fixed_size 0
		.amdhsa_kernarg_size 108
		.amdhsa_user_sgpr_count 6
		.amdhsa_user_sgpr_private_segment_buffer 1
		.amdhsa_user_sgpr_dispatch_ptr 0
		.amdhsa_user_sgpr_queue_ptr 0
		.amdhsa_user_sgpr_kernarg_segment_ptr 1
		.amdhsa_user_sgpr_dispatch_id 0
		.amdhsa_user_sgpr_flat_scratch_init 0
		.amdhsa_user_sgpr_private_segment_size 0
		.amdhsa_uses_dynamic_stack 0
		.amdhsa_system_sgpr_private_segment_wavefront_offset 0
		.amdhsa_system_sgpr_workgroup_id_x 1
		.amdhsa_system_sgpr_workgroup_id_y 1
		.amdhsa_system_sgpr_workgroup_id_z 1
		.amdhsa_system_sgpr_workgroup_info 0
		.amdhsa_system_vgpr_workitem_id 1
		.amdhsa_next_free_vgpr 32
		.amdhsa_next_free_sgpr 25
		.amdhsa_reserve_vcc 1
		.amdhsa_reserve_flat_scratch 0
		.amdhsa_float_round_mode_32 0
		.amdhsa_float_round_mode_16_64 0
		.amdhsa_float_denorm_mode_32 3
		.amdhsa_float_denorm_mode_16_64 3
		.amdhsa_dx10_clamp 1
		.amdhsa_ieee_mode 1
		.amdhsa_fp16_overflow 0
		.amdhsa_exception_fp_ieee_invalid_op 0
		.amdhsa_exception_fp_denorm_src 0
		.amdhsa_exception_fp_ieee_div_zero 0
		.amdhsa_exception_fp_ieee_overflow 0
		.amdhsa_exception_fp_ieee_underflow 0
		.amdhsa_exception_fp_ieee_inexact 0
		.amdhsa_exception_int_div_zero 0
	.end_amdhsa_kernel
	.section	.text._ZL32rocblas_syrkx_herkx_small_kernelIldLi16ELb1ELb0ELc67ELc85EKPKdKPdEviT_T0_PT6_S5_lS8_S5_lS6_PT7_S5_li,"axG",@progbits,_ZL32rocblas_syrkx_herkx_small_kernelIldLi16ELb1ELb0ELc67ELc85EKPKdKPdEviT_T0_PT6_S5_lS8_S5_lS6_PT7_S5_li,comdat
.Lfunc_end1517:
	.size	_ZL32rocblas_syrkx_herkx_small_kernelIldLi16ELb1ELb0ELc67ELc85EKPKdKPdEviT_T0_PT6_S5_lS8_S5_lS6_PT7_S5_li, .Lfunc_end1517-_ZL32rocblas_syrkx_herkx_small_kernelIldLi16ELb1ELb0ELc67ELc85EKPKdKPdEviT_T0_PT6_S5_lS8_S5_lS6_PT7_S5_li
                                        ; -- End function
	.set _ZL32rocblas_syrkx_herkx_small_kernelIldLi16ELb1ELb0ELc67ELc85EKPKdKPdEviT_T0_PT6_S5_lS8_S5_lS6_PT7_S5_li.num_vgpr, 32
	.set _ZL32rocblas_syrkx_herkx_small_kernelIldLi16ELb1ELb0ELc67ELc85EKPKdKPdEviT_T0_PT6_S5_lS8_S5_lS6_PT7_S5_li.num_agpr, 0
	.set _ZL32rocblas_syrkx_herkx_small_kernelIldLi16ELb1ELb0ELc67ELc85EKPKdKPdEviT_T0_PT6_S5_lS8_S5_lS6_PT7_S5_li.numbered_sgpr, 25
	.set _ZL32rocblas_syrkx_herkx_small_kernelIldLi16ELb1ELb0ELc67ELc85EKPKdKPdEviT_T0_PT6_S5_lS8_S5_lS6_PT7_S5_li.num_named_barrier, 0
	.set _ZL32rocblas_syrkx_herkx_small_kernelIldLi16ELb1ELb0ELc67ELc85EKPKdKPdEviT_T0_PT6_S5_lS8_S5_lS6_PT7_S5_li.private_seg_size, 0
	.set _ZL32rocblas_syrkx_herkx_small_kernelIldLi16ELb1ELb0ELc67ELc85EKPKdKPdEviT_T0_PT6_S5_lS8_S5_lS6_PT7_S5_li.uses_vcc, 1
	.set _ZL32rocblas_syrkx_herkx_small_kernelIldLi16ELb1ELb0ELc67ELc85EKPKdKPdEviT_T0_PT6_S5_lS8_S5_lS6_PT7_S5_li.uses_flat_scratch, 0
	.set _ZL32rocblas_syrkx_herkx_small_kernelIldLi16ELb1ELb0ELc67ELc85EKPKdKPdEviT_T0_PT6_S5_lS8_S5_lS6_PT7_S5_li.has_dyn_sized_stack, 0
	.set _ZL32rocblas_syrkx_herkx_small_kernelIldLi16ELb1ELb0ELc67ELc85EKPKdKPdEviT_T0_PT6_S5_lS8_S5_lS6_PT7_S5_li.has_recursion, 0
	.set _ZL32rocblas_syrkx_herkx_small_kernelIldLi16ELb1ELb0ELc67ELc85EKPKdKPdEviT_T0_PT6_S5_lS8_S5_lS6_PT7_S5_li.has_indirect_call, 0
	.section	.AMDGPU.csdata,"",@progbits
; Kernel info:
; codeLenInByte = 924
; TotalNumSgprs: 29
; NumVgprs: 32
; ScratchSize: 0
; MemoryBound: 0
; FloatMode: 240
; IeeeMode: 1
; LDSByteSize: 4096 bytes/workgroup (compile time only)
; SGPRBlocks: 3
; VGPRBlocks: 7
; NumSGPRsForWavesPerEU: 29
; NumVGPRsForWavesPerEU: 32
; Occupancy: 8
; WaveLimiterHint : 1
; COMPUTE_PGM_RSRC2:SCRATCH_EN: 0
; COMPUTE_PGM_RSRC2:USER_SGPR: 6
; COMPUTE_PGM_RSRC2:TRAP_HANDLER: 0
; COMPUTE_PGM_RSRC2:TGID_X_EN: 1
; COMPUTE_PGM_RSRC2:TGID_Y_EN: 1
; COMPUTE_PGM_RSRC2:TGID_Z_EN: 1
; COMPUTE_PGM_RSRC2:TIDIG_COMP_CNT: 1
	.section	.text._ZL32rocblas_syrkx_herkx_small_kernelIldLi16ELb1ELb0ELc78ELc85EKPKdKPdEviT_T0_PT6_S5_lS8_S5_lS6_PT7_S5_li,"axG",@progbits,_ZL32rocblas_syrkx_herkx_small_kernelIldLi16ELb1ELb0ELc78ELc85EKPKdKPdEviT_T0_PT6_S5_lS8_S5_lS6_PT7_S5_li,comdat
	.globl	_ZL32rocblas_syrkx_herkx_small_kernelIldLi16ELb1ELb0ELc78ELc85EKPKdKPdEviT_T0_PT6_S5_lS8_S5_lS6_PT7_S5_li ; -- Begin function _ZL32rocblas_syrkx_herkx_small_kernelIldLi16ELb1ELb0ELc78ELc85EKPKdKPdEviT_T0_PT6_S5_lS8_S5_lS6_PT7_S5_li
	.p2align	8
	.type	_ZL32rocblas_syrkx_herkx_small_kernelIldLi16ELb1ELb0ELc78ELc85EKPKdKPdEviT_T0_PT6_S5_lS8_S5_lS6_PT7_S5_li,@function
_ZL32rocblas_syrkx_herkx_small_kernelIldLi16ELb1ELb0ELc78ELc85EKPKdKPdEviT_T0_PT6_S5_lS8_S5_lS6_PT7_S5_li: ; @_ZL32rocblas_syrkx_herkx_small_kernelIldLi16ELb1ELb0ELc78ELc85EKPKdKPdEviT_T0_PT6_S5_lS8_S5_lS6_PT7_S5_li
; %bb.0:
	s_load_dwordx4 s[20:23], s[4:5], 0x50
	s_load_dword s24, s[4:5], 0x0
	s_load_dwordx8 s[12:19], s[4:5], 0x8
	s_mov_b32 s9, 0
	s_lshl_b64 s[10:11], s[8:9], 3
	s_waitcnt lgkmcnt(0)
	s_add_u32 s0, s20, s10
	s_addc_u32 s1, s21, s11
	s_load_dwordx2 s[8:9], s[0:1], 0x0
	v_cmp_lt_i64_e64 s[0:1], s[12:13], 1
	v_lshl_add_u32 v2, s6, 4, v0
	v_lshl_add_u32 v4, s7, 4, v1
	s_and_b64 vcc, exec, s[0:1]
	v_ashrrev_i32_e32 v3, 31, v2
	v_cmp_gt_i32_e64 s[0:1], s24, v4
	v_ashrrev_i32_e32 v5, 31, v4
	s_cbranch_vccnz .LBB1518_7
; %bb.1:
	s_load_dwordx4 s[4:7], s[4:5], 0x30
	v_lshlrev_b32_e32 v9, 7, v1
	v_lshlrev_b32_e32 v16, 3, v0
	v_add_u32_e32 v17, v16, v9
	v_add_u32_e32 v18, 0x800, v9
	s_waitcnt lgkmcnt(0)
	v_mad_u64_u32 v[6:7], s[20:21], s6, v0, 0
	s_add_u32 s4, s4, s10
	s_addc_u32 s5, s5, s11
	s_add_u32 s10, s16, s10
	s_addc_u32 s11, s17, s11
	v_mad_u64_u32 v[7:8], s[16:17], s7, v0, v[7:8]
	v_mad_u64_u32 v[10:11], s[16:17], s18, v1, 0
	v_lshlrev_b64 v[6:7], 3, v[6:7]
	v_lshlrev_b64 v[8:9], 3, v[4:5]
	s_load_dwordx2 s[4:5], s[4:5], 0x0
	v_add_co_u32_e32 v12, vcc, v6, v8
	v_addc_co_u32_e32 v7, vcc, v7, v9, vcc
	v_mov_b32_e32 v6, v11
	v_mad_u64_u32 v[8:9], s[16:17], s19, v1, v[6:7]
	s_load_dwordx2 s[10:11], s[10:11], 0x0
	s_waitcnt lgkmcnt(0)
	v_mov_b32_e32 v13, s5
	v_mov_b32_e32 v11, v8
	v_add_co_u32_e32 v6, vcc, s4, v12
	v_lshlrev_b64 v[8:9], 3, v[10:11]
	v_lshlrev_b64 v[10:11], 3, v[2:3]
	v_addc_co_u32_e32 v7, vcc, v13, v7, vcc
	v_add_co_u32_e32 v8, vcc, v8, v10
	v_addc_co_u32_e32 v9, vcc, v9, v11, vcc
	v_mov_b32_e32 v10, s11
	v_add_co_u32_e32 v8, vcc, s10, v8
	s_lshl_b64 s[6:7], s[6:7], 7
	v_addc_co_u32_e32 v9, vcc, v10, v9, vcc
	s_lshl_b64 s[10:11], s[18:19], 7
	v_mov_b32_e32 v12, 0
	v_mov_b32_e32 v10, s12
	v_cmp_gt_i32_e64 s[2:3], s24, v2
	v_add_u32_e32 v19, v18, v16
	v_mov_b32_e32 v13, 0
	s_mov_b64 s[16:17], 0
	v_mov_b32_e32 v20, s7
	v_mov_b32_e32 v21, s11
	;; [unrolled: 1-line block ×3, first 2 shown]
	s_branch .LBB1518_3
.LBB1518_2:                             ;   in Loop: Header=BB1518_3 Depth=1
	s_or_b64 exec, exec, s[4:5]
	s_waitcnt vmcnt(0) lgkmcnt(0)
	ds_write_b64 v19, v[14:15]
	s_waitcnt lgkmcnt(0)
	s_barrier
	ds_read2_b64 v[22:25], v16 offset1:16
	ds_read_b128 v[26:29], v18
	ds_read_b128 v[30:33], v18 offset:16
	s_add_u32 s16, s16, 16
	v_add_co_u32_e32 v6, vcc, s6, v6
	s_waitcnt lgkmcnt(1)
	v_fma_f64 v[12:13], v[22:23], v[26:27], v[12:13]
	v_addc_co_u32_e32 v7, vcc, v7, v20, vcc
	s_addc_u32 s17, s17, 0
	v_cmp_ge_i64_e32 vcc, s[16:17], v[10:11]
	v_add_co_u32_e64 v8, s[4:5], s10, v8
	v_addc_co_u32_e64 v9, s[4:5], v9, v21, s[4:5]
	v_fma_f64 v[22:23], v[24:25], v[28:29], v[12:13]
	ds_read2_b64 v[12:15], v16 offset0:32 offset1:48
	s_and_b64 vcc, exec, vcc
	s_waitcnt lgkmcnt(0)
	v_fma_f64 v[12:13], v[12:13], v[30:31], v[22:23]
	v_fma_f64 v[30:31], v[14:15], v[32:33], v[12:13]
	ds_read2_b64 v[12:15], v16 offset0:64 offset1:80
	ds_read_b128 v[22:25], v18 offset:32
	ds_read_b128 v[26:29], v18 offset:48
	s_waitcnt lgkmcnt(1)
	v_fma_f64 v[12:13], v[12:13], v[22:23], v[30:31]
	v_fma_f64 v[22:23], v[14:15], v[24:25], v[12:13]
	ds_read2_b64 v[12:15], v16 offset0:96 offset1:112
	s_waitcnt lgkmcnt(0)
	v_fma_f64 v[12:13], v[12:13], v[26:27], v[22:23]
	v_fma_f64 v[30:31], v[14:15], v[28:29], v[12:13]
	ds_read2_b64 v[12:15], v16 offset0:128 offset1:144
	ds_read_b128 v[22:25], v18 offset:64
	ds_read_b128 v[26:29], v18 offset:80
	s_waitcnt lgkmcnt(1)
	v_fma_f64 v[12:13], v[12:13], v[22:23], v[30:31]
	v_fma_f64 v[22:23], v[14:15], v[24:25], v[12:13]
	ds_read2_b64 v[12:15], v16 offset0:160 offset1:176
	;; [unrolled: 10-line block ×3, first 2 shown]
	s_waitcnt lgkmcnt(0)
	s_barrier
	v_fma_f64 v[12:13], v[12:13], v[26:27], v[22:23]
	v_fma_f64 v[12:13], v[14:15], v[28:29], v[12:13]
	s_cbranch_vccnz .LBB1518_8
.LBB1518_3:                             ; =>This Inner Loop Header: Depth=1
	v_mov_b32_e32 v15, s17
	v_add_co_u32_e32 v14, vcc, s16, v1
	v_addc_co_u32_e32 v15, vcc, 0, v15, vcc
	v_cmp_gt_i64_e32 vcc, s[12:13], v[14:15]
	v_mov_b32_e32 v14, 0
	v_mov_b32_e32 v15, 0
	s_and_b64 s[18:19], s[2:3], vcc
	s_and_saveexec_b64 s[4:5], s[18:19]
	s_cbranch_execz .LBB1518_5
; %bb.4:                                ;   in Loop: Header=BB1518_3 Depth=1
	flat_load_dwordx2 v[14:15], v[8:9]
.LBB1518_5:                             ;   in Loop: Header=BB1518_3 Depth=1
	s_or_b64 exec, exec, s[4:5]
	s_waitcnt vmcnt(0) lgkmcnt(0)
	ds_write_b64 v17, v[14:15]
	v_mov_b32_e32 v15, s17
	v_add_co_u32_e32 v14, vcc, s16, v0
	v_addc_co_u32_e32 v15, vcc, 0, v15, vcc
	v_cmp_gt_i64_e32 vcc, s[12:13], v[14:15]
	v_mov_b32_e32 v14, 0
	v_mov_b32_e32 v15, 0
	s_and_b64 s[18:19], s[0:1], vcc
	s_and_saveexec_b64 s[4:5], s[18:19]
	s_cbranch_execz .LBB1518_2
; %bb.6:                                ;   in Loop: Header=BB1518_3 Depth=1
	flat_load_dwordx2 v[14:15], v[6:7]
	s_branch .LBB1518_2
.LBB1518_7:
	v_mov_b32_e32 v12, 0
	v_mov_b32_e32 v13, 0
.LBB1518_8:
	v_cmp_le_i32_e32 vcc, v2, v4
	v_cmp_gt_i32_e64 s[0:1], s24, v4
	s_and_b64 s[0:1], vcc, s[0:1]
	s_and_saveexec_b64 s[2:3], s[0:1]
	s_cbranch_execz .LBB1518_10
; %bb.9:
	v_mul_lo_u32 v6, s23, v4
	v_mul_lo_u32 v7, s22, v5
	v_mad_u64_u32 v[0:1], s[0:1], s22, v4, 0
	v_mul_f64 v[4:5], s[14:15], v[12:13]
	v_add3_u32 v1, v1, v7, v6
	v_lshlrev_b64 v[0:1], 3, v[0:1]
	s_waitcnt lgkmcnt(0)
	v_mov_b32_e32 v6, s9
	v_add_co_u32_e32 v7, vcc, s8, v0
	v_addc_co_u32_e32 v6, vcc, v6, v1, vcc
	v_lshlrev_b64 v[0:1], 3, v[2:3]
	v_add_co_u32_e32 v0, vcc, v7, v0
	v_addc_co_u32_e32 v1, vcc, v6, v1, vcc
	flat_store_dwordx2 v[0:1], v[4:5]
.LBB1518_10:
	s_endpgm
	.section	.rodata,"a",@progbits
	.p2align	6, 0x0
	.amdhsa_kernel _ZL32rocblas_syrkx_herkx_small_kernelIldLi16ELb1ELb0ELc78ELc85EKPKdKPdEviT_T0_PT6_S5_lS8_S5_lS6_PT7_S5_li
		.amdhsa_group_segment_fixed_size 4096
		.amdhsa_private_segment_fixed_size 0
		.amdhsa_kernarg_size 108
		.amdhsa_user_sgpr_count 6
		.amdhsa_user_sgpr_private_segment_buffer 1
		.amdhsa_user_sgpr_dispatch_ptr 0
		.amdhsa_user_sgpr_queue_ptr 0
		.amdhsa_user_sgpr_kernarg_segment_ptr 1
		.amdhsa_user_sgpr_dispatch_id 0
		.amdhsa_user_sgpr_flat_scratch_init 0
		.amdhsa_user_sgpr_private_segment_size 0
		.amdhsa_uses_dynamic_stack 0
		.amdhsa_system_sgpr_private_segment_wavefront_offset 0
		.amdhsa_system_sgpr_workgroup_id_x 1
		.amdhsa_system_sgpr_workgroup_id_y 1
		.amdhsa_system_sgpr_workgroup_id_z 1
		.amdhsa_system_sgpr_workgroup_info 0
		.amdhsa_system_vgpr_workitem_id 1
		.amdhsa_next_free_vgpr 34
		.amdhsa_next_free_sgpr 25
		.amdhsa_reserve_vcc 1
		.amdhsa_reserve_flat_scratch 0
		.amdhsa_float_round_mode_32 0
		.amdhsa_float_round_mode_16_64 0
		.amdhsa_float_denorm_mode_32 3
		.amdhsa_float_denorm_mode_16_64 3
		.amdhsa_dx10_clamp 1
		.amdhsa_ieee_mode 1
		.amdhsa_fp16_overflow 0
		.amdhsa_exception_fp_ieee_invalid_op 0
		.amdhsa_exception_fp_denorm_src 0
		.amdhsa_exception_fp_ieee_div_zero 0
		.amdhsa_exception_fp_ieee_overflow 0
		.amdhsa_exception_fp_ieee_underflow 0
		.amdhsa_exception_fp_ieee_inexact 0
		.amdhsa_exception_int_div_zero 0
	.end_amdhsa_kernel
	.section	.text._ZL32rocblas_syrkx_herkx_small_kernelIldLi16ELb1ELb0ELc78ELc85EKPKdKPdEviT_T0_PT6_S5_lS8_S5_lS6_PT7_S5_li,"axG",@progbits,_ZL32rocblas_syrkx_herkx_small_kernelIldLi16ELb1ELb0ELc78ELc85EKPKdKPdEviT_T0_PT6_S5_lS8_S5_lS6_PT7_S5_li,comdat
.Lfunc_end1518:
	.size	_ZL32rocblas_syrkx_herkx_small_kernelIldLi16ELb1ELb0ELc78ELc85EKPKdKPdEviT_T0_PT6_S5_lS8_S5_lS6_PT7_S5_li, .Lfunc_end1518-_ZL32rocblas_syrkx_herkx_small_kernelIldLi16ELb1ELb0ELc78ELc85EKPKdKPdEviT_T0_PT6_S5_lS8_S5_lS6_PT7_S5_li
                                        ; -- End function
	.set _ZL32rocblas_syrkx_herkx_small_kernelIldLi16ELb1ELb0ELc78ELc85EKPKdKPdEviT_T0_PT6_S5_lS8_S5_lS6_PT7_S5_li.num_vgpr, 34
	.set _ZL32rocblas_syrkx_herkx_small_kernelIldLi16ELb1ELb0ELc78ELc85EKPKdKPdEviT_T0_PT6_S5_lS8_S5_lS6_PT7_S5_li.num_agpr, 0
	.set _ZL32rocblas_syrkx_herkx_small_kernelIldLi16ELb1ELb0ELc78ELc85EKPKdKPdEviT_T0_PT6_S5_lS8_S5_lS6_PT7_S5_li.numbered_sgpr, 25
	.set _ZL32rocblas_syrkx_herkx_small_kernelIldLi16ELb1ELb0ELc78ELc85EKPKdKPdEviT_T0_PT6_S5_lS8_S5_lS6_PT7_S5_li.num_named_barrier, 0
	.set _ZL32rocblas_syrkx_herkx_small_kernelIldLi16ELb1ELb0ELc78ELc85EKPKdKPdEviT_T0_PT6_S5_lS8_S5_lS6_PT7_S5_li.private_seg_size, 0
	.set _ZL32rocblas_syrkx_herkx_small_kernelIldLi16ELb1ELb0ELc78ELc85EKPKdKPdEviT_T0_PT6_S5_lS8_S5_lS6_PT7_S5_li.uses_vcc, 1
	.set _ZL32rocblas_syrkx_herkx_small_kernelIldLi16ELb1ELb0ELc78ELc85EKPKdKPdEviT_T0_PT6_S5_lS8_S5_lS6_PT7_S5_li.uses_flat_scratch, 0
	.set _ZL32rocblas_syrkx_herkx_small_kernelIldLi16ELb1ELb0ELc78ELc85EKPKdKPdEviT_T0_PT6_S5_lS8_S5_lS6_PT7_S5_li.has_dyn_sized_stack, 0
	.set _ZL32rocblas_syrkx_herkx_small_kernelIldLi16ELb1ELb0ELc78ELc85EKPKdKPdEviT_T0_PT6_S5_lS8_S5_lS6_PT7_S5_li.has_recursion, 0
	.set _ZL32rocblas_syrkx_herkx_small_kernelIldLi16ELb1ELb0ELc78ELc85EKPKdKPdEviT_T0_PT6_S5_lS8_S5_lS6_PT7_S5_li.has_indirect_call, 0
	.section	.AMDGPU.csdata,"",@progbits
; Kernel info:
; codeLenInByte = 924
; TotalNumSgprs: 29
; NumVgprs: 34
; ScratchSize: 0
; MemoryBound: 0
; FloatMode: 240
; IeeeMode: 1
; LDSByteSize: 4096 bytes/workgroup (compile time only)
; SGPRBlocks: 3
; VGPRBlocks: 8
; NumSGPRsForWavesPerEU: 29
; NumVGPRsForWavesPerEU: 34
; Occupancy: 7
; WaveLimiterHint : 1
; COMPUTE_PGM_RSRC2:SCRATCH_EN: 0
; COMPUTE_PGM_RSRC2:USER_SGPR: 6
; COMPUTE_PGM_RSRC2:TRAP_HANDLER: 0
; COMPUTE_PGM_RSRC2:TGID_X_EN: 1
; COMPUTE_PGM_RSRC2:TGID_Y_EN: 1
; COMPUTE_PGM_RSRC2:TGID_Z_EN: 1
; COMPUTE_PGM_RSRC2:TIDIG_COMP_CNT: 1
	.section	.text._ZL32rocblas_syrkx_herkx_small_kernelIldLi16ELb0ELb0ELc84ELc76EKPKdKPdEviT_T0_PT6_S5_lS8_S5_lS6_PT7_S5_li,"axG",@progbits,_ZL32rocblas_syrkx_herkx_small_kernelIldLi16ELb0ELb0ELc84ELc76EKPKdKPdEviT_T0_PT6_S5_lS8_S5_lS6_PT7_S5_li,comdat
	.globl	_ZL32rocblas_syrkx_herkx_small_kernelIldLi16ELb0ELb0ELc84ELc76EKPKdKPdEviT_T0_PT6_S5_lS8_S5_lS6_PT7_S5_li ; -- Begin function _ZL32rocblas_syrkx_herkx_small_kernelIldLi16ELb0ELb0ELc84ELc76EKPKdKPdEviT_T0_PT6_S5_lS8_S5_lS6_PT7_S5_li
	.p2align	8
	.type	_ZL32rocblas_syrkx_herkx_small_kernelIldLi16ELb0ELb0ELc84ELc76EKPKdKPdEviT_T0_PT6_S5_lS8_S5_lS6_PT7_S5_li,@function
_ZL32rocblas_syrkx_herkx_small_kernelIldLi16ELb0ELb0ELc84ELc76EKPKdKPdEviT_T0_PT6_S5_lS8_S5_lS6_PT7_S5_li: ; @_ZL32rocblas_syrkx_herkx_small_kernelIldLi16ELb0ELb0ELc84ELc76EKPKdKPdEviT_T0_PT6_S5_lS8_S5_lS6_PT7_S5_li
; %bb.0:
	s_load_dwordx2 s[10:11], s[4:5], 0x58
	s_load_dwordx4 s[20:23], s[4:5], 0x48
	s_load_dword s24, s[4:5], 0x0
	s_load_dwordx8 s[12:19], s[4:5], 0x8
	s_mov_b32 s9, 0
	s_lshl_b64 s[2:3], s[8:9], 3
	s_waitcnt lgkmcnt(0)
	s_add_u32 s0, s22, s2
	s_addc_u32 s1, s23, s3
	s_load_dwordx2 s[8:9], s[0:1], 0x0
	v_cmp_lt_i64_e64 s[0:1], s[12:13], 1
	v_lshl_add_u32 v2, s6, 4, v0
	v_lshl_add_u32 v14, s7, 4, v1
	s_and_b64 vcc, exec, s[0:1]
	v_cmp_gt_i32_e64 s[0:1], s24, v2
	v_ashrrev_i32_e32 v3, 31, v2
	v_ashrrev_i32_e32 v15, 31, v14
	s_cbranch_vccnz .LBB1519_7
; %bb.1:
	s_load_dwordx4 s[4:7], s[4:5], 0x30
	v_lshlrev_b32_e32 v6, 7, v1
	v_lshlrev_b32_e32 v16, 3, v0
	v_add_u32_e32 v17, v16, v6
	v_add_u32_e32 v18, 0x800, v6
	s_waitcnt lgkmcnt(0)
	s_add_u32 s4, s4, s2
	s_addc_u32 s5, s5, s3
	s_add_u32 s2, s16, s2
	s_addc_u32 s3, s17, s3
	s_load_dwordx2 s[16:17], s[2:3], 0x0
	v_mul_lo_u32 v7, s7, v14
	v_mul_lo_u32 v8, s6, v15
	v_mad_u64_u32 v[4:5], s[2:3], s6, v14, 0
	s_load_dwordx2 s[4:5], s[4:5], 0x0
	v_mul_lo_u32 v9, s19, v2
	v_add3_u32 v5, v5, v8, v7
	v_mul_lo_u32 v10, s18, v3
	v_mad_u64_u32 v[6:7], s[6:7], s18, v2, 0
	v_lshlrev_b64 v[4:5], 3, v[4:5]
	s_waitcnt lgkmcnt(0)
	v_mov_b32_e32 v8, s5
	v_add_co_u32_e32 v4, vcc, v4, v16
	v_addc_co_u32_e32 v5, vcc, 0, v5, vcc
	v_add3_u32 v7, v7, v10, v9
	v_add_co_u32_e32 v4, vcc, s4, v4
	v_lshlrev_b64 v[6:7], 3, v[6:7]
	v_addc_co_u32_e32 v5, vcc, v8, v5, vcc
	v_lshlrev_b32_e32 v8, 3, v1
	v_add_co_u32_e32 v6, vcc, v6, v8
	v_addc_co_u32_e32 v7, vcc, 0, v7, vcc
	v_mov_b32_e32 v8, s17
	v_add_co_u32_e32 v6, vcc, s16, v6
	v_addc_co_u32_e32 v7, vcc, v8, v7, vcc
	v_mov_b32_e32 v10, 0
	v_mov_b32_e32 v8, s12
	v_cmp_gt_i32_e64 s[2:3], s24, v14
	v_add_u32_e32 v19, v18, v16
	v_mov_b32_e32 v11, 0
	s_mov_b64 s[6:7], 0
	v_mov_b32_e32 v9, s13
	s_branch .LBB1519_3
.LBB1519_2:                             ;   in Loop: Header=BB1519_3 Depth=1
	s_or_b64 exec, exec, s[4:5]
	s_waitcnt vmcnt(0) lgkmcnt(0)
	ds_write_b64 v19, v[12:13]
	s_waitcnt lgkmcnt(0)
	s_barrier
	ds_read2_b64 v[20:23], v16 offset1:16
	ds_read_b128 v[24:27], v18
	ds_read_b128 v[28:31], v18 offset:16
	s_add_u32 s6, s6, 16
	v_add_co_u32_e32 v4, vcc, 0x80, v4
	s_waitcnt lgkmcnt(1)
	v_fma_f64 v[10:11], v[20:21], v[24:25], v[10:11]
	s_addc_u32 s7, s7, 0
	v_addc_co_u32_e32 v5, vcc, 0, v5, vcc
	v_add_co_u32_e32 v6, vcc, 0x80, v6
	v_cmp_ge_i64_e64 s[4:5], s[6:7], v[8:9]
	v_addc_co_u32_e32 v7, vcc, 0, v7, vcc
	v_fma_f64 v[20:21], v[22:23], v[26:27], v[10:11]
	ds_read2_b64 v[10:13], v16 offset0:32 offset1:48
	s_and_b64 vcc, exec, s[4:5]
	s_waitcnt lgkmcnt(0)
	v_fma_f64 v[10:11], v[10:11], v[28:29], v[20:21]
	v_fma_f64 v[28:29], v[12:13], v[30:31], v[10:11]
	ds_read2_b64 v[10:13], v16 offset0:64 offset1:80
	ds_read_b128 v[20:23], v18 offset:32
	ds_read_b128 v[24:27], v18 offset:48
	s_waitcnt lgkmcnt(1)
	v_fma_f64 v[10:11], v[10:11], v[20:21], v[28:29]
	v_fma_f64 v[20:21], v[12:13], v[22:23], v[10:11]
	ds_read2_b64 v[10:13], v16 offset0:96 offset1:112
	s_waitcnt lgkmcnt(0)
	v_fma_f64 v[10:11], v[10:11], v[24:25], v[20:21]
	v_fma_f64 v[28:29], v[12:13], v[26:27], v[10:11]
	ds_read2_b64 v[10:13], v16 offset0:128 offset1:144
	ds_read_b128 v[20:23], v18 offset:64
	ds_read_b128 v[24:27], v18 offset:80
	s_waitcnt lgkmcnt(1)
	v_fma_f64 v[10:11], v[10:11], v[20:21], v[28:29]
	v_fma_f64 v[20:21], v[12:13], v[22:23], v[10:11]
	ds_read2_b64 v[10:13], v16 offset0:160 offset1:176
	;; [unrolled: 10-line block ×3, first 2 shown]
	s_waitcnt lgkmcnt(0)
	s_barrier
	v_fma_f64 v[10:11], v[10:11], v[24:25], v[20:21]
	v_fma_f64 v[10:11], v[12:13], v[26:27], v[10:11]
	s_cbranch_vccnz .LBB1519_8
.LBB1519_3:                             ; =>This Inner Loop Header: Depth=1
	v_mov_b32_e32 v13, s7
	v_add_co_u32_e32 v12, vcc, s6, v1
	v_addc_co_u32_e32 v13, vcc, 0, v13, vcc
	v_cmp_gt_i64_e32 vcc, s[12:13], v[12:13]
	v_mov_b32_e32 v12, 0
	v_mov_b32_e32 v13, 0
	s_and_b64 s[16:17], s[0:1], vcc
	s_and_saveexec_b64 s[4:5], s[16:17]
	s_cbranch_execz .LBB1519_5
; %bb.4:                                ;   in Loop: Header=BB1519_3 Depth=1
	flat_load_dwordx2 v[12:13], v[6:7]
.LBB1519_5:                             ;   in Loop: Header=BB1519_3 Depth=1
	s_or_b64 exec, exec, s[4:5]
	s_waitcnt vmcnt(0) lgkmcnt(0)
	ds_write_b64 v17, v[12:13]
	v_mov_b32_e32 v13, s7
	v_add_co_u32_e32 v12, vcc, s6, v0
	v_addc_co_u32_e32 v13, vcc, 0, v13, vcc
	v_cmp_gt_i64_e32 vcc, s[12:13], v[12:13]
	v_mov_b32_e32 v12, 0
	v_mov_b32_e32 v13, 0
	s_and_b64 s[16:17], s[2:3], vcc
	s_and_saveexec_b64 s[4:5], s[16:17]
	s_cbranch_execz .LBB1519_2
; %bb.6:                                ;   in Loop: Header=BB1519_3 Depth=1
	flat_load_dwordx2 v[12:13], v[4:5]
	s_branch .LBB1519_2
.LBB1519_7:
	v_mov_b32_e32 v10, 0
	v_mov_b32_e32 v11, 0
.LBB1519_8:
	v_cmp_le_i32_e32 vcc, v14, v2
	v_cmp_gt_i32_e64 s[0:1], s24, v2
	s_and_b64 s[0:1], vcc, s[0:1]
	s_and_saveexec_b64 s[2:3], s[0:1]
	s_cbranch_execz .LBB1519_10
; %bb.9:
	v_mul_lo_u32 v4, s11, v14
	v_mul_lo_u32 v5, s10, v15
	v_mad_u64_u32 v[0:1], s[0:1], s10, v14, 0
	v_add3_u32 v1, v1, v5, v4
	v_lshlrev_b64 v[0:1], 3, v[0:1]
	s_waitcnt lgkmcnt(0)
	v_mov_b32_e32 v4, s9
	v_add_co_u32_e32 v5, vcc, s8, v0
	v_addc_co_u32_e32 v4, vcc, v4, v1, vcc
	v_lshlrev_b64 v[0:1], 3, v[2:3]
	v_add_co_u32_e32 v0, vcc, v5, v0
	v_addc_co_u32_e32 v1, vcc, v4, v1, vcc
	flat_load_dwordx2 v[2:3], v[0:1]
	s_waitcnt vmcnt(0) lgkmcnt(0)
	v_mul_f64 v[2:3], s[20:21], v[2:3]
	v_fma_f64 v[2:3], s[14:15], v[10:11], v[2:3]
	flat_store_dwordx2 v[0:1], v[2:3]
.LBB1519_10:
	s_endpgm
	.section	.rodata,"a",@progbits
	.p2align	6, 0x0
	.amdhsa_kernel _ZL32rocblas_syrkx_herkx_small_kernelIldLi16ELb0ELb0ELc84ELc76EKPKdKPdEviT_T0_PT6_S5_lS8_S5_lS6_PT7_S5_li
		.amdhsa_group_segment_fixed_size 4096
		.amdhsa_private_segment_fixed_size 0
		.amdhsa_kernarg_size 108
		.amdhsa_user_sgpr_count 6
		.amdhsa_user_sgpr_private_segment_buffer 1
		.amdhsa_user_sgpr_dispatch_ptr 0
		.amdhsa_user_sgpr_queue_ptr 0
		.amdhsa_user_sgpr_kernarg_segment_ptr 1
		.amdhsa_user_sgpr_dispatch_id 0
		.amdhsa_user_sgpr_flat_scratch_init 0
		.amdhsa_user_sgpr_private_segment_size 0
		.amdhsa_uses_dynamic_stack 0
		.amdhsa_system_sgpr_private_segment_wavefront_offset 0
		.amdhsa_system_sgpr_workgroup_id_x 1
		.amdhsa_system_sgpr_workgroup_id_y 1
		.amdhsa_system_sgpr_workgroup_id_z 1
		.amdhsa_system_sgpr_workgroup_info 0
		.amdhsa_system_vgpr_workitem_id 1
		.amdhsa_next_free_vgpr 32
		.amdhsa_next_free_sgpr 25
		.amdhsa_reserve_vcc 1
		.amdhsa_reserve_flat_scratch 0
		.amdhsa_float_round_mode_32 0
		.amdhsa_float_round_mode_16_64 0
		.amdhsa_float_denorm_mode_32 3
		.amdhsa_float_denorm_mode_16_64 3
		.amdhsa_dx10_clamp 1
		.amdhsa_ieee_mode 1
		.amdhsa_fp16_overflow 0
		.amdhsa_exception_fp_ieee_invalid_op 0
		.amdhsa_exception_fp_denorm_src 0
		.amdhsa_exception_fp_ieee_div_zero 0
		.amdhsa_exception_fp_ieee_overflow 0
		.amdhsa_exception_fp_ieee_underflow 0
		.amdhsa_exception_fp_ieee_inexact 0
		.amdhsa_exception_int_div_zero 0
	.end_amdhsa_kernel
	.section	.text._ZL32rocblas_syrkx_herkx_small_kernelIldLi16ELb0ELb0ELc84ELc76EKPKdKPdEviT_T0_PT6_S5_lS8_S5_lS6_PT7_S5_li,"axG",@progbits,_ZL32rocblas_syrkx_herkx_small_kernelIldLi16ELb0ELb0ELc84ELc76EKPKdKPdEviT_T0_PT6_S5_lS8_S5_lS6_PT7_S5_li,comdat
.Lfunc_end1519:
	.size	_ZL32rocblas_syrkx_herkx_small_kernelIldLi16ELb0ELb0ELc84ELc76EKPKdKPdEviT_T0_PT6_S5_lS8_S5_lS6_PT7_S5_li, .Lfunc_end1519-_ZL32rocblas_syrkx_herkx_small_kernelIldLi16ELb0ELb0ELc84ELc76EKPKdKPdEviT_T0_PT6_S5_lS8_S5_lS6_PT7_S5_li
                                        ; -- End function
	.set _ZL32rocblas_syrkx_herkx_small_kernelIldLi16ELb0ELb0ELc84ELc76EKPKdKPdEviT_T0_PT6_S5_lS8_S5_lS6_PT7_S5_li.num_vgpr, 32
	.set _ZL32rocblas_syrkx_herkx_small_kernelIldLi16ELb0ELb0ELc84ELc76EKPKdKPdEviT_T0_PT6_S5_lS8_S5_lS6_PT7_S5_li.num_agpr, 0
	.set _ZL32rocblas_syrkx_herkx_small_kernelIldLi16ELb0ELb0ELc84ELc76EKPKdKPdEviT_T0_PT6_S5_lS8_S5_lS6_PT7_S5_li.numbered_sgpr, 25
	.set _ZL32rocblas_syrkx_herkx_small_kernelIldLi16ELb0ELb0ELc84ELc76EKPKdKPdEviT_T0_PT6_S5_lS8_S5_lS6_PT7_S5_li.num_named_barrier, 0
	.set _ZL32rocblas_syrkx_herkx_small_kernelIldLi16ELb0ELb0ELc84ELc76EKPKdKPdEviT_T0_PT6_S5_lS8_S5_lS6_PT7_S5_li.private_seg_size, 0
	.set _ZL32rocblas_syrkx_herkx_small_kernelIldLi16ELb0ELb0ELc84ELc76EKPKdKPdEviT_T0_PT6_S5_lS8_S5_lS6_PT7_S5_li.uses_vcc, 1
	.set _ZL32rocblas_syrkx_herkx_small_kernelIldLi16ELb0ELb0ELc84ELc76EKPKdKPdEviT_T0_PT6_S5_lS8_S5_lS6_PT7_S5_li.uses_flat_scratch, 0
	.set _ZL32rocblas_syrkx_herkx_small_kernelIldLi16ELb0ELb0ELc84ELc76EKPKdKPdEviT_T0_PT6_S5_lS8_S5_lS6_PT7_S5_li.has_dyn_sized_stack, 0
	.set _ZL32rocblas_syrkx_herkx_small_kernelIldLi16ELb0ELb0ELc84ELc76EKPKdKPdEviT_T0_PT6_S5_lS8_S5_lS6_PT7_S5_li.has_recursion, 0
	.set _ZL32rocblas_syrkx_herkx_small_kernelIldLi16ELb0ELb0ELc84ELc76EKPKdKPdEviT_T0_PT6_S5_lS8_S5_lS6_PT7_S5_li.has_indirect_call, 0
	.section	.AMDGPU.csdata,"",@progbits
; Kernel info:
; codeLenInByte = 952
; TotalNumSgprs: 29
; NumVgprs: 32
; ScratchSize: 0
; MemoryBound: 0
; FloatMode: 240
; IeeeMode: 1
; LDSByteSize: 4096 bytes/workgroup (compile time only)
; SGPRBlocks: 3
; VGPRBlocks: 7
; NumSGPRsForWavesPerEU: 29
; NumVGPRsForWavesPerEU: 32
; Occupancy: 8
; WaveLimiterHint : 1
; COMPUTE_PGM_RSRC2:SCRATCH_EN: 0
; COMPUTE_PGM_RSRC2:USER_SGPR: 6
; COMPUTE_PGM_RSRC2:TRAP_HANDLER: 0
; COMPUTE_PGM_RSRC2:TGID_X_EN: 1
; COMPUTE_PGM_RSRC2:TGID_Y_EN: 1
; COMPUTE_PGM_RSRC2:TGID_Z_EN: 1
; COMPUTE_PGM_RSRC2:TIDIG_COMP_CNT: 1
	.section	.text._ZL32rocblas_syrkx_herkx_small_kernelIldLi16ELb0ELb0ELc67ELc76EKPKdKPdEviT_T0_PT6_S5_lS8_S5_lS6_PT7_S5_li,"axG",@progbits,_ZL32rocblas_syrkx_herkx_small_kernelIldLi16ELb0ELb0ELc67ELc76EKPKdKPdEviT_T0_PT6_S5_lS8_S5_lS6_PT7_S5_li,comdat
	.globl	_ZL32rocblas_syrkx_herkx_small_kernelIldLi16ELb0ELb0ELc67ELc76EKPKdKPdEviT_T0_PT6_S5_lS8_S5_lS6_PT7_S5_li ; -- Begin function _ZL32rocblas_syrkx_herkx_small_kernelIldLi16ELb0ELb0ELc67ELc76EKPKdKPdEviT_T0_PT6_S5_lS8_S5_lS6_PT7_S5_li
	.p2align	8
	.type	_ZL32rocblas_syrkx_herkx_small_kernelIldLi16ELb0ELb0ELc67ELc76EKPKdKPdEviT_T0_PT6_S5_lS8_S5_lS6_PT7_S5_li,@function
_ZL32rocblas_syrkx_herkx_small_kernelIldLi16ELb0ELb0ELc67ELc76EKPKdKPdEviT_T0_PT6_S5_lS8_S5_lS6_PT7_S5_li: ; @_ZL32rocblas_syrkx_herkx_small_kernelIldLi16ELb0ELb0ELc67ELc76EKPKdKPdEviT_T0_PT6_S5_lS8_S5_lS6_PT7_S5_li
; %bb.0:
	s_load_dwordx2 s[10:11], s[4:5], 0x58
	s_load_dwordx4 s[20:23], s[4:5], 0x48
	s_load_dword s24, s[4:5], 0x0
	s_load_dwordx8 s[12:19], s[4:5], 0x8
	s_mov_b32 s9, 0
	s_lshl_b64 s[2:3], s[8:9], 3
	s_waitcnt lgkmcnt(0)
	s_add_u32 s0, s22, s2
	s_addc_u32 s1, s23, s3
	s_load_dwordx2 s[8:9], s[0:1], 0x0
	v_cmp_lt_i64_e64 s[0:1], s[12:13], 1
	v_lshl_add_u32 v2, s6, 4, v0
	v_lshl_add_u32 v14, s7, 4, v1
	s_and_b64 vcc, exec, s[0:1]
	v_cmp_gt_i32_e64 s[0:1], s24, v2
	v_ashrrev_i32_e32 v3, 31, v2
	v_ashrrev_i32_e32 v15, 31, v14
	s_cbranch_vccnz .LBB1520_7
; %bb.1:
	s_load_dwordx4 s[4:7], s[4:5], 0x30
	v_lshlrev_b32_e32 v6, 7, v1
	v_lshlrev_b32_e32 v16, 3, v0
	v_add_u32_e32 v17, v16, v6
	v_add_u32_e32 v18, 0x800, v6
	s_waitcnt lgkmcnt(0)
	s_add_u32 s4, s4, s2
	s_addc_u32 s5, s5, s3
	s_add_u32 s2, s16, s2
	s_addc_u32 s3, s17, s3
	s_load_dwordx2 s[16:17], s[2:3], 0x0
	v_mul_lo_u32 v7, s7, v14
	v_mul_lo_u32 v8, s6, v15
	v_mad_u64_u32 v[4:5], s[2:3], s6, v14, 0
	s_load_dwordx2 s[4:5], s[4:5], 0x0
	v_mul_lo_u32 v9, s19, v2
	v_add3_u32 v5, v5, v8, v7
	v_mul_lo_u32 v10, s18, v3
	v_mad_u64_u32 v[6:7], s[6:7], s18, v2, 0
	v_lshlrev_b64 v[4:5], 3, v[4:5]
	s_waitcnt lgkmcnt(0)
	v_mov_b32_e32 v8, s5
	v_add_co_u32_e32 v4, vcc, v4, v16
	v_addc_co_u32_e32 v5, vcc, 0, v5, vcc
	v_add3_u32 v7, v7, v10, v9
	v_add_co_u32_e32 v4, vcc, s4, v4
	v_lshlrev_b64 v[6:7], 3, v[6:7]
	v_addc_co_u32_e32 v5, vcc, v8, v5, vcc
	v_lshlrev_b32_e32 v8, 3, v1
	v_add_co_u32_e32 v6, vcc, v6, v8
	v_addc_co_u32_e32 v7, vcc, 0, v7, vcc
	v_mov_b32_e32 v8, s17
	v_add_co_u32_e32 v6, vcc, s16, v6
	v_addc_co_u32_e32 v7, vcc, v8, v7, vcc
	v_mov_b32_e32 v10, 0
	v_mov_b32_e32 v8, s12
	v_cmp_gt_i32_e64 s[2:3], s24, v14
	v_add_u32_e32 v19, v18, v16
	v_mov_b32_e32 v11, 0
	s_mov_b64 s[6:7], 0
	v_mov_b32_e32 v9, s13
	s_branch .LBB1520_3
.LBB1520_2:                             ;   in Loop: Header=BB1520_3 Depth=1
	s_or_b64 exec, exec, s[4:5]
	s_waitcnt vmcnt(0) lgkmcnt(0)
	ds_write_b64 v19, v[12:13]
	s_waitcnt lgkmcnt(0)
	s_barrier
	ds_read2_b64 v[20:23], v16 offset1:16
	ds_read_b128 v[24:27], v18
	ds_read_b128 v[28:31], v18 offset:16
	s_add_u32 s6, s6, 16
	v_add_co_u32_e32 v4, vcc, 0x80, v4
	s_waitcnt lgkmcnt(1)
	v_fma_f64 v[10:11], v[20:21], v[24:25], v[10:11]
	s_addc_u32 s7, s7, 0
	v_addc_co_u32_e32 v5, vcc, 0, v5, vcc
	v_add_co_u32_e32 v6, vcc, 0x80, v6
	v_cmp_ge_i64_e64 s[4:5], s[6:7], v[8:9]
	v_addc_co_u32_e32 v7, vcc, 0, v7, vcc
	v_fma_f64 v[20:21], v[22:23], v[26:27], v[10:11]
	ds_read2_b64 v[10:13], v16 offset0:32 offset1:48
	s_and_b64 vcc, exec, s[4:5]
	s_waitcnt lgkmcnt(0)
	v_fma_f64 v[10:11], v[10:11], v[28:29], v[20:21]
	v_fma_f64 v[28:29], v[12:13], v[30:31], v[10:11]
	ds_read2_b64 v[10:13], v16 offset0:64 offset1:80
	ds_read_b128 v[20:23], v18 offset:32
	ds_read_b128 v[24:27], v18 offset:48
	s_waitcnt lgkmcnt(1)
	v_fma_f64 v[10:11], v[10:11], v[20:21], v[28:29]
	v_fma_f64 v[20:21], v[12:13], v[22:23], v[10:11]
	ds_read2_b64 v[10:13], v16 offset0:96 offset1:112
	s_waitcnt lgkmcnt(0)
	v_fma_f64 v[10:11], v[10:11], v[24:25], v[20:21]
	v_fma_f64 v[28:29], v[12:13], v[26:27], v[10:11]
	ds_read2_b64 v[10:13], v16 offset0:128 offset1:144
	ds_read_b128 v[20:23], v18 offset:64
	ds_read_b128 v[24:27], v18 offset:80
	s_waitcnt lgkmcnt(1)
	v_fma_f64 v[10:11], v[10:11], v[20:21], v[28:29]
	v_fma_f64 v[20:21], v[12:13], v[22:23], v[10:11]
	ds_read2_b64 v[10:13], v16 offset0:160 offset1:176
	;; [unrolled: 10-line block ×3, first 2 shown]
	s_waitcnt lgkmcnt(0)
	s_barrier
	v_fma_f64 v[10:11], v[10:11], v[24:25], v[20:21]
	v_fma_f64 v[10:11], v[12:13], v[26:27], v[10:11]
	s_cbranch_vccnz .LBB1520_8
.LBB1520_3:                             ; =>This Inner Loop Header: Depth=1
	v_mov_b32_e32 v13, s7
	v_add_co_u32_e32 v12, vcc, s6, v1
	v_addc_co_u32_e32 v13, vcc, 0, v13, vcc
	v_cmp_gt_i64_e32 vcc, s[12:13], v[12:13]
	v_mov_b32_e32 v12, 0
	v_mov_b32_e32 v13, 0
	s_and_b64 s[16:17], s[0:1], vcc
	s_and_saveexec_b64 s[4:5], s[16:17]
	s_cbranch_execz .LBB1520_5
; %bb.4:                                ;   in Loop: Header=BB1520_3 Depth=1
	flat_load_dwordx2 v[12:13], v[6:7]
.LBB1520_5:                             ;   in Loop: Header=BB1520_3 Depth=1
	s_or_b64 exec, exec, s[4:5]
	s_waitcnt vmcnt(0) lgkmcnt(0)
	ds_write_b64 v17, v[12:13]
	v_mov_b32_e32 v13, s7
	v_add_co_u32_e32 v12, vcc, s6, v0
	v_addc_co_u32_e32 v13, vcc, 0, v13, vcc
	v_cmp_gt_i64_e32 vcc, s[12:13], v[12:13]
	v_mov_b32_e32 v12, 0
	v_mov_b32_e32 v13, 0
	s_and_b64 s[16:17], s[2:3], vcc
	s_and_saveexec_b64 s[4:5], s[16:17]
	s_cbranch_execz .LBB1520_2
; %bb.6:                                ;   in Loop: Header=BB1520_3 Depth=1
	flat_load_dwordx2 v[12:13], v[4:5]
	s_branch .LBB1520_2
.LBB1520_7:
	v_mov_b32_e32 v10, 0
	v_mov_b32_e32 v11, 0
.LBB1520_8:
	v_cmp_le_i32_e32 vcc, v14, v2
	v_cmp_gt_i32_e64 s[0:1], s24, v2
	s_and_b64 s[0:1], vcc, s[0:1]
	s_and_saveexec_b64 s[2:3], s[0:1]
	s_cbranch_execz .LBB1520_10
; %bb.9:
	v_mul_lo_u32 v4, s11, v14
	v_mul_lo_u32 v5, s10, v15
	v_mad_u64_u32 v[0:1], s[0:1], s10, v14, 0
	v_add3_u32 v1, v1, v5, v4
	v_lshlrev_b64 v[0:1], 3, v[0:1]
	s_waitcnt lgkmcnt(0)
	v_mov_b32_e32 v4, s9
	v_add_co_u32_e32 v5, vcc, s8, v0
	v_addc_co_u32_e32 v4, vcc, v4, v1, vcc
	v_lshlrev_b64 v[0:1], 3, v[2:3]
	v_add_co_u32_e32 v0, vcc, v5, v0
	v_addc_co_u32_e32 v1, vcc, v4, v1, vcc
	flat_load_dwordx2 v[2:3], v[0:1]
	s_waitcnt vmcnt(0) lgkmcnt(0)
	v_mul_f64 v[2:3], s[20:21], v[2:3]
	v_fma_f64 v[2:3], s[14:15], v[10:11], v[2:3]
	flat_store_dwordx2 v[0:1], v[2:3]
.LBB1520_10:
	s_endpgm
	.section	.rodata,"a",@progbits
	.p2align	6, 0x0
	.amdhsa_kernel _ZL32rocblas_syrkx_herkx_small_kernelIldLi16ELb0ELb0ELc67ELc76EKPKdKPdEviT_T0_PT6_S5_lS8_S5_lS6_PT7_S5_li
		.amdhsa_group_segment_fixed_size 4096
		.amdhsa_private_segment_fixed_size 0
		.amdhsa_kernarg_size 108
		.amdhsa_user_sgpr_count 6
		.amdhsa_user_sgpr_private_segment_buffer 1
		.amdhsa_user_sgpr_dispatch_ptr 0
		.amdhsa_user_sgpr_queue_ptr 0
		.amdhsa_user_sgpr_kernarg_segment_ptr 1
		.amdhsa_user_sgpr_dispatch_id 0
		.amdhsa_user_sgpr_flat_scratch_init 0
		.amdhsa_user_sgpr_private_segment_size 0
		.amdhsa_uses_dynamic_stack 0
		.amdhsa_system_sgpr_private_segment_wavefront_offset 0
		.amdhsa_system_sgpr_workgroup_id_x 1
		.amdhsa_system_sgpr_workgroup_id_y 1
		.amdhsa_system_sgpr_workgroup_id_z 1
		.amdhsa_system_sgpr_workgroup_info 0
		.amdhsa_system_vgpr_workitem_id 1
		.amdhsa_next_free_vgpr 32
		.amdhsa_next_free_sgpr 25
		.amdhsa_reserve_vcc 1
		.amdhsa_reserve_flat_scratch 0
		.amdhsa_float_round_mode_32 0
		.amdhsa_float_round_mode_16_64 0
		.amdhsa_float_denorm_mode_32 3
		.amdhsa_float_denorm_mode_16_64 3
		.amdhsa_dx10_clamp 1
		.amdhsa_ieee_mode 1
		.amdhsa_fp16_overflow 0
		.amdhsa_exception_fp_ieee_invalid_op 0
		.amdhsa_exception_fp_denorm_src 0
		.amdhsa_exception_fp_ieee_div_zero 0
		.amdhsa_exception_fp_ieee_overflow 0
		.amdhsa_exception_fp_ieee_underflow 0
		.amdhsa_exception_fp_ieee_inexact 0
		.amdhsa_exception_int_div_zero 0
	.end_amdhsa_kernel
	.section	.text._ZL32rocblas_syrkx_herkx_small_kernelIldLi16ELb0ELb0ELc67ELc76EKPKdKPdEviT_T0_PT6_S5_lS8_S5_lS6_PT7_S5_li,"axG",@progbits,_ZL32rocblas_syrkx_herkx_small_kernelIldLi16ELb0ELb0ELc67ELc76EKPKdKPdEviT_T0_PT6_S5_lS8_S5_lS6_PT7_S5_li,comdat
.Lfunc_end1520:
	.size	_ZL32rocblas_syrkx_herkx_small_kernelIldLi16ELb0ELb0ELc67ELc76EKPKdKPdEviT_T0_PT6_S5_lS8_S5_lS6_PT7_S5_li, .Lfunc_end1520-_ZL32rocblas_syrkx_herkx_small_kernelIldLi16ELb0ELb0ELc67ELc76EKPKdKPdEviT_T0_PT6_S5_lS8_S5_lS6_PT7_S5_li
                                        ; -- End function
	.set _ZL32rocblas_syrkx_herkx_small_kernelIldLi16ELb0ELb0ELc67ELc76EKPKdKPdEviT_T0_PT6_S5_lS8_S5_lS6_PT7_S5_li.num_vgpr, 32
	.set _ZL32rocblas_syrkx_herkx_small_kernelIldLi16ELb0ELb0ELc67ELc76EKPKdKPdEviT_T0_PT6_S5_lS8_S5_lS6_PT7_S5_li.num_agpr, 0
	.set _ZL32rocblas_syrkx_herkx_small_kernelIldLi16ELb0ELb0ELc67ELc76EKPKdKPdEviT_T0_PT6_S5_lS8_S5_lS6_PT7_S5_li.numbered_sgpr, 25
	.set _ZL32rocblas_syrkx_herkx_small_kernelIldLi16ELb0ELb0ELc67ELc76EKPKdKPdEviT_T0_PT6_S5_lS8_S5_lS6_PT7_S5_li.num_named_barrier, 0
	.set _ZL32rocblas_syrkx_herkx_small_kernelIldLi16ELb0ELb0ELc67ELc76EKPKdKPdEviT_T0_PT6_S5_lS8_S5_lS6_PT7_S5_li.private_seg_size, 0
	.set _ZL32rocblas_syrkx_herkx_small_kernelIldLi16ELb0ELb0ELc67ELc76EKPKdKPdEviT_T0_PT6_S5_lS8_S5_lS6_PT7_S5_li.uses_vcc, 1
	.set _ZL32rocblas_syrkx_herkx_small_kernelIldLi16ELb0ELb0ELc67ELc76EKPKdKPdEviT_T0_PT6_S5_lS8_S5_lS6_PT7_S5_li.uses_flat_scratch, 0
	.set _ZL32rocblas_syrkx_herkx_small_kernelIldLi16ELb0ELb0ELc67ELc76EKPKdKPdEviT_T0_PT6_S5_lS8_S5_lS6_PT7_S5_li.has_dyn_sized_stack, 0
	.set _ZL32rocblas_syrkx_herkx_small_kernelIldLi16ELb0ELb0ELc67ELc76EKPKdKPdEviT_T0_PT6_S5_lS8_S5_lS6_PT7_S5_li.has_recursion, 0
	.set _ZL32rocblas_syrkx_herkx_small_kernelIldLi16ELb0ELb0ELc67ELc76EKPKdKPdEviT_T0_PT6_S5_lS8_S5_lS6_PT7_S5_li.has_indirect_call, 0
	.section	.AMDGPU.csdata,"",@progbits
; Kernel info:
; codeLenInByte = 952
; TotalNumSgprs: 29
; NumVgprs: 32
; ScratchSize: 0
; MemoryBound: 0
; FloatMode: 240
; IeeeMode: 1
; LDSByteSize: 4096 bytes/workgroup (compile time only)
; SGPRBlocks: 3
; VGPRBlocks: 7
; NumSGPRsForWavesPerEU: 29
; NumVGPRsForWavesPerEU: 32
; Occupancy: 8
; WaveLimiterHint : 1
; COMPUTE_PGM_RSRC2:SCRATCH_EN: 0
; COMPUTE_PGM_RSRC2:USER_SGPR: 6
; COMPUTE_PGM_RSRC2:TRAP_HANDLER: 0
; COMPUTE_PGM_RSRC2:TGID_X_EN: 1
; COMPUTE_PGM_RSRC2:TGID_Y_EN: 1
; COMPUTE_PGM_RSRC2:TGID_Z_EN: 1
; COMPUTE_PGM_RSRC2:TIDIG_COMP_CNT: 1
	.section	.text._ZL32rocblas_syrkx_herkx_small_kernelIldLi16ELb0ELb0ELc78ELc76EKPKdKPdEviT_T0_PT6_S5_lS8_S5_lS6_PT7_S5_li,"axG",@progbits,_ZL32rocblas_syrkx_herkx_small_kernelIldLi16ELb0ELb0ELc78ELc76EKPKdKPdEviT_T0_PT6_S5_lS8_S5_lS6_PT7_S5_li,comdat
	.globl	_ZL32rocblas_syrkx_herkx_small_kernelIldLi16ELb0ELb0ELc78ELc76EKPKdKPdEviT_T0_PT6_S5_lS8_S5_lS6_PT7_S5_li ; -- Begin function _ZL32rocblas_syrkx_herkx_small_kernelIldLi16ELb0ELb0ELc78ELc76EKPKdKPdEviT_T0_PT6_S5_lS8_S5_lS6_PT7_S5_li
	.p2align	8
	.type	_ZL32rocblas_syrkx_herkx_small_kernelIldLi16ELb0ELb0ELc78ELc76EKPKdKPdEviT_T0_PT6_S5_lS8_S5_lS6_PT7_S5_li,@function
_ZL32rocblas_syrkx_herkx_small_kernelIldLi16ELb0ELb0ELc78ELc76EKPKdKPdEviT_T0_PT6_S5_lS8_S5_lS6_PT7_S5_li: ; @_ZL32rocblas_syrkx_herkx_small_kernelIldLi16ELb0ELb0ELc78ELc76EKPKdKPdEviT_T0_PT6_S5_lS8_S5_lS6_PT7_S5_li
; %bb.0:
	s_load_dwordx2 s[10:11], s[4:5], 0x58
	s_load_dwordx4 s[20:23], s[4:5], 0x48
	s_load_dword s24, s[4:5], 0x0
	s_load_dwordx8 s[12:19], s[4:5], 0x8
	s_mov_b32 s9, 0
	s_lshl_b64 s[2:3], s[8:9], 3
	s_waitcnt lgkmcnt(0)
	s_add_u32 s0, s22, s2
	s_addc_u32 s1, s23, s3
	s_load_dwordx2 s[8:9], s[0:1], 0x0
	v_cmp_lt_i64_e64 s[0:1], s[12:13], 1
	v_lshl_add_u32 v2, s6, 4, v0
	v_lshl_add_u32 v4, s7, 4, v1
	s_and_b64 vcc, exec, s[0:1]
	v_cmp_gt_i32_e64 s[0:1], s24, v2
	v_ashrrev_i32_e32 v3, 31, v2
	v_ashrrev_i32_e32 v5, 31, v4
	s_cbranch_vccnz .LBB1521_7
; %bb.1:
	s_load_dwordx4 s[4:7], s[4:5], 0x30
	v_lshlrev_b32_e32 v9, 7, v1
	v_lshlrev_b32_e32 v16, 3, v0
	v_mad_u64_u32 v[10:11], s[22:23], s18, v1, 0
	s_waitcnt lgkmcnt(0)
	s_add_u32 s4, s4, s2
	v_mad_u64_u32 v[6:7], s[22:23], s6, v0, 0
	s_addc_u32 s5, s5, s3
	s_add_u32 s2, s16, s2
	s_addc_u32 s3, s17, s3
	s_load_dwordx2 s[16:17], s[2:3], 0x0
	v_mad_u64_u32 v[7:8], s[2:3], s7, v0, v[7:8]
	v_add_u32_e32 v17, v16, v9
	v_add_u32_e32 v18, 0x800, v9
	v_lshlrev_b64 v[6:7], 3, v[6:7]
	v_lshlrev_b64 v[8:9], 3, v[4:5]
	s_load_dwordx2 s[4:5], s[4:5], 0x0
	v_add_co_u32_e32 v12, vcc, v6, v8
	v_addc_co_u32_e32 v7, vcc, v7, v9, vcc
	v_mov_b32_e32 v6, v11
	v_mad_u64_u32 v[8:9], s[22:23], s19, v1, v[6:7]
	s_waitcnt lgkmcnt(0)
	v_mov_b32_e32 v13, s5
	v_add_co_u32_e32 v6, vcc, s4, v12
	v_mov_b32_e32 v11, v8
	v_lshlrev_b64 v[8:9], 3, v[10:11]
	v_lshlrev_b64 v[10:11], 3, v[2:3]
	v_addc_co_u32_e32 v7, vcc, v13, v7, vcc
	v_add_co_u32_e32 v8, vcc, v8, v10
	v_addc_co_u32_e32 v9, vcc, v9, v11, vcc
	v_mov_b32_e32 v10, s17
	v_add_co_u32_e32 v8, vcc, s16, v8
	s_lshl_b64 s[6:7], s[6:7], 7
	v_addc_co_u32_e32 v9, vcc, v10, v9, vcc
	s_lshl_b64 s[16:17], s[18:19], 7
	v_mov_b32_e32 v12, 0
	v_mov_b32_e32 v10, s12
	v_cmp_gt_i32_e64 s[2:3], s24, v4
	v_add_u32_e32 v19, v18, v16
	v_mov_b32_e32 v13, 0
	s_mov_b64 s[18:19], 0
	v_mov_b32_e32 v20, s7
	v_mov_b32_e32 v21, s17
	;; [unrolled: 1-line block ×3, first 2 shown]
	s_branch .LBB1521_3
.LBB1521_2:                             ;   in Loop: Header=BB1521_3 Depth=1
	s_or_b64 exec, exec, s[4:5]
	s_waitcnt vmcnt(0) lgkmcnt(0)
	ds_write_b64 v19, v[14:15]
	s_waitcnt lgkmcnt(0)
	s_barrier
	ds_read2_b64 v[22:25], v16 offset1:16
	ds_read_b128 v[26:29], v18
	ds_read_b128 v[30:33], v18 offset:16
	s_add_u32 s18, s18, 16
	v_add_co_u32_e32 v6, vcc, s6, v6
	s_waitcnt lgkmcnt(1)
	v_fma_f64 v[12:13], v[22:23], v[26:27], v[12:13]
	v_addc_co_u32_e32 v7, vcc, v7, v20, vcc
	s_addc_u32 s19, s19, 0
	v_cmp_ge_i64_e32 vcc, s[18:19], v[10:11]
	v_add_co_u32_e64 v8, s[4:5], s16, v8
	v_addc_co_u32_e64 v9, s[4:5], v9, v21, s[4:5]
	v_fma_f64 v[22:23], v[24:25], v[28:29], v[12:13]
	ds_read2_b64 v[12:15], v16 offset0:32 offset1:48
	s_and_b64 vcc, exec, vcc
	s_waitcnt lgkmcnt(0)
	v_fma_f64 v[12:13], v[12:13], v[30:31], v[22:23]
	v_fma_f64 v[30:31], v[14:15], v[32:33], v[12:13]
	ds_read2_b64 v[12:15], v16 offset0:64 offset1:80
	ds_read_b128 v[22:25], v18 offset:32
	ds_read_b128 v[26:29], v18 offset:48
	s_waitcnt lgkmcnt(1)
	v_fma_f64 v[12:13], v[12:13], v[22:23], v[30:31]
	v_fma_f64 v[22:23], v[14:15], v[24:25], v[12:13]
	ds_read2_b64 v[12:15], v16 offset0:96 offset1:112
	s_waitcnt lgkmcnt(0)
	v_fma_f64 v[12:13], v[12:13], v[26:27], v[22:23]
	v_fma_f64 v[30:31], v[14:15], v[28:29], v[12:13]
	ds_read2_b64 v[12:15], v16 offset0:128 offset1:144
	ds_read_b128 v[22:25], v18 offset:64
	ds_read_b128 v[26:29], v18 offset:80
	s_waitcnt lgkmcnt(1)
	v_fma_f64 v[12:13], v[12:13], v[22:23], v[30:31]
	v_fma_f64 v[22:23], v[14:15], v[24:25], v[12:13]
	ds_read2_b64 v[12:15], v16 offset0:160 offset1:176
	;; [unrolled: 10-line block ×3, first 2 shown]
	s_waitcnt lgkmcnt(0)
	s_barrier
	v_fma_f64 v[12:13], v[12:13], v[26:27], v[22:23]
	v_fma_f64 v[12:13], v[14:15], v[28:29], v[12:13]
	s_cbranch_vccnz .LBB1521_8
.LBB1521_3:                             ; =>This Inner Loop Header: Depth=1
	v_mov_b32_e32 v15, s19
	v_add_co_u32_e32 v14, vcc, s18, v1
	v_addc_co_u32_e32 v15, vcc, 0, v15, vcc
	v_cmp_gt_i64_e32 vcc, s[12:13], v[14:15]
	v_mov_b32_e32 v14, 0
	v_mov_b32_e32 v15, 0
	s_and_b64 s[22:23], s[0:1], vcc
	s_and_saveexec_b64 s[4:5], s[22:23]
	s_cbranch_execz .LBB1521_5
; %bb.4:                                ;   in Loop: Header=BB1521_3 Depth=1
	flat_load_dwordx2 v[14:15], v[8:9]
.LBB1521_5:                             ;   in Loop: Header=BB1521_3 Depth=1
	s_or_b64 exec, exec, s[4:5]
	s_waitcnt vmcnt(0) lgkmcnt(0)
	ds_write_b64 v17, v[14:15]
	v_mov_b32_e32 v15, s19
	v_add_co_u32_e32 v14, vcc, s18, v0
	v_addc_co_u32_e32 v15, vcc, 0, v15, vcc
	v_cmp_gt_i64_e32 vcc, s[12:13], v[14:15]
	v_mov_b32_e32 v14, 0
	v_mov_b32_e32 v15, 0
	s_and_b64 s[22:23], s[2:3], vcc
	s_and_saveexec_b64 s[4:5], s[22:23]
	s_cbranch_execz .LBB1521_2
; %bb.6:                                ;   in Loop: Header=BB1521_3 Depth=1
	flat_load_dwordx2 v[14:15], v[6:7]
	s_branch .LBB1521_2
.LBB1521_7:
	v_mov_b32_e32 v12, 0
	v_mov_b32_e32 v13, 0
.LBB1521_8:
	v_cmp_le_i32_e32 vcc, v4, v2
	v_cmp_gt_i32_e64 s[0:1], s24, v2
	s_and_b64 s[0:1], vcc, s[0:1]
	s_and_saveexec_b64 s[2:3], s[0:1]
	s_cbranch_execz .LBB1521_10
; %bb.9:
	v_mul_lo_u32 v6, s11, v4
	v_mul_lo_u32 v5, s10, v5
	v_mad_u64_u32 v[0:1], s[0:1], s10, v4, 0
	s_waitcnt lgkmcnt(0)
	v_mov_b32_e32 v4, s9
	v_add3_u32 v1, v1, v5, v6
	v_lshlrev_b64 v[0:1], 3, v[0:1]
	v_add_co_u32_e32 v5, vcc, s8, v0
	v_addc_co_u32_e32 v4, vcc, v4, v1, vcc
	v_lshlrev_b64 v[0:1], 3, v[2:3]
	v_add_co_u32_e32 v0, vcc, v5, v0
	v_addc_co_u32_e32 v1, vcc, v4, v1, vcc
	flat_load_dwordx2 v[2:3], v[0:1]
	s_waitcnt vmcnt(0) lgkmcnt(0)
	v_mul_f64 v[2:3], s[20:21], v[2:3]
	v_fma_f64 v[2:3], s[14:15], v[12:13], v[2:3]
	flat_store_dwordx2 v[0:1], v[2:3]
.LBB1521_10:
	s_endpgm
	.section	.rodata,"a",@progbits
	.p2align	6, 0x0
	.amdhsa_kernel _ZL32rocblas_syrkx_herkx_small_kernelIldLi16ELb0ELb0ELc78ELc76EKPKdKPdEviT_T0_PT6_S5_lS8_S5_lS6_PT7_S5_li
		.amdhsa_group_segment_fixed_size 4096
		.amdhsa_private_segment_fixed_size 0
		.amdhsa_kernarg_size 108
		.amdhsa_user_sgpr_count 6
		.amdhsa_user_sgpr_private_segment_buffer 1
		.amdhsa_user_sgpr_dispatch_ptr 0
		.amdhsa_user_sgpr_queue_ptr 0
		.amdhsa_user_sgpr_kernarg_segment_ptr 1
		.amdhsa_user_sgpr_dispatch_id 0
		.amdhsa_user_sgpr_flat_scratch_init 0
		.amdhsa_user_sgpr_private_segment_size 0
		.amdhsa_uses_dynamic_stack 0
		.amdhsa_system_sgpr_private_segment_wavefront_offset 0
		.amdhsa_system_sgpr_workgroup_id_x 1
		.amdhsa_system_sgpr_workgroup_id_y 1
		.amdhsa_system_sgpr_workgroup_id_z 1
		.amdhsa_system_sgpr_workgroup_info 0
		.amdhsa_system_vgpr_workitem_id 1
		.amdhsa_next_free_vgpr 34
		.amdhsa_next_free_sgpr 25
		.amdhsa_reserve_vcc 1
		.amdhsa_reserve_flat_scratch 0
		.amdhsa_float_round_mode_32 0
		.amdhsa_float_round_mode_16_64 0
		.amdhsa_float_denorm_mode_32 3
		.amdhsa_float_denorm_mode_16_64 3
		.amdhsa_dx10_clamp 1
		.amdhsa_ieee_mode 1
		.amdhsa_fp16_overflow 0
		.amdhsa_exception_fp_ieee_invalid_op 0
		.amdhsa_exception_fp_denorm_src 0
		.amdhsa_exception_fp_ieee_div_zero 0
		.amdhsa_exception_fp_ieee_overflow 0
		.amdhsa_exception_fp_ieee_underflow 0
		.amdhsa_exception_fp_ieee_inexact 0
		.amdhsa_exception_int_div_zero 0
	.end_amdhsa_kernel
	.section	.text._ZL32rocblas_syrkx_herkx_small_kernelIldLi16ELb0ELb0ELc78ELc76EKPKdKPdEviT_T0_PT6_S5_lS8_S5_lS6_PT7_S5_li,"axG",@progbits,_ZL32rocblas_syrkx_herkx_small_kernelIldLi16ELb0ELb0ELc78ELc76EKPKdKPdEviT_T0_PT6_S5_lS8_S5_lS6_PT7_S5_li,comdat
.Lfunc_end1521:
	.size	_ZL32rocblas_syrkx_herkx_small_kernelIldLi16ELb0ELb0ELc78ELc76EKPKdKPdEviT_T0_PT6_S5_lS8_S5_lS6_PT7_S5_li, .Lfunc_end1521-_ZL32rocblas_syrkx_herkx_small_kernelIldLi16ELb0ELb0ELc78ELc76EKPKdKPdEviT_T0_PT6_S5_lS8_S5_lS6_PT7_S5_li
                                        ; -- End function
	.set _ZL32rocblas_syrkx_herkx_small_kernelIldLi16ELb0ELb0ELc78ELc76EKPKdKPdEviT_T0_PT6_S5_lS8_S5_lS6_PT7_S5_li.num_vgpr, 34
	.set _ZL32rocblas_syrkx_herkx_small_kernelIldLi16ELb0ELb0ELc78ELc76EKPKdKPdEviT_T0_PT6_S5_lS8_S5_lS6_PT7_S5_li.num_agpr, 0
	.set _ZL32rocblas_syrkx_herkx_small_kernelIldLi16ELb0ELb0ELc78ELc76EKPKdKPdEviT_T0_PT6_S5_lS8_S5_lS6_PT7_S5_li.numbered_sgpr, 25
	.set _ZL32rocblas_syrkx_herkx_small_kernelIldLi16ELb0ELb0ELc78ELc76EKPKdKPdEviT_T0_PT6_S5_lS8_S5_lS6_PT7_S5_li.num_named_barrier, 0
	.set _ZL32rocblas_syrkx_herkx_small_kernelIldLi16ELb0ELb0ELc78ELc76EKPKdKPdEviT_T0_PT6_S5_lS8_S5_lS6_PT7_S5_li.private_seg_size, 0
	.set _ZL32rocblas_syrkx_herkx_small_kernelIldLi16ELb0ELb0ELc78ELc76EKPKdKPdEviT_T0_PT6_S5_lS8_S5_lS6_PT7_S5_li.uses_vcc, 1
	.set _ZL32rocblas_syrkx_herkx_small_kernelIldLi16ELb0ELb0ELc78ELc76EKPKdKPdEviT_T0_PT6_S5_lS8_S5_lS6_PT7_S5_li.uses_flat_scratch, 0
	.set _ZL32rocblas_syrkx_herkx_small_kernelIldLi16ELb0ELb0ELc78ELc76EKPKdKPdEviT_T0_PT6_S5_lS8_S5_lS6_PT7_S5_li.has_dyn_sized_stack, 0
	.set _ZL32rocblas_syrkx_herkx_small_kernelIldLi16ELb0ELb0ELc78ELc76EKPKdKPdEviT_T0_PT6_S5_lS8_S5_lS6_PT7_S5_li.has_recursion, 0
	.set _ZL32rocblas_syrkx_herkx_small_kernelIldLi16ELb0ELb0ELc78ELc76EKPKdKPdEviT_T0_PT6_S5_lS8_S5_lS6_PT7_S5_li.has_indirect_call, 0
	.section	.AMDGPU.csdata,"",@progbits
; Kernel info:
; codeLenInByte = 952
; TotalNumSgprs: 29
; NumVgprs: 34
; ScratchSize: 0
; MemoryBound: 0
; FloatMode: 240
; IeeeMode: 1
; LDSByteSize: 4096 bytes/workgroup (compile time only)
; SGPRBlocks: 3
; VGPRBlocks: 8
; NumSGPRsForWavesPerEU: 29
; NumVGPRsForWavesPerEU: 34
; Occupancy: 7
; WaveLimiterHint : 1
; COMPUTE_PGM_RSRC2:SCRATCH_EN: 0
; COMPUTE_PGM_RSRC2:USER_SGPR: 6
; COMPUTE_PGM_RSRC2:TRAP_HANDLER: 0
; COMPUTE_PGM_RSRC2:TGID_X_EN: 1
; COMPUTE_PGM_RSRC2:TGID_Y_EN: 1
; COMPUTE_PGM_RSRC2:TGID_Z_EN: 1
; COMPUTE_PGM_RSRC2:TIDIG_COMP_CNT: 1
	.section	.text._ZL32rocblas_syrkx_herkx_small_kernelIldLi16ELb0ELb0ELc84ELc85EKPKdKPdEviT_T0_PT6_S5_lS8_S5_lS6_PT7_S5_li,"axG",@progbits,_ZL32rocblas_syrkx_herkx_small_kernelIldLi16ELb0ELb0ELc84ELc85EKPKdKPdEviT_T0_PT6_S5_lS8_S5_lS6_PT7_S5_li,comdat
	.globl	_ZL32rocblas_syrkx_herkx_small_kernelIldLi16ELb0ELb0ELc84ELc85EKPKdKPdEviT_T0_PT6_S5_lS8_S5_lS6_PT7_S5_li ; -- Begin function _ZL32rocblas_syrkx_herkx_small_kernelIldLi16ELb0ELb0ELc84ELc85EKPKdKPdEviT_T0_PT6_S5_lS8_S5_lS6_PT7_S5_li
	.p2align	8
	.type	_ZL32rocblas_syrkx_herkx_small_kernelIldLi16ELb0ELb0ELc84ELc85EKPKdKPdEviT_T0_PT6_S5_lS8_S5_lS6_PT7_S5_li,@function
_ZL32rocblas_syrkx_herkx_small_kernelIldLi16ELb0ELb0ELc84ELc85EKPKdKPdEviT_T0_PT6_S5_lS8_S5_lS6_PT7_S5_li: ; @_ZL32rocblas_syrkx_herkx_small_kernelIldLi16ELb0ELb0ELc84ELc85EKPKdKPdEviT_T0_PT6_S5_lS8_S5_lS6_PT7_S5_li
; %bb.0:
	s_load_dwordx2 s[10:11], s[4:5], 0x58
	s_load_dwordx4 s[20:23], s[4:5], 0x48
	s_load_dword s26, s[4:5], 0x0
	s_load_dwordx8 s[12:19], s[4:5], 0x8
	s_mov_b32 s9, 0
	s_lshl_b64 s[24:25], s[8:9], 3
	s_waitcnt lgkmcnt(0)
	s_add_u32 s0, s22, s24
	s_addc_u32 s1, s23, s25
	s_load_dwordx2 s[8:9], s[0:1], 0x0
	v_cmp_lt_i64_e64 s[0:1], s[12:13], 1
	v_lshl_add_u32 v2, s6, 4, v0
	v_lshl_add_u32 v14, s7, 4, v1
	s_and_b64 vcc, exec, s[0:1]
	v_ashrrev_i32_e32 v3, 31, v2
	v_cmp_gt_i32_e64 s[0:1], s26, v14
	v_ashrrev_i32_e32 v15, 31, v14
	s_cbranch_vccnz .LBB1522_7
; %bb.1:
	s_load_dwordx4 s[4:7], s[4:5], 0x30
	v_lshlrev_b32_e32 v6, 7, v1
	v_lshlrev_b32_e32 v16, 3, v0
	v_add_u32_e32 v17, v16, v6
	v_add_u32_e32 v18, 0x800, v6
	s_waitcnt lgkmcnt(0)
	v_mul_lo_u32 v7, s7, v14
	v_mul_lo_u32 v8, s6, v15
	v_mad_u64_u32 v[4:5], s[6:7], s6, v14, 0
	s_add_u32 s4, s4, s24
	s_addc_u32 s5, s5, s25
	s_load_dwordx2 s[4:5], s[4:5], 0x0
	v_add3_u32 v5, v5, v8, v7
	v_mul_lo_u32 v9, s19, v2
	v_mul_lo_u32 v10, s18, v3
	v_mad_u64_u32 v[6:7], s[6:7], s18, v2, 0
	v_lshlrev_b64 v[4:5], 3, v[4:5]
	s_add_u32 s16, s16, s24
	s_addc_u32 s17, s17, s25
	v_add_co_u32_e32 v4, vcc, v4, v16
	s_load_dwordx2 s[16:17], s[16:17], 0x0
	v_addc_co_u32_e32 v5, vcc, 0, v5, vcc
	v_add3_u32 v7, v7, v10, v9
	s_waitcnt lgkmcnt(0)
	v_mov_b32_e32 v8, s5
	v_add_co_u32_e32 v4, vcc, s4, v4
	v_lshlrev_b64 v[6:7], 3, v[6:7]
	v_addc_co_u32_e32 v5, vcc, v8, v5, vcc
	v_lshlrev_b32_e32 v8, 3, v1
	v_add_co_u32_e32 v6, vcc, v6, v8
	v_addc_co_u32_e32 v7, vcc, 0, v7, vcc
	v_mov_b32_e32 v8, s17
	v_add_co_u32_e32 v6, vcc, s16, v6
	v_addc_co_u32_e32 v7, vcc, v8, v7, vcc
	v_mov_b32_e32 v10, 0
	v_mov_b32_e32 v8, s12
	v_cmp_gt_i32_e64 s[2:3], s26, v2
	v_add_u32_e32 v19, v18, v16
	v_mov_b32_e32 v11, 0
	s_mov_b64 s[6:7], 0
	v_mov_b32_e32 v9, s13
	s_branch .LBB1522_3
.LBB1522_2:                             ;   in Loop: Header=BB1522_3 Depth=1
	s_or_b64 exec, exec, s[4:5]
	s_waitcnt vmcnt(0) lgkmcnt(0)
	ds_write_b64 v19, v[12:13]
	s_waitcnt lgkmcnt(0)
	s_barrier
	ds_read2_b64 v[20:23], v16 offset1:16
	ds_read_b128 v[24:27], v18
	ds_read_b128 v[28:31], v18 offset:16
	s_add_u32 s6, s6, 16
	v_add_co_u32_e32 v4, vcc, 0x80, v4
	s_waitcnt lgkmcnt(1)
	v_fma_f64 v[10:11], v[20:21], v[24:25], v[10:11]
	s_addc_u32 s7, s7, 0
	v_addc_co_u32_e32 v5, vcc, 0, v5, vcc
	v_add_co_u32_e32 v6, vcc, 0x80, v6
	v_cmp_ge_i64_e64 s[4:5], s[6:7], v[8:9]
	v_addc_co_u32_e32 v7, vcc, 0, v7, vcc
	v_fma_f64 v[20:21], v[22:23], v[26:27], v[10:11]
	ds_read2_b64 v[10:13], v16 offset0:32 offset1:48
	s_and_b64 vcc, exec, s[4:5]
	s_waitcnt lgkmcnt(0)
	v_fma_f64 v[10:11], v[10:11], v[28:29], v[20:21]
	v_fma_f64 v[28:29], v[12:13], v[30:31], v[10:11]
	ds_read2_b64 v[10:13], v16 offset0:64 offset1:80
	ds_read_b128 v[20:23], v18 offset:32
	ds_read_b128 v[24:27], v18 offset:48
	s_waitcnt lgkmcnt(1)
	v_fma_f64 v[10:11], v[10:11], v[20:21], v[28:29]
	v_fma_f64 v[20:21], v[12:13], v[22:23], v[10:11]
	ds_read2_b64 v[10:13], v16 offset0:96 offset1:112
	s_waitcnt lgkmcnt(0)
	v_fma_f64 v[10:11], v[10:11], v[24:25], v[20:21]
	v_fma_f64 v[28:29], v[12:13], v[26:27], v[10:11]
	ds_read2_b64 v[10:13], v16 offset0:128 offset1:144
	ds_read_b128 v[20:23], v18 offset:64
	ds_read_b128 v[24:27], v18 offset:80
	s_waitcnt lgkmcnt(1)
	v_fma_f64 v[10:11], v[10:11], v[20:21], v[28:29]
	v_fma_f64 v[20:21], v[12:13], v[22:23], v[10:11]
	ds_read2_b64 v[10:13], v16 offset0:160 offset1:176
	;; [unrolled: 10-line block ×3, first 2 shown]
	s_waitcnt lgkmcnt(0)
	s_barrier
	v_fma_f64 v[10:11], v[10:11], v[24:25], v[20:21]
	v_fma_f64 v[10:11], v[12:13], v[26:27], v[10:11]
	s_cbranch_vccnz .LBB1522_8
.LBB1522_3:                             ; =>This Inner Loop Header: Depth=1
	v_mov_b32_e32 v13, s7
	v_add_co_u32_e32 v12, vcc, s6, v1
	v_addc_co_u32_e32 v13, vcc, 0, v13, vcc
	v_cmp_gt_i64_e32 vcc, s[12:13], v[12:13]
	v_mov_b32_e32 v12, 0
	v_mov_b32_e32 v13, 0
	s_and_b64 s[16:17], s[2:3], vcc
	s_and_saveexec_b64 s[4:5], s[16:17]
	s_cbranch_execz .LBB1522_5
; %bb.4:                                ;   in Loop: Header=BB1522_3 Depth=1
	flat_load_dwordx2 v[12:13], v[6:7]
.LBB1522_5:                             ;   in Loop: Header=BB1522_3 Depth=1
	s_or_b64 exec, exec, s[4:5]
	s_waitcnt vmcnt(0) lgkmcnt(0)
	ds_write_b64 v17, v[12:13]
	v_mov_b32_e32 v13, s7
	v_add_co_u32_e32 v12, vcc, s6, v0
	v_addc_co_u32_e32 v13, vcc, 0, v13, vcc
	v_cmp_gt_i64_e32 vcc, s[12:13], v[12:13]
	v_mov_b32_e32 v12, 0
	v_mov_b32_e32 v13, 0
	s_and_b64 s[16:17], s[0:1], vcc
	s_and_saveexec_b64 s[4:5], s[16:17]
	s_cbranch_execz .LBB1522_2
; %bb.6:                                ;   in Loop: Header=BB1522_3 Depth=1
	flat_load_dwordx2 v[12:13], v[4:5]
	s_branch .LBB1522_2
.LBB1522_7:
	v_mov_b32_e32 v10, 0
	v_mov_b32_e32 v11, 0
.LBB1522_8:
	v_cmp_le_i32_e32 vcc, v2, v14
	v_cmp_gt_i32_e64 s[0:1], s26, v14
	s_and_b64 s[0:1], vcc, s[0:1]
	s_and_saveexec_b64 s[2:3], s[0:1]
	s_cbranch_execz .LBB1522_10
; %bb.9:
	v_mul_lo_u32 v4, s11, v14
	v_mul_lo_u32 v5, s10, v15
	v_mad_u64_u32 v[0:1], s[0:1], s10, v14, 0
	v_add3_u32 v1, v1, v5, v4
	v_lshlrev_b64 v[0:1], 3, v[0:1]
	s_waitcnt lgkmcnt(0)
	v_mov_b32_e32 v4, s9
	v_add_co_u32_e32 v5, vcc, s8, v0
	v_addc_co_u32_e32 v4, vcc, v4, v1, vcc
	v_lshlrev_b64 v[0:1], 3, v[2:3]
	v_add_co_u32_e32 v0, vcc, v5, v0
	v_addc_co_u32_e32 v1, vcc, v4, v1, vcc
	flat_load_dwordx2 v[2:3], v[0:1]
	s_waitcnt vmcnt(0) lgkmcnt(0)
	v_mul_f64 v[2:3], s[20:21], v[2:3]
	v_fma_f64 v[2:3], s[14:15], v[10:11], v[2:3]
	flat_store_dwordx2 v[0:1], v[2:3]
.LBB1522_10:
	s_endpgm
	.section	.rodata,"a",@progbits
	.p2align	6, 0x0
	.amdhsa_kernel _ZL32rocblas_syrkx_herkx_small_kernelIldLi16ELb0ELb0ELc84ELc85EKPKdKPdEviT_T0_PT6_S5_lS8_S5_lS6_PT7_S5_li
		.amdhsa_group_segment_fixed_size 4096
		.amdhsa_private_segment_fixed_size 0
		.amdhsa_kernarg_size 108
		.amdhsa_user_sgpr_count 6
		.amdhsa_user_sgpr_private_segment_buffer 1
		.amdhsa_user_sgpr_dispatch_ptr 0
		.amdhsa_user_sgpr_queue_ptr 0
		.amdhsa_user_sgpr_kernarg_segment_ptr 1
		.amdhsa_user_sgpr_dispatch_id 0
		.amdhsa_user_sgpr_flat_scratch_init 0
		.amdhsa_user_sgpr_private_segment_size 0
		.amdhsa_uses_dynamic_stack 0
		.amdhsa_system_sgpr_private_segment_wavefront_offset 0
		.amdhsa_system_sgpr_workgroup_id_x 1
		.amdhsa_system_sgpr_workgroup_id_y 1
		.amdhsa_system_sgpr_workgroup_id_z 1
		.amdhsa_system_sgpr_workgroup_info 0
		.amdhsa_system_vgpr_workitem_id 1
		.amdhsa_next_free_vgpr 32
		.amdhsa_next_free_sgpr 27
		.amdhsa_reserve_vcc 1
		.amdhsa_reserve_flat_scratch 0
		.amdhsa_float_round_mode_32 0
		.amdhsa_float_round_mode_16_64 0
		.amdhsa_float_denorm_mode_32 3
		.amdhsa_float_denorm_mode_16_64 3
		.amdhsa_dx10_clamp 1
		.amdhsa_ieee_mode 1
		.amdhsa_fp16_overflow 0
		.amdhsa_exception_fp_ieee_invalid_op 0
		.amdhsa_exception_fp_denorm_src 0
		.amdhsa_exception_fp_ieee_div_zero 0
		.amdhsa_exception_fp_ieee_overflow 0
		.amdhsa_exception_fp_ieee_underflow 0
		.amdhsa_exception_fp_ieee_inexact 0
		.amdhsa_exception_int_div_zero 0
	.end_amdhsa_kernel
	.section	.text._ZL32rocblas_syrkx_herkx_small_kernelIldLi16ELb0ELb0ELc84ELc85EKPKdKPdEviT_T0_PT6_S5_lS8_S5_lS6_PT7_S5_li,"axG",@progbits,_ZL32rocblas_syrkx_herkx_small_kernelIldLi16ELb0ELb0ELc84ELc85EKPKdKPdEviT_T0_PT6_S5_lS8_S5_lS6_PT7_S5_li,comdat
.Lfunc_end1522:
	.size	_ZL32rocblas_syrkx_herkx_small_kernelIldLi16ELb0ELb0ELc84ELc85EKPKdKPdEviT_T0_PT6_S5_lS8_S5_lS6_PT7_S5_li, .Lfunc_end1522-_ZL32rocblas_syrkx_herkx_small_kernelIldLi16ELb0ELb0ELc84ELc85EKPKdKPdEviT_T0_PT6_S5_lS8_S5_lS6_PT7_S5_li
                                        ; -- End function
	.set _ZL32rocblas_syrkx_herkx_small_kernelIldLi16ELb0ELb0ELc84ELc85EKPKdKPdEviT_T0_PT6_S5_lS8_S5_lS6_PT7_S5_li.num_vgpr, 32
	.set _ZL32rocblas_syrkx_herkx_small_kernelIldLi16ELb0ELb0ELc84ELc85EKPKdKPdEviT_T0_PT6_S5_lS8_S5_lS6_PT7_S5_li.num_agpr, 0
	.set _ZL32rocblas_syrkx_herkx_small_kernelIldLi16ELb0ELb0ELc84ELc85EKPKdKPdEviT_T0_PT6_S5_lS8_S5_lS6_PT7_S5_li.numbered_sgpr, 27
	.set _ZL32rocblas_syrkx_herkx_small_kernelIldLi16ELb0ELb0ELc84ELc85EKPKdKPdEviT_T0_PT6_S5_lS8_S5_lS6_PT7_S5_li.num_named_barrier, 0
	.set _ZL32rocblas_syrkx_herkx_small_kernelIldLi16ELb0ELb0ELc84ELc85EKPKdKPdEviT_T0_PT6_S5_lS8_S5_lS6_PT7_S5_li.private_seg_size, 0
	.set _ZL32rocblas_syrkx_herkx_small_kernelIldLi16ELb0ELb0ELc84ELc85EKPKdKPdEviT_T0_PT6_S5_lS8_S5_lS6_PT7_S5_li.uses_vcc, 1
	.set _ZL32rocblas_syrkx_herkx_small_kernelIldLi16ELb0ELb0ELc84ELc85EKPKdKPdEviT_T0_PT6_S5_lS8_S5_lS6_PT7_S5_li.uses_flat_scratch, 0
	.set _ZL32rocblas_syrkx_herkx_small_kernelIldLi16ELb0ELb0ELc84ELc85EKPKdKPdEviT_T0_PT6_S5_lS8_S5_lS6_PT7_S5_li.has_dyn_sized_stack, 0
	.set _ZL32rocblas_syrkx_herkx_small_kernelIldLi16ELb0ELb0ELc84ELc85EKPKdKPdEviT_T0_PT6_S5_lS8_S5_lS6_PT7_S5_li.has_recursion, 0
	.set _ZL32rocblas_syrkx_herkx_small_kernelIldLi16ELb0ELb0ELc84ELc85EKPKdKPdEviT_T0_PT6_S5_lS8_S5_lS6_PT7_S5_li.has_indirect_call, 0
	.section	.AMDGPU.csdata,"",@progbits
; Kernel info:
; codeLenInByte = 952
; TotalNumSgprs: 31
; NumVgprs: 32
; ScratchSize: 0
; MemoryBound: 0
; FloatMode: 240
; IeeeMode: 1
; LDSByteSize: 4096 bytes/workgroup (compile time only)
; SGPRBlocks: 3
; VGPRBlocks: 7
; NumSGPRsForWavesPerEU: 31
; NumVGPRsForWavesPerEU: 32
; Occupancy: 8
; WaveLimiterHint : 1
; COMPUTE_PGM_RSRC2:SCRATCH_EN: 0
; COMPUTE_PGM_RSRC2:USER_SGPR: 6
; COMPUTE_PGM_RSRC2:TRAP_HANDLER: 0
; COMPUTE_PGM_RSRC2:TGID_X_EN: 1
; COMPUTE_PGM_RSRC2:TGID_Y_EN: 1
; COMPUTE_PGM_RSRC2:TGID_Z_EN: 1
; COMPUTE_PGM_RSRC2:TIDIG_COMP_CNT: 1
	.section	.text._ZL32rocblas_syrkx_herkx_small_kernelIldLi16ELb0ELb0ELc67ELc85EKPKdKPdEviT_T0_PT6_S5_lS8_S5_lS6_PT7_S5_li,"axG",@progbits,_ZL32rocblas_syrkx_herkx_small_kernelIldLi16ELb0ELb0ELc67ELc85EKPKdKPdEviT_T0_PT6_S5_lS8_S5_lS6_PT7_S5_li,comdat
	.globl	_ZL32rocblas_syrkx_herkx_small_kernelIldLi16ELb0ELb0ELc67ELc85EKPKdKPdEviT_T0_PT6_S5_lS8_S5_lS6_PT7_S5_li ; -- Begin function _ZL32rocblas_syrkx_herkx_small_kernelIldLi16ELb0ELb0ELc67ELc85EKPKdKPdEviT_T0_PT6_S5_lS8_S5_lS6_PT7_S5_li
	.p2align	8
	.type	_ZL32rocblas_syrkx_herkx_small_kernelIldLi16ELb0ELb0ELc67ELc85EKPKdKPdEviT_T0_PT6_S5_lS8_S5_lS6_PT7_S5_li,@function
_ZL32rocblas_syrkx_herkx_small_kernelIldLi16ELb0ELb0ELc67ELc85EKPKdKPdEviT_T0_PT6_S5_lS8_S5_lS6_PT7_S5_li: ; @_ZL32rocblas_syrkx_herkx_small_kernelIldLi16ELb0ELb0ELc67ELc85EKPKdKPdEviT_T0_PT6_S5_lS8_S5_lS6_PT7_S5_li
; %bb.0:
	s_load_dwordx2 s[10:11], s[4:5], 0x58
	s_load_dwordx4 s[20:23], s[4:5], 0x48
	s_load_dword s26, s[4:5], 0x0
	s_load_dwordx8 s[12:19], s[4:5], 0x8
	s_mov_b32 s9, 0
	s_lshl_b64 s[24:25], s[8:9], 3
	s_waitcnt lgkmcnt(0)
	s_add_u32 s0, s22, s24
	s_addc_u32 s1, s23, s25
	s_load_dwordx2 s[8:9], s[0:1], 0x0
	v_cmp_lt_i64_e64 s[0:1], s[12:13], 1
	v_lshl_add_u32 v2, s6, 4, v0
	v_lshl_add_u32 v14, s7, 4, v1
	s_and_b64 vcc, exec, s[0:1]
	v_ashrrev_i32_e32 v3, 31, v2
	v_cmp_gt_i32_e64 s[0:1], s26, v14
	v_ashrrev_i32_e32 v15, 31, v14
	s_cbranch_vccnz .LBB1523_7
; %bb.1:
	s_load_dwordx4 s[4:7], s[4:5], 0x30
	v_lshlrev_b32_e32 v6, 7, v1
	v_lshlrev_b32_e32 v16, 3, v0
	v_add_u32_e32 v17, v16, v6
	v_add_u32_e32 v18, 0x800, v6
	s_waitcnt lgkmcnt(0)
	v_mul_lo_u32 v7, s7, v14
	v_mul_lo_u32 v8, s6, v15
	v_mad_u64_u32 v[4:5], s[6:7], s6, v14, 0
	s_add_u32 s4, s4, s24
	s_addc_u32 s5, s5, s25
	s_load_dwordx2 s[4:5], s[4:5], 0x0
	v_add3_u32 v5, v5, v8, v7
	v_mul_lo_u32 v9, s19, v2
	v_mul_lo_u32 v10, s18, v3
	v_mad_u64_u32 v[6:7], s[6:7], s18, v2, 0
	v_lshlrev_b64 v[4:5], 3, v[4:5]
	s_add_u32 s16, s16, s24
	s_addc_u32 s17, s17, s25
	v_add_co_u32_e32 v4, vcc, v4, v16
	s_load_dwordx2 s[16:17], s[16:17], 0x0
	v_addc_co_u32_e32 v5, vcc, 0, v5, vcc
	v_add3_u32 v7, v7, v10, v9
	s_waitcnt lgkmcnt(0)
	v_mov_b32_e32 v8, s5
	v_add_co_u32_e32 v4, vcc, s4, v4
	v_lshlrev_b64 v[6:7], 3, v[6:7]
	v_addc_co_u32_e32 v5, vcc, v8, v5, vcc
	v_lshlrev_b32_e32 v8, 3, v1
	v_add_co_u32_e32 v6, vcc, v6, v8
	v_addc_co_u32_e32 v7, vcc, 0, v7, vcc
	v_mov_b32_e32 v8, s17
	v_add_co_u32_e32 v6, vcc, s16, v6
	v_addc_co_u32_e32 v7, vcc, v8, v7, vcc
	v_mov_b32_e32 v10, 0
	v_mov_b32_e32 v8, s12
	v_cmp_gt_i32_e64 s[2:3], s26, v2
	v_add_u32_e32 v19, v18, v16
	v_mov_b32_e32 v11, 0
	s_mov_b64 s[6:7], 0
	v_mov_b32_e32 v9, s13
	s_branch .LBB1523_3
.LBB1523_2:                             ;   in Loop: Header=BB1523_3 Depth=1
	s_or_b64 exec, exec, s[4:5]
	s_waitcnt vmcnt(0) lgkmcnt(0)
	ds_write_b64 v19, v[12:13]
	s_waitcnt lgkmcnt(0)
	s_barrier
	ds_read2_b64 v[20:23], v16 offset1:16
	ds_read_b128 v[24:27], v18
	ds_read_b128 v[28:31], v18 offset:16
	s_add_u32 s6, s6, 16
	v_add_co_u32_e32 v4, vcc, 0x80, v4
	s_waitcnt lgkmcnt(1)
	v_fma_f64 v[10:11], v[20:21], v[24:25], v[10:11]
	s_addc_u32 s7, s7, 0
	v_addc_co_u32_e32 v5, vcc, 0, v5, vcc
	v_add_co_u32_e32 v6, vcc, 0x80, v6
	v_cmp_ge_i64_e64 s[4:5], s[6:7], v[8:9]
	v_addc_co_u32_e32 v7, vcc, 0, v7, vcc
	v_fma_f64 v[20:21], v[22:23], v[26:27], v[10:11]
	ds_read2_b64 v[10:13], v16 offset0:32 offset1:48
	s_and_b64 vcc, exec, s[4:5]
	s_waitcnt lgkmcnt(0)
	v_fma_f64 v[10:11], v[10:11], v[28:29], v[20:21]
	v_fma_f64 v[28:29], v[12:13], v[30:31], v[10:11]
	ds_read2_b64 v[10:13], v16 offset0:64 offset1:80
	ds_read_b128 v[20:23], v18 offset:32
	ds_read_b128 v[24:27], v18 offset:48
	s_waitcnt lgkmcnt(1)
	v_fma_f64 v[10:11], v[10:11], v[20:21], v[28:29]
	v_fma_f64 v[20:21], v[12:13], v[22:23], v[10:11]
	ds_read2_b64 v[10:13], v16 offset0:96 offset1:112
	s_waitcnt lgkmcnt(0)
	v_fma_f64 v[10:11], v[10:11], v[24:25], v[20:21]
	v_fma_f64 v[28:29], v[12:13], v[26:27], v[10:11]
	ds_read2_b64 v[10:13], v16 offset0:128 offset1:144
	ds_read_b128 v[20:23], v18 offset:64
	ds_read_b128 v[24:27], v18 offset:80
	s_waitcnt lgkmcnt(1)
	v_fma_f64 v[10:11], v[10:11], v[20:21], v[28:29]
	v_fma_f64 v[20:21], v[12:13], v[22:23], v[10:11]
	ds_read2_b64 v[10:13], v16 offset0:160 offset1:176
	;; [unrolled: 10-line block ×3, first 2 shown]
	s_waitcnt lgkmcnt(0)
	s_barrier
	v_fma_f64 v[10:11], v[10:11], v[24:25], v[20:21]
	v_fma_f64 v[10:11], v[12:13], v[26:27], v[10:11]
	s_cbranch_vccnz .LBB1523_8
.LBB1523_3:                             ; =>This Inner Loop Header: Depth=1
	v_mov_b32_e32 v13, s7
	v_add_co_u32_e32 v12, vcc, s6, v1
	v_addc_co_u32_e32 v13, vcc, 0, v13, vcc
	v_cmp_gt_i64_e32 vcc, s[12:13], v[12:13]
	v_mov_b32_e32 v12, 0
	v_mov_b32_e32 v13, 0
	s_and_b64 s[16:17], s[2:3], vcc
	s_and_saveexec_b64 s[4:5], s[16:17]
	s_cbranch_execz .LBB1523_5
; %bb.4:                                ;   in Loop: Header=BB1523_3 Depth=1
	flat_load_dwordx2 v[12:13], v[6:7]
.LBB1523_5:                             ;   in Loop: Header=BB1523_3 Depth=1
	s_or_b64 exec, exec, s[4:5]
	s_waitcnt vmcnt(0) lgkmcnt(0)
	ds_write_b64 v17, v[12:13]
	v_mov_b32_e32 v13, s7
	v_add_co_u32_e32 v12, vcc, s6, v0
	v_addc_co_u32_e32 v13, vcc, 0, v13, vcc
	v_cmp_gt_i64_e32 vcc, s[12:13], v[12:13]
	v_mov_b32_e32 v12, 0
	v_mov_b32_e32 v13, 0
	s_and_b64 s[16:17], s[0:1], vcc
	s_and_saveexec_b64 s[4:5], s[16:17]
	s_cbranch_execz .LBB1523_2
; %bb.6:                                ;   in Loop: Header=BB1523_3 Depth=1
	flat_load_dwordx2 v[12:13], v[4:5]
	s_branch .LBB1523_2
.LBB1523_7:
	v_mov_b32_e32 v10, 0
	v_mov_b32_e32 v11, 0
.LBB1523_8:
	v_cmp_le_i32_e32 vcc, v2, v14
	v_cmp_gt_i32_e64 s[0:1], s26, v14
	s_and_b64 s[0:1], vcc, s[0:1]
	s_and_saveexec_b64 s[2:3], s[0:1]
	s_cbranch_execz .LBB1523_10
; %bb.9:
	v_mul_lo_u32 v4, s11, v14
	v_mul_lo_u32 v5, s10, v15
	v_mad_u64_u32 v[0:1], s[0:1], s10, v14, 0
	v_add3_u32 v1, v1, v5, v4
	v_lshlrev_b64 v[0:1], 3, v[0:1]
	s_waitcnt lgkmcnt(0)
	v_mov_b32_e32 v4, s9
	v_add_co_u32_e32 v5, vcc, s8, v0
	v_addc_co_u32_e32 v4, vcc, v4, v1, vcc
	v_lshlrev_b64 v[0:1], 3, v[2:3]
	v_add_co_u32_e32 v0, vcc, v5, v0
	v_addc_co_u32_e32 v1, vcc, v4, v1, vcc
	flat_load_dwordx2 v[2:3], v[0:1]
	s_waitcnt vmcnt(0) lgkmcnt(0)
	v_mul_f64 v[2:3], s[20:21], v[2:3]
	v_fma_f64 v[2:3], s[14:15], v[10:11], v[2:3]
	flat_store_dwordx2 v[0:1], v[2:3]
.LBB1523_10:
	s_endpgm
	.section	.rodata,"a",@progbits
	.p2align	6, 0x0
	.amdhsa_kernel _ZL32rocblas_syrkx_herkx_small_kernelIldLi16ELb0ELb0ELc67ELc85EKPKdKPdEviT_T0_PT6_S5_lS8_S5_lS6_PT7_S5_li
		.amdhsa_group_segment_fixed_size 4096
		.amdhsa_private_segment_fixed_size 0
		.amdhsa_kernarg_size 108
		.amdhsa_user_sgpr_count 6
		.amdhsa_user_sgpr_private_segment_buffer 1
		.amdhsa_user_sgpr_dispatch_ptr 0
		.amdhsa_user_sgpr_queue_ptr 0
		.amdhsa_user_sgpr_kernarg_segment_ptr 1
		.amdhsa_user_sgpr_dispatch_id 0
		.amdhsa_user_sgpr_flat_scratch_init 0
		.amdhsa_user_sgpr_private_segment_size 0
		.amdhsa_uses_dynamic_stack 0
		.amdhsa_system_sgpr_private_segment_wavefront_offset 0
		.amdhsa_system_sgpr_workgroup_id_x 1
		.amdhsa_system_sgpr_workgroup_id_y 1
		.amdhsa_system_sgpr_workgroup_id_z 1
		.amdhsa_system_sgpr_workgroup_info 0
		.amdhsa_system_vgpr_workitem_id 1
		.amdhsa_next_free_vgpr 32
		.amdhsa_next_free_sgpr 27
		.amdhsa_reserve_vcc 1
		.amdhsa_reserve_flat_scratch 0
		.amdhsa_float_round_mode_32 0
		.amdhsa_float_round_mode_16_64 0
		.amdhsa_float_denorm_mode_32 3
		.amdhsa_float_denorm_mode_16_64 3
		.amdhsa_dx10_clamp 1
		.amdhsa_ieee_mode 1
		.amdhsa_fp16_overflow 0
		.amdhsa_exception_fp_ieee_invalid_op 0
		.amdhsa_exception_fp_denorm_src 0
		.amdhsa_exception_fp_ieee_div_zero 0
		.amdhsa_exception_fp_ieee_overflow 0
		.amdhsa_exception_fp_ieee_underflow 0
		.amdhsa_exception_fp_ieee_inexact 0
		.amdhsa_exception_int_div_zero 0
	.end_amdhsa_kernel
	.section	.text._ZL32rocblas_syrkx_herkx_small_kernelIldLi16ELb0ELb0ELc67ELc85EKPKdKPdEviT_T0_PT6_S5_lS8_S5_lS6_PT7_S5_li,"axG",@progbits,_ZL32rocblas_syrkx_herkx_small_kernelIldLi16ELb0ELb0ELc67ELc85EKPKdKPdEviT_T0_PT6_S5_lS8_S5_lS6_PT7_S5_li,comdat
.Lfunc_end1523:
	.size	_ZL32rocblas_syrkx_herkx_small_kernelIldLi16ELb0ELb0ELc67ELc85EKPKdKPdEviT_T0_PT6_S5_lS8_S5_lS6_PT7_S5_li, .Lfunc_end1523-_ZL32rocblas_syrkx_herkx_small_kernelIldLi16ELb0ELb0ELc67ELc85EKPKdKPdEviT_T0_PT6_S5_lS8_S5_lS6_PT7_S5_li
                                        ; -- End function
	.set _ZL32rocblas_syrkx_herkx_small_kernelIldLi16ELb0ELb0ELc67ELc85EKPKdKPdEviT_T0_PT6_S5_lS8_S5_lS6_PT7_S5_li.num_vgpr, 32
	.set _ZL32rocblas_syrkx_herkx_small_kernelIldLi16ELb0ELb0ELc67ELc85EKPKdKPdEviT_T0_PT6_S5_lS8_S5_lS6_PT7_S5_li.num_agpr, 0
	.set _ZL32rocblas_syrkx_herkx_small_kernelIldLi16ELb0ELb0ELc67ELc85EKPKdKPdEviT_T0_PT6_S5_lS8_S5_lS6_PT7_S5_li.numbered_sgpr, 27
	.set _ZL32rocblas_syrkx_herkx_small_kernelIldLi16ELb0ELb0ELc67ELc85EKPKdKPdEviT_T0_PT6_S5_lS8_S5_lS6_PT7_S5_li.num_named_barrier, 0
	.set _ZL32rocblas_syrkx_herkx_small_kernelIldLi16ELb0ELb0ELc67ELc85EKPKdKPdEviT_T0_PT6_S5_lS8_S5_lS6_PT7_S5_li.private_seg_size, 0
	.set _ZL32rocblas_syrkx_herkx_small_kernelIldLi16ELb0ELb0ELc67ELc85EKPKdKPdEviT_T0_PT6_S5_lS8_S5_lS6_PT7_S5_li.uses_vcc, 1
	.set _ZL32rocblas_syrkx_herkx_small_kernelIldLi16ELb0ELb0ELc67ELc85EKPKdKPdEviT_T0_PT6_S5_lS8_S5_lS6_PT7_S5_li.uses_flat_scratch, 0
	.set _ZL32rocblas_syrkx_herkx_small_kernelIldLi16ELb0ELb0ELc67ELc85EKPKdKPdEviT_T0_PT6_S5_lS8_S5_lS6_PT7_S5_li.has_dyn_sized_stack, 0
	.set _ZL32rocblas_syrkx_herkx_small_kernelIldLi16ELb0ELb0ELc67ELc85EKPKdKPdEviT_T0_PT6_S5_lS8_S5_lS6_PT7_S5_li.has_recursion, 0
	.set _ZL32rocblas_syrkx_herkx_small_kernelIldLi16ELb0ELb0ELc67ELc85EKPKdKPdEviT_T0_PT6_S5_lS8_S5_lS6_PT7_S5_li.has_indirect_call, 0
	.section	.AMDGPU.csdata,"",@progbits
; Kernel info:
; codeLenInByte = 952
; TotalNumSgprs: 31
; NumVgprs: 32
; ScratchSize: 0
; MemoryBound: 0
; FloatMode: 240
; IeeeMode: 1
; LDSByteSize: 4096 bytes/workgroup (compile time only)
; SGPRBlocks: 3
; VGPRBlocks: 7
; NumSGPRsForWavesPerEU: 31
; NumVGPRsForWavesPerEU: 32
; Occupancy: 8
; WaveLimiterHint : 1
; COMPUTE_PGM_RSRC2:SCRATCH_EN: 0
; COMPUTE_PGM_RSRC2:USER_SGPR: 6
; COMPUTE_PGM_RSRC2:TRAP_HANDLER: 0
; COMPUTE_PGM_RSRC2:TGID_X_EN: 1
; COMPUTE_PGM_RSRC2:TGID_Y_EN: 1
; COMPUTE_PGM_RSRC2:TGID_Z_EN: 1
; COMPUTE_PGM_RSRC2:TIDIG_COMP_CNT: 1
	.section	.text._ZL32rocblas_syrkx_herkx_small_kernelIldLi16ELb0ELb0ELc78ELc85EKPKdKPdEviT_T0_PT6_S5_lS8_S5_lS6_PT7_S5_li,"axG",@progbits,_ZL32rocblas_syrkx_herkx_small_kernelIldLi16ELb0ELb0ELc78ELc85EKPKdKPdEviT_T0_PT6_S5_lS8_S5_lS6_PT7_S5_li,comdat
	.globl	_ZL32rocblas_syrkx_herkx_small_kernelIldLi16ELb0ELb0ELc78ELc85EKPKdKPdEviT_T0_PT6_S5_lS8_S5_lS6_PT7_S5_li ; -- Begin function _ZL32rocblas_syrkx_herkx_small_kernelIldLi16ELb0ELb0ELc78ELc85EKPKdKPdEviT_T0_PT6_S5_lS8_S5_lS6_PT7_S5_li
	.p2align	8
	.type	_ZL32rocblas_syrkx_herkx_small_kernelIldLi16ELb0ELb0ELc78ELc85EKPKdKPdEviT_T0_PT6_S5_lS8_S5_lS6_PT7_S5_li,@function
_ZL32rocblas_syrkx_herkx_small_kernelIldLi16ELb0ELb0ELc78ELc85EKPKdKPdEviT_T0_PT6_S5_lS8_S5_lS6_PT7_S5_li: ; @_ZL32rocblas_syrkx_herkx_small_kernelIldLi16ELb0ELb0ELc78ELc85EKPKdKPdEviT_T0_PT6_S5_lS8_S5_lS6_PT7_S5_li
; %bb.0:
	s_load_dwordx2 s[10:11], s[4:5], 0x58
	s_load_dwordx4 s[20:23], s[4:5], 0x48
	s_load_dword s26, s[4:5], 0x0
	s_load_dwordx8 s[12:19], s[4:5], 0x8
	s_mov_b32 s9, 0
	s_lshl_b64 s[24:25], s[8:9], 3
	s_waitcnt lgkmcnt(0)
	s_add_u32 s0, s22, s24
	s_addc_u32 s1, s23, s25
	s_load_dwordx2 s[8:9], s[0:1], 0x0
	v_cmp_lt_i64_e64 s[0:1], s[12:13], 1
	v_lshl_add_u32 v2, s6, 4, v0
	v_lshl_add_u32 v4, s7, 4, v1
	s_and_b64 vcc, exec, s[0:1]
	v_ashrrev_i32_e32 v3, 31, v2
	v_cmp_gt_i32_e64 s[0:1], s26, v4
	v_ashrrev_i32_e32 v5, 31, v4
	s_cbranch_vccnz .LBB1524_7
; %bb.1:
	s_load_dwordx4 s[4:7], s[4:5], 0x30
	v_lshlrev_b32_e32 v9, 7, v1
	v_lshlrev_b32_e32 v16, 3, v0
	v_mad_u64_u32 v[10:11], s[22:23], s18, v1, 0
	s_waitcnt lgkmcnt(0)
	v_mad_u64_u32 v[6:7], s[22:23], s6, v0, 0
	v_add_u32_e32 v17, v16, v9
	v_add_u32_e32 v18, 0x800, v9
	v_mad_u64_u32 v[7:8], s[22:23], s7, v0, v[7:8]
	v_lshlrev_b64 v[8:9], 3, v[4:5]
	s_add_u32 s4, s4, s24
	v_lshlrev_b64 v[6:7], 3, v[6:7]
	s_addc_u32 s5, s5, s25
	v_add_co_u32_e32 v12, vcc, v6, v8
	v_addc_co_u32_e32 v7, vcc, v7, v9, vcc
	v_mov_b32_e32 v6, v11
	s_load_dwordx2 s[4:5], s[4:5], 0x0
	v_mad_u64_u32 v[8:9], s[22:23], s19, v1, v[6:7]
	s_add_u32 s16, s16, s24
	s_addc_u32 s17, s17, s25
	s_load_dwordx2 s[16:17], s[16:17], 0x0
	v_mov_b32_e32 v11, v8
	s_waitcnt lgkmcnt(0)
	v_mov_b32_e32 v13, s5
	v_add_co_u32_e32 v6, vcc, s4, v12
	v_lshlrev_b64 v[8:9], 3, v[10:11]
	v_lshlrev_b64 v[10:11], 3, v[2:3]
	v_addc_co_u32_e32 v7, vcc, v13, v7, vcc
	v_add_co_u32_e32 v8, vcc, v8, v10
	v_addc_co_u32_e32 v9, vcc, v9, v11, vcc
	v_mov_b32_e32 v10, s17
	v_add_co_u32_e32 v8, vcc, s16, v8
	s_lshl_b64 s[6:7], s[6:7], 7
	v_addc_co_u32_e32 v9, vcc, v10, v9, vcc
	s_lshl_b64 s[16:17], s[18:19], 7
	v_mov_b32_e32 v12, 0
	v_mov_b32_e32 v10, s12
	v_cmp_gt_i32_e64 s[2:3], s26, v2
	v_add_u32_e32 v19, v18, v16
	v_mov_b32_e32 v13, 0
	s_mov_b64 s[18:19], 0
	v_mov_b32_e32 v20, s7
	v_mov_b32_e32 v21, s17
	;; [unrolled: 1-line block ×3, first 2 shown]
	s_branch .LBB1524_3
.LBB1524_2:                             ;   in Loop: Header=BB1524_3 Depth=1
	s_or_b64 exec, exec, s[4:5]
	s_waitcnt vmcnt(0) lgkmcnt(0)
	ds_write_b64 v19, v[14:15]
	s_waitcnt lgkmcnt(0)
	s_barrier
	ds_read2_b64 v[22:25], v16 offset1:16
	ds_read_b128 v[26:29], v18
	ds_read_b128 v[30:33], v18 offset:16
	s_add_u32 s18, s18, 16
	v_add_co_u32_e32 v6, vcc, s6, v6
	s_waitcnt lgkmcnt(1)
	v_fma_f64 v[12:13], v[22:23], v[26:27], v[12:13]
	v_addc_co_u32_e32 v7, vcc, v7, v20, vcc
	s_addc_u32 s19, s19, 0
	v_cmp_ge_i64_e32 vcc, s[18:19], v[10:11]
	v_add_co_u32_e64 v8, s[4:5], s16, v8
	v_addc_co_u32_e64 v9, s[4:5], v9, v21, s[4:5]
	v_fma_f64 v[22:23], v[24:25], v[28:29], v[12:13]
	ds_read2_b64 v[12:15], v16 offset0:32 offset1:48
	s_and_b64 vcc, exec, vcc
	s_waitcnt lgkmcnt(0)
	v_fma_f64 v[12:13], v[12:13], v[30:31], v[22:23]
	v_fma_f64 v[30:31], v[14:15], v[32:33], v[12:13]
	ds_read2_b64 v[12:15], v16 offset0:64 offset1:80
	ds_read_b128 v[22:25], v18 offset:32
	ds_read_b128 v[26:29], v18 offset:48
	s_waitcnt lgkmcnt(1)
	v_fma_f64 v[12:13], v[12:13], v[22:23], v[30:31]
	v_fma_f64 v[22:23], v[14:15], v[24:25], v[12:13]
	ds_read2_b64 v[12:15], v16 offset0:96 offset1:112
	s_waitcnt lgkmcnt(0)
	v_fma_f64 v[12:13], v[12:13], v[26:27], v[22:23]
	v_fma_f64 v[30:31], v[14:15], v[28:29], v[12:13]
	ds_read2_b64 v[12:15], v16 offset0:128 offset1:144
	ds_read_b128 v[22:25], v18 offset:64
	ds_read_b128 v[26:29], v18 offset:80
	s_waitcnt lgkmcnt(1)
	v_fma_f64 v[12:13], v[12:13], v[22:23], v[30:31]
	v_fma_f64 v[22:23], v[14:15], v[24:25], v[12:13]
	ds_read2_b64 v[12:15], v16 offset0:160 offset1:176
	s_waitcnt lgkmcnt(0)
	v_fma_f64 v[12:13], v[12:13], v[26:27], v[22:23]
	v_fma_f64 v[30:31], v[14:15], v[28:29], v[12:13]
	ds_read2_b64 v[12:15], v16 offset0:192 offset1:208
	ds_read_b128 v[22:25], v18 offset:96
	ds_read_b128 v[26:29], v18 offset:112
	s_waitcnt lgkmcnt(1)
	v_fma_f64 v[12:13], v[12:13], v[22:23], v[30:31]
	v_fma_f64 v[22:23], v[14:15], v[24:25], v[12:13]
	ds_read2_b64 v[12:15], v16 offset0:224 offset1:240
	s_waitcnt lgkmcnt(0)
	s_barrier
	v_fma_f64 v[12:13], v[12:13], v[26:27], v[22:23]
	v_fma_f64 v[12:13], v[14:15], v[28:29], v[12:13]
	s_cbranch_vccnz .LBB1524_8
.LBB1524_3:                             ; =>This Inner Loop Header: Depth=1
	v_mov_b32_e32 v15, s19
	v_add_co_u32_e32 v14, vcc, s18, v1
	v_addc_co_u32_e32 v15, vcc, 0, v15, vcc
	v_cmp_gt_i64_e32 vcc, s[12:13], v[14:15]
	v_mov_b32_e32 v14, 0
	v_mov_b32_e32 v15, 0
	s_and_b64 s[22:23], s[2:3], vcc
	s_and_saveexec_b64 s[4:5], s[22:23]
	s_cbranch_execz .LBB1524_5
; %bb.4:                                ;   in Loop: Header=BB1524_3 Depth=1
	flat_load_dwordx2 v[14:15], v[8:9]
.LBB1524_5:                             ;   in Loop: Header=BB1524_3 Depth=1
	s_or_b64 exec, exec, s[4:5]
	s_waitcnt vmcnt(0) lgkmcnt(0)
	ds_write_b64 v17, v[14:15]
	v_mov_b32_e32 v15, s19
	v_add_co_u32_e32 v14, vcc, s18, v0
	v_addc_co_u32_e32 v15, vcc, 0, v15, vcc
	v_cmp_gt_i64_e32 vcc, s[12:13], v[14:15]
	v_mov_b32_e32 v14, 0
	v_mov_b32_e32 v15, 0
	s_and_b64 s[22:23], s[0:1], vcc
	s_and_saveexec_b64 s[4:5], s[22:23]
	s_cbranch_execz .LBB1524_2
; %bb.6:                                ;   in Loop: Header=BB1524_3 Depth=1
	flat_load_dwordx2 v[14:15], v[6:7]
	s_branch .LBB1524_2
.LBB1524_7:
	v_mov_b32_e32 v12, 0
	v_mov_b32_e32 v13, 0
.LBB1524_8:
	v_cmp_le_i32_e32 vcc, v2, v4
	v_cmp_gt_i32_e64 s[0:1], s26, v4
	s_and_b64 s[0:1], vcc, s[0:1]
	s_and_saveexec_b64 s[2:3], s[0:1]
	s_cbranch_execz .LBB1524_10
; %bb.9:
	v_mul_lo_u32 v6, s11, v4
	v_mul_lo_u32 v5, s10, v5
	v_mad_u64_u32 v[0:1], s[0:1], s10, v4, 0
	s_waitcnt lgkmcnt(0)
	v_mov_b32_e32 v4, s9
	v_add3_u32 v1, v1, v5, v6
	v_lshlrev_b64 v[0:1], 3, v[0:1]
	v_add_co_u32_e32 v5, vcc, s8, v0
	v_addc_co_u32_e32 v4, vcc, v4, v1, vcc
	v_lshlrev_b64 v[0:1], 3, v[2:3]
	v_add_co_u32_e32 v0, vcc, v5, v0
	v_addc_co_u32_e32 v1, vcc, v4, v1, vcc
	flat_load_dwordx2 v[2:3], v[0:1]
	s_waitcnt vmcnt(0) lgkmcnt(0)
	v_mul_f64 v[2:3], s[20:21], v[2:3]
	v_fma_f64 v[2:3], s[14:15], v[12:13], v[2:3]
	flat_store_dwordx2 v[0:1], v[2:3]
.LBB1524_10:
	s_endpgm
	.section	.rodata,"a",@progbits
	.p2align	6, 0x0
	.amdhsa_kernel _ZL32rocblas_syrkx_herkx_small_kernelIldLi16ELb0ELb0ELc78ELc85EKPKdKPdEviT_T0_PT6_S5_lS8_S5_lS6_PT7_S5_li
		.amdhsa_group_segment_fixed_size 4096
		.amdhsa_private_segment_fixed_size 0
		.amdhsa_kernarg_size 108
		.amdhsa_user_sgpr_count 6
		.amdhsa_user_sgpr_private_segment_buffer 1
		.amdhsa_user_sgpr_dispatch_ptr 0
		.amdhsa_user_sgpr_queue_ptr 0
		.amdhsa_user_sgpr_kernarg_segment_ptr 1
		.amdhsa_user_sgpr_dispatch_id 0
		.amdhsa_user_sgpr_flat_scratch_init 0
		.amdhsa_user_sgpr_private_segment_size 0
		.amdhsa_uses_dynamic_stack 0
		.amdhsa_system_sgpr_private_segment_wavefront_offset 0
		.amdhsa_system_sgpr_workgroup_id_x 1
		.amdhsa_system_sgpr_workgroup_id_y 1
		.amdhsa_system_sgpr_workgroup_id_z 1
		.amdhsa_system_sgpr_workgroup_info 0
		.amdhsa_system_vgpr_workitem_id 1
		.amdhsa_next_free_vgpr 34
		.amdhsa_next_free_sgpr 27
		.amdhsa_reserve_vcc 1
		.amdhsa_reserve_flat_scratch 0
		.amdhsa_float_round_mode_32 0
		.amdhsa_float_round_mode_16_64 0
		.amdhsa_float_denorm_mode_32 3
		.amdhsa_float_denorm_mode_16_64 3
		.amdhsa_dx10_clamp 1
		.amdhsa_ieee_mode 1
		.amdhsa_fp16_overflow 0
		.amdhsa_exception_fp_ieee_invalid_op 0
		.amdhsa_exception_fp_denorm_src 0
		.amdhsa_exception_fp_ieee_div_zero 0
		.amdhsa_exception_fp_ieee_overflow 0
		.amdhsa_exception_fp_ieee_underflow 0
		.amdhsa_exception_fp_ieee_inexact 0
		.amdhsa_exception_int_div_zero 0
	.end_amdhsa_kernel
	.section	.text._ZL32rocblas_syrkx_herkx_small_kernelIldLi16ELb0ELb0ELc78ELc85EKPKdKPdEviT_T0_PT6_S5_lS8_S5_lS6_PT7_S5_li,"axG",@progbits,_ZL32rocblas_syrkx_herkx_small_kernelIldLi16ELb0ELb0ELc78ELc85EKPKdKPdEviT_T0_PT6_S5_lS8_S5_lS6_PT7_S5_li,comdat
.Lfunc_end1524:
	.size	_ZL32rocblas_syrkx_herkx_small_kernelIldLi16ELb0ELb0ELc78ELc85EKPKdKPdEviT_T0_PT6_S5_lS8_S5_lS6_PT7_S5_li, .Lfunc_end1524-_ZL32rocblas_syrkx_herkx_small_kernelIldLi16ELb0ELb0ELc78ELc85EKPKdKPdEviT_T0_PT6_S5_lS8_S5_lS6_PT7_S5_li
                                        ; -- End function
	.set _ZL32rocblas_syrkx_herkx_small_kernelIldLi16ELb0ELb0ELc78ELc85EKPKdKPdEviT_T0_PT6_S5_lS8_S5_lS6_PT7_S5_li.num_vgpr, 34
	.set _ZL32rocblas_syrkx_herkx_small_kernelIldLi16ELb0ELb0ELc78ELc85EKPKdKPdEviT_T0_PT6_S5_lS8_S5_lS6_PT7_S5_li.num_agpr, 0
	.set _ZL32rocblas_syrkx_herkx_small_kernelIldLi16ELb0ELb0ELc78ELc85EKPKdKPdEviT_T0_PT6_S5_lS8_S5_lS6_PT7_S5_li.numbered_sgpr, 27
	.set _ZL32rocblas_syrkx_herkx_small_kernelIldLi16ELb0ELb0ELc78ELc85EKPKdKPdEviT_T0_PT6_S5_lS8_S5_lS6_PT7_S5_li.num_named_barrier, 0
	.set _ZL32rocblas_syrkx_herkx_small_kernelIldLi16ELb0ELb0ELc78ELc85EKPKdKPdEviT_T0_PT6_S5_lS8_S5_lS6_PT7_S5_li.private_seg_size, 0
	.set _ZL32rocblas_syrkx_herkx_small_kernelIldLi16ELb0ELb0ELc78ELc85EKPKdKPdEviT_T0_PT6_S5_lS8_S5_lS6_PT7_S5_li.uses_vcc, 1
	.set _ZL32rocblas_syrkx_herkx_small_kernelIldLi16ELb0ELb0ELc78ELc85EKPKdKPdEviT_T0_PT6_S5_lS8_S5_lS6_PT7_S5_li.uses_flat_scratch, 0
	.set _ZL32rocblas_syrkx_herkx_small_kernelIldLi16ELb0ELb0ELc78ELc85EKPKdKPdEviT_T0_PT6_S5_lS8_S5_lS6_PT7_S5_li.has_dyn_sized_stack, 0
	.set _ZL32rocblas_syrkx_herkx_small_kernelIldLi16ELb0ELb0ELc78ELc85EKPKdKPdEviT_T0_PT6_S5_lS8_S5_lS6_PT7_S5_li.has_recursion, 0
	.set _ZL32rocblas_syrkx_herkx_small_kernelIldLi16ELb0ELb0ELc78ELc85EKPKdKPdEviT_T0_PT6_S5_lS8_S5_lS6_PT7_S5_li.has_indirect_call, 0
	.section	.AMDGPU.csdata,"",@progbits
; Kernel info:
; codeLenInByte = 952
; TotalNumSgprs: 31
; NumVgprs: 34
; ScratchSize: 0
; MemoryBound: 0
; FloatMode: 240
; IeeeMode: 1
; LDSByteSize: 4096 bytes/workgroup (compile time only)
; SGPRBlocks: 3
; VGPRBlocks: 8
; NumSGPRsForWavesPerEU: 31
; NumVGPRsForWavesPerEU: 34
; Occupancy: 7
; WaveLimiterHint : 1
; COMPUTE_PGM_RSRC2:SCRATCH_EN: 0
; COMPUTE_PGM_RSRC2:USER_SGPR: 6
; COMPUTE_PGM_RSRC2:TRAP_HANDLER: 0
; COMPUTE_PGM_RSRC2:TGID_X_EN: 1
; COMPUTE_PGM_RSRC2:TGID_Y_EN: 1
; COMPUTE_PGM_RSRC2:TGID_Z_EN: 1
; COMPUTE_PGM_RSRC2:TIDIG_COMP_CNT: 1
	.section	.text._ZL34rocblas_syrkx_herkx_general_kernelIldLi16ELi32ELi8ELb1ELb0ELc84ELc76EKPKdKPdEviT_T0_PT8_S5_lS8_S5_lS6_PT9_S5_li,"axG",@progbits,_ZL34rocblas_syrkx_herkx_general_kernelIldLi16ELi32ELi8ELb1ELb0ELc84ELc76EKPKdKPdEviT_T0_PT8_S5_lS8_S5_lS6_PT9_S5_li,comdat
	.globl	_ZL34rocblas_syrkx_herkx_general_kernelIldLi16ELi32ELi8ELb1ELb0ELc84ELc76EKPKdKPdEviT_T0_PT8_S5_lS8_S5_lS6_PT9_S5_li ; -- Begin function _ZL34rocblas_syrkx_herkx_general_kernelIldLi16ELi32ELi8ELb1ELb0ELc84ELc76EKPKdKPdEviT_T0_PT8_S5_lS8_S5_lS6_PT9_S5_li
	.p2align	8
	.type	_ZL34rocblas_syrkx_herkx_general_kernelIldLi16ELi32ELi8ELb1ELb0ELc84ELc76EKPKdKPdEviT_T0_PT8_S5_lS8_S5_lS6_PT9_S5_li,@function
_ZL34rocblas_syrkx_herkx_general_kernelIldLi16ELi32ELi8ELb1ELb0ELc84ELc76EKPKdKPdEviT_T0_PT8_S5_lS8_S5_lS6_PT9_S5_li: ; @_ZL34rocblas_syrkx_herkx_general_kernelIldLi16ELi32ELi8ELb1ELb0ELc84ELc76EKPKdKPdEviT_T0_PT8_S5_lS8_S5_lS6_PT9_S5_li
; %bb.0:
	s_load_dwordx4 s[20:23], s[4:5], 0x50
	s_load_dword s10, s[4:5], 0x0
	s_load_dwordx8 s[12:19], s[4:5], 0x8
	s_mov_b32 s9, 0
	s_lshl_b64 s[0:1], s[8:9], 3
	s_waitcnt lgkmcnt(0)
	s_add_u32 s2, s20, s0
	s_addc_u32 s3, s21, s1
	s_load_dwordx2 s[8:9], s[2:3], 0x0
	v_cmp_lt_i64_e64 s[2:3], s[12:13], 1
	s_lshl_b32 s11, s6, 5
	s_lshl_b32 s20, s7, 5
	s_and_b64 vcc, exec, s[2:3]
	s_cbranch_vccnz .LBB1525_7
; %bb.1:
	s_load_dwordx4 s[4:7], s[4:5], 0x30
	v_lshl_add_u32 v2, v1, 4, v0
	v_and_b32_e32 v5, 31, v2
	v_or_b32_e32 v6, s11, v5
	v_and_b32_e32 v19, 7, v0
	s_waitcnt lgkmcnt(0)
	s_add_u32 s2, s4, s0
	s_addc_u32 s3, s5, s1
	s_add_u32 s0, s16, s0
	s_addc_u32 s1, s17, s1
	v_lshrrev_b32_e32 v3, 3, v2
	v_lshrrev_b32_e32 v18, 5, v2
	s_load_dwordx2 s[16:17], s[0:1], 0x0
	v_cmp_gt_i32_e64 s[0:1], s10, v6
	v_lshlrev_b32_e32 v2, 3, v5
	v_lshlrev_b32_e32 v6, 3, v19
	v_lshl_or_b32 v20, v18, 8, v2
	v_lshl_or_b32 v2, v3, 6, v6
	v_add_u32_e32 v21, 0x800, v2
	v_add_u32_e32 v2, s11, v5
	;; [unrolled: 1-line block ×3, first 2 shown]
	v_ashrrev_i32_e32 v3, 31, v2
	v_mul_lo_u32 v5, s18, v3
	v_mul_lo_u32 v8, s19, v2
	v_mad_u64_u32 v[2:3], s[18:19], s18, v2, 0
	v_ashrrev_i32_e32 v7, 31, v4
	v_mov_b32_e32 v9, 0x800
	v_add3_u32 v3, v3, v5, v8
	v_lshlrev_b64 v[2:3], 3, v[2:3]
	v_lshlrev_b32_e32 v5, 3, v18
	s_load_dwordx2 s[4:5], s[2:3], 0x0
	v_cmp_gt_i32_e64 s[2:3], s10, v4
	v_lshl_add_u32 v23, v1, 6, v9
	v_add_co_u32_e32 v2, vcc, v2, v5
	v_mul_lo_u32 v7, s6, v7
	v_mul_lo_u32 v9, s7, v4
	v_mad_u64_u32 v[4:5], s[6:7], s6, v4, 0
	v_addc_co_u32_e32 v3, vcc, 0, v3, vcc
	v_add3_u32 v5, v5, v7, v9
	s_waitcnt lgkmcnt(0)
	v_mov_b32_e32 v8, s17
	v_add_co_u32_e32 v2, vcc, s16, v2
	v_lshlrev_b64 v[4:5], 3, v[4:5]
	v_addc_co_u32_e32 v3, vcc, v8, v3, vcc
	v_add_co_u32_e32 v4, vcc, v4, v6
	v_addc_co_u32_e32 v5, vcc, 0, v5, vcc
	v_mov_b32_e32 v7, s5
	v_add_co_u32_e32 v6, vcc, s4, v4
	v_addc_co_u32_e32 v7, vcc, v7, v5, vcc
	v_mov_b32_e32 v4, 0
	v_mov_b32_e32 v10, 0
	v_mov_b32_e32 v12, 0
	v_mov_b32_e32 v14, 0
	v_mov_b32_e32 v8, s12
	v_lshlrev_b32_e32 v22, 3, v0
	s_mov_b64 s[6:7], 0
	v_mov_b32_e32 v5, 0
	v_mov_b32_e32 v11, 0
	v_mov_b32_e32 v13, 0
	v_mov_b32_e32 v15, 0
	v_mov_b32_e32 v9, s13
	s_branch .LBB1525_3
.LBB1525_2:                             ;   in Loop: Header=BB1525_3 Depth=1
	s_or_b64 exec, exec, s[4:5]
	s_waitcnt vmcnt(0) lgkmcnt(0)
	ds_write_b64 v21, v[16:17]
	s_waitcnt lgkmcnt(0)
	s_barrier
	ds_read2_b64 v[24:27], v22 offset1:16
	ds_read_b128 v[28:31], v23
	ds_read_b128 v[32:35], v23 offset:1024
	ds_read_b128 v[36:39], v23 offset:16
	s_add_u32 s6, s6, 8
	v_add_co_u32_e32 v2, vcc, 64, v2
	s_waitcnt lgkmcnt(2)
	v_fma_f64 v[16:17], v[24:25], v[28:29], v[14:15]
	v_fma_f64 v[28:29], v[26:27], v[28:29], v[12:13]
	s_waitcnt lgkmcnt(1)
	v_fma_f64 v[10:11], v[24:25], v[32:33], v[10:11]
	v_fma_f64 v[4:5], v[26:27], v[32:33], v[4:5]
	ds_read2_b64 v[24:27], v22 offset0:32 offset1:48
	ds_read_b128 v[12:15], v23 offset:1040
	v_addc_co_u32_e32 v3, vcc, 0, v3, vcc
	s_addc_u32 s7, s7, 0
	s_waitcnt lgkmcnt(1)
	v_fma_f64 v[16:17], v[24:25], v[30:31], v[16:17]
	v_fma_f64 v[28:29], v[26:27], v[30:31], v[28:29]
	;; [unrolled: 1-line block ×4, first 2 shown]
	ds_read2_b64 v[24:27], v22 offset0:64 offset1:80
	v_cmp_ge_i64_e32 vcc, s[6:7], v[8:9]
	v_add_co_u32_e64 v6, s[4:5], 64, v6
	v_addc_co_u32_e64 v7, s[4:5], 0, v7, s[4:5]
	s_waitcnt lgkmcnt(0)
	v_fma_f64 v[16:17], v[24:25], v[36:37], v[16:17]
	v_fma_f64 v[32:33], v[26:27], v[36:37], v[28:29]
	;; [unrolled: 1-line block ×4, first 2 shown]
	ds_read2_b64 v[28:31], v22 offset0:96 offset1:112
	ds_read2_b64 v[10:13], v22 offset0:128 offset1:144
	ds_read_b128 v[24:27], v23 offset:32
	s_and_b64 vcc, exec, vcc
	s_waitcnt lgkmcnt(2)
	v_fma_f64 v[36:37], v[28:29], v[38:39], v[16:17]
	v_fma_f64 v[32:33], v[30:31], v[38:39], v[32:33]
	;; [unrolled: 1-line block ×4, first 2 shown]
	ds_read_b128 v[14:17], v23 offset:1056
	ds_read_b128 v[28:31], v23 offset:48
	s_waitcnt lgkmcnt(2)
	v_fma_f64 v[36:37], v[10:11], v[24:25], v[36:37]
	v_fma_f64 v[24:25], v[12:13], v[24:25], v[32:33]
	s_waitcnt lgkmcnt(1)
	v_fma_f64 v[38:39], v[10:11], v[14:15], v[38:39]
	v_fma_f64 v[4:5], v[12:13], v[14:15], v[4:5]
	ds_read2_b64 v[10:13], v22 offset0:160 offset1:176
	ds_read_b128 v[32:35], v23 offset:1072
	s_waitcnt lgkmcnt(1)
	v_fma_f64 v[14:15], v[10:11], v[26:27], v[36:37]
	v_fma_f64 v[36:37], v[12:13], v[26:27], v[24:25]
	;; [unrolled: 1-line block ×4, first 2 shown]
	ds_read2_b64 v[10:13], v22 offset0:192 offset1:208
	ds_read2_b64 v[24:27], v22 offset0:224 offset1:240
	s_waitcnt lgkmcnt(0)
	s_barrier
	v_fma_f64 v[14:15], v[10:11], v[28:29], v[14:15]
	v_fma_f64 v[16:17], v[12:13], v[28:29], v[36:37]
	;; [unrolled: 1-line block ×8, first 2 shown]
	s_cbranch_vccnz .LBB1525_8
.LBB1525_3:                             ; =>This Inner Loop Header: Depth=1
	v_mov_b32_e32 v17, s7
	v_add_co_u32_e32 v16, vcc, s6, v18
	v_addc_co_u32_e32 v17, vcc, 0, v17, vcc
	v_cmp_gt_i64_e32 vcc, s[12:13], v[16:17]
	v_mov_b32_e32 v16, 0
	v_mov_b32_e32 v17, 0
	s_and_b64 s[16:17], s[0:1], vcc
	s_and_saveexec_b64 s[4:5], s[16:17]
	s_cbranch_execz .LBB1525_5
; %bb.4:                                ;   in Loop: Header=BB1525_3 Depth=1
	flat_load_dwordx2 v[16:17], v[2:3]
.LBB1525_5:                             ;   in Loop: Header=BB1525_3 Depth=1
	s_or_b64 exec, exec, s[4:5]
	s_waitcnt vmcnt(0) lgkmcnt(0)
	ds_write_b64 v20, v[16:17]
	v_mov_b32_e32 v17, s7
	v_add_co_u32_e32 v16, vcc, s6, v19
	v_addc_co_u32_e32 v17, vcc, 0, v17, vcc
	v_cmp_gt_i64_e32 vcc, s[12:13], v[16:17]
	v_mov_b32_e32 v16, 0
	v_mov_b32_e32 v17, 0
	s_and_b64 s[16:17], vcc, s[2:3]
	s_and_saveexec_b64 s[4:5], s[16:17]
	s_cbranch_execz .LBB1525_2
; %bb.6:                                ;   in Loop: Header=BB1525_3 Depth=1
	flat_load_dwordx2 v[16:17], v[6:7]
	s_branch .LBB1525_2
.LBB1525_7:
	v_mov_b32_e32 v14, 0
	v_mov_b32_e32 v12, 0
	v_mov_b32_e32 v10, 0
	v_mov_b32_e32 v4, 0
	v_mov_b32_e32 v15, 0
	v_mov_b32_e32 v13, 0
	v_mov_b32_e32 v11, 0
	v_mov_b32_e32 v5, 0
.LBB1525_8:
	v_add_u32_e32 v6, s20, v1
	v_ashrrev_i32_e32 v1, 31, v6
	v_mul_lo_u32 v3, s22, v1
	v_mul_lo_u32 v7, s23, v6
	v_mad_u64_u32 v[1:2], s[0:1], s22, v6, 0
	v_add_u32_e32 v0, s11, v0
	v_cmp_le_i32_e64 s[0:1], v6, v0
	v_add3_u32 v2, v2, v3, v7
	v_lshlrev_b64 v[1:2], 3, v[1:2]
	s_waitcnt lgkmcnt(0)
	v_mov_b32_e32 v3, s9
	v_add_co_u32_e32 v7, vcc, s8, v1
	v_addc_co_u32_e32 v8, vcc, v3, v2, vcc
	v_cmp_gt_i32_e32 vcc, s10, v0
	s_and_b64 s[0:1], s[0:1], vcc
	s_and_saveexec_b64 s[2:3], s[0:1]
	s_cbranch_execz .LBB1525_10
; %bb.9:
	v_mul_f64 v[2:3], s[14:15], v[14:15]
	v_ashrrev_i32_e32 v1, 31, v0
	v_lshlrev_b64 v[14:15], 3, v[0:1]
	v_add_co_u32_e64 v14, s[0:1], v7, v14
	v_addc_co_u32_e64 v15, s[0:1], v8, v15, s[0:1]
	flat_store_dwordx2 v[14:15], v[2:3]
.LBB1525_10:
	s_or_b64 exec, exec, s[2:3]
	v_add_u32_e32 v2, 16, v0
	v_cmp_le_i32_e64 s[2:3], v6, v2
	v_cmp_gt_i32_e64 s[0:1], s10, v2
	s_and_b64 s[2:3], s[2:3], s[0:1]
	s_and_saveexec_b64 s[4:5], s[2:3]
	s_cbranch_execz .LBB1525_12
; %bb.11:
	v_mul_f64 v[12:13], s[14:15], v[12:13]
	v_ashrrev_i32_e32 v3, 31, v2
	v_lshlrev_b64 v[14:15], 3, v[2:3]
	v_add_co_u32_e64 v7, s[2:3], v7, v14
	v_addc_co_u32_e64 v8, s[2:3], v8, v15, s[2:3]
	flat_store_dwordx2 v[7:8], v[12:13]
.LBB1525_12:
	s_or_b64 exec, exec, s[4:5]
	v_add_u32_e32 v3, 16, v6
	v_ashrrev_i32_e32 v1, 31, v3
	v_mul_lo_u32 v8, s23, v3
	v_mad_u64_u32 v[6:7], s[2:3], s22, v3, 0
	v_mul_lo_u32 v1, s22, v1
	v_add3_u32 v7, v7, v1, v8
	v_lshlrev_b64 v[6:7], 3, v[6:7]
	v_mov_b32_e32 v1, s9
	v_add_co_u32_e64 v6, s[2:3], s8, v6
	v_addc_co_u32_e64 v7, s[2:3], v1, v7, s[2:3]
	v_cmp_le_i32_e64 s[2:3], v3, v0
	s_and_b64 s[4:5], s[2:3], vcc
	s_and_saveexec_b64 s[2:3], s[4:5]
	s_cbranch_execz .LBB1525_14
; %bb.13:
	v_mul_f64 v[8:9], s[14:15], v[10:11]
	v_ashrrev_i32_e32 v1, 31, v0
	v_lshlrev_b64 v[0:1], 3, v[0:1]
	v_add_co_u32_e32 v0, vcc, v6, v0
	v_addc_co_u32_e32 v1, vcc, v7, v1, vcc
	flat_store_dwordx2 v[0:1], v[8:9]
.LBB1525_14:
	s_or_b64 exec, exec, s[2:3]
	v_cmp_le_i32_e32 vcc, v3, v2
	s_and_b64 s[0:1], vcc, s[0:1]
	s_and_saveexec_b64 s[2:3], s[0:1]
	s_cbranch_execz .LBB1525_16
; %bb.15:
	v_mul_f64 v[0:1], s[14:15], v[4:5]
	v_ashrrev_i32_e32 v3, 31, v2
	v_lshlrev_b64 v[2:3], 3, v[2:3]
	v_add_co_u32_e32 v2, vcc, v6, v2
	v_addc_co_u32_e32 v3, vcc, v7, v3, vcc
	flat_store_dwordx2 v[2:3], v[0:1]
.LBB1525_16:
	s_endpgm
	.section	.rodata,"a",@progbits
	.p2align	6, 0x0
	.amdhsa_kernel _ZL34rocblas_syrkx_herkx_general_kernelIldLi16ELi32ELi8ELb1ELb0ELc84ELc76EKPKdKPdEviT_T0_PT8_S5_lS8_S5_lS6_PT9_S5_li
		.amdhsa_group_segment_fixed_size 4096
		.amdhsa_private_segment_fixed_size 0
		.amdhsa_kernarg_size 108
		.amdhsa_user_sgpr_count 6
		.amdhsa_user_sgpr_private_segment_buffer 1
		.amdhsa_user_sgpr_dispatch_ptr 0
		.amdhsa_user_sgpr_queue_ptr 0
		.amdhsa_user_sgpr_kernarg_segment_ptr 1
		.amdhsa_user_sgpr_dispatch_id 0
		.amdhsa_user_sgpr_flat_scratch_init 0
		.amdhsa_user_sgpr_private_segment_size 0
		.amdhsa_uses_dynamic_stack 0
		.amdhsa_system_sgpr_private_segment_wavefront_offset 0
		.amdhsa_system_sgpr_workgroup_id_x 1
		.amdhsa_system_sgpr_workgroup_id_y 1
		.amdhsa_system_sgpr_workgroup_id_z 1
		.amdhsa_system_sgpr_workgroup_info 0
		.amdhsa_system_vgpr_workitem_id 1
		.amdhsa_next_free_vgpr 40
		.amdhsa_next_free_sgpr 24
		.amdhsa_reserve_vcc 1
		.amdhsa_reserve_flat_scratch 0
		.amdhsa_float_round_mode_32 0
		.amdhsa_float_round_mode_16_64 0
		.amdhsa_float_denorm_mode_32 3
		.amdhsa_float_denorm_mode_16_64 3
		.amdhsa_dx10_clamp 1
		.amdhsa_ieee_mode 1
		.amdhsa_fp16_overflow 0
		.amdhsa_exception_fp_ieee_invalid_op 0
		.amdhsa_exception_fp_denorm_src 0
		.amdhsa_exception_fp_ieee_div_zero 0
		.amdhsa_exception_fp_ieee_overflow 0
		.amdhsa_exception_fp_ieee_underflow 0
		.amdhsa_exception_fp_ieee_inexact 0
		.amdhsa_exception_int_div_zero 0
	.end_amdhsa_kernel
	.section	.text._ZL34rocblas_syrkx_herkx_general_kernelIldLi16ELi32ELi8ELb1ELb0ELc84ELc76EKPKdKPdEviT_T0_PT8_S5_lS8_S5_lS6_PT9_S5_li,"axG",@progbits,_ZL34rocblas_syrkx_herkx_general_kernelIldLi16ELi32ELi8ELb1ELb0ELc84ELc76EKPKdKPdEviT_T0_PT8_S5_lS8_S5_lS6_PT9_S5_li,comdat
.Lfunc_end1525:
	.size	_ZL34rocblas_syrkx_herkx_general_kernelIldLi16ELi32ELi8ELb1ELb0ELc84ELc76EKPKdKPdEviT_T0_PT8_S5_lS8_S5_lS6_PT9_S5_li, .Lfunc_end1525-_ZL34rocblas_syrkx_herkx_general_kernelIldLi16ELi32ELi8ELb1ELb0ELc84ELc76EKPKdKPdEviT_T0_PT8_S5_lS8_S5_lS6_PT9_S5_li
                                        ; -- End function
	.set _ZL34rocblas_syrkx_herkx_general_kernelIldLi16ELi32ELi8ELb1ELb0ELc84ELc76EKPKdKPdEviT_T0_PT8_S5_lS8_S5_lS6_PT9_S5_li.num_vgpr, 40
	.set _ZL34rocblas_syrkx_herkx_general_kernelIldLi16ELi32ELi8ELb1ELb0ELc84ELc76EKPKdKPdEviT_T0_PT8_S5_lS8_S5_lS6_PT9_S5_li.num_agpr, 0
	.set _ZL34rocblas_syrkx_herkx_general_kernelIldLi16ELi32ELi8ELb1ELb0ELc84ELc76EKPKdKPdEviT_T0_PT8_S5_lS8_S5_lS6_PT9_S5_li.numbered_sgpr, 24
	.set _ZL34rocblas_syrkx_herkx_general_kernelIldLi16ELi32ELi8ELb1ELb0ELc84ELc76EKPKdKPdEviT_T0_PT8_S5_lS8_S5_lS6_PT9_S5_li.num_named_barrier, 0
	.set _ZL34rocblas_syrkx_herkx_general_kernelIldLi16ELi32ELi8ELb1ELb0ELc84ELc76EKPKdKPdEviT_T0_PT8_S5_lS8_S5_lS6_PT9_S5_li.private_seg_size, 0
	.set _ZL34rocblas_syrkx_herkx_general_kernelIldLi16ELi32ELi8ELb1ELb0ELc84ELc76EKPKdKPdEviT_T0_PT8_S5_lS8_S5_lS6_PT9_S5_li.uses_vcc, 1
	.set _ZL34rocblas_syrkx_herkx_general_kernelIldLi16ELi32ELi8ELb1ELb0ELc84ELc76EKPKdKPdEviT_T0_PT8_S5_lS8_S5_lS6_PT9_S5_li.uses_flat_scratch, 0
	.set _ZL34rocblas_syrkx_herkx_general_kernelIldLi16ELi32ELi8ELb1ELb0ELc84ELc76EKPKdKPdEviT_T0_PT8_S5_lS8_S5_lS6_PT9_S5_li.has_dyn_sized_stack, 0
	.set _ZL34rocblas_syrkx_herkx_general_kernelIldLi16ELi32ELi8ELb1ELb0ELc84ELc76EKPKdKPdEviT_T0_PT8_S5_lS8_S5_lS6_PT9_S5_li.has_recursion, 0
	.set _ZL34rocblas_syrkx_herkx_general_kernelIldLi16ELi32ELi8ELb1ELb0ELc84ELc76EKPKdKPdEviT_T0_PT8_S5_lS8_S5_lS6_PT9_S5_li.has_indirect_call, 0
	.section	.AMDGPU.csdata,"",@progbits
; Kernel info:
; codeLenInByte = 1444
; TotalNumSgprs: 28
; NumVgprs: 40
; ScratchSize: 0
; MemoryBound: 0
; FloatMode: 240
; IeeeMode: 1
; LDSByteSize: 4096 bytes/workgroup (compile time only)
; SGPRBlocks: 3
; VGPRBlocks: 9
; NumSGPRsForWavesPerEU: 28
; NumVGPRsForWavesPerEU: 40
; Occupancy: 6
; WaveLimiterHint : 1
; COMPUTE_PGM_RSRC2:SCRATCH_EN: 0
; COMPUTE_PGM_RSRC2:USER_SGPR: 6
; COMPUTE_PGM_RSRC2:TRAP_HANDLER: 0
; COMPUTE_PGM_RSRC2:TGID_X_EN: 1
; COMPUTE_PGM_RSRC2:TGID_Y_EN: 1
; COMPUTE_PGM_RSRC2:TGID_Z_EN: 1
; COMPUTE_PGM_RSRC2:TIDIG_COMP_CNT: 1
	.section	.text._ZL34rocblas_syrkx_herkx_general_kernelIldLi16ELi32ELi8ELb1ELb0ELc67ELc76EKPKdKPdEviT_T0_PT8_S5_lS8_S5_lS6_PT9_S5_li,"axG",@progbits,_ZL34rocblas_syrkx_herkx_general_kernelIldLi16ELi32ELi8ELb1ELb0ELc67ELc76EKPKdKPdEviT_T0_PT8_S5_lS8_S5_lS6_PT9_S5_li,comdat
	.globl	_ZL34rocblas_syrkx_herkx_general_kernelIldLi16ELi32ELi8ELb1ELb0ELc67ELc76EKPKdKPdEviT_T0_PT8_S5_lS8_S5_lS6_PT9_S5_li ; -- Begin function _ZL34rocblas_syrkx_herkx_general_kernelIldLi16ELi32ELi8ELb1ELb0ELc67ELc76EKPKdKPdEviT_T0_PT8_S5_lS8_S5_lS6_PT9_S5_li
	.p2align	8
	.type	_ZL34rocblas_syrkx_herkx_general_kernelIldLi16ELi32ELi8ELb1ELb0ELc67ELc76EKPKdKPdEviT_T0_PT8_S5_lS8_S5_lS6_PT9_S5_li,@function
_ZL34rocblas_syrkx_herkx_general_kernelIldLi16ELi32ELi8ELb1ELb0ELc67ELc76EKPKdKPdEviT_T0_PT8_S5_lS8_S5_lS6_PT9_S5_li: ; @_ZL34rocblas_syrkx_herkx_general_kernelIldLi16ELi32ELi8ELb1ELb0ELc67ELc76EKPKdKPdEviT_T0_PT8_S5_lS8_S5_lS6_PT9_S5_li
; %bb.0:
	s_load_dwordx4 s[20:23], s[4:5], 0x50
	s_load_dword s10, s[4:5], 0x0
	s_load_dwordx8 s[12:19], s[4:5], 0x8
	s_mov_b32 s9, 0
	s_lshl_b64 s[0:1], s[8:9], 3
	s_waitcnt lgkmcnt(0)
	s_add_u32 s2, s20, s0
	s_addc_u32 s3, s21, s1
	s_load_dwordx2 s[8:9], s[2:3], 0x0
	v_cmp_lt_i64_e64 s[2:3], s[12:13], 1
	s_lshl_b32 s11, s6, 5
	s_lshl_b32 s20, s7, 5
	s_and_b64 vcc, exec, s[2:3]
	s_cbranch_vccnz .LBB1526_7
; %bb.1:
	s_load_dwordx4 s[4:7], s[4:5], 0x30
	v_lshl_add_u32 v2, v1, 4, v0
	v_and_b32_e32 v5, 31, v2
	v_or_b32_e32 v6, s11, v5
	v_and_b32_e32 v19, 7, v0
	s_waitcnt lgkmcnt(0)
	s_add_u32 s2, s4, s0
	s_addc_u32 s3, s5, s1
	s_add_u32 s0, s16, s0
	s_addc_u32 s1, s17, s1
	v_lshrrev_b32_e32 v3, 3, v2
	v_lshrrev_b32_e32 v18, 5, v2
	s_load_dwordx2 s[16:17], s[0:1], 0x0
	v_cmp_gt_i32_e64 s[0:1], s10, v6
	v_lshlrev_b32_e32 v2, 3, v5
	v_lshlrev_b32_e32 v6, 3, v19
	v_lshl_or_b32 v20, v18, 8, v2
	v_lshl_or_b32 v2, v3, 6, v6
	v_add_u32_e32 v21, 0x800, v2
	v_add_u32_e32 v2, s11, v5
	v_add_u32_e32 v4, s20, v3
	v_ashrrev_i32_e32 v3, 31, v2
	v_mul_lo_u32 v5, s18, v3
	v_mul_lo_u32 v8, s19, v2
	v_mad_u64_u32 v[2:3], s[18:19], s18, v2, 0
	v_ashrrev_i32_e32 v7, 31, v4
	v_mov_b32_e32 v9, 0x800
	v_add3_u32 v3, v3, v5, v8
	v_lshlrev_b64 v[2:3], 3, v[2:3]
	v_lshlrev_b32_e32 v5, 3, v18
	s_load_dwordx2 s[4:5], s[2:3], 0x0
	v_cmp_gt_i32_e64 s[2:3], s10, v4
	v_lshl_add_u32 v23, v1, 6, v9
	v_add_co_u32_e32 v2, vcc, v2, v5
	v_mul_lo_u32 v7, s6, v7
	v_mul_lo_u32 v9, s7, v4
	v_mad_u64_u32 v[4:5], s[6:7], s6, v4, 0
	v_addc_co_u32_e32 v3, vcc, 0, v3, vcc
	v_add3_u32 v5, v5, v7, v9
	s_waitcnt lgkmcnt(0)
	v_mov_b32_e32 v8, s17
	v_add_co_u32_e32 v2, vcc, s16, v2
	v_lshlrev_b64 v[4:5], 3, v[4:5]
	v_addc_co_u32_e32 v3, vcc, v8, v3, vcc
	v_add_co_u32_e32 v4, vcc, v4, v6
	v_addc_co_u32_e32 v5, vcc, 0, v5, vcc
	v_mov_b32_e32 v7, s5
	v_add_co_u32_e32 v6, vcc, s4, v4
	v_addc_co_u32_e32 v7, vcc, v7, v5, vcc
	v_mov_b32_e32 v4, 0
	v_mov_b32_e32 v10, 0
	;; [unrolled: 1-line block ×5, first 2 shown]
	v_lshlrev_b32_e32 v22, 3, v0
	s_mov_b64 s[6:7], 0
	v_mov_b32_e32 v5, 0
	v_mov_b32_e32 v11, 0
	v_mov_b32_e32 v13, 0
	v_mov_b32_e32 v15, 0
	v_mov_b32_e32 v9, s13
	s_branch .LBB1526_3
.LBB1526_2:                             ;   in Loop: Header=BB1526_3 Depth=1
	s_or_b64 exec, exec, s[4:5]
	s_waitcnt vmcnt(0) lgkmcnt(0)
	ds_write_b64 v21, v[16:17]
	s_waitcnt lgkmcnt(0)
	s_barrier
	ds_read2_b64 v[24:27], v22 offset1:16
	ds_read_b128 v[28:31], v23
	ds_read_b128 v[32:35], v23 offset:1024
	ds_read_b128 v[36:39], v23 offset:16
	s_add_u32 s6, s6, 8
	v_add_co_u32_e32 v2, vcc, 64, v2
	s_waitcnt lgkmcnt(2)
	v_fma_f64 v[16:17], v[24:25], v[28:29], v[14:15]
	v_fma_f64 v[28:29], v[26:27], v[28:29], v[12:13]
	s_waitcnt lgkmcnt(1)
	v_fma_f64 v[10:11], v[24:25], v[32:33], v[10:11]
	v_fma_f64 v[4:5], v[26:27], v[32:33], v[4:5]
	ds_read2_b64 v[24:27], v22 offset0:32 offset1:48
	ds_read_b128 v[12:15], v23 offset:1040
	v_addc_co_u32_e32 v3, vcc, 0, v3, vcc
	s_addc_u32 s7, s7, 0
	s_waitcnt lgkmcnt(1)
	v_fma_f64 v[16:17], v[24:25], v[30:31], v[16:17]
	v_fma_f64 v[28:29], v[26:27], v[30:31], v[28:29]
	;; [unrolled: 1-line block ×4, first 2 shown]
	ds_read2_b64 v[24:27], v22 offset0:64 offset1:80
	v_cmp_ge_i64_e32 vcc, s[6:7], v[8:9]
	v_add_co_u32_e64 v6, s[4:5], 64, v6
	v_addc_co_u32_e64 v7, s[4:5], 0, v7, s[4:5]
	s_waitcnt lgkmcnt(0)
	v_fma_f64 v[16:17], v[24:25], v[36:37], v[16:17]
	v_fma_f64 v[32:33], v[26:27], v[36:37], v[28:29]
	;; [unrolled: 1-line block ×4, first 2 shown]
	ds_read2_b64 v[28:31], v22 offset0:96 offset1:112
	ds_read2_b64 v[10:13], v22 offset0:128 offset1:144
	ds_read_b128 v[24:27], v23 offset:32
	s_and_b64 vcc, exec, vcc
	s_waitcnt lgkmcnt(2)
	v_fma_f64 v[36:37], v[28:29], v[38:39], v[16:17]
	v_fma_f64 v[32:33], v[30:31], v[38:39], v[32:33]
	;; [unrolled: 1-line block ×4, first 2 shown]
	ds_read_b128 v[14:17], v23 offset:1056
	ds_read_b128 v[28:31], v23 offset:48
	s_waitcnt lgkmcnt(2)
	v_fma_f64 v[36:37], v[10:11], v[24:25], v[36:37]
	v_fma_f64 v[24:25], v[12:13], v[24:25], v[32:33]
	s_waitcnt lgkmcnt(1)
	v_fma_f64 v[38:39], v[10:11], v[14:15], v[38:39]
	v_fma_f64 v[4:5], v[12:13], v[14:15], v[4:5]
	ds_read2_b64 v[10:13], v22 offset0:160 offset1:176
	ds_read_b128 v[32:35], v23 offset:1072
	s_waitcnt lgkmcnt(1)
	v_fma_f64 v[14:15], v[10:11], v[26:27], v[36:37]
	v_fma_f64 v[36:37], v[12:13], v[26:27], v[24:25]
	;; [unrolled: 1-line block ×4, first 2 shown]
	ds_read2_b64 v[10:13], v22 offset0:192 offset1:208
	ds_read2_b64 v[24:27], v22 offset0:224 offset1:240
	s_waitcnt lgkmcnt(0)
	s_barrier
	v_fma_f64 v[14:15], v[10:11], v[28:29], v[14:15]
	v_fma_f64 v[16:17], v[12:13], v[28:29], v[36:37]
	;; [unrolled: 1-line block ×8, first 2 shown]
	s_cbranch_vccnz .LBB1526_8
.LBB1526_3:                             ; =>This Inner Loop Header: Depth=1
	v_mov_b32_e32 v17, s7
	v_add_co_u32_e32 v16, vcc, s6, v18
	v_addc_co_u32_e32 v17, vcc, 0, v17, vcc
	v_cmp_gt_i64_e32 vcc, s[12:13], v[16:17]
	v_mov_b32_e32 v16, 0
	v_mov_b32_e32 v17, 0
	s_and_b64 s[16:17], s[0:1], vcc
	s_and_saveexec_b64 s[4:5], s[16:17]
	s_cbranch_execz .LBB1526_5
; %bb.4:                                ;   in Loop: Header=BB1526_3 Depth=1
	flat_load_dwordx2 v[16:17], v[2:3]
.LBB1526_5:                             ;   in Loop: Header=BB1526_3 Depth=1
	s_or_b64 exec, exec, s[4:5]
	s_waitcnt vmcnt(0) lgkmcnt(0)
	ds_write_b64 v20, v[16:17]
	v_mov_b32_e32 v17, s7
	v_add_co_u32_e32 v16, vcc, s6, v19
	v_addc_co_u32_e32 v17, vcc, 0, v17, vcc
	v_cmp_gt_i64_e32 vcc, s[12:13], v[16:17]
	v_mov_b32_e32 v16, 0
	v_mov_b32_e32 v17, 0
	s_and_b64 s[16:17], vcc, s[2:3]
	s_and_saveexec_b64 s[4:5], s[16:17]
	s_cbranch_execz .LBB1526_2
; %bb.6:                                ;   in Loop: Header=BB1526_3 Depth=1
	flat_load_dwordx2 v[16:17], v[6:7]
	s_branch .LBB1526_2
.LBB1526_7:
	v_mov_b32_e32 v14, 0
	v_mov_b32_e32 v12, 0
	;; [unrolled: 1-line block ×8, first 2 shown]
.LBB1526_8:
	v_add_u32_e32 v6, s20, v1
	v_ashrrev_i32_e32 v1, 31, v6
	v_mul_lo_u32 v3, s22, v1
	v_mul_lo_u32 v7, s23, v6
	v_mad_u64_u32 v[1:2], s[0:1], s22, v6, 0
	v_add_u32_e32 v0, s11, v0
	v_cmp_le_i32_e64 s[0:1], v6, v0
	v_add3_u32 v2, v2, v3, v7
	v_lshlrev_b64 v[1:2], 3, v[1:2]
	s_waitcnt lgkmcnt(0)
	v_mov_b32_e32 v3, s9
	v_add_co_u32_e32 v7, vcc, s8, v1
	v_addc_co_u32_e32 v8, vcc, v3, v2, vcc
	v_cmp_gt_i32_e32 vcc, s10, v0
	s_and_b64 s[0:1], s[0:1], vcc
	s_and_saveexec_b64 s[2:3], s[0:1]
	s_cbranch_execz .LBB1526_10
; %bb.9:
	v_mul_f64 v[2:3], s[14:15], v[14:15]
	v_ashrrev_i32_e32 v1, 31, v0
	v_lshlrev_b64 v[14:15], 3, v[0:1]
	v_add_co_u32_e64 v14, s[0:1], v7, v14
	v_addc_co_u32_e64 v15, s[0:1], v8, v15, s[0:1]
	flat_store_dwordx2 v[14:15], v[2:3]
.LBB1526_10:
	s_or_b64 exec, exec, s[2:3]
	v_add_u32_e32 v2, 16, v0
	v_cmp_le_i32_e64 s[2:3], v6, v2
	v_cmp_gt_i32_e64 s[0:1], s10, v2
	s_and_b64 s[2:3], s[2:3], s[0:1]
	s_and_saveexec_b64 s[4:5], s[2:3]
	s_cbranch_execz .LBB1526_12
; %bb.11:
	v_mul_f64 v[12:13], s[14:15], v[12:13]
	v_ashrrev_i32_e32 v3, 31, v2
	v_lshlrev_b64 v[14:15], 3, v[2:3]
	v_add_co_u32_e64 v7, s[2:3], v7, v14
	v_addc_co_u32_e64 v8, s[2:3], v8, v15, s[2:3]
	flat_store_dwordx2 v[7:8], v[12:13]
.LBB1526_12:
	s_or_b64 exec, exec, s[4:5]
	v_add_u32_e32 v3, 16, v6
	v_ashrrev_i32_e32 v1, 31, v3
	v_mul_lo_u32 v8, s23, v3
	v_mad_u64_u32 v[6:7], s[2:3], s22, v3, 0
	v_mul_lo_u32 v1, s22, v1
	v_add3_u32 v7, v7, v1, v8
	v_lshlrev_b64 v[6:7], 3, v[6:7]
	v_mov_b32_e32 v1, s9
	v_add_co_u32_e64 v6, s[2:3], s8, v6
	v_addc_co_u32_e64 v7, s[2:3], v1, v7, s[2:3]
	v_cmp_le_i32_e64 s[2:3], v3, v0
	s_and_b64 s[4:5], s[2:3], vcc
	s_and_saveexec_b64 s[2:3], s[4:5]
	s_cbranch_execz .LBB1526_14
; %bb.13:
	v_mul_f64 v[8:9], s[14:15], v[10:11]
	v_ashrrev_i32_e32 v1, 31, v0
	v_lshlrev_b64 v[0:1], 3, v[0:1]
	v_add_co_u32_e32 v0, vcc, v6, v0
	v_addc_co_u32_e32 v1, vcc, v7, v1, vcc
	flat_store_dwordx2 v[0:1], v[8:9]
.LBB1526_14:
	s_or_b64 exec, exec, s[2:3]
	v_cmp_le_i32_e32 vcc, v3, v2
	s_and_b64 s[0:1], vcc, s[0:1]
	s_and_saveexec_b64 s[2:3], s[0:1]
	s_cbranch_execz .LBB1526_16
; %bb.15:
	v_mul_f64 v[0:1], s[14:15], v[4:5]
	v_ashrrev_i32_e32 v3, 31, v2
	v_lshlrev_b64 v[2:3], 3, v[2:3]
	v_add_co_u32_e32 v2, vcc, v6, v2
	v_addc_co_u32_e32 v3, vcc, v7, v3, vcc
	flat_store_dwordx2 v[2:3], v[0:1]
.LBB1526_16:
	s_endpgm
	.section	.rodata,"a",@progbits
	.p2align	6, 0x0
	.amdhsa_kernel _ZL34rocblas_syrkx_herkx_general_kernelIldLi16ELi32ELi8ELb1ELb0ELc67ELc76EKPKdKPdEviT_T0_PT8_S5_lS8_S5_lS6_PT9_S5_li
		.amdhsa_group_segment_fixed_size 4096
		.amdhsa_private_segment_fixed_size 0
		.amdhsa_kernarg_size 108
		.amdhsa_user_sgpr_count 6
		.amdhsa_user_sgpr_private_segment_buffer 1
		.amdhsa_user_sgpr_dispatch_ptr 0
		.amdhsa_user_sgpr_queue_ptr 0
		.amdhsa_user_sgpr_kernarg_segment_ptr 1
		.amdhsa_user_sgpr_dispatch_id 0
		.amdhsa_user_sgpr_flat_scratch_init 0
		.amdhsa_user_sgpr_private_segment_size 0
		.amdhsa_uses_dynamic_stack 0
		.amdhsa_system_sgpr_private_segment_wavefront_offset 0
		.amdhsa_system_sgpr_workgroup_id_x 1
		.amdhsa_system_sgpr_workgroup_id_y 1
		.amdhsa_system_sgpr_workgroup_id_z 1
		.amdhsa_system_sgpr_workgroup_info 0
		.amdhsa_system_vgpr_workitem_id 1
		.amdhsa_next_free_vgpr 40
		.amdhsa_next_free_sgpr 24
		.amdhsa_reserve_vcc 1
		.amdhsa_reserve_flat_scratch 0
		.amdhsa_float_round_mode_32 0
		.amdhsa_float_round_mode_16_64 0
		.amdhsa_float_denorm_mode_32 3
		.amdhsa_float_denorm_mode_16_64 3
		.amdhsa_dx10_clamp 1
		.amdhsa_ieee_mode 1
		.amdhsa_fp16_overflow 0
		.amdhsa_exception_fp_ieee_invalid_op 0
		.amdhsa_exception_fp_denorm_src 0
		.amdhsa_exception_fp_ieee_div_zero 0
		.amdhsa_exception_fp_ieee_overflow 0
		.amdhsa_exception_fp_ieee_underflow 0
		.amdhsa_exception_fp_ieee_inexact 0
		.amdhsa_exception_int_div_zero 0
	.end_amdhsa_kernel
	.section	.text._ZL34rocblas_syrkx_herkx_general_kernelIldLi16ELi32ELi8ELb1ELb0ELc67ELc76EKPKdKPdEviT_T0_PT8_S5_lS8_S5_lS6_PT9_S5_li,"axG",@progbits,_ZL34rocblas_syrkx_herkx_general_kernelIldLi16ELi32ELi8ELb1ELb0ELc67ELc76EKPKdKPdEviT_T0_PT8_S5_lS8_S5_lS6_PT9_S5_li,comdat
.Lfunc_end1526:
	.size	_ZL34rocblas_syrkx_herkx_general_kernelIldLi16ELi32ELi8ELb1ELb0ELc67ELc76EKPKdKPdEviT_T0_PT8_S5_lS8_S5_lS6_PT9_S5_li, .Lfunc_end1526-_ZL34rocblas_syrkx_herkx_general_kernelIldLi16ELi32ELi8ELb1ELb0ELc67ELc76EKPKdKPdEviT_T0_PT8_S5_lS8_S5_lS6_PT9_S5_li
                                        ; -- End function
	.set _ZL34rocblas_syrkx_herkx_general_kernelIldLi16ELi32ELi8ELb1ELb0ELc67ELc76EKPKdKPdEviT_T0_PT8_S5_lS8_S5_lS6_PT9_S5_li.num_vgpr, 40
	.set _ZL34rocblas_syrkx_herkx_general_kernelIldLi16ELi32ELi8ELb1ELb0ELc67ELc76EKPKdKPdEviT_T0_PT8_S5_lS8_S5_lS6_PT9_S5_li.num_agpr, 0
	.set _ZL34rocblas_syrkx_herkx_general_kernelIldLi16ELi32ELi8ELb1ELb0ELc67ELc76EKPKdKPdEviT_T0_PT8_S5_lS8_S5_lS6_PT9_S5_li.numbered_sgpr, 24
	.set _ZL34rocblas_syrkx_herkx_general_kernelIldLi16ELi32ELi8ELb1ELb0ELc67ELc76EKPKdKPdEviT_T0_PT8_S5_lS8_S5_lS6_PT9_S5_li.num_named_barrier, 0
	.set _ZL34rocblas_syrkx_herkx_general_kernelIldLi16ELi32ELi8ELb1ELb0ELc67ELc76EKPKdKPdEviT_T0_PT8_S5_lS8_S5_lS6_PT9_S5_li.private_seg_size, 0
	.set _ZL34rocblas_syrkx_herkx_general_kernelIldLi16ELi32ELi8ELb1ELb0ELc67ELc76EKPKdKPdEviT_T0_PT8_S5_lS8_S5_lS6_PT9_S5_li.uses_vcc, 1
	.set _ZL34rocblas_syrkx_herkx_general_kernelIldLi16ELi32ELi8ELb1ELb0ELc67ELc76EKPKdKPdEviT_T0_PT8_S5_lS8_S5_lS6_PT9_S5_li.uses_flat_scratch, 0
	.set _ZL34rocblas_syrkx_herkx_general_kernelIldLi16ELi32ELi8ELb1ELb0ELc67ELc76EKPKdKPdEviT_T0_PT8_S5_lS8_S5_lS6_PT9_S5_li.has_dyn_sized_stack, 0
	.set _ZL34rocblas_syrkx_herkx_general_kernelIldLi16ELi32ELi8ELb1ELb0ELc67ELc76EKPKdKPdEviT_T0_PT8_S5_lS8_S5_lS6_PT9_S5_li.has_recursion, 0
	.set _ZL34rocblas_syrkx_herkx_general_kernelIldLi16ELi32ELi8ELb1ELb0ELc67ELc76EKPKdKPdEviT_T0_PT8_S5_lS8_S5_lS6_PT9_S5_li.has_indirect_call, 0
	.section	.AMDGPU.csdata,"",@progbits
; Kernel info:
; codeLenInByte = 1444
; TotalNumSgprs: 28
; NumVgprs: 40
; ScratchSize: 0
; MemoryBound: 0
; FloatMode: 240
; IeeeMode: 1
; LDSByteSize: 4096 bytes/workgroup (compile time only)
; SGPRBlocks: 3
; VGPRBlocks: 9
; NumSGPRsForWavesPerEU: 28
; NumVGPRsForWavesPerEU: 40
; Occupancy: 6
; WaveLimiterHint : 1
; COMPUTE_PGM_RSRC2:SCRATCH_EN: 0
; COMPUTE_PGM_RSRC2:USER_SGPR: 6
; COMPUTE_PGM_RSRC2:TRAP_HANDLER: 0
; COMPUTE_PGM_RSRC2:TGID_X_EN: 1
; COMPUTE_PGM_RSRC2:TGID_Y_EN: 1
; COMPUTE_PGM_RSRC2:TGID_Z_EN: 1
; COMPUTE_PGM_RSRC2:TIDIG_COMP_CNT: 1
	.section	.text._ZL34rocblas_syrkx_herkx_general_kernelIldLi16ELi32ELi8ELb1ELb0ELc78ELc76EKPKdKPdEviT_T0_PT8_S5_lS8_S5_lS6_PT9_S5_li,"axG",@progbits,_ZL34rocblas_syrkx_herkx_general_kernelIldLi16ELi32ELi8ELb1ELb0ELc78ELc76EKPKdKPdEviT_T0_PT8_S5_lS8_S5_lS6_PT9_S5_li,comdat
	.globl	_ZL34rocblas_syrkx_herkx_general_kernelIldLi16ELi32ELi8ELb1ELb0ELc78ELc76EKPKdKPdEviT_T0_PT8_S5_lS8_S5_lS6_PT9_S5_li ; -- Begin function _ZL34rocblas_syrkx_herkx_general_kernelIldLi16ELi32ELi8ELb1ELb0ELc78ELc76EKPKdKPdEviT_T0_PT8_S5_lS8_S5_lS6_PT9_S5_li
	.p2align	8
	.type	_ZL34rocblas_syrkx_herkx_general_kernelIldLi16ELi32ELi8ELb1ELb0ELc78ELc76EKPKdKPdEviT_T0_PT8_S5_lS8_S5_lS6_PT9_S5_li,@function
_ZL34rocblas_syrkx_herkx_general_kernelIldLi16ELi32ELi8ELb1ELb0ELc78ELc76EKPKdKPdEviT_T0_PT8_S5_lS8_S5_lS6_PT9_S5_li: ; @_ZL34rocblas_syrkx_herkx_general_kernelIldLi16ELi32ELi8ELb1ELb0ELc78ELc76EKPKdKPdEviT_T0_PT8_S5_lS8_S5_lS6_PT9_S5_li
; %bb.0:
	s_load_dwordx4 s[20:23], s[4:5], 0x50
	s_load_dword s24, s[4:5], 0x0
	s_load_dwordx8 s[12:19], s[4:5], 0x8
	s_mov_b32 s9, 0
	s_lshl_b64 s[0:1], s[8:9], 3
	s_waitcnt lgkmcnt(0)
	s_add_u32 s2, s20, s0
	s_addc_u32 s3, s21, s1
	s_load_dwordx2 s[8:9], s[2:3], 0x0
	v_cmp_lt_i64_e64 s[2:3], s[12:13], 1
	s_lshl_b32 s20, s6, 5
	s_lshl_b32 s21, s7, 5
	s_and_b64 vcc, exec, s[2:3]
	s_cbranch_vccnz .LBB1527_7
; %bb.1:
	s_load_dwordx4 s[4:7], s[4:5], 0x30
	v_lshl_add_u32 v2, v1, 4, v0
	v_and_b32_e32 v8, 31, v2
	v_lshrrev_b32_e32 v5, 3, v2
	v_or_b32_e32 v3, s20, v8
	s_waitcnt lgkmcnt(0)
	s_add_u32 s2, s4, s0
	s_addc_u32 s3, s5, s1
	s_add_u32 s0, s16, s0
	v_lshrrev_b32_e32 v16, 5, v2
	s_addc_u32 s1, s17, s1
	v_lshlrev_b32_e32 v2, 3, v8
	s_load_dwordx2 s[10:11], s[0:1], 0x0
	v_cmp_gt_i32_e64 s[0:1], s24, v3
	v_lshl_or_b32 v18, v16, 8, v2
	v_mad_u64_u32 v[2:3], s[16:17], s18, v16, 0
	v_and_b32_e32 v17, 7, v0
	v_add_u32_e32 v4, s21, v5
	v_lshlrev_b32_e32 v6, 3, v17
	v_lshl_or_b32 v5, v5, 6, v6
	v_mad_u64_u32 v[6:7], s[16:17], s19, v16, v[3:4]
	v_mov_b32_e32 v3, 0x800
	v_lshl_add_u32 v21, v1, 6, v3
	v_mov_b32_e32 v3, v6
	v_add_u32_e32 v6, s20, v8
	v_ashrrev_i32_e32 v7, 31, v6
	v_mad_u64_u32 v[8:9], s[16:17], s6, v17, 0
	v_lshlrev_b64 v[2:3], 3, v[2:3]
	v_lshlrev_b64 v[6:7], 3, v[6:7]
	s_load_dwordx2 s[4:5], s[2:3], 0x0
	v_add_co_u32_e32 v10, vcc, v2, v6
	v_addc_co_u32_e32 v3, vcc, v3, v7, vcc
	v_mov_b32_e32 v2, v9
	v_mad_u64_u32 v[6:7], s[16:17], s7, v17, v[2:3]
	v_add_u32_e32 v19, 0x800, v5
	v_ashrrev_i32_e32 v5, 31, v4
	v_mov_b32_e32 v9, v6
	v_cmp_gt_i32_e64 s[2:3], s24, v4
	s_waitcnt lgkmcnt(0)
	v_mov_b32_e32 v11, s11
	v_add_co_u32_e32 v2, vcc, s10, v10
	v_lshlrev_b64 v[6:7], 3, v[8:9]
	v_lshlrev_b64 v[4:5], 3, v[4:5]
	v_addc_co_u32_e32 v3, vcc, v11, v3, vcc
	v_add_co_u32_e32 v4, vcc, v6, v4
	v_addc_co_u32_e32 v5, vcc, v7, v5, vcc
	v_mov_b32_e32 v6, s5
	v_add_co_u32_e32 v4, vcc, s4, v4
	s_lshl_b64 s[10:11], s[18:19], 6
	v_addc_co_u32_e32 v5, vcc, v6, v5, vcc
	s_lshl_b64 s[6:7], s[6:7], 6
	v_mov_b32_e32 v6, 0
	v_mov_b32_e32 v8, 0
	;; [unrolled: 1-line block ×4, first 2 shown]
	v_lshlrev_b32_e32 v20, 3, v0
	s_mov_b64 s[16:17], 0
	v_mov_b32_e32 v7, 0
	v_mov_b32_e32 v22, s11
	v_mov_b32_e32 v9, 0
	v_mov_b32_e32 v11, 0
	v_mov_b32_e32 v13, 0
	v_mov_b32_e32 v23, s7
	s_branch .LBB1527_3
.LBB1527_2:                             ;   in Loop: Header=BB1527_3 Depth=1
	s_or_b64 exec, exec, s[4:5]
	s_waitcnt vmcnt(0) lgkmcnt(0)
	ds_write_b64 v19, v[14:15]
	s_waitcnt lgkmcnt(0)
	s_barrier
	ds_read2_b64 v[24:27], v20 offset1:16
	ds_read_b128 v[28:31], v21
	ds_read_b128 v[32:35], v21 offset:1024
	ds_read_b128 v[36:39], v21 offset:16
	s_add_u32 s16, s16, 8
	v_mov_b32_e32 v41, s13
	s_waitcnt lgkmcnt(2)
	v_fma_f64 v[14:15], v[24:25], v[28:29], v[12:13]
	v_fma_f64 v[28:29], v[26:27], v[28:29], v[10:11]
	s_waitcnt lgkmcnt(1)
	v_fma_f64 v[24:25], v[24:25], v[32:33], v[8:9]
	v_fma_f64 v[26:27], v[26:27], v[32:33], v[6:7]
	ds_read2_b64 v[6:9], v20 offset0:32 offset1:48
	ds_read_b128 v[10:13], v21 offset:1040
	v_add_co_u32_e32 v2, vcc, s10, v2
	v_mov_b32_e32 v40, s12
	s_waitcnt lgkmcnt(1)
	v_fma_f64 v[14:15], v[6:7], v[30:31], v[14:15]
	v_fma_f64 v[28:29], v[8:9], v[30:31], v[28:29]
	v_fma_f64 v[30:31], v[6:7], v[34:35], v[24:25]
	v_fma_f64 v[32:33], v[8:9], v[34:35], v[26:27]
	ds_read2_b64 v[6:9], v20 offset0:64 offset1:80
	ds_read2_b64 v[24:27], v20 offset0:96 offset1:112
	v_addc_co_u32_e32 v3, vcc, v3, v22, vcc
	s_addc_u32 s17, s17, 0
	s_waitcnt lgkmcnt(1)
	v_fma_f64 v[14:15], v[6:7], v[36:37], v[14:15]
	v_fma_f64 v[28:29], v[8:9], v[36:37], v[28:29]
	;; [unrolled: 1-line block ×4, first 2 shown]
	ds_read2_b64 v[6:9], v20 offset0:128 offset1:144
	v_cmp_ge_i64_e32 vcc, s[16:17], v[40:41]
	v_add_co_u32_e64 v4, s[4:5], s6, v4
	s_waitcnt lgkmcnt(1)
	v_fma_f64 v[14:15], v[24:25], v[38:39], v[14:15]
	v_fma_f64 v[32:33], v[26:27], v[38:39], v[28:29]
	;; [unrolled: 1-line block ×4, first 2 shown]
	ds_read_b128 v[28:31], v21 offset:32
	ds_read_b128 v[10:13], v21 offset:1056
	;; [unrolled: 1-line block ×3, first 2 shown]
	v_addc_co_u32_e64 v5, s[4:5], v5, v23, s[4:5]
	s_and_b64 vcc, exec, vcc
	s_waitcnt lgkmcnt(2)
	v_fma_f64 v[14:15], v[6:7], v[28:29], v[14:15]
	v_fma_f64 v[28:29], v[8:9], v[28:29], v[32:33]
	s_waitcnt lgkmcnt(1)
	v_fma_f64 v[36:37], v[6:7], v[10:11], v[36:37]
	v_fma_f64 v[10:11], v[8:9], v[10:11], v[38:39]
	ds_read2_b64 v[6:9], v20 offset0:160 offset1:176
	ds_read_b128 v[32:35], v21 offset:1072
	s_waitcnt lgkmcnt(1)
	v_fma_f64 v[14:15], v[6:7], v[30:31], v[14:15]
	v_fma_f64 v[38:39], v[8:9], v[30:31], v[28:29]
	v_fma_f64 v[36:37], v[6:7], v[12:13], v[36:37]
	v_fma_f64 v[10:11], v[8:9], v[12:13], v[10:11]
	ds_read2_b64 v[6:9], v20 offset0:192 offset1:208
	ds_read2_b64 v[28:31], v20 offset0:224 offset1:240
	s_waitcnt lgkmcnt(0)
	s_barrier
	v_fma_f64 v[12:13], v[6:7], v[24:25], v[14:15]
	v_fma_f64 v[14:15], v[8:9], v[24:25], v[38:39]
	;; [unrolled: 1-line block ×8, first 2 shown]
	s_cbranch_vccnz .LBB1527_8
.LBB1527_3:                             ; =>This Inner Loop Header: Depth=1
	v_mov_b32_e32 v15, s17
	v_add_co_u32_e32 v14, vcc, s16, v16
	v_addc_co_u32_e32 v15, vcc, 0, v15, vcc
	v_cmp_gt_i64_e32 vcc, s[12:13], v[14:15]
	v_mov_b32_e32 v14, 0
	v_mov_b32_e32 v15, 0
	s_and_b64 s[18:19], s[0:1], vcc
	s_and_saveexec_b64 s[4:5], s[18:19]
	s_cbranch_execz .LBB1527_5
; %bb.4:                                ;   in Loop: Header=BB1527_3 Depth=1
	flat_load_dwordx2 v[14:15], v[2:3]
.LBB1527_5:                             ;   in Loop: Header=BB1527_3 Depth=1
	s_or_b64 exec, exec, s[4:5]
	s_waitcnt vmcnt(0) lgkmcnt(0)
	ds_write_b64 v18, v[14:15]
	v_mov_b32_e32 v15, s17
	v_add_co_u32_e32 v14, vcc, s16, v17
	v_addc_co_u32_e32 v15, vcc, 0, v15, vcc
	v_cmp_gt_i64_e32 vcc, s[12:13], v[14:15]
	v_mov_b32_e32 v14, 0
	v_mov_b32_e32 v15, 0
	s_and_b64 s[18:19], vcc, s[2:3]
	s_and_saveexec_b64 s[4:5], s[18:19]
	s_cbranch_execz .LBB1527_2
; %bb.6:                                ;   in Loop: Header=BB1527_3 Depth=1
	flat_load_dwordx2 v[14:15], v[4:5]
	s_branch .LBB1527_2
.LBB1527_7:
	v_mov_b32_e32 v12, 0
	v_mov_b32_e32 v10, 0
	;; [unrolled: 1-line block ×8, first 2 shown]
.LBB1527_8:
	v_add_u32_e32 v4, s21, v1
	v_ashrrev_i32_e32 v1, 31, v4
	v_mul_lo_u32 v3, s22, v1
	v_mul_lo_u32 v5, s23, v4
	v_mad_u64_u32 v[1:2], s[0:1], s22, v4, 0
	v_add_u32_e32 v0, s20, v0
	v_cmp_le_i32_e64 s[0:1], v4, v0
	v_add3_u32 v2, v2, v3, v5
	v_lshlrev_b64 v[1:2], 3, v[1:2]
	s_waitcnt lgkmcnt(0)
	v_mov_b32_e32 v3, s9
	v_add_co_u32_e32 v5, vcc, s8, v1
	v_addc_co_u32_e32 v14, vcc, v3, v2, vcc
	v_cmp_gt_i32_e32 vcc, s24, v0
	s_and_b64 s[0:1], s[0:1], vcc
	s_and_saveexec_b64 s[2:3], s[0:1]
	s_cbranch_execz .LBB1527_10
; %bb.9:
	v_mul_f64 v[2:3], s[14:15], v[12:13]
	v_ashrrev_i32_e32 v1, 31, v0
	v_lshlrev_b64 v[12:13], 3, v[0:1]
	v_add_co_u32_e64 v12, s[0:1], v5, v12
	v_addc_co_u32_e64 v13, s[0:1], v14, v13, s[0:1]
	flat_store_dwordx2 v[12:13], v[2:3]
.LBB1527_10:
	s_or_b64 exec, exec, s[2:3]
	v_add_u32_e32 v2, 16, v0
	v_cmp_le_i32_e64 s[2:3], v4, v2
	v_cmp_gt_i32_e64 s[0:1], s24, v2
	s_and_b64 s[2:3], s[2:3], s[0:1]
	s_and_saveexec_b64 s[4:5], s[2:3]
	s_cbranch_execz .LBB1527_12
; %bb.11:
	v_mul_f64 v[10:11], s[14:15], v[10:11]
	v_ashrrev_i32_e32 v3, 31, v2
	v_lshlrev_b64 v[12:13], 3, v[2:3]
	v_add_co_u32_e64 v12, s[2:3], v5, v12
	v_addc_co_u32_e64 v13, s[2:3], v14, v13, s[2:3]
	flat_store_dwordx2 v[12:13], v[10:11]
.LBB1527_12:
	s_or_b64 exec, exec, s[4:5]
	v_add_u32_e32 v3, 16, v4
	v_ashrrev_i32_e32 v1, 31, v3
	v_mul_lo_u32 v10, s23, v3
	v_mad_u64_u32 v[4:5], s[2:3], s22, v3, 0
	v_mul_lo_u32 v1, s22, v1
	v_add3_u32 v5, v5, v1, v10
	v_lshlrev_b64 v[4:5], 3, v[4:5]
	v_mov_b32_e32 v1, s9
	v_add_co_u32_e64 v4, s[2:3], s8, v4
	v_addc_co_u32_e64 v5, s[2:3], v1, v5, s[2:3]
	v_cmp_le_i32_e64 s[2:3], v3, v0
	s_and_b64 s[4:5], s[2:3], vcc
	s_and_saveexec_b64 s[2:3], s[4:5]
	s_cbranch_execz .LBB1527_14
; %bb.13:
	v_mul_f64 v[8:9], s[14:15], v[8:9]
	v_ashrrev_i32_e32 v1, 31, v0
	v_lshlrev_b64 v[0:1], 3, v[0:1]
	v_add_co_u32_e32 v0, vcc, v4, v0
	v_addc_co_u32_e32 v1, vcc, v5, v1, vcc
	flat_store_dwordx2 v[0:1], v[8:9]
.LBB1527_14:
	s_or_b64 exec, exec, s[2:3]
	v_cmp_le_i32_e32 vcc, v3, v2
	s_and_b64 s[0:1], vcc, s[0:1]
	s_and_saveexec_b64 s[2:3], s[0:1]
	s_cbranch_execz .LBB1527_16
; %bb.15:
	v_mul_f64 v[0:1], s[14:15], v[6:7]
	v_ashrrev_i32_e32 v3, 31, v2
	v_lshlrev_b64 v[2:3], 3, v[2:3]
	v_add_co_u32_e32 v2, vcc, v4, v2
	v_addc_co_u32_e32 v3, vcc, v5, v3, vcc
	flat_store_dwordx2 v[2:3], v[0:1]
.LBB1527_16:
	s_endpgm
	.section	.rodata,"a",@progbits
	.p2align	6, 0x0
	.amdhsa_kernel _ZL34rocblas_syrkx_herkx_general_kernelIldLi16ELi32ELi8ELb1ELb0ELc78ELc76EKPKdKPdEviT_T0_PT8_S5_lS8_S5_lS6_PT9_S5_li
		.amdhsa_group_segment_fixed_size 4096
		.amdhsa_private_segment_fixed_size 0
		.amdhsa_kernarg_size 108
		.amdhsa_user_sgpr_count 6
		.amdhsa_user_sgpr_private_segment_buffer 1
		.amdhsa_user_sgpr_dispatch_ptr 0
		.amdhsa_user_sgpr_queue_ptr 0
		.amdhsa_user_sgpr_kernarg_segment_ptr 1
		.amdhsa_user_sgpr_dispatch_id 0
		.amdhsa_user_sgpr_flat_scratch_init 0
		.amdhsa_user_sgpr_private_segment_size 0
		.amdhsa_uses_dynamic_stack 0
		.amdhsa_system_sgpr_private_segment_wavefront_offset 0
		.amdhsa_system_sgpr_workgroup_id_x 1
		.amdhsa_system_sgpr_workgroup_id_y 1
		.amdhsa_system_sgpr_workgroup_id_z 1
		.amdhsa_system_sgpr_workgroup_info 0
		.amdhsa_system_vgpr_workitem_id 1
		.amdhsa_next_free_vgpr 42
		.amdhsa_next_free_sgpr 25
		.amdhsa_reserve_vcc 1
		.amdhsa_reserve_flat_scratch 0
		.amdhsa_float_round_mode_32 0
		.amdhsa_float_round_mode_16_64 0
		.amdhsa_float_denorm_mode_32 3
		.amdhsa_float_denorm_mode_16_64 3
		.amdhsa_dx10_clamp 1
		.amdhsa_ieee_mode 1
		.amdhsa_fp16_overflow 0
		.amdhsa_exception_fp_ieee_invalid_op 0
		.amdhsa_exception_fp_denorm_src 0
		.amdhsa_exception_fp_ieee_div_zero 0
		.amdhsa_exception_fp_ieee_overflow 0
		.amdhsa_exception_fp_ieee_underflow 0
		.amdhsa_exception_fp_ieee_inexact 0
		.amdhsa_exception_int_div_zero 0
	.end_amdhsa_kernel
	.section	.text._ZL34rocblas_syrkx_herkx_general_kernelIldLi16ELi32ELi8ELb1ELb0ELc78ELc76EKPKdKPdEviT_T0_PT8_S5_lS8_S5_lS6_PT9_S5_li,"axG",@progbits,_ZL34rocblas_syrkx_herkx_general_kernelIldLi16ELi32ELi8ELb1ELb0ELc78ELc76EKPKdKPdEviT_T0_PT8_S5_lS8_S5_lS6_PT9_S5_li,comdat
.Lfunc_end1527:
	.size	_ZL34rocblas_syrkx_herkx_general_kernelIldLi16ELi32ELi8ELb1ELb0ELc78ELc76EKPKdKPdEviT_T0_PT8_S5_lS8_S5_lS6_PT9_S5_li, .Lfunc_end1527-_ZL34rocblas_syrkx_herkx_general_kernelIldLi16ELi32ELi8ELb1ELb0ELc78ELc76EKPKdKPdEviT_T0_PT8_S5_lS8_S5_lS6_PT9_S5_li
                                        ; -- End function
	.set _ZL34rocblas_syrkx_herkx_general_kernelIldLi16ELi32ELi8ELb1ELb0ELc78ELc76EKPKdKPdEviT_T0_PT8_S5_lS8_S5_lS6_PT9_S5_li.num_vgpr, 42
	.set _ZL34rocblas_syrkx_herkx_general_kernelIldLi16ELi32ELi8ELb1ELb0ELc78ELc76EKPKdKPdEviT_T0_PT8_S5_lS8_S5_lS6_PT9_S5_li.num_agpr, 0
	.set _ZL34rocblas_syrkx_herkx_general_kernelIldLi16ELi32ELi8ELb1ELb0ELc78ELc76EKPKdKPdEviT_T0_PT8_S5_lS8_S5_lS6_PT9_S5_li.numbered_sgpr, 25
	.set _ZL34rocblas_syrkx_herkx_general_kernelIldLi16ELi32ELi8ELb1ELb0ELc78ELc76EKPKdKPdEviT_T0_PT8_S5_lS8_S5_lS6_PT9_S5_li.num_named_barrier, 0
	.set _ZL34rocblas_syrkx_herkx_general_kernelIldLi16ELi32ELi8ELb1ELb0ELc78ELc76EKPKdKPdEviT_T0_PT8_S5_lS8_S5_lS6_PT9_S5_li.private_seg_size, 0
	.set _ZL34rocblas_syrkx_herkx_general_kernelIldLi16ELi32ELi8ELb1ELb0ELc78ELc76EKPKdKPdEviT_T0_PT8_S5_lS8_S5_lS6_PT9_S5_li.uses_vcc, 1
	.set _ZL34rocblas_syrkx_herkx_general_kernelIldLi16ELi32ELi8ELb1ELb0ELc78ELc76EKPKdKPdEviT_T0_PT8_S5_lS8_S5_lS6_PT9_S5_li.uses_flat_scratch, 0
	.set _ZL34rocblas_syrkx_herkx_general_kernelIldLi16ELi32ELi8ELb1ELb0ELc78ELc76EKPKdKPdEviT_T0_PT8_S5_lS8_S5_lS6_PT9_S5_li.has_dyn_sized_stack, 0
	.set _ZL34rocblas_syrkx_herkx_general_kernelIldLi16ELi32ELi8ELb1ELb0ELc78ELc76EKPKdKPdEviT_T0_PT8_S5_lS8_S5_lS6_PT9_S5_li.has_recursion, 0
	.set _ZL34rocblas_syrkx_herkx_general_kernelIldLi16ELi32ELi8ELb1ELb0ELc78ELc76EKPKdKPdEviT_T0_PT8_S5_lS8_S5_lS6_PT9_S5_li.has_indirect_call, 0
	.section	.AMDGPU.csdata,"",@progbits
; Kernel info:
; codeLenInByte = 1452
; TotalNumSgprs: 29
; NumVgprs: 42
; ScratchSize: 0
; MemoryBound: 0
; FloatMode: 240
; IeeeMode: 1
; LDSByteSize: 4096 bytes/workgroup (compile time only)
; SGPRBlocks: 3
; VGPRBlocks: 10
; NumSGPRsForWavesPerEU: 29
; NumVGPRsForWavesPerEU: 42
; Occupancy: 5
; WaveLimiterHint : 1
; COMPUTE_PGM_RSRC2:SCRATCH_EN: 0
; COMPUTE_PGM_RSRC2:USER_SGPR: 6
; COMPUTE_PGM_RSRC2:TRAP_HANDLER: 0
; COMPUTE_PGM_RSRC2:TGID_X_EN: 1
; COMPUTE_PGM_RSRC2:TGID_Y_EN: 1
; COMPUTE_PGM_RSRC2:TGID_Z_EN: 1
; COMPUTE_PGM_RSRC2:TIDIG_COMP_CNT: 1
	.section	.text._ZL34rocblas_syrkx_herkx_general_kernelIldLi16ELi32ELi8ELb1ELb0ELc84ELc85EKPKdKPdEviT_T0_PT8_S5_lS8_S5_lS6_PT9_S5_li,"axG",@progbits,_ZL34rocblas_syrkx_herkx_general_kernelIldLi16ELi32ELi8ELb1ELb0ELc84ELc85EKPKdKPdEviT_T0_PT8_S5_lS8_S5_lS6_PT9_S5_li,comdat
	.globl	_ZL34rocblas_syrkx_herkx_general_kernelIldLi16ELi32ELi8ELb1ELb0ELc84ELc85EKPKdKPdEviT_T0_PT8_S5_lS8_S5_lS6_PT9_S5_li ; -- Begin function _ZL34rocblas_syrkx_herkx_general_kernelIldLi16ELi32ELi8ELb1ELb0ELc84ELc85EKPKdKPdEviT_T0_PT8_S5_lS8_S5_lS6_PT9_S5_li
	.p2align	8
	.type	_ZL34rocblas_syrkx_herkx_general_kernelIldLi16ELi32ELi8ELb1ELb0ELc84ELc85EKPKdKPdEviT_T0_PT8_S5_lS8_S5_lS6_PT9_S5_li,@function
_ZL34rocblas_syrkx_herkx_general_kernelIldLi16ELi32ELi8ELb1ELb0ELc84ELc85EKPKdKPdEviT_T0_PT8_S5_lS8_S5_lS6_PT9_S5_li: ; @_ZL34rocblas_syrkx_herkx_general_kernelIldLi16ELi32ELi8ELb1ELb0ELc84ELc85EKPKdKPdEviT_T0_PT8_S5_lS8_S5_lS6_PT9_S5_li
; %bb.0:
	s_load_dwordx4 s[20:23], s[4:5], 0x50
	s_load_dword s10, s[4:5], 0x0
	s_load_dwordx8 s[12:19], s[4:5], 0x8
	s_mov_b32 s9, 0
	s_lshl_b64 s[0:1], s[8:9], 3
	s_waitcnt lgkmcnt(0)
	s_add_u32 s2, s20, s0
	s_addc_u32 s3, s21, s1
	s_load_dwordx2 s[8:9], s[2:3], 0x0
	v_cmp_lt_i64_e64 s[2:3], s[12:13], 1
	s_lshl_b32 s11, s6, 5
	s_lshl_b32 s20, s7, 5
	s_and_b64 vcc, exec, s[2:3]
	s_cbranch_vccnz .LBB1528_7
; %bb.1:
	s_load_dwordx4 s[4:7], s[4:5], 0x30
	v_lshl_add_u32 v2, v1, 4, v0
	v_and_b32_e32 v5, 31, v2
	v_or_b32_e32 v6, s11, v5
	v_and_b32_e32 v19, 7, v0
	s_waitcnt lgkmcnt(0)
	s_add_u32 s2, s4, s0
	s_addc_u32 s3, s5, s1
	s_add_u32 s0, s16, s0
	s_addc_u32 s1, s17, s1
	v_lshrrev_b32_e32 v3, 3, v2
	v_lshrrev_b32_e32 v18, 5, v2
	s_load_dwordx2 s[16:17], s[0:1], 0x0
	v_cmp_gt_i32_e64 s[0:1], s10, v6
	v_lshlrev_b32_e32 v2, 3, v5
	v_lshlrev_b32_e32 v6, 3, v19
	v_lshl_or_b32 v20, v18, 8, v2
	v_lshl_or_b32 v2, v3, 6, v6
	v_add_u32_e32 v21, 0x800, v2
	v_add_u32_e32 v2, s11, v5
	;; [unrolled: 1-line block ×3, first 2 shown]
	v_ashrrev_i32_e32 v3, 31, v2
	v_mul_lo_u32 v5, s18, v3
	v_mul_lo_u32 v8, s19, v2
	v_mad_u64_u32 v[2:3], s[18:19], s18, v2, 0
	v_ashrrev_i32_e32 v7, 31, v4
	v_mov_b32_e32 v9, 0x800
	v_add3_u32 v3, v3, v5, v8
	v_lshlrev_b64 v[2:3], 3, v[2:3]
	v_lshlrev_b32_e32 v5, 3, v18
	s_load_dwordx2 s[4:5], s[2:3], 0x0
	v_cmp_gt_i32_e64 s[2:3], s10, v4
	v_lshl_add_u32 v23, v1, 6, v9
	v_add_co_u32_e32 v2, vcc, v2, v5
	v_mul_lo_u32 v7, s6, v7
	v_mul_lo_u32 v9, s7, v4
	v_mad_u64_u32 v[4:5], s[6:7], s6, v4, 0
	v_addc_co_u32_e32 v3, vcc, 0, v3, vcc
	v_add3_u32 v5, v5, v7, v9
	s_waitcnt lgkmcnt(0)
	v_mov_b32_e32 v8, s17
	v_add_co_u32_e32 v2, vcc, s16, v2
	v_lshlrev_b64 v[4:5], 3, v[4:5]
	v_addc_co_u32_e32 v3, vcc, v8, v3, vcc
	v_add_co_u32_e32 v4, vcc, v4, v6
	v_addc_co_u32_e32 v5, vcc, 0, v5, vcc
	v_mov_b32_e32 v7, s5
	v_add_co_u32_e32 v6, vcc, s4, v4
	v_addc_co_u32_e32 v7, vcc, v7, v5, vcc
	v_mov_b32_e32 v4, 0
	v_mov_b32_e32 v10, 0
	v_mov_b32_e32 v12, 0
	v_mov_b32_e32 v14, 0
	v_mov_b32_e32 v8, s12
	v_lshlrev_b32_e32 v22, 3, v0
	s_mov_b64 s[6:7], 0
	v_mov_b32_e32 v5, 0
	v_mov_b32_e32 v11, 0
	;; [unrolled: 1-line block ×5, first 2 shown]
	s_branch .LBB1528_3
.LBB1528_2:                             ;   in Loop: Header=BB1528_3 Depth=1
	s_or_b64 exec, exec, s[4:5]
	s_waitcnt vmcnt(0) lgkmcnt(0)
	ds_write_b64 v21, v[16:17]
	s_waitcnt lgkmcnt(0)
	s_barrier
	ds_read2_b64 v[24:27], v22 offset1:16
	ds_read_b128 v[28:31], v23
	ds_read_b128 v[32:35], v23 offset:1024
	ds_read_b128 v[36:39], v23 offset:16
	s_add_u32 s6, s6, 8
	v_add_co_u32_e32 v2, vcc, 64, v2
	s_waitcnt lgkmcnt(2)
	v_fma_f64 v[16:17], v[24:25], v[28:29], v[14:15]
	v_fma_f64 v[28:29], v[26:27], v[28:29], v[12:13]
	s_waitcnt lgkmcnt(1)
	v_fma_f64 v[10:11], v[24:25], v[32:33], v[10:11]
	v_fma_f64 v[4:5], v[26:27], v[32:33], v[4:5]
	ds_read2_b64 v[24:27], v22 offset0:32 offset1:48
	ds_read_b128 v[12:15], v23 offset:1040
	v_addc_co_u32_e32 v3, vcc, 0, v3, vcc
	s_addc_u32 s7, s7, 0
	s_waitcnt lgkmcnt(1)
	v_fma_f64 v[16:17], v[24:25], v[30:31], v[16:17]
	v_fma_f64 v[28:29], v[26:27], v[30:31], v[28:29]
	;; [unrolled: 1-line block ×4, first 2 shown]
	ds_read2_b64 v[24:27], v22 offset0:64 offset1:80
	v_cmp_ge_i64_e32 vcc, s[6:7], v[8:9]
	v_add_co_u32_e64 v6, s[4:5], 64, v6
	v_addc_co_u32_e64 v7, s[4:5], 0, v7, s[4:5]
	s_waitcnt lgkmcnt(0)
	v_fma_f64 v[16:17], v[24:25], v[36:37], v[16:17]
	v_fma_f64 v[32:33], v[26:27], v[36:37], v[28:29]
	v_fma_f64 v[34:35], v[24:25], v[12:13], v[10:11]
	v_fma_f64 v[4:5], v[26:27], v[12:13], v[4:5]
	ds_read2_b64 v[28:31], v22 offset0:96 offset1:112
	ds_read2_b64 v[10:13], v22 offset0:128 offset1:144
	ds_read_b128 v[24:27], v23 offset:32
	s_and_b64 vcc, exec, vcc
	s_waitcnt lgkmcnt(2)
	v_fma_f64 v[36:37], v[28:29], v[38:39], v[16:17]
	v_fma_f64 v[32:33], v[30:31], v[38:39], v[32:33]
	v_fma_f64 v[38:39], v[28:29], v[14:15], v[34:35]
	v_fma_f64 v[4:5], v[30:31], v[14:15], v[4:5]
	ds_read_b128 v[14:17], v23 offset:1056
	ds_read_b128 v[28:31], v23 offset:48
	s_waitcnt lgkmcnt(2)
	v_fma_f64 v[36:37], v[10:11], v[24:25], v[36:37]
	v_fma_f64 v[24:25], v[12:13], v[24:25], v[32:33]
	s_waitcnt lgkmcnt(1)
	v_fma_f64 v[38:39], v[10:11], v[14:15], v[38:39]
	v_fma_f64 v[4:5], v[12:13], v[14:15], v[4:5]
	ds_read2_b64 v[10:13], v22 offset0:160 offset1:176
	ds_read_b128 v[32:35], v23 offset:1072
	s_waitcnt lgkmcnt(1)
	v_fma_f64 v[14:15], v[10:11], v[26:27], v[36:37]
	v_fma_f64 v[36:37], v[12:13], v[26:27], v[24:25]
	;; [unrolled: 1-line block ×4, first 2 shown]
	ds_read2_b64 v[10:13], v22 offset0:192 offset1:208
	ds_read2_b64 v[24:27], v22 offset0:224 offset1:240
	s_waitcnt lgkmcnt(0)
	s_barrier
	v_fma_f64 v[14:15], v[10:11], v[28:29], v[14:15]
	v_fma_f64 v[16:17], v[12:13], v[28:29], v[36:37]
	;; [unrolled: 1-line block ×8, first 2 shown]
	s_cbranch_vccnz .LBB1528_8
.LBB1528_3:                             ; =>This Inner Loop Header: Depth=1
	v_mov_b32_e32 v17, s7
	v_add_co_u32_e32 v16, vcc, s6, v18
	v_addc_co_u32_e32 v17, vcc, 0, v17, vcc
	v_cmp_gt_i64_e32 vcc, s[12:13], v[16:17]
	v_mov_b32_e32 v16, 0
	v_mov_b32_e32 v17, 0
	s_and_b64 s[16:17], s[0:1], vcc
	s_and_saveexec_b64 s[4:5], s[16:17]
	s_cbranch_execz .LBB1528_5
; %bb.4:                                ;   in Loop: Header=BB1528_3 Depth=1
	flat_load_dwordx2 v[16:17], v[2:3]
.LBB1528_5:                             ;   in Loop: Header=BB1528_3 Depth=1
	s_or_b64 exec, exec, s[4:5]
	s_waitcnt vmcnt(0) lgkmcnt(0)
	ds_write_b64 v20, v[16:17]
	v_mov_b32_e32 v17, s7
	v_add_co_u32_e32 v16, vcc, s6, v19
	v_addc_co_u32_e32 v17, vcc, 0, v17, vcc
	v_cmp_gt_i64_e32 vcc, s[12:13], v[16:17]
	v_mov_b32_e32 v16, 0
	v_mov_b32_e32 v17, 0
	s_and_b64 s[16:17], vcc, s[2:3]
	s_and_saveexec_b64 s[4:5], s[16:17]
	s_cbranch_execz .LBB1528_2
; %bb.6:                                ;   in Loop: Header=BB1528_3 Depth=1
	flat_load_dwordx2 v[16:17], v[6:7]
	s_branch .LBB1528_2
.LBB1528_7:
	v_mov_b32_e32 v14, 0
	v_mov_b32_e32 v12, 0
	;; [unrolled: 1-line block ×8, first 2 shown]
.LBB1528_8:
	v_add_u32_e32 v6, s20, v1
	v_ashrrev_i32_e32 v1, 31, v6
	v_mul_lo_u32 v3, s22, v1
	v_mul_lo_u32 v7, s23, v6
	v_mad_u64_u32 v[1:2], s[0:1], s22, v6, 0
	v_add_u32_e32 v0, s11, v0
	v_cmp_gt_i32_e32 vcc, s10, v6
	v_add3_u32 v2, v2, v3, v7
	v_lshlrev_b64 v[1:2], 3, v[1:2]
	s_waitcnt lgkmcnt(0)
	v_mov_b32_e32 v3, s9
	v_add_co_u32_e64 v7, s[0:1], s8, v1
	v_addc_co_u32_e64 v8, s[0:1], v3, v2, s[0:1]
	v_cmp_le_i32_e64 s[0:1], v0, v6
	s_and_b64 s[0:1], vcc, s[0:1]
	s_and_saveexec_b64 s[2:3], s[0:1]
	s_cbranch_execz .LBB1528_10
; %bb.9:
	v_mul_f64 v[2:3], s[14:15], v[14:15]
	v_ashrrev_i32_e32 v1, 31, v0
	v_lshlrev_b64 v[14:15], 3, v[0:1]
	v_add_co_u32_e64 v14, s[0:1], v7, v14
	v_addc_co_u32_e64 v15, s[0:1], v8, v15, s[0:1]
	flat_store_dwordx2 v[14:15], v[2:3]
.LBB1528_10:
	s_or_b64 exec, exec, s[2:3]
	v_add_u32_e32 v2, 16, v0
	v_cmp_le_i32_e64 s[0:1], v2, v6
	s_and_b64 s[2:3], vcc, s[0:1]
	s_and_saveexec_b64 s[0:1], s[2:3]
	s_cbranch_execz .LBB1528_12
; %bb.11:
	v_mul_f64 v[12:13], s[14:15], v[12:13]
	v_ashrrev_i32_e32 v3, 31, v2
	v_lshlrev_b64 v[14:15], 3, v[2:3]
	v_add_co_u32_e32 v7, vcc, v7, v14
	v_addc_co_u32_e32 v8, vcc, v8, v15, vcc
	flat_store_dwordx2 v[7:8], v[12:13]
.LBB1528_12:
	s_or_b64 exec, exec, s[0:1]
	v_add_u32_e32 v3, 16, v6
	v_ashrrev_i32_e32 v1, 31, v3
	v_mul_lo_u32 v1, s22, v1
	v_mul_lo_u32 v8, s23, v3
	v_mad_u64_u32 v[6:7], s[0:1], s22, v3, 0
	v_cmp_gt_i32_e32 vcc, s10, v3
	v_add3_u32 v7, v7, v1, v8
	v_lshlrev_b64 v[6:7], 3, v[6:7]
	v_mov_b32_e32 v1, s9
	v_add_co_u32_e64 v6, s[0:1], s8, v6
	v_addc_co_u32_e64 v7, s[0:1], v1, v7, s[0:1]
	v_cmp_le_i32_e64 s[0:1], v0, v3
	s_and_b64 s[0:1], vcc, s[0:1]
	s_and_saveexec_b64 s[2:3], s[0:1]
	s_cbranch_execz .LBB1528_14
; %bb.13:
	v_mul_f64 v[8:9], s[14:15], v[10:11]
	v_ashrrev_i32_e32 v1, 31, v0
	v_lshlrev_b64 v[0:1], 3, v[0:1]
	v_add_co_u32_e64 v0, s[0:1], v6, v0
	v_addc_co_u32_e64 v1, s[0:1], v7, v1, s[0:1]
	flat_store_dwordx2 v[0:1], v[8:9]
.LBB1528_14:
	s_or_b64 exec, exec, s[2:3]
	v_cmp_le_i32_e64 s[0:1], v2, v3
	s_and_b64 s[0:1], vcc, s[0:1]
	s_and_saveexec_b64 s[2:3], s[0:1]
	s_cbranch_execz .LBB1528_16
; %bb.15:
	v_mul_f64 v[0:1], s[14:15], v[4:5]
	v_ashrrev_i32_e32 v3, 31, v2
	v_lshlrev_b64 v[2:3], 3, v[2:3]
	v_add_co_u32_e32 v2, vcc, v6, v2
	v_addc_co_u32_e32 v3, vcc, v7, v3, vcc
	flat_store_dwordx2 v[2:3], v[0:1]
.LBB1528_16:
	s_endpgm
	.section	.rodata,"a",@progbits
	.p2align	6, 0x0
	.amdhsa_kernel _ZL34rocblas_syrkx_herkx_general_kernelIldLi16ELi32ELi8ELb1ELb0ELc84ELc85EKPKdKPdEviT_T0_PT8_S5_lS8_S5_lS6_PT9_S5_li
		.amdhsa_group_segment_fixed_size 4096
		.amdhsa_private_segment_fixed_size 0
		.amdhsa_kernarg_size 108
		.amdhsa_user_sgpr_count 6
		.amdhsa_user_sgpr_private_segment_buffer 1
		.amdhsa_user_sgpr_dispatch_ptr 0
		.amdhsa_user_sgpr_queue_ptr 0
		.amdhsa_user_sgpr_kernarg_segment_ptr 1
		.amdhsa_user_sgpr_dispatch_id 0
		.amdhsa_user_sgpr_flat_scratch_init 0
		.amdhsa_user_sgpr_private_segment_size 0
		.amdhsa_uses_dynamic_stack 0
		.amdhsa_system_sgpr_private_segment_wavefront_offset 0
		.amdhsa_system_sgpr_workgroup_id_x 1
		.amdhsa_system_sgpr_workgroup_id_y 1
		.amdhsa_system_sgpr_workgroup_id_z 1
		.amdhsa_system_sgpr_workgroup_info 0
		.amdhsa_system_vgpr_workitem_id 1
		.amdhsa_next_free_vgpr 40
		.amdhsa_next_free_sgpr 24
		.amdhsa_reserve_vcc 1
		.amdhsa_reserve_flat_scratch 0
		.amdhsa_float_round_mode_32 0
		.amdhsa_float_round_mode_16_64 0
		.amdhsa_float_denorm_mode_32 3
		.amdhsa_float_denorm_mode_16_64 3
		.amdhsa_dx10_clamp 1
		.amdhsa_ieee_mode 1
		.amdhsa_fp16_overflow 0
		.amdhsa_exception_fp_ieee_invalid_op 0
		.amdhsa_exception_fp_denorm_src 0
		.amdhsa_exception_fp_ieee_div_zero 0
		.amdhsa_exception_fp_ieee_overflow 0
		.amdhsa_exception_fp_ieee_underflow 0
		.amdhsa_exception_fp_ieee_inexact 0
		.amdhsa_exception_int_div_zero 0
	.end_amdhsa_kernel
	.section	.text._ZL34rocblas_syrkx_herkx_general_kernelIldLi16ELi32ELi8ELb1ELb0ELc84ELc85EKPKdKPdEviT_T0_PT8_S5_lS8_S5_lS6_PT9_S5_li,"axG",@progbits,_ZL34rocblas_syrkx_herkx_general_kernelIldLi16ELi32ELi8ELb1ELb0ELc84ELc85EKPKdKPdEviT_T0_PT8_S5_lS8_S5_lS6_PT9_S5_li,comdat
.Lfunc_end1528:
	.size	_ZL34rocblas_syrkx_herkx_general_kernelIldLi16ELi32ELi8ELb1ELb0ELc84ELc85EKPKdKPdEviT_T0_PT8_S5_lS8_S5_lS6_PT9_S5_li, .Lfunc_end1528-_ZL34rocblas_syrkx_herkx_general_kernelIldLi16ELi32ELi8ELb1ELb0ELc84ELc85EKPKdKPdEviT_T0_PT8_S5_lS8_S5_lS6_PT9_S5_li
                                        ; -- End function
	.set _ZL34rocblas_syrkx_herkx_general_kernelIldLi16ELi32ELi8ELb1ELb0ELc84ELc85EKPKdKPdEviT_T0_PT8_S5_lS8_S5_lS6_PT9_S5_li.num_vgpr, 40
	.set _ZL34rocblas_syrkx_herkx_general_kernelIldLi16ELi32ELi8ELb1ELb0ELc84ELc85EKPKdKPdEviT_T0_PT8_S5_lS8_S5_lS6_PT9_S5_li.num_agpr, 0
	.set _ZL34rocblas_syrkx_herkx_general_kernelIldLi16ELi32ELi8ELb1ELb0ELc84ELc85EKPKdKPdEviT_T0_PT8_S5_lS8_S5_lS6_PT9_S5_li.numbered_sgpr, 24
	.set _ZL34rocblas_syrkx_herkx_general_kernelIldLi16ELi32ELi8ELb1ELb0ELc84ELc85EKPKdKPdEviT_T0_PT8_S5_lS8_S5_lS6_PT9_S5_li.num_named_barrier, 0
	.set _ZL34rocblas_syrkx_herkx_general_kernelIldLi16ELi32ELi8ELb1ELb0ELc84ELc85EKPKdKPdEviT_T0_PT8_S5_lS8_S5_lS6_PT9_S5_li.private_seg_size, 0
	.set _ZL34rocblas_syrkx_herkx_general_kernelIldLi16ELi32ELi8ELb1ELb0ELc84ELc85EKPKdKPdEviT_T0_PT8_S5_lS8_S5_lS6_PT9_S5_li.uses_vcc, 1
	.set _ZL34rocblas_syrkx_herkx_general_kernelIldLi16ELi32ELi8ELb1ELb0ELc84ELc85EKPKdKPdEviT_T0_PT8_S5_lS8_S5_lS6_PT9_S5_li.uses_flat_scratch, 0
	.set _ZL34rocblas_syrkx_herkx_general_kernelIldLi16ELi32ELi8ELb1ELb0ELc84ELc85EKPKdKPdEviT_T0_PT8_S5_lS8_S5_lS6_PT9_S5_li.has_dyn_sized_stack, 0
	.set _ZL34rocblas_syrkx_herkx_general_kernelIldLi16ELi32ELi8ELb1ELb0ELc84ELc85EKPKdKPdEviT_T0_PT8_S5_lS8_S5_lS6_PT9_S5_li.has_recursion, 0
	.set _ZL34rocblas_syrkx_herkx_general_kernelIldLi16ELi32ELi8ELb1ELb0ELc84ELc85EKPKdKPdEviT_T0_PT8_S5_lS8_S5_lS6_PT9_S5_li.has_indirect_call, 0
	.section	.AMDGPU.csdata,"",@progbits
; Kernel info:
; codeLenInByte = 1452
; TotalNumSgprs: 28
; NumVgprs: 40
; ScratchSize: 0
; MemoryBound: 0
; FloatMode: 240
; IeeeMode: 1
; LDSByteSize: 4096 bytes/workgroup (compile time only)
; SGPRBlocks: 3
; VGPRBlocks: 9
; NumSGPRsForWavesPerEU: 28
; NumVGPRsForWavesPerEU: 40
; Occupancy: 6
; WaveLimiterHint : 1
; COMPUTE_PGM_RSRC2:SCRATCH_EN: 0
; COMPUTE_PGM_RSRC2:USER_SGPR: 6
; COMPUTE_PGM_RSRC2:TRAP_HANDLER: 0
; COMPUTE_PGM_RSRC2:TGID_X_EN: 1
; COMPUTE_PGM_RSRC2:TGID_Y_EN: 1
; COMPUTE_PGM_RSRC2:TGID_Z_EN: 1
; COMPUTE_PGM_RSRC2:TIDIG_COMP_CNT: 1
	.section	.text._ZL34rocblas_syrkx_herkx_general_kernelIldLi16ELi32ELi8ELb1ELb0ELc67ELc85EKPKdKPdEviT_T0_PT8_S5_lS8_S5_lS6_PT9_S5_li,"axG",@progbits,_ZL34rocblas_syrkx_herkx_general_kernelIldLi16ELi32ELi8ELb1ELb0ELc67ELc85EKPKdKPdEviT_T0_PT8_S5_lS8_S5_lS6_PT9_S5_li,comdat
	.globl	_ZL34rocblas_syrkx_herkx_general_kernelIldLi16ELi32ELi8ELb1ELb0ELc67ELc85EKPKdKPdEviT_T0_PT8_S5_lS8_S5_lS6_PT9_S5_li ; -- Begin function _ZL34rocblas_syrkx_herkx_general_kernelIldLi16ELi32ELi8ELb1ELb0ELc67ELc85EKPKdKPdEviT_T0_PT8_S5_lS8_S5_lS6_PT9_S5_li
	.p2align	8
	.type	_ZL34rocblas_syrkx_herkx_general_kernelIldLi16ELi32ELi8ELb1ELb0ELc67ELc85EKPKdKPdEviT_T0_PT8_S5_lS8_S5_lS6_PT9_S5_li,@function
_ZL34rocblas_syrkx_herkx_general_kernelIldLi16ELi32ELi8ELb1ELb0ELc67ELc85EKPKdKPdEviT_T0_PT8_S5_lS8_S5_lS6_PT9_S5_li: ; @_ZL34rocblas_syrkx_herkx_general_kernelIldLi16ELi32ELi8ELb1ELb0ELc67ELc85EKPKdKPdEviT_T0_PT8_S5_lS8_S5_lS6_PT9_S5_li
; %bb.0:
	s_load_dwordx4 s[20:23], s[4:5], 0x50
	s_load_dword s10, s[4:5], 0x0
	s_load_dwordx8 s[12:19], s[4:5], 0x8
	s_mov_b32 s9, 0
	s_lshl_b64 s[0:1], s[8:9], 3
	s_waitcnt lgkmcnt(0)
	s_add_u32 s2, s20, s0
	s_addc_u32 s3, s21, s1
	s_load_dwordx2 s[8:9], s[2:3], 0x0
	v_cmp_lt_i64_e64 s[2:3], s[12:13], 1
	s_lshl_b32 s11, s6, 5
	s_lshl_b32 s20, s7, 5
	s_and_b64 vcc, exec, s[2:3]
	s_cbranch_vccnz .LBB1529_7
; %bb.1:
	s_load_dwordx4 s[4:7], s[4:5], 0x30
	v_lshl_add_u32 v2, v1, 4, v0
	v_and_b32_e32 v5, 31, v2
	v_or_b32_e32 v6, s11, v5
	v_and_b32_e32 v19, 7, v0
	s_waitcnt lgkmcnt(0)
	s_add_u32 s2, s4, s0
	s_addc_u32 s3, s5, s1
	s_add_u32 s0, s16, s0
	s_addc_u32 s1, s17, s1
	v_lshrrev_b32_e32 v3, 3, v2
	v_lshrrev_b32_e32 v18, 5, v2
	s_load_dwordx2 s[16:17], s[0:1], 0x0
	v_cmp_gt_i32_e64 s[0:1], s10, v6
	v_lshlrev_b32_e32 v2, 3, v5
	v_lshlrev_b32_e32 v6, 3, v19
	v_lshl_or_b32 v20, v18, 8, v2
	v_lshl_or_b32 v2, v3, 6, v6
	v_add_u32_e32 v21, 0x800, v2
	v_add_u32_e32 v2, s11, v5
	v_add_u32_e32 v4, s20, v3
	v_ashrrev_i32_e32 v3, 31, v2
	v_mul_lo_u32 v5, s18, v3
	v_mul_lo_u32 v8, s19, v2
	v_mad_u64_u32 v[2:3], s[18:19], s18, v2, 0
	v_ashrrev_i32_e32 v7, 31, v4
	v_mov_b32_e32 v9, 0x800
	v_add3_u32 v3, v3, v5, v8
	v_lshlrev_b64 v[2:3], 3, v[2:3]
	v_lshlrev_b32_e32 v5, 3, v18
	s_load_dwordx2 s[4:5], s[2:3], 0x0
	v_cmp_gt_i32_e64 s[2:3], s10, v4
	v_lshl_add_u32 v23, v1, 6, v9
	v_add_co_u32_e32 v2, vcc, v2, v5
	v_mul_lo_u32 v7, s6, v7
	v_mul_lo_u32 v9, s7, v4
	v_mad_u64_u32 v[4:5], s[6:7], s6, v4, 0
	v_addc_co_u32_e32 v3, vcc, 0, v3, vcc
	v_add3_u32 v5, v5, v7, v9
	s_waitcnt lgkmcnt(0)
	v_mov_b32_e32 v8, s17
	v_add_co_u32_e32 v2, vcc, s16, v2
	v_lshlrev_b64 v[4:5], 3, v[4:5]
	v_addc_co_u32_e32 v3, vcc, v8, v3, vcc
	v_add_co_u32_e32 v4, vcc, v4, v6
	v_addc_co_u32_e32 v5, vcc, 0, v5, vcc
	v_mov_b32_e32 v7, s5
	v_add_co_u32_e32 v6, vcc, s4, v4
	v_addc_co_u32_e32 v7, vcc, v7, v5, vcc
	v_mov_b32_e32 v4, 0
	v_mov_b32_e32 v10, 0
	;; [unrolled: 1-line block ×5, first 2 shown]
	v_lshlrev_b32_e32 v22, 3, v0
	s_mov_b64 s[6:7], 0
	v_mov_b32_e32 v5, 0
	v_mov_b32_e32 v11, 0
	;; [unrolled: 1-line block ×5, first 2 shown]
	s_branch .LBB1529_3
.LBB1529_2:                             ;   in Loop: Header=BB1529_3 Depth=1
	s_or_b64 exec, exec, s[4:5]
	s_waitcnt vmcnt(0) lgkmcnt(0)
	ds_write_b64 v21, v[16:17]
	s_waitcnt lgkmcnt(0)
	s_barrier
	ds_read2_b64 v[24:27], v22 offset1:16
	ds_read_b128 v[28:31], v23
	ds_read_b128 v[32:35], v23 offset:1024
	ds_read_b128 v[36:39], v23 offset:16
	s_add_u32 s6, s6, 8
	v_add_co_u32_e32 v2, vcc, 64, v2
	s_waitcnt lgkmcnt(2)
	v_fma_f64 v[16:17], v[24:25], v[28:29], v[14:15]
	v_fma_f64 v[28:29], v[26:27], v[28:29], v[12:13]
	s_waitcnt lgkmcnt(1)
	v_fma_f64 v[10:11], v[24:25], v[32:33], v[10:11]
	v_fma_f64 v[4:5], v[26:27], v[32:33], v[4:5]
	ds_read2_b64 v[24:27], v22 offset0:32 offset1:48
	ds_read_b128 v[12:15], v23 offset:1040
	v_addc_co_u32_e32 v3, vcc, 0, v3, vcc
	s_addc_u32 s7, s7, 0
	s_waitcnt lgkmcnt(1)
	v_fma_f64 v[16:17], v[24:25], v[30:31], v[16:17]
	v_fma_f64 v[28:29], v[26:27], v[30:31], v[28:29]
	;; [unrolled: 1-line block ×4, first 2 shown]
	ds_read2_b64 v[24:27], v22 offset0:64 offset1:80
	v_cmp_ge_i64_e32 vcc, s[6:7], v[8:9]
	v_add_co_u32_e64 v6, s[4:5], 64, v6
	v_addc_co_u32_e64 v7, s[4:5], 0, v7, s[4:5]
	s_waitcnt lgkmcnt(0)
	v_fma_f64 v[16:17], v[24:25], v[36:37], v[16:17]
	v_fma_f64 v[32:33], v[26:27], v[36:37], v[28:29]
	;; [unrolled: 1-line block ×4, first 2 shown]
	ds_read2_b64 v[28:31], v22 offset0:96 offset1:112
	ds_read2_b64 v[10:13], v22 offset0:128 offset1:144
	ds_read_b128 v[24:27], v23 offset:32
	s_and_b64 vcc, exec, vcc
	s_waitcnt lgkmcnt(2)
	v_fma_f64 v[36:37], v[28:29], v[38:39], v[16:17]
	v_fma_f64 v[32:33], v[30:31], v[38:39], v[32:33]
	v_fma_f64 v[38:39], v[28:29], v[14:15], v[34:35]
	v_fma_f64 v[4:5], v[30:31], v[14:15], v[4:5]
	ds_read_b128 v[14:17], v23 offset:1056
	ds_read_b128 v[28:31], v23 offset:48
	s_waitcnt lgkmcnt(2)
	v_fma_f64 v[36:37], v[10:11], v[24:25], v[36:37]
	v_fma_f64 v[24:25], v[12:13], v[24:25], v[32:33]
	s_waitcnt lgkmcnt(1)
	v_fma_f64 v[38:39], v[10:11], v[14:15], v[38:39]
	v_fma_f64 v[4:5], v[12:13], v[14:15], v[4:5]
	ds_read2_b64 v[10:13], v22 offset0:160 offset1:176
	ds_read_b128 v[32:35], v23 offset:1072
	s_waitcnt lgkmcnt(1)
	v_fma_f64 v[14:15], v[10:11], v[26:27], v[36:37]
	v_fma_f64 v[36:37], v[12:13], v[26:27], v[24:25]
	;; [unrolled: 1-line block ×4, first 2 shown]
	ds_read2_b64 v[10:13], v22 offset0:192 offset1:208
	ds_read2_b64 v[24:27], v22 offset0:224 offset1:240
	s_waitcnt lgkmcnt(0)
	s_barrier
	v_fma_f64 v[14:15], v[10:11], v[28:29], v[14:15]
	v_fma_f64 v[16:17], v[12:13], v[28:29], v[36:37]
	;; [unrolled: 1-line block ×8, first 2 shown]
	s_cbranch_vccnz .LBB1529_8
.LBB1529_3:                             ; =>This Inner Loop Header: Depth=1
	v_mov_b32_e32 v17, s7
	v_add_co_u32_e32 v16, vcc, s6, v18
	v_addc_co_u32_e32 v17, vcc, 0, v17, vcc
	v_cmp_gt_i64_e32 vcc, s[12:13], v[16:17]
	v_mov_b32_e32 v16, 0
	v_mov_b32_e32 v17, 0
	s_and_b64 s[16:17], s[0:1], vcc
	s_and_saveexec_b64 s[4:5], s[16:17]
	s_cbranch_execz .LBB1529_5
; %bb.4:                                ;   in Loop: Header=BB1529_3 Depth=1
	flat_load_dwordx2 v[16:17], v[2:3]
.LBB1529_5:                             ;   in Loop: Header=BB1529_3 Depth=1
	s_or_b64 exec, exec, s[4:5]
	s_waitcnt vmcnt(0) lgkmcnt(0)
	ds_write_b64 v20, v[16:17]
	v_mov_b32_e32 v17, s7
	v_add_co_u32_e32 v16, vcc, s6, v19
	v_addc_co_u32_e32 v17, vcc, 0, v17, vcc
	v_cmp_gt_i64_e32 vcc, s[12:13], v[16:17]
	v_mov_b32_e32 v16, 0
	v_mov_b32_e32 v17, 0
	s_and_b64 s[16:17], vcc, s[2:3]
	s_and_saveexec_b64 s[4:5], s[16:17]
	s_cbranch_execz .LBB1529_2
; %bb.6:                                ;   in Loop: Header=BB1529_3 Depth=1
	flat_load_dwordx2 v[16:17], v[6:7]
	s_branch .LBB1529_2
.LBB1529_7:
	v_mov_b32_e32 v14, 0
	v_mov_b32_e32 v12, 0
	;; [unrolled: 1-line block ×8, first 2 shown]
.LBB1529_8:
	v_add_u32_e32 v6, s20, v1
	v_ashrrev_i32_e32 v1, 31, v6
	v_mul_lo_u32 v3, s22, v1
	v_mul_lo_u32 v7, s23, v6
	v_mad_u64_u32 v[1:2], s[0:1], s22, v6, 0
	v_add_u32_e32 v0, s11, v0
	v_cmp_gt_i32_e32 vcc, s10, v6
	v_add3_u32 v2, v2, v3, v7
	v_lshlrev_b64 v[1:2], 3, v[1:2]
	s_waitcnt lgkmcnt(0)
	v_mov_b32_e32 v3, s9
	v_add_co_u32_e64 v7, s[0:1], s8, v1
	v_addc_co_u32_e64 v8, s[0:1], v3, v2, s[0:1]
	v_cmp_le_i32_e64 s[0:1], v0, v6
	s_and_b64 s[0:1], vcc, s[0:1]
	s_and_saveexec_b64 s[2:3], s[0:1]
	s_cbranch_execz .LBB1529_10
; %bb.9:
	v_mul_f64 v[2:3], s[14:15], v[14:15]
	v_ashrrev_i32_e32 v1, 31, v0
	v_lshlrev_b64 v[14:15], 3, v[0:1]
	v_add_co_u32_e64 v14, s[0:1], v7, v14
	v_addc_co_u32_e64 v15, s[0:1], v8, v15, s[0:1]
	flat_store_dwordx2 v[14:15], v[2:3]
.LBB1529_10:
	s_or_b64 exec, exec, s[2:3]
	v_add_u32_e32 v2, 16, v0
	v_cmp_le_i32_e64 s[0:1], v2, v6
	s_and_b64 s[2:3], vcc, s[0:1]
	s_and_saveexec_b64 s[0:1], s[2:3]
	s_cbranch_execz .LBB1529_12
; %bb.11:
	v_mul_f64 v[12:13], s[14:15], v[12:13]
	v_ashrrev_i32_e32 v3, 31, v2
	v_lshlrev_b64 v[14:15], 3, v[2:3]
	v_add_co_u32_e32 v7, vcc, v7, v14
	v_addc_co_u32_e32 v8, vcc, v8, v15, vcc
	flat_store_dwordx2 v[7:8], v[12:13]
.LBB1529_12:
	s_or_b64 exec, exec, s[0:1]
	v_add_u32_e32 v3, 16, v6
	v_ashrrev_i32_e32 v1, 31, v3
	v_mul_lo_u32 v1, s22, v1
	v_mul_lo_u32 v8, s23, v3
	v_mad_u64_u32 v[6:7], s[0:1], s22, v3, 0
	v_cmp_gt_i32_e32 vcc, s10, v3
	v_add3_u32 v7, v7, v1, v8
	v_lshlrev_b64 v[6:7], 3, v[6:7]
	v_mov_b32_e32 v1, s9
	v_add_co_u32_e64 v6, s[0:1], s8, v6
	v_addc_co_u32_e64 v7, s[0:1], v1, v7, s[0:1]
	v_cmp_le_i32_e64 s[0:1], v0, v3
	s_and_b64 s[0:1], vcc, s[0:1]
	s_and_saveexec_b64 s[2:3], s[0:1]
	s_cbranch_execz .LBB1529_14
; %bb.13:
	v_mul_f64 v[8:9], s[14:15], v[10:11]
	v_ashrrev_i32_e32 v1, 31, v0
	v_lshlrev_b64 v[0:1], 3, v[0:1]
	v_add_co_u32_e64 v0, s[0:1], v6, v0
	v_addc_co_u32_e64 v1, s[0:1], v7, v1, s[0:1]
	flat_store_dwordx2 v[0:1], v[8:9]
.LBB1529_14:
	s_or_b64 exec, exec, s[2:3]
	v_cmp_le_i32_e64 s[0:1], v2, v3
	s_and_b64 s[0:1], vcc, s[0:1]
	s_and_saveexec_b64 s[2:3], s[0:1]
	s_cbranch_execz .LBB1529_16
; %bb.15:
	v_mul_f64 v[0:1], s[14:15], v[4:5]
	v_ashrrev_i32_e32 v3, 31, v2
	v_lshlrev_b64 v[2:3], 3, v[2:3]
	v_add_co_u32_e32 v2, vcc, v6, v2
	v_addc_co_u32_e32 v3, vcc, v7, v3, vcc
	flat_store_dwordx2 v[2:3], v[0:1]
.LBB1529_16:
	s_endpgm
	.section	.rodata,"a",@progbits
	.p2align	6, 0x0
	.amdhsa_kernel _ZL34rocblas_syrkx_herkx_general_kernelIldLi16ELi32ELi8ELb1ELb0ELc67ELc85EKPKdKPdEviT_T0_PT8_S5_lS8_S5_lS6_PT9_S5_li
		.amdhsa_group_segment_fixed_size 4096
		.amdhsa_private_segment_fixed_size 0
		.amdhsa_kernarg_size 108
		.amdhsa_user_sgpr_count 6
		.amdhsa_user_sgpr_private_segment_buffer 1
		.amdhsa_user_sgpr_dispatch_ptr 0
		.amdhsa_user_sgpr_queue_ptr 0
		.amdhsa_user_sgpr_kernarg_segment_ptr 1
		.amdhsa_user_sgpr_dispatch_id 0
		.amdhsa_user_sgpr_flat_scratch_init 0
		.amdhsa_user_sgpr_private_segment_size 0
		.amdhsa_uses_dynamic_stack 0
		.amdhsa_system_sgpr_private_segment_wavefront_offset 0
		.amdhsa_system_sgpr_workgroup_id_x 1
		.amdhsa_system_sgpr_workgroup_id_y 1
		.amdhsa_system_sgpr_workgroup_id_z 1
		.amdhsa_system_sgpr_workgroup_info 0
		.amdhsa_system_vgpr_workitem_id 1
		.amdhsa_next_free_vgpr 40
		.amdhsa_next_free_sgpr 24
		.amdhsa_reserve_vcc 1
		.amdhsa_reserve_flat_scratch 0
		.amdhsa_float_round_mode_32 0
		.amdhsa_float_round_mode_16_64 0
		.amdhsa_float_denorm_mode_32 3
		.amdhsa_float_denorm_mode_16_64 3
		.amdhsa_dx10_clamp 1
		.amdhsa_ieee_mode 1
		.amdhsa_fp16_overflow 0
		.amdhsa_exception_fp_ieee_invalid_op 0
		.amdhsa_exception_fp_denorm_src 0
		.amdhsa_exception_fp_ieee_div_zero 0
		.amdhsa_exception_fp_ieee_overflow 0
		.amdhsa_exception_fp_ieee_underflow 0
		.amdhsa_exception_fp_ieee_inexact 0
		.amdhsa_exception_int_div_zero 0
	.end_amdhsa_kernel
	.section	.text._ZL34rocblas_syrkx_herkx_general_kernelIldLi16ELi32ELi8ELb1ELb0ELc67ELc85EKPKdKPdEviT_T0_PT8_S5_lS8_S5_lS6_PT9_S5_li,"axG",@progbits,_ZL34rocblas_syrkx_herkx_general_kernelIldLi16ELi32ELi8ELb1ELb0ELc67ELc85EKPKdKPdEviT_T0_PT8_S5_lS8_S5_lS6_PT9_S5_li,comdat
.Lfunc_end1529:
	.size	_ZL34rocblas_syrkx_herkx_general_kernelIldLi16ELi32ELi8ELb1ELb0ELc67ELc85EKPKdKPdEviT_T0_PT8_S5_lS8_S5_lS6_PT9_S5_li, .Lfunc_end1529-_ZL34rocblas_syrkx_herkx_general_kernelIldLi16ELi32ELi8ELb1ELb0ELc67ELc85EKPKdKPdEviT_T0_PT8_S5_lS8_S5_lS6_PT9_S5_li
                                        ; -- End function
	.set _ZL34rocblas_syrkx_herkx_general_kernelIldLi16ELi32ELi8ELb1ELb0ELc67ELc85EKPKdKPdEviT_T0_PT8_S5_lS8_S5_lS6_PT9_S5_li.num_vgpr, 40
	.set _ZL34rocblas_syrkx_herkx_general_kernelIldLi16ELi32ELi8ELb1ELb0ELc67ELc85EKPKdKPdEviT_T0_PT8_S5_lS8_S5_lS6_PT9_S5_li.num_agpr, 0
	.set _ZL34rocblas_syrkx_herkx_general_kernelIldLi16ELi32ELi8ELb1ELb0ELc67ELc85EKPKdKPdEviT_T0_PT8_S5_lS8_S5_lS6_PT9_S5_li.numbered_sgpr, 24
	.set _ZL34rocblas_syrkx_herkx_general_kernelIldLi16ELi32ELi8ELb1ELb0ELc67ELc85EKPKdKPdEviT_T0_PT8_S5_lS8_S5_lS6_PT9_S5_li.num_named_barrier, 0
	.set _ZL34rocblas_syrkx_herkx_general_kernelIldLi16ELi32ELi8ELb1ELb0ELc67ELc85EKPKdKPdEviT_T0_PT8_S5_lS8_S5_lS6_PT9_S5_li.private_seg_size, 0
	.set _ZL34rocblas_syrkx_herkx_general_kernelIldLi16ELi32ELi8ELb1ELb0ELc67ELc85EKPKdKPdEviT_T0_PT8_S5_lS8_S5_lS6_PT9_S5_li.uses_vcc, 1
	.set _ZL34rocblas_syrkx_herkx_general_kernelIldLi16ELi32ELi8ELb1ELb0ELc67ELc85EKPKdKPdEviT_T0_PT8_S5_lS8_S5_lS6_PT9_S5_li.uses_flat_scratch, 0
	.set _ZL34rocblas_syrkx_herkx_general_kernelIldLi16ELi32ELi8ELb1ELb0ELc67ELc85EKPKdKPdEviT_T0_PT8_S5_lS8_S5_lS6_PT9_S5_li.has_dyn_sized_stack, 0
	.set _ZL34rocblas_syrkx_herkx_general_kernelIldLi16ELi32ELi8ELb1ELb0ELc67ELc85EKPKdKPdEviT_T0_PT8_S5_lS8_S5_lS6_PT9_S5_li.has_recursion, 0
	.set _ZL34rocblas_syrkx_herkx_general_kernelIldLi16ELi32ELi8ELb1ELb0ELc67ELc85EKPKdKPdEviT_T0_PT8_S5_lS8_S5_lS6_PT9_S5_li.has_indirect_call, 0
	.section	.AMDGPU.csdata,"",@progbits
; Kernel info:
; codeLenInByte = 1452
; TotalNumSgprs: 28
; NumVgprs: 40
; ScratchSize: 0
; MemoryBound: 0
; FloatMode: 240
; IeeeMode: 1
; LDSByteSize: 4096 bytes/workgroup (compile time only)
; SGPRBlocks: 3
; VGPRBlocks: 9
; NumSGPRsForWavesPerEU: 28
; NumVGPRsForWavesPerEU: 40
; Occupancy: 6
; WaveLimiterHint : 1
; COMPUTE_PGM_RSRC2:SCRATCH_EN: 0
; COMPUTE_PGM_RSRC2:USER_SGPR: 6
; COMPUTE_PGM_RSRC2:TRAP_HANDLER: 0
; COMPUTE_PGM_RSRC2:TGID_X_EN: 1
; COMPUTE_PGM_RSRC2:TGID_Y_EN: 1
; COMPUTE_PGM_RSRC2:TGID_Z_EN: 1
; COMPUTE_PGM_RSRC2:TIDIG_COMP_CNT: 1
	.section	.text._ZL34rocblas_syrkx_herkx_general_kernelIldLi16ELi32ELi8ELb1ELb0ELc78ELc85EKPKdKPdEviT_T0_PT8_S5_lS8_S5_lS6_PT9_S5_li,"axG",@progbits,_ZL34rocblas_syrkx_herkx_general_kernelIldLi16ELi32ELi8ELb1ELb0ELc78ELc85EKPKdKPdEviT_T0_PT8_S5_lS8_S5_lS6_PT9_S5_li,comdat
	.globl	_ZL34rocblas_syrkx_herkx_general_kernelIldLi16ELi32ELi8ELb1ELb0ELc78ELc85EKPKdKPdEviT_T0_PT8_S5_lS8_S5_lS6_PT9_S5_li ; -- Begin function _ZL34rocblas_syrkx_herkx_general_kernelIldLi16ELi32ELi8ELb1ELb0ELc78ELc85EKPKdKPdEviT_T0_PT8_S5_lS8_S5_lS6_PT9_S5_li
	.p2align	8
	.type	_ZL34rocblas_syrkx_herkx_general_kernelIldLi16ELi32ELi8ELb1ELb0ELc78ELc85EKPKdKPdEviT_T0_PT8_S5_lS8_S5_lS6_PT9_S5_li,@function
_ZL34rocblas_syrkx_herkx_general_kernelIldLi16ELi32ELi8ELb1ELb0ELc78ELc85EKPKdKPdEviT_T0_PT8_S5_lS8_S5_lS6_PT9_S5_li: ; @_ZL34rocblas_syrkx_herkx_general_kernelIldLi16ELi32ELi8ELb1ELb0ELc78ELc85EKPKdKPdEviT_T0_PT8_S5_lS8_S5_lS6_PT9_S5_li
; %bb.0:
	s_load_dwordx4 s[20:23], s[4:5], 0x50
	s_load_dword s24, s[4:5], 0x0
	s_load_dwordx8 s[12:19], s[4:5], 0x8
	s_mov_b32 s9, 0
	s_lshl_b64 s[0:1], s[8:9], 3
	s_waitcnt lgkmcnt(0)
	s_add_u32 s2, s20, s0
	s_addc_u32 s3, s21, s1
	s_load_dwordx2 s[8:9], s[2:3], 0x0
	v_cmp_lt_i64_e64 s[2:3], s[12:13], 1
	s_lshl_b32 s20, s6, 5
	s_lshl_b32 s21, s7, 5
	s_and_b64 vcc, exec, s[2:3]
	s_cbranch_vccnz .LBB1530_7
; %bb.1:
	s_load_dwordx4 s[4:7], s[4:5], 0x30
	v_lshl_add_u32 v2, v1, 4, v0
	v_and_b32_e32 v8, 31, v2
	v_lshrrev_b32_e32 v5, 3, v2
	v_or_b32_e32 v3, s20, v8
	s_waitcnt lgkmcnt(0)
	s_add_u32 s2, s4, s0
	s_addc_u32 s3, s5, s1
	s_add_u32 s0, s16, s0
	v_lshrrev_b32_e32 v16, 5, v2
	s_addc_u32 s1, s17, s1
	v_lshlrev_b32_e32 v2, 3, v8
	s_load_dwordx2 s[10:11], s[0:1], 0x0
	v_cmp_gt_i32_e64 s[0:1], s24, v3
	v_lshl_or_b32 v18, v16, 8, v2
	v_mad_u64_u32 v[2:3], s[16:17], s18, v16, 0
	v_and_b32_e32 v17, 7, v0
	v_add_u32_e32 v4, s21, v5
	v_lshlrev_b32_e32 v6, 3, v17
	v_lshl_or_b32 v5, v5, 6, v6
	v_mad_u64_u32 v[6:7], s[16:17], s19, v16, v[3:4]
	v_mov_b32_e32 v3, 0x800
	v_lshl_add_u32 v21, v1, 6, v3
	v_mov_b32_e32 v3, v6
	v_add_u32_e32 v6, s20, v8
	v_ashrrev_i32_e32 v7, 31, v6
	v_mad_u64_u32 v[8:9], s[16:17], s6, v17, 0
	v_lshlrev_b64 v[2:3], 3, v[2:3]
	v_lshlrev_b64 v[6:7], 3, v[6:7]
	s_load_dwordx2 s[4:5], s[2:3], 0x0
	v_add_co_u32_e32 v10, vcc, v2, v6
	v_addc_co_u32_e32 v3, vcc, v3, v7, vcc
	v_mov_b32_e32 v2, v9
	v_mad_u64_u32 v[6:7], s[16:17], s7, v17, v[2:3]
	v_add_u32_e32 v19, 0x800, v5
	v_ashrrev_i32_e32 v5, 31, v4
	v_mov_b32_e32 v9, v6
	v_cmp_gt_i32_e64 s[2:3], s24, v4
	s_waitcnt lgkmcnt(0)
	v_mov_b32_e32 v11, s11
	v_add_co_u32_e32 v2, vcc, s10, v10
	v_lshlrev_b64 v[6:7], 3, v[8:9]
	v_lshlrev_b64 v[4:5], 3, v[4:5]
	v_addc_co_u32_e32 v3, vcc, v11, v3, vcc
	v_add_co_u32_e32 v4, vcc, v6, v4
	v_addc_co_u32_e32 v5, vcc, v7, v5, vcc
	v_mov_b32_e32 v6, s5
	v_add_co_u32_e32 v4, vcc, s4, v4
	s_lshl_b64 s[10:11], s[18:19], 6
	v_addc_co_u32_e32 v5, vcc, v6, v5, vcc
	s_lshl_b64 s[6:7], s[6:7], 6
	v_mov_b32_e32 v6, 0
	v_mov_b32_e32 v8, 0
	;; [unrolled: 1-line block ×4, first 2 shown]
	v_lshlrev_b32_e32 v20, 3, v0
	s_mov_b64 s[16:17], 0
	v_mov_b32_e32 v7, 0
	v_mov_b32_e32 v22, s11
	;; [unrolled: 1-line block ×6, first 2 shown]
	s_branch .LBB1530_3
.LBB1530_2:                             ;   in Loop: Header=BB1530_3 Depth=1
	s_or_b64 exec, exec, s[4:5]
	s_waitcnt vmcnt(0) lgkmcnt(0)
	ds_write_b64 v19, v[14:15]
	s_waitcnt lgkmcnt(0)
	s_barrier
	ds_read2_b64 v[24:27], v20 offset1:16
	ds_read_b128 v[28:31], v21
	ds_read_b128 v[32:35], v21 offset:1024
	ds_read_b128 v[36:39], v21 offset:16
	s_add_u32 s16, s16, 8
	v_mov_b32_e32 v41, s13
	s_waitcnt lgkmcnt(2)
	v_fma_f64 v[14:15], v[24:25], v[28:29], v[12:13]
	v_fma_f64 v[28:29], v[26:27], v[28:29], v[10:11]
	s_waitcnt lgkmcnt(1)
	v_fma_f64 v[24:25], v[24:25], v[32:33], v[8:9]
	v_fma_f64 v[26:27], v[26:27], v[32:33], v[6:7]
	ds_read2_b64 v[6:9], v20 offset0:32 offset1:48
	ds_read_b128 v[10:13], v21 offset:1040
	v_add_co_u32_e32 v2, vcc, s10, v2
	v_mov_b32_e32 v40, s12
	s_waitcnt lgkmcnt(1)
	v_fma_f64 v[14:15], v[6:7], v[30:31], v[14:15]
	v_fma_f64 v[28:29], v[8:9], v[30:31], v[28:29]
	;; [unrolled: 1-line block ×4, first 2 shown]
	ds_read2_b64 v[6:9], v20 offset0:64 offset1:80
	ds_read2_b64 v[24:27], v20 offset0:96 offset1:112
	v_addc_co_u32_e32 v3, vcc, v3, v22, vcc
	s_addc_u32 s17, s17, 0
	s_waitcnt lgkmcnt(1)
	v_fma_f64 v[14:15], v[6:7], v[36:37], v[14:15]
	v_fma_f64 v[28:29], v[8:9], v[36:37], v[28:29]
	;; [unrolled: 1-line block ×4, first 2 shown]
	ds_read2_b64 v[6:9], v20 offset0:128 offset1:144
	v_cmp_ge_i64_e32 vcc, s[16:17], v[40:41]
	v_add_co_u32_e64 v4, s[4:5], s6, v4
	s_waitcnt lgkmcnt(1)
	v_fma_f64 v[14:15], v[24:25], v[38:39], v[14:15]
	v_fma_f64 v[32:33], v[26:27], v[38:39], v[28:29]
	;; [unrolled: 1-line block ×4, first 2 shown]
	ds_read_b128 v[28:31], v21 offset:32
	ds_read_b128 v[10:13], v21 offset:1056
	;; [unrolled: 1-line block ×3, first 2 shown]
	v_addc_co_u32_e64 v5, s[4:5], v5, v23, s[4:5]
	s_and_b64 vcc, exec, vcc
	s_waitcnt lgkmcnt(2)
	v_fma_f64 v[14:15], v[6:7], v[28:29], v[14:15]
	v_fma_f64 v[28:29], v[8:9], v[28:29], v[32:33]
	s_waitcnt lgkmcnt(1)
	v_fma_f64 v[36:37], v[6:7], v[10:11], v[36:37]
	v_fma_f64 v[10:11], v[8:9], v[10:11], v[38:39]
	ds_read2_b64 v[6:9], v20 offset0:160 offset1:176
	ds_read_b128 v[32:35], v21 offset:1072
	s_waitcnt lgkmcnt(1)
	v_fma_f64 v[14:15], v[6:7], v[30:31], v[14:15]
	v_fma_f64 v[38:39], v[8:9], v[30:31], v[28:29]
	;; [unrolled: 1-line block ×4, first 2 shown]
	ds_read2_b64 v[6:9], v20 offset0:192 offset1:208
	ds_read2_b64 v[28:31], v20 offset0:224 offset1:240
	s_waitcnt lgkmcnt(0)
	s_barrier
	v_fma_f64 v[12:13], v[6:7], v[24:25], v[14:15]
	v_fma_f64 v[14:15], v[8:9], v[24:25], v[38:39]
	v_fma_f64 v[6:7], v[6:7], v[32:33], v[36:37]
	v_fma_f64 v[24:25], v[8:9], v[32:33], v[10:11]
	v_fma_f64 v[12:13], v[28:29], v[26:27], v[12:13]
	v_fma_f64 v[10:11], v[30:31], v[26:27], v[14:15]
	v_fma_f64 v[8:9], v[28:29], v[34:35], v[6:7]
	v_fma_f64 v[6:7], v[30:31], v[34:35], v[24:25]
	s_cbranch_vccnz .LBB1530_8
.LBB1530_3:                             ; =>This Inner Loop Header: Depth=1
	v_mov_b32_e32 v15, s17
	v_add_co_u32_e32 v14, vcc, s16, v16
	v_addc_co_u32_e32 v15, vcc, 0, v15, vcc
	v_cmp_gt_i64_e32 vcc, s[12:13], v[14:15]
	v_mov_b32_e32 v14, 0
	v_mov_b32_e32 v15, 0
	s_and_b64 s[18:19], s[0:1], vcc
	s_and_saveexec_b64 s[4:5], s[18:19]
	s_cbranch_execz .LBB1530_5
; %bb.4:                                ;   in Loop: Header=BB1530_3 Depth=1
	flat_load_dwordx2 v[14:15], v[2:3]
.LBB1530_5:                             ;   in Loop: Header=BB1530_3 Depth=1
	s_or_b64 exec, exec, s[4:5]
	s_waitcnt vmcnt(0) lgkmcnt(0)
	ds_write_b64 v18, v[14:15]
	v_mov_b32_e32 v15, s17
	v_add_co_u32_e32 v14, vcc, s16, v17
	v_addc_co_u32_e32 v15, vcc, 0, v15, vcc
	v_cmp_gt_i64_e32 vcc, s[12:13], v[14:15]
	v_mov_b32_e32 v14, 0
	v_mov_b32_e32 v15, 0
	s_and_b64 s[18:19], vcc, s[2:3]
	s_and_saveexec_b64 s[4:5], s[18:19]
	s_cbranch_execz .LBB1530_2
; %bb.6:                                ;   in Loop: Header=BB1530_3 Depth=1
	flat_load_dwordx2 v[14:15], v[4:5]
	s_branch .LBB1530_2
.LBB1530_7:
	v_mov_b32_e32 v12, 0
	v_mov_b32_e32 v10, 0
	;; [unrolled: 1-line block ×8, first 2 shown]
.LBB1530_8:
	v_add_u32_e32 v4, s21, v1
	v_ashrrev_i32_e32 v1, 31, v4
	v_mul_lo_u32 v3, s22, v1
	v_mul_lo_u32 v5, s23, v4
	v_mad_u64_u32 v[1:2], s[0:1], s22, v4, 0
	v_add_u32_e32 v0, s20, v0
	v_cmp_gt_i32_e32 vcc, s24, v4
	v_add3_u32 v2, v2, v3, v5
	v_lshlrev_b64 v[1:2], 3, v[1:2]
	s_waitcnt lgkmcnt(0)
	v_mov_b32_e32 v3, s9
	v_add_co_u32_e64 v5, s[0:1], s8, v1
	v_addc_co_u32_e64 v14, s[0:1], v3, v2, s[0:1]
	v_cmp_le_i32_e64 s[0:1], v0, v4
	s_and_b64 s[0:1], vcc, s[0:1]
	s_and_saveexec_b64 s[2:3], s[0:1]
	s_cbranch_execz .LBB1530_10
; %bb.9:
	v_mul_f64 v[2:3], s[14:15], v[12:13]
	v_ashrrev_i32_e32 v1, 31, v0
	v_lshlrev_b64 v[12:13], 3, v[0:1]
	v_add_co_u32_e64 v12, s[0:1], v5, v12
	v_addc_co_u32_e64 v13, s[0:1], v14, v13, s[0:1]
	flat_store_dwordx2 v[12:13], v[2:3]
.LBB1530_10:
	s_or_b64 exec, exec, s[2:3]
	v_add_u32_e32 v2, 16, v0
	v_cmp_le_i32_e64 s[0:1], v2, v4
	s_and_b64 s[2:3], vcc, s[0:1]
	s_and_saveexec_b64 s[0:1], s[2:3]
	s_cbranch_execz .LBB1530_12
; %bb.11:
	v_mul_f64 v[10:11], s[14:15], v[10:11]
	v_ashrrev_i32_e32 v3, 31, v2
	v_lshlrev_b64 v[12:13], 3, v[2:3]
	v_add_co_u32_e32 v12, vcc, v5, v12
	v_addc_co_u32_e32 v13, vcc, v14, v13, vcc
	flat_store_dwordx2 v[12:13], v[10:11]
.LBB1530_12:
	s_or_b64 exec, exec, s[0:1]
	v_add_u32_e32 v3, 16, v4
	v_ashrrev_i32_e32 v1, 31, v3
	v_mul_lo_u32 v1, s22, v1
	v_mul_lo_u32 v10, s23, v3
	v_mad_u64_u32 v[4:5], s[0:1], s22, v3, 0
	v_cmp_gt_i32_e32 vcc, s24, v3
	v_add3_u32 v5, v5, v1, v10
	v_lshlrev_b64 v[4:5], 3, v[4:5]
	v_mov_b32_e32 v1, s9
	v_add_co_u32_e64 v4, s[0:1], s8, v4
	v_addc_co_u32_e64 v5, s[0:1], v1, v5, s[0:1]
	v_cmp_le_i32_e64 s[0:1], v0, v3
	s_and_b64 s[0:1], vcc, s[0:1]
	s_and_saveexec_b64 s[2:3], s[0:1]
	s_cbranch_execz .LBB1530_14
; %bb.13:
	v_mul_f64 v[8:9], s[14:15], v[8:9]
	v_ashrrev_i32_e32 v1, 31, v0
	v_lshlrev_b64 v[0:1], 3, v[0:1]
	v_add_co_u32_e64 v0, s[0:1], v4, v0
	v_addc_co_u32_e64 v1, s[0:1], v5, v1, s[0:1]
	flat_store_dwordx2 v[0:1], v[8:9]
.LBB1530_14:
	s_or_b64 exec, exec, s[2:3]
	v_cmp_le_i32_e64 s[0:1], v2, v3
	s_and_b64 s[0:1], vcc, s[0:1]
	s_and_saveexec_b64 s[2:3], s[0:1]
	s_cbranch_execz .LBB1530_16
; %bb.15:
	v_mul_f64 v[0:1], s[14:15], v[6:7]
	v_ashrrev_i32_e32 v3, 31, v2
	v_lshlrev_b64 v[2:3], 3, v[2:3]
	v_add_co_u32_e32 v2, vcc, v4, v2
	v_addc_co_u32_e32 v3, vcc, v5, v3, vcc
	flat_store_dwordx2 v[2:3], v[0:1]
.LBB1530_16:
	s_endpgm
	.section	.rodata,"a",@progbits
	.p2align	6, 0x0
	.amdhsa_kernel _ZL34rocblas_syrkx_herkx_general_kernelIldLi16ELi32ELi8ELb1ELb0ELc78ELc85EKPKdKPdEviT_T0_PT8_S5_lS8_S5_lS6_PT9_S5_li
		.amdhsa_group_segment_fixed_size 4096
		.amdhsa_private_segment_fixed_size 0
		.amdhsa_kernarg_size 108
		.amdhsa_user_sgpr_count 6
		.amdhsa_user_sgpr_private_segment_buffer 1
		.amdhsa_user_sgpr_dispatch_ptr 0
		.amdhsa_user_sgpr_queue_ptr 0
		.amdhsa_user_sgpr_kernarg_segment_ptr 1
		.amdhsa_user_sgpr_dispatch_id 0
		.amdhsa_user_sgpr_flat_scratch_init 0
		.amdhsa_user_sgpr_private_segment_size 0
		.amdhsa_uses_dynamic_stack 0
		.amdhsa_system_sgpr_private_segment_wavefront_offset 0
		.amdhsa_system_sgpr_workgroup_id_x 1
		.amdhsa_system_sgpr_workgroup_id_y 1
		.amdhsa_system_sgpr_workgroup_id_z 1
		.amdhsa_system_sgpr_workgroup_info 0
		.amdhsa_system_vgpr_workitem_id 1
		.amdhsa_next_free_vgpr 42
		.amdhsa_next_free_sgpr 25
		.amdhsa_reserve_vcc 1
		.amdhsa_reserve_flat_scratch 0
		.amdhsa_float_round_mode_32 0
		.amdhsa_float_round_mode_16_64 0
		.amdhsa_float_denorm_mode_32 3
		.amdhsa_float_denorm_mode_16_64 3
		.amdhsa_dx10_clamp 1
		.amdhsa_ieee_mode 1
		.amdhsa_fp16_overflow 0
		.amdhsa_exception_fp_ieee_invalid_op 0
		.amdhsa_exception_fp_denorm_src 0
		.amdhsa_exception_fp_ieee_div_zero 0
		.amdhsa_exception_fp_ieee_overflow 0
		.amdhsa_exception_fp_ieee_underflow 0
		.amdhsa_exception_fp_ieee_inexact 0
		.amdhsa_exception_int_div_zero 0
	.end_amdhsa_kernel
	.section	.text._ZL34rocblas_syrkx_herkx_general_kernelIldLi16ELi32ELi8ELb1ELb0ELc78ELc85EKPKdKPdEviT_T0_PT8_S5_lS8_S5_lS6_PT9_S5_li,"axG",@progbits,_ZL34rocblas_syrkx_herkx_general_kernelIldLi16ELi32ELi8ELb1ELb0ELc78ELc85EKPKdKPdEviT_T0_PT8_S5_lS8_S5_lS6_PT9_S5_li,comdat
.Lfunc_end1530:
	.size	_ZL34rocblas_syrkx_herkx_general_kernelIldLi16ELi32ELi8ELb1ELb0ELc78ELc85EKPKdKPdEviT_T0_PT8_S5_lS8_S5_lS6_PT9_S5_li, .Lfunc_end1530-_ZL34rocblas_syrkx_herkx_general_kernelIldLi16ELi32ELi8ELb1ELb0ELc78ELc85EKPKdKPdEviT_T0_PT8_S5_lS8_S5_lS6_PT9_S5_li
                                        ; -- End function
	.set _ZL34rocblas_syrkx_herkx_general_kernelIldLi16ELi32ELi8ELb1ELb0ELc78ELc85EKPKdKPdEviT_T0_PT8_S5_lS8_S5_lS6_PT9_S5_li.num_vgpr, 42
	.set _ZL34rocblas_syrkx_herkx_general_kernelIldLi16ELi32ELi8ELb1ELb0ELc78ELc85EKPKdKPdEviT_T0_PT8_S5_lS8_S5_lS6_PT9_S5_li.num_agpr, 0
	.set _ZL34rocblas_syrkx_herkx_general_kernelIldLi16ELi32ELi8ELb1ELb0ELc78ELc85EKPKdKPdEviT_T0_PT8_S5_lS8_S5_lS6_PT9_S5_li.numbered_sgpr, 25
	.set _ZL34rocblas_syrkx_herkx_general_kernelIldLi16ELi32ELi8ELb1ELb0ELc78ELc85EKPKdKPdEviT_T0_PT8_S5_lS8_S5_lS6_PT9_S5_li.num_named_barrier, 0
	.set _ZL34rocblas_syrkx_herkx_general_kernelIldLi16ELi32ELi8ELb1ELb0ELc78ELc85EKPKdKPdEviT_T0_PT8_S5_lS8_S5_lS6_PT9_S5_li.private_seg_size, 0
	.set _ZL34rocblas_syrkx_herkx_general_kernelIldLi16ELi32ELi8ELb1ELb0ELc78ELc85EKPKdKPdEviT_T0_PT8_S5_lS8_S5_lS6_PT9_S5_li.uses_vcc, 1
	.set _ZL34rocblas_syrkx_herkx_general_kernelIldLi16ELi32ELi8ELb1ELb0ELc78ELc85EKPKdKPdEviT_T0_PT8_S5_lS8_S5_lS6_PT9_S5_li.uses_flat_scratch, 0
	.set _ZL34rocblas_syrkx_herkx_general_kernelIldLi16ELi32ELi8ELb1ELb0ELc78ELc85EKPKdKPdEviT_T0_PT8_S5_lS8_S5_lS6_PT9_S5_li.has_dyn_sized_stack, 0
	.set _ZL34rocblas_syrkx_herkx_general_kernelIldLi16ELi32ELi8ELb1ELb0ELc78ELc85EKPKdKPdEviT_T0_PT8_S5_lS8_S5_lS6_PT9_S5_li.has_recursion, 0
	.set _ZL34rocblas_syrkx_herkx_general_kernelIldLi16ELi32ELi8ELb1ELb0ELc78ELc85EKPKdKPdEviT_T0_PT8_S5_lS8_S5_lS6_PT9_S5_li.has_indirect_call, 0
	.section	.AMDGPU.csdata,"",@progbits
; Kernel info:
; codeLenInByte = 1460
; TotalNumSgprs: 29
; NumVgprs: 42
; ScratchSize: 0
; MemoryBound: 0
; FloatMode: 240
; IeeeMode: 1
; LDSByteSize: 4096 bytes/workgroup (compile time only)
; SGPRBlocks: 3
; VGPRBlocks: 10
; NumSGPRsForWavesPerEU: 29
; NumVGPRsForWavesPerEU: 42
; Occupancy: 5
; WaveLimiterHint : 1
; COMPUTE_PGM_RSRC2:SCRATCH_EN: 0
; COMPUTE_PGM_RSRC2:USER_SGPR: 6
; COMPUTE_PGM_RSRC2:TRAP_HANDLER: 0
; COMPUTE_PGM_RSRC2:TGID_X_EN: 1
; COMPUTE_PGM_RSRC2:TGID_Y_EN: 1
; COMPUTE_PGM_RSRC2:TGID_Z_EN: 1
; COMPUTE_PGM_RSRC2:TIDIG_COMP_CNT: 1
	.section	.text._ZL34rocblas_syrkx_herkx_general_kernelIldLi16ELi32ELi8ELb0ELb0ELc84ELc76EKPKdKPdEviT_T0_PT8_S5_lS8_S5_lS6_PT9_S5_li,"axG",@progbits,_ZL34rocblas_syrkx_herkx_general_kernelIldLi16ELi32ELi8ELb0ELb0ELc84ELc76EKPKdKPdEviT_T0_PT8_S5_lS8_S5_lS6_PT9_S5_li,comdat
	.globl	_ZL34rocblas_syrkx_herkx_general_kernelIldLi16ELi32ELi8ELb0ELb0ELc84ELc76EKPKdKPdEviT_T0_PT8_S5_lS8_S5_lS6_PT9_S5_li ; -- Begin function _ZL34rocblas_syrkx_herkx_general_kernelIldLi16ELi32ELi8ELb0ELb0ELc84ELc76EKPKdKPdEviT_T0_PT8_S5_lS8_S5_lS6_PT9_S5_li
	.p2align	8
	.type	_ZL34rocblas_syrkx_herkx_general_kernelIldLi16ELi32ELi8ELb0ELb0ELc84ELc76EKPKdKPdEviT_T0_PT8_S5_lS8_S5_lS6_PT9_S5_li,@function
_ZL34rocblas_syrkx_herkx_general_kernelIldLi16ELi32ELi8ELb0ELb0ELc84ELc76EKPKdKPdEviT_T0_PT8_S5_lS8_S5_lS6_PT9_S5_li: ; @_ZL34rocblas_syrkx_herkx_general_kernelIldLi16ELi32ELi8ELb0ELb0ELc84ELc76EKPKdKPdEviT_T0_PT8_S5_lS8_S5_lS6_PT9_S5_li
; %bb.0:
	s_load_dwordx2 s[10:11], s[4:5], 0x58
	s_load_dwordx4 s[20:23], s[4:5], 0x48
	s_load_dword s24, s[4:5], 0x0
	s_load_dwordx8 s[12:19], s[4:5], 0x8
	s_mov_b32 s9, 0
	s_lshl_b64 s[0:1], s[8:9], 3
	s_waitcnt lgkmcnt(0)
	s_add_u32 s2, s22, s0
	s_addc_u32 s3, s23, s1
	s_load_dwordx2 s[8:9], s[2:3], 0x0
	v_cmp_lt_i64_e64 s[2:3], s[12:13], 1
	s_lshl_b32 s22, s6, 5
	s_lshl_b32 s23, s7, 5
	s_and_b64 vcc, exec, s[2:3]
	s_cbranch_vccnz .LBB1531_7
; %bb.1:
	s_load_dwordx4 s[4:7], s[4:5], 0x30
	v_lshl_add_u32 v2, v1, 4, v0
	v_and_b32_e32 v5, 31, v2
	v_or_b32_e32 v6, s22, v5
	v_and_b32_e32 v19, 7, v0
	s_waitcnt lgkmcnt(0)
	s_add_u32 s2, s4, s0
	s_addc_u32 s3, s5, s1
	s_add_u32 s0, s16, s0
	s_addc_u32 s1, s17, s1
	v_lshrrev_b32_e32 v3, 3, v2
	v_lshrrev_b32_e32 v18, 5, v2
	s_load_dwordx2 s[16:17], s[0:1], 0x0
	v_cmp_gt_i32_e64 s[0:1], s24, v6
	v_lshlrev_b32_e32 v2, 3, v5
	v_lshlrev_b32_e32 v6, 3, v19
	v_lshl_or_b32 v20, v18, 8, v2
	v_lshl_or_b32 v2, v3, 6, v6
	v_add_u32_e32 v21, 0x800, v2
	v_add_u32_e32 v2, s22, v5
	;; [unrolled: 1-line block ×3, first 2 shown]
	v_ashrrev_i32_e32 v3, 31, v2
	v_mul_lo_u32 v5, s18, v3
	v_mul_lo_u32 v8, s19, v2
	v_mad_u64_u32 v[2:3], s[18:19], s18, v2, 0
	v_ashrrev_i32_e32 v7, 31, v4
	v_mul_lo_u32 v7, s6, v7
	v_add3_u32 v3, v3, v5, v8
	v_lshlrev_b64 v[2:3], 3, v[2:3]
	v_lshlrev_b32_e32 v5, 3, v18
	v_add_co_u32_e32 v5, vcc, v2, v5
	v_addc_co_u32_e32 v8, vcc, 0, v3, vcc
	v_mul_lo_u32 v10, s7, v4
	v_mad_u64_u32 v[2:3], s[6:7], s6, v4, 0
	s_load_dwordx2 s[4:5], s[2:3], 0x0
	v_mov_b32_e32 v9, 0x800
	v_add3_u32 v3, v3, v7, v10
	v_cmp_gt_i32_e64 s[2:3], s24, v4
	v_lshl_add_u32 v23, v1, 6, v9
	s_waitcnt lgkmcnt(0)
	v_mov_b32_e32 v9, s17
	v_add_co_u32_e32 v4, vcc, s16, v5
	v_lshlrev_b64 v[2:3], 3, v[2:3]
	v_addc_co_u32_e32 v5, vcc, v9, v8, vcc
	v_add_co_u32_e32 v2, vcc, v2, v6
	v_addc_co_u32_e32 v3, vcc, 0, v3, vcc
	v_mov_b32_e32 v7, s5
	v_add_co_u32_e32 v6, vcc, s4, v2
	v_addc_co_u32_e32 v7, vcc, v7, v3, vcc
	v_mov_b32_e32 v2, 0
	v_mov_b32_e32 v8, 0
	;; [unrolled: 1-line block ×5, first 2 shown]
	v_lshlrev_b32_e32 v22, 3, v0
	s_mov_b64 s[6:7], 0
	v_mov_b32_e32 v3, 0
	v_mov_b32_e32 v9, 0
	v_mov_b32_e32 v13, 0
	v_mov_b32_e32 v15, 0
	v_mov_b32_e32 v11, s13
	s_branch .LBB1531_3
.LBB1531_2:                             ;   in Loop: Header=BB1531_3 Depth=1
	s_or_b64 exec, exec, s[4:5]
	s_waitcnt vmcnt(0) lgkmcnt(0)
	ds_write_b64 v21, v[16:17]
	s_waitcnt lgkmcnt(0)
	s_barrier
	ds_read2_b64 v[24:27], v22 offset1:16
	ds_read_b128 v[28:31], v23
	ds_read_b128 v[32:35], v23 offset:1024
	ds_read_b128 v[36:39], v23 offset:16
	s_add_u32 s6, s6, 8
	v_add_co_u32_e32 v4, vcc, 64, v4
	s_waitcnt lgkmcnt(2)
	v_fma_f64 v[16:17], v[24:25], v[28:29], v[14:15]
	v_fma_f64 v[28:29], v[26:27], v[28:29], v[12:13]
	s_waitcnt lgkmcnt(1)
	v_fma_f64 v[8:9], v[24:25], v[32:33], v[8:9]
	v_fma_f64 v[2:3], v[26:27], v[32:33], v[2:3]
	ds_read2_b64 v[24:27], v22 offset0:32 offset1:48
	ds_read_b128 v[12:15], v23 offset:1040
	v_addc_co_u32_e32 v5, vcc, 0, v5, vcc
	s_addc_u32 s7, s7, 0
	s_waitcnt lgkmcnt(1)
	v_fma_f64 v[28:29], v[26:27], v[30:31], v[28:29]
	v_fma_f64 v[16:17], v[24:25], v[30:31], v[16:17]
	;; [unrolled: 1-line block ×4, first 2 shown]
	ds_read2_b64 v[24:27], v22 offset0:64 offset1:80
	v_cmp_ge_i64_e32 vcc, s[6:7], v[10:11]
	v_add_co_u32_e64 v6, s[4:5], 64, v6
	v_addc_co_u32_e64 v7, s[4:5], 0, v7, s[4:5]
	s_waitcnt lgkmcnt(0)
	v_fma_f64 v[32:33], v[26:27], v[36:37], v[28:29]
	ds_read2_b64 v[28:31], v22 offset0:96 offset1:112
	v_fma_f64 v[16:17], v[24:25], v[36:37], v[16:17]
	s_and_b64 vcc, exec, vcc
	s_waitcnt lgkmcnt(0)
	v_fma_f64 v[36:37], v[30:31], v[38:39], v[32:33]
	ds_read_b128 v[32:35], v23 offset:32
	v_fma_f64 v[8:9], v[24:25], v[12:13], v[8:9]
	v_fma_f64 v[2:3], v[26:27], v[12:13], v[2:3]
	;; [unrolled: 1-line block ×3, first 2 shown]
	ds_read2_b64 v[24:27], v22 offset0:128 offset1:144
	v_fma_f64 v[8:9], v[28:29], v[14:15], v[8:9]
	v_fma_f64 v[2:3], v[30:31], v[14:15], v[2:3]
	ds_read_b128 v[12:15], v23 offset:1056
	ds_read_b128 v[28:31], v23 offset:48
	s_waitcnt lgkmcnt(2)
	v_fma_f64 v[16:17], v[24:25], v[32:33], v[16:17]
	v_fma_f64 v[32:33], v[26:27], v[32:33], v[36:37]
	ds_read_b128 v[36:39], v23 offset:1072
	s_waitcnt lgkmcnt(2)
	v_fma_f64 v[8:9], v[24:25], v[12:13], v[8:9]
	v_fma_f64 v[2:3], v[26:27], v[12:13], v[2:3]
	ds_read2_b64 v[24:27], v22 offset0:160 offset1:176
	s_waitcnt lgkmcnt(0)
	v_fma_f64 v[16:17], v[24:25], v[34:35], v[16:17]
	v_fma_f64 v[32:33], v[26:27], v[34:35], v[32:33]
	;; [unrolled: 1-line block ×4, first 2 shown]
	ds_read2_b64 v[12:15], v22 offset0:192 offset1:208
	ds_read2_b64 v[24:27], v22 offset0:224 offset1:240
	s_waitcnt lgkmcnt(0)
	s_barrier
	v_fma_f64 v[16:17], v[12:13], v[28:29], v[16:17]
	v_fma_f64 v[28:29], v[14:15], v[28:29], v[32:33]
	;; [unrolled: 1-line block ×8, first 2 shown]
	s_cbranch_vccnz .LBB1531_8
.LBB1531_3:                             ; =>This Inner Loop Header: Depth=1
	v_mov_b32_e32 v17, s7
	v_add_co_u32_e32 v16, vcc, s6, v18
	v_addc_co_u32_e32 v17, vcc, 0, v17, vcc
	v_cmp_gt_i64_e32 vcc, s[12:13], v[16:17]
	v_mov_b32_e32 v16, 0
	v_mov_b32_e32 v17, 0
	s_and_b64 s[16:17], s[0:1], vcc
	s_and_saveexec_b64 s[4:5], s[16:17]
	s_cbranch_execz .LBB1531_5
; %bb.4:                                ;   in Loop: Header=BB1531_3 Depth=1
	flat_load_dwordx2 v[16:17], v[4:5]
.LBB1531_5:                             ;   in Loop: Header=BB1531_3 Depth=1
	s_or_b64 exec, exec, s[4:5]
	s_waitcnt vmcnt(0) lgkmcnt(0)
	ds_write_b64 v20, v[16:17]
	v_mov_b32_e32 v17, s7
	v_add_co_u32_e32 v16, vcc, s6, v19
	v_addc_co_u32_e32 v17, vcc, 0, v17, vcc
	v_cmp_gt_i64_e32 vcc, s[12:13], v[16:17]
	v_mov_b32_e32 v16, 0
	v_mov_b32_e32 v17, 0
	s_and_b64 s[16:17], vcc, s[2:3]
	s_and_saveexec_b64 s[4:5], s[16:17]
	s_cbranch_execz .LBB1531_2
; %bb.6:                                ;   in Loop: Header=BB1531_3 Depth=1
	flat_load_dwordx2 v[16:17], v[6:7]
	s_branch .LBB1531_2
.LBB1531_7:
	v_mov_b32_e32 v14, 0
	v_mov_b32_e32 v12, 0
	;; [unrolled: 1-line block ×8, first 2 shown]
.LBB1531_8:
	v_add_u32_e32 v6, s23, v1
	v_ashrrev_i32_e32 v1, 31, v6
	v_mul_lo_u32 v1, s10, v1
	v_mul_lo_u32 v7, s11, v6
	v_mad_u64_u32 v[4:5], s[0:1], s10, v6, 0
	v_add_u32_e32 v0, s22, v0
	v_cmp_le_i32_e64 s[0:1], v6, v0
	v_add3_u32 v5, v5, v1, v7
	v_lshlrev_b64 v[4:5], 3, v[4:5]
	s_waitcnt lgkmcnt(0)
	v_mov_b32_e32 v1, s9
	v_add_co_u32_e32 v7, vcc, s8, v4
	v_addc_co_u32_e32 v10, vcc, v1, v5, vcc
	v_cmp_gt_i32_e32 vcc, s24, v0
	s_and_b64 s[0:1], s[0:1], vcc
	s_and_saveexec_b64 s[2:3], s[0:1]
	s_cbranch_execz .LBB1531_10
; %bb.9:
	v_ashrrev_i32_e32 v1, 31, v0
	v_lshlrev_b64 v[4:5], 3, v[0:1]
	v_add_co_u32_e64 v4, s[0:1], v7, v4
	v_addc_co_u32_e64 v5, s[0:1], v10, v5, s[0:1]
	flat_load_dwordx2 v[16:17], v[4:5]
	s_waitcnt vmcnt(0) lgkmcnt(0)
	v_mul_f64 v[16:17], s[20:21], v[16:17]
	v_fma_f64 v[14:15], s[14:15], v[14:15], v[16:17]
	flat_store_dwordx2 v[4:5], v[14:15]
.LBB1531_10:
	s_or_b64 exec, exec, s[2:3]
	v_add_u32_e32 v4, 16, v0
	v_cmp_le_i32_e64 s[2:3], v6, v4
	v_cmp_gt_i32_e64 s[0:1], s24, v4
	s_and_b64 s[2:3], s[2:3], s[0:1]
	s_and_saveexec_b64 s[4:5], s[2:3]
	s_cbranch_execz .LBB1531_12
; %bb.11:
	v_ashrrev_i32_e32 v5, 31, v4
	v_lshlrev_b64 v[14:15], 3, v[4:5]
	v_add_co_u32_e64 v14, s[2:3], v7, v14
	v_addc_co_u32_e64 v15, s[2:3], v10, v15, s[2:3]
	flat_load_dwordx2 v[10:11], v[14:15]
	s_waitcnt vmcnt(0) lgkmcnt(0)
	v_mul_f64 v[10:11], s[20:21], v[10:11]
	v_fma_f64 v[10:11], s[14:15], v[12:13], v[10:11]
	flat_store_dwordx2 v[14:15], v[10:11]
.LBB1531_12:
	s_or_b64 exec, exec, s[4:5]
	v_add_u32_e32 v5, 16, v6
	v_ashrrev_i32_e32 v1, 31, v5
	v_mul_lo_u32 v10, s11, v5
	v_mad_u64_u32 v[6:7], s[2:3], s10, v5, 0
	v_mul_lo_u32 v1, s10, v1
	v_add3_u32 v7, v7, v1, v10
	v_lshlrev_b64 v[6:7], 3, v[6:7]
	v_mov_b32_e32 v1, s9
	v_add_co_u32_e64 v6, s[2:3], s8, v6
	v_addc_co_u32_e64 v7, s[2:3], v1, v7, s[2:3]
	v_cmp_le_i32_e64 s[2:3], v5, v0
	s_and_b64 s[4:5], s[2:3], vcc
	s_and_saveexec_b64 s[2:3], s[4:5]
	s_cbranch_execz .LBB1531_14
; %bb.13:
	v_ashrrev_i32_e32 v1, 31, v0
	v_lshlrev_b64 v[0:1], 3, v[0:1]
	v_add_co_u32_e32 v0, vcc, v6, v0
	v_addc_co_u32_e32 v1, vcc, v7, v1, vcc
	flat_load_dwordx2 v[10:11], v[0:1]
	s_waitcnt vmcnt(0) lgkmcnt(0)
	v_mul_f64 v[10:11], s[20:21], v[10:11]
	v_fma_f64 v[8:9], s[14:15], v[8:9], v[10:11]
	flat_store_dwordx2 v[0:1], v[8:9]
.LBB1531_14:
	s_or_b64 exec, exec, s[2:3]
	v_cmp_le_i32_e32 vcc, v5, v4
	s_and_b64 s[0:1], vcc, s[0:1]
	s_and_saveexec_b64 s[2:3], s[0:1]
	s_cbranch_execz .LBB1531_16
; %bb.15:
	v_ashrrev_i32_e32 v5, 31, v4
	v_lshlrev_b64 v[0:1], 3, v[4:5]
	v_add_co_u32_e32 v0, vcc, v6, v0
	v_addc_co_u32_e32 v1, vcc, v7, v1, vcc
	flat_load_dwordx2 v[4:5], v[0:1]
	s_waitcnt vmcnt(0) lgkmcnt(0)
	v_mul_f64 v[4:5], s[20:21], v[4:5]
	v_fma_f64 v[2:3], s[14:15], v[2:3], v[4:5]
	flat_store_dwordx2 v[0:1], v[2:3]
.LBB1531_16:
	s_endpgm
	.section	.rodata,"a",@progbits
	.p2align	6, 0x0
	.amdhsa_kernel _ZL34rocblas_syrkx_herkx_general_kernelIldLi16ELi32ELi8ELb0ELb0ELc84ELc76EKPKdKPdEviT_T0_PT8_S5_lS8_S5_lS6_PT9_S5_li
		.amdhsa_group_segment_fixed_size 4096
		.amdhsa_private_segment_fixed_size 0
		.amdhsa_kernarg_size 108
		.amdhsa_user_sgpr_count 6
		.amdhsa_user_sgpr_private_segment_buffer 1
		.amdhsa_user_sgpr_dispatch_ptr 0
		.amdhsa_user_sgpr_queue_ptr 0
		.amdhsa_user_sgpr_kernarg_segment_ptr 1
		.amdhsa_user_sgpr_dispatch_id 0
		.amdhsa_user_sgpr_flat_scratch_init 0
		.amdhsa_user_sgpr_private_segment_size 0
		.amdhsa_uses_dynamic_stack 0
		.amdhsa_system_sgpr_private_segment_wavefront_offset 0
		.amdhsa_system_sgpr_workgroup_id_x 1
		.amdhsa_system_sgpr_workgroup_id_y 1
		.amdhsa_system_sgpr_workgroup_id_z 1
		.amdhsa_system_sgpr_workgroup_info 0
		.amdhsa_system_vgpr_workitem_id 1
		.amdhsa_next_free_vgpr 40
		.amdhsa_next_free_sgpr 25
		.amdhsa_reserve_vcc 1
		.amdhsa_reserve_flat_scratch 0
		.amdhsa_float_round_mode_32 0
		.amdhsa_float_round_mode_16_64 0
		.amdhsa_float_denorm_mode_32 3
		.amdhsa_float_denorm_mode_16_64 3
		.amdhsa_dx10_clamp 1
		.amdhsa_ieee_mode 1
		.amdhsa_fp16_overflow 0
		.amdhsa_exception_fp_ieee_invalid_op 0
		.amdhsa_exception_fp_denorm_src 0
		.amdhsa_exception_fp_ieee_div_zero 0
		.amdhsa_exception_fp_ieee_overflow 0
		.amdhsa_exception_fp_ieee_underflow 0
		.amdhsa_exception_fp_ieee_inexact 0
		.amdhsa_exception_int_div_zero 0
	.end_amdhsa_kernel
	.section	.text._ZL34rocblas_syrkx_herkx_general_kernelIldLi16ELi32ELi8ELb0ELb0ELc84ELc76EKPKdKPdEviT_T0_PT8_S5_lS8_S5_lS6_PT9_S5_li,"axG",@progbits,_ZL34rocblas_syrkx_herkx_general_kernelIldLi16ELi32ELi8ELb0ELb0ELc84ELc76EKPKdKPdEviT_T0_PT8_S5_lS8_S5_lS6_PT9_S5_li,comdat
.Lfunc_end1531:
	.size	_ZL34rocblas_syrkx_herkx_general_kernelIldLi16ELi32ELi8ELb0ELb0ELc84ELc76EKPKdKPdEviT_T0_PT8_S5_lS8_S5_lS6_PT9_S5_li, .Lfunc_end1531-_ZL34rocblas_syrkx_herkx_general_kernelIldLi16ELi32ELi8ELb0ELb0ELc84ELc76EKPKdKPdEviT_T0_PT8_S5_lS8_S5_lS6_PT9_S5_li
                                        ; -- End function
	.set _ZL34rocblas_syrkx_herkx_general_kernelIldLi16ELi32ELi8ELb0ELb0ELc84ELc76EKPKdKPdEviT_T0_PT8_S5_lS8_S5_lS6_PT9_S5_li.num_vgpr, 40
	.set _ZL34rocblas_syrkx_herkx_general_kernelIldLi16ELi32ELi8ELb0ELb0ELc84ELc76EKPKdKPdEviT_T0_PT8_S5_lS8_S5_lS6_PT9_S5_li.num_agpr, 0
	.set _ZL34rocblas_syrkx_herkx_general_kernelIldLi16ELi32ELi8ELb0ELb0ELc84ELc76EKPKdKPdEviT_T0_PT8_S5_lS8_S5_lS6_PT9_S5_li.numbered_sgpr, 25
	.set _ZL34rocblas_syrkx_herkx_general_kernelIldLi16ELi32ELi8ELb0ELb0ELc84ELc76EKPKdKPdEviT_T0_PT8_S5_lS8_S5_lS6_PT9_S5_li.num_named_barrier, 0
	.set _ZL34rocblas_syrkx_herkx_general_kernelIldLi16ELi32ELi8ELb0ELb0ELc84ELc76EKPKdKPdEviT_T0_PT8_S5_lS8_S5_lS6_PT9_S5_li.private_seg_size, 0
	.set _ZL34rocblas_syrkx_herkx_general_kernelIldLi16ELi32ELi8ELb0ELb0ELc84ELc76EKPKdKPdEviT_T0_PT8_S5_lS8_S5_lS6_PT9_S5_li.uses_vcc, 1
	.set _ZL34rocblas_syrkx_herkx_general_kernelIldLi16ELi32ELi8ELb0ELb0ELc84ELc76EKPKdKPdEviT_T0_PT8_S5_lS8_S5_lS6_PT9_S5_li.uses_flat_scratch, 0
	.set _ZL34rocblas_syrkx_herkx_general_kernelIldLi16ELi32ELi8ELb0ELb0ELc84ELc76EKPKdKPdEviT_T0_PT8_S5_lS8_S5_lS6_PT9_S5_li.has_dyn_sized_stack, 0
	.set _ZL34rocblas_syrkx_herkx_general_kernelIldLi16ELi32ELi8ELb0ELb0ELc84ELc76EKPKdKPdEviT_T0_PT8_S5_lS8_S5_lS6_PT9_S5_li.has_recursion, 0
	.set _ZL34rocblas_syrkx_herkx_general_kernelIldLi16ELi32ELi8ELb0ELb0ELc84ELc76EKPKdKPdEviT_T0_PT8_S5_lS8_S5_lS6_PT9_S5_li.has_indirect_call, 0
	.section	.AMDGPU.csdata,"",@progbits
; Kernel info:
; codeLenInByte = 1532
; TotalNumSgprs: 29
; NumVgprs: 40
; ScratchSize: 0
; MemoryBound: 0
; FloatMode: 240
; IeeeMode: 1
; LDSByteSize: 4096 bytes/workgroup (compile time only)
; SGPRBlocks: 3
; VGPRBlocks: 9
; NumSGPRsForWavesPerEU: 29
; NumVGPRsForWavesPerEU: 40
; Occupancy: 6
; WaveLimiterHint : 1
; COMPUTE_PGM_RSRC2:SCRATCH_EN: 0
; COMPUTE_PGM_RSRC2:USER_SGPR: 6
; COMPUTE_PGM_RSRC2:TRAP_HANDLER: 0
; COMPUTE_PGM_RSRC2:TGID_X_EN: 1
; COMPUTE_PGM_RSRC2:TGID_Y_EN: 1
; COMPUTE_PGM_RSRC2:TGID_Z_EN: 1
; COMPUTE_PGM_RSRC2:TIDIG_COMP_CNT: 1
	.section	.text._ZL34rocblas_syrkx_herkx_general_kernelIldLi16ELi32ELi8ELb0ELb0ELc67ELc76EKPKdKPdEviT_T0_PT8_S5_lS8_S5_lS6_PT9_S5_li,"axG",@progbits,_ZL34rocblas_syrkx_herkx_general_kernelIldLi16ELi32ELi8ELb0ELb0ELc67ELc76EKPKdKPdEviT_T0_PT8_S5_lS8_S5_lS6_PT9_S5_li,comdat
	.globl	_ZL34rocblas_syrkx_herkx_general_kernelIldLi16ELi32ELi8ELb0ELb0ELc67ELc76EKPKdKPdEviT_T0_PT8_S5_lS8_S5_lS6_PT9_S5_li ; -- Begin function _ZL34rocblas_syrkx_herkx_general_kernelIldLi16ELi32ELi8ELb0ELb0ELc67ELc76EKPKdKPdEviT_T0_PT8_S5_lS8_S5_lS6_PT9_S5_li
	.p2align	8
	.type	_ZL34rocblas_syrkx_herkx_general_kernelIldLi16ELi32ELi8ELb0ELb0ELc67ELc76EKPKdKPdEviT_T0_PT8_S5_lS8_S5_lS6_PT9_S5_li,@function
_ZL34rocblas_syrkx_herkx_general_kernelIldLi16ELi32ELi8ELb0ELb0ELc67ELc76EKPKdKPdEviT_T0_PT8_S5_lS8_S5_lS6_PT9_S5_li: ; @_ZL34rocblas_syrkx_herkx_general_kernelIldLi16ELi32ELi8ELb0ELb0ELc67ELc76EKPKdKPdEviT_T0_PT8_S5_lS8_S5_lS6_PT9_S5_li
; %bb.0:
	s_load_dwordx2 s[10:11], s[4:5], 0x58
	s_load_dwordx4 s[20:23], s[4:5], 0x48
	s_load_dword s24, s[4:5], 0x0
	s_load_dwordx8 s[12:19], s[4:5], 0x8
	s_mov_b32 s9, 0
	s_lshl_b64 s[0:1], s[8:9], 3
	s_waitcnt lgkmcnt(0)
	s_add_u32 s2, s22, s0
	s_addc_u32 s3, s23, s1
	s_load_dwordx2 s[8:9], s[2:3], 0x0
	v_cmp_lt_i64_e64 s[2:3], s[12:13], 1
	s_lshl_b32 s22, s6, 5
	s_lshl_b32 s23, s7, 5
	s_and_b64 vcc, exec, s[2:3]
	s_cbranch_vccnz .LBB1532_7
; %bb.1:
	s_load_dwordx4 s[4:7], s[4:5], 0x30
	v_lshl_add_u32 v2, v1, 4, v0
	v_and_b32_e32 v5, 31, v2
	v_or_b32_e32 v6, s22, v5
	v_and_b32_e32 v19, 7, v0
	s_waitcnt lgkmcnt(0)
	s_add_u32 s2, s4, s0
	s_addc_u32 s3, s5, s1
	s_add_u32 s0, s16, s0
	s_addc_u32 s1, s17, s1
	v_lshrrev_b32_e32 v3, 3, v2
	v_lshrrev_b32_e32 v18, 5, v2
	s_load_dwordx2 s[16:17], s[0:1], 0x0
	v_cmp_gt_i32_e64 s[0:1], s24, v6
	v_lshlrev_b32_e32 v2, 3, v5
	v_lshlrev_b32_e32 v6, 3, v19
	v_lshl_or_b32 v20, v18, 8, v2
	v_lshl_or_b32 v2, v3, 6, v6
	v_add_u32_e32 v21, 0x800, v2
	v_add_u32_e32 v2, s22, v5
	;; [unrolled: 1-line block ×3, first 2 shown]
	v_ashrrev_i32_e32 v3, 31, v2
	v_mul_lo_u32 v5, s18, v3
	v_mul_lo_u32 v8, s19, v2
	v_mad_u64_u32 v[2:3], s[18:19], s18, v2, 0
	v_ashrrev_i32_e32 v7, 31, v4
	v_mul_lo_u32 v7, s6, v7
	v_add3_u32 v3, v3, v5, v8
	v_lshlrev_b64 v[2:3], 3, v[2:3]
	v_lshlrev_b32_e32 v5, 3, v18
	v_add_co_u32_e32 v5, vcc, v2, v5
	v_addc_co_u32_e32 v8, vcc, 0, v3, vcc
	v_mul_lo_u32 v10, s7, v4
	v_mad_u64_u32 v[2:3], s[6:7], s6, v4, 0
	s_load_dwordx2 s[4:5], s[2:3], 0x0
	v_mov_b32_e32 v9, 0x800
	v_add3_u32 v3, v3, v7, v10
	v_cmp_gt_i32_e64 s[2:3], s24, v4
	v_lshl_add_u32 v23, v1, 6, v9
	s_waitcnt lgkmcnt(0)
	v_mov_b32_e32 v9, s17
	v_add_co_u32_e32 v4, vcc, s16, v5
	v_lshlrev_b64 v[2:3], 3, v[2:3]
	v_addc_co_u32_e32 v5, vcc, v9, v8, vcc
	v_add_co_u32_e32 v2, vcc, v2, v6
	v_addc_co_u32_e32 v3, vcc, 0, v3, vcc
	v_mov_b32_e32 v7, s5
	v_add_co_u32_e32 v6, vcc, s4, v2
	v_addc_co_u32_e32 v7, vcc, v7, v3, vcc
	v_mov_b32_e32 v2, 0
	v_mov_b32_e32 v8, 0
	;; [unrolled: 1-line block ×5, first 2 shown]
	v_lshlrev_b32_e32 v22, 3, v0
	s_mov_b64 s[6:7], 0
	v_mov_b32_e32 v3, 0
	v_mov_b32_e32 v9, 0
	;; [unrolled: 1-line block ×5, first 2 shown]
	s_branch .LBB1532_3
.LBB1532_2:                             ;   in Loop: Header=BB1532_3 Depth=1
	s_or_b64 exec, exec, s[4:5]
	s_waitcnt vmcnt(0) lgkmcnt(0)
	ds_write_b64 v21, v[16:17]
	s_waitcnt lgkmcnt(0)
	s_barrier
	ds_read2_b64 v[24:27], v22 offset1:16
	ds_read_b128 v[28:31], v23
	ds_read_b128 v[32:35], v23 offset:1024
	ds_read_b128 v[36:39], v23 offset:16
	s_add_u32 s6, s6, 8
	v_add_co_u32_e32 v4, vcc, 64, v4
	s_waitcnt lgkmcnt(2)
	v_fma_f64 v[16:17], v[24:25], v[28:29], v[14:15]
	v_fma_f64 v[28:29], v[26:27], v[28:29], v[12:13]
	s_waitcnt lgkmcnt(1)
	v_fma_f64 v[8:9], v[24:25], v[32:33], v[8:9]
	v_fma_f64 v[2:3], v[26:27], v[32:33], v[2:3]
	ds_read2_b64 v[24:27], v22 offset0:32 offset1:48
	ds_read_b128 v[12:15], v23 offset:1040
	v_addc_co_u32_e32 v5, vcc, 0, v5, vcc
	s_addc_u32 s7, s7, 0
	s_waitcnt lgkmcnt(1)
	v_fma_f64 v[28:29], v[26:27], v[30:31], v[28:29]
	v_fma_f64 v[16:17], v[24:25], v[30:31], v[16:17]
	;; [unrolled: 1-line block ×4, first 2 shown]
	ds_read2_b64 v[24:27], v22 offset0:64 offset1:80
	v_cmp_ge_i64_e32 vcc, s[6:7], v[10:11]
	v_add_co_u32_e64 v6, s[4:5], 64, v6
	v_addc_co_u32_e64 v7, s[4:5], 0, v7, s[4:5]
	s_waitcnt lgkmcnt(0)
	v_fma_f64 v[32:33], v[26:27], v[36:37], v[28:29]
	ds_read2_b64 v[28:31], v22 offset0:96 offset1:112
	v_fma_f64 v[16:17], v[24:25], v[36:37], v[16:17]
	s_and_b64 vcc, exec, vcc
	s_waitcnt lgkmcnt(0)
	v_fma_f64 v[36:37], v[30:31], v[38:39], v[32:33]
	ds_read_b128 v[32:35], v23 offset:32
	v_fma_f64 v[8:9], v[24:25], v[12:13], v[8:9]
	v_fma_f64 v[2:3], v[26:27], v[12:13], v[2:3]
	;; [unrolled: 1-line block ×3, first 2 shown]
	ds_read2_b64 v[24:27], v22 offset0:128 offset1:144
	v_fma_f64 v[8:9], v[28:29], v[14:15], v[8:9]
	v_fma_f64 v[2:3], v[30:31], v[14:15], v[2:3]
	ds_read_b128 v[12:15], v23 offset:1056
	ds_read_b128 v[28:31], v23 offset:48
	s_waitcnt lgkmcnt(2)
	v_fma_f64 v[16:17], v[24:25], v[32:33], v[16:17]
	v_fma_f64 v[32:33], v[26:27], v[32:33], v[36:37]
	ds_read_b128 v[36:39], v23 offset:1072
	s_waitcnt lgkmcnt(2)
	v_fma_f64 v[8:9], v[24:25], v[12:13], v[8:9]
	v_fma_f64 v[2:3], v[26:27], v[12:13], v[2:3]
	ds_read2_b64 v[24:27], v22 offset0:160 offset1:176
	s_waitcnt lgkmcnt(0)
	v_fma_f64 v[16:17], v[24:25], v[34:35], v[16:17]
	v_fma_f64 v[32:33], v[26:27], v[34:35], v[32:33]
	;; [unrolled: 1-line block ×4, first 2 shown]
	ds_read2_b64 v[12:15], v22 offset0:192 offset1:208
	ds_read2_b64 v[24:27], v22 offset0:224 offset1:240
	s_waitcnt lgkmcnt(0)
	s_barrier
	v_fma_f64 v[16:17], v[12:13], v[28:29], v[16:17]
	v_fma_f64 v[28:29], v[14:15], v[28:29], v[32:33]
	;; [unrolled: 1-line block ×8, first 2 shown]
	s_cbranch_vccnz .LBB1532_8
.LBB1532_3:                             ; =>This Inner Loop Header: Depth=1
	v_mov_b32_e32 v17, s7
	v_add_co_u32_e32 v16, vcc, s6, v18
	v_addc_co_u32_e32 v17, vcc, 0, v17, vcc
	v_cmp_gt_i64_e32 vcc, s[12:13], v[16:17]
	v_mov_b32_e32 v16, 0
	v_mov_b32_e32 v17, 0
	s_and_b64 s[16:17], s[0:1], vcc
	s_and_saveexec_b64 s[4:5], s[16:17]
	s_cbranch_execz .LBB1532_5
; %bb.4:                                ;   in Loop: Header=BB1532_3 Depth=1
	flat_load_dwordx2 v[16:17], v[4:5]
.LBB1532_5:                             ;   in Loop: Header=BB1532_3 Depth=1
	s_or_b64 exec, exec, s[4:5]
	s_waitcnt vmcnt(0) lgkmcnt(0)
	ds_write_b64 v20, v[16:17]
	v_mov_b32_e32 v17, s7
	v_add_co_u32_e32 v16, vcc, s6, v19
	v_addc_co_u32_e32 v17, vcc, 0, v17, vcc
	v_cmp_gt_i64_e32 vcc, s[12:13], v[16:17]
	v_mov_b32_e32 v16, 0
	v_mov_b32_e32 v17, 0
	s_and_b64 s[16:17], vcc, s[2:3]
	s_and_saveexec_b64 s[4:5], s[16:17]
	s_cbranch_execz .LBB1532_2
; %bb.6:                                ;   in Loop: Header=BB1532_3 Depth=1
	flat_load_dwordx2 v[16:17], v[6:7]
	s_branch .LBB1532_2
.LBB1532_7:
	v_mov_b32_e32 v14, 0
	v_mov_b32_e32 v12, 0
	;; [unrolled: 1-line block ×8, first 2 shown]
.LBB1532_8:
	v_add_u32_e32 v6, s23, v1
	v_ashrrev_i32_e32 v1, 31, v6
	v_mul_lo_u32 v1, s10, v1
	v_mul_lo_u32 v7, s11, v6
	v_mad_u64_u32 v[4:5], s[0:1], s10, v6, 0
	v_add_u32_e32 v0, s22, v0
	v_cmp_le_i32_e64 s[0:1], v6, v0
	v_add3_u32 v5, v5, v1, v7
	v_lshlrev_b64 v[4:5], 3, v[4:5]
	s_waitcnt lgkmcnt(0)
	v_mov_b32_e32 v1, s9
	v_add_co_u32_e32 v7, vcc, s8, v4
	v_addc_co_u32_e32 v10, vcc, v1, v5, vcc
	v_cmp_gt_i32_e32 vcc, s24, v0
	s_and_b64 s[0:1], s[0:1], vcc
	s_and_saveexec_b64 s[2:3], s[0:1]
	s_cbranch_execz .LBB1532_10
; %bb.9:
	v_ashrrev_i32_e32 v1, 31, v0
	v_lshlrev_b64 v[4:5], 3, v[0:1]
	v_add_co_u32_e64 v4, s[0:1], v7, v4
	v_addc_co_u32_e64 v5, s[0:1], v10, v5, s[0:1]
	flat_load_dwordx2 v[16:17], v[4:5]
	s_waitcnt vmcnt(0) lgkmcnt(0)
	v_mul_f64 v[16:17], s[20:21], v[16:17]
	v_fma_f64 v[14:15], s[14:15], v[14:15], v[16:17]
	flat_store_dwordx2 v[4:5], v[14:15]
.LBB1532_10:
	s_or_b64 exec, exec, s[2:3]
	v_add_u32_e32 v4, 16, v0
	v_cmp_le_i32_e64 s[2:3], v6, v4
	v_cmp_gt_i32_e64 s[0:1], s24, v4
	s_and_b64 s[2:3], s[2:3], s[0:1]
	s_and_saveexec_b64 s[4:5], s[2:3]
	s_cbranch_execz .LBB1532_12
; %bb.11:
	v_ashrrev_i32_e32 v5, 31, v4
	v_lshlrev_b64 v[14:15], 3, v[4:5]
	v_add_co_u32_e64 v14, s[2:3], v7, v14
	v_addc_co_u32_e64 v15, s[2:3], v10, v15, s[2:3]
	flat_load_dwordx2 v[10:11], v[14:15]
	s_waitcnt vmcnt(0) lgkmcnt(0)
	v_mul_f64 v[10:11], s[20:21], v[10:11]
	v_fma_f64 v[10:11], s[14:15], v[12:13], v[10:11]
	flat_store_dwordx2 v[14:15], v[10:11]
.LBB1532_12:
	s_or_b64 exec, exec, s[4:5]
	v_add_u32_e32 v5, 16, v6
	v_ashrrev_i32_e32 v1, 31, v5
	v_mul_lo_u32 v10, s11, v5
	v_mad_u64_u32 v[6:7], s[2:3], s10, v5, 0
	v_mul_lo_u32 v1, s10, v1
	v_add3_u32 v7, v7, v1, v10
	v_lshlrev_b64 v[6:7], 3, v[6:7]
	v_mov_b32_e32 v1, s9
	v_add_co_u32_e64 v6, s[2:3], s8, v6
	v_addc_co_u32_e64 v7, s[2:3], v1, v7, s[2:3]
	v_cmp_le_i32_e64 s[2:3], v5, v0
	s_and_b64 s[4:5], s[2:3], vcc
	s_and_saveexec_b64 s[2:3], s[4:5]
	s_cbranch_execz .LBB1532_14
; %bb.13:
	v_ashrrev_i32_e32 v1, 31, v0
	v_lshlrev_b64 v[0:1], 3, v[0:1]
	v_add_co_u32_e32 v0, vcc, v6, v0
	v_addc_co_u32_e32 v1, vcc, v7, v1, vcc
	flat_load_dwordx2 v[10:11], v[0:1]
	s_waitcnt vmcnt(0) lgkmcnt(0)
	v_mul_f64 v[10:11], s[20:21], v[10:11]
	v_fma_f64 v[8:9], s[14:15], v[8:9], v[10:11]
	flat_store_dwordx2 v[0:1], v[8:9]
.LBB1532_14:
	s_or_b64 exec, exec, s[2:3]
	v_cmp_le_i32_e32 vcc, v5, v4
	s_and_b64 s[0:1], vcc, s[0:1]
	s_and_saveexec_b64 s[2:3], s[0:1]
	s_cbranch_execz .LBB1532_16
; %bb.15:
	v_ashrrev_i32_e32 v5, 31, v4
	v_lshlrev_b64 v[0:1], 3, v[4:5]
	v_add_co_u32_e32 v0, vcc, v6, v0
	v_addc_co_u32_e32 v1, vcc, v7, v1, vcc
	flat_load_dwordx2 v[4:5], v[0:1]
	s_waitcnt vmcnt(0) lgkmcnt(0)
	v_mul_f64 v[4:5], s[20:21], v[4:5]
	v_fma_f64 v[2:3], s[14:15], v[2:3], v[4:5]
	flat_store_dwordx2 v[0:1], v[2:3]
.LBB1532_16:
	s_endpgm
	.section	.rodata,"a",@progbits
	.p2align	6, 0x0
	.amdhsa_kernel _ZL34rocblas_syrkx_herkx_general_kernelIldLi16ELi32ELi8ELb0ELb0ELc67ELc76EKPKdKPdEviT_T0_PT8_S5_lS8_S5_lS6_PT9_S5_li
		.amdhsa_group_segment_fixed_size 4096
		.amdhsa_private_segment_fixed_size 0
		.amdhsa_kernarg_size 108
		.amdhsa_user_sgpr_count 6
		.amdhsa_user_sgpr_private_segment_buffer 1
		.amdhsa_user_sgpr_dispatch_ptr 0
		.amdhsa_user_sgpr_queue_ptr 0
		.amdhsa_user_sgpr_kernarg_segment_ptr 1
		.amdhsa_user_sgpr_dispatch_id 0
		.amdhsa_user_sgpr_flat_scratch_init 0
		.amdhsa_user_sgpr_private_segment_size 0
		.amdhsa_uses_dynamic_stack 0
		.amdhsa_system_sgpr_private_segment_wavefront_offset 0
		.amdhsa_system_sgpr_workgroup_id_x 1
		.amdhsa_system_sgpr_workgroup_id_y 1
		.amdhsa_system_sgpr_workgroup_id_z 1
		.amdhsa_system_sgpr_workgroup_info 0
		.amdhsa_system_vgpr_workitem_id 1
		.amdhsa_next_free_vgpr 40
		.amdhsa_next_free_sgpr 25
		.amdhsa_reserve_vcc 1
		.amdhsa_reserve_flat_scratch 0
		.amdhsa_float_round_mode_32 0
		.amdhsa_float_round_mode_16_64 0
		.amdhsa_float_denorm_mode_32 3
		.amdhsa_float_denorm_mode_16_64 3
		.amdhsa_dx10_clamp 1
		.amdhsa_ieee_mode 1
		.amdhsa_fp16_overflow 0
		.amdhsa_exception_fp_ieee_invalid_op 0
		.amdhsa_exception_fp_denorm_src 0
		.amdhsa_exception_fp_ieee_div_zero 0
		.amdhsa_exception_fp_ieee_overflow 0
		.amdhsa_exception_fp_ieee_underflow 0
		.amdhsa_exception_fp_ieee_inexact 0
		.amdhsa_exception_int_div_zero 0
	.end_amdhsa_kernel
	.section	.text._ZL34rocblas_syrkx_herkx_general_kernelIldLi16ELi32ELi8ELb0ELb0ELc67ELc76EKPKdKPdEviT_T0_PT8_S5_lS8_S5_lS6_PT9_S5_li,"axG",@progbits,_ZL34rocblas_syrkx_herkx_general_kernelIldLi16ELi32ELi8ELb0ELb0ELc67ELc76EKPKdKPdEviT_T0_PT8_S5_lS8_S5_lS6_PT9_S5_li,comdat
.Lfunc_end1532:
	.size	_ZL34rocblas_syrkx_herkx_general_kernelIldLi16ELi32ELi8ELb0ELb0ELc67ELc76EKPKdKPdEviT_T0_PT8_S5_lS8_S5_lS6_PT9_S5_li, .Lfunc_end1532-_ZL34rocblas_syrkx_herkx_general_kernelIldLi16ELi32ELi8ELb0ELb0ELc67ELc76EKPKdKPdEviT_T0_PT8_S5_lS8_S5_lS6_PT9_S5_li
                                        ; -- End function
	.set _ZL34rocblas_syrkx_herkx_general_kernelIldLi16ELi32ELi8ELb0ELb0ELc67ELc76EKPKdKPdEviT_T0_PT8_S5_lS8_S5_lS6_PT9_S5_li.num_vgpr, 40
	.set _ZL34rocblas_syrkx_herkx_general_kernelIldLi16ELi32ELi8ELb0ELb0ELc67ELc76EKPKdKPdEviT_T0_PT8_S5_lS8_S5_lS6_PT9_S5_li.num_agpr, 0
	.set _ZL34rocblas_syrkx_herkx_general_kernelIldLi16ELi32ELi8ELb0ELb0ELc67ELc76EKPKdKPdEviT_T0_PT8_S5_lS8_S5_lS6_PT9_S5_li.numbered_sgpr, 25
	.set _ZL34rocblas_syrkx_herkx_general_kernelIldLi16ELi32ELi8ELb0ELb0ELc67ELc76EKPKdKPdEviT_T0_PT8_S5_lS8_S5_lS6_PT9_S5_li.num_named_barrier, 0
	.set _ZL34rocblas_syrkx_herkx_general_kernelIldLi16ELi32ELi8ELb0ELb0ELc67ELc76EKPKdKPdEviT_T0_PT8_S5_lS8_S5_lS6_PT9_S5_li.private_seg_size, 0
	.set _ZL34rocblas_syrkx_herkx_general_kernelIldLi16ELi32ELi8ELb0ELb0ELc67ELc76EKPKdKPdEviT_T0_PT8_S5_lS8_S5_lS6_PT9_S5_li.uses_vcc, 1
	.set _ZL34rocblas_syrkx_herkx_general_kernelIldLi16ELi32ELi8ELb0ELb0ELc67ELc76EKPKdKPdEviT_T0_PT8_S5_lS8_S5_lS6_PT9_S5_li.uses_flat_scratch, 0
	.set _ZL34rocblas_syrkx_herkx_general_kernelIldLi16ELi32ELi8ELb0ELb0ELc67ELc76EKPKdKPdEviT_T0_PT8_S5_lS8_S5_lS6_PT9_S5_li.has_dyn_sized_stack, 0
	.set _ZL34rocblas_syrkx_herkx_general_kernelIldLi16ELi32ELi8ELb0ELb0ELc67ELc76EKPKdKPdEviT_T0_PT8_S5_lS8_S5_lS6_PT9_S5_li.has_recursion, 0
	.set _ZL34rocblas_syrkx_herkx_general_kernelIldLi16ELi32ELi8ELb0ELb0ELc67ELc76EKPKdKPdEviT_T0_PT8_S5_lS8_S5_lS6_PT9_S5_li.has_indirect_call, 0
	.section	.AMDGPU.csdata,"",@progbits
; Kernel info:
; codeLenInByte = 1532
; TotalNumSgprs: 29
; NumVgprs: 40
; ScratchSize: 0
; MemoryBound: 0
; FloatMode: 240
; IeeeMode: 1
; LDSByteSize: 4096 bytes/workgroup (compile time only)
; SGPRBlocks: 3
; VGPRBlocks: 9
; NumSGPRsForWavesPerEU: 29
; NumVGPRsForWavesPerEU: 40
; Occupancy: 6
; WaveLimiterHint : 1
; COMPUTE_PGM_RSRC2:SCRATCH_EN: 0
; COMPUTE_PGM_RSRC2:USER_SGPR: 6
; COMPUTE_PGM_RSRC2:TRAP_HANDLER: 0
; COMPUTE_PGM_RSRC2:TGID_X_EN: 1
; COMPUTE_PGM_RSRC2:TGID_Y_EN: 1
; COMPUTE_PGM_RSRC2:TGID_Z_EN: 1
; COMPUTE_PGM_RSRC2:TIDIG_COMP_CNT: 1
	.section	.text._ZL34rocblas_syrkx_herkx_general_kernelIldLi16ELi32ELi8ELb0ELb0ELc78ELc76EKPKdKPdEviT_T0_PT8_S5_lS8_S5_lS6_PT9_S5_li,"axG",@progbits,_ZL34rocblas_syrkx_herkx_general_kernelIldLi16ELi32ELi8ELb0ELb0ELc78ELc76EKPKdKPdEviT_T0_PT8_S5_lS8_S5_lS6_PT9_S5_li,comdat
	.globl	_ZL34rocblas_syrkx_herkx_general_kernelIldLi16ELi32ELi8ELb0ELb0ELc78ELc76EKPKdKPdEviT_T0_PT8_S5_lS8_S5_lS6_PT9_S5_li ; -- Begin function _ZL34rocblas_syrkx_herkx_general_kernelIldLi16ELi32ELi8ELb0ELb0ELc78ELc76EKPKdKPdEviT_T0_PT8_S5_lS8_S5_lS6_PT9_S5_li
	.p2align	8
	.type	_ZL34rocblas_syrkx_herkx_general_kernelIldLi16ELi32ELi8ELb0ELb0ELc78ELc76EKPKdKPdEviT_T0_PT8_S5_lS8_S5_lS6_PT9_S5_li,@function
_ZL34rocblas_syrkx_herkx_general_kernelIldLi16ELi32ELi8ELb0ELb0ELc78ELc76EKPKdKPdEviT_T0_PT8_S5_lS8_S5_lS6_PT9_S5_li: ; @_ZL34rocblas_syrkx_herkx_general_kernelIldLi16ELi32ELi8ELb0ELb0ELc78ELc76EKPKdKPdEviT_T0_PT8_S5_lS8_S5_lS6_PT9_S5_li
; %bb.0:
	s_load_dwordx2 s[10:11], s[4:5], 0x58
	s_load_dwordx4 s[20:23], s[4:5], 0x48
	s_load_dword s24, s[4:5], 0x0
	s_load_dwordx8 s[12:19], s[4:5], 0x8
	s_mov_b32 s9, 0
	s_lshl_b64 s[0:1], s[8:9], 3
	s_waitcnt lgkmcnt(0)
	s_add_u32 s2, s22, s0
	s_addc_u32 s3, s23, s1
	s_load_dwordx2 s[8:9], s[2:3], 0x0
	v_cmp_lt_i64_e64 s[2:3], s[12:13], 1
	s_lshl_b32 s22, s6, 5
	s_lshl_b32 s23, s7, 5
	s_and_b64 vcc, exec, s[2:3]
	s_cbranch_vccnz .LBB1533_7
; %bb.1:
	s_load_dwordx4 s[4:7], s[4:5], 0x30
	v_lshl_add_u32 v2, v1, 4, v0
	v_and_b32_e32 v8, 31, v2
	v_lshrrev_b32_e32 v5, 3, v2
	v_or_b32_e32 v3, s22, v8
	s_waitcnt lgkmcnt(0)
	s_add_u32 s2, s4, s0
	s_addc_u32 s3, s5, s1
	s_add_u32 s0, s16, s0
	v_lshrrev_b32_e32 v16, 5, v2
	s_addc_u32 s1, s17, s1
	v_lshlrev_b32_e32 v2, 3, v8
	s_load_dwordx2 s[16:17], s[0:1], 0x0
	v_cmp_gt_i32_e64 s[0:1], s24, v3
	v_lshl_or_b32 v18, v16, 8, v2
	v_mad_u64_u32 v[2:3], s[26:27], s18, v16, 0
	v_and_b32_e32 v17, 7, v0
	v_add_u32_e32 v4, s23, v5
	v_lshlrev_b32_e32 v6, 3, v17
	v_lshl_or_b32 v5, v5, 6, v6
	v_mad_u64_u32 v[6:7], s[26:27], s19, v16, v[3:4]
	v_mov_b32_e32 v3, 0x800
	v_lshl_add_u32 v21, v1, 6, v3
	v_mov_b32_e32 v3, v6
	v_add_u32_e32 v6, s22, v8
	v_ashrrev_i32_e32 v7, 31, v6
	v_mad_u64_u32 v[8:9], s[26:27], s6, v17, 0
	v_lshlrev_b64 v[2:3], 3, v[2:3]
	v_lshlrev_b64 v[6:7], 3, v[6:7]
	s_load_dwordx2 s[4:5], s[2:3], 0x0
	v_add_co_u32_e32 v10, vcc, v2, v6
	v_addc_co_u32_e32 v3, vcc, v3, v7, vcc
	v_mov_b32_e32 v2, v9
	v_mad_u64_u32 v[6:7], s[26:27], s7, v17, v[2:3]
	v_add_u32_e32 v19, 0x800, v5
	v_ashrrev_i32_e32 v5, 31, v4
	v_mov_b32_e32 v9, v6
	v_cmp_gt_i32_e64 s[2:3], s24, v4
	s_waitcnt lgkmcnt(0)
	v_mov_b32_e32 v11, s17
	v_add_co_u32_e32 v2, vcc, s16, v10
	v_lshlrev_b64 v[6:7], 3, v[8:9]
	v_lshlrev_b64 v[4:5], 3, v[4:5]
	v_addc_co_u32_e32 v3, vcc, v11, v3, vcc
	v_add_co_u32_e32 v4, vcc, v6, v4
	v_addc_co_u32_e32 v5, vcc, v7, v5, vcc
	v_mov_b32_e32 v7, s5
	v_add_co_u32_e32 v6, vcc, s4, v4
	s_lshl_b64 s[16:17], s[18:19], 6
	v_addc_co_u32_e32 v7, vcc, v7, v5, vcc
	s_lshl_b64 s[6:7], s[6:7], 6
	v_mov_b32_e32 v4, 0
	v_mov_b32_e32 v8, 0
	;; [unrolled: 1-line block ×4, first 2 shown]
	v_lshlrev_b32_e32 v20, 3, v0
	s_mov_b64 s[18:19], 0
	v_mov_b32_e32 v5, 0
	v_mov_b32_e32 v22, s17
	;; [unrolled: 1-line block ×6, first 2 shown]
	s_branch .LBB1533_3
.LBB1533_2:                             ;   in Loop: Header=BB1533_3 Depth=1
	s_or_b64 exec, exec, s[4:5]
	s_waitcnt vmcnt(0) lgkmcnt(0)
	ds_write_b64 v19, v[14:15]
	s_waitcnt lgkmcnt(0)
	s_barrier
	ds_read2_b64 v[24:27], v20 offset1:16
	ds_read_b128 v[28:31], v21
	ds_read_b128 v[32:35], v21 offset:1024
	ds_read_b128 v[36:39], v21 offset:16
	s_add_u32 s18, s18, 8
	v_add_co_u32_e32 v2, vcc, s16, v2
	s_waitcnt lgkmcnt(2)
	v_fma_f64 v[14:15], v[24:25], v[28:29], v[12:13]
	v_fma_f64 v[28:29], v[26:27], v[28:29], v[10:11]
	s_waitcnt lgkmcnt(1)
	v_fma_f64 v[8:9], v[24:25], v[32:33], v[8:9]
	v_fma_f64 v[4:5], v[26:27], v[32:33], v[4:5]
	ds_read2_b64 v[24:27], v20 offset0:32 offset1:48
	ds_read_b128 v[10:13], v21 offset:1040
	v_addc_co_u32_e32 v3, vcc, v3, v22, vcc
	s_addc_u32 s19, s19, 0
	s_waitcnt lgkmcnt(1)
	v_fma_f64 v[14:15], v[24:25], v[30:31], v[14:15]
	v_fma_f64 v[28:29], v[26:27], v[30:31], v[28:29]
	;; [unrolled: 1-line block ×4, first 2 shown]
	ds_read2_b64 v[24:27], v20 offset0:64 offset1:80
	v_add_co_u32_e64 v6, s[4:5], s6, v6
	v_addc_co_u32_e64 v7, s[4:5], v7, v23, s[4:5]
	s_waitcnt lgkmcnt(0)
	v_fma_f64 v[14:15], v[24:25], v[36:37], v[14:15]
	v_fma_f64 v[32:33], v[26:27], v[36:37], v[28:29]
	;; [unrolled: 1-line block ×4, first 2 shown]
	ds_read2_b64 v[28:31], v20 offset0:96 offset1:112
	ds_read2_b64 v[8:11], v20 offset0:128 offset1:144
	ds_read_b128 v[24:27], v21 offset:32
	s_waitcnt lgkmcnt(2)
	v_fma_f64 v[36:37], v[28:29], v[38:39], v[14:15]
	v_fma_f64 v[32:33], v[30:31], v[38:39], v[32:33]
	;; [unrolled: 1-line block ×4, first 2 shown]
	ds_read_b128 v[12:15], v21 offset:1056
	ds_read_b128 v[28:31], v21 offset:48
	s_waitcnt lgkmcnt(2)
	v_fma_f64 v[36:37], v[8:9], v[24:25], v[36:37]
	v_fma_f64 v[24:25], v[10:11], v[24:25], v[32:33]
	s_waitcnt lgkmcnt(1)
	v_fma_f64 v[38:39], v[8:9], v[12:13], v[38:39]
	v_fma_f64 v[4:5], v[10:11], v[12:13], v[4:5]
	ds_read2_b64 v[8:11], v20 offset0:160 offset1:176
	ds_read_b128 v[32:35], v21 offset:1072
	s_waitcnt lgkmcnt(1)
	v_fma_f64 v[12:13], v[8:9], v[26:27], v[36:37]
	v_fma_f64 v[36:37], v[10:11], v[26:27], v[24:25]
	;; [unrolled: 1-line block ×4, first 2 shown]
	ds_read2_b64 v[8:11], v20 offset0:192 offset1:208
	ds_read2_b64 v[24:27], v20 offset0:224 offset1:240
	v_mov_b32_e32 v15, s13
	v_mov_b32_e32 v14, s12
	v_cmp_ge_i64_e32 vcc, s[18:19], v[14:15]
	s_waitcnt lgkmcnt(1)
	v_fma_f64 v[12:13], v[8:9], v[28:29], v[12:13]
	v_fma_f64 v[28:29], v[10:11], v[28:29], v[36:37]
	;; [unrolled: 1-line block ×4, first 2 shown]
	s_and_b64 vcc, exec, vcc
	s_waitcnt lgkmcnt(0)
	s_barrier
	v_fma_f64 v[12:13], v[24:25], v[30:31], v[12:13]
	v_fma_f64 v[10:11], v[26:27], v[30:31], v[28:29]
	;; [unrolled: 1-line block ×4, first 2 shown]
	s_cbranch_vccnz .LBB1533_8
.LBB1533_3:                             ; =>This Inner Loop Header: Depth=1
	v_mov_b32_e32 v15, s19
	v_add_co_u32_e32 v14, vcc, s18, v16
	v_addc_co_u32_e32 v15, vcc, 0, v15, vcc
	v_cmp_gt_i64_e32 vcc, s[12:13], v[14:15]
	v_mov_b32_e32 v14, 0
	v_mov_b32_e32 v15, 0
	s_and_b64 s[26:27], s[0:1], vcc
	s_and_saveexec_b64 s[4:5], s[26:27]
	s_cbranch_execz .LBB1533_5
; %bb.4:                                ;   in Loop: Header=BB1533_3 Depth=1
	flat_load_dwordx2 v[14:15], v[2:3]
.LBB1533_5:                             ;   in Loop: Header=BB1533_3 Depth=1
	s_or_b64 exec, exec, s[4:5]
	s_waitcnt vmcnt(0) lgkmcnt(0)
	ds_write_b64 v18, v[14:15]
	v_mov_b32_e32 v15, s19
	v_add_co_u32_e32 v14, vcc, s18, v17
	v_addc_co_u32_e32 v15, vcc, 0, v15, vcc
	v_cmp_gt_i64_e32 vcc, s[12:13], v[14:15]
	v_mov_b32_e32 v14, 0
	v_mov_b32_e32 v15, 0
	s_and_b64 s[26:27], vcc, s[2:3]
	s_and_saveexec_b64 s[4:5], s[26:27]
	s_cbranch_execz .LBB1533_2
; %bb.6:                                ;   in Loop: Header=BB1533_3 Depth=1
	flat_load_dwordx2 v[14:15], v[6:7]
	s_branch .LBB1533_2
.LBB1533_7:
	v_mov_b32_e32 v12, 0
	v_mov_b32_e32 v10, 0
	;; [unrolled: 1-line block ×8, first 2 shown]
.LBB1533_8:
	v_add_u32_e32 v6, s23, v1
	v_ashrrev_i32_e32 v1, 31, v6
	v_mul_lo_u32 v3, s10, v1
	v_mul_lo_u32 v7, s11, v6
	v_mad_u64_u32 v[1:2], s[0:1], s10, v6, 0
	v_add_u32_e32 v0, s22, v0
	v_cmp_le_i32_e64 s[0:1], v6, v0
	v_add3_u32 v2, v2, v3, v7
	v_lshlrev_b64 v[1:2], 3, v[1:2]
	s_waitcnt lgkmcnt(0)
	v_mov_b32_e32 v3, s9
	v_add_co_u32_e32 v7, vcc, s8, v1
	v_addc_co_u32_e32 v14, vcc, v3, v2, vcc
	v_cmp_gt_i32_e32 vcc, s24, v0
	s_and_b64 s[0:1], s[0:1], vcc
	s_and_saveexec_b64 s[2:3], s[0:1]
	s_cbranch_execz .LBB1533_10
; %bb.9:
	v_ashrrev_i32_e32 v1, 31, v0
	v_lshlrev_b64 v[1:2], 3, v[0:1]
	v_add_co_u32_e64 v1, s[0:1], v7, v1
	v_addc_co_u32_e64 v2, s[0:1], v14, v2, s[0:1]
	flat_load_dwordx2 v[15:16], v[1:2]
	s_waitcnt vmcnt(0) lgkmcnt(0)
	v_mul_f64 v[15:16], s[20:21], v[15:16]
	v_fma_f64 v[12:13], s[14:15], v[12:13], v[15:16]
	flat_store_dwordx2 v[1:2], v[12:13]
.LBB1533_10:
	s_or_b64 exec, exec, s[2:3]
	v_add_u32_e32 v2, 16, v0
	v_cmp_le_i32_e64 s[2:3], v6, v2
	v_cmp_gt_i32_e64 s[0:1], s24, v2
	s_and_b64 s[2:3], s[2:3], s[0:1]
	s_and_saveexec_b64 s[4:5], s[2:3]
	s_cbranch_execz .LBB1533_12
; %bb.11:
	v_ashrrev_i32_e32 v3, 31, v2
	v_lshlrev_b64 v[12:13], 3, v[2:3]
	v_add_co_u32_e64 v12, s[2:3], v7, v12
	v_addc_co_u32_e64 v13, s[2:3], v14, v13, s[2:3]
	flat_load_dwordx2 v[14:15], v[12:13]
	s_waitcnt vmcnt(0) lgkmcnt(0)
	v_mul_f64 v[14:15], s[20:21], v[14:15]
	v_fma_f64 v[10:11], s[14:15], v[10:11], v[14:15]
	flat_store_dwordx2 v[12:13], v[10:11]
.LBB1533_12:
	s_or_b64 exec, exec, s[4:5]
	v_add_u32_e32 v3, 16, v6
	v_ashrrev_i32_e32 v1, 31, v3
	v_mul_lo_u32 v10, s11, v3
	v_mad_u64_u32 v[6:7], s[2:3], s10, v3, 0
	v_mul_lo_u32 v1, s10, v1
	v_add3_u32 v7, v7, v1, v10
	v_lshlrev_b64 v[6:7], 3, v[6:7]
	v_mov_b32_e32 v1, s9
	v_add_co_u32_e64 v6, s[2:3], s8, v6
	v_addc_co_u32_e64 v7, s[2:3], v1, v7, s[2:3]
	v_cmp_le_i32_e64 s[2:3], v3, v0
	s_and_b64 s[4:5], s[2:3], vcc
	s_and_saveexec_b64 s[2:3], s[4:5]
	s_cbranch_execz .LBB1533_14
; %bb.13:
	v_ashrrev_i32_e32 v1, 31, v0
	v_lshlrev_b64 v[0:1], 3, v[0:1]
	v_add_co_u32_e32 v0, vcc, v6, v0
	v_addc_co_u32_e32 v1, vcc, v7, v1, vcc
	flat_load_dwordx2 v[10:11], v[0:1]
	s_waitcnt vmcnt(0) lgkmcnt(0)
	v_mul_f64 v[10:11], s[20:21], v[10:11]
	v_fma_f64 v[8:9], s[14:15], v[8:9], v[10:11]
	flat_store_dwordx2 v[0:1], v[8:9]
.LBB1533_14:
	s_or_b64 exec, exec, s[2:3]
	v_cmp_le_i32_e32 vcc, v3, v2
	s_and_b64 s[0:1], vcc, s[0:1]
	s_and_saveexec_b64 s[2:3], s[0:1]
	s_cbranch_execz .LBB1533_16
; %bb.15:
	v_ashrrev_i32_e32 v3, 31, v2
	v_lshlrev_b64 v[0:1], 3, v[2:3]
	v_add_co_u32_e32 v0, vcc, v6, v0
	v_addc_co_u32_e32 v1, vcc, v7, v1, vcc
	flat_load_dwordx2 v[2:3], v[0:1]
	s_waitcnt vmcnt(0) lgkmcnt(0)
	v_mul_f64 v[2:3], s[20:21], v[2:3]
	v_fma_f64 v[2:3], s[14:15], v[4:5], v[2:3]
	flat_store_dwordx2 v[0:1], v[2:3]
.LBB1533_16:
	s_endpgm
	.section	.rodata,"a",@progbits
	.p2align	6, 0x0
	.amdhsa_kernel _ZL34rocblas_syrkx_herkx_general_kernelIldLi16ELi32ELi8ELb0ELb0ELc78ELc76EKPKdKPdEviT_T0_PT8_S5_lS8_S5_lS6_PT9_S5_li
		.amdhsa_group_segment_fixed_size 4096
		.amdhsa_private_segment_fixed_size 0
		.amdhsa_kernarg_size 108
		.amdhsa_user_sgpr_count 6
		.amdhsa_user_sgpr_private_segment_buffer 1
		.amdhsa_user_sgpr_dispatch_ptr 0
		.amdhsa_user_sgpr_queue_ptr 0
		.amdhsa_user_sgpr_kernarg_segment_ptr 1
		.amdhsa_user_sgpr_dispatch_id 0
		.amdhsa_user_sgpr_flat_scratch_init 0
		.amdhsa_user_sgpr_private_segment_size 0
		.amdhsa_uses_dynamic_stack 0
		.amdhsa_system_sgpr_private_segment_wavefront_offset 0
		.amdhsa_system_sgpr_workgroup_id_x 1
		.amdhsa_system_sgpr_workgroup_id_y 1
		.amdhsa_system_sgpr_workgroup_id_z 1
		.amdhsa_system_sgpr_workgroup_info 0
		.amdhsa_system_vgpr_workitem_id 1
		.amdhsa_next_free_vgpr 40
		.amdhsa_next_free_sgpr 28
		.amdhsa_reserve_vcc 1
		.amdhsa_reserve_flat_scratch 0
		.amdhsa_float_round_mode_32 0
		.amdhsa_float_round_mode_16_64 0
		.amdhsa_float_denorm_mode_32 3
		.amdhsa_float_denorm_mode_16_64 3
		.amdhsa_dx10_clamp 1
		.amdhsa_ieee_mode 1
		.amdhsa_fp16_overflow 0
		.amdhsa_exception_fp_ieee_invalid_op 0
		.amdhsa_exception_fp_denorm_src 0
		.amdhsa_exception_fp_ieee_div_zero 0
		.amdhsa_exception_fp_ieee_overflow 0
		.amdhsa_exception_fp_ieee_underflow 0
		.amdhsa_exception_fp_ieee_inexact 0
		.amdhsa_exception_int_div_zero 0
	.end_amdhsa_kernel
	.section	.text._ZL34rocblas_syrkx_herkx_general_kernelIldLi16ELi32ELi8ELb0ELb0ELc78ELc76EKPKdKPdEviT_T0_PT8_S5_lS8_S5_lS6_PT9_S5_li,"axG",@progbits,_ZL34rocblas_syrkx_herkx_general_kernelIldLi16ELi32ELi8ELb0ELb0ELc78ELc76EKPKdKPdEviT_T0_PT8_S5_lS8_S5_lS6_PT9_S5_li,comdat
.Lfunc_end1533:
	.size	_ZL34rocblas_syrkx_herkx_general_kernelIldLi16ELi32ELi8ELb0ELb0ELc78ELc76EKPKdKPdEviT_T0_PT8_S5_lS8_S5_lS6_PT9_S5_li, .Lfunc_end1533-_ZL34rocblas_syrkx_herkx_general_kernelIldLi16ELi32ELi8ELb0ELb0ELc78ELc76EKPKdKPdEviT_T0_PT8_S5_lS8_S5_lS6_PT9_S5_li
                                        ; -- End function
	.set _ZL34rocblas_syrkx_herkx_general_kernelIldLi16ELi32ELi8ELb0ELb0ELc78ELc76EKPKdKPdEviT_T0_PT8_S5_lS8_S5_lS6_PT9_S5_li.num_vgpr, 40
	.set _ZL34rocblas_syrkx_herkx_general_kernelIldLi16ELi32ELi8ELb0ELb0ELc78ELc76EKPKdKPdEviT_T0_PT8_S5_lS8_S5_lS6_PT9_S5_li.num_agpr, 0
	.set _ZL34rocblas_syrkx_herkx_general_kernelIldLi16ELi32ELi8ELb0ELb0ELc78ELc76EKPKdKPdEviT_T0_PT8_S5_lS8_S5_lS6_PT9_S5_li.numbered_sgpr, 28
	.set _ZL34rocblas_syrkx_herkx_general_kernelIldLi16ELi32ELi8ELb0ELb0ELc78ELc76EKPKdKPdEviT_T0_PT8_S5_lS8_S5_lS6_PT9_S5_li.num_named_barrier, 0
	.set _ZL34rocblas_syrkx_herkx_general_kernelIldLi16ELi32ELi8ELb0ELb0ELc78ELc76EKPKdKPdEviT_T0_PT8_S5_lS8_S5_lS6_PT9_S5_li.private_seg_size, 0
	.set _ZL34rocblas_syrkx_herkx_general_kernelIldLi16ELi32ELi8ELb0ELb0ELc78ELc76EKPKdKPdEviT_T0_PT8_S5_lS8_S5_lS6_PT9_S5_li.uses_vcc, 1
	.set _ZL34rocblas_syrkx_herkx_general_kernelIldLi16ELi32ELi8ELb0ELb0ELc78ELc76EKPKdKPdEviT_T0_PT8_S5_lS8_S5_lS6_PT9_S5_li.uses_flat_scratch, 0
	.set _ZL34rocblas_syrkx_herkx_general_kernelIldLi16ELi32ELi8ELb0ELb0ELc78ELc76EKPKdKPdEviT_T0_PT8_S5_lS8_S5_lS6_PT9_S5_li.has_dyn_sized_stack, 0
	.set _ZL34rocblas_syrkx_herkx_general_kernelIldLi16ELi32ELi8ELb0ELb0ELc78ELc76EKPKdKPdEviT_T0_PT8_S5_lS8_S5_lS6_PT9_S5_li.has_recursion, 0
	.set _ZL34rocblas_syrkx_herkx_general_kernelIldLi16ELi32ELi8ELb0ELb0ELc78ELc76EKPKdKPdEviT_T0_PT8_S5_lS8_S5_lS6_PT9_S5_li.has_indirect_call, 0
	.section	.AMDGPU.csdata,"",@progbits
; Kernel info:
; codeLenInByte = 1544
; TotalNumSgprs: 32
; NumVgprs: 40
; ScratchSize: 0
; MemoryBound: 0
; FloatMode: 240
; IeeeMode: 1
; LDSByteSize: 4096 bytes/workgroup (compile time only)
; SGPRBlocks: 3
; VGPRBlocks: 9
; NumSGPRsForWavesPerEU: 32
; NumVGPRsForWavesPerEU: 40
; Occupancy: 6
; WaveLimiterHint : 1
; COMPUTE_PGM_RSRC2:SCRATCH_EN: 0
; COMPUTE_PGM_RSRC2:USER_SGPR: 6
; COMPUTE_PGM_RSRC2:TRAP_HANDLER: 0
; COMPUTE_PGM_RSRC2:TGID_X_EN: 1
; COMPUTE_PGM_RSRC2:TGID_Y_EN: 1
; COMPUTE_PGM_RSRC2:TGID_Z_EN: 1
; COMPUTE_PGM_RSRC2:TIDIG_COMP_CNT: 1
	.section	.text._ZL34rocblas_syrkx_herkx_general_kernelIldLi16ELi32ELi8ELb0ELb0ELc84ELc85EKPKdKPdEviT_T0_PT8_S5_lS8_S5_lS6_PT9_S5_li,"axG",@progbits,_ZL34rocblas_syrkx_herkx_general_kernelIldLi16ELi32ELi8ELb0ELb0ELc84ELc85EKPKdKPdEviT_T0_PT8_S5_lS8_S5_lS6_PT9_S5_li,comdat
	.globl	_ZL34rocblas_syrkx_herkx_general_kernelIldLi16ELi32ELi8ELb0ELb0ELc84ELc85EKPKdKPdEviT_T0_PT8_S5_lS8_S5_lS6_PT9_S5_li ; -- Begin function _ZL34rocblas_syrkx_herkx_general_kernelIldLi16ELi32ELi8ELb0ELb0ELc84ELc85EKPKdKPdEviT_T0_PT8_S5_lS8_S5_lS6_PT9_S5_li
	.p2align	8
	.type	_ZL34rocblas_syrkx_herkx_general_kernelIldLi16ELi32ELi8ELb0ELb0ELc84ELc85EKPKdKPdEviT_T0_PT8_S5_lS8_S5_lS6_PT9_S5_li,@function
_ZL34rocblas_syrkx_herkx_general_kernelIldLi16ELi32ELi8ELb0ELb0ELc84ELc85EKPKdKPdEviT_T0_PT8_S5_lS8_S5_lS6_PT9_S5_li: ; @_ZL34rocblas_syrkx_herkx_general_kernelIldLi16ELi32ELi8ELb0ELb0ELc84ELc85EKPKdKPdEviT_T0_PT8_S5_lS8_S5_lS6_PT9_S5_li
; %bb.0:
	s_load_dwordx2 s[10:11], s[4:5], 0x58
	s_load_dwordx4 s[20:23], s[4:5], 0x48
	s_load_dword s24, s[4:5], 0x0
	s_load_dwordx8 s[12:19], s[4:5], 0x8
	s_mov_b32 s9, 0
	s_lshl_b64 s[0:1], s[8:9], 3
	s_waitcnt lgkmcnt(0)
	s_add_u32 s2, s22, s0
	s_addc_u32 s3, s23, s1
	s_load_dwordx2 s[8:9], s[2:3], 0x0
	v_cmp_lt_i64_e64 s[2:3], s[12:13], 1
	s_lshl_b32 s22, s6, 5
	s_lshl_b32 s23, s7, 5
	s_and_b64 vcc, exec, s[2:3]
	s_cbranch_vccnz .LBB1534_7
; %bb.1:
	s_load_dwordx4 s[4:7], s[4:5], 0x30
	v_lshl_add_u32 v2, v1, 4, v0
	v_and_b32_e32 v5, 31, v2
	v_or_b32_e32 v6, s22, v5
	v_and_b32_e32 v19, 7, v0
	s_waitcnt lgkmcnt(0)
	s_add_u32 s2, s4, s0
	s_addc_u32 s3, s5, s1
	s_add_u32 s0, s16, s0
	s_addc_u32 s1, s17, s1
	v_lshrrev_b32_e32 v3, 3, v2
	v_lshrrev_b32_e32 v18, 5, v2
	s_load_dwordx2 s[16:17], s[0:1], 0x0
	v_cmp_gt_i32_e64 s[0:1], s24, v6
	v_lshlrev_b32_e32 v2, 3, v5
	v_lshlrev_b32_e32 v6, 3, v19
	v_lshl_or_b32 v20, v18, 8, v2
	v_lshl_or_b32 v2, v3, 6, v6
	v_add_u32_e32 v21, 0x800, v2
	v_add_u32_e32 v2, s22, v5
	;; [unrolled: 1-line block ×3, first 2 shown]
	v_ashrrev_i32_e32 v3, 31, v2
	v_mul_lo_u32 v5, s18, v3
	v_mul_lo_u32 v8, s19, v2
	v_mad_u64_u32 v[2:3], s[18:19], s18, v2, 0
	v_ashrrev_i32_e32 v7, 31, v4
	v_mul_lo_u32 v7, s6, v7
	v_add3_u32 v3, v3, v5, v8
	v_lshlrev_b64 v[2:3], 3, v[2:3]
	v_lshlrev_b32_e32 v5, 3, v18
	v_add_co_u32_e32 v5, vcc, v2, v5
	v_addc_co_u32_e32 v8, vcc, 0, v3, vcc
	v_mul_lo_u32 v10, s7, v4
	v_mad_u64_u32 v[2:3], s[6:7], s6, v4, 0
	s_load_dwordx2 s[4:5], s[2:3], 0x0
	v_mov_b32_e32 v9, 0x800
	v_add3_u32 v3, v3, v7, v10
	v_cmp_gt_i32_e64 s[2:3], s24, v4
	v_lshl_add_u32 v23, v1, 6, v9
	s_waitcnt lgkmcnt(0)
	v_mov_b32_e32 v9, s17
	v_add_co_u32_e32 v4, vcc, s16, v5
	v_lshlrev_b64 v[2:3], 3, v[2:3]
	v_addc_co_u32_e32 v5, vcc, v9, v8, vcc
	v_add_co_u32_e32 v2, vcc, v2, v6
	v_addc_co_u32_e32 v3, vcc, 0, v3, vcc
	v_mov_b32_e32 v7, s5
	v_add_co_u32_e32 v6, vcc, s4, v2
	v_addc_co_u32_e32 v7, vcc, v7, v3, vcc
	v_mov_b32_e32 v2, 0
	v_mov_b32_e32 v8, 0
	;; [unrolled: 1-line block ×5, first 2 shown]
	v_lshlrev_b32_e32 v22, 3, v0
	s_mov_b64 s[6:7], 0
	v_mov_b32_e32 v3, 0
	v_mov_b32_e32 v9, 0
	;; [unrolled: 1-line block ×5, first 2 shown]
	s_branch .LBB1534_3
.LBB1534_2:                             ;   in Loop: Header=BB1534_3 Depth=1
	s_or_b64 exec, exec, s[4:5]
	s_waitcnt vmcnt(0) lgkmcnt(0)
	ds_write_b64 v21, v[16:17]
	s_waitcnt lgkmcnt(0)
	s_barrier
	ds_read2_b64 v[24:27], v22 offset1:16
	ds_read_b128 v[28:31], v23
	ds_read_b128 v[32:35], v23 offset:1024
	ds_read_b128 v[36:39], v23 offset:16
	s_add_u32 s6, s6, 8
	v_add_co_u32_e32 v4, vcc, 64, v4
	s_waitcnt lgkmcnt(2)
	v_fma_f64 v[16:17], v[24:25], v[28:29], v[14:15]
	v_fma_f64 v[28:29], v[26:27], v[28:29], v[12:13]
	s_waitcnt lgkmcnt(1)
	v_fma_f64 v[8:9], v[24:25], v[32:33], v[8:9]
	v_fma_f64 v[2:3], v[26:27], v[32:33], v[2:3]
	ds_read2_b64 v[24:27], v22 offset0:32 offset1:48
	ds_read_b128 v[12:15], v23 offset:1040
	v_addc_co_u32_e32 v5, vcc, 0, v5, vcc
	s_addc_u32 s7, s7, 0
	s_waitcnt lgkmcnt(1)
	v_fma_f64 v[28:29], v[26:27], v[30:31], v[28:29]
	v_fma_f64 v[16:17], v[24:25], v[30:31], v[16:17]
	;; [unrolled: 1-line block ×4, first 2 shown]
	ds_read2_b64 v[24:27], v22 offset0:64 offset1:80
	v_cmp_ge_i64_e32 vcc, s[6:7], v[10:11]
	v_add_co_u32_e64 v6, s[4:5], 64, v6
	v_addc_co_u32_e64 v7, s[4:5], 0, v7, s[4:5]
	s_waitcnt lgkmcnt(0)
	v_fma_f64 v[32:33], v[26:27], v[36:37], v[28:29]
	ds_read2_b64 v[28:31], v22 offset0:96 offset1:112
	v_fma_f64 v[16:17], v[24:25], v[36:37], v[16:17]
	s_and_b64 vcc, exec, vcc
	s_waitcnt lgkmcnt(0)
	v_fma_f64 v[36:37], v[30:31], v[38:39], v[32:33]
	ds_read_b128 v[32:35], v23 offset:32
	v_fma_f64 v[8:9], v[24:25], v[12:13], v[8:9]
	v_fma_f64 v[2:3], v[26:27], v[12:13], v[2:3]
	;; [unrolled: 1-line block ×3, first 2 shown]
	ds_read2_b64 v[24:27], v22 offset0:128 offset1:144
	v_fma_f64 v[8:9], v[28:29], v[14:15], v[8:9]
	v_fma_f64 v[2:3], v[30:31], v[14:15], v[2:3]
	ds_read_b128 v[12:15], v23 offset:1056
	ds_read_b128 v[28:31], v23 offset:48
	s_waitcnt lgkmcnt(2)
	v_fma_f64 v[16:17], v[24:25], v[32:33], v[16:17]
	v_fma_f64 v[32:33], v[26:27], v[32:33], v[36:37]
	ds_read_b128 v[36:39], v23 offset:1072
	s_waitcnt lgkmcnt(2)
	v_fma_f64 v[8:9], v[24:25], v[12:13], v[8:9]
	v_fma_f64 v[2:3], v[26:27], v[12:13], v[2:3]
	ds_read2_b64 v[24:27], v22 offset0:160 offset1:176
	s_waitcnt lgkmcnt(0)
	v_fma_f64 v[16:17], v[24:25], v[34:35], v[16:17]
	v_fma_f64 v[32:33], v[26:27], v[34:35], v[32:33]
	;; [unrolled: 1-line block ×4, first 2 shown]
	ds_read2_b64 v[12:15], v22 offset0:192 offset1:208
	ds_read2_b64 v[24:27], v22 offset0:224 offset1:240
	s_waitcnt lgkmcnt(0)
	s_barrier
	v_fma_f64 v[16:17], v[12:13], v[28:29], v[16:17]
	v_fma_f64 v[28:29], v[14:15], v[28:29], v[32:33]
	;; [unrolled: 1-line block ×8, first 2 shown]
	s_cbranch_vccnz .LBB1534_8
.LBB1534_3:                             ; =>This Inner Loop Header: Depth=1
	v_mov_b32_e32 v17, s7
	v_add_co_u32_e32 v16, vcc, s6, v18
	v_addc_co_u32_e32 v17, vcc, 0, v17, vcc
	v_cmp_gt_i64_e32 vcc, s[12:13], v[16:17]
	v_mov_b32_e32 v16, 0
	v_mov_b32_e32 v17, 0
	s_and_b64 s[16:17], s[0:1], vcc
	s_and_saveexec_b64 s[4:5], s[16:17]
	s_cbranch_execz .LBB1534_5
; %bb.4:                                ;   in Loop: Header=BB1534_3 Depth=1
	flat_load_dwordx2 v[16:17], v[4:5]
.LBB1534_5:                             ;   in Loop: Header=BB1534_3 Depth=1
	s_or_b64 exec, exec, s[4:5]
	s_waitcnt vmcnt(0) lgkmcnt(0)
	ds_write_b64 v20, v[16:17]
	v_mov_b32_e32 v17, s7
	v_add_co_u32_e32 v16, vcc, s6, v19
	v_addc_co_u32_e32 v17, vcc, 0, v17, vcc
	v_cmp_gt_i64_e32 vcc, s[12:13], v[16:17]
	v_mov_b32_e32 v16, 0
	v_mov_b32_e32 v17, 0
	s_and_b64 s[16:17], vcc, s[2:3]
	s_and_saveexec_b64 s[4:5], s[16:17]
	s_cbranch_execz .LBB1534_2
; %bb.6:                                ;   in Loop: Header=BB1534_3 Depth=1
	flat_load_dwordx2 v[16:17], v[6:7]
	s_branch .LBB1534_2
.LBB1534_7:
	v_mov_b32_e32 v14, 0
	v_mov_b32_e32 v12, 0
	;; [unrolled: 1-line block ×8, first 2 shown]
.LBB1534_8:
	v_add_u32_e32 v6, s23, v1
	v_ashrrev_i32_e32 v1, 31, v6
	v_mul_lo_u32 v1, s10, v1
	v_mul_lo_u32 v7, s11, v6
	v_mad_u64_u32 v[4:5], s[0:1], s10, v6, 0
	v_add_u32_e32 v0, s22, v0
	v_cmp_gt_i32_e32 vcc, s24, v6
	v_add3_u32 v5, v5, v1, v7
	v_lshlrev_b64 v[4:5], 3, v[4:5]
	s_waitcnt lgkmcnt(0)
	v_mov_b32_e32 v1, s9
	v_add_co_u32_e64 v7, s[0:1], s8, v4
	v_addc_co_u32_e64 v10, s[0:1], v1, v5, s[0:1]
	v_cmp_le_i32_e64 s[0:1], v0, v6
	s_and_b64 s[0:1], vcc, s[0:1]
	s_and_saveexec_b64 s[2:3], s[0:1]
	s_cbranch_execz .LBB1534_10
; %bb.9:
	v_ashrrev_i32_e32 v1, 31, v0
	v_lshlrev_b64 v[4:5], 3, v[0:1]
	v_add_co_u32_e64 v4, s[0:1], v7, v4
	v_addc_co_u32_e64 v5, s[0:1], v10, v5, s[0:1]
	flat_load_dwordx2 v[16:17], v[4:5]
	s_waitcnt vmcnt(0) lgkmcnt(0)
	v_mul_f64 v[16:17], s[20:21], v[16:17]
	v_fma_f64 v[14:15], s[14:15], v[14:15], v[16:17]
	flat_store_dwordx2 v[4:5], v[14:15]
.LBB1534_10:
	s_or_b64 exec, exec, s[2:3]
	v_add_u32_e32 v4, 16, v0
	v_cmp_le_i32_e64 s[0:1], v4, v6
	s_and_b64 s[2:3], vcc, s[0:1]
	s_and_saveexec_b64 s[0:1], s[2:3]
	s_cbranch_execz .LBB1534_12
; %bb.11:
	v_ashrrev_i32_e32 v5, 31, v4
	v_lshlrev_b64 v[14:15], 3, v[4:5]
	v_add_co_u32_e32 v14, vcc, v7, v14
	v_addc_co_u32_e32 v15, vcc, v10, v15, vcc
	flat_load_dwordx2 v[10:11], v[14:15]
	s_waitcnt vmcnt(0) lgkmcnt(0)
	v_mul_f64 v[10:11], s[20:21], v[10:11]
	v_fma_f64 v[10:11], s[14:15], v[12:13], v[10:11]
	flat_store_dwordx2 v[14:15], v[10:11]
.LBB1534_12:
	s_or_b64 exec, exec, s[0:1]
	v_add_u32_e32 v5, 16, v6
	v_ashrrev_i32_e32 v1, 31, v5
	v_mul_lo_u32 v1, s10, v1
	v_mul_lo_u32 v10, s11, v5
	v_mad_u64_u32 v[6:7], s[0:1], s10, v5, 0
	v_cmp_gt_i32_e32 vcc, s24, v5
	v_add3_u32 v7, v7, v1, v10
	v_lshlrev_b64 v[6:7], 3, v[6:7]
	v_mov_b32_e32 v1, s9
	v_add_co_u32_e64 v6, s[0:1], s8, v6
	v_addc_co_u32_e64 v7, s[0:1], v1, v7, s[0:1]
	v_cmp_le_i32_e64 s[0:1], v0, v5
	s_and_b64 s[0:1], vcc, s[0:1]
	s_and_saveexec_b64 s[2:3], s[0:1]
	s_cbranch_execz .LBB1534_14
; %bb.13:
	v_ashrrev_i32_e32 v1, 31, v0
	v_lshlrev_b64 v[0:1], 3, v[0:1]
	v_add_co_u32_e64 v0, s[0:1], v6, v0
	v_addc_co_u32_e64 v1, s[0:1], v7, v1, s[0:1]
	flat_load_dwordx2 v[10:11], v[0:1]
	s_waitcnt vmcnt(0) lgkmcnt(0)
	v_mul_f64 v[10:11], s[20:21], v[10:11]
	v_fma_f64 v[8:9], s[14:15], v[8:9], v[10:11]
	flat_store_dwordx2 v[0:1], v[8:9]
.LBB1534_14:
	s_or_b64 exec, exec, s[2:3]
	v_cmp_le_i32_e64 s[0:1], v4, v5
	s_and_b64 s[0:1], vcc, s[0:1]
	s_and_saveexec_b64 s[2:3], s[0:1]
	s_cbranch_execz .LBB1534_16
; %bb.15:
	v_ashrrev_i32_e32 v5, 31, v4
	v_lshlrev_b64 v[0:1], 3, v[4:5]
	v_add_co_u32_e32 v0, vcc, v6, v0
	v_addc_co_u32_e32 v1, vcc, v7, v1, vcc
	flat_load_dwordx2 v[4:5], v[0:1]
	s_waitcnt vmcnt(0) lgkmcnt(0)
	v_mul_f64 v[4:5], s[20:21], v[4:5]
	v_fma_f64 v[2:3], s[14:15], v[2:3], v[4:5]
	flat_store_dwordx2 v[0:1], v[2:3]
.LBB1534_16:
	s_endpgm
	.section	.rodata,"a",@progbits
	.p2align	6, 0x0
	.amdhsa_kernel _ZL34rocblas_syrkx_herkx_general_kernelIldLi16ELi32ELi8ELb0ELb0ELc84ELc85EKPKdKPdEviT_T0_PT8_S5_lS8_S5_lS6_PT9_S5_li
		.amdhsa_group_segment_fixed_size 4096
		.amdhsa_private_segment_fixed_size 0
		.amdhsa_kernarg_size 108
		.amdhsa_user_sgpr_count 6
		.amdhsa_user_sgpr_private_segment_buffer 1
		.amdhsa_user_sgpr_dispatch_ptr 0
		.amdhsa_user_sgpr_queue_ptr 0
		.amdhsa_user_sgpr_kernarg_segment_ptr 1
		.amdhsa_user_sgpr_dispatch_id 0
		.amdhsa_user_sgpr_flat_scratch_init 0
		.amdhsa_user_sgpr_private_segment_size 0
		.amdhsa_uses_dynamic_stack 0
		.amdhsa_system_sgpr_private_segment_wavefront_offset 0
		.amdhsa_system_sgpr_workgroup_id_x 1
		.amdhsa_system_sgpr_workgroup_id_y 1
		.amdhsa_system_sgpr_workgroup_id_z 1
		.amdhsa_system_sgpr_workgroup_info 0
		.amdhsa_system_vgpr_workitem_id 1
		.amdhsa_next_free_vgpr 40
		.amdhsa_next_free_sgpr 25
		.amdhsa_reserve_vcc 1
		.amdhsa_reserve_flat_scratch 0
		.amdhsa_float_round_mode_32 0
		.amdhsa_float_round_mode_16_64 0
		.amdhsa_float_denorm_mode_32 3
		.amdhsa_float_denorm_mode_16_64 3
		.amdhsa_dx10_clamp 1
		.amdhsa_ieee_mode 1
		.amdhsa_fp16_overflow 0
		.amdhsa_exception_fp_ieee_invalid_op 0
		.amdhsa_exception_fp_denorm_src 0
		.amdhsa_exception_fp_ieee_div_zero 0
		.amdhsa_exception_fp_ieee_overflow 0
		.amdhsa_exception_fp_ieee_underflow 0
		.amdhsa_exception_fp_ieee_inexact 0
		.amdhsa_exception_int_div_zero 0
	.end_amdhsa_kernel
	.section	.text._ZL34rocblas_syrkx_herkx_general_kernelIldLi16ELi32ELi8ELb0ELb0ELc84ELc85EKPKdKPdEviT_T0_PT8_S5_lS8_S5_lS6_PT9_S5_li,"axG",@progbits,_ZL34rocblas_syrkx_herkx_general_kernelIldLi16ELi32ELi8ELb0ELb0ELc84ELc85EKPKdKPdEviT_T0_PT8_S5_lS8_S5_lS6_PT9_S5_li,comdat
.Lfunc_end1534:
	.size	_ZL34rocblas_syrkx_herkx_general_kernelIldLi16ELi32ELi8ELb0ELb0ELc84ELc85EKPKdKPdEviT_T0_PT8_S5_lS8_S5_lS6_PT9_S5_li, .Lfunc_end1534-_ZL34rocblas_syrkx_herkx_general_kernelIldLi16ELi32ELi8ELb0ELb0ELc84ELc85EKPKdKPdEviT_T0_PT8_S5_lS8_S5_lS6_PT9_S5_li
                                        ; -- End function
	.set _ZL34rocblas_syrkx_herkx_general_kernelIldLi16ELi32ELi8ELb0ELb0ELc84ELc85EKPKdKPdEviT_T0_PT8_S5_lS8_S5_lS6_PT9_S5_li.num_vgpr, 40
	.set _ZL34rocblas_syrkx_herkx_general_kernelIldLi16ELi32ELi8ELb0ELb0ELc84ELc85EKPKdKPdEviT_T0_PT8_S5_lS8_S5_lS6_PT9_S5_li.num_agpr, 0
	.set _ZL34rocblas_syrkx_herkx_general_kernelIldLi16ELi32ELi8ELb0ELb0ELc84ELc85EKPKdKPdEviT_T0_PT8_S5_lS8_S5_lS6_PT9_S5_li.numbered_sgpr, 25
	.set _ZL34rocblas_syrkx_herkx_general_kernelIldLi16ELi32ELi8ELb0ELb0ELc84ELc85EKPKdKPdEviT_T0_PT8_S5_lS8_S5_lS6_PT9_S5_li.num_named_barrier, 0
	.set _ZL34rocblas_syrkx_herkx_general_kernelIldLi16ELi32ELi8ELb0ELb0ELc84ELc85EKPKdKPdEviT_T0_PT8_S5_lS8_S5_lS6_PT9_S5_li.private_seg_size, 0
	.set _ZL34rocblas_syrkx_herkx_general_kernelIldLi16ELi32ELi8ELb0ELb0ELc84ELc85EKPKdKPdEviT_T0_PT8_S5_lS8_S5_lS6_PT9_S5_li.uses_vcc, 1
	.set _ZL34rocblas_syrkx_herkx_general_kernelIldLi16ELi32ELi8ELb0ELb0ELc84ELc85EKPKdKPdEviT_T0_PT8_S5_lS8_S5_lS6_PT9_S5_li.uses_flat_scratch, 0
	.set _ZL34rocblas_syrkx_herkx_general_kernelIldLi16ELi32ELi8ELb0ELb0ELc84ELc85EKPKdKPdEviT_T0_PT8_S5_lS8_S5_lS6_PT9_S5_li.has_dyn_sized_stack, 0
	.set _ZL34rocblas_syrkx_herkx_general_kernelIldLi16ELi32ELi8ELb0ELb0ELc84ELc85EKPKdKPdEviT_T0_PT8_S5_lS8_S5_lS6_PT9_S5_li.has_recursion, 0
	.set _ZL34rocblas_syrkx_herkx_general_kernelIldLi16ELi32ELi8ELb0ELb0ELc84ELc85EKPKdKPdEviT_T0_PT8_S5_lS8_S5_lS6_PT9_S5_li.has_indirect_call, 0
	.section	.AMDGPU.csdata,"",@progbits
; Kernel info:
; codeLenInByte = 1540
; TotalNumSgprs: 29
; NumVgprs: 40
; ScratchSize: 0
; MemoryBound: 0
; FloatMode: 240
; IeeeMode: 1
; LDSByteSize: 4096 bytes/workgroup (compile time only)
; SGPRBlocks: 3
; VGPRBlocks: 9
; NumSGPRsForWavesPerEU: 29
; NumVGPRsForWavesPerEU: 40
; Occupancy: 6
; WaveLimiterHint : 1
; COMPUTE_PGM_RSRC2:SCRATCH_EN: 0
; COMPUTE_PGM_RSRC2:USER_SGPR: 6
; COMPUTE_PGM_RSRC2:TRAP_HANDLER: 0
; COMPUTE_PGM_RSRC2:TGID_X_EN: 1
; COMPUTE_PGM_RSRC2:TGID_Y_EN: 1
; COMPUTE_PGM_RSRC2:TGID_Z_EN: 1
; COMPUTE_PGM_RSRC2:TIDIG_COMP_CNT: 1
	.section	.text._ZL34rocblas_syrkx_herkx_general_kernelIldLi16ELi32ELi8ELb0ELb0ELc67ELc85EKPKdKPdEviT_T0_PT8_S5_lS8_S5_lS6_PT9_S5_li,"axG",@progbits,_ZL34rocblas_syrkx_herkx_general_kernelIldLi16ELi32ELi8ELb0ELb0ELc67ELc85EKPKdKPdEviT_T0_PT8_S5_lS8_S5_lS6_PT9_S5_li,comdat
	.globl	_ZL34rocblas_syrkx_herkx_general_kernelIldLi16ELi32ELi8ELb0ELb0ELc67ELc85EKPKdKPdEviT_T0_PT8_S5_lS8_S5_lS6_PT9_S5_li ; -- Begin function _ZL34rocblas_syrkx_herkx_general_kernelIldLi16ELi32ELi8ELb0ELb0ELc67ELc85EKPKdKPdEviT_T0_PT8_S5_lS8_S5_lS6_PT9_S5_li
	.p2align	8
	.type	_ZL34rocblas_syrkx_herkx_general_kernelIldLi16ELi32ELi8ELb0ELb0ELc67ELc85EKPKdKPdEviT_T0_PT8_S5_lS8_S5_lS6_PT9_S5_li,@function
_ZL34rocblas_syrkx_herkx_general_kernelIldLi16ELi32ELi8ELb0ELb0ELc67ELc85EKPKdKPdEviT_T0_PT8_S5_lS8_S5_lS6_PT9_S5_li: ; @_ZL34rocblas_syrkx_herkx_general_kernelIldLi16ELi32ELi8ELb0ELb0ELc67ELc85EKPKdKPdEviT_T0_PT8_S5_lS8_S5_lS6_PT9_S5_li
; %bb.0:
	s_load_dwordx2 s[10:11], s[4:5], 0x58
	s_load_dwordx4 s[20:23], s[4:5], 0x48
	s_load_dword s24, s[4:5], 0x0
	s_load_dwordx8 s[12:19], s[4:5], 0x8
	s_mov_b32 s9, 0
	s_lshl_b64 s[0:1], s[8:9], 3
	s_waitcnt lgkmcnt(0)
	s_add_u32 s2, s22, s0
	s_addc_u32 s3, s23, s1
	s_load_dwordx2 s[8:9], s[2:3], 0x0
	v_cmp_lt_i64_e64 s[2:3], s[12:13], 1
	s_lshl_b32 s22, s6, 5
	s_lshl_b32 s23, s7, 5
	s_and_b64 vcc, exec, s[2:3]
	s_cbranch_vccnz .LBB1535_7
; %bb.1:
	s_load_dwordx4 s[4:7], s[4:5], 0x30
	v_lshl_add_u32 v2, v1, 4, v0
	v_and_b32_e32 v5, 31, v2
	v_or_b32_e32 v6, s22, v5
	v_and_b32_e32 v19, 7, v0
	s_waitcnt lgkmcnt(0)
	s_add_u32 s2, s4, s0
	s_addc_u32 s3, s5, s1
	s_add_u32 s0, s16, s0
	s_addc_u32 s1, s17, s1
	v_lshrrev_b32_e32 v3, 3, v2
	v_lshrrev_b32_e32 v18, 5, v2
	s_load_dwordx2 s[16:17], s[0:1], 0x0
	v_cmp_gt_i32_e64 s[0:1], s24, v6
	v_lshlrev_b32_e32 v2, 3, v5
	v_lshlrev_b32_e32 v6, 3, v19
	v_lshl_or_b32 v20, v18, 8, v2
	v_lshl_or_b32 v2, v3, 6, v6
	v_add_u32_e32 v21, 0x800, v2
	v_add_u32_e32 v2, s22, v5
	;; [unrolled: 1-line block ×3, first 2 shown]
	v_ashrrev_i32_e32 v3, 31, v2
	v_mul_lo_u32 v5, s18, v3
	v_mul_lo_u32 v8, s19, v2
	v_mad_u64_u32 v[2:3], s[18:19], s18, v2, 0
	v_ashrrev_i32_e32 v7, 31, v4
	v_mul_lo_u32 v7, s6, v7
	v_add3_u32 v3, v3, v5, v8
	v_lshlrev_b64 v[2:3], 3, v[2:3]
	v_lshlrev_b32_e32 v5, 3, v18
	v_add_co_u32_e32 v5, vcc, v2, v5
	v_addc_co_u32_e32 v8, vcc, 0, v3, vcc
	v_mul_lo_u32 v10, s7, v4
	v_mad_u64_u32 v[2:3], s[6:7], s6, v4, 0
	s_load_dwordx2 s[4:5], s[2:3], 0x0
	v_mov_b32_e32 v9, 0x800
	v_add3_u32 v3, v3, v7, v10
	v_cmp_gt_i32_e64 s[2:3], s24, v4
	v_lshl_add_u32 v23, v1, 6, v9
	s_waitcnt lgkmcnt(0)
	v_mov_b32_e32 v9, s17
	v_add_co_u32_e32 v4, vcc, s16, v5
	v_lshlrev_b64 v[2:3], 3, v[2:3]
	v_addc_co_u32_e32 v5, vcc, v9, v8, vcc
	v_add_co_u32_e32 v2, vcc, v2, v6
	v_addc_co_u32_e32 v3, vcc, 0, v3, vcc
	v_mov_b32_e32 v7, s5
	v_add_co_u32_e32 v6, vcc, s4, v2
	v_addc_co_u32_e32 v7, vcc, v7, v3, vcc
	v_mov_b32_e32 v2, 0
	v_mov_b32_e32 v8, 0
	;; [unrolled: 1-line block ×5, first 2 shown]
	v_lshlrev_b32_e32 v22, 3, v0
	s_mov_b64 s[6:7], 0
	v_mov_b32_e32 v3, 0
	v_mov_b32_e32 v9, 0
	;; [unrolled: 1-line block ×5, first 2 shown]
	s_branch .LBB1535_3
.LBB1535_2:                             ;   in Loop: Header=BB1535_3 Depth=1
	s_or_b64 exec, exec, s[4:5]
	s_waitcnt vmcnt(0) lgkmcnt(0)
	ds_write_b64 v21, v[16:17]
	s_waitcnt lgkmcnt(0)
	s_barrier
	ds_read2_b64 v[24:27], v22 offset1:16
	ds_read_b128 v[28:31], v23
	ds_read_b128 v[32:35], v23 offset:1024
	ds_read_b128 v[36:39], v23 offset:16
	s_add_u32 s6, s6, 8
	v_add_co_u32_e32 v4, vcc, 64, v4
	s_waitcnt lgkmcnt(2)
	v_fma_f64 v[16:17], v[24:25], v[28:29], v[14:15]
	v_fma_f64 v[28:29], v[26:27], v[28:29], v[12:13]
	s_waitcnt lgkmcnt(1)
	v_fma_f64 v[8:9], v[24:25], v[32:33], v[8:9]
	v_fma_f64 v[2:3], v[26:27], v[32:33], v[2:3]
	ds_read2_b64 v[24:27], v22 offset0:32 offset1:48
	ds_read_b128 v[12:15], v23 offset:1040
	v_addc_co_u32_e32 v5, vcc, 0, v5, vcc
	s_addc_u32 s7, s7, 0
	s_waitcnt lgkmcnt(1)
	v_fma_f64 v[28:29], v[26:27], v[30:31], v[28:29]
	v_fma_f64 v[16:17], v[24:25], v[30:31], v[16:17]
	;; [unrolled: 1-line block ×4, first 2 shown]
	ds_read2_b64 v[24:27], v22 offset0:64 offset1:80
	v_cmp_ge_i64_e32 vcc, s[6:7], v[10:11]
	v_add_co_u32_e64 v6, s[4:5], 64, v6
	v_addc_co_u32_e64 v7, s[4:5], 0, v7, s[4:5]
	s_waitcnt lgkmcnt(0)
	v_fma_f64 v[32:33], v[26:27], v[36:37], v[28:29]
	ds_read2_b64 v[28:31], v22 offset0:96 offset1:112
	v_fma_f64 v[16:17], v[24:25], v[36:37], v[16:17]
	s_and_b64 vcc, exec, vcc
	s_waitcnt lgkmcnt(0)
	v_fma_f64 v[36:37], v[30:31], v[38:39], v[32:33]
	ds_read_b128 v[32:35], v23 offset:32
	v_fma_f64 v[8:9], v[24:25], v[12:13], v[8:9]
	v_fma_f64 v[2:3], v[26:27], v[12:13], v[2:3]
	;; [unrolled: 1-line block ×3, first 2 shown]
	ds_read2_b64 v[24:27], v22 offset0:128 offset1:144
	v_fma_f64 v[8:9], v[28:29], v[14:15], v[8:9]
	v_fma_f64 v[2:3], v[30:31], v[14:15], v[2:3]
	ds_read_b128 v[12:15], v23 offset:1056
	ds_read_b128 v[28:31], v23 offset:48
	s_waitcnt lgkmcnt(2)
	v_fma_f64 v[16:17], v[24:25], v[32:33], v[16:17]
	v_fma_f64 v[32:33], v[26:27], v[32:33], v[36:37]
	ds_read_b128 v[36:39], v23 offset:1072
	s_waitcnt lgkmcnt(2)
	v_fma_f64 v[8:9], v[24:25], v[12:13], v[8:9]
	v_fma_f64 v[2:3], v[26:27], v[12:13], v[2:3]
	ds_read2_b64 v[24:27], v22 offset0:160 offset1:176
	s_waitcnt lgkmcnt(0)
	v_fma_f64 v[16:17], v[24:25], v[34:35], v[16:17]
	v_fma_f64 v[32:33], v[26:27], v[34:35], v[32:33]
	;; [unrolled: 1-line block ×4, first 2 shown]
	ds_read2_b64 v[12:15], v22 offset0:192 offset1:208
	ds_read2_b64 v[24:27], v22 offset0:224 offset1:240
	s_waitcnt lgkmcnt(0)
	s_barrier
	v_fma_f64 v[16:17], v[12:13], v[28:29], v[16:17]
	v_fma_f64 v[28:29], v[14:15], v[28:29], v[32:33]
	;; [unrolled: 1-line block ×8, first 2 shown]
	s_cbranch_vccnz .LBB1535_8
.LBB1535_3:                             ; =>This Inner Loop Header: Depth=1
	v_mov_b32_e32 v17, s7
	v_add_co_u32_e32 v16, vcc, s6, v18
	v_addc_co_u32_e32 v17, vcc, 0, v17, vcc
	v_cmp_gt_i64_e32 vcc, s[12:13], v[16:17]
	v_mov_b32_e32 v16, 0
	v_mov_b32_e32 v17, 0
	s_and_b64 s[16:17], s[0:1], vcc
	s_and_saveexec_b64 s[4:5], s[16:17]
	s_cbranch_execz .LBB1535_5
; %bb.4:                                ;   in Loop: Header=BB1535_3 Depth=1
	flat_load_dwordx2 v[16:17], v[4:5]
.LBB1535_5:                             ;   in Loop: Header=BB1535_3 Depth=1
	s_or_b64 exec, exec, s[4:5]
	s_waitcnt vmcnt(0) lgkmcnt(0)
	ds_write_b64 v20, v[16:17]
	v_mov_b32_e32 v17, s7
	v_add_co_u32_e32 v16, vcc, s6, v19
	v_addc_co_u32_e32 v17, vcc, 0, v17, vcc
	v_cmp_gt_i64_e32 vcc, s[12:13], v[16:17]
	v_mov_b32_e32 v16, 0
	v_mov_b32_e32 v17, 0
	s_and_b64 s[16:17], vcc, s[2:3]
	s_and_saveexec_b64 s[4:5], s[16:17]
	s_cbranch_execz .LBB1535_2
; %bb.6:                                ;   in Loop: Header=BB1535_3 Depth=1
	flat_load_dwordx2 v[16:17], v[6:7]
	s_branch .LBB1535_2
.LBB1535_7:
	v_mov_b32_e32 v14, 0
	v_mov_b32_e32 v12, 0
	;; [unrolled: 1-line block ×8, first 2 shown]
.LBB1535_8:
	v_add_u32_e32 v6, s23, v1
	v_ashrrev_i32_e32 v1, 31, v6
	v_mul_lo_u32 v1, s10, v1
	v_mul_lo_u32 v7, s11, v6
	v_mad_u64_u32 v[4:5], s[0:1], s10, v6, 0
	v_add_u32_e32 v0, s22, v0
	v_cmp_gt_i32_e32 vcc, s24, v6
	v_add3_u32 v5, v5, v1, v7
	v_lshlrev_b64 v[4:5], 3, v[4:5]
	s_waitcnt lgkmcnt(0)
	v_mov_b32_e32 v1, s9
	v_add_co_u32_e64 v7, s[0:1], s8, v4
	v_addc_co_u32_e64 v10, s[0:1], v1, v5, s[0:1]
	v_cmp_le_i32_e64 s[0:1], v0, v6
	s_and_b64 s[0:1], vcc, s[0:1]
	s_and_saveexec_b64 s[2:3], s[0:1]
	s_cbranch_execz .LBB1535_10
; %bb.9:
	v_ashrrev_i32_e32 v1, 31, v0
	v_lshlrev_b64 v[4:5], 3, v[0:1]
	v_add_co_u32_e64 v4, s[0:1], v7, v4
	v_addc_co_u32_e64 v5, s[0:1], v10, v5, s[0:1]
	flat_load_dwordx2 v[16:17], v[4:5]
	s_waitcnt vmcnt(0) lgkmcnt(0)
	v_mul_f64 v[16:17], s[20:21], v[16:17]
	v_fma_f64 v[14:15], s[14:15], v[14:15], v[16:17]
	flat_store_dwordx2 v[4:5], v[14:15]
.LBB1535_10:
	s_or_b64 exec, exec, s[2:3]
	v_add_u32_e32 v4, 16, v0
	v_cmp_le_i32_e64 s[0:1], v4, v6
	s_and_b64 s[2:3], vcc, s[0:1]
	s_and_saveexec_b64 s[0:1], s[2:3]
	s_cbranch_execz .LBB1535_12
; %bb.11:
	v_ashrrev_i32_e32 v5, 31, v4
	v_lshlrev_b64 v[14:15], 3, v[4:5]
	v_add_co_u32_e32 v14, vcc, v7, v14
	v_addc_co_u32_e32 v15, vcc, v10, v15, vcc
	flat_load_dwordx2 v[10:11], v[14:15]
	s_waitcnt vmcnt(0) lgkmcnt(0)
	v_mul_f64 v[10:11], s[20:21], v[10:11]
	v_fma_f64 v[10:11], s[14:15], v[12:13], v[10:11]
	flat_store_dwordx2 v[14:15], v[10:11]
.LBB1535_12:
	s_or_b64 exec, exec, s[0:1]
	v_add_u32_e32 v5, 16, v6
	v_ashrrev_i32_e32 v1, 31, v5
	v_mul_lo_u32 v1, s10, v1
	v_mul_lo_u32 v10, s11, v5
	v_mad_u64_u32 v[6:7], s[0:1], s10, v5, 0
	v_cmp_gt_i32_e32 vcc, s24, v5
	v_add3_u32 v7, v7, v1, v10
	v_lshlrev_b64 v[6:7], 3, v[6:7]
	v_mov_b32_e32 v1, s9
	v_add_co_u32_e64 v6, s[0:1], s8, v6
	v_addc_co_u32_e64 v7, s[0:1], v1, v7, s[0:1]
	v_cmp_le_i32_e64 s[0:1], v0, v5
	s_and_b64 s[0:1], vcc, s[0:1]
	s_and_saveexec_b64 s[2:3], s[0:1]
	s_cbranch_execz .LBB1535_14
; %bb.13:
	v_ashrrev_i32_e32 v1, 31, v0
	v_lshlrev_b64 v[0:1], 3, v[0:1]
	v_add_co_u32_e64 v0, s[0:1], v6, v0
	v_addc_co_u32_e64 v1, s[0:1], v7, v1, s[0:1]
	flat_load_dwordx2 v[10:11], v[0:1]
	s_waitcnt vmcnt(0) lgkmcnt(0)
	v_mul_f64 v[10:11], s[20:21], v[10:11]
	v_fma_f64 v[8:9], s[14:15], v[8:9], v[10:11]
	flat_store_dwordx2 v[0:1], v[8:9]
.LBB1535_14:
	s_or_b64 exec, exec, s[2:3]
	v_cmp_le_i32_e64 s[0:1], v4, v5
	s_and_b64 s[0:1], vcc, s[0:1]
	s_and_saveexec_b64 s[2:3], s[0:1]
	s_cbranch_execz .LBB1535_16
; %bb.15:
	v_ashrrev_i32_e32 v5, 31, v4
	v_lshlrev_b64 v[0:1], 3, v[4:5]
	v_add_co_u32_e32 v0, vcc, v6, v0
	v_addc_co_u32_e32 v1, vcc, v7, v1, vcc
	flat_load_dwordx2 v[4:5], v[0:1]
	s_waitcnt vmcnt(0) lgkmcnt(0)
	v_mul_f64 v[4:5], s[20:21], v[4:5]
	v_fma_f64 v[2:3], s[14:15], v[2:3], v[4:5]
	flat_store_dwordx2 v[0:1], v[2:3]
.LBB1535_16:
	s_endpgm
	.section	.rodata,"a",@progbits
	.p2align	6, 0x0
	.amdhsa_kernel _ZL34rocblas_syrkx_herkx_general_kernelIldLi16ELi32ELi8ELb0ELb0ELc67ELc85EKPKdKPdEviT_T0_PT8_S5_lS8_S5_lS6_PT9_S5_li
		.amdhsa_group_segment_fixed_size 4096
		.amdhsa_private_segment_fixed_size 0
		.amdhsa_kernarg_size 108
		.amdhsa_user_sgpr_count 6
		.amdhsa_user_sgpr_private_segment_buffer 1
		.amdhsa_user_sgpr_dispatch_ptr 0
		.amdhsa_user_sgpr_queue_ptr 0
		.amdhsa_user_sgpr_kernarg_segment_ptr 1
		.amdhsa_user_sgpr_dispatch_id 0
		.amdhsa_user_sgpr_flat_scratch_init 0
		.amdhsa_user_sgpr_private_segment_size 0
		.amdhsa_uses_dynamic_stack 0
		.amdhsa_system_sgpr_private_segment_wavefront_offset 0
		.amdhsa_system_sgpr_workgroup_id_x 1
		.amdhsa_system_sgpr_workgroup_id_y 1
		.amdhsa_system_sgpr_workgroup_id_z 1
		.amdhsa_system_sgpr_workgroup_info 0
		.amdhsa_system_vgpr_workitem_id 1
		.amdhsa_next_free_vgpr 40
		.amdhsa_next_free_sgpr 25
		.amdhsa_reserve_vcc 1
		.amdhsa_reserve_flat_scratch 0
		.amdhsa_float_round_mode_32 0
		.amdhsa_float_round_mode_16_64 0
		.amdhsa_float_denorm_mode_32 3
		.amdhsa_float_denorm_mode_16_64 3
		.amdhsa_dx10_clamp 1
		.amdhsa_ieee_mode 1
		.amdhsa_fp16_overflow 0
		.amdhsa_exception_fp_ieee_invalid_op 0
		.amdhsa_exception_fp_denorm_src 0
		.amdhsa_exception_fp_ieee_div_zero 0
		.amdhsa_exception_fp_ieee_overflow 0
		.amdhsa_exception_fp_ieee_underflow 0
		.amdhsa_exception_fp_ieee_inexact 0
		.amdhsa_exception_int_div_zero 0
	.end_amdhsa_kernel
	.section	.text._ZL34rocblas_syrkx_herkx_general_kernelIldLi16ELi32ELi8ELb0ELb0ELc67ELc85EKPKdKPdEviT_T0_PT8_S5_lS8_S5_lS6_PT9_S5_li,"axG",@progbits,_ZL34rocblas_syrkx_herkx_general_kernelIldLi16ELi32ELi8ELb0ELb0ELc67ELc85EKPKdKPdEviT_T0_PT8_S5_lS8_S5_lS6_PT9_S5_li,comdat
.Lfunc_end1535:
	.size	_ZL34rocblas_syrkx_herkx_general_kernelIldLi16ELi32ELi8ELb0ELb0ELc67ELc85EKPKdKPdEviT_T0_PT8_S5_lS8_S5_lS6_PT9_S5_li, .Lfunc_end1535-_ZL34rocblas_syrkx_herkx_general_kernelIldLi16ELi32ELi8ELb0ELb0ELc67ELc85EKPKdKPdEviT_T0_PT8_S5_lS8_S5_lS6_PT9_S5_li
                                        ; -- End function
	.set _ZL34rocblas_syrkx_herkx_general_kernelIldLi16ELi32ELi8ELb0ELb0ELc67ELc85EKPKdKPdEviT_T0_PT8_S5_lS8_S5_lS6_PT9_S5_li.num_vgpr, 40
	.set _ZL34rocblas_syrkx_herkx_general_kernelIldLi16ELi32ELi8ELb0ELb0ELc67ELc85EKPKdKPdEviT_T0_PT8_S5_lS8_S5_lS6_PT9_S5_li.num_agpr, 0
	.set _ZL34rocblas_syrkx_herkx_general_kernelIldLi16ELi32ELi8ELb0ELb0ELc67ELc85EKPKdKPdEviT_T0_PT8_S5_lS8_S5_lS6_PT9_S5_li.numbered_sgpr, 25
	.set _ZL34rocblas_syrkx_herkx_general_kernelIldLi16ELi32ELi8ELb0ELb0ELc67ELc85EKPKdKPdEviT_T0_PT8_S5_lS8_S5_lS6_PT9_S5_li.num_named_barrier, 0
	.set _ZL34rocblas_syrkx_herkx_general_kernelIldLi16ELi32ELi8ELb0ELb0ELc67ELc85EKPKdKPdEviT_T0_PT8_S5_lS8_S5_lS6_PT9_S5_li.private_seg_size, 0
	.set _ZL34rocblas_syrkx_herkx_general_kernelIldLi16ELi32ELi8ELb0ELb0ELc67ELc85EKPKdKPdEviT_T0_PT8_S5_lS8_S5_lS6_PT9_S5_li.uses_vcc, 1
	.set _ZL34rocblas_syrkx_herkx_general_kernelIldLi16ELi32ELi8ELb0ELb0ELc67ELc85EKPKdKPdEviT_T0_PT8_S5_lS8_S5_lS6_PT9_S5_li.uses_flat_scratch, 0
	.set _ZL34rocblas_syrkx_herkx_general_kernelIldLi16ELi32ELi8ELb0ELb0ELc67ELc85EKPKdKPdEviT_T0_PT8_S5_lS8_S5_lS6_PT9_S5_li.has_dyn_sized_stack, 0
	.set _ZL34rocblas_syrkx_herkx_general_kernelIldLi16ELi32ELi8ELb0ELb0ELc67ELc85EKPKdKPdEviT_T0_PT8_S5_lS8_S5_lS6_PT9_S5_li.has_recursion, 0
	.set _ZL34rocblas_syrkx_herkx_general_kernelIldLi16ELi32ELi8ELb0ELb0ELc67ELc85EKPKdKPdEviT_T0_PT8_S5_lS8_S5_lS6_PT9_S5_li.has_indirect_call, 0
	.section	.AMDGPU.csdata,"",@progbits
; Kernel info:
; codeLenInByte = 1540
; TotalNumSgprs: 29
; NumVgprs: 40
; ScratchSize: 0
; MemoryBound: 0
; FloatMode: 240
; IeeeMode: 1
; LDSByteSize: 4096 bytes/workgroup (compile time only)
; SGPRBlocks: 3
; VGPRBlocks: 9
; NumSGPRsForWavesPerEU: 29
; NumVGPRsForWavesPerEU: 40
; Occupancy: 6
; WaveLimiterHint : 1
; COMPUTE_PGM_RSRC2:SCRATCH_EN: 0
; COMPUTE_PGM_RSRC2:USER_SGPR: 6
; COMPUTE_PGM_RSRC2:TRAP_HANDLER: 0
; COMPUTE_PGM_RSRC2:TGID_X_EN: 1
; COMPUTE_PGM_RSRC2:TGID_Y_EN: 1
; COMPUTE_PGM_RSRC2:TGID_Z_EN: 1
; COMPUTE_PGM_RSRC2:TIDIG_COMP_CNT: 1
	.section	.text._ZL34rocblas_syrkx_herkx_general_kernelIldLi16ELi32ELi8ELb0ELb0ELc78ELc85EKPKdKPdEviT_T0_PT8_S5_lS8_S5_lS6_PT9_S5_li,"axG",@progbits,_ZL34rocblas_syrkx_herkx_general_kernelIldLi16ELi32ELi8ELb0ELb0ELc78ELc85EKPKdKPdEviT_T0_PT8_S5_lS8_S5_lS6_PT9_S5_li,comdat
	.globl	_ZL34rocblas_syrkx_herkx_general_kernelIldLi16ELi32ELi8ELb0ELb0ELc78ELc85EKPKdKPdEviT_T0_PT8_S5_lS8_S5_lS6_PT9_S5_li ; -- Begin function _ZL34rocblas_syrkx_herkx_general_kernelIldLi16ELi32ELi8ELb0ELb0ELc78ELc85EKPKdKPdEviT_T0_PT8_S5_lS8_S5_lS6_PT9_S5_li
	.p2align	8
	.type	_ZL34rocblas_syrkx_herkx_general_kernelIldLi16ELi32ELi8ELb0ELb0ELc78ELc85EKPKdKPdEviT_T0_PT8_S5_lS8_S5_lS6_PT9_S5_li,@function
_ZL34rocblas_syrkx_herkx_general_kernelIldLi16ELi32ELi8ELb0ELb0ELc78ELc85EKPKdKPdEviT_T0_PT8_S5_lS8_S5_lS6_PT9_S5_li: ; @_ZL34rocblas_syrkx_herkx_general_kernelIldLi16ELi32ELi8ELb0ELb0ELc78ELc85EKPKdKPdEviT_T0_PT8_S5_lS8_S5_lS6_PT9_S5_li
; %bb.0:
	s_load_dwordx2 s[10:11], s[4:5], 0x58
	s_load_dwordx4 s[20:23], s[4:5], 0x48
	s_load_dword s24, s[4:5], 0x0
	s_load_dwordx8 s[12:19], s[4:5], 0x8
	s_mov_b32 s9, 0
	s_lshl_b64 s[0:1], s[8:9], 3
	s_waitcnt lgkmcnt(0)
	s_add_u32 s2, s22, s0
	s_addc_u32 s3, s23, s1
	s_load_dwordx2 s[8:9], s[2:3], 0x0
	v_cmp_lt_i64_e64 s[2:3], s[12:13], 1
	s_lshl_b32 s22, s6, 5
	s_lshl_b32 s23, s7, 5
	s_and_b64 vcc, exec, s[2:3]
	s_cbranch_vccnz .LBB1536_7
; %bb.1:
	s_load_dwordx4 s[4:7], s[4:5], 0x30
	v_lshl_add_u32 v2, v1, 4, v0
	v_and_b32_e32 v8, 31, v2
	v_lshrrev_b32_e32 v5, 3, v2
	v_or_b32_e32 v3, s22, v8
	s_waitcnt lgkmcnt(0)
	s_add_u32 s2, s4, s0
	s_addc_u32 s3, s5, s1
	s_add_u32 s0, s16, s0
	v_lshrrev_b32_e32 v16, 5, v2
	s_addc_u32 s1, s17, s1
	v_lshlrev_b32_e32 v2, 3, v8
	s_load_dwordx2 s[16:17], s[0:1], 0x0
	v_cmp_gt_i32_e64 s[0:1], s24, v3
	v_lshl_or_b32 v18, v16, 8, v2
	v_mad_u64_u32 v[2:3], s[26:27], s18, v16, 0
	v_and_b32_e32 v17, 7, v0
	v_add_u32_e32 v4, s23, v5
	v_lshlrev_b32_e32 v6, 3, v17
	v_lshl_or_b32 v5, v5, 6, v6
	v_mad_u64_u32 v[6:7], s[26:27], s19, v16, v[3:4]
	v_mov_b32_e32 v3, 0x800
	v_lshl_add_u32 v21, v1, 6, v3
	v_mov_b32_e32 v3, v6
	v_add_u32_e32 v6, s22, v8
	v_ashrrev_i32_e32 v7, 31, v6
	v_mad_u64_u32 v[8:9], s[26:27], s6, v17, 0
	v_lshlrev_b64 v[2:3], 3, v[2:3]
	v_lshlrev_b64 v[6:7], 3, v[6:7]
	s_load_dwordx2 s[4:5], s[2:3], 0x0
	v_add_co_u32_e32 v10, vcc, v2, v6
	v_addc_co_u32_e32 v3, vcc, v3, v7, vcc
	v_mov_b32_e32 v2, v9
	v_mad_u64_u32 v[6:7], s[26:27], s7, v17, v[2:3]
	v_add_u32_e32 v19, 0x800, v5
	v_ashrrev_i32_e32 v5, 31, v4
	v_mov_b32_e32 v9, v6
	v_cmp_gt_i32_e64 s[2:3], s24, v4
	s_waitcnt lgkmcnt(0)
	v_mov_b32_e32 v11, s17
	v_add_co_u32_e32 v2, vcc, s16, v10
	v_lshlrev_b64 v[6:7], 3, v[8:9]
	v_lshlrev_b64 v[4:5], 3, v[4:5]
	v_addc_co_u32_e32 v3, vcc, v11, v3, vcc
	v_add_co_u32_e32 v4, vcc, v6, v4
	v_addc_co_u32_e32 v5, vcc, v7, v5, vcc
	v_mov_b32_e32 v7, s5
	v_add_co_u32_e32 v6, vcc, s4, v4
	s_lshl_b64 s[16:17], s[18:19], 6
	v_addc_co_u32_e32 v7, vcc, v7, v5, vcc
	s_lshl_b64 s[6:7], s[6:7], 6
	v_mov_b32_e32 v4, 0
	v_mov_b32_e32 v8, 0
	;; [unrolled: 1-line block ×4, first 2 shown]
	v_lshlrev_b32_e32 v20, 3, v0
	s_mov_b64 s[18:19], 0
	v_mov_b32_e32 v5, 0
	v_mov_b32_e32 v22, s17
	;; [unrolled: 1-line block ×6, first 2 shown]
	s_branch .LBB1536_3
.LBB1536_2:                             ;   in Loop: Header=BB1536_3 Depth=1
	s_or_b64 exec, exec, s[4:5]
	s_waitcnt vmcnt(0) lgkmcnt(0)
	ds_write_b64 v19, v[14:15]
	s_waitcnt lgkmcnt(0)
	s_barrier
	ds_read2_b64 v[24:27], v20 offset1:16
	ds_read_b128 v[28:31], v21
	ds_read_b128 v[32:35], v21 offset:1024
	ds_read_b128 v[36:39], v21 offset:16
	s_add_u32 s18, s18, 8
	v_add_co_u32_e32 v2, vcc, s16, v2
	s_waitcnt lgkmcnt(2)
	v_fma_f64 v[14:15], v[24:25], v[28:29], v[12:13]
	v_fma_f64 v[28:29], v[26:27], v[28:29], v[10:11]
	s_waitcnt lgkmcnt(1)
	v_fma_f64 v[8:9], v[24:25], v[32:33], v[8:9]
	v_fma_f64 v[4:5], v[26:27], v[32:33], v[4:5]
	ds_read2_b64 v[24:27], v20 offset0:32 offset1:48
	ds_read_b128 v[10:13], v21 offset:1040
	v_addc_co_u32_e32 v3, vcc, v3, v22, vcc
	s_addc_u32 s19, s19, 0
	s_waitcnt lgkmcnt(1)
	v_fma_f64 v[14:15], v[24:25], v[30:31], v[14:15]
	v_fma_f64 v[28:29], v[26:27], v[30:31], v[28:29]
	;; [unrolled: 1-line block ×4, first 2 shown]
	ds_read2_b64 v[24:27], v20 offset0:64 offset1:80
	v_add_co_u32_e64 v6, s[4:5], s6, v6
	v_addc_co_u32_e64 v7, s[4:5], v7, v23, s[4:5]
	s_waitcnt lgkmcnt(0)
	v_fma_f64 v[14:15], v[24:25], v[36:37], v[14:15]
	v_fma_f64 v[32:33], v[26:27], v[36:37], v[28:29]
	v_fma_f64 v[34:35], v[24:25], v[10:11], v[8:9]
	v_fma_f64 v[4:5], v[26:27], v[10:11], v[4:5]
	ds_read2_b64 v[28:31], v20 offset0:96 offset1:112
	ds_read2_b64 v[8:11], v20 offset0:128 offset1:144
	ds_read_b128 v[24:27], v21 offset:32
	s_waitcnt lgkmcnt(2)
	v_fma_f64 v[36:37], v[28:29], v[38:39], v[14:15]
	v_fma_f64 v[32:33], v[30:31], v[38:39], v[32:33]
	;; [unrolled: 1-line block ×4, first 2 shown]
	ds_read_b128 v[12:15], v21 offset:1056
	ds_read_b128 v[28:31], v21 offset:48
	s_waitcnt lgkmcnt(2)
	v_fma_f64 v[36:37], v[8:9], v[24:25], v[36:37]
	v_fma_f64 v[24:25], v[10:11], v[24:25], v[32:33]
	s_waitcnt lgkmcnt(1)
	v_fma_f64 v[38:39], v[8:9], v[12:13], v[38:39]
	v_fma_f64 v[4:5], v[10:11], v[12:13], v[4:5]
	ds_read2_b64 v[8:11], v20 offset0:160 offset1:176
	ds_read_b128 v[32:35], v21 offset:1072
	s_waitcnt lgkmcnt(1)
	v_fma_f64 v[12:13], v[8:9], v[26:27], v[36:37]
	v_fma_f64 v[36:37], v[10:11], v[26:27], v[24:25]
	;; [unrolled: 1-line block ×4, first 2 shown]
	ds_read2_b64 v[8:11], v20 offset0:192 offset1:208
	ds_read2_b64 v[24:27], v20 offset0:224 offset1:240
	v_mov_b32_e32 v15, s13
	v_mov_b32_e32 v14, s12
	v_cmp_ge_i64_e32 vcc, s[18:19], v[14:15]
	s_waitcnt lgkmcnt(1)
	v_fma_f64 v[12:13], v[8:9], v[28:29], v[12:13]
	v_fma_f64 v[28:29], v[10:11], v[28:29], v[36:37]
	;; [unrolled: 1-line block ×4, first 2 shown]
	s_and_b64 vcc, exec, vcc
	s_waitcnt lgkmcnt(0)
	s_barrier
	v_fma_f64 v[12:13], v[24:25], v[30:31], v[12:13]
	v_fma_f64 v[10:11], v[26:27], v[30:31], v[28:29]
	v_fma_f64 v[8:9], v[24:25], v[34:35], v[8:9]
	v_fma_f64 v[4:5], v[26:27], v[34:35], v[4:5]
	s_cbranch_vccnz .LBB1536_8
.LBB1536_3:                             ; =>This Inner Loop Header: Depth=1
	v_mov_b32_e32 v15, s19
	v_add_co_u32_e32 v14, vcc, s18, v16
	v_addc_co_u32_e32 v15, vcc, 0, v15, vcc
	v_cmp_gt_i64_e32 vcc, s[12:13], v[14:15]
	v_mov_b32_e32 v14, 0
	v_mov_b32_e32 v15, 0
	s_and_b64 s[26:27], s[0:1], vcc
	s_and_saveexec_b64 s[4:5], s[26:27]
	s_cbranch_execz .LBB1536_5
; %bb.4:                                ;   in Loop: Header=BB1536_3 Depth=1
	flat_load_dwordx2 v[14:15], v[2:3]
.LBB1536_5:                             ;   in Loop: Header=BB1536_3 Depth=1
	s_or_b64 exec, exec, s[4:5]
	s_waitcnt vmcnt(0) lgkmcnt(0)
	ds_write_b64 v18, v[14:15]
	v_mov_b32_e32 v15, s19
	v_add_co_u32_e32 v14, vcc, s18, v17
	v_addc_co_u32_e32 v15, vcc, 0, v15, vcc
	v_cmp_gt_i64_e32 vcc, s[12:13], v[14:15]
	v_mov_b32_e32 v14, 0
	v_mov_b32_e32 v15, 0
	s_and_b64 s[26:27], vcc, s[2:3]
	s_and_saveexec_b64 s[4:5], s[26:27]
	s_cbranch_execz .LBB1536_2
; %bb.6:                                ;   in Loop: Header=BB1536_3 Depth=1
	flat_load_dwordx2 v[14:15], v[6:7]
	s_branch .LBB1536_2
.LBB1536_7:
	v_mov_b32_e32 v12, 0
	v_mov_b32_e32 v10, 0
	;; [unrolled: 1-line block ×8, first 2 shown]
.LBB1536_8:
	v_add_u32_e32 v6, s23, v1
	v_ashrrev_i32_e32 v1, 31, v6
	v_mul_lo_u32 v3, s10, v1
	v_mul_lo_u32 v7, s11, v6
	v_mad_u64_u32 v[1:2], s[0:1], s10, v6, 0
	v_add_u32_e32 v0, s22, v0
	v_cmp_gt_i32_e32 vcc, s24, v6
	v_add3_u32 v2, v2, v3, v7
	v_lshlrev_b64 v[1:2], 3, v[1:2]
	s_waitcnt lgkmcnt(0)
	v_mov_b32_e32 v3, s9
	v_add_co_u32_e64 v7, s[0:1], s8, v1
	v_addc_co_u32_e64 v14, s[0:1], v3, v2, s[0:1]
	v_cmp_le_i32_e64 s[0:1], v0, v6
	s_and_b64 s[0:1], vcc, s[0:1]
	s_and_saveexec_b64 s[2:3], s[0:1]
	s_cbranch_execz .LBB1536_10
; %bb.9:
	v_ashrrev_i32_e32 v1, 31, v0
	v_lshlrev_b64 v[1:2], 3, v[0:1]
	v_add_co_u32_e64 v1, s[0:1], v7, v1
	v_addc_co_u32_e64 v2, s[0:1], v14, v2, s[0:1]
	flat_load_dwordx2 v[15:16], v[1:2]
	s_waitcnt vmcnt(0) lgkmcnt(0)
	v_mul_f64 v[15:16], s[20:21], v[15:16]
	v_fma_f64 v[12:13], s[14:15], v[12:13], v[15:16]
	flat_store_dwordx2 v[1:2], v[12:13]
.LBB1536_10:
	s_or_b64 exec, exec, s[2:3]
	v_add_u32_e32 v2, 16, v0
	v_cmp_le_i32_e64 s[0:1], v2, v6
	s_and_b64 s[2:3], vcc, s[0:1]
	s_and_saveexec_b64 s[0:1], s[2:3]
	s_cbranch_execz .LBB1536_12
; %bb.11:
	v_ashrrev_i32_e32 v3, 31, v2
	v_lshlrev_b64 v[12:13], 3, v[2:3]
	v_add_co_u32_e32 v12, vcc, v7, v12
	v_addc_co_u32_e32 v13, vcc, v14, v13, vcc
	flat_load_dwordx2 v[14:15], v[12:13]
	s_waitcnt vmcnt(0) lgkmcnt(0)
	v_mul_f64 v[14:15], s[20:21], v[14:15]
	v_fma_f64 v[10:11], s[14:15], v[10:11], v[14:15]
	flat_store_dwordx2 v[12:13], v[10:11]
.LBB1536_12:
	s_or_b64 exec, exec, s[0:1]
	v_add_u32_e32 v3, 16, v6
	v_ashrrev_i32_e32 v1, 31, v3
	v_mul_lo_u32 v1, s10, v1
	v_mul_lo_u32 v10, s11, v3
	v_mad_u64_u32 v[6:7], s[0:1], s10, v3, 0
	v_cmp_gt_i32_e32 vcc, s24, v3
	v_add3_u32 v7, v7, v1, v10
	v_lshlrev_b64 v[6:7], 3, v[6:7]
	v_mov_b32_e32 v1, s9
	v_add_co_u32_e64 v6, s[0:1], s8, v6
	v_addc_co_u32_e64 v7, s[0:1], v1, v7, s[0:1]
	v_cmp_le_i32_e64 s[0:1], v0, v3
	s_and_b64 s[0:1], vcc, s[0:1]
	s_and_saveexec_b64 s[2:3], s[0:1]
	s_cbranch_execz .LBB1536_14
; %bb.13:
	v_ashrrev_i32_e32 v1, 31, v0
	v_lshlrev_b64 v[0:1], 3, v[0:1]
	v_add_co_u32_e64 v0, s[0:1], v6, v0
	v_addc_co_u32_e64 v1, s[0:1], v7, v1, s[0:1]
	flat_load_dwordx2 v[10:11], v[0:1]
	s_waitcnt vmcnt(0) lgkmcnt(0)
	v_mul_f64 v[10:11], s[20:21], v[10:11]
	v_fma_f64 v[8:9], s[14:15], v[8:9], v[10:11]
	flat_store_dwordx2 v[0:1], v[8:9]
.LBB1536_14:
	s_or_b64 exec, exec, s[2:3]
	v_cmp_le_i32_e64 s[0:1], v2, v3
	s_and_b64 s[0:1], vcc, s[0:1]
	s_and_saveexec_b64 s[2:3], s[0:1]
	s_cbranch_execz .LBB1536_16
; %bb.15:
	v_ashrrev_i32_e32 v3, 31, v2
	v_lshlrev_b64 v[0:1], 3, v[2:3]
	v_add_co_u32_e32 v0, vcc, v6, v0
	v_addc_co_u32_e32 v1, vcc, v7, v1, vcc
	flat_load_dwordx2 v[2:3], v[0:1]
	s_waitcnt vmcnt(0) lgkmcnt(0)
	v_mul_f64 v[2:3], s[20:21], v[2:3]
	v_fma_f64 v[2:3], s[14:15], v[4:5], v[2:3]
	flat_store_dwordx2 v[0:1], v[2:3]
.LBB1536_16:
	s_endpgm
	.section	.rodata,"a",@progbits
	.p2align	6, 0x0
	.amdhsa_kernel _ZL34rocblas_syrkx_herkx_general_kernelIldLi16ELi32ELi8ELb0ELb0ELc78ELc85EKPKdKPdEviT_T0_PT8_S5_lS8_S5_lS6_PT9_S5_li
		.amdhsa_group_segment_fixed_size 4096
		.amdhsa_private_segment_fixed_size 0
		.amdhsa_kernarg_size 108
		.amdhsa_user_sgpr_count 6
		.amdhsa_user_sgpr_private_segment_buffer 1
		.amdhsa_user_sgpr_dispatch_ptr 0
		.amdhsa_user_sgpr_queue_ptr 0
		.amdhsa_user_sgpr_kernarg_segment_ptr 1
		.amdhsa_user_sgpr_dispatch_id 0
		.amdhsa_user_sgpr_flat_scratch_init 0
		.amdhsa_user_sgpr_private_segment_size 0
		.amdhsa_uses_dynamic_stack 0
		.amdhsa_system_sgpr_private_segment_wavefront_offset 0
		.amdhsa_system_sgpr_workgroup_id_x 1
		.amdhsa_system_sgpr_workgroup_id_y 1
		.amdhsa_system_sgpr_workgroup_id_z 1
		.amdhsa_system_sgpr_workgroup_info 0
		.amdhsa_system_vgpr_workitem_id 1
		.amdhsa_next_free_vgpr 40
		.amdhsa_next_free_sgpr 28
		.amdhsa_reserve_vcc 1
		.amdhsa_reserve_flat_scratch 0
		.amdhsa_float_round_mode_32 0
		.amdhsa_float_round_mode_16_64 0
		.amdhsa_float_denorm_mode_32 3
		.amdhsa_float_denorm_mode_16_64 3
		.amdhsa_dx10_clamp 1
		.amdhsa_ieee_mode 1
		.amdhsa_fp16_overflow 0
		.amdhsa_exception_fp_ieee_invalid_op 0
		.amdhsa_exception_fp_denorm_src 0
		.amdhsa_exception_fp_ieee_div_zero 0
		.amdhsa_exception_fp_ieee_overflow 0
		.amdhsa_exception_fp_ieee_underflow 0
		.amdhsa_exception_fp_ieee_inexact 0
		.amdhsa_exception_int_div_zero 0
	.end_amdhsa_kernel
	.section	.text._ZL34rocblas_syrkx_herkx_general_kernelIldLi16ELi32ELi8ELb0ELb0ELc78ELc85EKPKdKPdEviT_T0_PT8_S5_lS8_S5_lS6_PT9_S5_li,"axG",@progbits,_ZL34rocblas_syrkx_herkx_general_kernelIldLi16ELi32ELi8ELb0ELb0ELc78ELc85EKPKdKPdEviT_T0_PT8_S5_lS8_S5_lS6_PT9_S5_li,comdat
.Lfunc_end1536:
	.size	_ZL34rocblas_syrkx_herkx_general_kernelIldLi16ELi32ELi8ELb0ELb0ELc78ELc85EKPKdKPdEviT_T0_PT8_S5_lS8_S5_lS6_PT9_S5_li, .Lfunc_end1536-_ZL34rocblas_syrkx_herkx_general_kernelIldLi16ELi32ELi8ELb0ELb0ELc78ELc85EKPKdKPdEviT_T0_PT8_S5_lS8_S5_lS6_PT9_S5_li
                                        ; -- End function
	.set _ZL34rocblas_syrkx_herkx_general_kernelIldLi16ELi32ELi8ELb0ELb0ELc78ELc85EKPKdKPdEviT_T0_PT8_S5_lS8_S5_lS6_PT9_S5_li.num_vgpr, 40
	.set _ZL34rocblas_syrkx_herkx_general_kernelIldLi16ELi32ELi8ELb0ELb0ELc78ELc85EKPKdKPdEviT_T0_PT8_S5_lS8_S5_lS6_PT9_S5_li.num_agpr, 0
	.set _ZL34rocblas_syrkx_herkx_general_kernelIldLi16ELi32ELi8ELb0ELb0ELc78ELc85EKPKdKPdEviT_T0_PT8_S5_lS8_S5_lS6_PT9_S5_li.numbered_sgpr, 28
	.set _ZL34rocblas_syrkx_herkx_general_kernelIldLi16ELi32ELi8ELb0ELb0ELc78ELc85EKPKdKPdEviT_T0_PT8_S5_lS8_S5_lS6_PT9_S5_li.num_named_barrier, 0
	.set _ZL34rocblas_syrkx_herkx_general_kernelIldLi16ELi32ELi8ELb0ELb0ELc78ELc85EKPKdKPdEviT_T0_PT8_S5_lS8_S5_lS6_PT9_S5_li.private_seg_size, 0
	.set _ZL34rocblas_syrkx_herkx_general_kernelIldLi16ELi32ELi8ELb0ELb0ELc78ELc85EKPKdKPdEviT_T0_PT8_S5_lS8_S5_lS6_PT9_S5_li.uses_vcc, 1
	.set _ZL34rocblas_syrkx_herkx_general_kernelIldLi16ELi32ELi8ELb0ELb0ELc78ELc85EKPKdKPdEviT_T0_PT8_S5_lS8_S5_lS6_PT9_S5_li.uses_flat_scratch, 0
	.set _ZL34rocblas_syrkx_herkx_general_kernelIldLi16ELi32ELi8ELb0ELb0ELc78ELc85EKPKdKPdEviT_T0_PT8_S5_lS8_S5_lS6_PT9_S5_li.has_dyn_sized_stack, 0
	.set _ZL34rocblas_syrkx_herkx_general_kernelIldLi16ELi32ELi8ELb0ELb0ELc78ELc85EKPKdKPdEviT_T0_PT8_S5_lS8_S5_lS6_PT9_S5_li.has_recursion, 0
	.set _ZL34rocblas_syrkx_herkx_general_kernelIldLi16ELi32ELi8ELb0ELb0ELc78ELc85EKPKdKPdEviT_T0_PT8_S5_lS8_S5_lS6_PT9_S5_li.has_indirect_call, 0
	.section	.AMDGPU.csdata,"",@progbits
; Kernel info:
; codeLenInByte = 1552
; TotalNumSgprs: 32
; NumVgprs: 40
; ScratchSize: 0
; MemoryBound: 0
; FloatMode: 240
; IeeeMode: 1
; LDSByteSize: 4096 bytes/workgroup (compile time only)
; SGPRBlocks: 3
; VGPRBlocks: 9
; NumSGPRsForWavesPerEU: 32
; NumVGPRsForWavesPerEU: 40
; Occupancy: 6
; WaveLimiterHint : 1
; COMPUTE_PGM_RSRC2:SCRATCH_EN: 0
; COMPUTE_PGM_RSRC2:USER_SGPR: 6
; COMPUTE_PGM_RSRC2:TRAP_HANDLER: 0
; COMPUTE_PGM_RSRC2:TGID_X_EN: 1
; COMPUTE_PGM_RSRC2:TGID_Y_EN: 1
; COMPUTE_PGM_RSRC2:TGID_Z_EN: 1
; COMPUTE_PGM_RSRC2:TIDIG_COMP_CNT: 1
	.section	.text._ZL26rocblas_syr2k_scale_kernelIlLi128ELi8ELb0EddPKPdEvbiT_T3_T4_T5_S3_li,"axG",@progbits,_ZL26rocblas_syr2k_scale_kernelIlLi128ELi8ELb0EddPKPdEvbiT_T3_T4_T5_S3_li,comdat
	.globl	_ZL26rocblas_syr2k_scale_kernelIlLi128ELi8ELb0EddPKPdEvbiT_T3_T4_T5_S3_li ; -- Begin function _ZL26rocblas_syr2k_scale_kernelIlLi128ELi8ELb0EddPKPdEvbiT_T3_T4_T5_S3_li
	.p2align	8
	.type	_ZL26rocblas_syr2k_scale_kernelIlLi128ELi8ELb0EddPKPdEvbiT_T3_T4_T5_S3_li,@function
_ZL26rocblas_syr2k_scale_kernelIlLi128ELi8ELb0EddPKPdEvbiT_T3_T4_T5_S3_li: ; @_ZL26rocblas_syr2k_scale_kernelIlLi128ELi8ELb0EddPKPdEvbiT_T3_T4_T5_S3_li
; %bb.0:
	s_load_dwordx8 s[12:19], s[4:5], 0x18
	s_waitcnt lgkmcnt(0)
	v_cmp_eq_f64_e64 s[0:1], s[12:13], 1.0
	s_and_b64 vcc, exec, s[0:1]
	s_cbranch_vccnz .LBB1537_5
; %bb.1:
	s_load_dwordx2 s[0:1], s[4:5], 0x0
	s_load_dword s2, s[4:5], 0x4c
	s_waitcnt lgkmcnt(0)
	s_bitcmp1_b32 s0, 0
	s_cselect_b64 vcc, -1, 0
	s_lshr_b32 s0, s2, 16
	s_and_b32 s2, s2, 0xffff
	s_mul_i32 s6, s6, s2
	s_mul_i32 s7, s7, s0
	v_add_u32_e32 v0, s6, v0
	v_add_u32_e32 v1, s7, v1
	v_cndmask_b32_e32 v2, v1, v0, vcc
	v_cndmask_b32_e32 v3, v0, v1, vcc
	v_max_u32_e32 v4, v0, v1
	v_cmp_gt_u32_e32 vcc, s1, v4
	v_cmp_le_i32_e64 s[0:1], v2, v3
	s_and_b64 s[0:1], vcc, s[0:1]
	s_and_saveexec_b64 s[2:3], s[0:1]
	s_cbranch_execz .LBB1537_5
; %bb.2:
	s_mov_b32 s9, 0
	s_lshl_b64 s[0:1], s[8:9], 3
	s_add_u32 s0, s14, s0
	v_mad_u64_u32 v[2:3], s[2:3], s16, v1, 0
	s_addc_u32 s1, s15, s1
	s_load_dwordx2 s[0:1], s[0:1], 0x0
	v_mad_u64_u32 v[3:4], s[2:3], s17, v1, v[3:4]
	s_lshl_b64 s[2:3], s[18:19], 3
	v_mov_b32_e32 v1, 0
	s_waitcnt lgkmcnt(0)
	s_add_u32 s2, s0, s2
	s_addc_u32 s0, s1, s3
	v_mov_b32_e32 v4, s0
	v_cmp_eq_f64_e64 s[0:1], s[12:13], 0
	v_lshlrev_b64 v[2:3], 3, v[2:3]
	v_lshlrev_b64 v[0:1], 3, v[0:1]
	v_add_co_u32_e32 v2, vcc, s2, v2
	v_addc_co_u32_e32 v3, vcc, v4, v3, vcc
	v_add_co_u32_e32 v0, vcc, v2, v0
	v_addc_co_u32_e32 v1, vcc, v3, v1, vcc
	v_mov_b32_e32 v2, 0
	v_mov_b32_e32 v3, 0
	s_and_b64 vcc, exec, s[0:1]
	s_cbranch_vccnz .LBB1537_4
; %bb.3:
	flat_load_dwordx2 v[2:3], v[0:1]
	s_waitcnt vmcnt(0) lgkmcnt(0)
	v_mul_f64 v[2:3], s[12:13], v[2:3]
.LBB1537_4:
	flat_store_dwordx2 v[0:1], v[2:3]
.LBB1537_5:
	s_endpgm
	.section	.rodata,"a",@progbits
	.p2align	6, 0x0
	.amdhsa_kernel _ZL26rocblas_syr2k_scale_kernelIlLi128ELi8ELb0EddPKPdEvbiT_T3_T4_T5_S3_li
		.amdhsa_group_segment_fixed_size 0
		.amdhsa_private_segment_fixed_size 0
		.amdhsa_kernarg_size 320
		.amdhsa_user_sgpr_count 6
		.amdhsa_user_sgpr_private_segment_buffer 1
		.amdhsa_user_sgpr_dispatch_ptr 0
		.amdhsa_user_sgpr_queue_ptr 0
		.amdhsa_user_sgpr_kernarg_segment_ptr 1
		.amdhsa_user_sgpr_dispatch_id 0
		.amdhsa_user_sgpr_flat_scratch_init 0
		.amdhsa_user_sgpr_private_segment_size 0
		.amdhsa_uses_dynamic_stack 0
		.amdhsa_system_sgpr_private_segment_wavefront_offset 0
		.amdhsa_system_sgpr_workgroup_id_x 1
		.amdhsa_system_sgpr_workgroup_id_y 1
		.amdhsa_system_sgpr_workgroup_id_z 1
		.amdhsa_system_sgpr_workgroup_info 0
		.amdhsa_system_vgpr_workitem_id 1
		.amdhsa_next_free_vgpr 5
		.amdhsa_next_free_sgpr 20
		.amdhsa_reserve_vcc 1
		.amdhsa_reserve_flat_scratch 0
		.amdhsa_float_round_mode_32 0
		.amdhsa_float_round_mode_16_64 0
		.amdhsa_float_denorm_mode_32 3
		.amdhsa_float_denorm_mode_16_64 3
		.amdhsa_dx10_clamp 1
		.amdhsa_ieee_mode 1
		.amdhsa_fp16_overflow 0
		.amdhsa_exception_fp_ieee_invalid_op 0
		.amdhsa_exception_fp_denorm_src 0
		.amdhsa_exception_fp_ieee_div_zero 0
		.amdhsa_exception_fp_ieee_overflow 0
		.amdhsa_exception_fp_ieee_underflow 0
		.amdhsa_exception_fp_ieee_inexact 0
		.amdhsa_exception_int_div_zero 0
	.end_amdhsa_kernel
	.section	.text._ZL26rocblas_syr2k_scale_kernelIlLi128ELi8ELb0EddPKPdEvbiT_T3_T4_T5_S3_li,"axG",@progbits,_ZL26rocblas_syr2k_scale_kernelIlLi128ELi8ELb0EddPKPdEvbiT_T3_T4_T5_S3_li,comdat
.Lfunc_end1537:
	.size	_ZL26rocblas_syr2k_scale_kernelIlLi128ELi8ELb0EddPKPdEvbiT_T3_T4_T5_S3_li, .Lfunc_end1537-_ZL26rocblas_syr2k_scale_kernelIlLi128ELi8ELb0EddPKPdEvbiT_T3_T4_T5_S3_li
                                        ; -- End function
	.set _ZL26rocblas_syr2k_scale_kernelIlLi128ELi8ELb0EddPKPdEvbiT_T3_T4_T5_S3_li.num_vgpr, 5
	.set _ZL26rocblas_syr2k_scale_kernelIlLi128ELi8ELb0EddPKPdEvbiT_T3_T4_T5_S3_li.num_agpr, 0
	.set _ZL26rocblas_syr2k_scale_kernelIlLi128ELi8ELb0EddPKPdEvbiT_T3_T4_T5_S3_li.numbered_sgpr, 20
	.set _ZL26rocblas_syr2k_scale_kernelIlLi128ELi8ELb0EddPKPdEvbiT_T3_T4_T5_S3_li.num_named_barrier, 0
	.set _ZL26rocblas_syr2k_scale_kernelIlLi128ELi8ELb0EddPKPdEvbiT_T3_T4_T5_S3_li.private_seg_size, 0
	.set _ZL26rocblas_syr2k_scale_kernelIlLi128ELi8ELb0EddPKPdEvbiT_T3_T4_T5_S3_li.uses_vcc, 1
	.set _ZL26rocblas_syr2k_scale_kernelIlLi128ELi8ELb0EddPKPdEvbiT_T3_T4_T5_S3_li.uses_flat_scratch, 0
	.set _ZL26rocblas_syr2k_scale_kernelIlLi128ELi8ELb0EddPKPdEvbiT_T3_T4_T5_S3_li.has_dyn_sized_stack, 0
	.set _ZL26rocblas_syr2k_scale_kernelIlLi128ELi8ELb0EddPKPdEvbiT_T3_T4_T5_S3_li.has_recursion, 0
	.set _ZL26rocblas_syr2k_scale_kernelIlLi128ELi8ELb0EddPKPdEvbiT_T3_T4_T5_S3_li.has_indirect_call, 0
	.section	.AMDGPU.csdata,"",@progbits
; Kernel info:
; codeLenInByte = 272
; TotalNumSgprs: 24
; NumVgprs: 5
; ScratchSize: 0
; MemoryBound: 1
; FloatMode: 240
; IeeeMode: 1
; LDSByteSize: 0 bytes/workgroup (compile time only)
; SGPRBlocks: 2
; VGPRBlocks: 1
; NumSGPRsForWavesPerEU: 24
; NumVGPRsForWavesPerEU: 5
; Occupancy: 10
; WaveLimiterHint : 1
; COMPUTE_PGM_RSRC2:SCRATCH_EN: 0
; COMPUTE_PGM_RSRC2:USER_SGPR: 6
; COMPUTE_PGM_RSRC2:TRAP_HANDLER: 0
; COMPUTE_PGM_RSRC2:TGID_X_EN: 1
; COMPUTE_PGM_RSRC2:TGID_Y_EN: 1
; COMPUTE_PGM_RSRC2:TGID_Z_EN: 1
; COMPUTE_PGM_RSRC2:TIDIG_COMP_CNT: 1
	.section	.text._ZL26rocblas_syr2k_her2k_kernelIlLb0ELb0ELb0ELi32EPKdPKS1_PKPdEvbiT_T4_T5_S7_lS9_S7_lT6_S7_li,"axG",@progbits,_ZL26rocblas_syr2k_her2k_kernelIlLb0ELb0ELb0ELi32EPKdPKS1_PKPdEvbiT_T4_T5_S7_lS9_S7_lT6_S7_li,comdat
	.globl	_ZL26rocblas_syr2k_her2k_kernelIlLb0ELb0ELb0ELi32EPKdPKS1_PKPdEvbiT_T4_T5_S7_lS9_S7_lT6_S7_li ; -- Begin function _ZL26rocblas_syr2k_her2k_kernelIlLb0ELb0ELb0ELi32EPKdPKS1_PKPdEvbiT_T4_T5_S7_lS9_S7_lT6_S7_li
	.p2align	8
	.type	_ZL26rocblas_syr2k_her2k_kernelIlLb0ELb0ELb0ELi32EPKdPKS1_PKPdEvbiT_T4_T5_S7_lS9_S7_lT6_S7_li,@function
_ZL26rocblas_syr2k_her2k_kernelIlLb0ELb0ELb0ELi32EPKdPKS1_PKPdEvbiT_T4_T5_S7_lS9_S7_lT6_S7_li: ; @_ZL26rocblas_syr2k_her2k_kernelIlLb0ELb0ELb0ELi32EPKdPKS1_PKPdEvbiT_T4_T5_S7_lS9_S7_lT6_S7_li
; %bb.0:
	s_load_dwordx16 s[12:27], s[4:5], 0x8
	s_waitcnt lgkmcnt(0)
	s_load_dwordx2 s[10:11], s[14:15], 0x0
	s_waitcnt lgkmcnt(0)
	v_cmp_eq_f64_e64 s[0:1], s[10:11], 0
	s_and_b64 vcc, exec, s[0:1]
	s_cbranch_vccnz .LBB1538_10
; %bb.1:
	s_load_dwordx2 s[34:35], s[4:5], 0x0
	s_lshl_b32 s2, s7, 5
	s_lshl_b32 s3, s6, 5
	s_waitcnt lgkmcnt(0)
	s_and_b32 s0, 1, s34
	s_cmp_eq_u32 s0, 1
	s_cselect_b64 s[0:1], -1, 0
	s_and_b64 s[6:7], s[0:1], exec
	s_cselect_b32 s6, s3, s2
	s_cselect_b32 s7, s2, s3
	s_cmp_gt_i32 s6, s7
	v_cmp_lt_i64_e64 s[6:7], s[12:13], 1
	s_cselect_b64 s[14:15], -1, 0
	s_or_b64 s[6:7], s[14:15], s[6:7]
	s_and_b64 vcc, exec, s[6:7]
	s_cbranch_vccnz .LBB1538_10
; %bb.2:
	s_mov_b32 s9, 0
	s_load_dwordx4 s[28:31], s[4:5], 0x48
	s_load_dwordx2 s[6:7], s[4:5], 0x58
	s_lshl_b64 s[4:5], s[8:9], 3
	s_add_u32 s8, s16, s4
	s_addc_u32 s9, s17, s5
	s_add_u32 s16, s22, s4
	s_addc_u32 s17, s23, s5
	s_waitcnt lgkmcnt(0)
	s_add_u32 s4, s28, s4
	s_addc_u32 s5, s29, s5
	s_load_dwordx2 s[22:23], s[4:5], 0x0
	s_load_dwordx2 s[14:15], s[8:9], 0x0
	;; [unrolled: 1-line block ×3, first 2 shown]
	s_lshl_b64 s[4:5], s[6:7], 3
	v_add_u32_e32 v4, s2, v1
	v_lshlrev_b32_e32 v12, 8, v0
	v_lshlrev_b32_e32 v2, 3, v1
	s_waitcnt lgkmcnt(0)
	s_add_u32 s8, s22, s4
	v_add_u32_e32 v13, v12, v2
	v_or_b32_e32 v14, 0x2000, v2
	v_ashrrev_i32_e32 v2, 31, v4
	s_addc_u32 s9, s23, s5
	v_mul_lo_u32 v11, s30, v2
	v_mul_lo_u32 v16, s31, v4
	v_mad_u64_u32 v[2:3], s[4:5], s30, v4, 0
	v_add_u32_e32 v6, s3, v0
	v_cndmask_b32_e64 v8, v6, v4, s[0:1]
	v_cndmask_b32_e64 v9, v4, v6, s[0:1]
	v_max_i32_e32 v10, v6, v4
	v_cmp_gt_i32_e32 vcc, s35, v10
	v_cmp_le_i32_e64 s[4:5], v9, v8
	s_and_b64 s[6:7], s[4:5], vcc
	v_add3_u32 v3, v3, v11, v16
	v_mad_u64_u32 v[10:11], s[4:5], s24, v0, 0
	v_lshlrev_b64 v[2:3], 3, v[2:3]
	v_ashrrev_i32_e32 v9, 31, v6
	v_mov_b32_e32 v8, v6
	v_mov_b32_e32 v16, s9
	v_add_co_u32_e32 v17, vcc, s8, v2
	v_addc_co_u32_e32 v16, vcc, v16, v3, vcc
	v_lshlrev_b64 v[2:3], 3, v[8:9]
	v_mov_b32_e32 v8, v11
	v_mad_u64_u32 v[8:9], s[4:5], s25, v0, v[8:9]
	v_add_co_u32_e32 v2, vcc, v17, v2
	v_mov_b32_e32 v11, v8
	v_lshlrev_b64 v[8:9], 3, v[10:11]
	v_addc_co_u32_e32 v3, vcc, v16, v3, vcc
	s_lshl_b64 s[4:5], s[26:27], 3
	v_mov_b32_e32 v7, 0
	v_mov_b32_e32 v10, s5
	v_add_co_u32_e32 v11, vcc, s4, v8
	s_ashr_i32 s3, s35, 31
	s_mov_b32 s2, s35
	v_mov_b32_e32 v5, v7
	v_addc_co_u32_e32 v10, vcc, v9, v10, vcc
	v_mad_u64_u32 v[8:9], s[4:5], s18, v1, 0
	v_cmp_gt_i64_e64 s[0:1], s[2:3], v[6:7]
	v_cmp_gt_i64_e64 s[2:3], s[2:3], v[4:5]
	v_lshlrev_b64 v[4:5], 3, v[4:5]
	v_mov_b32_e32 v16, s29
	v_add_co_u32_e32 v11, vcc, v11, v4
	v_addc_co_u32_e32 v5, vcc, v10, v5, vcc
	v_mov_b32_e32 v4, v9
	v_mad_u64_u32 v[9:10], s[4:5], s19, v1, v[4:5]
	v_add_co_u32_e32 v4, vcc, s28, v11
	v_lshlrev_b64 v[8:9], 3, v[8:9]
	v_addc_co_u32_e32 v5, vcc, v16, v5, vcc
	s_lshl_b64 s[4:5], s[20:21], 3
	v_mov_b32_e32 v10, s5
	v_add_co_u32_e32 v8, vcc, s4, v8
	v_lshlrev_b64 v[6:7], 3, v[6:7]
	v_addc_co_u32_e32 v9, vcc, v9, v10, vcc
	v_add_co_u32_e32 v6, vcc, v8, v6
	v_addc_co_u32_e32 v7, vcc, v9, v7, vcc
	v_mov_b32_e32 v8, s15
	v_add_co_u32_e32 v6, vcc, s14, v6
	v_add_u32_e32 v15, v14, v12
	s_lshl_b64 s[8:9], s[24:25], 8
	v_addc_co_u32_e32 v7, vcc, v8, v7, vcc
	s_lshl_b64 s[14:15], s[18:19], 8
	s_mov_b64 s[16:17], 0
	v_add_u32_e32 v16, 0x800, v14
	v_add_u32_e32 v17, 0x1000, v14
	;; [unrolled: 1-line block ×3, first 2 shown]
	s_branch .LBB1538_4
.LBB1538_3:                             ;   in Loop: Header=BB1538_4 Depth=1
	s_or_b64 exec, exec, s[4:5]
	v_mov_b32_e32 v8, s9
	v_add_co_u32_e32 v4, vcc, s8, v4
	s_add_u32 s16, s16, 32
	v_addc_co_u32_e32 v5, vcc, v5, v8, vcc
	v_mov_b32_e32 v8, s12
	s_addc_u32 s17, s17, 0
	v_mov_b32_e32 v9, s13
	v_cmp_lt_i64_e32 vcc, s[16:17], v[8:9]
	v_mov_b32_e32 v10, s15
	v_add_co_u32_e64 v6, s[4:5], s14, v6
	v_addc_co_u32_e64 v7, s[4:5], v7, v10, s[4:5]
	s_waitcnt vmcnt(0) lgkmcnt(0)
	s_barrier
	s_cbranch_vccz .LBB1538_10
.LBB1538_4:                             ; =>This Inner Loop Header: Depth=1
	v_mov_b32_e32 v9, s17
	v_add_co_u32_e32 v8, vcc, s16, v1
	v_addc_co_u32_e32 v9, vcc, 0, v9, vcc
	v_cmp_gt_i64_e32 vcc, s[12:13], v[8:9]
	v_mov_b32_e32 v8, 0
	v_mov_b32_e32 v10, 0
	v_mov_b32_e32 v9, 0
	v_mov_b32_e32 v11, 0
	s_and_b64 s[18:19], s[0:1], vcc
	s_and_saveexec_b64 s[4:5], s[18:19]
	s_cbranch_execz .LBB1538_6
; %bb.5:                                ;   in Loop: Header=BB1538_4 Depth=1
	flat_load_dwordx2 v[10:11], v[6:7]
.LBB1538_6:                             ;   in Loop: Header=BB1538_4 Depth=1
	s_or_b64 exec, exec, s[4:5]
	v_mov_b32_e32 v20, s17
	v_add_co_u32_e32 v19, vcc, s16, v0
	v_addc_co_u32_e32 v20, vcc, 0, v20, vcc
	v_cmp_gt_i64_e32 vcc, s[12:13], v[19:20]
	s_waitcnt vmcnt(0) lgkmcnt(0)
	ds_write_b64 v13, v[10:11]
	s_and_b64 s[18:19], s[2:3], vcc
	s_and_saveexec_b64 s[4:5], s[18:19]
	s_cbranch_execz .LBB1538_8
; %bb.7:                                ;   in Loop: Header=BB1538_4 Depth=1
	flat_load_dwordx2 v[8:9], v[4:5]
.LBB1538_8:                             ;   in Loop: Header=BB1538_4 Depth=1
	s_or_b64 exec, exec, s[4:5]
	s_waitcnt vmcnt(0) lgkmcnt(0)
	ds_write_b64 v15, v[8:9]
	s_waitcnt lgkmcnt(0)
	s_barrier
	s_and_saveexec_b64 s[4:5], s[6:7]
	s_cbranch_execz .LBB1538_3
; %bb.9:                                ;   in Loop: Header=BB1538_4 Depth=1
	ds_read2_b64 v[8:11], v14 offset1:32
	ds_read_b128 v[19:22], v12
	s_waitcnt lgkmcnt(0)
	v_fma_f64 v[8:9], v[19:20], v[8:9], 0
	v_fma_f64 v[23:24], v[21:22], v[10:11], v[8:9]
	ds_read_b128 v[8:11], v12 offset:16
	ds_read2_b64 v[19:22], v14 offset0:64 offset1:96
	s_waitcnt lgkmcnt(0)
	v_fma_f64 v[8:9], v[8:9], v[19:20], v[23:24]
	v_fma_f64 v[23:24], v[10:11], v[21:22], v[8:9]
	ds_read2_b64 v[8:11], v14 offset0:128 offset1:160
	ds_read_b128 v[19:22], v12 offset:32
	s_waitcnt lgkmcnt(0)
	v_fma_f64 v[8:9], v[19:20], v[8:9], v[23:24]
	v_fma_f64 v[23:24], v[21:22], v[10:11], v[8:9]
	ds_read_b128 v[8:11], v12 offset:48
	ds_read2_b64 v[19:22], v14 offset0:192 offset1:224
	s_waitcnt lgkmcnt(0)
	v_fma_f64 v[8:9], v[8:9], v[19:20], v[23:24]
	v_fma_f64 v[23:24], v[10:11], v[21:22], v[8:9]
	ds_read2_b64 v[8:11], v16 offset1:32
	ds_read_b128 v[19:22], v12 offset:64
	s_waitcnt lgkmcnt(0)
	v_fma_f64 v[8:9], v[19:20], v[8:9], v[23:24]
	v_fma_f64 v[23:24], v[21:22], v[10:11], v[8:9]
	ds_read_b128 v[8:11], v12 offset:80
	ds_read2_b64 v[19:22], v16 offset0:64 offset1:96
	s_waitcnt lgkmcnt(0)
	v_fma_f64 v[8:9], v[8:9], v[19:20], v[23:24]
	v_fma_f64 v[23:24], v[10:11], v[21:22], v[8:9]
	ds_read2_b64 v[8:11], v16 offset0:128 offset1:160
	ds_read_b128 v[19:22], v12 offset:96
	s_waitcnt lgkmcnt(0)
	v_fma_f64 v[8:9], v[19:20], v[8:9], v[23:24]
	v_fma_f64 v[23:24], v[21:22], v[10:11], v[8:9]
	ds_read_b128 v[8:11], v12 offset:112
	ds_read2_b64 v[19:22], v16 offset0:192 offset1:224
	s_waitcnt lgkmcnt(0)
	v_fma_f64 v[8:9], v[8:9], v[19:20], v[23:24]
	v_fma_f64 v[23:24], v[10:11], v[21:22], v[8:9]
	ds_read2_b64 v[8:11], v17 offset1:32
	ds_read_b128 v[19:22], v12 offset:128
	s_waitcnt lgkmcnt(0)
	v_fma_f64 v[8:9], v[19:20], v[8:9], v[23:24]
	v_fma_f64 v[23:24], v[21:22], v[10:11], v[8:9]
	ds_read_b128 v[8:11], v12 offset:144
	ds_read2_b64 v[19:22], v17 offset0:64 offset1:96
	s_waitcnt lgkmcnt(0)
	v_fma_f64 v[8:9], v[8:9], v[19:20], v[23:24]
	v_fma_f64 v[23:24], v[10:11], v[21:22], v[8:9]
	ds_read2_b64 v[8:11], v17 offset0:128 offset1:160
	ds_read_b128 v[19:22], v12 offset:160
	s_waitcnt lgkmcnt(0)
	v_fma_f64 v[8:9], v[19:20], v[8:9], v[23:24]
	v_fma_f64 v[23:24], v[21:22], v[10:11], v[8:9]
	ds_read_b128 v[8:11], v12 offset:176
	ds_read2_b64 v[19:22], v17 offset0:192 offset1:224
	s_waitcnt lgkmcnt(0)
	v_fma_f64 v[8:9], v[8:9], v[19:20], v[23:24]
	flat_load_dwordx2 v[23:24], v[2:3]
	v_fma_f64 v[25:26], v[10:11], v[21:22], v[8:9]
	ds_read2_b64 v[8:11], v18 offset1:32
	ds_read_b128 v[19:22], v12 offset:192
	s_waitcnt lgkmcnt(0)
	v_fma_f64 v[8:9], v[19:20], v[8:9], v[25:26]
	v_fma_f64 v[25:26], v[21:22], v[10:11], v[8:9]
	ds_read_b128 v[8:11], v12 offset:208
	ds_read2_b64 v[19:22], v18 offset0:64 offset1:96
	s_waitcnt lgkmcnt(0)
	v_fma_f64 v[8:9], v[8:9], v[19:20], v[25:26]
	v_fma_f64 v[25:26], v[10:11], v[21:22], v[8:9]
	ds_read2_b64 v[8:11], v18 offset0:128 offset1:160
	ds_read_b128 v[19:22], v12 offset:224
	s_waitcnt lgkmcnt(0)
	v_fma_f64 v[8:9], v[19:20], v[8:9], v[25:26]
	v_fma_f64 v[25:26], v[21:22], v[10:11], v[8:9]
	ds_read_b128 v[8:11], v12 offset:240
	ds_read2_b64 v[19:22], v18 offset0:192 offset1:224
	s_waitcnt lgkmcnt(0)
	v_fma_f64 v[8:9], v[8:9], v[19:20], v[25:26]
	v_fma_f64 v[8:9], v[10:11], v[21:22], v[8:9]
	s_waitcnt vmcnt(0)
	v_fma_f64 v[8:9], s[10:11], v[8:9], v[23:24]
	flat_store_dwordx2 v[2:3], v[8:9]
	s_branch .LBB1538_3
.LBB1538_10:
	s_endpgm
	.section	.rodata,"a",@progbits
	.p2align	6, 0x0
	.amdhsa_kernel _ZL26rocblas_syr2k_her2k_kernelIlLb0ELb0ELb0ELi32EPKdPKS1_PKPdEvbiT_T4_T5_S7_lS9_S7_lT6_S7_li
		.amdhsa_group_segment_fixed_size 16384
		.amdhsa_private_segment_fixed_size 0
		.amdhsa_kernarg_size 100
		.amdhsa_user_sgpr_count 6
		.amdhsa_user_sgpr_private_segment_buffer 1
		.amdhsa_user_sgpr_dispatch_ptr 0
		.amdhsa_user_sgpr_queue_ptr 0
		.amdhsa_user_sgpr_kernarg_segment_ptr 1
		.amdhsa_user_sgpr_dispatch_id 0
		.amdhsa_user_sgpr_flat_scratch_init 0
		.amdhsa_user_sgpr_private_segment_size 0
		.amdhsa_uses_dynamic_stack 0
		.amdhsa_system_sgpr_private_segment_wavefront_offset 0
		.amdhsa_system_sgpr_workgroup_id_x 1
		.amdhsa_system_sgpr_workgroup_id_y 1
		.amdhsa_system_sgpr_workgroup_id_z 1
		.amdhsa_system_sgpr_workgroup_info 0
		.amdhsa_system_vgpr_workitem_id 1
		.amdhsa_next_free_vgpr 29
		.amdhsa_next_free_sgpr 61
		.amdhsa_reserve_vcc 1
		.amdhsa_reserve_flat_scratch 0
		.amdhsa_float_round_mode_32 0
		.amdhsa_float_round_mode_16_64 0
		.amdhsa_float_denorm_mode_32 3
		.amdhsa_float_denorm_mode_16_64 3
		.amdhsa_dx10_clamp 1
		.amdhsa_ieee_mode 1
		.amdhsa_fp16_overflow 0
		.amdhsa_exception_fp_ieee_invalid_op 0
		.amdhsa_exception_fp_denorm_src 0
		.amdhsa_exception_fp_ieee_div_zero 0
		.amdhsa_exception_fp_ieee_overflow 0
		.amdhsa_exception_fp_ieee_underflow 0
		.amdhsa_exception_fp_ieee_inexact 0
		.amdhsa_exception_int_div_zero 0
	.end_amdhsa_kernel
	.section	.text._ZL26rocblas_syr2k_her2k_kernelIlLb0ELb0ELb0ELi32EPKdPKS1_PKPdEvbiT_T4_T5_S7_lS9_S7_lT6_S7_li,"axG",@progbits,_ZL26rocblas_syr2k_her2k_kernelIlLb0ELb0ELb0ELi32EPKdPKS1_PKPdEvbiT_T4_T5_S7_lS9_S7_lT6_S7_li,comdat
.Lfunc_end1538:
	.size	_ZL26rocblas_syr2k_her2k_kernelIlLb0ELb0ELb0ELi32EPKdPKS1_PKPdEvbiT_T4_T5_S7_lS9_S7_lT6_S7_li, .Lfunc_end1538-_ZL26rocblas_syr2k_her2k_kernelIlLb0ELb0ELb0ELi32EPKdPKS1_PKPdEvbiT_T4_T5_S7_lS9_S7_lT6_S7_li
                                        ; -- End function
	.set _ZL26rocblas_syr2k_her2k_kernelIlLb0ELb0ELb0ELi32EPKdPKS1_PKPdEvbiT_T4_T5_S7_lS9_S7_lT6_S7_li.num_vgpr, 27
	.set _ZL26rocblas_syr2k_her2k_kernelIlLb0ELb0ELb0ELi32EPKdPKS1_PKPdEvbiT_T4_T5_S7_lS9_S7_lT6_S7_li.num_agpr, 0
	.set _ZL26rocblas_syr2k_her2k_kernelIlLb0ELb0ELb0ELi32EPKdPKS1_PKPdEvbiT_T4_T5_S7_lS9_S7_lT6_S7_li.numbered_sgpr, 36
	.set _ZL26rocblas_syr2k_her2k_kernelIlLb0ELb0ELb0ELi32EPKdPKS1_PKPdEvbiT_T4_T5_S7_lS9_S7_lT6_S7_li.num_named_barrier, 0
	.set _ZL26rocblas_syr2k_her2k_kernelIlLb0ELb0ELb0ELi32EPKdPKS1_PKPdEvbiT_T4_T5_S7_lS9_S7_lT6_S7_li.private_seg_size, 0
	.set _ZL26rocblas_syr2k_her2k_kernelIlLb0ELb0ELb0ELi32EPKdPKS1_PKPdEvbiT_T4_T5_S7_lS9_S7_lT6_S7_li.uses_vcc, 1
	.set _ZL26rocblas_syr2k_her2k_kernelIlLb0ELb0ELb0ELi32EPKdPKS1_PKPdEvbiT_T4_T5_S7_lS9_S7_lT6_S7_li.uses_flat_scratch, 0
	.set _ZL26rocblas_syr2k_her2k_kernelIlLb0ELb0ELb0ELi32EPKdPKS1_PKPdEvbiT_T4_T5_S7_lS9_S7_lT6_S7_li.has_dyn_sized_stack, 0
	.set _ZL26rocblas_syr2k_her2k_kernelIlLb0ELb0ELb0ELi32EPKdPKS1_PKPdEvbiT_T4_T5_S7_lS9_S7_lT6_S7_li.has_recursion, 0
	.set _ZL26rocblas_syr2k_her2k_kernelIlLb0ELb0ELb0ELi32EPKdPKS1_PKPdEvbiT_T4_T5_S7_lS9_S7_lT6_S7_li.has_indirect_call, 0
	.section	.AMDGPU.csdata,"",@progbits
; Kernel info:
; codeLenInByte = 1388
; TotalNumSgprs: 40
; NumVgprs: 27
; ScratchSize: 0
; MemoryBound: 0
; FloatMode: 240
; IeeeMode: 1
; LDSByteSize: 16384 bytes/workgroup (compile time only)
; SGPRBlocks: 8
; VGPRBlocks: 7
; NumSGPRsForWavesPerEU: 65
; NumVGPRsForWavesPerEU: 29
; Occupancy: 8
; WaveLimiterHint : 1
; COMPUTE_PGM_RSRC2:SCRATCH_EN: 0
; COMPUTE_PGM_RSRC2:USER_SGPR: 6
; COMPUTE_PGM_RSRC2:TRAP_HANDLER: 0
; COMPUTE_PGM_RSRC2:TGID_X_EN: 1
; COMPUTE_PGM_RSRC2:TGID_Y_EN: 1
; COMPUTE_PGM_RSRC2:TGID_Z_EN: 1
; COMPUTE_PGM_RSRC2:TIDIG_COMP_CNT: 1
	.section	.text._ZL26rocblas_syr2k_her2k_kernelIlLb0ELb0ELb1ELi32EPKdPKS1_PKPdEvbiT_T4_T5_S7_lS9_S7_lT6_S7_li,"axG",@progbits,_ZL26rocblas_syr2k_her2k_kernelIlLb0ELb0ELb1ELi32EPKdPKS1_PKPdEvbiT_T4_T5_S7_lS9_S7_lT6_S7_li,comdat
	.globl	_ZL26rocblas_syr2k_her2k_kernelIlLb0ELb0ELb1ELi32EPKdPKS1_PKPdEvbiT_T4_T5_S7_lS9_S7_lT6_S7_li ; -- Begin function _ZL26rocblas_syr2k_her2k_kernelIlLb0ELb0ELb1ELi32EPKdPKS1_PKPdEvbiT_T4_T5_S7_lS9_S7_lT6_S7_li
	.p2align	8
	.type	_ZL26rocblas_syr2k_her2k_kernelIlLb0ELb0ELb1ELi32EPKdPKS1_PKPdEvbiT_T4_T5_S7_lS9_S7_lT6_S7_li,@function
_ZL26rocblas_syr2k_her2k_kernelIlLb0ELb0ELb1ELi32EPKdPKS1_PKPdEvbiT_T4_T5_S7_lS9_S7_lT6_S7_li: ; @_ZL26rocblas_syr2k_her2k_kernelIlLb0ELb0ELb1ELi32EPKdPKS1_PKPdEvbiT_T4_T5_S7_lS9_S7_lT6_S7_li
; %bb.0:
	s_load_dwordx16 s[12:27], s[4:5], 0x8
	s_waitcnt lgkmcnt(0)
	s_load_dwordx2 s[10:11], s[14:15], 0x0
	s_waitcnt lgkmcnt(0)
	v_cmp_eq_f64_e64 s[0:1], s[10:11], 0
	s_and_b64 vcc, exec, s[0:1]
	s_cbranch_vccnz .LBB1539_10
; %bb.1:
	s_load_dwordx2 s[14:15], s[4:5], 0x0
	s_lshl_b32 s2, s7, 5
	s_lshl_b32 s3, s6, 5
	s_waitcnt lgkmcnt(0)
	s_and_b32 s0, 1, s14
	s_cmp_eq_u32 s0, 1
	s_cselect_b64 s[0:1], -1, 0
	s_and_b64 s[6:7], s[0:1], exec
	s_cselect_b32 s6, s3, s2
	s_cselect_b32 s7, s2, s3
	s_cmp_gt_i32 s6, s7
	v_cmp_lt_i64_e64 s[6:7], s[12:13], 1
	s_cselect_b64 s[28:29], -1, 0
	s_or_b64 s[6:7], s[28:29], s[6:7]
	s_and_b64 vcc, exec, s[6:7]
	s_cbranch_vccnz .LBB1539_10
; %bb.2:
	s_mov_b32 s9, 0
	s_load_dwordx4 s[28:31], s[4:5], 0x48
	s_load_dwordx2 s[6:7], s[4:5], 0x58
	s_lshl_b64 s[4:5], s[8:9], 3
	s_add_u32 s16, s16, s4
	s_addc_u32 s17, s17, s5
	s_add_u32 s22, s22, s4
	s_addc_u32 s23, s23, s5
	s_waitcnt lgkmcnt(0)
	s_add_u32 s4, s28, s4
	s_addc_u32 s5, s29, s5
	s_load_dwordx2 s[28:29], s[4:5], 0x0
	s_load_dwordx2 s[8:9], s[16:17], 0x0
	;; [unrolled: 1-line block ×3, first 2 shown]
	s_lshl_b64 s[4:5], s[6:7], 3
	v_add_u32_e32 v2, s2, v1
	s_waitcnt lgkmcnt(0)
	s_add_u32 s14, s28, s4
	s_addc_u32 s16, s29, s5
	v_add_u32_e32 v4, s3, v0
	s_ashr_i32 s3, s15, 31
	s_mov_b32 s2, s15
	v_mov_b32_e32 v5, 0
	v_cndmask_b32_e64 v8, v4, v2, s[0:1]
	v_cndmask_b32_e64 v9, v2, v4, s[0:1]
	v_cmp_gt_i64_e64 s[0:1], s[2:3], v[4:5]
	v_mov_b32_e32 v3, v5
	v_ashrrev_i32_e32 v5, 31, v2
	v_mul_lo_u32 v5, s30, v5
	v_mul_lo_u32 v10, s31, v2
	v_mad_u64_u32 v[6:7], s[4:5], s30, v2, 0
	v_cmp_gt_i64_e64 s[2:3], s[2:3], v[2:3]
	v_max_i32_e32 v3, v4, v2
	v_cmp_gt_i32_e32 vcc, s15, v3
	v_cmp_le_i32_e64 s[4:5], v9, v8
	s_and_b64 s[6:7], s[4:5], vcc
	v_add3_u32 v7, v7, v5, v10
	v_mad_u64_u32 v[8:9], s[4:5], s24, v2, 0
	v_lshlrev_b64 v[6:7], 3, v[6:7]
	v_mov_b32_e32 v3, s16
	v_add_co_u32_e32 v16, vcc, s14, v6
	v_addc_co_u32_e32 v7, vcc, v3, v7, vcc
	v_mov_b32_e32 v3, v9
	v_ashrrev_i32_e32 v5, 31, v4
	v_mad_u64_u32 v[9:10], s[4:5], s25, v2, v[3:4]
	v_lshlrev_b64 v[5:6], 3, v[4:5]
	s_lshl_b64 s[4:5], s[26:27], 3
	v_add_co_u32_e32 v2, vcc, v16, v5
	v_addc_co_u32_e32 v3, vcc, v7, v6, vcc
	v_lshlrev_b64 v[5:6], 3, v[8:9]
	v_mov_b32_e32 v7, s5
	v_add_co_u32_e32 v5, vcc, s4, v5
	v_addc_co_u32_e32 v8, vcc, v6, v7, vcc
	v_mad_u64_u32 v[6:7], s[4:5], s18, v4, 0
	v_lshlrev_b32_e32 v9, 3, v0
	v_add_co_u32_e32 v9, vcc, v5, v9
	v_mov_b32_e32 v5, v7
	v_addc_co_u32_e32 v10, vcc, 0, v8, vcc
	v_mad_u64_u32 v[7:8], s[4:5], s19, v4, v[5:6]
	v_mov_b32_e32 v16, s35
	v_add_co_u32_e32 v4, vcc, s34, v9
	v_lshlrev_b64 v[6:7], 3, v[6:7]
	v_addc_co_u32_e32 v5, vcc, v16, v10, vcc
	s_lshl_b64 s[4:5], s[20:21], 3
	v_mov_b32_e32 v8, s5
	v_add_co_u32_e32 v6, vcc, s4, v6
	v_lshlrev_b32_e32 v11, 3, v1
	v_addc_co_u32_e32 v7, vcc, v7, v8, vcc
	v_add_co_u32_e32 v6, vcc, v6, v11
	v_addc_co_u32_e32 v7, vcc, 0, v7, vcc
	v_lshlrev_b32_e32 v12, 8, v0
	v_or_b32_e32 v14, 0x2000, v11
	v_mov_b32_e32 v8, s9
	v_add_co_u32_e32 v6, vcc, s8, v6
	v_add_u32_e32 v13, v12, v11
	v_add_u32_e32 v15, v14, v12
	v_addc_co_u32_e32 v7, vcc, v8, v7, vcc
	s_mov_b64 s[8:9], 0
	v_add_u32_e32 v16, 0x800, v14
	v_add_u32_e32 v17, 0x1000, v14
	;; [unrolled: 1-line block ×3, first 2 shown]
	s_branch .LBB1539_4
.LBB1539_3:                             ;   in Loop: Header=BB1539_4 Depth=1
	s_or_b64 exec, exec, s[4:5]
	s_add_u32 s8, s8, 32
	v_add_co_u32_e32 v4, vcc, 0x100, v4
	v_mov_b32_e32 v8, s12
	s_addc_u32 s9, s9, 0
	v_addc_co_u32_e32 v5, vcc, 0, v5, vcc
	v_mov_b32_e32 v9, s13
	v_add_co_u32_e32 v6, vcc, 0x100, v6
	v_cmp_lt_i64_e64 s[4:5], s[8:9], v[8:9]
	v_addc_co_u32_e32 v7, vcc, 0, v7, vcc
	s_and_b64 vcc, exec, s[4:5]
	s_waitcnt vmcnt(0) lgkmcnt(0)
	s_barrier
	s_cbranch_vccz .LBB1539_10
.LBB1539_4:                             ; =>This Inner Loop Header: Depth=1
	v_mov_b32_e32 v9, s9
	v_add_co_u32_e32 v8, vcc, s8, v1
	v_addc_co_u32_e32 v9, vcc, 0, v9, vcc
	v_cmp_gt_i64_e32 vcc, s[12:13], v[8:9]
	v_mov_b32_e32 v8, 0
	v_mov_b32_e32 v10, 0
	;; [unrolled: 1-line block ×4, first 2 shown]
	s_and_b64 s[14:15], s[0:1], vcc
	s_and_saveexec_b64 s[4:5], s[14:15]
	s_cbranch_execz .LBB1539_6
; %bb.5:                                ;   in Loop: Header=BB1539_4 Depth=1
	flat_load_dwordx2 v[10:11], v[6:7]
.LBB1539_6:                             ;   in Loop: Header=BB1539_4 Depth=1
	s_or_b64 exec, exec, s[4:5]
	v_mov_b32_e32 v20, s9
	v_add_co_u32_e32 v19, vcc, s8, v0
	v_addc_co_u32_e32 v20, vcc, 0, v20, vcc
	v_cmp_gt_i64_e32 vcc, s[12:13], v[19:20]
	s_waitcnt vmcnt(0) lgkmcnt(0)
	ds_write_b64 v13, v[10:11]
	s_and_b64 s[14:15], s[2:3], vcc
	s_and_saveexec_b64 s[4:5], s[14:15]
	s_cbranch_execz .LBB1539_8
; %bb.7:                                ;   in Loop: Header=BB1539_4 Depth=1
	flat_load_dwordx2 v[8:9], v[4:5]
.LBB1539_8:                             ;   in Loop: Header=BB1539_4 Depth=1
	s_or_b64 exec, exec, s[4:5]
	s_waitcnt vmcnt(0) lgkmcnt(0)
	ds_write_b64 v15, v[8:9]
	s_waitcnt lgkmcnt(0)
	s_barrier
	s_and_saveexec_b64 s[4:5], s[6:7]
	s_cbranch_execz .LBB1539_3
; %bb.9:                                ;   in Loop: Header=BB1539_4 Depth=1
	ds_read2_b64 v[8:11], v14 offset1:32
	ds_read_b128 v[19:22], v12
	s_waitcnt lgkmcnt(0)
	v_fma_f64 v[8:9], v[19:20], v[8:9], 0
	v_fma_f64 v[23:24], v[21:22], v[10:11], v[8:9]
	ds_read_b128 v[8:11], v12 offset:16
	ds_read2_b64 v[19:22], v14 offset0:64 offset1:96
	s_waitcnt lgkmcnt(0)
	v_fma_f64 v[8:9], v[8:9], v[19:20], v[23:24]
	v_fma_f64 v[23:24], v[10:11], v[21:22], v[8:9]
	ds_read2_b64 v[8:11], v14 offset0:128 offset1:160
	ds_read_b128 v[19:22], v12 offset:32
	s_waitcnt lgkmcnt(0)
	v_fma_f64 v[8:9], v[19:20], v[8:9], v[23:24]
	v_fma_f64 v[23:24], v[21:22], v[10:11], v[8:9]
	ds_read_b128 v[8:11], v12 offset:48
	ds_read2_b64 v[19:22], v14 offset0:192 offset1:224
	s_waitcnt lgkmcnt(0)
	v_fma_f64 v[8:9], v[8:9], v[19:20], v[23:24]
	v_fma_f64 v[23:24], v[10:11], v[21:22], v[8:9]
	ds_read2_b64 v[8:11], v16 offset1:32
	ds_read_b128 v[19:22], v12 offset:64
	s_waitcnt lgkmcnt(0)
	v_fma_f64 v[8:9], v[19:20], v[8:9], v[23:24]
	v_fma_f64 v[23:24], v[21:22], v[10:11], v[8:9]
	ds_read_b128 v[8:11], v12 offset:80
	ds_read2_b64 v[19:22], v16 offset0:64 offset1:96
	s_waitcnt lgkmcnt(0)
	v_fma_f64 v[8:9], v[8:9], v[19:20], v[23:24]
	v_fma_f64 v[23:24], v[10:11], v[21:22], v[8:9]
	ds_read2_b64 v[8:11], v16 offset0:128 offset1:160
	ds_read_b128 v[19:22], v12 offset:96
	s_waitcnt lgkmcnt(0)
	v_fma_f64 v[8:9], v[19:20], v[8:9], v[23:24]
	v_fma_f64 v[23:24], v[21:22], v[10:11], v[8:9]
	ds_read_b128 v[8:11], v12 offset:112
	ds_read2_b64 v[19:22], v16 offset0:192 offset1:224
	s_waitcnt lgkmcnt(0)
	v_fma_f64 v[8:9], v[8:9], v[19:20], v[23:24]
	v_fma_f64 v[23:24], v[10:11], v[21:22], v[8:9]
	ds_read2_b64 v[8:11], v17 offset1:32
	ds_read_b128 v[19:22], v12 offset:128
	s_waitcnt lgkmcnt(0)
	v_fma_f64 v[8:9], v[19:20], v[8:9], v[23:24]
	v_fma_f64 v[23:24], v[21:22], v[10:11], v[8:9]
	ds_read_b128 v[8:11], v12 offset:144
	ds_read2_b64 v[19:22], v17 offset0:64 offset1:96
	s_waitcnt lgkmcnt(0)
	v_fma_f64 v[8:9], v[8:9], v[19:20], v[23:24]
	v_fma_f64 v[23:24], v[10:11], v[21:22], v[8:9]
	ds_read2_b64 v[8:11], v17 offset0:128 offset1:160
	ds_read_b128 v[19:22], v12 offset:160
	s_waitcnt lgkmcnt(0)
	v_fma_f64 v[8:9], v[19:20], v[8:9], v[23:24]
	v_fma_f64 v[23:24], v[21:22], v[10:11], v[8:9]
	ds_read_b128 v[8:11], v12 offset:176
	ds_read2_b64 v[19:22], v17 offset0:192 offset1:224
	s_waitcnt lgkmcnt(0)
	v_fma_f64 v[8:9], v[8:9], v[19:20], v[23:24]
	flat_load_dwordx2 v[23:24], v[2:3]
	v_fma_f64 v[25:26], v[10:11], v[21:22], v[8:9]
	ds_read2_b64 v[8:11], v18 offset1:32
	ds_read_b128 v[19:22], v12 offset:192
	s_waitcnt lgkmcnt(0)
	v_fma_f64 v[8:9], v[19:20], v[8:9], v[25:26]
	v_fma_f64 v[25:26], v[21:22], v[10:11], v[8:9]
	ds_read_b128 v[8:11], v12 offset:208
	ds_read2_b64 v[19:22], v18 offset0:64 offset1:96
	s_waitcnt lgkmcnt(0)
	v_fma_f64 v[8:9], v[8:9], v[19:20], v[25:26]
	v_fma_f64 v[25:26], v[10:11], v[21:22], v[8:9]
	ds_read2_b64 v[8:11], v18 offset0:128 offset1:160
	ds_read_b128 v[19:22], v12 offset:224
	s_waitcnt lgkmcnt(0)
	v_fma_f64 v[8:9], v[19:20], v[8:9], v[25:26]
	v_fma_f64 v[25:26], v[21:22], v[10:11], v[8:9]
	ds_read_b128 v[8:11], v12 offset:240
	ds_read2_b64 v[19:22], v18 offset0:192 offset1:224
	s_waitcnt lgkmcnt(0)
	v_fma_f64 v[8:9], v[8:9], v[19:20], v[25:26]
	v_fma_f64 v[8:9], v[10:11], v[21:22], v[8:9]
	s_waitcnt vmcnt(0)
	v_fma_f64 v[8:9], s[10:11], v[8:9], v[23:24]
	flat_store_dwordx2 v[2:3], v[8:9]
	s_branch .LBB1539_3
.LBB1539_10:
	s_endpgm
	.section	.rodata,"a",@progbits
	.p2align	6, 0x0
	.amdhsa_kernel _ZL26rocblas_syr2k_her2k_kernelIlLb0ELb0ELb1ELi32EPKdPKS1_PKPdEvbiT_T4_T5_S7_lS9_S7_lT6_S7_li
		.amdhsa_group_segment_fixed_size 16384
		.amdhsa_private_segment_fixed_size 0
		.amdhsa_kernarg_size 100
		.amdhsa_user_sgpr_count 6
		.amdhsa_user_sgpr_private_segment_buffer 1
		.amdhsa_user_sgpr_dispatch_ptr 0
		.amdhsa_user_sgpr_queue_ptr 0
		.amdhsa_user_sgpr_kernarg_segment_ptr 1
		.amdhsa_user_sgpr_dispatch_id 0
		.amdhsa_user_sgpr_flat_scratch_init 0
		.amdhsa_user_sgpr_private_segment_size 0
		.amdhsa_uses_dynamic_stack 0
		.amdhsa_system_sgpr_private_segment_wavefront_offset 0
		.amdhsa_system_sgpr_workgroup_id_x 1
		.amdhsa_system_sgpr_workgroup_id_y 1
		.amdhsa_system_sgpr_workgroup_id_z 1
		.amdhsa_system_sgpr_workgroup_info 0
		.amdhsa_system_vgpr_workitem_id 1
		.amdhsa_next_free_vgpr 29
		.amdhsa_next_free_sgpr 61
		.amdhsa_reserve_vcc 1
		.amdhsa_reserve_flat_scratch 0
		.amdhsa_float_round_mode_32 0
		.amdhsa_float_round_mode_16_64 0
		.amdhsa_float_denorm_mode_32 3
		.amdhsa_float_denorm_mode_16_64 3
		.amdhsa_dx10_clamp 1
		.amdhsa_ieee_mode 1
		.amdhsa_fp16_overflow 0
		.amdhsa_exception_fp_ieee_invalid_op 0
		.amdhsa_exception_fp_denorm_src 0
		.amdhsa_exception_fp_ieee_div_zero 0
		.amdhsa_exception_fp_ieee_overflow 0
		.amdhsa_exception_fp_ieee_underflow 0
		.amdhsa_exception_fp_ieee_inexact 0
		.amdhsa_exception_int_div_zero 0
	.end_amdhsa_kernel
	.section	.text._ZL26rocblas_syr2k_her2k_kernelIlLb0ELb0ELb1ELi32EPKdPKS1_PKPdEvbiT_T4_T5_S7_lS9_S7_lT6_S7_li,"axG",@progbits,_ZL26rocblas_syr2k_her2k_kernelIlLb0ELb0ELb1ELi32EPKdPKS1_PKPdEvbiT_T4_T5_S7_lS9_S7_lT6_S7_li,comdat
.Lfunc_end1539:
	.size	_ZL26rocblas_syr2k_her2k_kernelIlLb0ELb0ELb1ELi32EPKdPKS1_PKPdEvbiT_T4_T5_S7_lS9_S7_lT6_S7_li, .Lfunc_end1539-_ZL26rocblas_syr2k_her2k_kernelIlLb0ELb0ELb1ELi32EPKdPKS1_PKPdEvbiT_T4_T5_S7_lS9_S7_lT6_S7_li
                                        ; -- End function
	.set _ZL26rocblas_syr2k_her2k_kernelIlLb0ELb0ELb1ELi32EPKdPKS1_PKPdEvbiT_T4_T5_S7_lS9_S7_lT6_S7_li.num_vgpr, 27
	.set _ZL26rocblas_syr2k_her2k_kernelIlLb0ELb0ELb1ELi32EPKdPKS1_PKPdEvbiT_T4_T5_S7_lS9_S7_lT6_S7_li.num_agpr, 0
	.set _ZL26rocblas_syr2k_her2k_kernelIlLb0ELb0ELb1ELi32EPKdPKS1_PKPdEvbiT_T4_T5_S7_lS9_S7_lT6_S7_li.numbered_sgpr, 36
	.set _ZL26rocblas_syr2k_her2k_kernelIlLb0ELb0ELb1ELi32EPKdPKS1_PKPdEvbiT_T4_T5_S7_lS9_S7_lT6_S7_li.num_named_barrier, 0
	.set _ZL26rocblas_syr2k_her2k_kernelIlLb0ELb0ELb1ELi32EPKdPKS1_PKPdEvbiT_T4_T5_S7_lS9_S7_lT6_S7_li.private_seg_size, 0
	.set _ZL26rocblas_syr2k_her2k_kernelIlLb0ELb0ELb1ELi32EPKdPKS1_PKPdEvbiT_T4_T5_S7_lS9_S7_lT6_S7_li.uses_vcc, 1
	.set _ZL26rocblas_syr2k_her2k_kernelIlLb0ELb0ELb1ELi32EPKdPKS1_PKPdEvbiT_T4_T5_S7_lS9_S7_lT6_S7_li.uses_flat_scratch, 0
	.set _ZL26rocblas_syr2k_her2k_kernelIlLb0ELb0ELb1ELi32EPKdPKS1_PKPdEvbiT_T4_T5_S7_lS9_S7_lT6_S7_li.has_dyn_sized_stack, 0
	.set _ZL26rocblas_syr2k_her2k_kernelIlLb0ELb0ELb1ELi32EPKdPKS1_PKPdEvbiT_T4_T5_S7_lS9_S7_lT6_S7_li.has_recursion, 0
	.set _ZL26rocblas_syr2k_her2k_kernelIlLb0ELb0ELb1ELi32EPKdPKS1_PKPdEvbiT_T4_T5_S7_lS9_S7_lT6_S7_li.has_indirect_call, 0
	.section	.AMDGPU.csdata,"",@progbits
; Kernel info:
; codeLenInByte = 1360
; TotalNumSgprs: 40
; NumVgprs: 27
; ScratchSize: 0
; MemoryBound: 0
; FloatMode: 240
; IeeeMode: 1
; LDSByteSize: 16384 bytes/workgroup (compile time only)
; SGPRBlocks: 8
; VGPRBlocks: 7
; NumSGPRsForWavesPerEU: 65
; NumVGPRsForWavesPerEU: 29
; Occupancy: 8
; WaveLimiterHint : 1
; COMPUTE_PGM_RSRC2:SCRATCH_EN: 0
; COMPUTE_PGM_RSRC2:USER_SGPR: 6
; COMPUTE_PGM_RSRC2:TRAP_HANDLER: 0
; COMPUTE_PGM_RSRC2:TGID_X_EN: 1
; COMPUTE_PGM_RSRC2:TGID_Y_EN: 1
; COMPUTE_PGM_RSRC2:TGID_Z_EN: 1
; COMPUTE_PGM_RSRC2:TIDIG_COMP_CNT: 1
	.section	.text._ZL26rocblas_syr2k_her2k_kernelIlLb0ELb0ELb0ELi32E19rocblas_complex_numIfEPKPKS1_PKPS1_EvbiT_T4_T5_S9_lSB_S9_lT6_S9_li,"axG",@progbits,_ZL26rocblas_syr2k_her2k_kernelIlLb0ELb0ELb0ELi32E19rocblas_complex_numIfEPKPKS1_PKPS1_EvbiT_T4_T5_S9_lSB_S9_lT6_S9_li,comdat
	.globl	_ZL26rocblas_syr2k_her2k_kernelIlLb0ELb0ELb0ELi32E19rocblas_complex_numIfEPKPKS1_PKPS1_EvbiT_T4_T5_S9_lSB_S9_lT6_S9_li ; -- Begin function _ZL26rocblas_syr2k_her2k_kernelIlLb0ELb0ELb0ELi32E19rocblas_complex_numIfEPKPKS1_PKPS1_EvbiT_T4_T5_S9_lSB_S9_lT6_S9_li
	.p2align	8
	.type	_ZL26rocblas_syr2k_her2k_kernelIlLb0ELb0ELb0ELi32E19rocblas_complex_numIfEPKPKS1_PKPS1_EvbiT_T4_T5_S9_lSB_S9_lT6_S9_li,@function
_ZL26rocblas_syr2k_her2k_kernelIlLb0ELb0ELb0ELi32E19rocblas_complex_numIfEPKPKS1_PKPS1_EvbiT_T4_T5_S9_lSB_S9_lT6_S9_li: ; @_ZL26rocblas_syr2k_her2k_kernelIlLb0ELb0ELb0ELi32E19rocblas_complex_numIfEPKPKS1_PKPS1_EvbiT_T4_T5_S9_lSB_S9_lT6_S9_li
; %bb.0:
	s_load_dwordx2 s[10:11], s[4:5], 0x10
	s_waitcnt lgkmcnt(0)
	v_cmp_eq_f32_e64 s[0:1], s10, 0
	v_cmp_eq_f32_e64 s[2:3], s11, 0
	s_and_b64 s[0:1], s[0:1], s[2:3]
	s_and_b64 vcc, exec, s[0:1]
	s_cbranch_vccnz .LBB1540_10
; %bb.1:
	s_load_dwordx4 s[28:31], s[4:5], 0x0
	s_lshl_b32 s3, s7, 5
	s_lshl_b32 s2, s6, 5
	s_waitcnt lgkmcnt(0)
	s_and_b32 s0, 1, s28
	s_cmp_eq_u32 s0, 1
	s_cselect_b64 s[0:1], -1, 0
	s_and_b64 s[6:7], s[0:1], exec
	s_cselect_b32 s6, s2, s3
	s_cselect_b32 s7, s3, s2
	s_cmp_gt_i32 s6, s7
	v_cmp_lt_i64_e64 s[6:7], s[30:31], 1
	s_cselect_b64 s[12:13], -1, 0
	s_or_b64 s[6:7], s[12:13], s[6:7]
	s_and_b64 vcc, exec, s[6:7]
	s_cbranch_vccnz .LBB1540_10
; %bb.2:
	s_load_dwordx16 s[12:27], s[4:5], 0x18
	s_mov_b32 s9, 0
	s_lshl_b64 s[6:7], s[8:9], 3
	s_load_dwordx2 s[4:5], s[4:5], 0x58
	v_add_u32_e32 v2, s3, v1
	s_waitcnt lgkmcnt(0)
	s_add_u32 s8, s12, s6
	s_addc_u32 s9, s13, s7
	s_add_u32 s18, s18, s6
	s_addc_u32 s19, s19, s7
	;; [unrolled: 2-line block ×3, first 2 shown]
	s_load_dwordx2 s[6:7], s[6:7], 0x0
	v_lshlrev_b32_e32 v16, 8, v0
	v_lshlrev_b32_e32 v6, 3, v1
	v_add_u32_e32 v17, v16, v6
	v_or_b32_e32 v18, 0x2000, v6
	v_ashrrev_i32_e32 v6, 31, v2
	v_add_u32_e32 v4, s2, v0
	s_lshl_b64 s[2:3], s[4:5], 3
	v_mul_lo_u32 v11, s26, v6
	v_mul_lo_u32 v12, s27, v2
	v_mad_u64_u32 v[6:7], s[4:5], s26, v2, 0
	v_cndmask_b32_e64 v8, v4, v2, s[0:1]
	v_cndmask_b32_e64 v9, v2, v4, s[0:1]
	v_max_i32_e32 v10, v4, v2
	s_load_dwordx2 s[12:13], s[8:9], 0x0
	s_load_dwordx2 s[24:25], s[18:19], 0x0
	s_waitcnt lgkmcnt(0)
	s_add_u32 s8, s6, s2
	v_cmp_gt_i32_e32 vcc, s29, v10
	v_cmp_le_i32_e64 s[4:5], v9, v8
	s_addc_u32 s9, s7, s3
	s_and_b64 s[6:7], s[4:5], vcc
	v_add3_u32 v7, v7, v11, v12
	v_mad_u64_u32 v[12:13], s[4:5], s20, v0, 0
	v_lshlrev_b64 v[6:7], 3, v[6:7]
	v_ashrrev_i32_e32 v9, 31, v4
	v_mov_b32_e32 v8, v4
	v_mov_b32_e32 v10, s9
	v_add_co_u32_e32 v11, vcc, s8, v6
	v_addc_co_u32_e32 v14, vcc, v10, v7, vcc
	v_lshlrev_b64 v[6:7], 3, v[8:9]
	v_mov_b32_e32 v8, v13
	v_mad_u64_u32 v[8:9], s[4:5], s21, v0, v[8:9]
	v_add_co_u32_e32 v10, vcc, v11, v6
	v_mov_b32_e32 v13, v8
	v_addc_co_u32_e32 v11, vcc, v14, v7, vcc
	v_lshlrev_b64 v[6:7], 3, v[12:13]
	s_lshl_b64 s[4:5], s[22:23], 3
	v_mov_b32_e32 v8, s5
	v_add_co_u32_e32 v9, vcc, s4, v6
	v_mov_b32_e32 v5, 0
	v_addc_co_u32_e32 v8, vcc, v7, v8, vcc
	v_mad_u64_u32 v[6:7], s[4:5], s14, v1, 0
	s_ashr_i32 s3, s29, 31
	s_mov_b32 s2, s29
	v_mov_b32_e32 v3, v5
	v_cmp_gt_i64_e64 s[0:1], s[2:3], v[4:5]
	v_cmp_gt_i64_e64 s[2:3], s[2:3], v[2:3]
	v_lshlrev_b64 v[2:3], 3, v[2:3]
	v_mov_b32_e32 v13, s25
	v_add_co_u32_e32 v9, vcc, v9, v2
	v_mov_b32_e32 v2, v7
	v_addc_co_u32_e32 v8, vcc, v8, v3, vcc
	v_mad_u64_u32 v[2:3], s[4:5], s15, v1, v[2:3]
	v_add_co_u32_e32 v12, vcc, s24, v9
	v_mov_b32_e32 v7, v2
	v_lshlrev_b64 v[2:3], 3, v[6:7]
	v_addc_co_u32_e32 v13, vcc, v13, v8, vcc
	s_lshl_b64 s[4:5], s[16:17], 3
	v_mov_b32_e32 v6, s5
	v_add_co_u32_e32 v7, vcc, s4, v2
	v_addc_co_u32_e32 v6, vcc, v3, v6, vcc
	v_lshlrev_b64 v[2:3], 3, v[4:5]
	v_mov_b32_e32 v4, s13
	v_add_co_u32_e32 v2, vcc, v7, v2
	v_addc_co_u32_e32 v3, vcc, v6, v3, vcc
	v_add_co_u32_e32 v14, vcc, s12, v2
	v_add_u32_e32 v19, v18, v16
	s_lshl_b64 s[8:9], s[20:21], 8
	v_addc_co_u32_e32 v15, vcc, v4, v3, vcc
	s_lshl_b64 s[12:13], s[14:15], 8
	s_mov_b64 s[14:15], 0
	s_branch .LBB1540_4
.LBB1540_3:                             ;   in Loop: Header=BB1540_4 Depth=1
	s_or_b64 exec, exec, s[4:5]
	v_mov_b32_e32 v2, s9
	v_add_co_u32_e32 v12, vcc, s8, v12
	s_add_u32 s14, s14, 32
	v_addc_co_u32_e32 v13, vcc, v13, v2, vcc
	v_mov_b32_e32 v2, s30
	s_addc_u32 s15, s15, 0
	v_mov_b32_e32 v3, s31
	v_cmp_lt_i64_e32 vcc, s[14:15], v[2:3]
	v_mov_b32_e32 v4, s13
	v_add_co_u32_e64 v14, s[4:5], s12, v14
	v_addc_co_u32_e64 v15, s[4:5], v15, v4, s[4:5]
	s_waitcnt vmcnt(0) lgkmcnt(0)
	s_barrier
	s_cbranch_vccz .LBB1540_10
.LBB1540_4:                             ; =>This Inner Loop Header: Depth=1
	v_mov_b32_e32 v3, s15
	v_add_co_u32_e32 v2, vcc, s14, v1
	v_addc_co_u32_e32 v3, vcc, 0, v3, vcc
	v_cmp_gt_i64_e32 vcc, s[30:31], v[2:3]
	v_mov_b32_e32 v2, 0
	s_and_b64 s[16:17], s[0:1], vcc
	v_mov_b32_e32 v3, 0
	s_and_saveexec_b64 s[4:5], s[16:17]
	s_cbranch_execz .LBB1540_6
; %bb.5:                                ;   in Loop: Header=BB1540_4 Depth=1
	flat_load_dwordx2 v[2:3], v[14:15]
.LBB1540_6:                             ;   in Loop: Header=BB1540_4 Depth=1
	s_or_b64 exec, exec, s[4:5]
	v_mov_b32_e32 v5, s15
	v_add_co_u32_e32 v4, vcc, s14, v0
	v_addc_co_u32_e32 v5, vcc, 0, v5, vcc
	v_cmp_gt_i64_e32 vcc, s[30:31], v[4:5]
	s_waitcnt vmcnt(0) lgkmcnt(0)
	ds_write_b64 v17, v[2:3]
	s_and_b64 s[16:17], s[2:3], vcc
	v_mov_b32_e32 v2, 0
	v_mov_b32_e32 v3, 0
	s_and_saveexec_b64 s[4:5], s[16:17]
	s_cbranch_execz .LBB1540_8
; %bb.7:                                ;   in Loop: Header=BB1540_4 Depth=1
	flat_load_dwordx2 v[2:3], v[12:13]
.LBB1540_8:                             ;   in Loop: Header=BB1540_4 Depth=1
	s_or_b64 exec, exec, s[4:5]
	s_waitcnt vmcnt(0) lgkmcnt(0)
	ds_write_b64 v19, v[2:3]
	s_waitcnt lgkmcnt(0)
	s_barrier
	s_and_saveexec_b64 s[4:5], s[6:7]
	s_cbranch_execz .LBB1540_3
; %bb.9:                                ;   in Loop: Header=BB1540_4 Depth=1
	ds_read2_b64 v[2:5], v18 offset1:32
	ds_read_b128 v[6:9], v16
	ds_read_b128 v[20:23], v16 offset:16
	s_waitcnt lgkmcnt(1)
	v_mul_f32_e32 v24, v3, v7
	v_mul_f32_e32 v25, v2, v7
	v_fma_f32 v24, v2, v6, -v24
	v_mul_f32_e32 v2, v5, v9
	v_mul_f32_e32 v27, v4, v9
	v_fmac_f32_e32 v25, v3, v6
	v_fma_f32 v26, v4, v8, -v2
	v_fmac_f32_e32 v27, v5, v8
	ds_read2_b64 v[2:5], v18 offset0:64 offset1:96
	s_waitcnt lgkmcnt(0)
	v_mul_f32_e32 v6, v3, v21
	v_fma_f32 v28, v2, v20, -v6
	v_mul_f32_e32 v21, v2, v21
	v_mul_f32_e32 v2, v5, v23
	;; [unrolled: 1-line block ×3, first 2 shown]
	v_fmac_f32_e32 v21, v3, v20
	v_fma_f32 v20, v4, v22, -v2
	v_fmac_f32_e32 v23, v5, v22
	ds_read_b128 v[2:5], v16 offset:32
	ds_read2_b64 v[6:9], v18 offset0:128 offset1:160
	s_waitcnt lgkmcnt(0)
	v_mul_f32_e32 v22, v7, v3
	v_mul_f32_e32 v29, v6, v3
	v_fma_f32 v22, v6, v2, -v22
	v_fmac_f32_e32 v29, v7, v2
	v_add_f32_e32 v6, 0, v24
	v_add_f32_e32 v7, 0, v25
	;; [unrolled: 1-line block ×4, first 2 shown]
	v_mul_f32_e32 v2, v9, v5
	v_mul_f32_e32 v31, v8, v5
	v_add_f32_e32 v6, v6, v28
	v_add_f32_e32 v7, v7, v21
	v_fma_f32 v30, v8, v4, -v2
	v_fmac_f32_e32 v31, v9, v4
	ds_read_b128 v[2:5], v16 offset:48
	v_add_f32_e32 v20, v6, v20
	v_add_f32_e32 v21, v7, v23
	ds_read2_b64 v[6:9], v18 offset0:192 offset1:224
	v_add_f32_e32 v20, v20, v22
	v_add_u32_e32 v26, 0x800, v18
	v_add_f32_e32 v21, v21, v29
	v_add_f32_e32 v20, v20, v30
	s_waitcnt lgkmcnt(0)
	v_mul_f32_e32 v22, v7, v3
	v_mul_f32_e32 v23, v6, v3
	v_fma_f32 v22, v6, v2, -v22
	v_fmac_f32_e32 v23, v7, v2
	v_mul_f32_e32 v2, v9, v5
	v_mul_f32_e32 v25, v8, v5
	v_fma_f32 v24, v8, v4, -v2
	v_fmac_f32_e32 v25, v9, v4
	ds_read_b128 v[2:5], v16 offset:64
	ds_read2_b64 v[6:9], v26 offset1:32
	v_add_f32_e32 v21, v21, v31
	v_add_f32_e32 v20, v20, v22
	;; [unrolled: 1-line block ×4, first 2 shown]
	s_waitcnt lgkmcnt(0)
	v_mul_f32_e32 v22, v7, v3
	v_mul_f32_e32 v23, v6, v3
	v_fma_f32 v22, v6, v2, -v22
	v_fmac_f32_e32 v23, v7, v2
	v_mul_f32_e32 v2, v9, v5
	v_mul_f32_e32 v25, v8, v5
	v_add_f32_e32 v20, v20, v24
	v_fma_f32 v24, v8, v4, -v2
	v_fmac_f32_e32 v25, v9, v4
	ds_read_b128 v[2:5], v16 offset:80
	ds_read2_b64 v[6:9], v26 offset0:64 offset1:96
	v_add_f32_e32 v20, v20, v22
	v_add_f32_e32 v21, v21, v23
	v_add_f32_e32 v21, v21, v25
	v_add_f32_e32 v20, v20, v24
	s_waitcnt lgkmcnt(0)
	v_mul_f32_e32 v22, v7, v3
	v_mul_f32_e32 v23, v6, v3
	v_fma_f32 v22, v6, v2, -v22
	v_fmac_f32_e32 v23, v7, v2
	v_mul_f32_e32 v2, v9, v5
	v_mul_f32_e32 v25, v8, v5
	v_fma_f32 v24, v8, v4, -v2
	v_fmac_f32_e32 v25, v9, v4
	ds_read_b128 v[2:5], v16 offset:96
	ds_read2_b64 v[6:9], v26 offset0:128 offset1:160
	v_add_f32_e32 v20, v20, v22
	v_add_f32_e32 v21, v21, v23
	v_add_f32_e32 v21, v21, v25
	v_add_f32_e32 v20, v20, v24
	s_waitcnt lgkmcnt(0)
	v_mul_f32_e32 v22, v7, v3
	v_mul_f32_e32 v23, v6, v3
	v_fma_f32 v22, v6, v2, -v22
	v_fmac_f32_e32 v23, v7, v2
	v_mul_f32_e32 v2, v9, v5
	v_mul_f32_e32 v25, v8, v5
	;; [unrolled: 15-line block ×3, first 2 shown]
	v_add_u32_e32 v20, 0x1000, v18
	v_fma_f32 v25, v8, v4, -v2
	v_fmac_f32_e32 v26, v9, v4
	ds_read_b128 v[2:5], v16 offset:128
	ds_read2_b64 v[6:9], v20 offset1:32
	v_add_f32_e32 v22, v22, v23
	v_add_f32_e32 v21, v21, v24
	;; [unrolled: 1-line block ×4, first 2 shown]
	s_waitcnt lgkmcnt(0)
	v_mul_f32_e32 v23, v7, v3
	v_mul_f32_e32 v24, v6, v3
	v_fma_f32 v23, v6, v2, -v23
	v_fmac_f32_e32 v24, v7, v2
	v_mul_f32_e32 v2, v9, v5
	v_mul_f32_e32 v26, v8, v5
	v_fma_f32 v25, v8, v4, -v2
	v_fmac_f32_e32 v26, v9, v4
	ds_read_b128 v[2:5], v16 offset:144
	ds_read2_b64 v[6:9], v20 offset0:64 offset1:96
	v_add_f32_e32 v22, v22, v23
	v_add_f32_e32 v21, v21, v24
	;; [unrolled: 1-line block ×4, first 2 shown]
	s_waitcnt lgkmcnt(0)
	v_mul_f32_e32 v23, v7, v3
	v_mul_f32_e32 v24, v6, v3
	v_fma_f32 v23, v6, v2, -v23
	v_fmac_f32_e32 v24, v7, v2
	v_mul_f32_e32 v2, v9, v5
	v_mul_f32_e32 v26, v8, v5
	v_fma_f32 v25, v8, v4, -v2
	v_fmac_f32_e32 v26, v9, v4
	ds_read_b128 v[2:5], v16 offset:160
	ds_read2_b64 v[6:9], v20 offset0:128 offset1:160
	v_add_f32_e32 v21, v21, v24
	v_add_f32_e32 v22, v22, v23
	;; [unrolled: 1-line block ×4, first 2 shown]
	s_waitcnt lgkmcnt(0)
	v_mul_f32_e32 v21, v7, v3
	v_fma_f32 v25, v6, v2, -v21
	flat_load_dwordx2 v[21:22], v[10:11]
	v_mul_f32_e32 v26, v6, v3
	v_fmac_f32_e32 v26, v7, v2
	v_mul_f32_e32 v2, v9, v5
	v_mul_f32_e32 v28, v8, v5
	v_fma_f32 v27, v8, v4, -v2
	v_fmac_f32_e32 v28, v9, v4
	ds_read_b128 v[2:5], v16 offset:176
	ds_read2_b64 v[6:9], v20 offset0:192 offset1:224
	v_add_f32_e32 v20, v23, v25
	v_add_f32_e32 v23, v24, v26
	v_add_f32_e32 v20, v20, v27
	v_add_f32_e32 v23, v23, v28
	s_waitcnt lgkmcnt(0)
	v_mul_f32_e32 v24, v7, v3
	v_mul_f32_e32 v25, v6, v3
	v_fma_f32 v24, v6, v2, -v24
	v_fmac_f32_e32 v25, v7, v2
	v_mul_f32_e32 v2, v9, v5
	v_mul_f32_e32 v27, v8, v5
	v_add_u32_e32 v28, 0x1800, v18
	v_fma_f32 v26, v8, v4, -v2
	v_fmac_f32_e32 v27, v9, v4
	ds_read_b128 v[2:5], v16 offset:192
	ds_read2_b64 v[6:9], v28 offset1:32
	v_add_f32_e32 v20, v20, v24
	v_add_f32_e32 v23, v23, v25
	v_add_f32_e32 v23, v23, v27
	v_add_f32_e32 v20, v20, v26
	s_waitcnt lgkmcnt(0)
	v_mul_f32_e32 v24, v7, v3
	v_mul_f32_e32 v25, v6, v3
	v_fma_f32 v24, v6, v2, -v24
	v_fmac_f32_e32 v25, v7, v2
	v_mul_f32_e32 v2, v9, v5
	v_mul_f32_e32 v27, v8, v5
	v_fma_f32 v26, v8, v4, -v2
	v_fmac_f32_e32 v27, v9, v4
	ds_read_b128 v[2:5], v16 offset:208
	ds_read2_b64 v[6:9], v28 offset0:64 offset1:96
	v_add_f32_e32 v20, v20, v24
	v_add_f32_e32 v23, v23, v25
	v_add_f32_e32 v23, v23, v27
	v_add_f32_e32 v20, v20, v26
	s_waitcnt lgkmcnt(0)
	v_mul_f32_e32 v24, v7, v3
	v_mul_f32_e32 v25, v6, v3
	v_fma_f32 v24, v6, v2, -v24
	v_fmac_f32_e32 v25, v7, v2
	v_mul_f32_e32 v2, v9, v5
	v_mul_f32_e32 v27, v8, v5
	v_fma_f32 v26, v8, v4, -v2
	v_fmac_f32_e32 v27, v9, v4
	ds_read_b128 v[2:5], v16 offset:224
	ds_read2_b64 v[6:9], v28 offset0:128 offset1:160
	;; [unrolled: 15-line block ×3, first 2 shown]
	v_add_f32_e32 v20, v20, v24
	v_add_f32_e32 v23, v23, v25
	;; [unrolled: 1-line block ×4, first 2 shown]
	s_waitcnt lgkmcnt(0)
	v_mul_f32_e32 v24, v7, v3
	v_mul_f32_e32 v3, v6, v3
	v_fma_f32 v24, v6, v2, -v24
	v_fmac_f32_e32 v3, v7, v2
	v_mul_f32_e32 v6, v9, v5
	v_mul_f32_e32 v5, v8, v5
	v_add_f32_e32 v2, v20, v24
	v_add_f32_e32 v3, v23, v3
	v_fma_f32 v6, v8, v4, -v6
	v_fmac_f32_e32 v5, v9, v4
	v_add_f32_e32 v2, v2, v6
	v_add_f32_e32 v3, v3, v5
	v_mul_f32_e32 v4, s11, v3
	v_mul_f32_e32 v5, s11, v2
	v_fma_f32 v4, s10, v2, -v4
	v_fmac_f32_e32 v5, s10, v3
	s_waitcnt vmcnt(0)
	v_add_f32_e32 v2, v21, v4
	v_add_f32_e32 v3, v22, v5
	flat_store_dwordx2 v[10:11], v[2:3]
	s_branch .LBB1540_3
.LBB1540_10:
	s_endpgm
	.section	.rodata,"a",@progbits
	.p2align	6, 0x0
	.amdhsa_kernel _ZL26rocblas_syr2k_her2k_kernelIlLb0ELb0ELb0ELi32E19rocblas_complex_numIfEPKPKS1_PKPS1_EvbiT_T4_T5_S9_lSB_S9_lT6_S9_li
		.amdhsa_group_segment_fixed_size 16384
		.amdhsa_private_segment_fixed_size 0
		.amdhsa_kernarg_size 100
		.amdhsa_user_sgpr_count 6
		.amdhsa_user_sgpr_private_segment_buffer 1
		.amdhsa_user_sgpr_dispatch_ptr 0
		.amdhsa_user_sgpr_queue_ptr 0
		.amdhsa_user_sgpr_kernarg_segment_ptr 1
		.amdhsa_user_sgpr_dispatch_id 0
		.amdhsa_user_sgpr_flat_scratch_init 0
		.amdhsa_user_sgpr_private_segment_size 0
		.amdhsa_uses_dynamic_stack 0
		.amdhsa_system_sgpr_private_segment_wavefront_offset 0
		.amdhsa_system_sgpr_workgroup_id_x 1
		.amdhsa_system_sgpr_workgroup_id_y 1
		.amdhsa_system_sgpr_workgroup_id_z 1
		.amdhsa_system_sgpr_workgroup_info 0
		.amdhsa_system_vgpr_workitem_id 1
		.amdhsa_next_free_vgpr 32
		.amdhsa_next_free_sgpr 61
		.amdhsa_reserve_vcc 1
		.amdhsa_reserve_flat_scratch 0
		.amdhsa_float_round_mode_32 0
		.amdhsa_float_round_mode_16_64 0
		.amdhsa_float_denorm_mode_32 3
		.amdhsa_float_denorm_mode_16_64 3
		.amdhsa_dx10_clamp 1
		.amdhsa_ieee_mode 1
		.amdhsa_fp16_overflow 0
		.amdhsa_exception_fp_ieee_invalid_op 0
		.amdhsa_exception_fp_denorm_src 0
		.amdhsa_exception_fp_ieee_div_zero 0
		.amdhsa_exception_fp_ieee_overflow 0
		.amdhsa_exception_fp_ieee_underflow 0
		.amdhsa_exception_fp_ieee_inexact 0
		.amdhsa_exception_int_div_zero 0
	.end_amdhsa_kernel
	.section	.text._ZL26rocblas_syr2k_her2k_kernelIlLb0ELb0ELb0ELi32E19rocblas_complex_numIfEPKPKS1_PKPS1_EvbiT_T4_T5_S9_lSB_S9_lT6_S9_li,"axG",@progbits,_ZL26rocblas_syr2k_her2k_kernelIlLb0ELb0ELb0ELi32E19rocblas_complex_numIfEPKPKS1_PKPS1_EvbiT_T4_T5_S9_lSB_S9_lT6_S9_li,comdat
.Lfunc_end1540:
	.size	_ZL26rocblas_syr2k_her2k_kernelIlLb0ELb0ELb0ELi32E19rocblas_complex_numIfEPKPKS1_PKPS1_EvbiT_T4_T5_S9_lSB_S9_lT6_S9_li, .Lfunc_end1540-_ZL26rocblas_syr2k_her2k_kernelIlLb0ELb0ELb0ELi32E19rocblas_complex_numIfEPKPKS1_PKPS1_EvbiT_T4_T5_S9_lSB_S9_lT6_S9_li
                                        ; -- End function
	.set _ZL26rocblas_syr2k_her2k_kernelIlLb0ELb0ELb0ELi32E19rocblas_complex_numIfEPKPKS1_PKPS1_EvbiT_T4_T5_S9_lSB_S9_lT6_S9_li.num_vgpr, 32
	.set _ZL26rocblas_syr2k_her2k_kernelIlLb0ELb0ELb0ELi32E19rocblas_complex_numIfEPKPKS1_PKPS1_EvbiT_T4_T5_S9_lSB_S9_lT6_S9_li.num_agpr, 0
	.set _ZL26rocblas_syr2k_her2k_kernelIlLb0ELb0ELb0ELi32E19rocblas_complex_numIfEPKPKS1_PKPS1_EvbiT_T4_T5_S9_lSB_S9_lT6_S9_li.numbered_sgpr, 32
	.set _ZL26rocblas_syr2k_her2k_kernelIlLb0ELb0ELb0ELi32E19rocblas_complex_numIfEPKPKS1_PKPS1_EvbiT_T4_T5_S9_lSB_S9_lT6_S9_li.num_named_barrier, 0
	.set _ZL26rocblas_syr2k_her2k_kernelIlLb0ELb0ELb0ELi32E19rocblas_complex_numIfEPKPKS1_PKPS1_EvbiT_T4_T5_S9_lSB_S9_lT6_S9_li.private_seg_size, 0
	.set _ZL26rocblas_syr2k_her2k_kernelIlLb0ELb0ELb0ELi32E19rocblas_complex_numIfEPKPKS1_PKPS1_EvbiT_T4_T5_S9_lSB_S9_lT6_S9_li.uses_vcc, 1
	.set _ZL26rocblas_syr2k_her2k_kernelIlLb0ELb0ELb0ELi32E19rocblas_complex_numIfEPKPKS1_PKPS1_EvbiT_T4_T5_S9_lSB_S9_lT6_S9_li.uses_flat_scratch, 0
	.set _ZL26rocblas_syr2k_her2k_kernelIlLb0ELb0ELb0ELi32E19rocblas_complex_numIfEPKPKS1_PKPS1_EvbiT_T4_T5_S9_lSB_S9_lT6_S9_li.has_dyn_sized_stack, 0
	.set _ZL26rocblas_syr2k_her2k_kernelIlLb0ELb0ELb0ELi32E19rocblas_complex_numIfEPKPKS1_PKPS1_EvbiT_T4_T5_S9_lSB_S9_lT6_S9_li.has_recursion, 0
	.set _ZL26rocblas_syr2k_her2k_kernelIlLb0ELb0ELb0ELi32E19rocblas_complex_numIfEPKPKS1_PKPS1_EvbiT_T4_T5_S9_lSB_S9_lT6_S9_li.has_indirect_call, 0
	.section	.AMDGPU.csdata,"",@progbits
; Kernel info:
; codeLenInByte = 2052
; TotalNumSgprs: 36
; NumVgprs: 32
; ScratchSize: 0
; MemoryBound: 0
; FloatMode: 240
; IeeeMode: 1
; LDSByteSize: 16384 bytes/workgroup (compile time only)
; SGPRBlocks: 8
; VGPRBlocks: 7
; NumSGPRsForWavesPerEU: 65
; NumVGPRsForWavesPerEU: 32
; Occupancy: 8
; WaveLimiterHint : 1
; COMPUTE_PGM_RSRC2:SCRATCH_EN: 0
; COMPUTE_PGM_RSRC2:USER_SGPR: 6
; COMPUTE_PGM_RSRC2:TRAP_HANDLER: 0
; COMPUTE_PGM_RSRC2:TGID_X_EN: 1
; COMPUTE_PGM_RSRC2:TGID_Y_EN: 1
; COMPUTE_PGM_RSRC2:TGID_Z_EN: 1
; COMPUTE_PGM_RSRC2:TIDIG_COMP_CNT: 1
	.section	.text._ZL26rocblas_syr2k_her2k_kernelIlLb0ELb0ELb1ELi32E19rocblas_complex_numIfEPKPKS1_PKPS1_EvbiT_T4_T5_S9_lSB_S9_lT6_S9_li,"axG",@progbits,_ZL26rocblas_syr2k_her2k_kernelIlLb0ELb0ELb1ELi32E19rocblas_complex_numIfEPKPKS1_PKPS1_EvbiT_T4_T5_S9_lSB_S9_lT6_S9_li,comdat
	.globl	_ZL26rocblas_syr2k_her2k_kernelIlLb0ELb0ELb1ELi32E19rocblas_complex_numIfEPKPKS1_PKPS1_EvbiT_T4_T5_S9_lSB_S9_lT6_S9_li ; -- Begin function _ZL26rocblas_syr2k_her2k_kernelIlLb0ELb0ELb1ELi32E19rocblas_complex_numIfEPKPKS1_PKPS1_EvbiT_T4_T5_S9_lSB_S9_lT6_S9_li
	.p2align	8
	.type	_ZL26rocblas_syr2k_her2k_kernelIlLb0ELb0ELb1ELi32E19rocblas_complex_numIfEPKPKS1_PKPS1_EvbiT_T4_T5_S9_lSB_S9_lT6_S9_li,@function
_ZL26rocblas_syr2k_her2k_kernelIlLb0ELb0ELb1ELi32E19rocblas_complex_numIfEPKPKS1_PKPS1_EvbiT_T4_T5_S9_lSB_S9_lT6_S9_li: ; @_ZL26rocblas_syr2k_her2k_kernelIlLb0ELb0ELb1ELi32E19rocblas_complex_numIfEPKPKS1_PKPS1_EvbiT_T4_T5_S9_lSB_S9_lT6_S9_li
; %bb.0:
	s_load_dwordx2 s[10:11], s[4:5], 0x10
	s_waitcnt lgkmcnt(0)
	v_cmp_eq_f32_e64 s[0:1], s10, 0
	v_cmp_eq_f32_e64 s[2:3], s11, 0
	s_and_b64 s[0:1], s[0:1], s[2:3]
	s_and_b64 vcc, exec, s[0:1]
	s_cbranch_vccnz .LBB1541_10
; %bb.1:
	s_load_dwordx4 s[28:31], s[4:5], 0x0
	s_lshl_b32 s3, s7, 5
	s_lshl_b32 s2, s6, 5
	s_waitcnt lgkmcnt(0)
	s_and_b32 s0, 1, s28
	s_cmp_eq_u32 s0, 1
	s_cselect_b64 s[0:1], -1, 0
	s_and_b64 s[6:7], s[0:1], exec
	s_cselect_b32 s6, s2, s3
	s_cselect_b32 s7, s3, s2
	s_cmp_gt_i32 s6, s7
	v_cmp_lt_i64_e64 s[6:7], s[30:31], 1
	s_cselect_b64 s[12:13], -1, 0
	s_or_b64 s[6:7], s[12:13], s[6:7]
	s_and_b64 vcc, exec, s[6:7]
	s_cbranch_vccnz .LBB1541_10
; %bb.2:
	s_load_dwordx16 s[12:27], s[4:5], 0x18
	s_mov_b32 s9, 0
	s_lshl_b64 s[6:7], s[8:9], 3
	s_load_dwordx2 s[4:5], s[4:5], 0x58
	v_add_u32_e32 v2, s3, v1
	s_waitcnt lgkmcnt(0)
	s_add_u32 s8, s12, s6
	s_addc_u32 s9, s13, s7
	s_add_u32 s12, s18, s6
	s_addc_u32 s13, s19, s7
	;; [unrolled: 2-line block ×3, first 2 shown]
	s_load_dwordx2 s[6:7], s[6:7], 0x0
	v_add_u32_e32 v4, s2, v0
	s_lshl_b64 s[2:3], s[4:5], 3
	s_load_dwordx2 s[18:19], s[8:9], 0x0
	s_load_dwordx2 s[24:25], s[12:13], 0x0
	v_mov_b32_e32 v5, 0
	s_waitcnt lgkmcnt(0)
	s_add_u32 s8, s6, s2
	s_addc_u32 s9, s7, s3
	s_ashr_i32 s3, s29, 31
	s_mov_b32 s2, s29
	v_cndmask_b32_e64 v8, v4, v2, s[0:1]
	v_cndmask_b32_e64 v9, v2, v4, s[0:1]
	v_cmp_gt_i64_e64 s[0:1], s[2:3], v[4:5]
	v_mov_b32_e32 v3, v5
	v_ashrrev_i32_e32 v5, 31, v2
	v_mul_lo_u32 v5, s26, v5
	v_mul_lo_u32 v11, s27, v2
	v_mad_u64_u32 v[6:7], s[4:5], s26, v2, 0
	v_cmp_gt_i64_e64 s[2:3], s[2:3], v[2:3]
	v_max_i32_e32 v3, v4, v2
	v_cmp_gt_i32_e32 vcc, s29, v3
	v_cmp_le_i32_e64 s[4:5], v9, v8
	s_and_b64 s[6:7], s[4:5], vcc
	v_add3_u32 v7, v7, v5, v11
	v_mad_u64_u32 v[8:9], s[4:5], s20, v2, 0
	v_lshlrev_b64 v[6:7], 3, v[6:7]
	v_mov_b32_e32 v3, s9
	v_add_co_u32_e32 v11, vcc, s8, v6
	v_addc_co_u32_e32 v7, vcc, v3, v7, vcc
	v_mov_b32_e32 v3, v9
	v_mad_u64_u32 v[2:3], s[4:5], s21, v2, v[3:4]
	v_ashrrev_i32_e32 v5, 31, v4
	v_lshlrev_b64 v[5:6], 3, v[4:5]
	v_mov_b32_e32 v9, v2
	v_add_co_u32_e32 v14, vcc, v11, v5
	v_lshlrev_b64 v[2:3], 3, v[8:9]
	v_addc_co_u32_e32 v15, vcc, v7, v6, vcc
	s_lshl_b64 s[4:5], s[22:23], 3
	v_mov_b32_e32 v5, s5
	v_add_co_u32_e32 v6, vcc, s4, v2
	v_addc_co_u32_e32 v5, vcc, v3, v5, vcc
	v_mad_u64_u32 v[2:3], s[4:5], s14, v4, 0
	v_lshlrev_b32_e32 v7, 3, v0
	v_add_co_u32_e32 v6, vcc, v6, v7
	v_mad_u64_u32 v[3:4], s[4:5], s15, v4, v[3:4]
	v_addc_co_u32_e32 v5, vcc, 0, v5, vcc
	v_mov_b32_e32 v7, s25
	v_add_co_u32_e32 v16, vcc, s24, v6
	v_lshlrev_b64 v[2:3], 3, v[2:3]
	v_addc_co_u32_e32 v17, vcc, v7, v5, vcc
	s_lshl_b64 s[4:5], s[16:17], 3
	v_mov_b32_e32 v4, s5
	v_add_co_u32_e32 v2, vcc, s4, v2
	v_lshlrev_b32_e32 v10, 3, v1
	v_addc_co_u32_e32 v3, vcc, v3, v4, vcc
	v_add_co_u32_e32 v2, vcc, v2, v10
	v_addc_co_u32_e32 v3, vcc, 0, v3, vcc
	v_lshlrev_b32_e32 v20, 8, v0
	v_or_b32_e32 v22, 0x2000, v10
	v_mov_b32_e32 v4, s19
	v_add_co_u32_e32 v18, vcc, s18, v2
	v_add_u32_e32 v21, v20, v10
	v_add_u32_e32 v23, v22, v20
	v_addc_co_u32_e32 v19, vcc, v4, v3, vcc
	s_mov_b64 s[8:9], 0
	v_add_u32_e32 v24, 0x800, v22
	v_add_u32_e32 v25, 0x1000, v22
	;; [unrolled: 1-line block ×3, first 2 shown]
	s_branch .LBB1541_4
.LBB1541_3:                             ;   in Loop: Header=BB1541_4 Depth=1
	s_or_b64 exec, exec, s[4:5]
	s_add_u32 s8, s8, 32
	v_add_co_u32_e32 v16, vcc, 0x100, v16
	v_mov_b32_e32 v2, s30
	s_addc_u32 s9, s9, 0
	v_addc_co_u32_e32 v17, vcc, 0, v17, vcc
	v_mov_b32_e32 v3, s31
	v_add_co_u32_e32 v18, vcc, 0x100, v18
	v_cmp_lt_i64_e64 s[4:5], s[8:9], v[2:3]
	v_addc_co_u32_e32 v19, vcc, 0, v19, vcc
	s_and_b64 vcc, exec, s[4:5]
	s_waitcnt vmcnt(0) lgkmcnt(0)
	s_barrier
	s_cbranch_vccz .LBB1541_10
.LBB1541_4:                             ; =>This Inner Loop Header: Depth=1
	v_mov_b32_e32 v3, s9
	v_add_co_u32_e32 v2, vcc, s8, v1
	v_addc_co_u32_e32 v3, vcc, 0, v3, vcc
	v_cmp_gt_i64_e32 vcc, s[30:31], v[2:3]
	v_mov_b32_e32 v2, 0
	s_and_b64 s[12:13], s[0:1], vcc
	v_mov_b32_e32 v3, 0
	s_and_saveexec_b64 s[4:5], s[12:13]
	s_cbranch_execz .LBB1541_6
; %bb.5:                                ;   in Loop: Header=BB1541_4 Depth=1
	flat_load_dwordx2 v[2:3], v[18:19]
.LBB1541_6:                             ;   in Loop: Header=BB1541_4 Depth=1
	s_or_b64 exec, exec, s[4:5]
	v_mov_b32_e32 v5, s9
	v_add_co_u32_e32 v4, vcc, s8, v0
	v_addc_co_u32_e32 v5, vcc, 0, v5, vcc
	v_cmp_gt_i64_e32 vcc, s[30:31], v[4:5]
	s_waitcnt vmcnt(0) lgkmcnt(0)
	ds_write_b64 v21, v[2:3]
	s_and_b64 s[12:13], s[2:3], vcc
	v_mov_b32_e32 v2, 0
	v_mov_b32_e32 v3, 0
	s_and_saveexec_b64 s[4:5], s[12:13]
	s_cbranch_execz .LBB1541_8
; %bb.7:                                ;   in Loop: Header=BB1541_4 Depth=1
	flat_load_dwordx2 v[2:3], v[16:17]
.LBB1541_8:                             ;   in Loop: Header=BB1541_4 Depth=1
	s_or_b64 exec, exec, s[4:5]
	s_waitcnt vmcnt(0) lgkmcnt(0)
	ds_write_b64 v23, v[2:3]
	s_waitcnt lgkmcnt(0)
	s_barrier
	s_and_saveexec_b64 s[4:5], s[6:7]
	s_cbranch_execz .LBB1541_3
; %bb.9:                                ;   in Loop: Header=BB1541_4 Depth=1
	ds_read2_b64 v[2:5], v22 offset1:32
	ds_read_b128 v[6:9], v20
	ds_read_b128 v[10:13], v20 offset:16
	s_waitcnt lgkmcnt(1)
	v_mul_f32_e32 v27, v3, v7
	v_fma_f32 v32, v2, v6, -v27
	ds_read2_b64 v[27:30], v22 offset0:64 offset1:96
	v_mul_f32_e32 v31, v2, v7
	v_mul_f32_e32 v2, v5, v9
	v_fma_f32 v33, v4, v8, -v2
	v_fmac_f32_e32 v31, v3, v6
	s_waitcnt lgkmcnt(0)
	v_mul_f32_e32 v2, v28, v11
	v_mul_f32_e32 v34, v4, v9
	v_fma_f32 v35, v27, v10, -v2
	v_mul_f32_e32 v27, v27, v11
	v_mul_f32_e32 v2, v30, v13
	v_fmac_f32_e32 v34, v5, v8
	v_fmac_f32_e32 v27, v28, v10
	v_fma_f32 v28, v29, v12, -v2
	v_mul_f32_e32 v29, v29, v13
	v_add_f32_e32 v10, 0, v32
	v_add_f32_e32 v11, 0, v31
	v_fmac_f32_e32 v29, v30, v12
	ds_read_b128 v[2:5], v20 offset:32
	ds_read_b128 v[6:9], v20 offset:48
	v_add_f32_e32 v30, v10, v33
	v_add_f32_e32 v31, v11, v34
	ds_read2_b64 v[10:13], v22 offset0:128 offset1:160
	v_add_f32_e32 v27, v31, v27
	v_add_f32_e32 v30, v30, v35
	v_add_f32_e32 v27, v27, v29
	v_add_f32_e32 v28, v30, v28
	s_waitcnt lgkmcnt(0)
	v_mul_f32_e32 v29, v11, v3
	v_mul_f32_e32 v3, v10, v3
	v_fma_f32 v29, v10, v2, -v29
	v_fmac_f32_e32 v3, v11, v2
	v_add_f32_e32 v2, v28, v29
	v_add_f32_e32 v3, v27, v3
	ds_read2_b64 v[27:30], v22 offset0:192 offset1:224
	v_mul_f32_e32 v10, v13, v5
	v_mul_f32_e32 v5, v12, v5
	v_fma_f32 v10, v12, v4, -v10
	v_fmac_f32_e32 v5, v13, v4
	s_waitcnt lgkmcnt(0)
	v_mul_f32_e32 v4, v28, v7
	v_add_f32_e32 v2, v2, v10
	v_add_f32_e32 v3, v3, v5
	v_fma_f32 v4, v27, v6, -v4
	v_mul_f32_e32 v5, v27, v7
	v_fmac_f32_e32 v5, v28, v6
	v_add_f32_e32 v6, v2, v4
	v_mul_f32_e32 v2, v30, v9
	v_add_f32_e32 v7, v3, v5
	v_fma_f32 v13, v29, v8, -v2
	v_mul_f32_e32 v27, v29, v9
	ds_read_b128 v[2:5], v20 offset:64
	ds_read2_b64 v[9:12], v24 offset1:32
	v_fmac_f32_e32 v27, v30, v8
	v_add_f32_e32 v6, v6, v13
	v_add_f32_e32 v7, v7, v27
	ds_read_b128 v[27:30], v20 offset:80
	s_waitcnt lgkmcnt(1)
	v_mul_f32_e32 v8, v10, v3
	v_fma_f32 v8, v9, v2, -v8
	v_mul_f32_e32 v3, v9, v3
	v_fmac_f32_e32 v3, v10, v2
	v_add_f32_e32 v2, v6, v8
	v_mul_f32_e32 v6, v12, v5
	v_add_f32_e32 v3, v7, v3
	v_fma_f32 v10, v11, v4, -v6
	ds_read2_b64 v[6:9], v24 offset0:64 offset1:96
	v_mul_f32_e32 v5, v11, v5
	v_fmac_f32_e32 v5, v12, v4
	v_add_f32_e32 v2, v2, v10
	v_add_f32_e32 v3, v3, v5
	s_waitcnt lgkmcnt(0)
	v_mul_f32_e32 v4, v7, v28
	v_fma_f32 v4, v6, v27, -v4
	v_mul_f32_e32 v5, v6, v28
	v_fmac_f32_e32 v5, v7, v27
	v_add_f32_e32 v6, v2, v4
	v_mul_f32_e32 v2, v9, v30
	v_add_f32_e32 v7, v3, v5
	v_fma_f32 v27, v8, v29, -v2
	ds_read_b128 v[2:5], v20 offset:96
	ds_read2_b64 v[10:13], v24 offset0:128 offset1:160
	v_mul_f32_e32 v8, v8, v30
	v_fmac_f32_e32 v8, v9, v29
	v_add_f32_e32 v27, v6, v27
	v_add_f32_e32 v28, v7, v8
	s_waitcnt lgkmcnt(0)
	v_mul_f32_e32 v29, v11, v3
	v_mul_f32_e32 v3, v10, v3
	v_fma_f32 v29, v10, v2, -v29
	v_fmac_f32_e32 v3, v11, v2
	ds_read_b128 v[6:9], v20 offset:112
	v_add_f32_e32 v2, v27, v29
	v_add_f32_e32 v3, v28, v3
	ds_read2_b64 v[27:30], v24 offset0:192 offset1:224
	v_mul_f32_e32 v10, v13, v5
	v_mul_f32_e32 v5, v12, v5
	v_fma_f32 v10, v12, v4, -v10
	v_fmac_f32_e32 v5, v13, v4
	s_waitcnt lgkmcnt(0)
	v_mul_f32_e32 v4, v28, v7
	v_add_f32_e32 v2, v2, v10
	v_add_f32_e32 v3, v3, v5
	v_fma_f32 v4, v27, v6, -v4
	v_mul_f32_e32 v5, v27, v7
	v_fmac_f32_e32 v5, v28, v6
	v_add_f32_e32 v6, v2, v4
	v_mul_f32_e32 v2, v30, v9
	v_add_f32_e32 v7, v3, v5
	v_fma_f32 v13, v29, v8, -v2
	v_mul_f32_e32 v27, v29, v9
	ds_read_b128 v[2:5], v20 offset:128
	ds_read2_b64 v[9:12], v25 offset1:32
	v_fmac_f32_e32 v27, v30, v8
	v_add_f32_e32 v6, v6, v13
	v_add_f32_e32 v7, v7, v27
	ds_read_b128 v[27:30], v20 offset:144
	s_waitcnt lgkmcnt(1)
	v_mul_f32_e32 v8, v10, v3
	v_fma_f32 v8, v9, v2, -v8
	v_mul_f32_e32 v3, v9, v3
	ds_read2_b64 v[31:34], v25 offset0:64 offset1:96
	v_fmac_f32_e32 v3, v10, v2
	v_add_f32_e32 v2, v6, v8
	v_mul_f32_e32 v6, v12, v5
	v_fma_f32 v6, v11, v4, -v6
	v_mul_f32_e32 v5, v11, v5
	v_add_f32_e32 v3, v7, v3
	v_fmac_f32_e32 v5, v12, v4
	v_add_f32_e32 v2, v2, v6
	ds_read_b128 v[6:9], v20 offset:160
	ds_read2_b64 v[10:13], v25 offset0:128 offset1:160
	v_add_f32_e32 v3, v3, v5
	s_waitcnt lgkmcnt(2)
	v_mul_f32_e32 v4, v32, v28
	v_mul_f32_e32 v5, v31, v28
	v_fma_f32 v4, v31, v27, -v4
	v_fmac_f32_e32 v5, v32, v27
	v_add_f32_e32 v2, v2, v4
	v_add_f32_e32 v3, v3, v5
	v_mul_f32_e32 v4, v34, v30
	v_mul_f32_e32 v5, v33, v30
	v_fma_f32 v4, v33, v29, -v4
	v_fmac_f32_e32 v5, v34, v29
	s_waitcnt lgkmcnt(0)
	v_mul_f32_e32 v29, v11, v7
	v_mul_f32_e32 v30, v10, v7
	v_fma_f32 v29, v10, v6, -v29
	v_fmac_f32_e32 v30, v11, v6
	v_mul_f32_e32 v6, v13, v9
	v_fma_f32 v31, v12, v8, -v6
	flat_load_dwordx2 v[6:7], v[14:15]
	v_mul_f32_e32 v12, v12, v9
	v_add_f32_e32 v27, v2, v4
	v_add_f32_e32 v28, v3, v5
	ds_read_b128 v[2:5], v20 offset:176
	v_fmac_f32_e32 v12, v13, v8
	ds_read2_b64 v[8:11], v25 offset0:192 offset1:224
	v_add_f32_e32 v13, v27, v29
	v_add_f32_e32 v27, v28, v30
	;; [unrolled: 1-line block ×4, first 2 shown]
	s_waitcnt lgkmcnt(0)
	v_mul_f32_e32 v27, v9, v3
	v_mul_f32_e32 v28, v8, v3
	v_fma_f32 v27, v8, v2, -v27
	v_fmac_f32_e32 v28, v9, v2
	v_mul_f32_e32 v2, v11, v5
	v_mul_f32_e32 v29, v10, v5
	v_add_f32_e32 v13, v13, v27
	v_fma_f32 v27, v10, v4, -v2
	v_fmac_f32_e32 v29, v11, v4
	ds_read_b128 v[2:5], v20 offset:192
	ds_read2_b64 v[8:11], v26 offset1:32
	v_add_f32_e32 v12, v12, v28
	v_add_f32_e32 v13, v13, v27
	;; [unrolled: 1-line block ×3, first 2 shown]
	ds_read_b128 v[27:30], v20 offset:208
	s_waitcnt lgkmcnt(0)
	v_mul_f32_e32 v31, v9, v3
	v_fma_f32 v31, v8, v2, -v31
	v_mul_f32_e32 v8, v8, v3
	v_fmac_f32_e32 v8, v9, v2
	v_mul_f32_e32 v2, v11, v5
	v_fma_f32 v9, v10, v4, -v2
	v_mul_f32_e32 v10, v10, v5
	v_fmac_f32_e32 v10, v11, v4
	ds_read2_b64 v[2:5], v26 offset0:64 offset1:96
	v_add_f32_e32 v8, v12, v8
	v_add_f32_e32 v11, v13, v31
	;; [unrolled: 1-line block ×4, first 2 shown]
	s_waitcnt lgkmcnt(0)
	v_mul_f32_e32 v8, v3, v28
	v_fma_f32 v8, v2, v27, -v8
	v_mul_f32_e32 v13, v2, v28
	v_mul_f32_e32 v2, v5, v30
	;; [unrolled: 1-line block ×3, first 2 shown]
	v_fmac_f32_e32 v13, v3, v27
	v_add_f32_e32 v27, v9, v8
	v_fma_f32 v28, v4, v29, -v2
	v_fmac_f32_e32 v30, v5, v29
	ds_read_b128 v[2:5], v20 offset:224
	ds_read2_b64 v[8:11], v26 offset0:128 offset1:160
	v_add_f32_e32 v12, v12, v13
	v_add_f32_e32 v13, v27, v28
	;; [unrolled: 1-line block ×3, first 2 shown]
	ds_read_b128 v[27:30], v20 offset:240
	s_waitcnt lgkmcnt(0)
	v_mul_f32_e32 v31, v9, v3
	v_fma_f32 v31, v8, v2, -v31
	v_mul_f32_e32 v8, v8, v3
	v_fmac_f32_e32 v8, v9, v2
	v_mul_f32_e32 v2, v11, v5
	v_fma_f32 v9, v10, v4, -v2
	v_mul_f32_e32 v10, v10, v5
	v_fmac_f32_e32 v10, v11, v4
	ds_read2_b64 v[2:5], v26 offset0:192 offset1:224
	v_add_f32_e32 v8, v12, v8
	v_add_f32_e32 v8, v8, v10
	;; [unrolled: 1-line block ×4, first 2 shown]
	s_waitcnt lgkmcnt(0)
	v_mul_f32_e32 v10, v3, v28
	v_fma_f32 v10, v2, v27, -v10
	v_mul_f32_e32 v2, v2, v28
	v_fmac_f32_e32 v2, v3, v27
	v_add_f32_e32 v2, v8, v2
	v_mul_f32_e32 v8, v5, v30
	v_fma_f32 v8, v4, v29, -v8
	v_mul_f32_e32 v4, v4, v30
	v_fmac_f32_e32 v4, v5, v29
	v_add_f32_e32 v3, v9, v10
	v_add_f32_e32 v2, v2, v4
	v_add_f32_e32 v3, v3, v8
	v_mul_f32_e32 v4, s11, v2
	v_fma_f32 v4, s10, v3, -v4
	v_mul_f32_e32 v3, s11, v3
	v_fmac_f32_e32 v3, s10, v2
	s_waitcnt vmcnt(0)
	v_add_f32_e32 v2, v6, v4
	v_add_f32_e32 v3, v7, v3
	flat_store_dwordx2 v[14:15], v[2:3]
	s_branch .LBB1541_3
.LBB1541_10:
	s_endpgm
	.section	.rodata,"a",@progbits
	.p2align	6, 0x0
	.amdhsa_kernel _ZL26rocblas_syr2k_her2k_kernelIlLb0ELb0ELb1ELi32E19rocblas_complex_numIfEPKPKS1_PKPS1_EvbiT_T4_T5_S9_lSB_S9_lT6_S9_li
		.amdhsa_group_segment_fixed_size 16384
		.amdhsa_private_segment_fixed_size 0
		.amdhsa_kernarg_size 100
		.amdhsa_user_sgpr_count 6
		.amdhsa_user_sgpr_private_segment_buffer 1
		.amdhsa_user_sgpr_dispatch_ptr 0
		.amdhsa_user_sgpr_queue_ptr 0
		.amdhsa_user_sgpr_kernarg_segment_ptr 1
		.amdhsa_user_sgpr_dispatch_id 0
		.amdhsa_user_sgpr_flat_scratch_init 0
		.amdhsa_user_sgpr_private_segment_size 0
		.amdhsa_uses_dynamic_stack 0
		.amdhsa_system_sgpr_private_segment_wavefront_offset 0
		.amdhsa_system_sgpr_workgroup_id_x 1
		.amdhsa_system_sgpr_workgroup_id_y 1
		.amdhsa_system_sgpr_workgroup_id_z 1
		.amdhsa_system_sgpr_workgroup_info 0
		.amdhsa_system_vgpr_workitem_id 1
		.amdhsa_next_free_vgpr 36
		.amdhsa_next_free_sgpr 61
		.amdhsa_reserve_vcc 1
		.amdhsa_reserve_flat_scratch 0
		.amdhsa_float_round_mode_32 0
		.amdhsa_float_round_mode_16_64 0
		.amdhsa_float_denorm_mode_32 3
		.amdhsa_float_denorm_mode_16_64 3
		.amdhsa_dx10_clamp 1
		.amdhsa_ieee_mode 1
		.amdhsa_fp16_overflow 0
		.amdhsa_exception_fp_ieee_invalid_op 0
		.amdhsa_exception_fp_denorm_src 0
		.amdhsa_exception_fp_ieee_div_zero 0
		.amdhsa_exception_fp_ieee_overflow 0
		.amdhsa_exception_fp_ieee_underflow 0
		.amdhsa_exception_fp_ieee_inexact 0
		.amdhsa_exception_int_div_zero 0
	.end_amdhsa_kernel
	.section	.text._ZL26rocblas_syr2k_her2k_kernelIlLb0ELb0ELb1ELi32E19rocblas_complex_numIfEPKPKS1_PKPS1_EvbiT_T4_T5_S9_lSB_S9_lT6_S9_li,"axG",@progbits,_ZL26rocblas_syr2k_her2k_kernelIlLb0ELb0ELb1ELi32E19rocblas_complex_numIfEPKPKS1_PKPS1_EvbiT_T4_T5_S9_lSB_S9_lT6_S9_li,comdat
.Lfunc_end1541:
	.size	_ZL26rocblas_syr2k_her2k_kernelIlLb0ELb0ELb1ELi32E19rocblas_complex_numIfEPKPKS1_PKPS1_EvbiT_T4_T5_S9_lSB_S9_lT6_S9_li, .Lfunc_end1541-_ZL26rocblas_syr2k_her2k_kernelIlLb0ELb0ELb1ELi32E19rocblas_complex_numIfEPKPKS1_PKPS1_EvbiT_T4_T5_S9_lSB_S9_lT6_S9_li
                                        ; -- End function
	.set _ZL26rocblas_syr2k_her2k_kernelIlLb0ELb0ELb1ELi32E19rocblas_complex_numIfEPKPKS1_PKPS1_EvbiT_T4_T5_S9_lSB_S9_lT6_S9_li.num_vgpr, 36
	.set _ZL26rocblas_syr2k_her2k_kernelIlLb0ELb0ELb1ELi32E19rocblas_complex_numIfEPKPKS1_PKPS1_EvbiT_T4_T5_S9_lSB_S9_lT6_S9_li.num_agpr, 0
	.set _ZL26rocblas_syr2k_her2k_kernelIlLb0ELb0ELb1ELi32E19rocblas_complex_numIfEPKPKS1_PKPS1_EvbiT_T4_T5_S9_lSB_S9_lT6_S9_li.numbered_sgpr, 32
	.set _ZL26rocblas_syr2k_her2k_kernelIlLb0ELb0ELb1ELi32E19rocblas_complex_numIfEPKPKS1_PKPS1_EvbiT_T4_T5_S9_lSB_S9_lT6_S9_li.num_named_barrier, 0
	.set _ZL26rocblas_syr2k_her2k_kernelIlLb0ELb0ELb1ELi32E19rocblas_complex_numIfEPKPKS1_PKPS1_EvbiT_T4_T5_S9_lSB_S9_lT6_S9_li.private_seg_size, 0
	.set _ZL26rocblas_syr2k_her2k_kernelIlLb0ELb0ELb1ELi32E19rocblas_complex_numIfEPKPKS1_PKPS1_EvbiT_T4_T5_S9_lSB_S9_lT6_S9_li.uses_vcc, 1
	.set _ZL26rocblas_syr2k_her2k_kernelIlLb0ELb0ELb1ELi32E19rocblas_complex_numIfEPKPKS1_PKPS1_EvbiT_T4_T5_S9_lSB_S9_lT6_S9_li.uses_flat_scratch, 0
	.set _ZL26rocblas_syr2k_her2k_kernelIlLb0ELb0ELb1ELi32E19rocblas_complex_numIfEPKPKS1_PKPS1_EvbiT_T4_T5_S9_lSB_S9_lT6_S9_li.has_dyn_sized_stack, 0
	.set _ZL26rocblas_syr2k_her2k_kernelIlLb0ELb0ELb1ELi32E19rocblas_complex_numIfEPKPKS1_PKPS1_EvbiT_T4_T5_S9_lSB_S9_lT6_S9_li.has_recursion, 0
	.set _ZL26rocblas_syr2k_her2k_kernelIlLb0ELb0ELb1ELi32E19rocblas_complex_numIfEPKPKS1_PKPS1_EvbiT_T4_T5_S9_lSB_S9_lT6_S9_li.has_indirect_call, 0
	.section	.AMDGPU.csdata,"",@progbits
; Kernel info:
; codeLenInByte = 2020
; TotalNumSgprs: 36
; NumVgprs: 36
; ScratchSize: 0
; MemoryBound: 0
; FloatMode: 240
; IeeeMode: 1
; LDSByteSize: 16384 bytes/workgroup (compile time only)
; SGPRBlocks: 8
; VGPRBlocks: 8
; NumSGPRsForWavesPerEU: 65
; NumVGPRsForWavesPerEU: 36
; Occupancy: 7
; WaveLimiterHint : 1
; COMPUTE_PGM_RSRC2:SCRATCH_EN: 0
; COMPUTE_PGM_RSRC2:USER_SGPR: 6
; COMPUTE_PGM_RSRC2:TRAP_HANDLER: 0
; COMPUTE_PGM_RSRC2:TGID_X_EN: 1
; COMPUTE_PGM_RSRC2:TGID_Y_EN: 1
; COMPUTE_PGM_RSRC2:TGID_Z_EN: 1
; COMPUTE_PGM_RSRC2:TIDIG_COMP_CNT: 1
	.section	.text._ZL37rocblas_syrkx_herkx_restricted_kernelIl19rocblas_complex_numIfELi16ELi32ELi8ELi1ELi1ELb0ELc84ELc76EKPKS1_KPS1_EviT_PT9_S7_lS9_S7_lPT10_S7_li,"axG",@progbits,_ZL37rocblas_syrkx_herkx_restricted_kernelIl19rocblas_complex_numIfELi16ELi32ELi8ELi1ELi1ELb0ELc84ELc76EKPKS1_KPS1_EviT_PT9_S7_lS9_S7_lPT10_S7_li,comdat
	.globl	_ZL37rocblas_syrkx_herkx_restricted_kernelIl19rocblas_complex_numIfELi16ELi32ELi8ELi1ELi1ELb0ELc84ELc76EKPKS1_KPS1_EviT_PT9_S7_lS9_S7_lPT10_S7_li ; -- Begin function _ZL37rocblas_syrkx_herkx_restricted_kernelIl19rocblas_complex_numIfELi16ELi32ELi8ELi1ELi1ELb0ELc84ELc76EKPKS1_KPS1_EviT_PT9_S7_lS9_S7_lPT10_S7_li
	.p2align	8
	.type	_ZL37rocblas_syrkx_herkx_restricted_kernelIl19rocblas_complex_numIfELi16ELi32ELi8ELi1ELi1ELb0ELc84ELc76EKPKS1_KPS1_EviT_PT9_S7_lS9_S7_lPT10_S7_li,@function
_ZL37rocblas_syrkx_herkx_restricted_kernelIl19rocblas_complex_numIfELi16ELi32ELi8ELi1ELi1ELb0ELc84ELc76EKPKS1_KPS1_EviT_PT9_S7_lS9_S7_lPT10_S7_li: ; @_ZL37rocblas_syrkx_herkx_restricted_kernelIl19rocblas_complex_numIfELi16ELi32ELi8ELi1ELi1ELb0ELc84ELc76EKPKS1_KPS1_EviT_PT9_S7_lS9_S7_lPT10_S7_li
; %bb.0:
	s_load_dwordx4 s[12:15], s[4:5], 0x40
	s_load_dwordx4 s[0:3], s[4:5], 0x8
	s_mov_b32 s9, 0
	s_lshl_b64 s[10:11], s[8:9], 3
	s_waitcnt lgkmcnt(0)
	s_add_u32 s8, s12, s10
	s_addc_u32 s9, s13, s11
	s_load_dwordx2 s[8:9], s[8:9], 0x0
	v_cmp_lt_i64_e64 s[12:13], s[0:1], 1
	s_lshl_b32 s6, s6, 5
	s_lshl_b32 s7, s7, 5
	s_and_b64 vcc, exec, s[12:13]
	s_cbranch_vccnz .LBB1542_3
; %bb.1:
	s_load_dwordx2 s[12:13], s[4:5], 0x18
	s_load_dwordx4 s[16:19], s[4:5], 0x28
	v_lshl_add_u32 v4, v1, 4, v0
	v_lshrrev_b32_e32 v6, 3, v4
	v_add_u32_e32 v2, s7, v6
	v_ashrrev_i32_e32 v3, 31, v2
	v_and_b32_e32 v9, 7, v0
	v_mov_b32_e32 v10, 0
	s_waitcnt lgkmcnt(0)
	v_mul_lo_u32 v5, s18, v3
	v_mul_lo_u32 v7, s19, v2
	v_mad_u64_u32 v[2:3], s[18:19], s18, v2, v[9:10]
	s_add_u32 s2, s2, s10
	s_addc_u32 s3, s3, s11
	v_add3_u32 v3, v7, v3, v5
	v_and_b32_e32 v7, 31, v4
	v_lshrrev_b32_e32 v4, 5, v4
	v_lshlrev_b32_e32 v8, 3, v7
	v_lshl_or_b32 v11, v4, 8, v8
	v_lshlrev_b32_e32 v8, 3, v9
	v_lshl_or_b32 v6, v6, 6, v8
	v_add_u32_e32 v12, 0x800, v6
	v_add_u32_e32 v6, s6, v7
	s_add_u32 s10, s16, s10
	v_mov_b32_e32 v5, v10
	v_ashrrev_i32_e32 v7, 31, v6
	s_addc_u32 s11, s17, s11
	v_mul_lo_u32 v7, s12, v7
	v_mad_u64_u32 v[4:5], s[16:17], s12, v6, v[4:5]
	v_mul_lo_u32 v6, s13, v6
	s_load_dwordx2 s[2:3], s[2:3], 0x0
	v_lshlrev_b64 v[2:3], 3, v[2:3]
	s_load_dwordx2 s[10:11], s[10:11], 0x0
	v_add3_u32 v5, v6, v5, v7
	v_lshlrev_b64 v[4:5], 3, v[4:5]
	s_waitcnt lgkmcnt(0)
	v_mov_b32_e32 v7, s3
	v_add_co_u32_e32 v6, vcc, s2, v4
	v_mov_b32_e32 v8, 0x800
	v_addc_co_u32_e32 v7, vcc, v7, v5, vcc
	v_lshl_add_u32 v14, v1, 6, v8
	v_mov_b32_e32 v4, s11
	v_add_co_u32_e32 v8, vcc, s10, v2
	v_lshlrev_b32_e32 v13, 3, v0
	v_addc_co_u32_e32 v9, vcc, v4, v3, vcc
	s_mov_b64 s[2:3], 0
	v_mov_b32_e32 v15, v10
	v_mov_b32_e32 v16, v10
	;; [unrolled: 1-line block ×7, first 2 shown]
.LBB1542_2:                             ; =>This Inner Loop Header: Depth=1
	flat_load_dwordx2 v[2:3], v[6:7]
	v_add_co_u32_e32 v6, vcc, 64, v6
	s_add_u32 s2, s2, 8
	v_addc_co_u32_e32 v7, vcc, 0, v7, vcc
	s_addc_u32 s3, s3, 0
	s_waitcnt vmcnt(0) lgkmcnt(0)
	ds_write_b64 v11, v[2:3]
	flat_load_dwordx2 v[2:3], v[8:9]
	v_add_co_u32_e32 v8, vcc, 64, v8
	v_addc_co_u32_e32 v9, vcc, 0, v9, vcc
	s_waitcnt vmcnt(0) lgkmcnt(0)
	ds_write_b64 v12, v[2:3]
	s_waitcnt lgkmcnt(0)
	s_barrier
	ds_read_b128 v[22:25], v14
	ds_read_b128 v[26:29], v14 offset:16
	ds_read_b128 v[30:33], v14 offset:32
	;; [unrolled: 1-line block ×3, first 2 shown]
	ds_read2_b64 v[34:37], v13 offset1:16
	s_waitcnt lgkmcnt(0)
	v_mul_f32_e32 v38, v23, v35
	v_mul_f32_e32 v39, v22, v35
	v_fma_f32 v38, v22, v34, -v38
	v_fmac_f32_e32 v39, v23, v34
	v_add_f32_e32 v38, v20, v38
	v_add_f32_e32 v39, v21, v39
	v_mul_f32_e32 v20, v23, v37
	v_mul_f32_e32 v21, v22, v37
	v_fma_f32 v20, v22, v36, -v20
	v_fmac_f32_e32 v21, v23, v36
	v_add_f32_e32 v22, v19, v20
	v_add_f32_e32 v23, v18, v21
	ds_read_b128 v[18:21], v14 offset:1024
	s_waitcnt lgkmcnt(0)
	v_mul_f32_e32 v40, v19, v35
	v_mul_f32_e32 v35, v18, v35
	v_fma_f32 v40, v18, v34, -v40
	v_fmac_f32_e32 v35, v19, v34
	v_add_f32_e32 v34, v17, v40
	v_add_f32_e32 v35, v16, v35
	v_mul_f32_e32 v16, v19, v37
	v_mul_f32_e32 v17, v18, v37
	v_fma_f32 v16, v18, v36, -v16
	v_fmac_f32_e32 v17, v19, v36
	v_add_f32_e32 v19, v15, v16
	v_add_f32_e32 v10, v10, v17
	ds_read2_b64 v[15:18], v13 offset0:32 offset1:48
	s_waitcnt lgkmcnt(0)
	v_mul_f32_e32 v36, v25, v16
	v_fma_f32 v36, v24, v15, -v36
	v_add_f32_e32 v36, v38, v36
	v_mul_f32_e32 v38, v25, v18
	v_mul_f32_e32 v37, v24, v16
	v_fma_f32 v38, v24, v17, -v38
	v_mul_f32_e32 v24, v24, v18
	v_fmac_f32_e32 v24, v25, v17
	v_add_f32_e32 v23, v23, v24
	v_mul_f32_e32 v24, v21, v16
	v_mul_f32_e32 v16, v20, v16
	v_fmac_f32_e32 v16, v21, v15
	v_fmac_f32_e32 v37, v25, v15
	v_fma_f32 v24, v20, v15, -v24
	v_add_f32_e32 v25, v35, v16
	v_mul_f32_e32 v15, v21, v18
	v_mul_f32_e32 v16, v20, v18
	v_fma_f32 v15, v20, v17, -v15
	v_fmac_f32_e32 v16, v21, v17
	v_add_f32_e32 v24, v34, v24
	v_add_f32_e32 v34, v19, v15
	;; [unrolled: 1-line block ×3, first 2 shown]
	ds_read2_b64 v[15:18], v13 offset0:64 offset1:80
	v_add_f32_e32 v37, v39, v37
	v_add_f32_e32 v22, v22, v38
	s_waitcnt lgkmcnt(0)
	v_mul_f32_e32 v19, v27, v16
	v_mul_f32_e32 v20, v26, v16
	v_fma_f32 v19, v26, v15, -v19
	v_fmac_f32_e32 v20, v27, v15
	v_add_f32_e32 v35, v36, v19
	v_add_f32_e32 v36, v37, v20
	v_mul_f32_e32 v19, v27, v18
	v_mul_f32_e32 v20, v26, v18
	v_fma_f32 v19, v26, v17, -v19
	v_fmac_f32_e32 v20, v27, v17
	v_add_f32_e32 v26, v22, v19
	v_add_f32_e32 v23, v23, v20
	ds_read_b128 v[19:22], v14 offset:1040
	s_waitcnt lgkmcnt(0)
	v_mul_f32_e32 v27, v20, v16
	v_mul_f32_e32 v16, v19, v16
	v_fmac_f32_e32 v16, v20, v15
	v_fma_f32 v27, v19, v15, -v27
	v_add_f32_e32 v25, v25, v16
	v_mul_f32_e32 v15, v20, v18
	v_mul_f32_e32 v16, v19, v18
	v_fma_f32 v15, v19, v17, -v15
	v_fmac_f32_e32 v16, v20, v17
	v_add_f32_e32 v19, v34, v15
	v_add_f32_e32 v10, v10, v16
	ds_read2_b64 v[15:18], v13 offset0:96 offset1:112
	v_add_f32_e32 v24, v24, v27
	s_waitcnt lgkmcnt(0)
	v_mul_f32_e32 v20, v29, v16
	v_mul_f32_e32 v34, v29, v18
	v_fma_f32 v20, v28, v15, -v20
	v_mul_f32_e32 v27, v28, v16
	v_fma_f32 v34, v28, v17, -v34
	v_mul_f32_e32 v28, v28, v18
	v_fmac_f32_e32 v28, v29, v17
	v_add_f32_e32 v23, v23, v28
	v_mul_f32_e32 v28, v22, v16
	v_mul_f32_e32 v16, v21, v16
	v_fmac_f32_e32 v16, v22, v15
	v_fmac_f32_e32 v27, v29, v15
	v_fma_f32 v28, v21, v15, -v28
	v_add_f32_e32 v25, v25, v16
	v_mul_f32_e32 v15, v22, v18
	v_mul_f32_e32 v16, v21, v18
	v_fma_f32 v15, v21, v17, -v15
	v_fmac_f32_e32 v16, v22, v17
	v_add_f32_e32 v24, v24, v28
	v_add_f32_e32 v28, v19, v15
	;; [unrolled: 1-line block ×3, first 2 shown]
	ds_read2_b64 v[15:18], v13 offset0:128 offset1:144
	v_add_f32_e32 v20, v35, v20
	v_add_f32_e32 v27, v36, v27
	;; [unrolled: 1-line block ×3, first 2 shown]
	s_waitcnt lgkmcnt(0)
	v_mul_f32_e32 v19, v31, v16
	v_fma_f32 v19, v30, v15, -v19
	v_mul_f32_e32 v21, v30, v16
	v_add_f32_e32 v29, v20, v19
	v_mul_f32_e32 v19, v31, v18
	v_mul_f32_e32 v20, v30, v18
	v_fmac_f32_e32 v21, v31, v15
	v_fma_f32 v19, v30, v17, -v19
	v_fmac_f32_e32 v20, v31, v17
	v_add_f32_e32 v27, v27, v21
	v_add_f32_e32 v26, v26, v19
	;; [unrolled: 1-line block ×3, first 2 shown]
	ds_read_b128 v[19:22], v14 offset:1056
	s_waitcnt lgkmcnt(0)
	v_mul_f32_e32 v30, v20, v16
	v_mul_f32_e32 v16, v19, v16
	v_fmac_f32_e32 v16, v20, v15
	v_fma_f32 v30, v19, v15, -v30
	v_add_f32_e32 v25, v25, v16
	v_mul_f32_e32 v15, v20, v18
	v_mul_f32_e32 v16, v19, v18
	v_fma_f32 v15, v19, v17, -v15
	v_fmac_f32_e32 v16, v20, v17
	v_add_f32_e32 v19, v28, v15
	v_add_f32_e32 v10, v10, v16
	ds_read2_b64 v[15:18], v13 offset0:160 offset1:176
	v_add_f32_e32 v24, v24, v30
	s_waitcnt lgkmcnt(0)
	v_mul_f32_e32 v28, v32, v16
	v_fmac_f32_e32 v28, v33, v15
	v_add_f32_e32 v27, v27, v28
	v_mul_f32_e32 v28, v33, v18
	v_fma_f32 v28, v32, v17, -v28
	v_mul_f32_e32 v20, v33, v16
	v_add_f32_e32 v26, v26, v28
	v_mul_f32_e32 v28, v22, v16
	v_mul_f32_e32 v16, v21, v16
	v_fmac_f32_e32 v16, v22, v15
	v_fma_f32 v20, v32, v15, -v20
	v_fma_f32 v28, v21, v15, -v28
	v_add_f32_e32 v25, v25, v16
	v_mul_f32_e32 v15, v22, v18
	v_mul_f32_e32 v16, v21, v18
	v_add_f32_e32 v20, v29, v20
	v_mul_f32_e32 v29, v32, v18
	v_fma_f32 v15, v21, v17, -v15
	v_fmac_f32_e32 v16, v22, v17
	v_fmac_f32_e32 v29, v33, v17
	v_add_f32_e32 v19, v19, v15
	v_add_f32_e32 v10, v10, v16
	ds_read2_b64 v[15:18], v13 offset0:192 offset1:208
	v_add_f32_e32 v24, v24, v28
	v_add_f32_e32 v23, v23, v29
	s_waitcnt lgkmcnt(0)
	v_mul_f32_e32 v21, v3, v16
	v_fma_f32 v21, v2, v15, -v21
	v_add_f32_e32 v28, v20, v21
	v_mul_f32_e32 v20, v3, v18
	v_mul_f32_e32 v22, v2, v16
	v_fma_f32 v20, v2, v17, -v20
	v_mul_f32_e32 v2, v2, v18
	v_fmac_f32_e32 v22, v3, v15
	v_fmac_f32_e32 v2, v3, v17
	v_add_f32_e32 v29, v27, v22
	v_add_f32_e32 v3, v26, v20
	;; [unrolled: 1-line block ×3, first 2 shown]
	ds_read_b128 v[20:23], v14 offset:1072
	s_waitcnt lgkmcnt(0)
	v_mul_f32_e32 v26, v21, v16
	v_fma_f32 v26, v20, v15, -v26
	v_mul_f32_e32 v16, v20, v16
	v_fmac_f32_e32 v16, v21, v15
	v_add_f32_e32 v15, v24, v26
	v_mul_f32_e32 v24, v21, v18
	v_fma_f32 v24, v20, v17, -v24
	v_add_f32_e32 v16, v25, v16
	v_add_f32_e32 v30, v19, v24
	ds_read2_b64 v[24:27], v13 offset0:224 offset1:240
	v_mul_f32_e32 v18, v20, v18
	v_fmac_f32_e32 v18, v21, v17
	v_add_f32_e32 v10, v10, v18
	s_waitcnt lgkmcnt(0)
	v_mul_f32_e32 v17, v5, v25
	v_fma_f32 v17, v4, v24, -v17
	v_add_f32_e32 v20, v28, v17
	v_mul_f32_e32 v17, v5, v27
	v_mul_f32_e32 v18, v4, v25
	v_fma_f32 v17, v4, v26, -v17
	v_mul_f32_e32 v4, v4, v27
	v_fmac_f32_e32 v18, v5, v24
	v_fmac_f32_e32 v4, v5, v26
	v_add_f32_e32 v21, v29, v18
	v_add_f32_e32 v19, v3, v17
	;; [unrolled: 1-line block ×3, first 2 shown]
	v_mul_f32_e32 v2, v23, v25
	v_mul_f32_e32 v3, v22, v25
	v_fma_f32 v2, v22, v24, -v2
	v_fmac_f32_e32 v3, v23, v24
	v_add_f32_e32 v17, v15, v2
	v_add_f32_e32 v16, v16, v3
	v_mul_f32_e32 v2, v23, v27
	v_mul_f32_e32 v3, v22, v27
	v_fma_f32 v2, v22, v26, -v2
	v_fmac_f32_e32 v3, v23, v26
	v_add_f32_e32 v15, v30, v2
	v_add_f32_e32 v10, v10, v3
	v_mov_b32_e32 v2, s2
	v_mov_b32_e32 v3, s3
	v_cmp_le_u64_e32 vcc, s[0:1], v[2:3]
	s_barrier
	s_cbranch_vccz .LBB1542_2
	s_branch .LBB1542_4
.LBB1542_3:
	v_mov_b32_e32 v20, 0
	v_mov_b32_e32 v21, 0
	;; [unrolled: 1-line block ×8, first 2 shown]
.LBB1542_4:
	v_add_u32_e32 v4, s7, v1
	v_ashrrev_i32_e32 v1, 31, v4
	v_mul_lo_u32 v3, s14, v1
	v_mul_lo_u32 v5, s15, v4
	v_mad_u64_u32 v[1:2], s[0:1], s14, v4, 0
	s_load_dword s4, s[4:5], 0x0
	v_add_u32_e32 v0, s6, v0
	v_add3_u32 v2, v2, v3, v5
	v_lshlrev_b64 v[1:2], 3, v[1:2]
	s_waitcnt lgkmcnt(0)
	v_mov_b32_e32 v3, s9
	v_add_co_u32_e32 v5, vcc, s8, v1
	v_addc_co_u32_e32 v6, vcc, v3, v2, vcc
	v_cmp_le_i32_e64 s[0:1], v4, v0
	v_cmp_gt_i32_e32 vcc, s4, v0
	s_and_b64 s[0:1], s[0:1], vcc
	s_and_saveexec_b64 s[2:3], s[0:1]
	s_cbranch_execz .LBB1542_6
; %bb.5:
	v_ashrrev_i32_e32 v1, 31, v0
	v_lshlrev_b64 v[1:2], 3, v[0:1]
	v_add_co_u32_e64 v1, s[0:1], v5, v1
	v_addc_co_u32_e64 v2, s[0:1], v6, v2, s[0:1]
	flat_load_dwordx2 v[7:8], v[1:2]
	s_waitcnt vmcnt(0) lgkmcnt(0)
	v_add_f32_e32 v7, v20, v7
	v_add_f32_e32 v8, v21, v8
	flat_store_dwordx2 v[1:2], v[7:8]
.LBB1542_6:
	s_or_b64 exec, exec, s[2:3]
	v_add_u32_e32 v2, 16, v0
	v_cmp_le_i32_e64 s[2:3], v4, v2
	v_cmp_gt_i32_e64 s[0:1], s4, v2
	s_and_b64 s[2:3], s[2:3], s[0:1]
	s_and_saveexec_b64 s[4:5], s[2:3]
	s_cbranch_execz .LBB1542_8
; %bb.7:
	v_ashrrev_i32_e32 v3, 31, v2
	v_lshlrev_b64 v[7:8], 3, v[2:3]
	v_add_co_u32_e64 v5, s[2:3], v5, v7
	v_addc_co_u32_e64 v6, s[2:3], v6, v8, s[2:3]
	flat_load_dwordx2 v[7:8], v[5:6]
	s_waitcnt vmcnt(0) lgkmcnt(0)
	v_add_f32_e32 v7, v19, v7
	v_add_f32_e32 v8, v18, v8
	flat_store_dwordx2 v[5:6], v[7:8]
.LBB1542_8:
	s_or_b64 exec, exec, s[4:5]
	v_add_u32_e32 v3, 16, v4
	v_ashrrev_i32_e32 v1, 31, v3
	v_mul_lo_u32 v6, s15, v3
	v_mad_u64_u32 v[4:5], s[2:3], s14, v3, 0
	v_mul_lo_u32 v1, s14, v1
	v_add3_u32 v5, v5, v1, v6
	v_lshlrev_b64 v[4:5], 3, v[4:5]
	v_mov_b32_e32 v1, s9
	v_add_co_u32_e64 v4, s[2:3], s8, v4
	v_addc_co_u32_e64 v5, s[2:3], v1, v5, s[2:3]
	v_cmp_le_i32_e64 s[2:3], v3, v0
	s_and_b64 s[4:5], s[2:3], vcc
	s_and_saveexec_b64 s[2:3], s[4:5]
	s_cbranch_execz .LBB1542_10
; %bb.9:
	v_ashrrev_i32_e32 v1, 31, v0
	v_lshlrev_b64 v[0:1], 3, v[0:1]
	v_add_co_u32_e32 v0, vcc, v4, v0
	v_addc_co_u32_e32 v1, vcc, v5, v1, vcc
	flat_load_dwordx2 v[6:7], v[0:1]
	s_waitcnt vmcnt(0) lgkmcnt(0)
	v_add_f32_e32 v6, v17, v6
	v_add_f32_e32 v7, v16, v7
	flat_store_dwordx2 v[0:1], v[6:7]
.LBB1542_10:
	s_or_b64 exec, exec, s[2:3]
	v_cmp_le_i32_e32 vcc, v3, v2
	s_and_b64 s[0:1], vcc, s[0:1]
	s_and_saveexec_b64 s[2:3], s[0:1]
	s_cbranch_execz .LBB1542_12
; %bb.11:
	v_ashrrev_i32_e32 v3, 31, v2
	v_lshlrev_b64 v[0:1], 3, v[2:3]
	v_add_co_u32_e32 v0, vcc, v4, v0
	v_addc_co_u32_e32 v1, vcc, v5, v1, vcc
	flat_load_dwordx2 v[2:3], v[0:1]
	s_waitcnt vmcnt(0) lgkmcnt(0)
	v_add_f32_e32 v2, v15, v2
	v_add_f32_e32 v3, v10, v3
	flat_store_dwordx2 v[0:1], v[2:3]
.LBB1542_12:
	s_endpgm
	.section	.rodata,"a",@progbits
	.p2align	6, 0x0
	.amdhsa_kernel _ZL37rocblas_syrkx_herkx_restricted_kernelIl19rocblas_complex_numIfELi16ELi32ELi8ELi1ELi1ELb0ELc84ELc76EKPKS1_KPS1_EviT_PT9_S7_lS9_S7_lPT10_S7_li
		.amdhsa_group_segment_fixed_size 4096
		.amdhsa_private_segment_fixed_size 0
		.amdhsa_kernarg_size 92
		.amdhsa_user_sgpr_count 6
		.amdhsa_user_sgpr_private_segment_buffer 1
		.amdhsa_user_sgpr_dispatch_ptr 0
		.amdhsa_user_sgpr_queue_ptr 0
		.amdhsa_user_sgpr_kernarg_segment_ptr 1
		.amdhsa_user_sgpr_dispatch_id 0
		.amdhsa_user_sgpr_flat_scratch_init 0
		.amdhsa_user_sgpr_private_segment_size 0
		.amdhsa_uses_dynamic_stack 0
		.amdhsa_system_sgpr_private_segment_wavefront_offset 0
		.amdhsa_system_sgpr_workgroup_id_x 1
		.amdhsa_system_sgpr_workgroup_id_y 1
		.amdhsa_system_sgpr_workgroup_id_z 1
		.amdhsa_system_sgpr_workgroup_info 0
		.amdhsa_system_vgpr_workitem_id 1
		.amdhsa_next_free_vgpr 41
		.amdhsa_next_free_sgpr 20
		.amdhsa_reserve_vcc 1
		.amdhsa_reserve_flat_scratch 0
		.amdhsa_float_round_mode_32 0
		.amdhsa_float_round_mode_16_64 0
		.amdhsa_float_denorm_mode_32 3
		.amdhsa_float_denorm_mode_16_64 3
		.amdhsa_dx10_clamp 1
		.amdhsa_ieee_mode 1
		.amdhsa_fp16_overflow 0
		.amdhsa_exception_fp_ieee_invalid_op 0
		.amdhsa_exception_fp_denorm_src 0
		.amdhsa_exception_fp_ieee_div_zero 0
		.amdhsa_exception_fp_ieee_overflow 0
		.amdhsa_exception_fp_ieee_underflow 0
		.amdhsa_exception_fp_ieee_inexact 0
		.amdhsa_exception_int_div_zero 0
	.end_amdhsa_kernel
	.section	.text._ZL37rocblas_syrkx_herkx_restricted_kernelIl19rocblas_complex_numIfELi16ELi32ELi8ELi1ELi1ELb0ELc84ELc76EKPKS1_KPS1_EviT_PT9_S7_lS9_S7_lPT10_S7_li,"axG",@progbits,_ZL37rocblas_syrkx_herkx_restricted_kernelIl19rocblas_complex_numIfELi16ELi32ELi8ELi1ELi1ELb0ELc84ELc76EKPKS1_KPS1_EviT_PT9_S7_lS9_S7_lPT10_S7_li,comdat
.Lfunc_end1542:
	.size	_ZL37rocblas_syrkx_herkx_restricted_kernelIl19rocblas_complex_numIfELi16ELi32ELi8ELi1ELi1ELb0ELc84ELc76EKPKS1_KPS1_EviT_PT9_S7_lS9_S7_lPT10_S7_li, .Lfunc_end1542-_ZL37rocblas_syrkx_herkx_restricted_kernelIl19rocblas_complex_numIfELi16ELi32ELi8ELi1ELi1ELb0ELc84ELc76EKPKS1_KPS1_EviT_PT9_S7_lS9_S7_lPT10_S7_li
                                        ; -- End function
	.set _ZL37rocblas_syrkx_herkx_restricted_kernelIl19rocblas_complex_numIfELi16ELi32ELi8ELi1ELi1ELb0ELc84ELc76EKPKS1_KPS1_EviT_PT9_S7_lS9_S7_lPT10_S7_li.num_vgpr, 41
	.set _ZL37rocblas_syrkx_herkx_restricted_kernelIl19rocblas_complex_numIfELi16ELi32ELi8ELi1ELi1ELb0ELc84ELc76EKPKS1_KPS1_EviT_PT9_S7_lS9_S7_lPT10_S7_li.num_agpr, 0
	.set _ZL37rocblas_syrkx_herkx_restricted_kernelIl19rocblas_complex_numIfELi16ELi32ELi8ELi1ELi1ELb0ELc84ELc76EKPKS1_KPS1_EviT_PT9_S7_lS9_S7_lPT10_S7_li.numbered_sgpr, 20
	.set _ZL37rocblas_syrkx_herkx_restricted_kernelIl19rocblas_complex_numIfELi16ELi32ELi8ELi1ELi1ELb0ELc84ELc76EKPKS1_KPS1_EviT_PT9_S7_lS9_S7_lPT10_S7_li.num_named_barrier, 0
	.set _ZL37rocblas_syrkx_herkx_restricted_kernelIl19rocblas_complex_numIfELi16ELi32ELi8ELi1ELi1ELb0ELc84ELc76EKPKS1_KPS1_EviT_PT9_S7_lS9_S7_lPT10_S7_li.private_seg_size, 0
	.set _ZL37rocblas_syrkx_herkx_restricted_kernelIl19rocblas_complex_numIfELi16ELi32ELi8ELi1ELi1ELb0ELc84ELc76EKPKS1_KPS1_EviT_PT9_S7_lS9_S7_lPT10_S7_li.uses_vcc, 1
	.set _ZL37rocblas_syrkx_herkx_restricted_kernelIl19rocblas_complex_numIfELi16ELi32ELi8ELi1ELi1ELb0ELc84ELc76EKPKS1_KPS1_EviT_PT9_S7_lS9_S7_lPT10_S7_li.uses_flat_scratch, 0
	.set _ZL37rocblas_syrkx_herkx_restricted_kernelIl19rocblas_complex_numIfELi16ELi32ELi8ELi1ELi1ELb0ELc84ELc76EKPKS1_KPS1_EviT_PT9_S7_lS9_S7_lPT10_S7_li.has_dyn_sized_stack, 0
	.set _ZL37rocblas_syrkx_herkx_restricted_kernelIl19rocblas_complex_numIfELi16ELi32ELi8ELi1ELi1ELb0ELc84ELc76EKPKS1_KPS1_EviT_PT9_S7_lS9_S7_lPT10_S7_li.has_recursion, 0
	.set _ZL37rocblas_syrkx_herkx_restricted_kernelIl19rocblas_complex_numIfELi16ELi32ELi8ELi1ELi1ELb0ELc84ELc76EKPKS1_KPS1_EviT_PT9_S7_lS9_S7_lPT10_S7_li.has_indirect_call, 0
	.section	.AMDGPU.csdata,"",@progbits
; Kernel info:
; codeLenInByte = 2020
; TotalNumSgprs: 24
; NumVgprs: 41
; ScratchSize: 0
; MemoryBound: 0
; FloatMode: 240
; IeeeMode: 1
; LDSByteSize: 4096 bytes/workgroup (compile time only)
; SGPRBlocks: 2
; VGPRBlocks: 10
; NumSGPRsForWavesPerEU: 24
; NumVGPRsForWavesPerEU: 41
; Occupancy: 5
; WaveLimiterHint : 1
; COMPUTE_PGM_RSRC2:SCRATCH_EN: 0
; COMPUTE_PGM_RSRC2:USER_SGPR: 6
; COMPUTE_PGM_RSRC2:TRAP_HANDLER: 0
; COMPUTE_PGM_RSRC2:TGID_X_EN: 1
; COMPUTE_PGM_RSRC2:TGID_Y_EN: 1
; COMPUTE_PGM_RSRC2:TGID_Z_EN: 1
; COMPUTE_PGM_RSRC2:TIDIG_COMP_CNT: 1
	.section	.text._ZL37rocblas_syrkx_herkx_restricted_kernelIl19rocblas_complex_numIfELi16ELi32ELi8ELi1ELi1ELb0ELc67ELc76EKPKS1_KPS1_EviT_PT9_S7_lS9_S7_lPT10_S7_li,"axG",@progbits,_ZL37rocblas_syrkx_herkx_restricted_kernelIl19rocblas_complex_numIfELi16ELi32ELi8ELi1ELi1ELb0ELc67ELc76EKPKS1_KPS1_EviT_PT9_S7_lS9_S7_lPT10_S7_li,comdat
	.globl	_ZL37rocblas_syrkx_herkx_restricted_kernelIl19rocblas_complex_numIfELi16ELi32ELi8ELi1ELi1ELb0ELc67ELc76EKPKS1_KPS1_EviT_PT9_S7_lS9_S7_lPT10_S7_li ; -- Begin function _ZL37rocblas_syrkx_herkx_restricted_kernelIl19rocblas_complex_numIfELi16ELi32ELi8ELi1ELi1ELb0ELc67ELc76EKPKS1_KPS1_EviT_PT9_S7_lS9_S7_lPT10_S7_li
	.p2align	8
	.type	_ZL37rocblas_syrkx_herkx_restricted_kernelIl19rocblas_complex_numIfELi16ELi32ELi8ELi1ELi1ELb0ELc67ELc76EKPKS1_KPS1_EviT_PT9_S7_lS9_S7_lPT10_S7_li,@function
_ZL37rocblas_syrkx_herkx_restricted_kernelIl19rocblas_complex_numIfELi16ELi32ELi8ELi1ELi1ELb0ELc67ELc76EKPKS1_KPS1_EviT_PT9_S7_lS9_S7_lPT10_S7_li: ; @_ZL37rocblas_syrkx_herkx_restricted_kernelIl19rocblas_complex_numIfELi16ELi32ELi8ELi1ELi1ELb0ELc67ELc76EKPKS1_KPS1_EviT_PT9_S7_lS9_S7_lPT10_S7_li
; %bb.0:
	s_load_dwordx4 s[12:15], s[4:5], 0x40
	s_load_dwordx4 s[0:3], s[4:5], 0x8
	s_mov_b32 s9, 0
	s_lshl_b64 s[10:11], s[8:9], 3
	s_waitcnt lgkmcnt(0)
	s_add_u32 s8, s12, s10
	s_addc_u32 s9, s13, s11
	s_load_dwordx2 s[8:9], s[8:9], 0x0
	v_cmp_lt_i64_e64 s[12:13], s[0:1], 1
	s_lshl_b32 s6, s6, 5
	s_lshl_b32 s7, s7, 5
	s_and_b64 vcc, exec, s[12:13]
	s_cbranch_vccnz .LBB1543_3
; %bb.1:
	s_load_dwordx2 s[12:13], s[4:5], 0x18
	s_load_dwordx4 s[16:19], s[4:5], 0x28
	v_lshl_add_u32 v4, v1, 4, v0
	v_lshrrev_b32_e32 v6, 3, v4
	v_add_u32_e32 v2, s7, v6
	v_ashrrev_i32_e32 v3, 31, v2
	v_and_b32_e32 v9, 7, v0
	v_mov_b32_e32 v10, 0
	s_waitcnt lgkmcnt(0)
	v_mul_lo_u32 v5, s18, v3
	v_mul_lo_u32 v7, s19, v2
	v_mad_u64_u32 v[2:3], s[18:19], s18, v2, v[9:10]
	s_add_u32 s2, s2, s10
	s_addc_u32 s3, s3, s11
	v_add3_u32 v3, v7, v3, v5
	v_and_b32_e32 v7, 31, v4
	v_lshrrev_b32_e32 v4, 5, v4
	v_lshlrev_b32_e32 v8, 3, v7
	v_lshl_or_b32 v11, v4, 8, v8
	v_lshlrev_b32_e32 v8, 3, v9
	v_lshl_or_b32 v6, v6, 6, v8
	v_add_u32_e32 v12, 0x800, v6
	v_add_u32_e32 v6, s6, v7
	s_add_u32 s10, s16, s10
	v_mov_b32_e32 v5, v10
	v_ashrrev_i32_e32 v7, 31, v6
	s_addc_u32 s11, s17, s11
	v_mul_lo_u32 v7, s12, v7
	v_mad_u64_u32 v[4:5], s[16:17], s12, v6, v[4:5]
	v_mul_lo_u32 v6, s13, v6
	s_load_dwordx2 s[2:3], s[2:3], 0x0
	v_lshlrev_b64 v[2:3], 3, v[2:3]
	s_load_dwordx2 s[10:11], s[10:11], 0x0
	v_add3_u32 v5, v6, v5, v7
	v_lshlrev_b64 v[4:5], 3, v[4:5]
	s_waitcnt lgkmcnt(0)
	v_mov_b32_e32 v7, s3
	v_add_co_u32_e32 v6, vcc, s2, v4
	v_mov_b32_e32 v8, 0x800
	v_addc_co_u32_e32 v7, vcc, v7, v5, vcc
	v_lshl_add_u32 v14, v1, 6, v8
	v_mov_b32_e32 v4, s11
	v_add_co_u32_e32 v8, vcc, s10, v2
	v_lshlrev_b32_e32 v13, 3, v0
	v_addc_co_u32_e32 v9, vcc, v4, v3, vcc
	s_mov_b64 s[2:3], 0
	v_mov_b32_e32 v15, v10
	v_mov_b32_e32 v16, v10
	;; [unrolled: 1-line block ×7, first 2 shown]
.LBB1543_2:                             ; =>This Inner Loop Header: Depth=1
	flat_load_dwordx2 v[2:3], v[6:7]
	v_add_co_u32_e32 v6, vcc, 64, v6
	s_add_u32 s2, s2, 8
	v_addc_co_u32_e32 v7, vcc, 0, v7, vcc
	s_addc_u32 s3, s3, 0
	s_waitcnt vmcnt(0) lgkmcnt(0)
	ds_write_b64 v11, v[2:3]
	flat_load_dwordx2 v[2:3], v[8:9]
	v_add_co_u32_e32 v8, vcc, 64, v8
	v_addc_co_u32_e32 v9, vcc, 0, v9, vcc
	s_waitcnt vmcnt(0) lgkmcnt(0)
	ds_write_b64 v12, v[2:3]
	s_waitcnt lgkmcnt(0)
	s_barrier
	ds_read_b128 v[22:25], v14
	ds_read_b128 v[26:29], v14 offset:16
	ds_read_b128 v[30:33], v14 offset:32
	;; [unrolled: 1-line block ×3, first 2 shown]
	ds_read2_b64 v[34:37], v13 offset1:16
	s_waitcnt lgkmcnt(0)
	v_mul_f32_e32 v38, v23, v35
	v_mul_f32_e32 v39, v22, v35
	v_fma_f32 v38, v22, v34, -v38
	v_fmac_f32_e32 v39, v23, v34
	v_add_f32_e32 v38, v20, v38
	v_add_f32_e32 v39, v21, v39
	v_mul_f32_e32 v20, v23, v37
	v_mul_f32_e32 v21, v22, v37
	v_fma_f32 v20, v22, v36, -v20
	v_fmac_f32_e32 v21, v23, v36
	v_add_f32_e32 v22, v19, v20
	v_add_f32_e32 v23, v18, v21
	ds_read_b128 v[18:21], v14 offset:1024
	s_waitcnt lgkmcnt(0)
	v_mul_f32_e32 v40, v19, v35
	v_mul_f32_e32 v35, v18, v35
	v_fma_f32 v40, v18, v34, -v40
	v_fmac_f32_e32 v35, v19, v34
	v_add_f32_e32 v34, v17, v40
	v_add_f32_e32 v35, v16, v35
	v_mul_f32_e32 v16, v19, v37
	v_mul_f32_e32 v17, v18, v37
	v_fma_f32 v16, v18, v36, -v16
	v_fmac_f32_e32 v17, v19, v36
	v_add_f32_e32 v19, v15, v16
	v_add_f32_e32 v10, v10, v17
	ds_read2_b64 v[15:18], v13 offset0:32 offset1:48
	s_waitcnt lgkmcnt(0)
	v_mul_f32_e32 v36, v25, v16
	v_fma_f32 v36, v24, v15, -v36
	v_add_f32_e32 v36, v38, v36
	v_mul_f32_e32 v38, v25, v18
	v_mul_f32_e32 v37, v24, v16
	v_fma_f32 v38, v24, v17, -v38
	v_mul_f32_e32 v24, v24, v18
	v_fmac_f32_e32 v24, v25, v17
	v_add_f32_e32 v23, v23, v24
	v_mul_f32_e32 v24, v21, v16
	v_mul_f32_e32 v16, v20, v16
	v_fmac_f32_e32 v16, v21, v15
	v_fmac_f32_e32 v37, v25, v15
	v_fma_f32 v24, v20, v15, -v24
	v_add_f32_e32 v25, v35, v16
	v_mul_f32_e32 v15, v21, v18
	v_mul_f32_e32 v16, v20, v18
	v_fma_f32 v15, v20, v17, -v15
	v_fmac_f32_e32 v16, v21, v17
	v_add_f32_e32 v24, v34, v24
	v_add_f32_e32 v34, v19, v15
	;; [unrolled: 1-line block ×3, first 2 shown]
	ds_read2_b64 v[15:18], v13 offset0:64 offset1:80
	v_add_f32_e32 v37, v39, v37
	v_add_f32_e32 v22, v22, v38
	s_waitcnt lgkmcnt(0)
	v_mul_f32_e32 v19, v27, v16
	v_mul_f32_e32 v20, v26, v16
	v_fma_f32 v19, v26, v15, -v19
	v_fmac_f32_e32 v20, v27, v15
	v_add_f32_e32 v35, v36, v19
	v_add_f32_e32 v36, v37, v20
	v_mul_f32_e32 v19, v27, v18
	v_mul_f32_e32 v20, v26, v18
	v_fma_f32 v19, v26, v17, -v19
	v_fmac_f32_e32 v20, v27, v17
	v_add_f32_e32 v26, v22, v19
	v_add_f32_e32 v23, v23, v20
	ds_read_b128 v[19:22], v14 offset:1040
	s_waitcnt lgkmcnt(0)
	v_mul_f32_e32 v27, v20, v16
	v_mul_f32_e32 v16, v19, v16
	v_fmac_f32_e32 v16, v20, v15
	v_fma_f32 v27, v19, v15, -v27
	v_add_f32_e32 v25, v25, v16
	v_mul_f32_e32 v15, v20, v18
	v_mul_f32_e32 v16, v19, v18
	v_fma_f32 v15, v19, v17, -v15
	v_fmac_f32_e32 v16, v20, v17
	v_add_f32_e32 v19, v34, v15
	v_add_f32_e32 v10, v10, v16
	ds_read2_b64 v[15:18], v13 offset0:96 offset1:112
	v_add_f32_e32 v24, v24, v27
	s_waitcnt lgkmcnt(0)
	v_mul_f32_e32 v20, v29, v16
	v_mul_f32_e32 v34, v29, v18
	v_fma_f32 v20, v28, v15, -v20
	v_mul_f32_e32 v27, v28, v16
	v_fma_f32 v34, v28, v17, -v34
	v_mul_f32_e32 v28, v28, v18
	v_fmac_f32_e32 v28, v29, v17
	v_add_f32_e32 v23, v23, v28
	v_mul_f32_e32 v28, v22, v16
	v_mul_f32_e32 v16, v21, v16
	v_fmac_f32_e32 v16, v22, v15
	v_fmac_f32_e32 v27, v29, v15
	v_fma_f32 v28, v21, v15, -v28
	v_add_f32_e32 v25, v25, v16
	v_mul_f32_e32 v15, v22, v18
	v_mul_f32_e32 v16, v21, v18
	v_fma_f32 v15, v21, v17, -v15
	v_fmac_f32_e32 v16, v22, v17
	v_add_f32_e32 v24, v24, v28
	v_add_f32_e32 v28, v19, v15
	v_add_f32_e32 v10, v10, v16
	ds_read2_b64 v[15:18], v13 offset0:128 offset1:144
	v_add_f32_e32 v20, v35, v20
	v_add_f32_e32 v27, v36, v27
	;; [unrolled: 1-line block ×3, first 2 shown]
	s_waitcnt lgkmcnt(0)
	v_mul_f32_e32 v19, v31, v16
	v_fma_f32 v19, v30, v15, -v19
	v_mul_f32_e32 v21, v30, v16
	v_add_f32_e32 v29, v20, v19
	v_mul_f32_e32 v19, v31, v18
	v_mul_f32_e32 v20, v30, v18
	v_fmac_f32_e32 v21, v31, v15
	v_fma_f32 v19, v30, v17, -v19
	v_fmac_f32_e32 v20, v31, v17
	v_add_f32_e32 v27, v27, v21
	v_add_f32_e32 v26, v26, v19
	;; [unrolled: 1-line block ×3, first 2 shown]
	ds_read_b128 v[19:22], v14 offset:1056
	s_waitcnt lgkmcnt(0)
	v_mul_f32_e32 v30, v20, v16
	v_mul_f32_e32 v16, v19, v16
	v_fmac_f32_e32 v16, v20, v15
	v_fma_f32 v30, v19, v15, -v30
	v_add_f32_e32 v25, v25, v16
	v_mul_f32_e32 v15, v20, v18
	v_mul_f32_e32 v16, v19, v18
	v_fma_f32 v15, v19, v17, -v15
	v_fmac_f32_e32 v16, v20, v17
	v_add_f32_e32 v19, v28, v15
	v_add_f32_e32 v10, v10, v16
	ds_read2_b64 v[15:18], v13 offset0:160 offset1:176
	v_add_f32_e32 v24, v24, v30
	s_waitcnt lgkmcnt(0)
	v_mul_f32_e32 v28, v32, v16
	v_fmac_f32_e32 v28, v33, v15
	v_add_f32_e32 v27, v27, v28
	v_mul_f32_e32 v28, v33, v18
	v_fma_f32 v28, v32, v17, -v28
	v_mul_f32_e32 v20, v33, v16
	v_add_f32_e32 v26, v26, v28
	v_mul_f32_e32 v28, v22, v16
	v_mul_f32_e32 v16, v21, v16
	v_fmac_f32_e32 v16, v22, v15
	v_fma_f32 v20, v32, v15, -v20
	v_fma_f32 v28, v21, v15, -v28
	v_add_f32_e32 v25, v25, v16
	v_mul_f32_e32 v15, v22, v18
	v_mul_f32_e32 v16, v21, v18
	v_add_f32_e32 v20, v29, v20
	v_mul_f32_e32 v29, v32, v18
	v_fma_f32 v15, v21, v17, -v15
	v_fmac_f32_e32 v16, v22, v17
	v_fmac_f32_e32 v29, v33, v17
	v_add_f32_e32 v19, v19, v15
	v_add_f32_e32 v10, v10, v16
	ds_read2_b64 v[15:18], v13 offset0:192 offset1:208
	v_add_f32_e32 v24, v24, v28
	v_add_f32_e32 v23, v23, v29
	s_waitcnt lgkmcnt(0)
	v_mul_f32_e32 v21, v3, v16
	v_fma_f32 v21, v2, v15, -v21
	v_add_f32_e32 v28, v20, v21
	v_mul_f32_e32 v20, v3, v18
	v_mul_f32_e32 v22, v2, v16
	v_fma_f32 v20, v2, v17, -v20
	v_mul_f32_e32 v2, v2, v18
	v_fmac_f32_e32 v22, v3, v15
	v_fmac_f32_e32 v2, v3, v17
	v_add_f32_e32 v29, v27, v22
	v_add_f32_e32 v3, v26, v20
	v_add_f32_e32 v2, v23, v2
	ds_read_b128 v[20:23], v14 offset:1072
	s_waitcnt lgkmcnt(0)
	v_mul_f32_e32 v26, v21, v16
	v_fma_f32 v26, v20, v15, -v26
	v_mul_f32_e32 v16, v20, v16
	v_fmac_f32_e32 v16, v21, v15
	v_add_f32_e32 v15, v24, v26
	v_mul_f32_e32 v24, v21, v18
	v_fma_f32 v24, v20, v17, -v24
	v_add_f32_e32 v16, v25, v16
	v_add_f32_e32 v30, v19, v24
	ds_read2_b64 v[24:27], v13 offset0:224 offset1:240
	v_mul_f32_e32 v18, v20, v18
	v_fmac_f32_e32 v18, v21, v17
	v_add_f32_e32 v10, v10, v18
	s_waitcnt lgkmcnt(0)
	v_mul_f32_e32 v17, v5, v25
	v_fma_f32 v17, v4, v24, -v17
	v_add_f32_e32 v20, v28, v17
	v_mul_f32_e32 v17, v5, v27
	v_mul_f32_e32 v18, v4, v25
	v_fma_f32 v17, v4, v26, -v17
	v_mul_f32_e32 v4, v4, v27
	v_fmac_f32_e32 v18, v5, v24
	v_fmac_f32_e32 v4, v5, v26
	v_add_f32_e32 v21, v29, v18
	v_add_f32_e32 v19, v3, v17
	v_add_f32_e32 v18, v2, v4
	v_mul_f32_e32 v2, v23, v25
	v_mul_f32_e32 v3, v22, v25
	v_fma_f32 v2, v22, v24, -v2
	v_fmac_f32_e32 v3, v23, v24
	v_add_f32_e32 v17, v15, v2
	v_add_f32_e32 v16, v16, v3
	v_mul_f32_e32 v2, v23, v27
	v_mul_f32_e32 v3, v22, v27
	v_fma_f32 v2, v22, v26, -v2
	v_fmac_f32_e32 v3, v23, v26
	v_add_f32_e32 v15, v30, v2
	v_add_f32_e32 v10, v10, v3
	v_mov_b32_e32 v2, s2
	v_mov_b32_e32 v3, s3
	v_cmp_le_u64_e32 vcc, s[0:1], v[2:3]
	s_barrier
	s_cbranch_vccz .LBB1543_2
	s_branch .LBB1543_4
.LBB1543_3:
	v_mov_b32_e32 v20, 0
	v_mov_b32_e32 v21, 0
	;; [unrolled: 1-line block ×8, first 2 shown]
.LBB1543_4:
	v_add_u32_e32 v4, s7, v1
	v_ashrrev_i32_e32 v1, 31, v4
	v_mul_lo_u32 v3, s14, v1
	v_mul_lo_u32 v5, s15, v4
	v_mad_u64_u32 v[1:2], s[0:1], s14, v4, 0
	s_load_dword s4, s[4:5], 0x0
	v_add_u32_e32 v0, s6, v0
	v_add3_u32 v2, v2, v3, v5
	v_lshlrev_b64 v[1:2], 3, v[1:2]
	s_waitcnt lgkmcnt(0)
	v_mov_b32_e32 v3, s9
	v_add_co_u32_e32 v5, vcc, s8, v1
	v_addc_co_u32_e32 v6, vcc, v3, v2, vcc
	v_cmp_le_i32_e64 s[0:1], v4, v0
	v_cmp_gt_i32_e32 vcc, s4, v0
	s_and_b64 s[0:1], s[0:1], vcc
	s_and_saveexec_b64 s[2:3], s[0:1]
	s_cbranch_execz .LBB1543_6
; %bb.5:
	v_ashrrev_i32_e32 v1, 31, v0
	v_lshlrev_b64 v[1:2], 3, v[0:1]
	v_add_co_u32_e64 v1, s[0:1], v5, v1
	v_addc_co_u32_e64 v2, s[0:1], v6, v2, s[0:1]
	flat_load_dwordx2 v[7:8], v[1:2]
	s_waitcnt vmcnt(0) lgkmcnt(0)
	v_add_f32_e32 v7, v20, v7
	v_add_f32_e32 v8, v21, v8
	flat_store_dwordx2 v[1:2], v[7:8]
.LBB1543_6:
	s_or_b64 exec, exec, s[2:3]
	v_add_u32_e32 v2, 16, v0
	v_cmp_le_i32_e64 s[2:3], v4, v2
	v_cmp_gt_i32_e64 s[0:1], s4, v2
	s_and_b64 s[2:3], s[2:3], s[0:1]
	s_and_saveexec_b64 s[4:5], s[2:3]
	s_cbranch_execz .LBB1543_8
; %bb.7:
	v_ashrrev_i32_e32 v3, 31, v2
	v_lshlrev_b64 v[7:8], 3, v[2:3]
	v_add_co_u32_e64 v5, s[2:3], v5, v7
	v_addc_co_u32_e64 v6, s[2:3], v6, v8, s[2:3]
	flat_load_dwordx2 v[7:8], v[5:6]
	s_waitcnt vmcnt(0) lgkmcnt(0)
	v_add_f32_e32 v7, v19, v7
	v_add_f32_e32 v8, v18, v8
	flat_store_dwordx2 v[5:6], v[7:8]
.LBB1543_8:
	s_or_b64 exec, exec, s[4:5]
	v_add_u32_e32 v3, 16, v4
	v_ashrrev_i32_e32 v1, 31, v3
	v_mul_lo_u32 v6, s15, v3
	v_mad_u64_u32 v[4:5], s[2:3], s14, v3, 0
	v_mul_lo_u32 v1, s14, v1
	v_add3_u32 v5, v5, v1, v6
	v_lshlrev_b64 v[4:5], 3, v[4:5]
	v_mov_b32_e32 v1, s9
	v_add_co_u32_e64 v4, s[2:3], s8, v4
	v_addc_co_u32_e64 v5, s[2:3], v1, v5, s[2:3]
	v_cmp_le_i32_e64 s[2:3], v3, v0
	s_and_b64 s[4:5], s[2:3], vcc
	s_and_saveexec_b64 s[2:3], s[4:5]
	s_cbranch_execz .LBB1543_10
; %bb.9:
	v_ashrrev_i32_e32 v1, 31, v0
	v_lshlrev_b64 v[0:1], 3, v[0:1]
	v_add_co_u32_e32 v0, vcc, v4, v0
	v_addc_co_u32_e32 v1, vcc, v5, v1, vcc
	flat_load_dwordx2 v[6:7], v[0:1]
	s_waitcnt vmcnt(0) lgkmcnt(0)
	v_add_f32_e32 v6, v17, v6
	v_add_f32_e32 v7, v16, v7
	flat_store_dwordx2 v[0:1], v[6:7]
.LBB1543_10:
	s_or_b64 exec, exec, s[2:3]
	v_cmp_le_i32_e32 vcc, v3, v2
	s_and_b64 s[0:1], vcc, s[0:1]
	s_and_saveexec_b64 s[2:3], s[0:1]
	s_cbranch_execz .LBB1543_12
; %bb.11:
	v_ashrrev_i32_e32 v3, 31, v2
	v_lshlrev_b64 v[0:1], 3, v[2:3]
	v_add_co_u32_e32 v0, vcc, v4, v0
	v_addc_co_u32_e32 v1, vcc, v5, v1, vcc
	flat_load_dwordx2 v[2:3], v[0:1]
	s_waitcnt vmcnt(0) lgkmcnt(0)
	v_add_f32_e32 v2, v15, v2
	v_add_f32_e32 v3, v10, v3
	flat_store_dwordx2 v[0:1], v[2:3]
.LBB1543_12:
	s_endpgm
	.section	.rodata,"a",@progbits
	.p2align	6, 0x0
	.amdhsa_kernel _ZL37rocblas_syrkx_herkx_restricted_kernelIl19rocblas_complex_numIfELi16ELi32ELi8ELi1ELi1ELb0ELc67ELc76EKPKS1_KPS1_EviT_PT9_S7_lS9_S7_lPT10_S7_li
		.amdhsa_group_segment_fixed_size 4096
		.amdhsa_private_segment_fixed_size 0
		.amdhsa_kernarg_size 92
		.amdhsa_user_sgpr_count 6
		.amdhsa_user_sgpr_private_segment_buffer 1
		.amdhsa_user_sgpr_dispatch_ptr 0
		.amdhsa_user_sgpr_queue_ptr 0
		.amdhsa_user_sgpr_kernarg_segment_ptr 1
		.amdhsa_user_sgpr_dispatch_id 0
		.amdhsa_user_sgpr_flat_scratch_init 0
		.amdhsa_user_sgpr_private_segment_size 0
		.amdhsa_uses_dynamic_stack 0
		.amdhsa_system_sgpr_private_segment_wavefront_offset 0
		.amdhsa_system_sgpr_workgroup_id_x 1
		.amdhsa_system_sgpr_workgroup_id_y 1
		.amdhsa_system_sgpr_workgroup_id_z 1
		.amdhsa_system_sgpr_workgroup_info 0
		.amdhsa_system_vgpr_workitem_id 1
		.amdhsa_next_free_vgpr 41
		.amdhsa_next_free_sgpr 20
		.amdhsa_reserve_vcc 1
		.amdhsa_reserve_flat_scratch 0
		.amdhsa_float_round_mode_32 0
		.amdhsa_float_round_mode_16_64 0
		.amdhsa_float_denorm_mode_32 3
		.amdhsa_float_denorm_mode_16_64 3
		.amdhsa_dx10_clamp 1
		.amdhsa_ieee_mode 1
		.amdhsa_fp16_overflow 0
		.amdhsa_exception_fp_ieee_invalid_op 0
		.amdhsa_exception_fp_denorm_src 0
		.amdhsa_exception_fp_ieee_div_zero 0
		.amdhsa_exception_fp_ieee_overflow 0
		.amdhsa_exception_fp_ieee_underflow 0
		.amdhsa_exception_fp_ieee_inexact 0
		.amdhsa_exception_int_div_zero 0
	.end_amdhsa_kernel
	.section	.text._ZL37rocblas_syrkx_herkx_restricted_kernelIl19rocblas_complex_numIfELi16ELi32ELi8ELi1ELi1ELb0ELc67ELc76EKPKS1_KPS1_EviT_PT9_S7_lS9_S7_lPT10_S7_li,"axG",@progbits,_ZL37rocblas_syrkx_herkx_restricted_kernelIl19rocblas_complex_numIfELi16ELi32ELi8ELi1ELi1ELb0ELc67ELc76EKPKS1_KPS1_EviT_PT9_S7_lS9_S7_lPT10_S7_li,comdat
.Lfunc_end1543:
	.size	_ZL37rocblas_syrkx_herkx_restricted_kernelIl19rocblas_complex_numIfELi16ELi32ELi8ELi1ELi1ELb0ELc67ELc76EKPKS1_KPS1_EviT_PT9_S7_lS9_S7_lPT10_S7_li, .Lfunc_end1543-_ZL37rocblas_syrkx_herkx_restricted_kernelIl19rocblas_complex_numIfELi16ELi32ELi8ELi1ELi1ELb0ELc67ELc76EKPKS1_KPS1_EviT_PT9_S7_lS9_S7_lPT10_S7_li
                                        ; -- End function
	.set _ZL37rocblas_syrkx_herkx_restricted_kernelIl19rocblas_complex_numIfELi16ELi32ELi8ELi1ELi1ELb0ELc67ELc76EKPKS1_KPS1_EviT_PT9_S7_lS9_S7_lPT10_S7_li.num_vgpr, 41
	.set _ZL37rocblas_syrkx_herkx_restricted_kernelIl19rocblas_complex_numIfELi16ELi32ELi8ELi1ELi1ELb0ELc67ELc76EKPKS1_KPS1_EviT_PT9_S7_lS9_S7_lPT10_S7_li.num_agpr, 0
	.set _ZL37rocblas_syrkx_herkx_restricted_kernelIl19rocblas_complex_numIfELi16ELi32ELi8ELi1ELi1ELb0ELc67ELc76EKPKS1_KPS1_EviT_PT9_S7_lS9_S7_lPT10_S7_li.numbered_sgpr, 20
	.set _ZL37rocblas_syrkx_herkx_restricted_kernelIl19rocblas_complex_numIfELi16ELi32ELi8ELi1ELi1ELb0ELc67ELc76EKPKS1_KPS1_EviT_PT9_S7_lS9_S7_lPT10_S7_li.num_named_barrier, 0
	.set _ZL37rocblas_syrkx_herkx_restricted_kernelIl19rocblas_complex_numIfELi16ELi32ELi8ELi1ELi1ELb0ELc67ELc76EKPKS1_KPS1_EviT_PT9_S7_lS9_S7_lPT10_S7_li.private_seg_size, 0
	.set _ZL37rocblas_syrkx_herkx_restricted_kernelIl19rocblas_complex_numIfELi16ELi32ELi8ELi1ELi1ELb0ELc67ELc76EKPKS1_KPS1_EviT_PT9_S7_lS9_S7_lPT10_S7_li.uses_vcc, 1
	.set _ZL37rocblas_syrkx_herkx_restricted_kernelIl19rocblas_complex_numIfELi16ELi32ELi8ELi1ELi1ELb0ELc67ELc76EKPKS1_KPS1_EviT_PT9_S7_lS9_S7_lPT10_S7_li.uses_flat_scratch, 0
	.set _ZL37rocblas_syrkx_herkx_restricted_kernelIl19rocblas_complex_numIfELi16ELi32ELi8ELi1ELi1ELb0ELc67ELc76EKPKS1_KPS1_EviT_PT9_S7_lS9_S7_lPT10_S7_li.has_dyn_sized_stack, 0
	.set _ZL37rocblas_syrkx_herkx_restricted_kernelIl19rocblas_complex_numIfELi16ELi32ELi8ELi1ELi1ELb0ELc67ELc76EKPKS1_KPS1_EviT_PT9_S7_lS9_S7_lPT10_S7_li.has_recursion, 0
	.set _ZL37rocblas_syrkx_herkx_restricted_kernelIl19rocblas_complex_numIfELi16ELi32ELi8ELi1ELi1ELb0ELc67ELc76EKPKS1_KPS1_EviT_PT9_S7_lS9_S7_lPT10_S7_li.has_indirect_call, 0
	.section	.AMDGPU.csdata,"",@progbits
; Kernel info:
; codeLenInByte = 2020
; TotalNumSgprs: 24
; NumVgprs: 41
; ScratchSize: 0
; MemoryBound: 0
; FloatMode: 240
; IeeeMode: 1
; LDSByteSize: 4096 bytes/workgroup (compile time only)
; SGPRBlocks: 2
; VGPRBlocks: 10
; NumSGPRsForWavesPerEU: 24
; NumVGPRsForWavesPerEU: 41
; Occupancy: 5
; WaveLimiterHint : 1
; COMPUTE_PGM_RSRC2:SCRATCH_EN: 0
; COMPUTE_PGM_RSRC2:USER_SGPR: 6
; COMPUTE_PGM_RSRC2:TRAP_HANDLER: 0
; COMPUTE_PGM_RSRC2:TGID_X_EN: 1
; COMPUTE_PGM_RSRC2:TGID_Y_EN: 1
; COMPUTE_PGM_RSRC2:TGID_Z_EN: 1
; COMPUTE_PGM_RSRC2:TIDIG_COMP_CNT: 1
	.section	.text._ZL37rocblas_syrkx_herkx_restricted_kernelIl19rocblas_complex_numIfELi16ELi32ELi8ELi1ELi1ELb0ELc78ELc76EKPKS1_KPS1_EviT_PT9_S7_lS9_S7_lPT10_S7_li,"axG",@progbits,_ZL37rocblas_syrkx_herkx_restricted_kernelIl19rocblas_complex_numIfELi16ELi32ELi8ELi1ELi1ELb0ELc78ELc76EKPKS1_KPS1_EviT_PT9_S7_lS9_S7_lPT10_S7_li,comdat
	.globl	_ZL37rocblas_syrkx_herkx_restricted_kernelIl19rocblas_complex_numIfELi16ELi32ELi8ELi1ELi1ELb0ELc78ELc76EKPKS1_KPS1_EviT_PT9_S7_lS9_S7_lPT10_S7_li ; -- Begin function _ZL37rocblas_syrkx_herkx_restricted_kernelIl19rocblas_complex_numIfELi16ELi32ELi8ELi1ELi1ELb0ELc78ELc76EKPKS1_KPS1_EviT_PT9_S7_lS9_S7_lPT10_S7_li
	.p2align	8
	.type	_ZL37rocblas_syrkx_herkx_restricted_kernelIl19rocblas_complex_numIfELi16ELi32ELi8ELi1ELi1ELb0ELc78ELc76EKPKS1_KPS1_EviT_PT9_S7_lS9_S7_lPT10_S7_li,@function
_ZL37rocblas_syrkx_herkx_restricted_kernelIl19rocblas_complex_numIfELi16ELi32ELi8ELi1ELi1ELb0ELc78ELc76EKPKS1_KPS1_EviT_PT9_S7_lS9_S7_lPT10_S7_li: ; @_ZL37rocblas_syrkx_herkx_restricted_kernelIl19rocblas_complex_numIfELi16ELi32ELi8ELi1ELi1ELb0ELc78ELc76EKPKS1_KPS1_EviT_PT9_S7_lS9_S7_lPT10_S7_li
; %bb.0:
	s_load_dwordx4 s[12:15], s[4:5], 0x40
	s_load_dwordx4 s[0:3], s[4:5], 0x8
	s_mov_b32 s9, 0
	s_lshl_b64 s[16:17], s[8:9], 3
	s_waitcnt lgkmcnt(0)
	s_add_u32 s8, s12, s16
	s_addc_u32 s9, s13, s17
	s_load_dwordx2 s[12:13], s[8:9], 0x0
	v_cmp_lt_i64_e64 s[8:9], s[0:1], 1
	s_lshl_b32 s18, s6, 5
	s_lshl_b32 s19, s7, 5
	s_and_b64 vcc, exec, s[8:9]
	s_cbranch_vccnz .LBB1544_3
; %bb.1:
	s_load_dwordx2 s[6:7], s[4:5], 0x18
	s_load_dwordx4 s[8:11], s[4:5], 0x28
	v_lshl_add_u32 v5, v1, 4, v0
	v_lshrrev_b32_e32 v7, 3, v5
	v_add_u32_e32 v2, s19, v7
	v_and_b32_e32 v6, 7, v0
	v_ashrrev_i32_e32 v3, 31, v2
	s_waitcnt lgkmcnt(0)
	v_mad_u64_u32 v[2:3], s[20:21], s10, v6, v[2:3]
	s_add_u32 s2, s2, s16
	s_addc_u32 s3, s3, s17
	v_mad_u64_u32 v[3:4], s[20:21], s11, v6, v[3:4]
	v_and_b32_e32 v4, 31, v5
	v_lshrrev_b32_e32 v8, 5, v5
	v_lshlrev_b32_e32 v5, 3, v4
	v_add_u32_e32 v4, s18, v4
	s_add_u32 s8, s8, s16
	v_lshl_or_b32 v10, v8, 8, v5
	v_ashrrev_i32_e32 v5, 31, v4
	s_addc_u32 s9, s9, s17
	v_mad_u64_u32 v[4:5], s[16:17], s6, v8, v[4:5]
	v_lshlrev_b32_e32 v6, 3, v6
	v_lshl_or_b32 v6, v7, 6, v6
	v_add_u32_e32 v11, 0x800, v6
	v_mad_u64_u32 v[5:6], s[16:17], s7, v8, v[5:6]
	s_load_dwordx2 s[2:3], s[2:3], 0x0
	v_mov_b32_e32 v6, 0x800
	s_load_dwordx2 s[8:9], s[8:9], 0x0
	v_lshlrev_b64 v[4:5], 3, v[4:5]
	v_lshl_add_u32 v13, v1, 6, v6
	s_waitcnt lgkmcnt(0)
	v_mov_b32_e32 v7, s3
	v_add_co_u32_e32 v6, vcc, s2, v4
	v_lshlrev_b64 v[2:3], 3, v[2:3]
	v_addc_co_u32_e32 v7, vcc, v7, v5, vcc
	s_lshl_b64 s[2:3], s[6:7], 6
	v_mov_b32_e32 v4, s9
	v_add_co_u32_e32 v8, vcc, s8, v2
	s_lshl_b64 s[6:7], s[10:11], 6
	v_lshlrev_b32_e32 v12, 3, v0
	v_addc_co_u32_e32 v9, vcc, v4, v3, vcc
	v_mov_b32_e32 v16, 0
	s_mov_b64 s[8:9], 0
	v_mov_b32_e32 v14, s3
	v_mov_b32_e32 v15, s7
	;; [unrolled: 1-line block ×9, first 2 shown]
.LBB1544_2:                             ; =>This Inner Loop Header: Depth=1
	flat_load_dwordx2 v[2:3], v[6:7]
	v_add_co_u32_e32 v6, vcc, s2, v6
	s_add_u32 s8, s8, 8
	v_addc_co_u32_e32 v7, vcc, v7, v14, vcc
	s_addc_u32 s9, s9, 0
	s_waitcnt vmcnt(0) lgkmcnt(0)
	ds_write_b64 v10, v[2:3]
	flat_load_dwordx2 v[2:3], v[8:9]
	v_add_co_u32_e32 v8, vcc, s6, v8
	v_addc_co_u32_e32 v9, vcc, v9, v15, vcc
	s_waitcnt vmcnt(0) lgkmcnt(0)
	ds_write_b64 v11, v[2:3]
	s_waitcnt lgkmcnt(0)
	s_barrier
	ds_read_b128 v[24:27], v13
	ds_read_b128 v[28:31], v13 offset:16
	ds_read_b128 v[32:35], v13 offset:32
	ds_read_b128 v[2:5], v13 offset:48
	ds_read2_b64 v[36:39], v12 offset1:16
	s_waitcnt lgkmcnt(0)
	v_mul_f32_e32 v40, v25, v37
	v_mul_f32_e32 v41, v24, v37
	v_fma_f32 v40, v24, v36, -v40
	v_fmac_f32_e32 v41, v25, v36
	v_add_f32_e32 v40, v22, v40
	v_add_f32_e32 v41, v23, v41
	v_mul_f32_e32 v22, v25, v39
	v_mul_f32_e32 v23, v24, v39
	v_fma_f32 v22, v24, v38, -v22
	v_fmac_f32_e32 v23, v25, v38
	v_add_f32_e32 v24, v21, v22
	v_add_f32_e32 v25, v20, v23
	ds_read_b128 v[20:23], v13 offset:1024
	s_waitcnt lgkmcnt(0)
	v_mul_f32_e32 v42, v21, v37
	v_mul_f32_e32 v37, v20, v37
	v_fma_f32 v42, v20, v36, -v42
	v_fmac_f32_e32 v37, v21, v36
	v_add_f32_e32 v36, v19, v42
	v_add_f32_e32 v37, v18, v37
	v_mul_f32_e32 v18, v21, v39
	v_mul_f32_e32 v19, v20, v39
	v_fma_f32 v18, v20, v38, -v18
	v_fmac_f32_e32 v19, v21, v38
	v_add_f32_e32 v20, v17, v18
	v_add_f32_e32 v21, v16, v19
	ds_read2_b64 v[16:19], v12 offset0:32 offset1:48
	s_waitcnt lgkmcnt(0)
	v_mul_f32_e32 v38, v27, v17
	v_fma_f32 v38, v26, v16, -v38
	v_add_f32_e32 v38, v40, v38
	v_mul_f32_e32 v40, v27, v19
	v_mul_f32_e32 v39, v26, v17
	v_fma_f32 v40, v26, v18, -v40
	v_mul_f32_e32 v26, v26, v19
	v_fmac_f32_e32 v26, v27, v18
	v_add_f32_e32 v25, v25, v26
	v_mul_f32_e32 v26, v23, v17
	v_mul_f32_e32 v17, v22, v17
	v_fmac_f32_e32 v17, v23, v16
	v_fmac_f32_e32 v39, v27, v16
	v_fma_f32 v26, v22, v16, -v26
	v_add_f32_e32 v27, v37, v17
	v_mul_f32_e32 v16, v23, v19
	v_mul_f32_e32 v17, v22, v19
	v_fma_f32 v16, v22, v18, -v16
	v_fmac_f32_e32 v17, v23, v18
	v_add_f32_e32 v26, v36, v26
	v_add_f32_e32 v36, v20, v16
	;; [unrolled: 1-line block ×3, first 2 shown]
	ds_read2_b64 v[16:19], v12 offset0:64 offset1:80
	v_add_f32_e32 v39, v41, v39
	v_add_f32_e32 v24, v24, v40
	s_waitcnt lgkmcnt(0)
	v_mul_f32_e32 v20, v29, v17
	v_mul_f32_e32 v21, v28, v17
	v_fma_f32 v20, v28, v16, -v20
	v_fmac_f32_e32 v21, v29, v16
	v_add_f32_e32 v38, v38, v20
	v_add_f32_e32 v39, v39, v21
	v_mul_f32_e32 v20, v29, v19
	v_mul_f32_e32 v21, v28, v19
	v_fma_f32 v20, v28, v18, -v20
	v_fmac_f32_e32 v21, v29, v18
	v_add_f32_e32 v24, v24, v20
	v_add_f32_e32 v25, v25, v21
	ds_read_b128 v[20:23], v13 offset:1040
	s_waitcnt lgkmcnt(0)
	v_mul_f32_e32 v28, v21, v17
	v_mul_f32_e32 v17, v20, v17
	v_fmac_f32_e32 v17, v21, v16
	v_fma_f32 v28, v20, v16, -v28
	v_add_f32_e32 v27, v27, v17
	v_mul_f32_e32 v16, v21, v19
	v_mul_f32_e32 v17, v20, v19
	v_fma_f32 v16, v20, v18, -v16
	v_fmac_f32_e32 v17, v21, v18
	v_add_f32_e32 v20, v36, v16
	v_add_f32_e32 v21, v37, v17
	ds_read2_b64 v[16:19], v12 offset0:96 offset1:112
	v_add_f32_e32 v26, v26, v28
	s_waitcnt lgkmcnt(0)
	v_mul_f32_e32 v28, v31, v17
	v_mul_f32_e32 v36, v31, v19
	v_fma_f32 v28, v30, v16, -v28
	v_mul_f32_e32 v29, v30, v17
	v_fma_f32 v36, v30, v18, -v36
	v_mul_f32_e32 v30, v30, v19
	v_fmac_f32_e32 v30, v31, v18
	v_add_f32_e32 v25, v25, v30
	v_mul_f32_e32 v30, v23, v17
	v_mul_f32_e32 v17, v22, v17
	v_fmac_f32_e32 v17, v23, v16
	v_fmac_f32_e32 v29, v31, v16
	v_fma_f32 v30, v22, v16, -v30
	v_add_f32_e32 v27, v27, v17
	v_mul_f32_e32 v16, v23, v19
	v_mul_f32_e32 v17, v22, v19
	v_fma_f32 v16, v22, v18, -v16
	v_fmac_f32_e32 v17, v23, v18
	v_add_f32_e32 v26, v26, v30
	v_add_f32_e32 v30, v20, v16
	;; [unrolled: 1-line block ×3, first 2 shown]
	ds_read2_b64 v[16:19], v12 offset0:128 offset1:144
	v_add_f32_e32 v28, v38, v28
	v_add_f32_e32 v29, v39, v29
	;; [unrolled: 1-line block ×3, first 2 shown]
	s_waitcnt lgkmcnt(0)
	v_mul_f32_e32 v20, v33, v17
	v_mul_f32_e32 v21, v32, v17
	v_fma_f32 v20, v32, v16, -v20
	v_fmac_f32_e32 v21, v33, v16
	v_add_f32_e32 v28, v28, v20
	v_add_f32_e32 v29, v29, v21
	v_mul_f32_e32 v20, v33, v19
	v_mul_f32_e32 v21, v32, v19
	v_fma_f32 v20, v32, v18, -v20
	v_fmac_f32_e32 v21, v33, v18
	v_add_f32_e32 v24, v24, v20
	v_add_f32_e32 v25, v25, v21
	ds_read_b128 v[20:23], v13 offset:1056
	s_waitcnt lgkmcnt(0)
	v_mul_f32_e32 v32, v21, v17
	v_mul_f32_e32 v17, v20, v17
	v_fmac_f32_e32 v17, v21, v16
	v_fma_f32 v32, v20, v16, -v32
	v_add_f32_e32 v27, v27, v17
	v_mul_f32_e32 v16, v21, v19
	v_mul_f32_e32 v17, v20, v19
	v_fma_f32 v16, v20, v18, -v16
	v_fmac_f32_e32 v17, v21, v18
	v_add_f32_e32 v20, v30, v16
	v_add_f32_e32 v21, v31, v17
	ds_read2_b64 v[16:19], v12 offset0:160 offset1:176
	v_add_f32_e32 v26, v26, v32
	s_waitcnt lgkmcnt(0)
	v_mul_f32_e32 v30, v35, v17
	v_fma_f32 v30, v34, v16, -v30
	v_add_f32_e32 v28, v28, v30
	v_mul_f32_e32 v30, v35, v19
	v_fma_f32 v30, v34, v18, -v30
	v_mul_f32_e32 v31, v34, v17
	v_add_f32_e32 v24, v24, v30
	v_mul_f32_e32 v30, v23, v17
	v_mul_f32_e32 v17, v22, v17
	v_fmac_f32_e32 v17, v23, v16
	v_fmac_f32_e32 v31, v35, v16
	v_fma_f32 v30, v22, v16, -v30
	v_add_f32_e32 v27, v27, v17
	v_mul_f32_e32 v16, v23, v19
	v_mul_f32_e32 v17, v22, v19
	v_add_f32_e32 v29, v29, v31
	v_mul_f32_e32 v31, v34, v19
	v_fma_f32 v16, v22, v18, -v16
	v_fmac_f32_e32 v17, v23, v18
	v_fmac_f32_e32 v31, v35, v18
	v_add_f32_e32 v20, v20, v16
	v_add_f32_e32 v21, v21, v17
	ds_read2_b64 v[16:19], v12 offset0:192 offset1:208
	v_add_f32_e32 v26, v26, v30
	v_add_f32_e32 v25, v25, v31
	s_waitcnt lgkmcnt(0)
	v_mul_f32_e32 v22, v3, v17
	v_fma_f32 v22, v2, v16, -v22
	v_add_f32_e32 v30, v28, v22
	v_mul_f32_e32 v22, v3, v19
	v_mul_f32_e32 v23, v2, v17
	v_fma_f32 v22, v2, v18, -v22
	v_mul_f32_e32 v2, v2, v19
	v_fmac_f32_e32 v23, v3, v16
	v_fmac_f32_e32 v2, v3, v18
	v_add_f32_e32 v31, v29, v23
	v_add_f32_e32 v3, v24, v22
	;; [unrolled: 1-line block ×3, first 2 shown]
	ds_read_b128 v[22:25], v13 offset:1072
	s_waitcnt lgkmcnt(0)
	v_mul_f32_e32 v28, v23, v17
	v_fma_f32 v28, v22, v16, -v28
	v_mul_f32_e32 v17, v22, v17
	v_fmac_f32_e32 v17, v23, v16
	v_add_f32_e32 v16, v26, v28
	v_mul_f32_e32 v26, v23, v19
	v_fma_f32 v26, v22, v18, -v26
	v_add_f32_e32 v17, v27, v17
	v_add_f32_e32 v32, v20, v26
	ds_read2_b64 v[26:29], v12 offset0:224 offset1:240
	v_mul_f32_e32 v19, v22, v19
	v_fmac_f32_e32 v19, v23, v18
	v_add_f32_e32 v33, v21, v19
	s_waitcnt lgkmcnt(0)
	v_mul_f32_e32 v18, v5, v27
	v_fma_f32 v18, v4, v26, -v18
	v_add_f32_e32 v22, v30, v18
	v_mul_f32_e32 v18, v5, v29
	v_mul_f32_e32 v19, v4, v27
	v_fma_f32 v18, v4, v28, -v18
	v_mul_f32_e32 v4, v4, v29
	v_fmac_f32_e32 v4, v5, v28
	v_add_f32_e32 v21, v3, v18
	v_add_f32_e32 v20, v2, v4
	v_mul_f32_e32 v2, v25, v27
	v_mul_f32_e32 v3, v24, v27
	v_fmac_f32_e32 v19, v5, v26
	v_fma_f32 v2, v24, v26, -v2
	v_fmac_f32_e32 v3, v25, v26
	v_add_f32_e32 v23, v31, v19
	v_add_f32_e32 v19, v16, v2
	;; [unrolled: 1-line block ×3, first 2 shown]
	v_mul_f32_e32 v2, v25, v29
	v_mul_f32_e32 v3, v24, v29
	v_fma_f32 v2, v24, v28, -v2
	v_fmac_f32_e32 v3, v25, v28
	v_add_f32_e32 v17, v32, v2
	v_add_f32_e32 v16, v33, v3
	v_mov_b32_e32 v2, s8
	v_mov_b32_e32 v3, s9
	v_cmp_le_u64_e32 vcc, s[0:1], v[2:3]
	s_barrier
	s_cbranch_vccz .LBB1544_2
	s_branch .LBB1544_4
.LBB1544_3:
	v_mov_b32_e32 v22, 0
	v_mov_b32_e32 v23, 0
	;; [unrolled: 1-line block ×8, first 2 shown]
.LBB1544_4:
	v_add_u32_e32 v4, s19, v1
	v_ashrrev_i32_e32 v1, 31, v4
	v_mul_lo_u32 v3, s14, v1
	v_mul_lo_u32 v5, s15, v4
	v_mad_u64_u32 v[1:2], s[0:1], s14, v4, 0
	s_load_dword s4, s[4:5], 0x0
	v_add_u32_e32 v0, s18, v0
	v_add3_u32 v2, v2, v3, v5
	v_lshlrev_b64 v[1:2], 3, v[1:2]
	s_waitcnt lgkmcnt(0)
	v_mov_b32_e32 v3, s13
	v_add_co_u32_e32 v5, vcc, s12, v1
	v_addc_co_u32_e32 v6, vcc, v3, v2, vcc
	v_cmp_le_i32_e64 s[0:1], v4, v0
	v_cmp_gt_i32_e32 vcc, s4, v0
	s_and_b64 s[0:1], s[0:1], vcc
	s_and_saveexec_b64 s[2:3], s[0:1]
	s_cbranch_execz .LBB1544_6
; %bb.5:
	v_ashrrev_i32_e32 v1, 31, v0
	v_lshlrev_b64 v[1:2], 3, v[0:1]
	v_add_co_u32_e64 v1, s[0:1], v5, v1
	v_addc_co_u32_e64 v2, s[0:1], v6, v2, s[0:1]
	flat_load_dwordx2 v[7:8], v[1:2]
	s_waitcnt vmcnt(0) lgkmcnt(0)
	v_add_f32_e32 v7, v22, v7
	v_add_f32_e32 v8, v23, v8
	flat_store_dwordx2 v[1:2], v[7:8]
.LBB1544_6:
	s_or_b64 exec, exec, s[2:3]
	v_add_u32_e32 v2, 16, v0
	v_cmp_le_i32_e64 s[2:3], v4, v2
	v_cmp_gt_i32_e64 s[0:1], s4, v2
	s_and_b64 s[2:3], s[2:3], s[0:1]
	s_and_saveexec_b64 s[4:5], s[2:3]
	s_cbranch_execz .LBB1544_8
; %bb.7:
	v_ashrrev_i32_e32 v3, 31, v2
	v_lshlrev_b64 v[7:8], 3, v[2:3]
	v_add_co_u32_e64 v5, s[2:3], v5, v7
	v_addc_co_u32_e64 v6, s[2:3], v6, v8, s[2:3]
	flat_load_dwordx2 v[7:8], v[5:6]
	s_waitcnt vmcnt(0) lgkmcnt(0)
	v_add_f32_e32 v7, v21, v7
	v_add_f32_e32 v8, v20, v8
	flat_store_dwordx2 v[5:6], v[7:8]
.LBB1544_8:
	s_or_b64 exec, exec, s[4:5]
	v_add_u32_e32 v3, 16, v4
	v_ashrrev_i32_e32 v1, 31, v3
	v_mul_lo_u32 v6, s15, v3
	v_mad_u64_u32 v[4:5], s[2:3], s14, v3, 0
	v_mul_lo_u32 v1, s14, v1
	v_add3_u32 v5, v5, v1, v6
	v_lshlrev_b64 v[4:5], 3, v[4:5]
	v_mov_b32_e32 v1, s13
	v_add_co_u32_e64 v4, s[2:3], s12, v4
	v_addc_co_u32_e64 v5, s[2:3], v1, v5, s[2:3]
	v_cmp_le_i32_e64 s[2:3], v3, v0
	s_and_b64 s[4:5], s[2:3], vcc
	s_and_saveexec_b64 s[2:3], s[4:5]
	s_cbranch_execz .LBB1544_10
; %bb.9:
	v_ashrrev_i32_e32 v1, 31, v0
	v_lshlrev_b64 v[0:1], 3, v[0:1]
	v_add_co_u32_e32 v0, vcc, v4, v0
	v_addc_co_u32_e32 v1, vcc, v5, v1, vcc
	flat_load_dwordx2 v[6:7], v[0:1]
	s_waitcnt vmcnt(0) lgkmcnt(0)
	v_add_f32_e32 v6, v19, v6
	v_add_f32_e32 v7, v18, v7
	flat_store_dwordx2 v[0:1], v[6:7]
.LBB1544_10:
	s_or_b64 exec, exec, s[2:3]
	v_cmp_le_i32_e32 vcc, v3, v2
	s_and_b64 s[0:1], vcc, s[0:1]
	s_and_saveexec_b64 s[2:3], s[0:1]
	s_cbranch_execz .LBB1544_12
; %bb.11:
	v_ashrrev_i32_e32 v3, 31, v2
	v_lshlrev_b64 v[0:1], 3, v[2:3]
	v_add_co_u32_e32 v0, vcc, v4, v0
	v_addc_co_u32_e32 v1, vcc, v5, v1, vcc
	flat_load_dwordx2 v[2:3], v[0:1]
	s_waitcnt vmcnt(0) lgkmcnt(0)
	v_add_f32_e32 v2, v17, v2
	v_add_f32_e32 v3, v16, v3
	flat_store_dwordx2 v[0:1], v[2:3]
.LBB1544_12:
	s_endpgm
	.section	.rodata,"a",@progbits
	.p2align	6, 0x0
	.amdhsa_kernel _ZL37rocblas_syrkx_herkx_restricted_kernelIl19rocblas_complex_numIfELi16ELi32ELi8ELi1ELi1ELb0ELc78ELc76EKPKS1_KPS1_EviT_PT9_S7_lS9_S7_lPT10_S7_li
		.amdhsa_group_segment_fixed_size 4096
		.amdhsa_private_segment_fixed_size 0
		.amdhsa_kernarg_size 92
		.amdhsa_user_sgpr_count 6
		.amdhsa_user_sgpr_private_segment_buffer 1
		.amdhsa_user_sgpr_dispatch_ptr 0
		.amdhsa_user_sgpr_queue_ptr 0
		.amdhsa_user_sgpr_kernarg_segment_ptr 1
		.amdhsa_user_sgpr_dispatch_id 0
		.amdhsa_user_sgpr_flat_scratch_init 0
		.amdhsa_user_sgpr_private_segment_size 0
		.amdhsa_uses_dynamic_stack 0
		.amdhsa_system_sgpr_private_segment_wavefront_offset 0
		.amdhsa_system_sgpr_workgroup_id_x 1
		.amdhsa_system_sgpr_workgroup_id_y 1
		.amdhsa_system_sgpr_workgroup_id_z 1
		.amdhsa_system_sgpr_workgroup_info 0
		.amdhsa_system_vgpr_workitem_id 1
		.amdhsa_next_free_vgpr 43
		.amdhsa_next_free_sgpr 22
		.amdhsa_reserve_vcc 1
		.amdhsa_reserve_flat_scratch 0
		.amdhsa_float_round_mode_32 0
		.amdhsa_float_round_mode_16_64 0
		.amdhsa_float_denorm_mode_32 3
		.amdhsa_float_denorm_mode_16_64 3
		.amdhsa_dx10_clamp 1
		.amdhsa_ieee_mode 1
		.amdhsa_fp16_overflow 0
		.amdhsa_exception_fp_ieee_invalid_op 0
		.amdhsa_exception_fp_denorm_src 0
		.amdhsa_exception_fp_ieee_div_zero 0
		.amdhsa_exception_fp_ieee_overflow 0
		.amdhsa_exception_fp_ieee_underflow 0
		.amdhsa_exception_fp_ieee_inexact 0
		.amdhsa_exception_int_div_zero 0
	.end_amdhsa_kernel
	.section	.text._ZL37rocblas_syrkx_herkx_restricted_kernelIl19rocblas_complex_numIfELi16ELi32ELi8ELi1ELi1ELb0ELc78ELc76EKPKS1_KPS1_EviT_PT9_S7_lS9_S7_lPT10_S7_li,"axG",@progbits,_ZL37rocblas_syrkx_herkx_restricted_kernelIl19rocblas_complex_numIfELi16ELi32ELi8ELi1ELi1ELb0ELc78ELc76EKPKS1_KPS1_EviT_PT9_S7_lS9_S7_lPT10_S7_li,comdat
.Lfunc_end1544:
	.size	_ZL37rocblas_syrkx_herkx_restricted_kernelIl19rocblas_complex_numIfELi16ELi32ELi8ELi1ELi1ELb0ELc78ELc76EKPKS1_KPS1_EviT_PT9_S7_lS9_S7_lPT10_S7_li, .Lfunc_end1544-_ZL37rocblas_syrkx_herkx_restricted_kernelIl19rocblas_complex_numIfELi16ELi32ELi8ELi1ELi1ELb0ELc78ELc76EKPKS1_KPS1_EviT_PT9_S7_lS9_S7_lPT10_S7_li
                                        ; -- End function
	.set _ZL37rocblas_syrkx_herkx_restricted_kernelIl19rocblas_complex_numIfELi16ELi32ELi8ELi1ELi1ELb0ELc78ELc76EKPKS1_KPS1_EviT_PT9_S7_lS9_S7_lPT10_S7_li.num_vgpr, 43
	.set _ZL37rocblas_syrkx_herkx_restricted_kernelIl19rocblas_complex_numIfELi16ELi32ELi8ELi1ELi1ELb0ELc78ELc76EKPKS1_KPS1_EviT_PT9_S7_lS9_S7_lPT10_S7_li.num_agpr, 0
	.set _ZL37rocblas_syrkx_herkx_restricted_kernelIl19rocblas_complex_numIfELi16ELi32ELi8ELi1ELi1ELb0ELc78ELc76EKPKS1_KPS1_EviT_PT9_S7_lS9_S7_lPT10_S7_li.numbered_sgpr, 22
	.set _ZL37rocblas_syrkx_herkx_restricted_kernelIl19rocblas_complex_numIfELi16ELi32ELi8ELi1ELi1ELb0ELc78ELc76EKPKS1_KPS1_EviT_PT9_S7_lS9_S7_lPT10_S7_li.num_named_barrier, 0
	.set _ZL37rocblas_syrkx_herkx_restricted_kernelIl19rocblas_complex_numIfELi16ELi32ELi8ELi1ELi1ELb0ELc78ELc76EKPKS1_KPS1_EviT_PT9_S7_lS9_S7_lPT10_S7_li.private_seg_size, 0
	.set _ZL37rocblas_syrkx_herkx_restricted_kernelIl19rocblas_complex_numIfELi16ELi32ELi8ELi1ELi1ELb0ELc78ELc76EKPKS1_KPS1_EviT_PT9_S7_lS9_S7_lPT10_S7_li.uses_vcc, 1
	.set _ZL37rocblas_syrkx_herkx_restricted_kernelIl19rocblas_complex_numIfELi16ELi32ELi8ELi1ELi1ELb0ELc78ELc76EKPKS1_KPS1_EviT_PT9_S7_lS9_S7_lPT10_S7_li.uses_flat_scratch, 0
	.set _ZL37rocblas_syrkx_herkx_restricted_kernelIl19rocblas_complex_numIfELi16ELi32ELi8ELi1ELi1ELb0ELc78ELc76EKPKS1_KPS1_EviT_PT9_S7_lS9_S7_lPT10_S7_li.has_dyn_sized_stack, 0
	.set _ZL37rocblas_syrkx_herkx_restricted_kernelIl19rocblas_complex_numIfELi16ELi32ELi8ELi1ELi1ELb0ELc78ELc76EKPKS1_KPS1_EviT_PT9_S7_lS9_S7_lPT10_S7_li.has_recursion, 0
	.set _ZL37rocblas_syrkx_herkx_restricted_kernelIl19rocblas_complex_numIfELi16ELi32ELi8ELi1ELi1ELb0ELc78ELc76EKPKS1_KPS1_EviT_PT9_S7_lS9_S7_lPT10_S7_li.has_indirect_call, 0
	.section	.AMDGPU.csdata,"",@progbits
; Kernel info:
; codeLenInByte = 2000
; TotalNumSgprs: 26
; NumVgprs: 43
; ScratchSize: 0
; MemoryBound: 0
; FloatMode: 240
; IeeeMode: 1
; LDSByteSize: 4096 bytes/workgroup (compile time only)
; SGPRBlocks: 3
; VGPRBlocks: 10
; NumSGPRsForWavesPerEU: 26
; NumVGPRsForWavesPerEU: 43
; Occupancy: 5
; WaveLimiterHint : 1
; COMPUTE_PGM_RSRC2:SCRATCH_EN: 0
; COMPUTE_PGM_RSRC2:USER_SGPR: 6
; COMPUTE_PGM_RSRC2:TRAP_HANDLER: 0
; COMPUTE_PGM_RSRC2:TGID_X_EN: 1
; COMPUTE_PGM_RSRC2:TGID_Y_EN: 1
; COMPUTE_PGM_RSRC2:TGID_Z_EN: 1
; COMPUTE_PGM_RSRC2:TIDIG_COMP_CNT: 1
	.section	.text._ZL37rocblas_syrkx_herkx_restricted_kernelIl19rocblas_complex_numIfELi16ELi32ELi8ELi1ELi1ELb0ELc84ELc85EKPKS1_KPS1_EviT_PT9_S7_lS9_S7_lPT10_S7_li,"axG",@progbits,_ZL37rocblas_syrkx_herkx_restricted_kernelIl19rocblas_complex_numIfELi16ELi32ELi8ELi1ELi1ELb0ELc84ELc85EKPKS1_KPS1_EviT_PT9_S7_lS9_S7_lPT10_S7_li,comdat
	.globl	_ZL37rocblas_syrkx_herkx_restricted_kernelIl19rocblas_complex_numIfELi16ELi32ELi8ELi1ELi1ELb0ELc84ELc85EKPKS1_KPS1_EviT_PT9_S7_lS9_S7_lPT10_S7_li ; -- Begin function _ZL37rocblas_syrkx_herkx_restricted_kernelIl19rocblas_complex_numIfELi16ELi32ELi8ELi1ELi1ELb0ELc84ELc85EKPKS1_KPS1_EviT_PT9_S7_lS9_S7_lPT10_S7_li
	.p2align	8
	.type	_ZL37rocblas_syrkx_herkx_restricted_kernelIl19rocblas_complex_numIfELi16ELi32ELi8ELi1ELi1ELb0ELc84ELc85EKPKS1_KPS1_EviT_PT9_S7_lS9_S7_lPT10_S7_li,@function
_ZL37rocblas_syrkx_herkx_restricted_kernelIl19rocblas_complex_numIfELi16ELi32ELi8ELi1ELi1ELb0ELc84ELc85EKPKS1_KPS1_EviT_PT9_S7_lS9_S7_lPT10_S7_li: ; @_ZL37rocblas_syrkx_herkx_restricted_kernelIl19rocblas_complex_numIfELi16ELi32ELi8ELi1ELi1ELb0ELc84ELc85EKPKS1_KPS1_EviT_PT9_S7_lS9_S7_lPT10_S7_li
; %bb.0:
	s_load_dwordx4 s[0:3], s[4:5], 0x40
	s_load_dwordx4 s[12:15], s[4:5], 0x8
	s_mov_b32 s9, 0
	s_lshl_b64 s[10:11], s[8:9], 3
	s_waitcnt lgkmcnt(0)
	s_add_u32 s0, s0, s10
	s_addc_u32 s1, s1, s11
	s_load_dwordx2 s[8:9], s[0:1], 0x0
	v_cmp_lt_i64_e64 s[0:1], s[12:13], 1
	s_lshl_b32 s6, s6, 5
	s_lshl_b32 s7, s7, 5
	s_and_b64 vcc, exec, s[0:1]
	s_cbranch_vccnz .LBB1545_3
; %bb.1:
	s_load_dwordx2 s[0:1], s[4:5], 0x18
	s_load_dwordx4 s[16:19], s[4:5], 0x28
	v_lshl_add_u32 v4, v1, 4, v0
	v_lshrrev_b32_e32 v6, 3, v4
	v_add_u32_e32 v2, s7, v6
	v_ashrrev_i32_e32 v3, 31, v2
	v_and_b32_e32 v9, 7, v0
	v_mov_b32_e32 v10, 0
	s_waitcnt lgkmcnt(0)
	v_mul_lo_u32 v5, s18, v3
	v_mul_lo_u32 v7, s19, v2
	v_mad_u64_u32 v[2:3], s[18:19], s18, v2, v[9:10]
	s_add_u32 s14, s14, s10
	s_addc_u32 s15, s15, s11
	v_add3_u32 v3, v7, v3, v5
	v_and_b32_e32 v7, 31, v4
	v_lshrrev_b32_e32 v4, 5, v4
	v_lshlrev_b32_e32 v8, 3, v7
	v_lshl_or_b32 v11, v4, 8, v8
	v_lshlrev_b32_e32 v8, 3, v9
	v_lshl_or_b32 v6, v6, 6, v8
	v_add_u32_e32 v12, 0x800, v6
	v_add_u32_e32 v6, s6, v7
	s_add_u32 s10, s16, s10
	v_mov_b32_e32 v5, v10
	v_ashrrev_i32_e32 v7, 31, v6
	s_addc_u32 s11, s17, s11
	v_mul_lo_u32 v7, s0, v7
	v_mad_u64_u32 v[4:5], s[16:17], s0, v6, v[4:5]
	v_mul_lo_u32 v6, s1, v6
	s_load_dwordx2 s[14:15], s[14:15], 0x0
	v_lshlrev_b64 v[2:3], 3, v[2:3]
	s_load_dwordx2 s[10:11], s[10:11], 0x0
	v_add3_u32 v5, v6, v5, v7
	v_lshlrev_b64 v[4:5], 3, v[4:5]
	s_waitcnt lgkmcnt(0)
	v_mov_b32_e32 v7, s15
	v_add_co_u32_e32 v6, vcc, s14, v4
	v_mov_b32_e32 v8, 0x800
	v_addc_co_u32_e32 v7, vcc, v7, v5, vcc
	v_lshl_add_u32 v14, v1, 6, v8
	v_mov_b32_e32 v4, s11
	v_add_co_u32_e32 v8, vcc, s10, v2
	v_lshlrev_b32_e32 v13, 3, v0
	v_addc_co_u32_e32 v9, vcc, v4, v3, vcc
	s_mov_b64 s[0:1], 0
	v_mov_b32_e32 v15, v10
	v_mov_b32_e32 v16, v10
	;; [unrolled: 1-line block ×7, first 2 shown]
.LBB1545_2:                             ; =>This Inner Loop Header: Depth=1
	flat_load_dwordx2 v[2:3], v[6:7]
	s_add_u32 s0, s0, 8
	v_add_co_u32_e32 v6, vcc, 64, v6
	s_addc_u32 s1, s1, 0
	v_addc_co_u32_e32 v7, vcc, 0, v7, vcc
	s_waitcnt vmcnt(0) lgkmcnt(0)
	ds_write_b64 v11, v[2:3]
	flat_load_dwordx2 v[2:3], v[8:9]
	v_add_co_u32_e32 v8, vcc, 64, v8
	v_addc_co_u32_e32 v9, vcc, 0, v9, vcc
	s_waitcnt vmcnt(0) lgkmcnt(0)
	ds_write_b64 v12, v[2:3]
	s_waitcnt lgkmcnt(0)
	s_barrier
	ds_read_b128 v[22:25], v14
	ds_read_b128 v[26:29], v14 offset:16
	ds_read_b128 v[30:33], v14 offset:32
	;; [unrolled: 1-line block ×3, first 2 shown]
	ds_read2_b64 v[34:37], v13 offset1:16
	s_waitcnt lgkmcnt(0)
	v_mul_f32_e32 v38, v23, v35
	v_mul_f32_e32 v39, v22, v35
	v_fma_f32 v38, v22, v34, -v38
	v_fmac_f32_e32 v39, v23, v34
	v_add_f32_e32 v38, v20, v38
	v_add_f32_e32 v39, v21, v39
	v_mul_f32_e32 v20, v23, v37
	v_mul_f32_e32 v21, v22, v37
	v_fma_f32 v20, v22, v36, -v20
	v_fmac_f32_e32 v21, v23, v36
	v_add_f32_e32 v22, v19, v20
	v_add_f32_e32 v23, v18, v21
	ds_read_b128 v[18:21], v14 offset:1024
	s_waitcnt lgkmcnt(0)
	v_mul_f32_e32 v40, v19, v35
	v_mul_f32_e32 v35, v18, v35
	v_fma_f32 v40, v18, v34, -v40
	v_fmac_f32_e32 v35, v19, v34
	v_add_f32_e32 v34, v17, v40
	v_add_f32_e32 v35, v16, v35
	v_mul_f32_e32 v16, v19, v37
	v_mul_f32_e32 v17, v18, v37
	v_fma_f32 v16, v18, v36, -v16
	v_fmac_f32_e32 v17, v19, v36
	v_add_f32_e32 v19, v15, v16
	v_add_f32_e32 v10, v10, v17
	ds_read2_b64 v[15:18], v13 offset0:32 offset1:48
	s_waitcnt lgkmcnt(0)
	v_mul_f32_e32 v36, v25, v16
	v_fma_f32 v36, v24, v15, -v36
	v_add_f32_e32 v36, v38, v36
	v_mul_f32_e32 v38, v25, v18
	v_mul_f32_e32 v37, v24, v16
	v_fma_f32 v38, v24, v17, -v38
	v_mul_f32_e32 v24, v24, v18
	v_fmac_f32_e32 v24, v25, v17
	v_add_f32_e32 v23, v23, v24
	v_mul_f32_e32 v24, v21, v16
	v_mul_f32_e32 v16, v20, v16
	v_fmac_f32_e32 v16, v21, v15
	v_fmac_f32_e32 v37, v25, v15
	v_fma_f32 v24, v20, v15, -v24
	v_add_f32_e32 v25, v35, v16
	v_mul_f32_e32 v15, v21, v18
	v_mul_f32_e32 v16, v20, v18
	v_fma_f32 v15, v20, v17, -v15
	v_fmac_f32_e32 v16, v21, v17
	v_add_f32_e32 v24, v34, v24
	v_add_f32_e32 v34, v19, v15
	;; [unrolled: 1-line block ×3, first 2 shown]
	ds_read2_b64 v[15:18], v13 offset0:64 offset1:80
	v_add_f32_e32 v37, v39, v37
	v_add_f32_e32 v22, v22, v38
	s_waitcnt lgkmcnt(0)
	v_mul_f32_e32 v19, v27, v16
	v_mul_f32_e32 v20, v26, v16
	v_fma_f32 v19, v26, v15, -v19
	v_fmac_f32_e32 v20, v27, v15
	v_add_f32_e32 v35, v36, v19
	v_add_f32_e32 v36, v37, v20
	v_mul_f32_e32 v19, v27, v18
	v_mul_f32_e32 v20, v26, v18
	v_fma_f32 v19, v26, v17, -v19
	v_fmac_f32_e32 v20, v27, v17
	v_add_f32_e32 v26, v22, v19
	v_add_f32_e32 v23, v23, v20
	ds_read_b128 v[19:22], v14 offset:1040
	s_waitcnt lgkmcnt(0)
	v_mul_f32_e32 v27, v20, v16
	v_mul_f32_e32 v16, v19, v16
	v_fmac_f32_e32 v16, v20, v15
	v_fma_f32 v27, v19, v15, -v27
	v_add_f32_e32 v25, v25, v16
	v_mul_f32_e32 v15, v20, v18
	v_mul_f32_e32 v16, v19, v18
	v_fma_f32 v15, v19, v17, -v15
	v_fmac_f32_e32 v16, v20, v17
	v_add_f32_e32 v19, v34, v15
	v_add_f32_e32 v10, v10, v16
	ds_read2_b64 v[15:18], v13 offset0:96 offset1:112
	v_add_f32_e32 v24, v24, v27
	s_waitcnt lgkmcnt(0)
	v_mul_f32_e32 v20, v29, v16
	v_mul_f32_e32 v34, v29, v18
	v_fma_f32 v20, v28, v15, -v20
	v_mul_f32_e32 v27, v28, v16
	v_fma_f32 v34, v28, v17, -v34
	v_mul_f32_e32 v28, v28, v18
	v_fmac_f32_e32 v28, v29, v17
	v_add_f32_e32 v23, v23, v28
	v_mul_f32_e32 v28, v22, v16
	v_mul_f32_e32 v16, v21, v16
	v_fmac_f32_e32 v16, v22, v15
	v_fmac_f32_e32 v27, v29, v15
	v_fma_f32 v28, v21, v15, -v28
	v_add_f32_e32 v25, v25, v16
	v_mul_f32_e32 v15, v22, v18
	v_mul_f32_e32 v16, v21, v18
	v_fma_f32 v15, v21, v17, -v15
	v_fmac_f32_e32 v16, v22, v17
	v_add_f32_e32 v24, v24, v28
	v_add_f32_e32 v28, v19, v15
	;; [unrolled: 1-line block ×3, first 2 shown]
	ds_read2_b64 v[15:18], v13 offset0:128 offset1:144
	v_add_f32_e32 v20, v35, v20
	v_add_f32_e32 v27, v36, v27
	;; [unrolled: 1-line block ×3, first 2 shown]
	s_waitcnt lgkmcnt(0)
	v_mul_f32_e32 v19, v31, v16
	v_fma_f32 v19, v30, v15, -v19
	v_mul_f32_e32 v21, v30, v16
	v_add_f32_e32 v29, v20, v19
	v_mul_f32_e32 v19, v31, v18
	v_mul_f32_e32 v20, v30, v18
	v_fmac_f32_e32 v21, v31, v15
	v_fma_f32 v19, v30, v17, -v19
	v_fmac_f32_e32 v20, v31, v17
	v_add_f32_e32 v27, v27, v21
	v_add_f32_e32 v26, v26, v19
	;; [unrolled: 1-line block ×3, first 2 shown]
	ds_read_b128 v[19:22], v14 offset:1056
	s_waitcnt lgkmcnt(0)
	v_mul_f32_e32 v30, v20, v16
	v_mul_f32_e32 v16, v19, v16
	v_fmac_f32_e32 v16, v20, v15
	v_fma_f32 v30, v19, v15, -v30
	v_add_f32_e32 v25, v25, v16
	v_mul_f32_e32 v15, v20, v18
	v_mul_f32_e32 v16, v19, v18
	v_fma_f32 v15, v19, v17, -v15
	v_fmac_f32_e32 v16, v20, v17
	v_add_f32_e32 v19, v28, v15
	v_add_f32_e32 v10, v10, v16
	ds_read2_b64 v[15:18], v13 offset0:160 offset1:176
	v_add_f32_e32 v24, v24, v30
	s_waitcnt lgkmcnt(0)
	v_mul_f32_e32 v28, v32, v16
	v_fmac_f32_e32 v28, v33, v15
	v_add_f32_e32 v27, v27, v28
	v_mul_f32_e32 v28, v33, v18
	v_fma_f32 v28, v32, v17, -v28
	v_mul_f32_e32 v20, v33, v16
	v_add_f32_e32 v26, v26, v28
	v_mul_f32_e32 v28, v22, v16
	v_mul_f32_e32 v16, v21, v16
	v_fmac_f32_e32 v16, v22, v15
	v_fma_f32 v20, v32, v15, -v20
	v_fma_f32 v28, v21, v15, -v28
	v_add_f32_e32 v25, v25, v16
	v_mul_f32_e32 v15, v22, v18
	v_mul_f32_e32 v16, v21, v18
	v_add_f32_e32 v20, v29, v20
	v_mul_f32_e32 v29, v32, v18
	v_fma_f32 v15, v21, v17, -v15
	v_fmac_f32_e32 v16, v22, v17
	v_fmac_f32_e32 v29, v33, v17
	v_add_f32_e32 v19, v19, v15
	v_add_f32_e32 v10, v10, v16
	ds_read2_b64 v[15:18], v13 offset0:192 offset1:208
	v_add_f32_e32 v24, v24, v28
	v_add_f32_e32 v23, v23, v29
	s_waitcnt lgkmcnt(0)
	v_mul_f32_e32 v21, v3, v16
	v_fma_f32 v21, v2, v15, -v21
	v_add_f32_e32 v28, v20, v21
	v_mul_f32_e32 v20, v3, v18
	v_mul_f32_e32 v22, v2, v16
	v_fma_f32 v20, v2, v17, -v20
	v_mul_f32_e32 v2, v2, v18
	v_fmac_f32_e32 v22, v3, v15
	v_fmac_f32_e32 v2, v3, v17
	v_add_f32_e32 v29, v27, v22
	v_add_f32_e32 v3, v26, v20
	;; [unrolled: 1-line block ×3, first 2 shown]
	ds_read_b128 v[20:23], v14 offset:1072
	s_waitcnt lgkmcnt(0)
	v_mul_f32_e32 v26, v21, v16
	v_fma_f32 v26, v20, v15, -v26
	v_mul_f32_e32 v16, v20, v16
	v_fmac_f32_e32 v16, v21, v15
	v_add_f32_e32 v15, v24, v26
	v_mul_f32_e32 v24, v21, v18
	v_fma_f32 v24, v20, v17, -v24
	v_add_f32_e32 v16, v25, v16
	v_add_f32_e32 v30, v19, v24
	ds_read2_b64 v[24:27], v13 offset0:224 offset1:240
	v_mul_f32_e32 v18, v20, v18
	v_fmac_f32_e32 v18, v21, v17
	v_add_f32_e32 v10, v10, v18
	s_waitcnt lgkmcnt(0)
	v_mul_f32_e32 v17, v5, v25
	v_fma_f32 v17, v4, v24, -v17
	v_add_f32_e32 v20, v28, v17
	v_mul_f32_e32 v17, v5, v27
	v_mul_f32_e32 v18, v4, v25
	v_fma_f32 v17, v4, v26, -v17
	v_mul_f32_e32 v4, v4, v27
	v_fmac_f32_e32 v18, v5, v24
	v_fmac_f32_e32 v4, v5, v26
	v_add_f32_e32 v21, v29, v18
	v_add_f32_e32 v19, v3, v17
	;; [unrolled: 1-line block ×3, first 2 shown]
	v_mul_f32_e32 v2, v23, v25
	v_mul_f32_e32 v3, v22, v25
	v_fma_f32 v2, v22, v24, -v2
	v_fmac_f32_e32 v3, v23, v24
	v_add_f32_e32 v17, v15, v2
	v_add_f32_e32 v16, v16, v3
	v_mul_f32_e32 v2, v23, v27
	v_mul_f32_e32 v3, v22, v27
	v_fma_f32 v2, v22, v26, -v2
	v_fmac_f32_e32 v3, v23, v26
	v_add_f32_e32 v15, v30, v2
	v_add_f32_e32 v10, v10, v3
	v_mov_b32_e32 v3, s1
	v_mov_b32_e32 v2, s0
	v_cmp_le_u64_e32 vcc, s[12:13], v[2:3]
	s_barrier
	s_cbranch_vccz .LBB1545_2
	s_branch .LBB1545_4
.LBB1545_3:
	v_mov_b32_e32 v20, 0
	v_mov_b32_e32 v21, 0
	;; [unrolled: 1-line block ×8, first 2 shown]
.LBB1545_4:
	v_add_u32_e32 v4, s7, v1
	v_ashrrev_i32_e32 v1, 31, v4
	v_mul_lo_u32 v3, s2, v1
	v_mul_lo_u32 v5, s3, v4
	v_mad_u64_u32 v[1:2], s[0:1], s2, v4, 0
	s_load_dword s10, s[4:5], 0x0
	v_add_u32_e32 v0, s6, v0
	v_add3_u32 v2, v2, v3, v5
	v_lshlrev_b64 v[1:2], 3, v[1:2]
	s_waitcnt lgkmcnt(0)
	v_mov_b32_e32 v3, s9
	v_add_co_u32_e64 v5, s[0:1], s8, v1
	v_addc_co_u32_e64 v6, s[0:1], v3, v2, s[0:1]
	v_cmp_gt_i32_e32 vcc, s10, v4
	v_cmp_le_i32_e64 s[0:1], v0, v4
	s_and_b64 s[0:1], vcc, s[0:1]
	s_and_saveexec_b64 s[4:5], s[0:1]
	s_cbranch_execz .LBB1545_6
; %bb.5:
	v_ashrrev_i32_e32 v1, 31, v0
	v_lshlrev_b64 v[1:2], 3, v[0:1]
	v_add_co_u32_e64 v1, s[0:1], v5, v1
	v_addc_co_u32_e64 v2, s[0:1], v6, v2, s[0:1]
	flat_load_dwordx2 v[7:8], v[1:2]
	s_waitcnt vmcnt(0) lgkmcnt(0)
	v_add_f32_e32 v7, v20, v7
	v_add_f32_e32 v8, v21, v8
	flat_store_dwordx2 v[1:2], v[7:8]
.LBB1545_6:
	s_or_b64 exec, exec, s[4:5]
	v_add_u32_e32 v2, 16, v0
	v_cmp_le_i32_e64 s[0:1], v2, v4
	s_and_b64 s[4:5], vcc, s[0:1]
	s_and_saveexec_b64 s[0:1], s[4:5]
	s_cbranch_execz .LBB1545_8
; %bb.7:
	v_ashrrev_i32_e32 v3, 31, v2
	v_lshlrev_b64 v[7:8], 3, v[2:3]
	v_add_co_u32_e32 v5, vcc, v5, v7
	v_addc_co_u32_e32 v6, vcc, v6, v8, vcc
	flat_load_dwordx2 v[7:8], v[5:6]
	s_waitcnt vmcnt(0) lgkmcnt(0)
	v_add_f32_e32 v7, v19, v7
	v_add_f32_e32 v8, v18, v8
	flat_store_dwordx2 v[5:6], v[7:8]
.LBB1545_8:
	s_or_b64 exec, exec, s[0:1]
	v_add_u32_e32 v3, 16, v4
	v_ashrrev_i32_e32 v1, 31, v3
	v_mul_lo_u32 v1, s2, v1
	v_mul_lo_u32 v6, s3, v3
	v_mad_u64_u32 v[4:5], s[0:1], s2, v3, 0
	v_cmp_gt_i32_e32 vcc, s10, v3
	v_add3_u32 v5, v5, v1, v6
	v_lshlrev_b64 v[4:5], 3, v[4:5]
	v_mov_b32_e32 v1, s9
	v_add_co_u32_e64 v4, s[0:1], s8, v4
	v_addc_co_u32_e64 v5, s[0:1], v1, v5, s[0:1]
	v_cmp_le_i32_e64 s[0:1], v0, v3
	s_and_b64 s[0:1], vcc, s[0:1]
	s_and_saveexec_b64 s[2:3], s[0:1]
	s_cbranch_execz .LBB1545_10
; %bb.9:
	v_ashrrev_i32_e32 v1, 31, v0
	v_lshlrev_b64 v[0:1], 3, v[0:1]
	v_add_co_u32_e64 v0, s[0:1], v4, v0
	v_addc_co_u32_e64 v1, s[0:1], v5, v1, s[0:1]
	flat_load_dwordx2 v[6:7], v[0:1]
	s_waitcnt vmcnt(0) lgkmcnt(0)
	v_add_f32_e32 v6, v17, v6
	v_add_f32_e32 v7, v16, v7
	flat_store_dwordx2 v[0:1], v[6:7]
.LBB1545_10:
	s_or_b64 exec, exec, s[2:3]
	v_cmp_le_i32_e64 s[0:1], v2, v3
	s_and_b64 s[0:1], vcc, s[0:1]
	s_and_saveexec_b64 s[2:3], s[0:1]
	s_cbranch_execz .LBB1545_12
; %bb.11:
	v_ashrrev_i32_e32 v3, 31, v2
	v_lshlrev_b64 v[0:1], 3, v[2:3]
	v_add_co_u32_e32 v0, vcc, v4, v0
	v_addc_co_u32_e32 v1, vcc, v5, v1, vcc
	flat_load_dwordx2 v[2:3], v[0:1]
	s_waitcnt vmcnt(0) lgkmcnt(0)
	v_add_f32_e32 v2, v15, v2
	v_add_f32_e32 v3, v10, v3
	flat_store_dwordx2 v[0:1], v[2:3]
.LBB1545_12:
	s_endpgm
	.section	.rodata,"a",@progbits
	.p2align	6, 0x0
	.amdhsa_kernel _ZL37rocblas_syrkx_herkx_restricted_kernelIl19rocblas_complex_numIfELi16ELi32ELi8ELi1ELi1ELb0ELc84ELc85EKPKS1_KPS1_EviT_PT9_S7_lS9_S7_lPT10_S7_li
		.amdhsa_group_segment_fixed_size 4096
		.amdhsa_private_segment_fixed_size 0
		.amdhsa_kernarg_size 92
		.amdhsa_user_sgpr_count 6
		.amdhsa_user_sgpr_private_segment_buffer 1
		.amdhsa_user_sgpr_dispatch_ptr 0
		.amdhsa_user_sgpr_queue_ptr 0
		.amdhsa_user_sgpr_kernarg_segment_ptr 1
		.amdhsa_user_sgpr_dispatch_id 0
		.amdhsa_user_sgpr_flat_scratch_init 0
		.amdhsa_user_sgpr_private_segment_size 0
		.amdhsa_uses_dynamic_stack 0
		.amdhsa_system_sgpr_private_segment_wavefront_offset 0
		.amdhsa_system_sgpr_workgroup_id_x 1
		.amdhsa_system_sgpr_workgroup_id_y 1
		.amdhsa_system_sgpr_workgroup_id_z 1
		.amdhsa_system_sgpr_workgroup_info 0
		.amdhsa_system_vgpr_workitem_id 1
		.amdhsa_next_free_vgpr 41
		.amdhsa_next_free_sgpr 20
		.amdhsa_reserve_vcc 1
		.amdhsa_reserve_flat_scratch 0
		.amdhsa_float_round_mode_32 0
		.amdhsa_float_round_mode_16_64 0
		.amdhsa_float_denorm_mode_32 3
		.amdhsa_float_denorm_mode_16_64 3
		.amdhsa_dx10_clamp 1
		.amdhsa_ieee_mode 1
		.amdhsa_fp16_overflow 0
		.amdhsa_exception_fp_ieee_invalid_op 0
		.amdhsa_exception_fp_denorm_src 0
		.amdhsa_exception_fp_ieee_div_zero 0
		.amdhsa_exception_fp_ieee_overflow 0
		.amdhsa_exception_fp_ieee_underflow 0
		.amdhsa_exception_fp_ieee_inexact 0
		.amdhsa_exception_int_div_zero 0
	.end_amdhsa_kernel
	.section	.text._ZL37rocblas_syrkx_herkx_restricted_kernelIl19rocblas_complex_numIfELi16ELi32ELi8ELi1ELi1ELb0ELc84ELc85EKPKS1_KPS1_EviT_PT9_S7_lS9_S7_lPT10_S7_li,"axG",@progbits,_ZL37rocblas_syrkx_herkx_restricted_kernelIl19rocblas_complex_numIfELi16ELi32ELi8ELi1ELi1ELb0ELc84ELc85EKPKS1_KPS1_EviT_PT9_S7_lS9_S7_lPT10_S7_li,comdat
.Lfunc_end1545:
	.size	_ZL37rocblas_syrkx_herkx_restricted_kernelIl19rocblas_complex_numIfELi16ELi32ELi8ELi1ELi1ELb0ELc84ELc85EKPKS1_KPS1_EviT_PT9_S7_lS9_S7_lPT10_S7_li, .Lfunc_end1545-_ZL37rocblas_syrkx_herkx_restricted_kernelIl19rocblas_complex_numIfELi16ELi32ELi8ELi1ELi1ELb0ELc84ELc85EKPKS1_KPS1_EviT_PT9_S7_lS9_S7_lPT10_S7_li
                                        ; -- End function
	.set _ZL37rocblas_syrkx_herkx_restricted_kernelIl19rocblas_complex_numIfELi16ELi32ELi8ELi1ELi1ELb0ELc84ELc85EKPKS1_KPS1_EviT_PT9_S7_lS9_S7_lPT10_S7_li.num_vgpr, 41
	.set _ZL37rocblas_syrkx_herkx_restricted_kernelIl19rocblas_complex_numIfELi16ELi32ELi8ELi1ELi1ELb0ELc84ELc85EKPKS1_KPS1_EviT_PT9_S7_lS9_S7_lPT10_S7_li.num_agpr, 0
	.set _ZL37rocblas_syrkx_herkx_restricted_kernelIl19rocblas_complex_numIfELi16ELi32ELi8ELi1ELi1ELb0ELc84ELc85EKPKS1_KPS1_EviT_PT9_S7_lS9_S7_lPT10_S7_li.numbered_sgpr, 20
	.set _ZL37rocblas_syrkx_herkx_restricted_kernelIl19rocblas_complex_numIfELi16ELi32ELi8ELi1ELi1ELb0ELc84ELc85EKPKS1_KPS1_EviT_PT9_S7_lS9_S7_lPT10_S7_li.num_named_barrier, 0
	.set _ZL37rocblas_syrkx_herkx_restricted_kernelIl19rocblas_complex_numIfELi16ELi32ELi8ELi1ELi1ELb0ELc84ELc85EKPKS1_KPS1_EviT_PT9_S7_lS9_S7_lPT10_S7_li.private_seg_size, 0
	.set _ZL37rocblas_syrkx_herkx_restricted_kernelIl19rocblas_complex_numIfELi16ELi32ELi8ELi1ELi1ELb0ELc84ELc85EKPKS1_KPS1_EviT_PT9_S7_lS9_S7_lPT10_S7_li.uses_vcc, 1
	.set _ZL37rocblas_syrkx_herkx_restricted_kernelIl19rocblas_complex_numIfELi16ELi32ELi8ELi1ELi1ELb0ELc84ELc85EKPKS1_KPS1_EviT_PT9_S7_lS9_S7_lPT10_S7_li.uses_flat_scratch, 0
	.set _ZL37rocblas_syrkx_herkx_restricted_kernelIl19rocblas_complex_numIfELi16ELi32ELi8ELi1ELi1ELb0ELc84ELc85EKPKS1_KPS1_EviT_PT9_S7_lS9_S7_lPT10_S7_li.has_dyn_sized_stack, 0
	.set _ZL37rocblas_syrkx_herkx_restricted_kernelIl19rocblas_complex_numIfELi16ELi32ELi8ELi1ELi1ELb0ELc84ELc85EKPKS1_KPS1_EviT_PT9_S7_lS9_S7_lPT10_S7_li.has_recursion, 0
	.set _ZL37rocblas_syrkx_herkx_restricted_kernelIl19rocblas_complex_numIfELi16ELi32ELi8ELi1ELi1ELb0ELc84ELc85EKPKS1_KPS1_EviT_PT9_S7_lS9_S7_lPT10_S7_li.has_indirect_call, 0
	.section	.AMDGPU.csdata,"",@progbits
; Kernel info:
; codeLenInByte = 2028
; TotalNumSgprs: 24
; NumVgprs: 41
; ScratchSize: 0
; MemoryBound: 0
; FloatMode: 240
; IeeeMode: 1
; LDSByteSize: 4096 bytes/workgroup (compile time only)
; SGPRBlocks: 2
; VGPRBlocks: 10
; NumSGPRsForWavesPerEU: 24
; NumVGPRsForWavesPerEU: 41
; Occupancy: 5
; WaveLimiterHint : 1
; COMPUTE_PGM_RSRC2:SCRATCH_EN: 0
; COMPUTE_PGM_RSRC2:USER_SGPR: 6
; COMPUTE_PGM_RSRC2:TRAP_HANDLER: 0
; COMPUTE_PGM_RSRC2:TGID_X_EN: 1
; COMPUTE_PGM_RSRC2:TGID_Y_EN: 1
; COMPUTE_PGM_RSRC2:TGID_Z_EN: 1
; COMPUTE_PGM_RSRC2:TIDIG_COMP_CNT: 1
	.section	.text._ZL37rocblas_syrkx_herkx_restricted_kernelIl19rocblas_complex_numIfELi16ELi32ELi8ELi1ELi1ELb0ELc67ELc85EKPKS1_KPS1_EviT_PT9_S7_lS9_S7_lPT10_S7_li,"axG",@progbits,_ZL37rocblas_syrkx_herkx_restricted_kernelIl19rocblas_complex_numIfELi16ELi32ELi8ELi1ELi1ELb0ELc67ELc85EKPKS1_KPS1_EviT_PT9_S7_lS9_S7_lPT10_S7_li,comdat
	.globl	_ZL37rocblas_syrkx_herkx_restricted_kernelIl19rocblas_complex_numIfELi16ELi32ELi8ELi1ELi1ELb0ELc67ELc85EKPKS1_KPS1_EviT_PT9_S7_lS9_S7_lPT10_S7_li ; -- Begin function _ZL37rocblas_syrkx_herkx_restricted_kernelIl19rocblas_complex_numIfELi16ELi32ELi8ELi1ELi1ELb0ELc67ELc85EKPKS1_KPS1_EviT_PT9_S7_lS9_S7_lPT10_S7_li
	.p2align	8
	.type	_ZL37rocblas_syrkx_herkx_restricted_kernelIl19rocblas_complex_numIfELi16ELi32ELi8ELi1ELi1ELb0ELc67ELc85EKPKS1_KPS1_EviT_PT9_S7_lS9_S7_lPT10_S7_li,@function
_ZL37rocblas_syrkx_herkx_restricted_kernelIl19rocblas_complex_numIfELi16ELi32ELi8ELi1ELi1ELb0ELc67ELc85EKPKS1_KPS1_EviT_PT9_S7_lS9_S7_lPT10_S7_li: ; @_ZL37rocblas_syrkx_herkx_restricted_kernelIl19rocblas_complex_numIfELi16ELi32ELi8ELi1ELi1ELb0ELc67ELc85EKPKS1_KPS1_EviT_PT9_S7_lS9_S7_lPT10_S7_li
; %bb.0:
	s_load_dwordx4 s[0:3], s[4:5], 0x40
	s_load_dwordx4 s[12:15], s[4:5], 0x8
	s_mov_b32 s9, 0
	s_lshl_b64 s[10:11], s[8:9], 3
	s_waitcnt lgkmcnt(0)
	s_add_u32 s0, s0, s10
	s_addc_u32 s1, s1, s11
	s_load_dwordx2 s[8:9], s[0:1], 0x0
	v_cmp_lt_i64_e64 s[0:1], s[12:13], 1
	s_lshl_b32 s6, s6, 5
	s_lshl_b32 s7, s7, 5
	s_and_b64 vcc, exec, s[0:1]
	s_cbranch_vccnz .LBB1546_3
; %bb.1:
	s_load_dwordx2 s[0:1], s[4:5], 0x18
	s_load_dwordx4 s[16:19], s[4:5], 0x28
	v_lshl_add_u32 v4, v1, 4, v0
	v_lshrrev_b32_e32 v6, 3, v4
	v_add_u32_e32 v2, s7, v6
	v_ashrrev_i32_e32 v3, 31, v2
	v_and_b32_e32 v9, 7, v0
	v_mov_b32_e32 v10, 0
	s_waitcnt lgkmcnt(0)
	v_mul_lo_u32 v5, s18, v3
	v_mul_lo_u32 v7, s19, v2
	v_mad_u64_u32 v[2:3], s[18:19], s18, v2, v[9:10]
	s_add_u32 s14, s14, s10
	s_addc_u32 s15, s15, s11
	v_add3_u32 v3, v7, v3, v5
	v_and_b32_e32 v7, 31, v4
	v_lshrrev_b32_e32 v4, 5, v4
	v_lshlrev_b32_e32 v8, 3, v7
	v_lshl_or_b32 v11, v4, 8, v8
	v_lshlrev_b32_e32 v8, 3, v9
	v_lshl_or_b32 v6, v6, 6, v8
	v_add_u32_e32 v12, 0x800, v6
	v_add_u32_e32 v6, s6, v7
	s_add_u32 s10, s16, s10
	v_mov_b32_e32 v5, v10
	v_ashrrev_i32_e32 v7, 31, v6
	s_addc_u32 s11, s17, s11
	v_mul_lo_u32 v7, s0, v7
	v_mad_u64_u32 v[4:5], s[16:17], s0, v6, v[4:5]
	v_mul_lo_u32 v6, s1, v6
	s_load_dwordx2 s[14:15], s[14:15], 0x0
	v_lshlrev_b64 v[2:3], 3, v[2:3]
	s_load_dwordx2 s[10:11], s[10:11], 0x0
	v_add3_u32 v5, v6, v5, v7
	v_lshlrev_b64 v[4:5], 3, v[4:5]
	s_waitcnt lgkmcnt(0)
	v_mov_b32_e32 v7, s15
	v_add_co_u32_e32 v6, vcc, s14, v4
	v_mov_b32_e32 v8, 0x800
	v_addc_co_u32_e32 v7, vcc, v7, v5, vcc
	v_lshl_add_u32 v14, v1, 6, v8
	v_mov_b32_e32 v4, s11
	v_add_co_u32_e32 v8, vcc, s10, v2
	v_lshlrev_b32_e32 v13, 3, v0
	v_addc_co_u32_e32 v9, vcc, v4, v3, vcc
	s_mov_b64 s[0:1], 0
	v_mov_b32_e32 v15, v10
	v_mov_b32_e32 v16, v10
	;; [unrolled: 1-line block ×7, first 2 shown]
.LBB1546_2:                             ; =>This Inner Loop Header: Depth=1
	flat_load_dwordx2 v[2:3], v[6:7]
	s_add_u32 s0, s0, 8
	v_add_co_u32_e32 v6, vcc, 64, v6
	s_addc_u32 s1, s1, 0
	v_addc_co_u32_e32 v7, vcc, 0, v7, vcc
	s_waitcnt vmcnt(0) lgkmcnt(0)
	ds_write_b64 v11, v[2:3]
	flat_load_dwordx2 v[2:3], v[8:9]
	v_add_co_u32_e32 v8, vcc, 64, v8
	v_addc_co_u32_e32 v9, vcc, 0, v9, vcc
	s_waitcnt vmcnt(0) lgkmcnt(0)
	ds_write_b64 v12, v[2:3]
	s_waitcnt lgkmcnt(0)
	s_barrier
	ds_read_b128 v[22:25], v14
	ds_read_b128 v[26:29], v14 offset:16
	ds_read_b128 v[30:33], v14 offset:32
	;; [unrolled: 1-line block ×3, first 2 shown]
	ds_read2_b64 v[34:37], v13 offset1:16
	s_waitcnt lgkmcnt(0)
	v_mul_f32_e32 v38, v23, v35
	v_mul_f32_e32 v39, v22, v35
	v_fma_f32 v38, v22, v34, -v38
	v_fmac_f32_e32 v39, v23, v34
	v_add_f32_e32 v38, v20, v38
	v_add_f32_e32 v39, v21, v39
	v_mul_f32_e32 v20, v23, v37
	v_mul_f32_e32 v21, v22, v37
	v_fma_f32 v20, v22, v36, -v20
	v_fmac_f32_e32 v21, v23, v36
	v_add_f32_e32 v22, v19, v20
	v_add_f32_e32 v23, v18, v21
	ds_read_b128 v[18:21], v14 offset:1024
	s_waitcnt lgkmcnt(0)
	v_mul_f32_e32 v40, v19, v35
	v_mul_f32_e32 v35, v18, v35
	v_fma_f32 v40, v18, v34, -v40
	v_fmac_f32_e32 v35, v19, v34
	v_add_f32_e32 v34, v17, v40
	v_add_f32_e32 v35, v16, v35
	v_mul_f32_e32 v16, v19, v37
	v_mul_f32_e32 v17, v18, v37
	v_fma_f32 v16, v18, v36, -v16
	v_fmac_f32_e32 v17, v19, v36
	v_add_f32_e32 v19, v15, v16
	v_add_f32_e32 v10, v10, v17
	ds_read2_b64 v[15:18], v13 offset0:32 offset1:48
	s_waitcnt lgkmcnt(0)
	v_mul_f32_e32 v36, v25, v16
	v_fma_f32 v36, v24, v15, -v36
	v_add_f32_e32 v36, v38, v36
	v_mul_f32_e32 v38, v25, v18
	v_mul_f32_e32 v37, v24, v16
	v_fma_f32 v38, v24, v17, -v38
	v_mul_f32_e32 v24, v24, v18
	v_fmac_f32_e32 v24, v25, v17
	v_add_f32_e32 v23, v23, v24
	v_mul_f32_e32 v24, v21, v16
	v_mul_f32_e32 v16, v20, v16
	v_fmac_f32_e32 v16, v21, v15
	v_fmac_f32_e32 v37, v25, v15
	v_fma_f32 v24, v20, v15, -v24
	v_add_f32_e32 v25, v35, v16
	v_mul_f32_e32 v15, v21, v18
	v_mul_f32_e32 v16, v20, v18
	v_fma_f32 v15, v20, v17, -v15
	v_fmac_f32_e32 v16, v21, v17
	v_add_f32_e32 v24, v34, v24
	v_add_f32_e32 v34, v19, v15
	v_add_f32_e32 v10, v10, v16
	ds_read2_b64 v[15:18], v13 offset0:64 offset1:80
	v_add_f32_e32 v37, v39, v37
	v_add_f32_e32 v22, v22, v38
	s_waitcnt lgkmcnt(0)
	v_mul_f32_e32 v19, v27, v16
	v_mul_f32_e32 v20, v26, v16
	v_fma_f32 v19, v26, v15, -v19
	v_fmac_f32_e32 v20, v27, v15
	v_add_f32_e32 v35, v36, v19
	v_add_f32_e32 v36, v37, v20
	v_mul_f32_e32 v19, v27, v18
	v_mul_f32_e32 v20, v26, v18
	v_fma_f32 v19, v26, v17, -v19
	v_fmac_f32_e32 v20, v27, v17
	v_add_f32_e32 v26, v22, v19
	v_add_f32_e32 v23, v23, v20
	ds_read_b128 v[19:22], v14 offset:1040
	s_waitcnt lgkmcnt(0)
	v_mul_f32_e32 v27, v20, v16
	v_mul_f32_e32 v16, v19, v16
	v_fmac_f32_e32 v16, v20, v15
	v_fma_f32 v27, v19, v15, -v27
	v_add_f32_e32 v25, v25, v16
	v_mul_f32_e32 v15, v20, v18
	v_mul_f32_e32 v16, v19, v18
	v_fma_f32 v15, v19, v17, -v15
	v_fmac_f32_e32 v16, v20, v17
	v_add_f32_e32 v19, v34, v15
	v_add_f32_e32 v10, v10, v16
	ds_read2_b64 v[15:18], v13 offset0:96 offset1:112
	v_add_f32_e32 v24, v24, v27
	s_waitcnt lgkmcnt(0)
	v_mul_f32_e32 v20, v29, v16
	v_mul_f32_e32 v34, v29, v18
	v_fma_f32 v20, v28, v15, -v20
	v_mul_f32_e32 v27, v28, v16
	v_fma_f32 v34, v28, v17, -v34
	v_mul_f32_e32 v28, v28, v18
	v_fmac_f32_e32 v28, v29, v17
	v_add_f32_e32 v23, v23, v28
	v_mul_f32_e32 v28, v22, v16
	v_mul_f32_e32 v16, v21, v16
	v_fmac_f32_e32 v16, v22, v15
	v_fmac_f32_e32 v27, v29, v15
	v_fma_f32 v28, v21, v15, -v28
	v_add_f32_e32 v25, v25, v16
	v_mul_f32_e32 v15, v22, v18
	v_mul_f32_e32 v16, v21, v18
	v_fma_f32 v15, v21, v17, -v15
	v_fmac_f32_e32 v16, v22, v17
	v_add_f32_e32 v24, v24, v28
	v_add_f32_e32 v28, v19, v15
	v_add_f32_e32 v10, v10, v16
	ds_read2_b64 v[15:18], v13 offset0:128 offset1:144
	v_add_f32_e32 v20, v35, v20
	v_add_f32_e32 v27, v36, v27
	;; [unrolled: 1-line block ×3, first 2 shown]
	s_waitcnt lgkmcnt(0)
	v_mul_f32_e32 v19, v31, v16
	v_fma_f32 v19, v30, v15, -v19
	v_mul_f32_e32 v21, v30, v16
	v_add_f32_e32 v29, v20, v19
	v_mul_f32_e32 v19, v31, v18
	v_mul_f32_e32 v20, v30, v18
	v_fmac_f32_e32 v21, v31, v15
	v_fma_f32 v19, v30, v17, -v19
	v_fmac_f32_e32 v20, v31, v17
	v_add_f32_e32 v27, v27, v21
	v_add_f32_e32 v26, v26, v19
	;; [unrolled: 1-line block ×3, first 2 shown]
	ds_read_b128 v[19:22], v14 offset:1056
	s_waitcnt lgkmcnt(0)
	v_mul_f32_e32 v30, v20, v16
	v_mul_f32_e32 v16, v19, v16
	v_fmac_f32_e32 v16, v20, v15
	v_fma_f32 v30, v19, v15, -v30
	v_add_f32_e32 v25, v25, v16
	v_mul_f32_e32 v15, v20, v18
	v_mul_f32_e32 v16, v19, v18
	v_fma_f32 v15, v19, v17, -v15
	v_fmac_f32_e32 v16, v20, v17
	v_add_f32_e32 v19, v28, v15
	v_add_f32_e32 v10, v10, v16
	ds_read2_b64 v[15:18], v13 offset0:160 offset1:176
	v_add_f32_e32 v24, v24, v30
	s_waitcnt lgkmcnt(0)
	v_mul_f32_e32 v28, v32, v16
	v_fmac_f32_e32 v28, v33, v15
	v_add_f32_e32 v27, v27, v28
	v_mul_f32_e32 v28, v33, v18
	v_fma_f32 v28, v32, v17, -v28
	v_mul_f32_e32 v20, v33, v16
	v_add_f32_e32 v26, v26, v28
	v_mul_f32_e32 v28, v22, v16
	v_mul_f32_e32 v16, v21, v16
	v_fmac_f32_e32 v16, v22, v15
	v_fma_f32 v20, v32, v15, -v20
	v_fma_f32 v28, v21, v15, -v28
	v_add_f32_e32 v25, v25, v16
	v_mul_f32_e32 v15, v22, v18
	v_mul_f32_e32 v16, v21, v18
	v_add_f32_e32 v20, v29, v20
	v_mul_f32_e32 v29, v32, v18
	v_fma_f32 v15, v21, v17, -v15
	v_fmac_f32_e32 v16, v22, v17
	v_fmac_f32_e32 v29, v33, v17
	v_add_f32_e32 v19, v19, v15
	v_add_f32_e32 v10, v10, v16
	ds_read2_b64 v[15:18], v13 offset0:192 offset1:208
	v_add_f32_e32 v24, v24, v28
	v_add_f32_e32 v23, v23, v29
	s_waitcnt lgkmcnt(0)
	v_mul_f32_e32 v21, v3, v16
	v_fma_f32 v21, v2, v15, -v21
	v_add_f32_e32 v28, v20, v21
	v_mul_f32_e32 v20, v3, v18
	v_mul_f32_e32 v22, v2, v16
	v_fma_f32 v20, v2, v17, -v20
	v_mul_f32_e32 v2, v2, v18
	v_fmac_f32_e32 v22, v3, v15
	v_fmac_f32_e32 v2, v3, v17
	v_add_f32_e32 v29, v27, v22
	v_add_f32_e32 v3, v26, v20
	;; [unrolled: 1-line block ×3, first 2 shown]
	ds_read_b128 v[20:23], v14 offset:1072
	s_waitcnt lgkmcnt(0)
	v_mul_f32_e32 v26, v21, v16
	v_fma_f32 v26, v20, v15, -v26
	v_mul_f32_e32 v16, v20, v16
	v_fmac_f32_e32 v16, v21, v15
	v_add_f32_e32 v15, v24, v26
	v_mul_f32_e32 v24, v21, v18
	v_fma_f32 v24, v20, v17, -v24
	v_add_f32_e32 v16, v25, v16
	v_add_f32_e32 v30, v19, v24
	ds_read2_b64 v[24:27], v13 offset0:224 offset1:240
	v_mul_f32_e32 v18, v20, v18
	v_fmac_f32_e32 v18, v21, v17
	v_add_f32_e32 v10, v10, v18
	s_waitcnt lgkmcnt(0)
	v_mul_f32_e32 v17, v5, v25
	v_fma_f32 v17, v4, v24, -v17
	v_add_f32_e32 v20, v28, v17
	v_mul_f32_e32 v17, v5, v27
	v_mul_f32_e32 v18, v4, v25
	v_fma_f32 v17, v4, v26, -v17
	v_mul_f32_e32 v4, v4, v27
	v_fmac_f32_e32 v18, v5, v24
	v_fmac_f32_e32 v4, v5, v26
	v_add_f32_e32 v21, v29, v18
	v_add_f32_e32 v19, v3, v17
	;; [unrolled: 1-line block ×3, first 2 shown]
	v_mul_f32_e32 v2, v23, v25
	v_mul_f32_e32 v3, v22, v25
	v_fma_f32 v2, v22, v24, -v2
	v_fmac_f32_e32 v3, v23, v24
	v_add_f32_e32 v17, v15, v2
	v_add_f32_e32 v16, v16, v3
	v_mul_f32_e32 v2, v23, v27
	v_mul_f32_e32 v3, v22, v27
	v_fma_f32 v2, v22, v26, -v2
	v_fmac_f32_e32 v3, v23, v26
	v_add_f32_e32 v15, v30, v2
	v_add_f32_e32 v10, v10, v3
	v_mov_b32_e32 v3, s1
	v_mov_b32_e32 v2, s0
	v_cmp_le_u64_e32 vcc, s[12:13], v[2:3]
	s_barrier
	s_cbranch_vccz .LBB1546_2
	s_branch .LBB1546_4
.LBB1546_3:
	v_mov_b32_e32 v20, 0
	v_mov_b32_e32 v21, 0
	;; [unrolled: 1-line block ×8, first 2 shown]
.LBB1546_4:
	v_add_u32_e32 v4, s7, v1
	v_ashrrev_i32_e32 v1, 31, v4
	v_mul_lo_u32 v3, s2, v1
	v_mul_lo_u32 v5, s3, v4
	v_mad_u64_u32 v[1:2], s[0:1], s2, v4, 0
	s_load_dword s10, s[4:5], 0x0
	v_add_u32_e32 v0, s6, v0
	v_add3_u32 v2, v2, v3, v5
	v_lshlrev_b64 v[1:2], 3, v[1:2]
	s_waitcnt lgkmcnt(0)
	v_mov_b32_e32 v3, s9
	v_add_co_u32_e64 v5, s[0:1], s8, v1
	v_addc_co_u32_e64 v6, s[0:1], v3, v2, s[0:1]
	v_cmp_gt_i32_e32 vcc, s10, v4
	v_cmp_le_i32_e64 s[0:1], v0, v4
	s_and_b64 s[0:1], vcc, s[0:1]
	s_and_saveexec_b64 s[4:5], s[0:1]
	s_cbranch_execz .LBB1546_6
; %bb.5:
	v_ashrrev_i32_e32 v1, 31, v0
	v_lshlrev_b64 v[1:2], 3, v[0:1]
	v_add_co_u32_e64 v1, s[0:1], v5, v1
	v_addc_co_u32_e64 v2, s[0:1], v6, v2, s[0:1]
	flat_load_dwordx2 v[7:8], v[1:2]
	s_waitcnt vmcnt(0) lgkmcnt(0)
	v_add_f32_e32 v7, v20, v7
	v_add_f32_e32 v8, v21, v8
	flat_store_dwordx2 v[1:2], v[7:8]
.LBB1546_6:
	s_or_b64 exec, exec, s[4:5]
	v_add_u32_e32 v2, 16, v0
	v_cmp_le_i32_e64 s[0:1], v2, v4
	s_and_b64 s[4:5], vcc, s[0:1]
	s_and_saveexec_b64 s[0:1], s[4:5]
	s_cbranch_execz .LBB1546_8
; %bb.7:
	v_ashrrev_i32_e32 v3, 31, v2
	v_lshlrev_b64 v[7:8], 3, v[2:3]
	v_add_co_u32_e32 v5, vcc, v5, v7
	v_addc_co_u32_e32 v6, vcc, v6, v8, vcc
	flat_load_dwordx2 v[7:8], v[5:6]
	s_waitcnt vmcnt(0) lgkmcnt(0)
	v_add_f32_e32 v7, v19, v7
	v_add_f32_e32 v8, v18, v8
	flat_store_dwordx2 v[5:6], v[7:8]
.LBB1546_8:
	s_or_b64 exec, exec, s[0:1]
	v_add_u32_e32 v3, 16, v4
	v_ashrrev_i32_e32 v1, 31, v3
	v_mul_lo_u32 v1, s2, v1
	v_mul_lo_u32 v6, s3, v3
	v_mad_u64_u32 v[4:5], s[0:1], s2, v3, 0
	v_cmp_gt_i32_e32 vcc, s10, v3
	v_add3_u32 v5, v5, v1, v6
	v_lshlrev_b64 v[4:5], 3, v[4:5]
	v_mov_b32_e32 v1, s9
	v_add_co_u32_e64 v4, s[0:1], s8, v4
	v_addc_co_u32_e64 v5, s[0:1], v1, v5, s[0:1]
	v_cmp_le_i32_e64 s[0:1], v0, v3
	s_and_b64 s[0:1], vcc, s[0:1]
	s_and_saveexec_b64 s[2:3], s[0:1]
	s_cbranch_execz .LBB1546_10
; %bb.9:
	v_ashrrev_i32_e32 v1, 31, v0
	v_lshlrev_b64 v[0:1], 3, v[0:1]
	v_add_co_u32_e64 v0, s[0:1], v4, v0
	v_addc_co_u32_e64 v1, s[0:1], v5, v1, s[0:1]
	flat_load_dwordx2 v[6:7], v[0:1]
	s_waitcnt vmcnt(0) lgkmcnt(0)
	v_add_f32_e32 v6, v17, v6
	v_add_f32_e32 v7, v16, v7
	flat_store_dwordx2 v[0:1], v[6:7]
.LBB1546_10:
	s_or_b64 exec, exec, s[2:3]
	v_cmp_le_i32_e64 s[0:1], v2, v3
	s_and_b64 s[0:1], vcc, s[0:1]
	s_and_saveexec_b64 s[2:3], s[0:1]
	s_cbranch_execz .LBB1546_12
; %bb.11:
	v_ashrrev_i32_e32 v3, 31, v2
	v_lshlrev_b64 v[0:1], 3, v[2:3]
	v_add_co_u32_e32 v0, vcc, v4, v0
	v_addc_co_u32_e32 v1, vcc, v5, v1, vcc
	flat_load_dwordx2 v[2:3], v[0:1]
	s_waitcnt vmcnt(0) lgkmcnt(0)
	v_add_f32_e32 v2, v15, v2
	v_add_f32_e32 v3, v10, v3
	flat_store_dwordx2 v[0:1], v[2:3]
.LBB1546_12:
	s_endpgm
	.section	.rodata,"a",@progbits
	.p2align	6, 0x0
	.amdhsa_kernel _ZL37rocblas_syrkx_herkx_restricted_kernelIl19rocblas_complex_numIfELi16ELi32ELi8ELi1ELi1ELb0ELc67ELc85EKPKS1_KPS1_EviT_PT9_S7_lS9_S7_lPT10_S7_li
		.amdhsa_group_segment_fixed_size 4096
		.amdhsa_private_segment_fixed_size 0
		.amdhsa_kernarg_size 92
		.amdhsa_user_sgpr_count 6
		.amdhsa_user_sgpr_private_segment_buffer 1
		.amdhsa_user_sgpr_dispatch_ptr 0
		.amdhsa_user_sgpr_queue_ptr 0
		.amdhsa_user_sgpr_kernarg_segment_ptr 1
		.amdhsa_user_sgpr_dispatch_id 0
		.amdhsa_user_sgpr_flat_scratch_init 0
		.amdhsa_user_sgpr_private_segment_size 0
		.amdhsa_uses_dynamic_stack 0
		.amdhsa_system_sgpr_private_segment_wavefront_offset 0
		.amdhsa_system_sgpr_workgroup_id_x 1
		.amdhsa_system_sgpr_workgroup_id_y 1
		.amdhsa_system_sgpr_workgroup_id_z 1
		.amdhsa_system_sgpr_workgroup_info 0
		.amdhsa_system_vgpr_workitem_id 1
		.amdhsa_next_free_vgpr 41
		.amdhsa_next_free_sgpr 20
		.amdhsa_reserve_vcc 1
		.amdhsa_reserve_flat_scratch 0
		.amdhsa_float_round_mode_32 0
		.amdhsa_float_round_mode_16_64 0
		.amdhsa_float_denorm_mode_32 3
		.amdhsa_float_denorm_mode_16_64 3
		.amdhsa_dx10_clamp 1
		.amdhsa_ieee_mode 1
		.amdhsa_fp16_overflow 0
		.amdhsa_exception_fp_ieee_invalid_op 0
		.amdhsa_exception_fp_denorm_src 0
		.amdhsa_exception_fp_ieee_div_zero 0
		.amdhsa_exception_fp_ieee_overflow 0
		.amdhsa_exception_fp_ieee_underflow 0
		.amdhsa_exception_fp_ieee_inexact 0
		.amdhsa_exception_int_div_zero 0
	.end_amdhsa_kernel
	.section	.text._ZL37rocblas_syrkx_herkx_restricted_kernelIl19rocblas_complex_numIfELi16ELi32ELi8ELi1ELi1ELb0ELc67ELc85EKPKS1_KPS1_EviT_PT9_S7_lS9_S7_lPT10_S7_li,"axG",@progbits,_ZL37rocblas_syrkx_herkx_restricted_kernelIl19rocblas_complex_numIfELi16ELi32ELi8ELi1ELi1ELb0ELc67ELc85EKPKS1_KPS1_EviT_PT9_S7_lS9_S7_lPT10_S7_li,comdat
.Lfunc_end1546:
	.size	_ZL37rocblas_syrkx_herkx_restricted_kernelIl19rocblas_complex_numIfELi16ELi32ELi8ELi1ELi1ELb0ELc67ELc85EKPKS1_KPS1_EviT_PT9_S7_lS9_S7_lPT10_S7_li, .Lfunc_end1546-_ZL37rocblas_syrkx_herkx_restricted_kernelIl19rocblas_complex_numIfELi16ELi32ELi8ELi1ELi1ELb0ELc67ELc85EKPKS1_KPS1_EviT_PT9_S7_lS9_S7_lPT10_S7_li
                                        ; -- End function
	.set _ZL37rocblas_syrkx_herkx_restricted_kernelIl19rocblas_complex_numIfELi16ELi32ELi8ELi1ELi1ELb0ELc67ELc85EKPKS1_KPS1_EviT_PT9_S7_lS9_S7_lPT10_S7_li.num_vgpr, 41
	.set _ZL37rocblas_syrkx_herkx_restricted_kernelIl19rocblas_complex_numIfELi16ELi32ELi8ELi1ELi1ELb0ELc67ELc85EKPKS1_KPS1_EviT_PT9_S7_lS9_S7_lPT10_S7_li.num_agpr, 0
	.set _ZL37rocblas_syrkx_herkx_restricted_kernelIl19rocblas_complex_numIfELi16ELi32ELi8ELi1ELi1ELb0ELc67ELc85EKPKS1_KPS1_EviT_PT9_S7_lS9_S7_lPT10_S7_li.numbered_sgpr, 20
	.set _ZL37rocblas_syrkx_herkx_restricted_kernelIl19rocblas_complex_numIfELi16ELi32ELi8ELi1ELi1ELb0ELc67ELc85EKPKS1_KPS1_EviT_PT9_S7_lS9_S7_lPT10_S7_li.num_named_barrier, 0
	.set _ZL37rocblas_syrkx_herkx_restricted_kernelIl19rocblas_complex_numIfELi16ELi32ELi8ELi1ELi1ELb0ELc67ELc85EKPKS1_KPS1_EviT_PT9_S7_lS9_S7_lPT10_S7_li.private_seg_size, 0
	.set _ZL37rocblas_syrkx_herkx_restricted_kernelIl19rocblas_complex_numIfELi16ELi32ELi8ELi1ELi1ELb0ELc67ELc85EKPKS1_KPS1_EviT_PT9_S7_lS9_S7_lPT10_S7_li.uses_vcc, 1
	.set _ZL37rocblas_syrkx_herkx_restricted_kernelIl19rocblas_complex_numIfELi16ELi32ELi8ELi1ELi1ELb0ELc67ELc85EKPKS1_KPS1_EviT_PT9_S7_lS9_S7_lPT10_S7_li.uses_flat_scratch, 0
	.set _ZL37rocblas_syrkx_herkx_restricted_kernelIl19rocblas_complex_numIfELi16ELi32ELi8ELi1ELi1ELb0ELc67ELc85EKPKS1_KPS1_EviT_PT9_S7_lS9_S7_lPT10_S7_li.has_dyn_sized_stack, 0
	.set _ZL37rocblas_syrkx_herkx_restricted_kernelIl19rocblas_complex_numIfELi16ELi32ELi8ELi1ELi1ELb0ELc67ELc85EKPKS1_KPS1_EviT_PT9_S7_lS9_S7_lPT10_S7_li.has_recursion, 0
	.set _ZL37rocblas_syrkx_herkx_restricted_kernelIl19rocblas_complex_numIfELi16ELi32ELi8ELi1ELi1ELb0ELc67ELc85EKPKS1_KPS1_EviT_PT9_S7_lS9_S7_lPT10_S7_li.has_indirect_call, 0
	.section	.AMDGPU.csdata,"",@progbits
; Kernel info:
; codeLenInByte = 2028
; TotalNumSgprs: 24
; NumVgprs: 41
; ScratchSize: 0
; MemoryBound: 0
; FloatMode: 240
; IeeeMode: 1
; LDSByteSize: 4096 bytes/workgroup (compile time only)
; SGPRBlocks: 2
; VGPRBlocks: 10
; NumSGPRsForWavesPerEU: 24
; NumVGPRsForWavesPerEU: 41
; Occupancy: 5
; WaveLimiterHint : 1
; COMPUTE_PGM_RSRC2:SCRATCH_EN: 0
; COMPUTE_PGM_RSRC2:USER_SGPR: 6
; COMPUTE_PGM_RSRC2:TRAP_HANDLER: 0
; COMPUTE_PGM_RSRC2:TGID_X_EN: 1
; COMPUTE_PGM_RSRC2:TGID_Y_EN: 1
; COMPUTE_PGM_RSRC2:TGID_Z_EN: 1
; COMPUTE_PGM_RSRC2:TIDIG_COMP_CNT: 1
	.section	.text._ZL37rocblas_syrkx_herkx_restricted_kernelIl19rocblas_complex_numIfELi16ELi32ELi8ELi1ELi1ELb0ELc78ELc85EKPKS1_KPS1_EviT_PT9_S7_lS9_S7_lPT10_S7_li,"axG",@progbits,_ZL37rocblas_syrkx_herkx_restricted_kernelIl19rocblas_complex_numIfELi16ELi32ELi8ELi1ELi1ELb0ELc78ELc85EKPKS1_KPS1_EviT_PT9_S7_lS9_S7_lPT10_S7_li,comdat
	.globl	_ZL37rocblas_syrkx_herkx_restricted_kernelIl19rocblas_complex_numIfELi16ELi32ELi8ELi1ELi1ELb0ELc78ELc85EKPKS1_KPS1_EviT_PT9_S7_lS9_S7_lPT10_S7_li ; -- Begin function _ZL37rocblas_syrkx_herkx_restricted_kernelIl19rocblas_complex_numIfELi16ELi32ELi8ELi1ELi1ELb0ELc78ELc85EKPKS1_KPS1_EviT_PT9_S7_lS9_S7_lPT10_S7_li
	.p2align	8
	.type	_ZL37rocblas_syrkx_herkx_restricted_kernelIl19rocblas_complex_numIfELi16ELi32ELi8ELi1ELi1ELb0ELc78ELc85EKPKS1_KPS1_EviT_PT9_S7_lS9_S7_lPT10_S7_li,@function
_ZL37rocblas_syrkx_herkx_restricted_kernelIl19rocblas_complex_numIfELi16ELi32ELi8ELi1ELi1ELb0ELc78ELc85EKPKS1_KPS1_EviT_PT9_S7_lS9_S7_lPT10_S7_li: ; @_ZL37rocblas_syrkx_herkx_restricted_kernelIl19rocblas_complex_numIfELi16ELi32ELi8ELi1ELi1ELb0ELc78ELc85EKPKS1_KPS1_EviT_PT9_S7_lS9_S7_lPT10_S7_li
; %bb.0:
	s_load_dwordx4 s[0:3], s[4:5], 0x40
	s_load_dwordx4 s[12:15], s[4:5], 0x8
	s_mov_b32 s9, 0
	s_lshl_b64 s[18:19], s[8:9], 3
	s_waitcnt lgkmcnt(0)
	s_add_u32 s0, s0, s18
	s_addc_u32 s1, s1, s19
	s_load_dwordx2 s[16:17], s[0:1], 0x0
	v_cmp_lt_i64_e64 s[0:1], s[12:13], 1
	s_lshl_b32 s20, s6, 5
	s_lshl_b32 s21, s7, 5
	s_and_b64 vcc, exec, s[0:1]
	s_cbranch_vccnz .LBB1547_3
; %bb.1:
	s_load_dwordx2 s[0:1], s[4:5], 0x18
	s_load_dwordx4 s[8:11], s[4:5], 0x28
	v_lshl_add_u32 v5, v1, 4, v0
	v_lshrrev_b32_e32 v7, 3, v5
	v_add_u32_e32 v2, s21, v7
	v_and_b32_e32 v6, 7, v0
	v_ashrrev_i32_e32 v3, 31, v2
	s_waitcnt lgkmcnt(0)
	v_mad_u64_u32 v[2:3], s[6:7], s10, v6, v[2:3]
	s_add_u32 s6, s14, s18
	s_addc_u32 s7, s15, s19
	v_mad_u64_u32 v[3:4], s[14:15], s11, v6, v[3:4]
	v_and_b32_e32 v4, 31, v5
	v_lshrrev_b32_e32 v8, 5, v5
	v_lshlrev_b32_e32 v5, 3, v4
	v_add_u32_e32 v4, s20, v4
	v_lshl_or_b32 v10, v8, 8, v5
	v_ashrrev_i32_e32 v5, 31, v4
	v_mad_u64_u32 v[4:5], s[14:15], s0, v8, v[4:5]
	v_lshlrev_b32_e32 v6, 3, v6
	v_lshl_or_b32 v6, v7, 6, v6
	v_add_u32_e32 v11, 0x800, v6
	v_mad_u64_u32 v[5:6], s[14:15], s1, v8, v[5:6]
	s_load_dwordx2 s[6:7], s[6:7], 0x0
	s_add_u32 s8, s8, s18
	s_addc_u32 s9, s9, s19
	s_load_dwordx2 s[8:9], s[8:9], 0x0
	v_lshlrev_b64 v[4:5], 3, v[4:5]
	v_mov_b32_e32 v6, 0x800
	v_lshl_add_u32 v13, v1, 6, v6
	s_waitcnt lgkmcnt(0)
	v_mov_b32_e32 v7, s7
	v_add_co_u32_e32 v6, vcc, s6, v4
	v_lshlrev_b64 v[2:3], 3, v[2:3]
	v_addc_co_u32_e32 v7, vcc, v7, v5, vcc
	s_lshl_b64 s[0:1], s[0:1], 6
	v_mov_b32_e32 v4, s9
	v_add_co_u32_e32 v8, vcc, s8, v2
	s_lshl_b64 s[6:7], s[10:11], 6
	v_lshlrev_b32_e32 v12, 3, v0
	v_addc_co_u32_e32 v9, vcc, v4, v3, vcc
	v_mov_b32_e32 v16, 0
	s_mov_b64 s[8:9], 0
	v_mov_b32_e32 v14, s1
	v_mov_b32_e32 v15, s7
	;; [unrolled: 1-line block ×9, first 2 shown]
.LBB1547_2:                             ; =>This Inner Loop Header: Depth=1
	flat_load_dwordx2 v[2:3], v[6:7]
	v_add_co_u32_e32 v6, vcc, s0, v6
	s_add_u32 s8, s8, 8
	v_addc_co_u32_e32 v7, vcc, v7, v14, vcc
	s_addc_u32 s9, s9, 0
	s_waitcnt vmcnt(0) lgkmcnt(0)
	ds_write_b64 v10, v[2:3]
	flat_load_dwordx2 v[2:3], v[8:9]
	v_add_co_u32_e32 v8, vcc, s6, v8
	v_addc_co_u32_e32 v9, vcc, v9, v15, vcc
	s_waitcnt vmcnt(0) lgkmcnt(0)
	ds_write_b64 v11, v[2:3]
	s_waitcnt lgkmcnt(0)
	s_barrier
	ds_read_b128 v[24:27], v13
	ds_read_b128 v[28:31], v13 offset:16
	ds_read_b128 v[32:35], v13 offset:32
	;; [unrolled: 1-line block ×3, first 2 shown]
	ds_read2_b64 v[36:39], v12 offset1:16
	s_waitcnt lgkmcnt(0)
	v_mul_f32_e32 v40, v25, v37
	v_mul_f32_e32 v41, v24, v37
	v_fma_f32 v40, v24, v36, -v40
	v_fmac_f32_e32 v41, v25, v36
	v_add_f32_e32 v40, v22, v40
	v_add_f32_e32 v41, v23, v41
	v_mul_f32_e32 v22, v25, v39
	v_mul_f32_e32 v23, v24, v39
	v_fma_f32 v22, v24, v38, -v22
	v_fmac_f32_e32 v23, v25, v38
	v_add_f32_e32 v24, v21, v22
	v_add_f32_e32 v25, v20, v23
	ds_read_b128 v[20:23], v13 offset:1024
	s_waitcnt lgkmcnt(0)
	v_mul_f32_e32 v42, v21, v37
	v_mul_f32_e32 v37, v20, v37
	v_fma_f32 v42, v20, v36, -v42
	v_fmac_f32_e32 v37, v21, v36
	v_add_f32_e32 v36, v19, v42
	v_add_f32_e32 v37, v18, v37
	v_mul_f32_e32 v18, v21, v39
	v_mul_f32_e32 v19, v20, v39
	v_fma_f32 v18, v20, v38, -v18
	v_fmac_f32_e32 v19, v21, v38
	v_add_f32_e32 v20, v17, v18
	v_add_f32_e32 v21, v16, v19
	ds_read2_b64 v[16:19], v12 offset0:32 offset1:48
	s_waitcnt lgkmcnt(0)
	v_mul_f32_e32 v38, v27, v17
	v_fma_f32 v38, v26, v16, -v38
	v_add_f32_e32 v38, v40, v38
	v_mul_f32_e32 v40, v27, v19
	v_mul_f32_e32 v39, v26, v17
	v_fma_f32 v40, v26, v18, -v40
	v_mul_f32_e32 v26, v26, v19
	v_fmac_f32_e32 v26, v27, v18
	v_add_f32_e32 v25, v25, v26
	v_mul_f32_e32 v26, v23, v17
	v_mul_f32_e32 v17, v22, v17
	v_fmac_f32_e32 v17, v23, v16
	v_fmac_f32_e32 v39, v27, v16
	v_fma_f32 v26, v22, v16, -v26
	v_add_f32_e32 v27, v37, v17
	v_mul_f32_e32 v16, v23, v19
	v_mul_f32_e32 v17, v22, v19
	v_fma_f32 v16, v22, v18, -v16
	v_fmac_f32_e32 v17, v23, v18
	v_add_f32_e32 v26, v36, v26
	v_add_f32_e32 v36, v20, v16
	;; [unrolled: 1-line block ×3, first 2 shown]
	ds_read2_b64 v[16:19], v12 offset0:64 offset1:80
	v_add_f32_e32 v39, v41, v39
	v_add_f32_e32 v24, v24, v40
	s_waitcnt lgkmcnt(0)
	v_mul_f32_e32 v20, v29, v17
	v_mul_f32_e32 v21, v28, v17
	v_fma_f32 v20, v28, v16, -v20
	v_fmac_f32_e32 v21, v29, v16
	v_add_f32_e32 v38, v38, v20
	v_add_f32_e32 v39, v39, v21
	v_mul_f32_e32 v20, v29, v19
	v_mul_f32_e32 v21, v28, v19
	v_fma_f32 v20, v28, v18, -v20
	v_fmac_f32_e32 v21, v29, v18
	v_add_f32_e32 v24, v24, v20
	v_add_f32_e32 v25, v25, v21
	ds_read_b128 v[20:23], v13 offset:1040
	s_waitcnt lgkmcnt(0)
	v_mul_f32_e32 v28, v21, v17
	v_mul_f32_e32 v17, v20, v17
	v_fmac_f32_e32 v17, v21, v16
	v_fma_f32 v28, v20, v16, -v28
	v_add_f32_e32 v27, v27, v17
	v_mul_f32_e32 v16, v21, v19
	v_mul_f32_e32 v17, v20, v19
	v_fma_f32 v16, v20, v18, -v16
	v_fmac_f32_e32 v17, v21, v18
	v_add_f32_e32 v20, v36, v16
	v_add_f32_e32 v21, v37, v17
	ds_read2_b64 v[16:19], v12 offset0:96 offset1:112
	v_add_f32_e32 v26, v26, v28
	s_waitcnt lgkmcnt(0)
	v_mul_f32_e32 v28, v31, v17
	v_mul_f32_e32 v36, v31, v19
	v_fma_f32 v28, v30, v16, -v28
	v_mul_f32_e32 v29, v30, v17
	v_fma_f32 v36, v30, v18, -v36
	v_mul_f32_e32 v30, v30, v19
	v_fmac_f32_e32 v30, v31, v18
	v_add_f32_e32 v25, v25, v30
	v_mul_f32_e32 v30, v23, v17
	v_mul_f32_e32 v17, v22, v17
	v_fmac_f32_e32 v17, v23, v16
	v_fmac_f32_e32 v29, v31, v16
	v_fma_f32 v30, v22, v16, -v30
	v_add_f32_e32 v27, v27, v17
	v_mul_f32_e32 v16, v23, v19
	v_mul_f32_e32 v17, v22, v19
	v_fma_f32 v16, v22, v18, -v16
	v_fmac_f32_e32 v17, v23, v18
	v_add_f32_e32 v26, v26, v30
	v_add_f32_e32 v30, v20, v16
	;; [unrolled: 1-line block ×3, first 2 shown]
	ds_read2_b64 v[16:19], v12 offset0:128 offset1:144
	v_add_f32_e32 v28, v38, v28
	v_add_f32_e32 v29, v39, v29
	;; [unrolled: 1-line block ×3, first 2 shown]
	s_waitcnt lgkmcnt(0)
	v_mul_f32_e32 v20, v33, v17
	v_mul_f32_e32 v21, v32, v17
	v_fma_f32 v20, v32, v16, -v20
	v_fmac_f32_e32 v21, v33, v16
	v_add_f32_e32 v28, v28, v20
	v_add_f32_e32 v29, v29, v21
	v_mul_f32_e32 v20, v33, v19
	v_mul_f32_e32 v21, v32, v19
	v_fma_f32 v20, v32, v18, -v20
	v_fmac_f32_e32 v21, v33, v18
	v_add_f32_e32 v24, v24, v20
	v_add_f32_e32 v25, v25, v21
	ds_read_b128 v[20:23], v13 offset:1056
	s_waitcnt lgkmcnt(0)
	v_mul_f32_e32 v32, v21, v17
	v_mul_f32_e32 v17, v20, v17
	v_fmac_f32_e32 v17, v21, v16
	v_fma_f32 v32, v20, v16, -v32
	v_add_f32_e32 v27, v27, v17
	v_mul_f32_e32 v16, v21, v19
	v_mul_f32_e32 v17, v20, v19
	v_fma_f32 v16, v20, v18, -v16
	v_fmac_f32_e32 v17, v21, v18
	v_add_f32_e32 v20, v30, v16
	v_add_f32_e32 v21, v31, v17
	ds_read2_b64 v[16:19], v12 offset0:160 offset1:176
	v_add_f32_e32 v26, v26, v32
	s_waitcnt lgkmcnt(0)
	v_mul_f32_e32 v30, v35, v17
	v_fma_f32 v30, v34, v16, -v30
	v_add_f32_e32 v28, v28, v30
	v_mul_f32_e32 v30, v35, v19
	v_fma_f32 v30, v34, v18, -v30
	v_mul_f32_e32 v31, v34, v17
	v_add_f32_e32 v24, v24, v30
	v_mul_f32_e32 v30, v23, v17
	v_mul_f32_e32 v17, v22, v17
	v_fmac_f32_e32 v17, v23, v16
	v_fmac_f32_e32 v31, v35, v16
	v_fma_f32 v30, v22, v16, -v30
	v_add_f32_e32 v27, v27, v17
	v_mul_f32_e32 v16, v23, v19
	v_mul_f32_e32 v17, v22, v19
	v_add_f32_e32 v29, v29, v31
	v_mul_f32_e32 v31, v34, v19
	v_fma_f32 v16, v22, v18, -v16
	v_fmac_f32_e32 v17, v23, v18
	v_fmac_f32_e32 v31, v35, v18
	v_add_f32_e32 v20, v20, v16
	v_add_f32_e32 v21, v21, v17
	ds_read2_b64 v[16:19], v12 offset0:192 offset1:208
	v_add_f32_e32 v26, v26, v30
	v_add_f32_e32 v25, v25, v31
	s_waitcnt lgkmcnt(0)
	v_mul_f32_e32 v22, v3, v17
	v_fma_f32 v22, v2, v16, -v22
	v_add_f32_e32 v30, v28, v22
	v_mul_f32_e32 v22, v3, v19
	v_mul_f32_e32 v23, v2, v17
	v_fma_f32 v22, v2, v18, -v22
	v_mul_f32_e32 v2, v2, v19
	v_fmac_f32_e32 v23, v3, v16
	v_fmac_f32_e32 v2, v3, v18
	v_add_f32_e32 v31, v29, v23
	v_add_f32_e32 v3, v24, v22
	;; [unrolled: 1-line block ×3, first 2 shown]
	ds_read_b128 v[22:25], v13 offset:1072
	s_waitcnt lgkmcnt(0)
	v_mul_f32_e32 v28, v23, v17
	v_fma_f32 v28, v22, v16, -v28
	v_mul_f32_e32 v17, v22, v17
	v_fmac_f32_e32 v17, v23, v16
	v_add_f32_e32 v16, v26, v28
	v_mul_f32_e32 v26, v23, v19
	v_fma_f32 v26, v22, v18, -v26
	v_add_f32_e32 v17, v27, v17
	v_add_f32_e32 v32, v20, v26
	ds_read2_b64 v[26:29], v12 offset0:224 offset1:240
	v_mul_f32_e32 v19, v22, v19
	v_fmac_f32_e32 v19, v23, v18
	v_add_f32_e32 v33, v21, v19
	s_waitcnt lgkmcnt(0)
	v_mul_f32_e32 v18, v5, v27
	v_fma_f32 v18, v4, v26, -v18
	v_add_f32_e32 v22, v30, v18
	v_mul_f32_e32 v18, v5, v29
	v_mul_f32_e32 v19, v4, v27
	v_fma_f32 v18, v4, v28, -v18
	v_mul_f32_e32 v4, v4, v29
	v_fmac_f32_e32 v4, v5, v28
	v_add_f32_e32 v21, v3, v18
	v_add_f32_e32 v20, v2, v4
	v_mul_f32_e32 v2, v25, v27
	v_mul_f32_e32 v3, v24, v27
	v_fmac_f32_e32 v19, v5, v26
	v_fma_f32 v2, v24, v26, -v2
	v_fmac_f32_e32 v3, v25, v26
	v_add_f32_e32 v23, v31, v19
	v_add_f32_e32 v19, v16, v2
	;; [unrolled: 1-line block ×3, first 2 shown]
	v_mul_f32_e32 v2, v25, v29
	v_mul_f32_e32 v3, v24, v29
	v_fma_f32 v2, v24, v28, -v2
	v_fmac_f32_e32 v3, v25, v28
	v_add_f32_e32 v17, v32, v2
	v_add_f32_e32 v16, v33, v3
	v_mov_b32_e32 v2, s8
	v_mov_b32_e32 v3, s9
	v_cmp_le_u64_e32 vcc, s[12:13], v[2:3]
	s_barrier
	s_cbranch_vccz .LBB1547_2
	s_branch .LBB1547_4
.LBB1547_3:
	v_mov_b32_e32 v22, 0
	v_mov_b32_e32 v23, 0
	;; [unrolled: 1-line block ×8, first 2 shown]
.LBB1547_4:
	v_add_u32_e32 v4, s21, v1
	v_ashrrev_i32_e32 v1, 31, v4
	v_mul_lo_u32 v3, s2, v1
	v_mul_lo_u32 v5, s3, v4
	v_mad_u64_u32 v[1:2], s[0:1], s2, v4, 0
	s_load_dword s6, s[4:5], 0x0
	v_add_u32_e32 v0, s20, v0
	v_add3_u32 v2, v2, v3, v5
	v_lshlrev_b64 v[1:2], 3, v[1:2]
	s_waitcnt lgkmcnt(0)
	v_mov_b32_e32 v3, s17
	v_add_co_u32_e64 v5, s[0:1], s16, v1
	v_addc_co_u32_e64 v6, s[0:1], v3, v2, s[0:1]
	v_cmp_gt_i32_e32 vcc, s6, v4
	v_cmp_le_i32_e64 s[0:1], v0, v4
	s_and_b64 s[0:1], vcc, s[0:1]
	s_and_saveexec_b64 s[4:5], s[0:1]
	s_cbranch_execz .LBB1547_6
; %bb.5:
	v_ashrrev_i32_e32 v1, 31, v0
	v_lshlrev_b64 v[1:2], 3, v[0:1]
	v_add_co_u32_e64 v1, s[0:1], v5, v1
	v_addc_co_u32_e64 v2, s[0:1], v6, v2, s[0:1]
	flat_load_dwordx2 v[7:8], v[1:2]
	s_waitcnt vmcnt(0) lgkmcnt(0)
	v_add_f32_e32 v7, v22, v7
	v_add_f32_e32 v8, v23, v8
	flat_store_dwordx2 v[1:2], v[7:8]
.LBB1547_6:
	s_or_b64 exec, exec, s[4:5]
	v_add_u32_e32 v2, 16, v0
	v_cmp_le_i32_e64 s[0:1], v2, v4
	s_and_b64 s[4:5], vcc, s[0:1]
	s_and_saveexec_b64 s[0:1], s[4:5]
	s_cbranch_execz .LBB1547_8
; %bb.7:
	v_ashrrev_i32_e32 v3, 31, v2
	v_lshlrev_b64 v[7:8], 3, v[2:3]
	v_add_co_u32_e32 v5, vcc, v5, v7
	v_addc_co_u32_e32 v6, vcc, v6, v8, vcc
	flat_load_dwordx2 v[7:8], v[5:6]
	s_waitcnt vmcnt(0) lgkmcnt(0)
	v_add_f32_e32 v7, v21, v7
	v_add_f32_e32 v8, v20, v8
	flat_store_dwordx2 v[5:6], v[7:8]
.LBB1547_8:
	s_or_b64 exec, exec, s[0:1]
	v_add_u32_e32 v3, 16, v4
	v_ashrrev_i32_e32 v1, 31, v3
	v_mul_lo_u32 v1, s2, v1
	v_mul_lo_u32 v6, s3, v3
	v_mad_u64_u32 v[4:5], s[0:1], s2, v3, 0
	v_cmp_gt_i32_e32 vcc, s6, v3
	v_add3_u32 v5, v5, v1, v6
	v_lshlrev_b64 v[4:5], 3, v[4:5]
	v_mov_b32_e32 v1, s17
	v_add_co_u32_e64 v4, s[0:1], s16, v4
	v_addc_co_u32_e64 v5, s[0:1], v1, v5, s[0:1]
	v_cmp_le_i32_e64 s[0:1], v0, v3
	s_and_b64 s[0:1], vcc, s[0:1]
	s_and_saveexec_b64 s[2:3], s[0:1]
	s_cbranch_execz .LBB1547_10
; %bb.9:
	v_ashrrev_i32_e32 v1, 31, v0
	v_lshlrev_b64 v[0:1], 3, v[0:1]
	v_add_co_u32_e64 v0, s[0:1], v4, v0
	v_addc_co_u32_e64 v1, s[0:1], v5, v1, s[0:1]
	flat_load_dwordx2 v[6:7], v[0:1]
	s_waitcnt vmcnt(0) lgkmcnt(0)
	v_add_f32_e32 v6, v19, v6
	v_add_f32_e32 v7, v18, v7
	flat_store_dwordx2 v[0:1], v[6:7]
.LBB1547_10:
	s_or_b64 exec, exec, s[2:3]
	v_cmp_le_i32_e64 s[0:1], v2, v3
	s_and_b64 s[0:1], vcc, s[0:1]
	s_and_saveexec_b64 s[2:3], s[0:1]
	s_cbranch_execz .LBB1547_12
; %bb.11:
	v_ashrrev_i32_e32 v3, 31, v2
	v_lshlrev_b64 v[0:1], 3, v[2:3]
	v_add_co_u32_e32 v0, vcc, v4, v0
	v_addc_co_u32_e32 v1, vcc, v5, v1, vcc
	flat_load_dwordx2 v[2:3], v[0:1]
	s_waitcnt vmcnt(0) lgkmcnt(0)
	v_add_f32_e32 v2, v17, v2
	v_add_f32_e32 v3, v16, v3
	flat_store_dwordx2 v[0:1], v[2:3]
.LBB1547_12:
	s_endpgm
	.section	.rodata,"a",@progbits
	.p2align	6, 0x0
	.amdhsa_kernel _ZL37rocblas_syrkx_herkx_restricted_kernelIl19rocblas_complex_numIfELi16ELi32ELi8ELi1ELi1ELb0ELc78ELc85EKPKS1_KPS1_EviT_PT9_S7_lS9_S7_lPT10_S7_li
		.amdhsa_group_segment_fixed_size 4096
		.amdhsa_private_segment_fixed_size 0
		.amdhsa_kernarg_size 92
		.amdhsa_user_sgpr_count 6
		.amdhsa_user_sgpr_private_segment_buffer 1
		.amdhsa_user_sgpr_dispatch_ptr 0
		.amdhsa_user_sgpr_queue_ptr 0
		.amdhsa_user_sgpr_kernarg_segment_ptr 1
		.amdhsa_user_sgpr_dispatch_id 0
		.amdhsa_user_sgpr_flat_scratch_init 0
		.amdhsa_user_sgpr_private_segment_size 0
		.amdhsa_uses_dynamic_stack 0
		.amdhsa_system_sgpr_private_segment_wavefront_offset 0
		.amdhsa_system_sgpr_workgroup_id_x 1
		.amdhsa_system_sgpr_workgroup_id_y 1
		.amdhsa_system_sgpr_workgroup_id_z 1
		.amdhsa_system_sgpr_workgroup_info 0
		.amdhsa_system_vgpr_workitem_id 1
		.amdhsa_next_free_vgpr 43
		.amdhsa_next_free_sgpr 22
		.amdhsa_reserve_vcc 1
		.amdhsa_reserve_flat_scratch 0
		.amdhsa_float_round_mode_32 0
		.amdhsa_float_round_mode_16_64 0
		.amdhsa_float_denorm_mode_32 3
		.amdhsa_float_denorm_mode_16_64 3
		.amdhsa_dx10_clamp 1
		.amdhsa_ieee_mode 1
		.amdhsa_fp16_overflow 0
		.amdhsa_exception_fp_ieee_invalid_op 0
		.amdhsa_exception_fp_denorm_src 0
		.amdhsa_exception_fp_ieee_div_zero 0
		.amdhsa_exception_fp_ieee_overflow 0
		.amdhsa_exception_fp_ieee_underflow 0
		.amdhsa_exception_fp_ieee_inexact 0
		.amdhsa_exception_int_div_zero 0
	.end_amdhsa_kernel
	.section	.text._ZL37rocblas_syrkx_herkx_restricted_kernelIl19rocblas_complex_numIfELi16ELi32ELi8ELi1ELi1ELb0ELc78ELc85EKPKS1_KPS1_EviT_PT9_S7_lS9_S7_lPT10_S7_li,"axG",@progbits,_ZL37rocblas_syrkx_herkx_restricted_kernelIl19rocblas_complex_numIfELi16ELi32ELi8ELi1ELi1ELb0ELc78ELc85EKPKS1_KPS1_EviT_PT9_S7_lS9_S7_lPT10_S7_li,comdat
.Lfunc_end1547:
	.size	_ZL37rocblas_syrkx_herkx_restricted_kernelIl19rocblas_complex_numIfELi16ELi32ELi8ELi1ELi1ELb0ELc78ELc85EKPKS1_KPS1_EviT_PT9_S7_lS9_S7_lPT10_S7_li, .Lfunc_end1547-_ZL37rocblas_syrkx_herkx_restricted_kernelIl19rocblas_complex_numIfELi16ELi32ELi8ELi1ELi1ELb0ELc78ELc85EKPKS1_KPS1_EviT_PT9_S7_lS9_S7_lPT10_S7_li
                                        ; -- End function
	.set _ZL37rocblas_syrkx_herkx_restricted_kernelIl19rocblas_complex_numIfELi16ELi32ELi8ELi1ELi1ELb0ELc78ELc85EKPKS1_KPS1_EviT_PT9_S7_lS9_S7_lPT10_S7_li.num_vgpr, 43
	.set _ZL37rocblas_syrkx_herkx_restricted_kernelIl19rocblas_complex_numIfELi16ELi32ELi8ELi1ELi1ELb0ELc78ELc85EKPKS1_KPS1_EviT_PT9_S7_lS9_S7_lPT10_S7_li.num_agpr, 0
	.set _ZL37rocblas_syrkx_herkx_restricted_kernelIl19rocblas_complex_numIfELi16ELi32ELi8ELi1ELi1ELb0ELc78ELc85EKPKS1_KPS1_EviT_PT9_S7_lS9_S7_lPT10_S7_li.numbered_sgpr, 22
	.set _ZL37rocblas_syrkx_herkx_restricted_kernelIl19rocblas_complex_numIfELi16ELi32ELi8ELi1ELi1ELb0ELc78ELc85EKPKS1_KPS1_EviT_PT9_S7_lS9_S7_lPT10_S7_li.num_named_barrier, 0
	.set _ZL37rocblas_syrkx_herkx_restricted_kernelIl19rocblas_complex_numIfELi16ELi32ELi8ELi1ELi1ELb0ELc78ELc85EKPKS1_KPS1_EviT_PT9_S7_lS9_S7_lPT10_S7_li.private_seg_size, 0
	.set _ZL37rocblas_syrkx_herkx_restricted_kernelIl19rocblas_complex_numIfELi16ELi32ELi8ELi1ELi1ELb0ELc78ELc85EKPKS1_KPS1_EviT_PT9_S7_lS9_S7_lPT10_S7_li.uses_vcc, 1
	.set _ZL37rocblas_syrkx_herkx_restricted_kernelIl19rocblas_complex_numIfELi16ELi32ELi8ELi1ELi1ELb0ELc78ELc85EKPKS1_KPS1_EviT_PT9_S7_lS9_S7_lPT10_S7_li.uses_flat_scratch, 0
	.set _ZL37rocblas_syrkx_herkx_restricted_kernelIl19rocblas_complex_numIfELi16ELi32ELi8ELi1ELi1ELb0ELc78ELc85EKPKS1_KPS1_EviT_PT9_S7_lS9_S7_lPT10_S7_li.has_dyn_sized_stack, 0
	.set _ZL37rocblas_syrkx_herkx_restricted_kernelIl19rocblas_complex_numIfELi16ELi32ELi8ELi1ELi1ELb0ELc78ELc85EKPKS1_KPS1_EviT_PT9_S7_lS9_S7_lPT10_S7_li.has_recursion, 0
	.set _ZL37rocblas_syrkx_herkx_restricted_kernelIl19rocblas_complex_numIfELi16ELi32ELi8ELi1ELi1ELb0ELc78ELc85EKPKS1_KPS1_EviT_PT9_S7_lS9_S7_lPT10_S7_li.has_indirect_call, 0
	.section	.AMDGPU.csdata,"",@progbits
; Kernel info:
; codeLenInByte = 2008
; TotalNumSgprs: 26
; NumVgprs: 43
; ScratchSize: 0
; MemoryBound: 0
; FloatMode: 240
; IeeeMode: 1
; LDSByteSize: 4096 bytes/workgroup (compile time only)
; SGPRBlocks: 3
; VGPRBlocks: 10
; NumSGPRsForWavesPerEU: 26
; NumVGPRsForWavesPerEU: 43
; Occupancy: 5
; WaveLimiterHint : 1
; COMPUTE_PGM_RSRC2:SCRATCH_EN: 0
; COMPUTE_PGM_RSRC2:USER_SGPR: 6
; COMPUTE_PGM_RSRC2:TRAP_HANDLER: 0
; COMPUTE_PGM_RSRC2:TGID_X_EN: 1
; COMPUTE_PGM_RSRC2:TGID_Y_EN: 1
; COMPUTE_PGM_RSRC2:TGID_Z_EN: 1
; COMPUTE_PGM_RSRC2:TIDIG_COMP_CNT: 1
	.section	.text._ZL37rocblas_syrkx_herkx_restricted_kernelIl19rocblas_complex_numIfELi16ELi32ELi8ELi1ELin1ELb0ELc84ELc76EKPKS1_KPS1_EviT_PT9_S7_lS9_S7_lPT10_S7_li,"axG",@progbits,_ZL37rocblas_syrkx_herkx_restricted_kernelIl19rocblas_complex_numIfELi16ELi32ELi8ELi1ELin1ELb0ELc84ELc76EKPKS1_KPS1_EviT_PT9_S7_lS9_S7_lPT10_S7_li,comdat
	.globl	_ZL37rocblas_syrkx_herkx_restricted_kernelIl19rocblas_complex_numIfELi16ELi32ELi8ELi1ELin1ELb0ELc84ELc76EKPKS1_KPS1_EviT_PT9_S7_lS9_S7_lPT10_S7_li ; -- Begin function _ZL37rocblas_syrkx_herkx_restricted_kernelIl19rocblas_complex_numIfELi16ELi32ELi8ELi1ELin1ELb0ELc84ELc76EKPKS1_KPS1_EviT_PT9_S7_lS9_S7_lPT10_S7_li
	.p2align	8
	.type	_ZL37rocblas_syrkx_herkx_restricted_kernelIl19rocblas_complex_numIfELi16ELi32ELi8ELi1ELin1ELb0ELc84ELc76EKPKS1_KPS1_EviT_PT9_S7_lS9_S7_lPT10_S7_li,@function
_ZL37rocblas_syrkx_herkx_restricted_kernelIl19rocblas_complex_numIfELi16ELi32ELi8ELi1ELin1ELb0ELc84ELc76EKPKS1_KPS1_EviT_PT9_S7_lS9_S7_lPT10_S7_li: ; @_ZL37rocblas_syrkx_herkx_restricted_kernelIl19rocblas_complex_numIfELi16ELi32ELi8ELi1ELin1ELb0ELc84ELc76EKPKS1_KPS1_EviT_PT9_S7_lS9_S7_lPT10_S7_li
; %bb.0:
	s_load_dwordx4 s[12:15], s[4:5], 0x40
	s_load_dwordx4 s[0:3], s[4:5], 0x8
	s_mov_b32 s9, 0
	s_lshl_b64 s[10:11], s[8:9], 3
	s_waitcnt lgkmcnt(0)
	s_add_u32 s8, s12, s10
	s_addc_u32 s9, s13, s11
	s_load_dwordx2 s[8:9], s[8:9], 0x0
	v_cmp_lt_i64_e64 s[12:13], s[0:1], 1
	s_lshl_b32 s6, s6, 5
	s_lshl_b32 s7, s7, 5
	s_and_b64 vcc, exec, s[12:13]
	s_cbranch_vccnz .LBB1548_3
; %bb.1:
	s_load_dwordx2 s[12:13], s[4:5], 0x18
	s_load_dwordx4 s[16:19], s[4:5], 0x28
	v_lshl_add_u32 v4, v1, 4, v0
	v_lshrrev_b32_e32 v6, 3, v4
	v_add_u32_e32 v2, s7, v6
	v_ashrrev_i32_e32 v3, 31, v2
	v_and_b32_e32 v9, 7, v0
	v_mov_b32_e32 v10, 0
	s_waitcnt lgkmcnt(0)
	v_mul_lo_u32 v5, s18, v3
	v_mul_lo_u32 v7, s19, v2
	v_mad_u64_u32 v[2:3], s[18:19], s18, v2, v[9:10]
	s_add_u32 s2, s2, s10
	s_addc_u32 s3, s3, s11
	v_add3_u32 v3, v7, v3, v5
	v_and_b32_e32 v7, 31, v4
	v_lshrrev_b32_e32 v4, 5, v4
	v_lshlrev_b32_e32 v8, 3, v7
	v_lshl_or_b32 v11, v4, 8, v8
	v_lshlrev_b32_e32 v8, 3, v9
	v_lshl_or_b32 v6, v6, 6, v8
	v_add_u32_e32 v12, 0x800, v6
	v_add_u32_e32 v6, s6, v7
	s_add_u32 s10, s16, s10
	v_mov_b32_e32 v5, v10
	v_ashrrev_i32_e32 v7, 31, v6
	s_addc_u32 s11, s17, s11
	v_mul_lo_u32 v7, s12, v7
	v_mad_u64_u32 v[4:5], s[16:17], s12, v6, v[4:5]
	v_mul_lo_u32 v6, s13, v6
	s_load_dwordx2 s[2:3], s[2:3], 0x0
	v_lshlrev_b64 v[2:3], 3, v[2:3]
	s_load_dwordx2 s[10:11], s[10:11], 0x0
	v_add3_u32 v5, v6, v5, v7
	v_lshlrev_b64 v[4:5], 3, v[4:5]
	s_waitcnt lgkmcnt(0)
	v_mov_b32_e32 v7, s3
	v_add_co_u32_e32 v6, vcc, s2, v4
	v_mov_b32_e32 v8, 0x800
	v_addc_co_u32_e32 v7, vcc, v7, v5, vcc
	v_lshl_add_u32 v14, v1, 6, v8
	v_mov_b32_e32 v4, s11
	v_add_co_u32_e32 v8, vcc, s10, v2
	v_lshlrev_b32_e32 v13, 3, v0
	v_addc_co_u32_e32 v9, vcc, v4, v3, vcc
	s_mov_b64 s[2:3], 0
	v_mov_b32_e32 v15, v10
	v_mov_b32_e32 v16, v10
	;; [unrolled: 1-line block ×7, first 2 shown]
.LBB1548_2:                             ; =>This Inner Loop Header: Depth=1
	flat_load_dwordx2 v[2:3], v[6:7]
	v_add_co_u32_e32 v6, vcc, 64, v6
	s_add_u32 s2, s2, 8
	v_addc_co_u32_e32 v7, vcc, 0, v7, vcc
	s_addc_u32 s3, s3, 0
	s_waitcnt vmcnt(0) lgkmcnt(0)
	ds_write_b64 v11, v[2:3]
	flat_load_dwordx2 v[2:3], v[8:9]
	v_add_co_u32_e32 v8, vcc, 64, v8
	v_addc_co_u32_e32 v9, vcc, 0, v9, vcc
	s_waitcnt vmcnt(0) lgkmcnt(0)
	ds_write_b64 v12, v[2:3]
	s_waitcnt lgkmcnt(0)
	s_barrier
	ds_read_b128 v[22:25], v14
	ds_read_b128 v[26:29], v14 offset:16
	ds_read_b128 v[30:33], v14 offset:32
	;; [unrolled: 1-line block ×3, first 2 shown]
	ds_read2_b64 v[34:37], v13 offset1:16
	s_waitcnt lgkmcnt(0)
	v_mul_f32_e32 v38, v23, v35
	v_mul_f32_e32 v39, v22, v35
	v_fma_f32 v38, v22, v34, -v38
	v_fmac_f32_e32 v39, v23, v34
	v_add_f32_e32 v38, v20, v38
	v_add_f32_e32 v39, v21, v39
	v_mul_f32_e32 v20, v23, v37
	v_mul_f32_e32 v21, v22, v37
	v_fma_f32 v20, v22, v36, -v20
	v_fmac_f32_e32 v21, v23, v36
	v_add_f32_e32 v22, v19, v20
	v_add_f32_e32 v23, v18, v21
	ds_read_b128 v[18:21], v14 offset:1024
	s_waitcnt lgkmcnt(0)
	v_mul_f32_e32 v40, v19, v35
	v_mul_f32_e32 v35, v18, v35
	v_fma_f32 v40, v18, v34, -v40
	v_fmac_f32_e32 v35, v19, v34
	v_add_f32_e32 v34, v17, v40
	v_add_f32_e32 v35, v16, v35
	v_mul_f32_e32 v16, v19, v37
	v_mul_f32_e32 v17, v18, v37
	v_fma_f32 v16, v18, v36, -v16
	v_fmac_f32_e32 v17, v19, v36
	v_add_f32_e32 v19, v15, v16
	v_add_f32_e32 v10, v10, v17
	ds_read2_b64 v[15:18], v13 offset0:32 offset1:48
	s_waitcnt lgkmcnt(0)
	v_mul_f32_e32 v36, v25, v16
	v_fma_f32 v36, v24, v15, -v36
	v_add_f32_e32 v36, v38, v36
	v_mul_f32_e32 v38, v25, v18
	v_mul_f32_e32 v37, v24, v16
	v_fma_f32 v38, v24, v17, -v38
	v_mul_f32_e32 v24, v24, v18
	v_fmac_f32_e32 v24, v25, v17
	v_add_f32_e32 v23, v23, v24
	v_mul_f32_e32 v24, v21, v16
	v_mul_f32_e32 v16, v20, v16
	v_fmac_f32_e32 v16, v21, v15
	v_fmac_f32_e32 v37, v25, v15
	v_fma_f32 v24, v20, v15, -v24
	v_add_f32_e32 v25, v35, v16
	v_mul_f32_e32 v15, v21, v18
	v_mul_f32_e32 v16, v20, v18
	v_fma_f32 v15, v20, v17, -v15
	v_fmac_f32_e32 v16, v21, v17
	v_add_f32_e32 v24, v34, v24
	v_add_f32_e32 v34, v19, v15
	v_add_f32_e32 v10, v10, v16
	ds_read2_b64 v[15:18], v13 offset0:64 offset1:80
	v_add_f32_e32 v37, v39, v37
	v_add_f32_e32 v22, v22, v38
	s_waitcnt lgkmcnt(0)
	v_mul_f32_e32 v19, v27, v16
	v_mul_f32_e32 v20, v26, v16
	v_fma_f32 v19, v26, v15, -v19
	v_fmac_f32_e32 v20, v27, v15
	v_add_f32_e32 v35, v36, v19
	v_add_f32_e32 v36, v37, v20
	v_mul_f32_e32 v19, v27, v18
	v_mul_f32_e32 v20, v26, v18
	v_fma_f32 v19, v26, v17, -v19
	v_fmac_f32_e32 v20, v27, v17
	v_add_f32_e32 v26, v22, v19
	v_add_f32_e32 v23, v23, v20
	ds_read_b128 v[19:22], v14 offset:1040
	s_waitcnt lgkmcnt(0)
	v_mul_f32_e32 v27, v20, v16
	v_mul_f32_e32 v16, v19, v16
	v_fmac_f32_e32 v16, v20, v15
	v_fma_f32 v27, v19, v15, -v27
	v_add_f32_e32 v25, v25, v16
	v_mul_f32_e32 v15, v20, v18
	v_mul_f32_e32 v16, v19, v18
	v_fma_f32 v15, v19, v17, -v15
	v_fmac_f32_e32 v16, v20, v17
	v_add_f32_e32 v19, v34, v15
	v_add_f32_e32 v10, v10, v16
	ds_read2_b64 v[15:18], v13 offset0:96 offset1:112
	v_add_f32_e32 v24, v24, v27
	s_waitcnt lgkmcnt(0)
	v_mul_f32_e32 v20, v29, v16
	v_mul_f32_e32 v34, v29, v18
	v_fma_f32 v20, v28, v15, -v20
	v_mul_f32_e32 v27, v28, v16
	v_fma_f32 v34, v28, v17, -v34
	v_mul_f32_e32 v28, v28, v18
	v_fmac_f32_e32 v28, v29, v17
	v_add_f32_e32 v23, v23, v28
	v_mul_f32_e32 v28, v22, v16
	v_mul_f32_e32 v16, v21, v16
	v_fmac_f32_e32 v16, v22, v15
	v_fmac_f32_e32 v27, v29, v15
	v_fma_f32 v28, v21, v15, -v28
	v_add_f32_e32 v25, v25, v16
	v_mul_f32_e32 v15, v22, v18
	v_mul_f32_e32 v16, v21, v18
	v_fma_f32 v15, v21, v17, -v15
	v_fmac_f32_e32 v16, v22, v17
	v_add_f32_e32 v24, v24, v28
	v_add_f32_e32 v28, v19, v15
	;; [unrolled: 1-line block ×3, first 2 shown]
	ds_read2_b64 v[15:18], v13 offset0:128 offset1:144
	v_add_f32_e32 v20, v35, v20
	v_add_f32_e32 v27, v36, v27
	;; [unrolled: 1-line block ×3, first 2 shown]
	s_waitcnt lgkmcnt(0)
	v_mul_f32_e32 v19, v31, v16
	v_fma_f32 v19, v30, v15, -v19
	v_mul_f32_e32 v21, v30, v16
	v_add_f32_e32 v29, v20, v19
	v_mul_f32_e32 v19, v31, v18
	v_mul_f32_e32 v20, v30, v18
	v_fmac_f32_e32 v21, v31, v15
	v_fma_f32 v19, v30, v17, -v19
	v_fmac_f32_e32 v20, v31, v17
	v_add_f32_e32 v27, v27, v21
	v_add_f32_e32 v26, v26, v19
	;; [unrolled: 1-line block ×3, first 2 shown]
	ds_read_b128 v[19:22], v14 offset:1056
	s_waitcnt lgkmcnt(0)
	v_mul_f32_e32 v30, v20, v16
	v_mul_f32_e32 v16, v19, v16
	v_fmac_f32_e32 v16, v20, v15
	v_fma_f32 v30, v19, v15, -v30
	v_add_f32_e32 v25, v25, v16
	v_mul_f32_e32 v15, v20, v18
	v_mul_f32_e32 v16, v19, v18
	v_fma_f32 v15, v19, v17, -v15
	v_fmac_f32_e32 v16, v20, v17
	v_add_f32_e32 v19, v28, v15
	v_add_f32_e32 v10, v10, v16
	ds_read2_b64 v[15:18], v13 offset0:160 offset1:176
	v_add_f32_e32 v24, v24, v30
	s_waitcnt lgkmcnt(0)
	v_mul_f32_e32 v28, v32, v16
	v_fmac_f32_e32 v28, v33, v15
	v_add_f32_e32 v27, v27, v28
	v_mul_f32_e32 v28, v33, v18
	v_fma_f32 v28, v32, v17, -v28
	v_mul_f32_e32 v20, v33, v16
	v_add_f32_e32 v26, v26, v28
	v_mul_f32_e32 v28, v22, v16
	v_mul_f32_e32 v16, v21, v16
	v_fmac_f32_e32 v16, v22, v15
	v_fma_f32 v20, v32, v15, -v20
	v_fma_f32 v28, v21, v15, -v28
	v_add_f32_e32 v25, v25, v16
	v_mul_f32_e32 v15, v22, v18
	v_mul_f32_e32 v16, v21, v18
	v_add_f32_e32 v20, v29, v20
	v_mul_f32_e32 v29, v32, v18
	v_fma_f32 v15, v21, v17, -v15
	v_fmac_f32_e32 v16, v22, v17
	v_fmac_f32_e32 v29, v33, v17
	v_add_f32_e32 v19, v19, v15
	v_add_f32_e32 v10, v10, v16
	ds_read2_b64 v[15:18], v13 offset0:192 offset1:208
	v_add_f32_e32 v24, v24, v28
	v_add_f32_e32 v23, v23, v29
	s_waitcnt lgkmcnt(0)
	v_mul_f32_e32 v21, v3, v16
	v_fma_f32 v21, v2, v15, -v21
	v_add_f32_e32 v28, v20, v21
	v_mul_f32_e32 v20, v3, v18
	v_mul_f32_e32 v22, v2, v16
	v_fma_f32 v20, v2, v17, -v20
	v_mul_f32_e32 v2, v2, v18
	v_fmac_f32_e32 v22, v3, v15
	v_fmac_f32_e32 v2, v3, v17
	v_add_f32_e32 v29, v27, v22
	v_add_f32_e32 v3, v26, v20
	;; [unrolled: 1-line block ×3, first 2 shown]
	ds_read_b128 v[20:23], v14 offset:1072
	s_waitcnt lgkmcnt(0)
	v_mul_f32_e32 v26, v21, v16
	v_fma_f32 v26, v20, v15, -v26
	v_mul_f32_e32 v16, v20, v16
	v_fmac_f32_e32 v16, v21, v15
	v_add_f32_e32 v15, v24, v26
	v_mul_f32_e32 v24, v21, v18
	v_fma_f32 v24, v20, v17, -v24
	v_add_f32_e32 v16, v25, v16
	v_add_f32_e32 v30, v19, v24
	ds_read2_b64 v[24:27], v13 offset0:224 offset1:240
	v_mul_f32_e32 v18, v20, v18
	v_fmac_f32_e32 v18, v21, v17
	v_add_f32_e32 v10, v10, v18
	s_waitcnt lgkmcnt(0)
	v_mul_f32_e32 v17, v5, v25
	v_fma_f32 v17, v4, v24, -v17
	v_add_f32_e32 v20, v28, v17
	v_mul_f32_e32 v17, v5, v27
	v_mul_f32_e32 v18, v4, v25
	v_fma_f32 v17, v4, v26, -v17
	v_mul_f32_e32 v4, v4, v27
	v_fmac_f32_e32 v18, v5, v24
	v_fmac_f32_e32 v4, v5, v26
	v_add_f32_e32 v21, v29, v18
	v_add_f32_e32 v19, v3, v17
	;; [unrolled: 1-line block ×3, first 2 shown]
	v_mul_f32_e32 v2, v23, v25
	v_mul_f32_e32 v3, v22, v25
	v_fma_f32 v2, v22, v24, -v2
	v_fmac_f32_e32 v3, v23, v24
	v_add_f32_e32 v17, v15, v2
	v_add_f32_e32 v16, v16, v3
	v_mul_f32_e32 v2, v23, v27
	v_mul_f32_e32 v3, v22, v27
	v_fma_f32 v2, v22, v26, -v2
	v_fmac_f32_e32 v3, v23, v26
	v_add_f32_e32 v15, v30, v2
	v_add_f32_e32 v10, v10, v3
	v_mov_b32_e32 v2, s2
	v_mov_b32_e32 v3, s3
	v_cmp_le_u64_e32 vcc, s[0:1], v[2:3]
	s_barrier
	s_cbranch_vccz .LBB1548_2
	s_branch .LBB1548_4
.LBB1548_3:
	v_mov_b32_e32 v20, 0
	v_mov_b32_e32 v21, 0
	;; [unrolled: 1-line block ×8, first 2 shown]
.LBB1548_4:
	v_add_u32_e32 v4, s7, v1
	v_ashrrev_i32_e32 v1, 31, v4
	v_mul_lo_u32 v3, s14, v1
	v_mul_lo_u32 v5, s15, v4
	v_mad_u64_u32 v[1:2], s[0:1], s14, v4, 0
	s_load_dword s4, s[4:5], 0x0
	v_add_u32_e32 v0, s6, v0
	v_add3_u32 v2, v2, v3, v5
	v_lshlrev_b64 v[1:2], 3, v[1:2]
	s_waitcnt lgkmcnt(0)
	v_mov_b32_e32 v3, s9
	v_add_co_u32_e32 v5, vcc, s8, v1
	v_addc_co_u32_e32 v6, vcc, v3, v2, vcc
	v_cmp_le_i32_e64 s[0:1], v4, v0
	v_cmp_gt_i32_e32 vcc, s4, v0
	s_and_b64 s[0:1], s[0:1], vcc
	s_and_saveexec_b64 s[2:3], s[0:1]
	s_cbranch_execz .LBB1548_6
; %bb.5:
	v_ashrrev_i32_e32 v1, 31, v0
	v_lshlrev_b64 v[1:2], 3, v[0:1]
	v_add_co_u32_e64 v1, s[0:1], v5, v1
	v_addc_co_u32_e64 v2, s[0:1], v6, v2, s[0:1]
	flat_load_dwordx2 v[7:8], v[1:2]
	s_waitcnt vmcnt(0) lgkmcnt(0)
	v_sub_f32_e32 v7, v20, v7
	v_sub_f32_e32 v8, v21, v8
	flat_store_dwordx2 v[1:2], v[7:8]
.LBB1548_6:
	s_or_b64 exec, exec, s[2:3]
	v_add_u32_e32 v2, 16, v0
	v_cmp_le_i32_e64 s[2:3], v4, v2
	v_cmp_gt_i32_e64 s[0:1], s4, v2
	s_and_b64 s[2:3], s[2:3], s[0:1]
	s_and_saveexec_b64 s[4:5], s[2:3]
	s_cbranch_execz .LBB1548_8
; %bb.7:
	v_ashrrev_i32_e32 v3, 31, v2
	v_lshlrev_b64 v[7:8], 3, v[2:3]
	v_add_co_u32_e64 v5, s[2:3], v5, v7
	v_addc_co_u32_e64 v6, s[2:3], v6, v8, s[2:3]
	flat_load_dwordx2 v[7:8], v[5:6]
	s_waitcnt vmcnt(0) lgkmcnt(0)
	v_sub_f32_e32 v7, v19, v7
	v_sub_f32_e32 v8, v18, v8
	flat_store_dwordx2 v[5:6], v[7:8]
.LBB1548_8:
	s_or_b64 exec, exec, s[4:5]
	v_add_u32_e32 v3, 16, v4
	v_ashrrev_i32_e32 v1, 31, v3
	v_mul_lo_u32 v6, s15, v3
	v_mad_u64_u32 v[4:5], s[2:3], s14, v3, 0
	v_mul_lo_u32 v1, s14, v1
	v_add3_u32 v5, v5, v1, v6
	v_lshlrev_b64 v[4:5], 3, v[4:5]
	v_mov_b32_e32 v1, s9
	v_add_co_u32_e64 v4, s[2:3], s8, v4
	v_addc_co_u32_e64 v5, s[2:3], v1, v5, s[2:3]
	v_cmp_le_i32_e64 s[2:3], v3, v0
	s_and_b64 s[4:5], s[2:3], vcc
	s_and_saveexec_b64 s[2:3], s[4:5]
	s_cbranch_execz .LBB1548_10
; %bb.9:
	v_ashrrev_i32_e32 v1, 31, v0
	v_lshlrev_b64 v[0:1], 3, v[0:1]
	v_add_co_u32_e32 v0, vcc, v4, v0
	v_addc_co_u32_e32 v1, vcc, v5, v1, vcc
	flat_load_dwordx2 v[6:7], v[0:1]
	s_waitcnt vmcnt(0) lgkmcnt(0)
	v_sub_f32_e32 v6, v17, v6
	v_sub_f32_e32 v7, v16, v7
	flat_store_dwordx2 v[0:1], v[6:7]
.LBB1548_10:
	s_or_b64 exec, exec, s[2:3]
	v_cmp_le_i32_e32 vcc, v3, v2
	s_and_b64 s[0:1], vcc, s[0:1]
	s_and_saveexec_b64 s[2:3], s[0:1]
	s_cbranch_execz .LBB1548_12
; %bb.11:
	v_ashrrev_i32_e32 v3, 31, v2
	v_lshlrev_b64 v[0:1], 3, v[2:3]
	v_add_co_u32_e32 v0, vcc, v4, v0
	v_addc_co_u32_e32 v1, vcc, v5, v1, vcc
	flat_load_dwordx2 v[2:3], v[0:1]
	s_waitcnt vmcnt(0) lgkmcnt(0)
	v_sub_f32_e32 v2, v15, v2
	v_sub_f32_e32 v3, v10, v3
	flat_store_dwordx2 v[0:1], v[2:3]
.LBB1548_12:
	s_endpgm
	.section	.rodata,"a",@progbits
	.p2align	6, 0x0
	.amdhsa_kernel _ZL37rocblas_syrkx_herkx_restricted_kernelIl19rocblas_complex_numIfELi16ELi32ELi8ELi1ELin1ELb0ELc84ELc76EKPKS1_KPS1_EviT_PT9_S7_lS9_S7_lPT10_S7_li
		.amdhsa_group_segment_fixed_size 4096
		.amdhsa_private_segment_fixed_size 0
		.amdhsa_kernarg_size 92
		.amdhsa_user_sgpr_count 6
		.amdhsa_user_sgpr_private_segment_buffer 1
		.amdhsa_user_sgpr_dispatch_ptr 0
		.amdhsa_user_sgpr_queue_ptr 0
		.amdhsa_user_sgpr_kernarg_segment_ptr 1
		.amdhsa_user_sgpr_dispatch_id 0
		.amdhsa_user_sgpr_flat_scratch_init 0
		.amdhsa_user_sgpr_private_segment_size 0
		.amdhsa_uses_dynamic_stack 0
		.amdhsa_system_sgpr_private_segment_wavefront_offset 0
		.amdhsa_system_sgpr_workgroup_id_x 1
		.amdhsa_system_sgpr_workgroup_id_y 1
		.amdhsa_system_sgpr_workgroup_id_z 1
		.amdhsa_system_sgpr_workgroup_info 0
		.amdhsa_system_vgpr_workitem_id 1
		.amdhsa_next_free_vgpr 41
		.amdhsa_next_free_sgpr 20
		.amdhsa_reserve_vcc 1
		.amdhsa_reserve_flat_scratch 0
		.amdhsa_float_round_mode_32 0
		.amdhsa_float_round_mode_16_64 0
		.amdhsa_float_denorm_mode_32 3
		.amdhsa_float_denorm_mode_16_64 3
		.amdhsa_dx10_clamp 1
		.amdhsa_ieee_mode 1
		.amdhsa_fp16_overflow 0
		.amdhsa_exception_fp_ieee_invalid_op 0
		.amdhsa_exception_fp_denorm_src 0
		.amdhsa_exception_fp_ieee_div_zero 0
		.amdhsa_exception_fp_ieee_overflow 0
		.amdhsa_exception_fp_ieee_underflow 0
		.amdhsa_exception_fp_ieee_inexact 0
		.amdhsa_exception_int_div_zero 0
	.end_amdhsa_kernel
	.section	.text._ZL37rocblas_syrkx_herkx_restricted_kernelIl19rocblas_complex_numIfELi16ELi32ELi8ELi1ELin1ELb0ELc84ELc76EKPKS1_KPS1_EviT_PT9_S7_lS9_S7_lPT10_S7_li,"axG",@progbits,_ZL37rocblas_syrkx_herkx_restricted_kernelIl19rocblas_complex_numIfELi16ELi32ELi8ELi1ELin1ELb0ELc84ELc76EKPKS1_KPS1_EviT_PT9_S7_lS9_S7_lPT10_S7_li,comdat
.Lfunc_end1548:
	.size	_ZL37rocblas_syrkx_herkx_restricted_kernelIl19rocblas_complex_numIfELi16ELi32ELi8ELi1ELin1ELb0ELc84ELc76EKPKS1_KPS1_EviT_PT9_S7_lS9_S7_lPT10_S7_li, .Lfunc_end1548-_ZL37rocblas_syrkx_herkx_restricted_kernelIl19rocblas_complex_numIfELi16ELi32ELi8ELi1ELin1ELb0ELc84ELc76EKPKS1_KPS1_EviT_PT9_S7_lS9_S7_lPT10_S7_li
                                        ; -- End function
	.set _ZL37rocblas_syrkx_herkx_restricted_kernelIl19rocblas_complex_numIfELi16ELi32ELi8ELi1ELin1ELb0ELc84ELc76EKPKS1_KPS1_EviT_PT9_S7_lS9_S7_lPT10_S7_li.num_vgpr, 41
	.set _ZL37rocblas_syrkx_herkx_restricted_kernelIl19rocblas_complex_numIfELi16ELi32ELi8ELi1ELin1ELb0ELc84ELc76EKPKS1_KPS1_EviT_PT9_S7_lS9_S7_lPT10_S7_li.num_agpr, 0
	.set _ZL37rocblas_syrkx_herkx_restricted_kernelIl19rocblas_complex_numIfELi16ELi32ELi8ELi1ELin1ELb0ELc84ELc76EKPKS1_KPS1_EviT_PT9_S7_lS9_S7_lPT10_S7_li.numbered_sgpr, 20
	.set _ZL37rocblas_syrkx_herkx_restricted_kernelIl19rocblas_complex_numIfELi16ELi32ELi8ELi1ELin1ELb0ELc84ELc76EKPKS1_KPS1_EviT_PT9_S7_lS9_S7_lPT10_S7_li.num_named_barrier, 0
	.set _ZL37rocblas_syrkx_herkx_restricted_kernelIl19rocblas_complex_numIfELi16ELi32ELi8ELi1ELin1ELb0ELc84ELc76EKPKS1_KPS1_EviT_PT9_S7_lS9_S7_lPT10_S7_li.private_seg_size, 0
	.set _ZL37rocblas_syrkx_herkx_restricted_kernelIl19rocblas_complex_numIfELi16ELi32ELi8ELi1ELin1ELb0ELc84ELc76EKPKS1_KPS1_EviT_PT9_S7_lS9_S7_lPT10_S7_li.uses_vcc, 1
	.set _ZL37rocblas_syrkx_herkx_restricted_kernelIl19rocblas_complex_numIfELi16ELi32ELi8ELi1ELin1ELb0ELc84ELc76EKPKS1_KPS1_EviT_PT9_S7_lS9_S7_lPT10_S7_li.uses_flat_scratch, 0
	.set _ZL37rocblas_syrkx_herkx_restricted_kernelIl19rocblas_complex_numIfELi16ELi32ELi8ELi1ELin1ELb0ELc84ELc76EKPKS1_KPS1_EviT_PT9_S7_lS9_S7_lPT10_S7_li.has_dyn_sized_stack, 0
	.set _ZL37rocblas_syrkx_herkx_restricted_kernelIl19rocblas_complex_numIfELi16ELi32ELi8ELi1ELin1ELb0ELc84ELc76EKPKS1_KPS1_EviT_PT9_S7_lS9_S7_lPT10_S7_li.has_recursion, 0
	.set _ZL37rocblas_syrkx_herkx_restricted_kernelIl19rocblas_complex_numIfELi16ELi32ELi8ELi1ELin1ELb0ELc84ELc76EKPKS1_KPS1_EviT_PT9_S7_lS9_S7_lPT10_S7_li.has_indirect_call, 0
	.section	.AMDGPU.csdata,"",@progbits
; Kernel info:
; codeLenInByte = 2020
; TotalNumSgprs: 24
; NumVgprs: 41
; ScratchSize: 0
; MemoryBound: 0
; FloatMode: 240
; IeeeMode: 1
; LDSByteSize: 4096 bytes/workgroup (compile time only)
; SGPRBlocks: 2
; VGPRBlocks: 10
; NumSGPRsForWavesPerEU: 24
; NumVGPRsForWavesPerEU: 41
; Occupancy: 5
; WaveLimiterHint : 1
; COMPUTE_PGM_RSRC2:SCRATCH_EN: 0
; COMPUTE_PGM_RSRC2:USER_SGPR: 6
; COMPUTE_PGM_RSRC2:TRAP_HANDLER: 0
; COMPUTE_PGM_RSRC2:TGID_X_EN: 1
; COMPUTE_PGM_RSRC2:TGID_Y_EN: 1
; COMPUTE_PGM_RSRC2:TGID_Z_EN: 1
; COMPUTE_PGM_RSRC2:TIDIG_COMP_CNT: 1
	.section	.text._ZL37rocblas_syrkx_herkx_restricted_kernelIl19rocblas_complex_numIfELi16ELi32ELi8ELi1ELin1ELb0ELc67ELc76EKPKS1_KPS1_EviT_PT9_S7_lS9_S7_lPT10_S7_li,"axG",@progbits,_ZL37rocblas_syrkx_herkx_restricted_kernelIl19rocblas_complex_numIfELi16ELi32ELi8ELi1ELin1ELb0ELc67ELc76EKPKS1_KPS1_EviT_PT9_S7_lS9_S7_lPT10_S7_li,comdat
	.globl	_ZL37rocblas_syrkx_herkx_restricted_kernelIl19rocblas_complex_numIfELi16ELi32ELi8ELi1ELin1ELb0ELc67ELc76EKPKS1_KPS1_EviT_PT9_S7_lS9_S7_lPT10_S7_li ; -- Begin function _ZL37rocblas_syrkx_herkx_restricted_kernelIl19rocblas_complex_numIfELi16ELi32ELi8ELi1ELin1ELb0ELc67ELc76EKPKS1_KPS1_EviT_PT9_S7_lS9_S7_lPT10_S7_li
	.p2align	8
	.type	_ZL37rocblas_syrkx_herkx_restricted_kernelIl19rocblas_complex_numIfELi16ELi32ELi8ELi1ELin1ELb0ELc67ELc76EKPKS1_KPS1_EviT_PT9_S7_lS9_S7_lPT10_S7_li,@function
_ZL37rocblas_syrkx_herkx_restricted_kernelIl19rocblas_complex_numIfELi16ELi32ELi8ELi1ELin1ELb0ELc67ELc76EKPKS1_KPS1_EviT_PT9_S7_lS9_S7_lPT10_S7_li: ; @_ZL37rocblas_syrkx_herkx_restricted_kernelIl19rocblas_complex_numIfELi16ELi32ELi8ELi1ELin1ELb0ELc67ELc76EKPKS1_KPS1_EviT_PT9_S7_lS9_S7_lPT10_S7_li
; %bb.0:
	s_load_dwordx4 s[12:15], s[4:5], 0x40
	s_load_dwordx4 s[0:3], s[4:5], 0x8
	s_mov_b32 s9, 0
	s_lshl_b64 s[10:11], s[8:9], 3
	s_waitcnt lgkmcnt(0)
	s_add_u32 s8, s12, s10
	s_addc_u32 s9, s13, s11
	s_load_dwordx2 s[8:9], s[8:9], 0x0
	v_cmp_lt_i64_e64 s[12:13], s[0:1], 1
	s_lshl_b32 s6, s6, 5
	s_lshl_b32 s7, s7, 5
	s_and_b64 vcc, exec, s[12:13]
	s_cbranch_vccnz .LBB1549_3
; %bb.1:
	s_load_dwordx2 s[12:13], s[4:5], 0x18
	s_load_dwordx4 s[16:19], s[4:5], 0x28
	v_lshl_add_u32 v4, v1, 4, v0
	v_lshrrev_b32_e32 v6, 3, v4
	v_add_u32_e32 v2, s7, v6
	v_ashrrev_i32_e32 v3, 31, v2
	v_and_b32_e32 v9, 7, v0
	v_mov_b32_e32 v10, 0
	s_waitcnt lgkmcnt(0)
	v_mul_lo_u32 v5, s18, v3
	v_mul_lo_u32 v7, s19, v2
	v_mad_u64_u32 v[2:3], s[18:19], s18, v2, v[9:10]
	s_add_u32 s2, s2, s10
	s_addc_u32 s3, s3, s11
	v_add3_u32 v3, v7, v3, v5
	v_and_b32_e32 v7, 31, v4
	v_lshrrev_b32_e32 v4, 5, v4
	v_lshlrev_b32_e32 v8, 3, v7
	v_lshl_or_b32 v11, v4, 8, v8
	v_lshlrev_b32_e32 v8, 3, v9
	v_lshl_or_b32 v6, v6, 6, v8
	v_add_u32_e32 v12, 0x800, v6
	v_add_u32_e32 v6, s6, v7
	s_add_u32 s10, s16, s10
	v_mov_b32_e32 v5, v10
	v_ashrrev_i32_e32 v7, 31, v6
	s_addc_u32 s11, s17, s11
	v_mul_lo_u32 v7, s12, v7
	v_mad_u64_u32 v[4:5], s[16:17], s12, v6, v[4:5]
	v_mul_lo_u32 v6, s13, v6
	s_load_dwordx2 s[2:3], s[2:3], 0x0
	v_lshlrev_b64 v[2:3], 3, v[2:3]
	s_load_dwordx2 s[10:11], s[10:11], 0x0
	v_add3_u32 v5, v6, v5, v7
	v_lshlrev_b64 v[4:5], 3, v[4:5]
	s_waitcnt lgkmcnt(0)
	v_mov_b32_e32 v7, s3
	v_add_co_u32_e32 v6, vcc, s2, v4
	v_mov_b32_e32 v8, 0x800
	v_addc_co_u32_e32 v7, vcc, v7, v5, vcc
	v_lshl_add_u32 v14, v1, 6, v8
	v_mov_b32_e32 v4, s11
	v_add_co_u32_e32 v8, vcc, s10, v2
	v_lshlrev_b32_e32 v13, 3, v0
	v_addc_co_u32_e32 v9, vcc, v4, v3, vcc
	s_mov_b64 s[2:3], 0
	v_mov_b32_e32 v15, v10
	v_mov_b32_e32 v16, v10
	;; [unrolled: 1-line block ×7, first 2 shown]
.LBB1549_2:                             ; =>This Inner Loop Header: Depth=1
	flat_load_dwordx2 v[2:3], v[6:7]
	v_add_co_u32_e32 v6, vcc, 64, v6
	s_add_u32 s2, s2, 8
	v_addc_co_u32_e32 v7, vcc, 0, v7, vcc
	s_addc_u32 s3, s3, 0
	s_waitcnt vmcnt(0) lgkmcnt(0)
	ds_write_b64 v11, v[2:3]
	flat_load_dwordx2 v[2:3], v[8:9]
	v_add_co_u32_e32 v8, vcc, 64, v8
	v_addc_co_u32_e32 v9, vcc, 0, v9, vcc
	s_waitcnt vmcnt(0) lgkmcnt(0)
	ds_write_b64 v12, v[2:3]
	s_waitcnt lgkmcnt(0)
	s_barrier
	ds_read_b128 v[22:25], v14
	ds_read_b128 v[26:29], v14 offset:16
	ds_read_b128 v[30:33], v14 offset:32
	;; [unrolled: 1-line block ×3, first 2 shown]
	ds_read2_b64 v[34:37], v13 offset1:16
	s_waitcnt lgkmcnt(0)
	v_mul_f32_e32 v38, v23, v35
	v_mul_f32_e32 v39, v22, v35
	v_fma_f32 v38, v22, v34, -v38
	v_fmac_f32_e32 v39, v23, v34
	v_add_f32_e32 v38, v20, v38
	v_add_f32_e32 v39, v21, v39
	v_mul_f32_e32 v20, v23, v37
	v_mul_f32_e32 v21, v22, v37
	v_fma_f32 v20, v22, v36, -v20
	v_fmac_f32_e32 v21, v23, v36
	v_add_f32_e32 v22, v19, v20
	v_add_f32_e32 v23, v18, v21
	ds_read_b128 v[18:21], v14 offset:1024
	s_waitcnt lgkmcnt(0)
	v_mul_f32_e32 v40, v19, v35
	v_mul_f32_e32 v35, v18, v35
	v_fma_f32 v40, v18, v34, -v40
	v_fmac_f32_e32 v35, v19, v34
	v_add_f32_e32 v34, v17, v40
	v_add_f32_e32 v35, v16, v35
	v_mul_f32_e32 v16, v19, v37
	v_mul_f32_e32 v17, v18, v37
	v_fma_f32 v16, v18, v36, -v16
	v_fmac_f32_e32 v17, v19, v36
	v_add_f32_e32 v19, v15, v16
	v_add_f32_e32 v10, v10, v17
	ds_read2_b64 v[15:18], v13 offset0:32 offset1:48
	s_waitcnt lgkmcnt(0)
	v_mul_f32_e32 v36, v25, v16
	v_fma_f32 v36, v24, v15, -v36
	v_add_f32_e32 v36, v38, v36
	v_mul_f32_e32 v38, v25, v18
	v_mul_f32_e32 v37, v24, v16
	v_fma_f32 v38, v24, v17, -v38
	v_mul_f32_e32 v24, v24, v18
	v_fmac_f32_e32 v24, v25, v17
	v_add_f32_e32 v23, v23, v24
	v_mul_f32_e32 v24, v21, v16
	v_mul_f32_e32 v16, v20, v16
	v_fmac_f32_e32 v16, v21, v15
	v_fmac_f32_e32 v37, v25, v15
	v_fma_f32 v24, v20, v15, -v24
	v_add_f32_e32 v25, v35, v16
	v_mul_f32_e32 v15, v21, v18
	v_mul_f32_e32 v16, v20, v18
	v_fma_f32 v15, v20, v17, -v15
	v_fmac_f32_e32 v16, v21, v17
	v_add_f32_e32 v24, v34, v24
	v_add_f32_e32 v34, v19, v15
	;; [unrolled: 1-line block ×3, first 2 shown]
	ds_read2_b64 v[15:18], v13 offset0:64 offset1:80
	v_add_f32_e32 v37, v39, v37
	v_add_f32_e32 v22, v22, v38
	s_waitcnt lgkmcnt(0)
	v_mul_f32_e32 v19, v27, v16
	v_mul_f32_e32 v20, v26, v16
	v_fma_f32 v19, v26, v15, -v19
	v_fmac_f32_e32 v20, v27, v15
	v_add_f32_e32 v35, v36, v19
	v_add_f32_e32 v36, v37, v20
	v_mul_f32_e32 v19, v27, v18
	v_mul_f32_e32 v20, v26, v18
	v_fma_f32 v19, v26, v17, -v19
	v_fmac_f32_e32 v20, v27, v17
	v_add_f32_e32 v26, v22, v19
	v_add_f32_e32 v23, v23, v20
	ds_read_b128 v[19:22], v14 offset:1040
	s_waitcnt lgkmcnt(0)
	v_mul_f32_e32 v27, v20, v16
	v_mul_f32_e32 v16, v19, v16
	v_fmac_f32_e32 v16, v20, v15
	v_fma_f32 v27, v19, v15, -v27
	v_add_f32_e32 v25, v25, v16
	v_mul_f32_e32 v15, v20, v18
	v_mul_f32_e32 v16, v19, v18
	v_fma_f32 v15, v19, v17, -v15
	v_fmac_f32_e32 v16, v20, v17
	v_add_f32_e32 v19, v34, v15
	v_add_f32_e32 v10, v10, v16
	ds_read2_b64 v[15:18], v13 offset0:96 offset1:112
	v_add_f32_e32 v24, v24, v27
	s_waitcnt lgkmcnt(0)
	v_mul_f32_e32 v20, v29, v16
	v_mul_f32_e32 v34, v29, v18
	v_fma_f32 v20, v28, v15, -v20
	v_mul_f32_e32 v27, v28, v16
	v_fma_f32 v34, v28, v17, -v34
	v_mul_f32_e32 v28, v28, v18
	v_fmac_f32_e32 v28, v29, v17
	v_add_f32_e32 v23, v23, v28
	v_mul_f32_e32 v28, v22, v16
	v_mul_f32_e32 v16, v21, v16
	v_fmac_f32_e32 v16, v22, v15
	v_fmac_f32_e32 v27, v29, v15
	v_fma_f32 v28, v21, v15, -v28
	v_add_f32_e32 v25, v25, v16
	v_mul_f32_e32 v15, v22, v18
	v_mul_f32_e32 v16, v21, v18
	v_fma_f32 v15, v21, v17, -v15
	v_fmac_f32_e32 v16, v22, v17
	v_add_f32_e32 v24, v24, v28
	v_add_f32_e32 v28, v19, v15
	;; [unrolled: 1-line block ×3, first 2 shown]
	ds_read2_b64 v[15:18], v13 offset0:128 offset1:144
	v_add_f32_e32 v20, v35, v20
	v_add_f32_e32 v27, v36, v27
	;; [unrolled: 1-line block ×3, first 2 shown]
	s_waitcnt lgkmcnt(0)
	v_mul_f32_e32 v19, v31, v16
	v_fma_f32 v19, v30, v15, -v19
	v_mul_f32_e32 v21, v30, v16
	v_add_f32_e32 v29, v20, v19
	v_mul_f32_e32 v19, v31, v18
	v_mul_f32_e32 v20, v30, v18
	v_fmac_f32_e32 v21, v31, v15
	v_fma_f32 v19, v30, v17, -v19
	v_fmac_f32_e32 v20, v31, v17
	v_add_f32_e32 v27, v27, v21
	v_add_f32_e32 v26, v26, v19
	;; [unrolled: 1-line block ×3, first 2 shown]
	ds_read_b128 v[19:22], v14 offset:1056
	s_waitcnt lgkmcnt(0)
	v_mul_f32_e32 v30, v20, v16
	v_mul_f32_e32 v16, v19, v16
	v_fmac_f32_e32 v16, v20, v15
	v_fma_f32 v30, v19, v15, -v30
	v_add_f32_e32 v25, v25, v16
	v_mul_f32_e32 v15, v20, v18
	v_mul_f32_e32 v16, v19, v18
	v_fma_f32 v15, v19, v17, -v15
	v_fmac_f32_e32 v16, v20, v17
	v_add_f32_e32 v19, v28, v15
	v_add_f32_e32 v10, v10, v16
	ds_read2_b64 v[15:18], v13 offset0:160 offset1:176
	v_add_f32_e32 v24, v24, v30
	s_waitcnt lgkmcnt(0)
	v_mul_f32_e32 v28, v32, v16
	v_fmac_f32_e32 v28, v33, v15
	v_add_f32_e32 v27, v27, v28
	v_mul_f32_e32 v28, v33, v18
	v_fma_f32 v28, v32, v17, -v28
	v_mul_f32_e32 v20, v33, v16
	v_add_f32_e32 v26, v26, v28
	v_mul_f32_e32 v28, v22, v16
	v_mul_f32_e32 v16, v21, v16
	v_fmac_f32_e32 v16, v22, v15
	v_fma_f32 v20, v32, v15, -v20
	v_fma_f32 v28, v21, v15, -v28
	v_add_f32_e32 v25, v25, v16
	v_mul_f32_e32 v15, v22, v18
	v_mul_f32_e32 v16, v21, v18
	v_add_f32_e32 v20, v29, v20
	v_mul_f32_e32 v29, v32, v18
	v_fma_f32 v15, v21, v17, -v15
	v_fmac_f32_e32 v16, v22, v17
	v_fmac_f32_e32 v29, v33, v17
	v_add_f32_e32 v19, v19, v15
	v_add_f32_e32 v10, v10, v16
	ds_read2_b64 v[15:18], v13 offset0:192 offset1:208
	v_add_f32_e32 v24, v24, v28
	v_add_f32_e32 v23, v23, v29
	s_waitcnt lgkmcnt(0)
	v_mul_f32_e32 v21, v3, v16
	v_fma_f32 v21, v2, v15, -v21
	v_add_f32_e32 v28, v20, v21
	v_mul_f32_e32 v20, v3, v18
	v_mul_f32_e32 v22, v2, v16
	v_fma_f32 v20, v2, v17, -v20
	v_mul_f32_e32 v2, v2, v18
	v_fmac_f32_e32 v22, v3, v15
	v_fmac_f32_e32 v2, v3, v17
	v_add_f32_e32 v29, v27, v22
	v_add_f32_e32 v3, v26, v20
	;; [unrolled: 1-line block ×3, first 2 shown]
	ds_read_b128 v[20:23], v14 offset:1072
	s_waitcnt lgkmcnt(0)
	v_mul_f32_e32 v26, v21, v16
	v_fma_f32 v26, v20, v15, -v26
	v_mul_f32_e32 v16, v20, v16
	v_fmac_f32_e32 v16, v21, v15
	v_add_f32_e32 v15, v24, v26
	v_mul_f32_e32 v24, v21, v18
	v_fma_f32 v24, v20, v17, -v24
	v_add_f32_e32 v16, v25, v16
	v_add_f32_e32 v30, v19, v24
	ds_read2_b64 v[24:27], v13 offset0:224 offset1:240
	v_mul_f32_e32 v18, v20, v18
	v_fmac_f32_e32 v18, v21, v17
	v_add_f32_e32 v10, v10, v18
	s_waitcnt lgkmcnt(0)
	v_mul_f32_e32 v17, v5, v25
	v_fma_f32 v17, v4, v24, -v17
	v_add_f32_e32 v20, v28, v17
	v_mul_f32_e32 v17, v5, v27
	v_mul_f32_e32 v18, v4, v25
	v_fma_f32 v17, v4, v26, -v17
	v_mul_f32_e32 v4, v4, v27
	v_fmac_f32_e32 v18, v5, v24
	v_fmac_f32_e32 v4, v5, v26
	v_add_f32_e32 v21, v29, v18
	v_add_f32_e32 v19, v3, v17
	;; [unrolled: 1-line block ×3, first 2 shown]
	v_mul_f32_e32 v2, v23, v25
	v_mul_f32_e32 v3, v22, v25
	v_fma_f32 v2, v22, v24, -v2
	v_fmac_f32_e32 v3, v23, v24
	v_add_f32_e32 v17, v15, v2
	v_add_f32_e32 v16, v16, v3
	v_mul_f32_e32 v2, v23, v27
	v_mul_f32_e32 v3, v22, v27
	v_fma_f32 v2, v22, v26, -v2
	v_fmac_f32_e32 v3, v23, v26
	v_add_f32_e32 v15, v30, v2
	v_add_f32_e32 v10, v10, v3
	v_mov_b32_e32 v2, s2
	v_mov_b32_e32 v3, s3
	v_cmp_le_u64_e32 vcc, s[0:1], v[2:3]
	s_barrier
	s_cbranch_vccz .LBB1549_2
	s_branch .LBB1549_4
.LBB1549_3:
	v_mov_b32_e32 v20, 0
	v_mov_b32_e32 v21, 0
	;; [unrolled: 1-line block ×8, first 2 shown]
.LBB1549_4:
	v_add_u32_e32 v4, s7, v1
	v_ashrrev_i32_e32 v1, 31, v4
	v_mul_lo_u32 v3, s14, v1
	v_mul_lo_u32 v5, s15, v4
	v_mad_u64_u32 v[1:2], s[0:1], s14, v4, 0
	s_load_dword s4, s[4:5], 0x0
	v_add_u32_e32 v0, s6, v0
	v_add3_u32 v2, v2, v3, v5
	v_lshlrev_b64 v[1:2], 3, v[1:2]
	s_waitcnt lgkmcnt(0)
	v_mov_b32_e32 v3, s9
	v_add_co_u32_e32 v5, vcc, s8, v1
	v_addc_co_u32_e32 v6, vcc, v3, v2, vcc
	v_cmp_le_i32_e64 s[0:1], v4, v0
	v_cmp_gt_i32_e32 vcc, s4, v0
	s_and_b64 s[0:1], s[0:1], vcc
	s_and_saveexec_b64 s[2:3], s[0:1]
	s_cbranch_execz .LBB1549_6
; %bb.5:
	v_ashrrev_i32_e32 v1, 31, v0
	v_lshlrev_b64 v[1:2], 3, v[0:1]
	v_add_co_u32_e64 v1, s[0:1], v5, v1
	v_addc_co_u32_e64 v2, s[0:1], v6, v2, s[0:1]
	flat_load_dwordx2 v[7:8], v[1:2]
	s_waitcnt vmcnt(0) lgkmcnt(0)
	v_sub_f32_e32 v7, v20, v7
	v_sub_f32_e32 v8, v21, v8
	flat_store_dwordx2 v[1:2], v[7:8]
.LBB1549_6:
	s_or_b64 exec, exec, s[2:3]
	v_add_u32_e32 v2, 16, v0
	v_cmp_le_i32_e64 s[2:3], v4, v2
	v_cmp_gt_i32_e64 s[0:1], s4, v2
	s_and_b64 s[2:3], s[2:3], s[0:1]
	s_and_saveexec_b64 s[4:5], s[2:3]
	s_cbranch_execz .LBB1549_8
; %bb.7:
	v_ashrrev_i32_e32 v3, 31, v2
	v_lshlrev_b64 v[7:8], 3, v[2:3]
	v_add_co_u32_e64 v5, s[2:3], v5, v7
	v_addc_co_u32_e64 v6, s[2:3], v6, v8, s[2:3]
	flat_load_dwordx2 v[7:8], v[5:6]
	s_waitcnt vmcnt(0) lgkmcnt(0)
	v_sub_f32_e32 v7, v19, v7
	v_sub_f32_e32 v8, v18, v8
	flat_store_dwordx2 v[5:6], v[7:8]
.LBB1549_8:
	s_or_b64 exec, exec, s[4:5]
	v_add_u32_e32 v3, 16, v4
	v_ashrrev_i32_e32 v1, 31, v3
	v_mul_lo_u32 v6, s15, v3
	v_mad_u64_u32 v[4:5], s[2:3], s14, v3, 0
	v_mul_lo_u32 v1, s14, v1
	v_add3_u32 v5, v5, v1, v6
	v_lshlrev_b64 v[4:5], 3, v[4:5]
	v_mov_b32_e32 v1, s9
	v_add_co_u32_e64 v4, s[2:3], s8, v4
	v_addc_co_u32_e64 v5, s[2:3], v1, v5, s[2:3]
	v_cmp_le_i32_e64 s[2:3], v3, v0
	s_and_b64 s[4:5], s[2:3], vcc
	s_and_saveexec_b64 s[2:3], s[4:5]
	s_cbranch_execz .LBB1549_10
; %bb.9:
	v_ashrrev_i32_e32 v1, 31, v0
	v_lshlrev_b64 v[0:1], 3, v[0:1]
	v_add_co_u32_e32 v0, vcc, v4, v0
	v_addc_co_u32_e32 v1, vcc, v5, v1, vcc
	flat_load_dwordx2 v[6:7], v[0:1]
	s_waitcnt vmcnt(0) lgkmcnt(0)
	v_sub_f32_e32 v6, v17, v6
	v_sub_f32_e32 v7, v16, v7
	flat_store_dwordx2 v[0:1], v[6:7]
.LBB1549_10:
	s_or_b64 exec, exec, s[2:3]
	v_cmp_le_i32_e32 vcc, v3, v2
	s_and_b64 s[0:1], vcc, s[0:1]
	s_and_saveexec_b64 s[2:3], s[0:1]
	s_cbranch_execz .LBB1549_12
; %bb.11:
	v_ashrrev_i32_e32 v3, 31, v2
	v_lshlrev_b64 v[0:1], 3, v[2:3]
	v_add_co_u32_e32 v0, vcc, v4, v0
	v_addc_co_u32_e32 v1, vcc, v5, v1, vcc
	flat_load_dwordx2 v[2:3], v[0:1]
	s_waitcnt vmcnt(0) lgkmcnt(0)
	v_sub_f32_e32 v2, v15, v2
	v_sub_f32_e32 v3, v10, v3
	flat_store_dwordx2 v[0:1], v[2:3]
.LBB1549_12:
	s_endpgm
	.section	.rodata,"a",@progbits
	.p2align	6, 0x0
	.amdhsa_kernel _ZL37rocblas_syrkx_herkx_restricted_kernelIl19rocblas_complex_numIfELi16ELi32ELi8ELi1ELin1ELb0ELc67ELc76EKPKS1_KPS1_EviT_PT9_S7_lS9_S7_lPT10_S7_li
		.amdhsa_group_segment_fixed_size 4096
		.amdhsa_private_segment_fixed_size 0
		.amdhsa_kernarg_size 92
		.amdhsa_user_sgpr_count 6
		.amdhsa_user_sgpr_private_segment_buffer 1
		.amdhsa_user_sgpr_dispatch_ptr 0
		.amdhsa_user_sgpr_queue_ptr 0
		.amdhsa_user_sgpr_kernarg_segment_ptr 1
		.amdhsa_user_sgpr_dispatch_id 0
		.amdhsa_user_sgpr_flat_scratch_init 0
		.amdhsa_user_sgpr_private_segment_size 0
		.amdhsa_uses_dynamic_stack 0
		.amdhsa_system_sgpr_private_segment_wavefront_offset 0
		.amdhsa_system_sgpr_workgroup_id_x 1
		.amdhsa_system_sgpr_workgroup_id_y 1
		.amdhsa_system_sgpr_workgroup_id_z 1
		.amdhsa_system_sgpr_workgroup_info 0
		.amdhsa_system_vgpr_workitem_id 1
		.amdhsa_next_free_vgpr 41
		.amdhsa_next_free_sgpr 20
		.amdhsa_reserve_vcc 1
		.amdhsa_reserve_flat_scratch 0
		.amdhsa_float_round_mode_32 0
		.amdhsa_float_round_mode_16_64 0
		.amdhsa_float_denorm_mode_32 3
		.amdhsa_float_denorm_mode_16_64 3
		.amdhsa_dx10_clamp 1
		.amdhsa_ieee_mode 1
		.amdhsa_fp16_overflow 0
		.amdhsa_exception_fp_ieee_invalid_op 0
		.amdhsa_exception_fp_denorm_src 0
		.amdhsa_exception_fp_ieee_div_zero 0
		.amdhsa_exception_fp_ieee_overflow 0
		.amdhsa_exception_fp_ieee_underflow 0
		.amdhsa_exception_fp_ieee_inexact 0
		.amdhsa_exception_int_div_zero 0
	.end_amdhsa_kernel
	.section	.text._ZL37rocblas_syrkx_herkx_restricted_kernelIl19rocblas_complex_numIfELi16ELi32ELi8ELi1ELin1ELb0ELc67ELc76EKPKS1_KPS1_EviT_PT9_S7_lS9_S7_lPT10_S7_li,"axG",@progbits,_ZL37rocblas_syrkx_herkx_restricted_kernelIl19rocblas_complex_numIfELi16ELi32ELi8ELi1ELin1ELb0ELc67ELc76EKPKS1_KPS1_EviT_PT9_S7_lS9_S7_lPT10_S7_li,comdat
.Lfunc_end1549:
	.size	_ZL37rocblas_syrkx_herkx_restricted_kernelIl19rocblas_complex_numIfELi16ELi32ELi8ELi1ELin1ELb0ELc67ELc76EKPKS1_KPS1_EviT_PT9_S7_lS9_S7_lPT10_S7_li, .Lfunc_end1549-_ZL37rocblas_syrkx_herkx_restricted_kernelIl19rocblas_complex_numIfELi16ELi32ELi8ELi1ELin1ELb0ELc67ELc76EKPKS1_KPS1_EviT_PT9_S7_lS9_S7_lPT10_S7_li
                                        ; -- End function
	.set _ZL37rocblas_syrkx_herkx_restricted_kernelIl19rocblas_complex_numIfELi16ELi32ELi8ELi1ELin1ELb0ELc67ELc76EKPKS1_KPS1_EviT_PT9_S7_lS9_S7_lPT10_S7_li.num_vgpr, 41
	.set _ZL37rocblas_syrkx_herkx_restricted_kernelIl19rocblas_complex_numIfELi16ELi32ELi8ELi1ELin1ELb0ELc67ELc76EKPKS1_KPS1_EviT_PT9_S7_lS9_S7_lPT10_S7_li.num_agpr, 0
	.set _ZL37rocblas_syrkx_herkx_restricted_kernelIl19rocblas_complex_numIfELi16ELi32ELi8ELi1ELin1ELb0ELc67ELc76EKPKS1_KPS1_EviT_PT9_S7_lS9_S7_lPT10_S7_li.numbered_sgpr, 20
	.set _ZL37rocblas_syrkx_herkx_restricted_kernelIl19rocblas_complex_numIfELi16ELi32ELi8ELi1ELin1ELb0ELc67ELc76EKPKS1_KPS1_EviT_PT9_S7_lS9_S7_lPT10_S7_li.num_named_barrier, 0
	.set _ZL37rocblas_syrkx_herkx_restricted_kernelIl19rocblas_complex_numIfELi16ELi32ELi8ELi1ELin1ELb0ELc67ELc76EKPKS1_KPS1_EviT_PT9_S7_lS9_S7_lPT10_S7_li.private_seg_size, 0
	.set _ZL37rocblas_syrkx_herkx_restricted_kernelIl19rocblas_complex_numIfELi16ELi32ELi8ELi1ELin1ELb0ELc67ELc76EKPKS1_KPS1_EviT_PT9_S7_lS9_S7_lPT10_S7_li.uses_vcc, 1
	.set _ZL37rocblas_syrkx_herkx_restricted_kernelIl19rocblas_complex_numIfELi16ELi32ELi8ELi1ELin1ELb0ELc67ELc76EKPKS1_KPS1_EviT_PT9_S7_lS9_S7_lPT10_S7_li.uses_flat_scratch, 0
	.set _ZL37rocblas_syrkx_herkx_restricted_kernelIl19rocblas_complex_numIfELi16ELi32ELi8ELi1ELin1ELb0ELc67ELc76EKPKS1_KPS1_EviT_PT9_S7_lS9_S7_lPT10_S7_li.has_dyn_sized_stack, 0
	.set _ZL37rocblas_syrkx_herkx_restricted_kernelIl19rocblas_complex_numIfELi16ELi32ELi8ELi1ELin1ELb0ELc67ELc76EKPKS1_KPS1_EviT_PT9_S7_lS9_S7_lPT10_S7_li.has_recursion, 0
	.set _ZL37rocblas_syrkx_herkx_restricted_kernelIl19rocblas_complex_numIfELi16ELi32ELi8ELi1ELin1ELb0ELc67ELc76EKPKS1_KPS1_EviT_PT9_S7_lS9_S7_lPT10_S7_li.has_indirect_call, 0
	.section	.AMDGPU.csdata,"",@progbits
; Kernel info:
; codeLenInByte = 2020
; TotalNumSgprs: 24
; NumVgprs: 41
; ScratchSize: 0
; MemoryBound: 0
; FloatMode: 240
; IeeeMode: 1
; LDSByteSize: 4096 bytes/workgroup (compile time only)
; SGPRBlocks: 2
; VGPRBlocks: 10
; NumSGPRsForWavesPerEU: 24
; NumVGPRsForWavesPerEU: 41
; Occupancy: 5
; WaveLimiterHint : 1
; COMPUTE_PGM_RSRC2:SCRATCH_EN: 0
; COMPUTE_PGM_RSRC2:USER_SGPR: 6
; COMPUTE_PGM_RSRC2:TRAP_HANDLER: 0
; COMPUTE_PGM_RSRC2:TGID_X_EN: 1
; COMPUTE_PGM_RSRC2:TGID_Y_EN: 1
; COMPUTE_PGM_RSRC2:TGID_Z_EN: 1
; COMPUTE_PGM_RSRC2:TIDIG_COMP_CNT: 1
	.section	.text._ZL37rocblas_syrkx_herkx_restricted_kernelIl19rocblas_complex_numIfELi16ELi32ELi8ELi1ELin1ELb0ELc78ELc76EKPKS1_KPS1_EviT_PT9_S7_lS9_S7_lPT10_S7_li,"axG",@progbits,_ZL37rocblas_syrkx_herkx_restricted_kernelIl19rocblas_complex_numIfELi16ELi32ELi8ELi1ELin1ELb0ELc78ELc76EKPKS1_KPS1_EviT_PT9_S7_lS9_S7_lPT10_S7_li,comdat
	.globl	_ZL37rocblas_syrkx_herkx_restricted_kernelIl19rocblas_complex_numIfELi16ELi32ELi8ELi1ELin1ELb0ELc78ELc76EKPKS1_KPS1_EviT_PT9_S7_lS9_S7_lPT10_S7_li ; -- Begin function _ZL37rocblas_syrkx_herkx_restricted_kernelIl19rocblas_complex_numIfELi16ELi32ELi8ELi1ELin1ELb0ELc78ELc76EKPKS1_KPS1_EviT_PT9_S7_lS9_S7_lPT10_S7_li
	.p2align	8
	.type	_ZL37rocblas_syrkx_herkx_restricted_kernelIl19rocblas_complex_numIfELi16ELi32ELi8ELi1ELin1ELb0ELc78ELc76EKPKS1_KPS1_EviT_PT9_S7_lS9_S7_lPT10_S7_li,@function
_ZL37rocblas_syrkx_herkx_restricted_kernelIl19rocblas_complex_numIfELi16ELi32ELi8ELi1ELin1ELb0ELc78ELc76EKPKS1_KPS1_EviT_PT9_S7_lS9_S7_lPT10_S7_li: ; @_ZL37rocblas_syrkx_herkx_restricted_kernelIl19rocblas_complex_numIfELi16ELi32ELi8ELi1ELin1ELb0ELc78ELc76EKPKS1_KPS1_EviT_PT9_S7_lS9_S7_lPT10_S7_li
; %bb.0:
	s_load_dwordx4 s[12:15], s[4:5], 0x40
	s_load_dwordx4 s[0:3], s[4:5], 0x8
	s_mov_b32 s9, 0
	s_lshl_b64 s[16:17], s[8:9], 3
	s_waitcnt lgkmcnt(0)
	s_add_u32 s8, s12, s16
	s_addc_u32 s9, s13, s17
	s_load_dwordx2 s[12:13], s[8:9], 0x0
	v_cmp_lt_i64_e64 s[8:9], s[0:1], 1
	s_lshl_b32 s18, s6, 5
	s_lshl_b32 s19, s7, 5
	s_and_b64 vcc, exec, s[8:9]
	s_cbranch_vccnz .LBB1550_3
; %bb.1:
	s_load_dwordx2 s[6:7], s[4:5], 0x18
	s_load_dwordx4 s[8:11], s[4:5], 0x28
	v_lshl_add_u32 v5, v1, 4, v0
	v_lshrrev_b32_e32 v7, 3, v5
	v_add_u32_e32 v2, s19, v7
	v_and_b32_e32 v6, 7, v0
	v_ashrrev_i32_e32 v3, 31, v2
	s_waitcnt lgkmcnt(0)
	v_mad_u64_u32 v[2:3], s[20:21], s10, v6, v[2:3]
	s_add_u32 s2, s2, s16
	s_addc_u32 s3, s3, s17
	v_mad_u64_u32 v[3:4], s[20:21], s11, v6, v[3:4]
	v_and_b32_e32 v4, 31, v5
	v_lshrrev_b32_e32 v8, 5, v5
	v_lshlrev_b32_e32 v5, 3, v4
	v_add_u32_e32 v4, s18, v4
	s_add_u32 s8, s8, s16
	v_lshl_or_b32 v10, v8, 8, v5
	v_ashrrev_i32_e32 v5, 31, v4
	s_addc_u32 s9, s9, s17
	v_mad_u64_u32 v[4:5], s[16:17], s6, v8, v[4:5]
	v_lshlrev_b32_e32 v6, 3, v6
	v_lshl_or_b32 v6, v7, 6, v6
	v_add_u32_e32 v11, 0x800, v6
	v_mad_u64_u32 v[5:6], s[16:17], s7, v8, v[5:6]
	s_load_dwordx2 s[2:3], s[2:3], 0x0
	v_mov_b32_e32 v6, 0x800
	s_load_dwordx2 s[8:9], s[8:9], 0x0
	v_lshlrev_b64 v[4:5], 3, v[4:5]
	v_lshl_add_u32 v13, v1, 6, v6
	s_waitcnt lgkmcnt(0)
	v_mov_b32_e32 v7, s3
	v_add_co_u32_e32 v6, vcc, s2, v4
	v_lshlrev_b64 v[2:3], 3, v[2:3]
	v_addc_co_u32_e32 v7, vcc, v7, v5, vcc
	s_lshl_b64 s[2:3], s[6:7], 6
	v_mov_b32_e32 v4, s9
	v_add_co_u32_e32 v8, vcc, s8, v2
	s_lshl_b64 s[6:7], s[10:11], 6
	v_lshlrev_b32_e32 v12, 3, v0
	v_addc_co_u32_e32 v9, vcc, v4, v3, vcc
	v_mov_b32_e32 v16, 0
	s_mov_b64 s[8:9], 0
	v_mov_b32_e32 v14, s3
	v_mov_b32_e32 v15, s7
	;; [unrolled: 1-line block ×9, first 2 shown]
.LBB1550_2:                             ; =>This Inner Loop Header: Depth=1
	flat_load_dwordx2 v[2:3], v[6:7]
	v_add_co_u32_e32 v6, vcc, s2, v6
	s_add_u32 s8, s8, 8
	v_addc_co_u32_e32 v7, vcc, v7, v14, vcc
	s_addc_u32 s9, s9, 0
	s_waitcnt vmcnt(0) lgkmcnt(0)
	ds_write_b64 v10, v[2:3]
	flat_load_dwordx2 v[2:3], v[8:9]
	v_add_co_u32_e32 v8, vcc, s6, v8
	v_addc_co_u32_e32 v9, vcc, v9, v15, vcc
	s_waitcnt vmcnt(0) lgkmcnt(0)
	ds_write_b64 v11, v[2:3]
	s_waitcnt lgkmcnt(0)
	s_barrier
	ds_read_b128 v[24:27], v13
	ds_read_b128 v[28:31], v13 offset:16
	ds_read_b128 v[32:35], v13 offset:32
	;; [unrolled: 1-line block ×3, first 2 shown]
	ds_read2_b64 v[36:39], v12 offset1:16
	s_waitcnt lgkmcnt(0)
	v_mul_f32_e32 v40, v25, v37
	v_mul_f32_e32 v41, v24, v37
	v_fma_f32 v40, v24, v36, -v40
	v_fmac_f32_e32 v41, v25, v36
	v_add_f32_e32 v40, v22, v40
	v_add_f32_e32 v41, v23, v41
	v_mul_f32_e32 v22, v25, v39
	v_mul_f32_e32 v23, v24, v39
	v_fma_f32 v22, v24, v38, -v22
	v_fmac_f32_e32 v23, v25, v38
	v_add_f32_e32 v24, v21, v22
	v_add_f32_e32 v25, v20, v23
	ds_read_b128 v[20:23], v13 offset:1024
	s_waitcnt lgkmcnt(0)
	v_mul_f32_e32 v42, v21, v37
	v_mul_f32_e32 v37, v20, v37
	v_fma_f32 v42, v20, v36, -v42
	v_fmac_f32_e32 v37, v21, v36
	v_add_f32_e32 v36, v19, v42
	v_add_f32_e32 v37, v18, v37
	v_mul_f32_e32 v18, v21, v39
	v_mul_f32_e32 v19, v20, v39
	v_fma_f32 v18, v20, v38, -v18
	v_fmac_f32_e32 v19, v21, v38
	v_add_f32_e32 v20, v17, v18
	v_add_f32_e32 v21, v16, v19
	ds_read2_b64 v[16:19], v12 offset0:32 offset1:48
	s_waitcnt lgkmcnt(0)
	v_mul_f32_e32 v38, v27, v17
	v_fma_f32 v38, v26, v16, -v38
	v_add_f32_e32 v38, v40, v38
	v_mul_f32_e32 v40, v27, v19
	v_mul_f32_e32 v39, v26, v17
	v_fma_f32 v40, v26, v18, -v40
	v_mul_f32_e32 v26, v26, v19
	v_fmac_f32_e32 v26, v27, v18
	v_add_f32_e32 v25, v25, v26
	v_mul_f32_e32 v26, v23, v17
	v_mul_f32_e32 v17, v22, v17
	v_fmac_f32_e32 v17, v23, v16
	v_fmac_f32_e32 v39, v27, v16
	v_fma_f32 v26, v22, v16, -v26
	v_add_f32_e32 v27, v37, v17
	v_mul_f32_e32 v16, v23, v19
	v_mul_f32_e32 v17, v22, v19
	v_fma_f32 v16, v22, v18, -v16
	v_fmac_f32_e32 v17, v23, v18
	v_add_f32_e32 v26, v36, v26
	v_add_f32_e32 v36, v20, v16
	;; [unrolled: 1-line block ×3, first 2 shown]
	ds_read2_b64 v[16:19], v12 offset0:64 offset1:80
	v_add_f32_e32 v39, v41, v39
	v_add_f32_e32 v24, v24, v40
	s_waitcnt lgkmcnt(0)
	v_mul_f32_e32 v20, v29, v17
	v_mul_f32_e32 v21, v28, v17
	v_fma_f32 v20, v28, v16, -v20
	v_fmac_f32_e32 v21, v29, v16
	v_add_f32_e32 v38, v38, v20
	v_add_f32_e32 v39, v39, v21
	v_mul_f32_e32 v20, v29, v19
	v_mul_f32_e32 v21, v28, v19
	v_fma_f32 v20, v28, v18, -v20
	v_fmac_f32_e32 v21, v29, v18
	v_add_f32_e32 v24, v24, v20
	v_add_f32_e32 v25, v25, v21
	ds_read_b128 v[20:23], v13 offset:1040
	s_waitcnt lgkmcnt(0)
	v_mul_f32_e32 v28, v21, v17
	v_mul_f32_e32 v17, v20, v17
	v_fmac_f32_e32 v17, v21, v16
	v_fma_f32 v28, v20, v16, -v28
	v_add_f32_e32 v27, v27, v17
	v_mul_f32_e32 v16, v21, v19
	v_mul_f32_e32 v17, v20, v19
	v_fma_f32 v16, v20, v18, -v16
	v_fmac_f32_e32 v17, v21, v18
	v_add_f32_e32 v20, v36, v16
	v_add_f32_e32 v21, v37, v17
	ds_read2_b64 v[16:19], v12 offset0:96 offset1:112
	v_add_f32_e32 v26, v26, v28
	s_waitcnt lgkmcnt(0)
	v_mul_f32_e32 v28, v31, v17
	v_mul_f32_e32 v36, v31, v19
	v_fma_f32 v28, v30, v16, -v28
	v_mul_f32_e32 v29, v30, v17
	v_fma_f32 v36, v30, v18, -v36
	v_mul_f32_e32 v30, v30, v19
	v_fmac_f32_e32 v30, v31, v18
	v_add_f32_e32 v25, v25, v30
	v_mul_f32_e32 v30, v23, v17
	v_mul_f32_e32 v17, v22, v17
	v_fmac_f32_e32 v17, v23, v16
	v_fmac_f32_e32 v29, v31, v16
	v_fma_f32 v30, v22, v16, -v30
	v_add_f32_e32 v27, v27, v17
	v_mul_f32_e32 v16, v23, v19
	v_mul_f32_e32 v17, v22, v19
	v_fma_f32 v16, v22, v18, -v16
	v_fmac_f32_e32 v17, v23, v18
	v_add_f32_e32 v26, v26, v30
	v_add_f32_e32 v30, v20, v16
	;; [unrolled: 1-line block ×3, first 2 shown]
	ds_read2_b64 v[16:19], v12 offset0:128 offset1:144
	v_add_f32_e32 v28, v38, v28
	v_add_f32_e32 v29, v39, v29
	;; [unrolled: 1-line block ×3, first 2 shown]
	s_waitcnt lgkmcnt(0)
	v_mul_f32_e32 v20, v33, v17
	v_mul_f32_e32 v21, v32, v17
	v_fma_f32 v20, v32, v16, -v20
	v_fmac_f32_e32 v21, v33, v16
	v_add_f32_e32 v28, v28, v20
	v_add_f32_e32 v29, v29, v21
	v_mul_f32_e32 v20, v33, v19
	v_mul_f32_e32 v21, v32, v19
	v_fma_f32 v20, v32, v18, -v20
	v_fmac_f32_e32 v21, v33, v18
	v_add_f32_e32 v24, v24, v20
	v_add_f32_e32 v25, v25, v21
	ds_read_b128 v[20:23], v13 offset:1056
	s_waitcnt lgkmcnt(0)
	v_mul_f32_e32 v32, v21, v17
	v_mul_f32_e32 v17, v20, v17
	v_fmac_f32_e32 v17, v21, v16
	v_fma_f32 v32, v20, v16, -v32
	v_add_f32_e32 v27, v27, v17
	v_mul_f32_e32 v16, v21, v19
	v_mul_f32_e32 v17, v20, v19
	v_fma_f32 v16, v20, v18, -v16
	v_fmac_f32_e32 v17, v21, v18
	v_add_f32_e32 v20, v30, v16
	v_add_f32_e32 v21, v31, v17
	ds_read2_b64 v[16:19], v12 offset0:160 offset1:176
	v_add_f32_e32 v26, v26, v32
	s_waitcnt lgkmcnt(0)
	v_mul_f32_e32 v30, v35, v17
	v_fma_f32 v30, v34, v16, -v30
	v_add_f32_e32 v28, v28, v30
	v_mul_f32_e32 v30, v35, v19
	v_fma_f32 v30, v34, v18, -v30
	v_mul_f32_e32 v31, v34, v17
	v_add_f32_e32 v24, v24, v30
	v_mul_f32_e32 v30, v23, v17
	v_mul_f32_e32 v17, v22, v17
	v_fmac_f32_e32 v17, v23, v16
	v_fmac_f32_e32 v31, v35, v16
	v_fma_f32 v30, v22, v16, -v30
	v_add_f32_e32 v27, v27, v17
	v_mul_f32_e32 v16, v23, v19
	v_mul_f32_e32 v17, v22, v19
	v_add_f32_e32 v29, v29, v31
	v_mul_f32_e32 v31, v34, v19
	v_fma_f32 v16, v22, v18, -v16
	v_fmac_f32_e32 v17, v23, v18
	v_fmac_f32_e32 v31, v35, v18
	v_add_f32_e32 v20, v20, v16
	v_add_f32_e32 v21, v21, v17
	ds_read2_b64 v[16:19], v12 offset0:192 offset1:208
	v_add_f32_e32 v26, v26, v30
	v_add_f32_e32 v25, v25, v31
	s_waitcnt lgkmcnt(0)
	v_mul_f32_e32 v22, v3, v17
	v_fma_f32 v22, v2, v16, -v22
	v_add_f32_e32 v30, v28, v22
	v_mul_f32_e32 v22, v3, v19
	v_mul_f32_e32 v23, v2, v17
	v_fma_f32 v22, v2, v18, -v22
	v_mul_f32_e32 v2, v2, v19
	v_fmac_f32_e32 v23, v3, v16
	v_fmac_f32_e32 v2, v3, v18
	v_add_f32_e32 v31, v29, v23
	v_add_f32_e32 v3, v24, v22
	;; [unrolled: 1-line block ×3, first 2 shown]
	ds_read_b128 v[22:25], v13 offset:1072
	s_waitcnt lgkmcnt(0)
	v_mul_f32_e32 v28, v23, v17
	v_fma_f32 v28, v22, v16, -v28
	v_mul_f32_e32 v17, v22, v17
	v_fmac_f32_e32 v17, v23, v16
	v_add_f32_e32 v16, v26, v28
	v_mul_f32_e32 v26, v23, v19
	v_fma_f32 v26, v22, v18, -v26
	v_add_f32_e32 v17, v27, v17
	v_add_f32_e32 v32, v20, v26
	ds_read2_b64 v[26:29], v12 offset0:224 offset1:240
	v_mul_f32_e32 v19, v22, v19
	v_fmac_f32_e32 v19, v23, v18
	v_add_f32_e32 v33, v21, v19
	s_waitcnt lgkmcnt(0)
	v_mul_f32_e32 v18, v5, v27
	v_fma_f32 v18, v4, v26, -v18
	v_add_f32_e32 v22, v30, v18
	v_mul_f32_e32 v18, v5, v29
	v_mul_f32_e32 v19, v4, v27
	v_fma_f32 v18, v4, v28, -v18
	v_mul_f32_e32 v4, v4, v29
	v_fmac_f32_e32 v4, v5, v28
	v_add_f32_e32 v21, v3, v18
	v_add_f32_e32 v20, v2, v4
	v_mul_f32_e32 v2, v25, v27
	v_mul_f32_e32 v3, v24, v27
	v_fmac_f32_e32 v19, v5, v26
	v_fma_f32 v2, v24, v26, -v2
	v_fmac_f32_e32 v3, v25, v26
	v_add_f32_e32 v23, v31, v19
	v_add_f32_e32 v19, v16, v2
	;; [unrolled: 1-line block ×3, first 2 shown]
	v_mul_f32_e32 v2, v25, v29
	v_mul_f32_e32 v3, v24, v29
	v_fma_f32 v2, v24, v28, -v2
	v_fmac_f32_e32 v3, v25, v28
	v_add_f32_e32 v17, v32, v2
	v_add_f32_e32 v16, v33, v3
	v_mov_b32_e32 v2, s8
	v_mov_b32_e32 v3, s9
	v_cmp_le_u64_e32 vcc, s[0:1], v[2:3]
	s_barrier
	s_cbranch_vccz .LBB1550_2
	s_branch .LBB1550_4
.LBB1550_3:
	v_mov_b32_e32 v22, 0
	v_mov_b32_e32 v23, 0
	;; [unrolled: 1-line block ×8, first 2 shown]
.LBB1550_4:
	v_add_u32_e32 v4, s19, v1
	v_ashrrev_i32_e32 v1, 31, v4
	v_mul_lo_u32 v3, s14, v1
	v_mul_lo_u32 v5, s15, v4
	v_mad_u64_u32 v[1:2], s[0:1], s14, v4, 0
	s_load_dword s4, s[4:5], 0x0
	v_add_u32_e32 v0, s18, v0
	v_add3_u32 v2, v2, v3, v5
	v_lshlrev_b64 v[1:2], 3, v[1:2]
	s_waitcnt lgkmcnt(0)
	v_mov_b32_e32 v3, s13
	v_add_co_u32_e32 v5, vcc, s12, v1
	v_addc_co_u32_e32 v6, vcc, v3, v2, vcc
	v_cmp_le_i32_e64 s[0:1], v4, v0
	v_cmp_gt_i32_e32 vcc, s4, v0
	s_and_b64 s[0:1], s[0:1], vcc
	s_and_saveexec_b64 s[2:3], s[0:1]
	s_cbranch_execz .LBB1550_6
; %bb.5:
	v_ashrrev_i32_e32 v1, 31, v0
	v_lshlrev_b64 v[1:2], 3, v[0:1]
	v_add_co_u32_e64 v1, s[0:1], v5, v1
	v_addc_co_u32_e64 v2, s[0:1], v6, v2, s[0:1]
	flat_load_dwordx2 v[7:8], v[1:2]
	s_waitcnt vmcnt(0) lgkmcnt(0)
	v_sub_f32_e32 v7, v22, v7
	v_sub_f32_e32 v8, v23, v8
	flat_store_dwordx2 v[1:2], v[7:8]
.LBB1550_6:
	s_or_b64 exec, exec, s[2:3]
	v_add_u32_e32 v2, 16, v0
	v_cmp_le_i32_e64 s[2:3], v4, v2
	v_cmp_gt_i32_e64 s[0:1], s4, v2
	s_and_b64 s[2:3], s[2:3], s[0:1]
	s_and_saveexec_b64 s[4:5], s[2:3]
	s_cbranch_execz .LBB1550_8
; %bb.7:
	v_ashrrev_i32_e32 v3, 31, v2
	v_lshlrev_b64 v[7:8], 3, v[2:3]
	v_add_co_u32_e64 v5, s[2:3], v5, v7
	v_addc_co_u32_e64 v6, s[2:3], v6, v8, s[2:3]
	flat_load_dwordx2 v[7:8], v[5:6]
	s_waitcnt vmcnt(0) lgkmcnt(0)
	v_sub_f32_e32 v7, v21, v7
	v_sub_f32_e32 v8, v20, v8
	flat_store_dwordx2 v[5:6], v[7:8]
.LBB1550_8:
	s_or_b64 exec, exec, s[4:5]
	v_add_u32_e32 v3, 16, v4
	v_ashrrev_i32_e32 v1, 31, v3
	v_mul_lo_u32 v6, s15, v3
	v_mad_u64_u32 v[4:5], s[2:3], s14, v3, 0
	v_mul_lo_u32 v1, s14, v1
	v_add3_u32 v5, v5, v1, v6
	v_lshlrev_b64 v[4:5], 3, v[4:5]
	v_mov_b32_e32 v1, s13
	v_add_co_u32_e64 v4, s[2:3], s12, v4
	v_addc_co_u32_e64 v5, s[2:3], v1, v5, s[2:3]
	v_cmp_le_i32_e64 s[2:3], v3, v0
	s_and_b64 s[4:5], s[2:3], vcc
	s_and_saveexec_b64 s[2:3], s[4:5]
	s_cbranch_execz .LBB1550_10
; %bb.9:
	v_ashrrev_i32_e32 v1, 31, v0
	v_lshlrev_b64 v[0:1], 3, v[0:1]
	v_add_co_u32_e32 v0, vcc, v4, v0
	v_addc_co_u32_e32 v1, vcc, v5, v1, vcc
	flat_load_dwordx2 v[6:7], v[0:1]
	s_waitcnt vmcnt(0) lgkmcnt(0)
	v_sub_f32_e32 v6, v19, v6
	v_sub_f32_e32 v7, v18, v7
	flat_store_dwordx2 v[0:1], v[6:7]
.LBB1550_10:
	s_or_b64 exec, exec, s[2:3]
	v_cmp_le_i32_e32 vcc, v3, v2
	s_and_b64 s[0:1], vcc, s[0:1]
	s_and_saveexec_b64 s[2:3], s[0:1]
	s_cbranch_execz .LBB1550_12
; %bb.11:
	v_ashrrev_i32_e32 v3, 31, v2
	v_lshlrev_b64 v[0:1], 3, v[2:3]
	v_add_co_u32_e32 v0, vcc, v4, v0
	v_addc_co_u32_e32 v1, vcc, v5, v1, vcc
	flat_load_dwordx2 v[2:3], v[0:1]
	s_waitcnt vmcnt(0) lgkmcnt(0)
	v_sub_f32_e32 v2, v17, v2
	v_sub_f32_e32 v3, v16, v3
	flat_store_dwordx2 v[0:1], v[2:3]
.LBB1550_12:
	s_endpgm
	.section	.rodata,"a",@progbits
	.p2align	6, 0x0
	.amdhsa_kernel _ZL37rocblas_syrkx_herkx_restricted_kernelIl19rocblas_complex_numIfELi16ELi32ELi8ELi1ELin1ELb0ELc78ELc76EKPKS1_KPS1_EviT_PT9_S7_lS9_S7_lPT10_S7_li
		.amdhsa_group_segment_fixed_size 4096
		.amdhsa_private_segment_fixed_size 0
		.amdhsa_kernarg_size 92
		.amdhsa_user_sgpr_count 6
		.amdhsa_user_sgpr_private_segment_buffer 1
		.amdhsa_user_sgpr_dispatch_ptr 0
		.amdhsa_user_sgpr_queue_ptr 0
		.amdhsa_user_sgpr_kernarg_segment_ptr 1
		.amdhsa_user_sgpr_dispatch_id 0
		.amdhsa_user_sgpr_flat_scratch_init 0
		.amdhsa_user_sgpr_private_segment_size 0
		.amdhsa_uses_dynamic_stack 0
		.amdhsa_system_sgpr_private_segment_wavefront_offset 0
		.amdhsa_system_sgpr_workgroup_id_x 1
		.amdhsa_system_sgpr_workgroup_id_y 1
		.amdhsa_system_sgpr_workgroup_id_z 1
		.amdhsa_system_sgpr_workgroup_info 0
		.amdhsa_system_vgpr_workitem_id 1
		.amdhsa_next_free_vgpr 43
		.amdhsa_next_free_sgpr 22
		.amdhsa_reserve_vcc 1
		.amdhsa_reserve_flat_scratch 0
		.amdhsa_float_round_mode_32 0
		.amdhsa_float_round_mode_16_64 0
		.amdhsa_float_denorm_mode_32 3
		.amdhsa_float_denorm_mode_16_64 3
		.amdhsa_dx10_clamp 1
		.amdhsa_ieee_mode 1
		.amdhsa_fp16_overflow 0
		.amdhsa_exception_fp_ieee_invalid_op 0
		.amdhsa_exception_fp_denorm_src 0
		.amdhsa_exception_fp_ieee_div_zero 0
		.amdhsa_exception_fp_ieee_overflow 0
		.amdhsa_exception_fp_ieee_underflow 0
		.amdhsa_exception_fp_ieee_inexact 0
		.amdhsa_exception_int_div_zero 0
	.end_amdhsa_kernel
	.section	.text._ZL37rocblas_syrkx_herkx_restricted_kernelIl19rocblas_complex_numIfELi16ELi32ELi8ELi1ELin1ELb0ELc78ELc76EKPKS1_KPS1_EviT_PT9_S7_lS9_S7_lPT10_S7_li,"axG",@progbits,_ZL37rocblas_syrkx_herkx_restricted_kernelIl19rocblas_complex_numIfELi16ELi32ELi8ELi1ELin1ELb0ELc78ELc76EKPKS1_KPS1_EviT_PT9_S7_lS9_S7_lPT10_S7_li,comdat
.Lfunc_end1550:
	.size	_ZL37rocblas_syrkx_herkx_restricted_kernelIl19rocblas_complex_numIfELi16ELi32ELi8ELi1ELin1ELb0ELc78ELc76EKPKS1_KPS1_EviT_PT9_S7_lS9_S7_lPT10_S7_li, .Lfunc_end1550-_ZL37rocblas_syrkx_herkx_restricted_kernelIl19rocblas_complex_numIfELi16ELi32ELi8ELi1ELin1ELb0ELc78ELc76EKPKS1_KPS1_EviT_PT9_S7_lS9_S7_lPT10_S7_li
                                        ; -- End function
	.set _ZL37rocblas_syrkx_herkx_restricted_kernelIl19rocblas_complex_numIfELi16ELi32ELi8ELi1ELin1ELb0ELc78ELc76EKPKS1_KPS1_EviT_PT9_S7_lS9_S7_lPT10_S7_li.num_vgpr, 43
	.set _ZL37rocblas_syrkx_herkx_restricted_kernelIl19rocblas_complex_numIfELi16ELi32ELi8ELi1ELin1ELb0ELc78ELc76EKPKS1_KPS1_EviT_PT9_S7_lS9_S7_lPT10_S7_li.num_agpr, 0
	.set _ZL37rocblas_syrkx_herkx_restricted_kernelIl19rocblas_complex_numIfELi16ELi32ELi8ELi1ELin1ELb0ELc78ELc76EKPKS1_KPS1_EviT_PT9_S7_lS9_S7_lPT10_S7_li.numbered_sgpr, 22
	.set _ZL37rocblas_syrkx_herkx_restricted_kernelIl19rocblas_complex_numIfELi16ELi32ELi8ELi1ELin1ELb0ELc78ELc76EKPKS1_KPS1_EviT_PT9_S7_lS9_S7_lPT10_S7_li.num_named_barrier, 0
	.set _ZL37rocblas_syrkx_herkx_restricted_kernelIl19rocblas_complex_numIfELi16ELi32ELi8ELi1ELin1ELb0ELc78ELc76EKPKS1_KPS1_EviT_PT9_S7_lS9_S7_lPT10_S7_li.private_seg_size, 0
	.set _ZL37rocblas_syrkx_herkx_restricted_kernelIl19rocblas_complex_numIfELi16ELi32ELi8ELi1ELin1ELb0ELc78ELc76EKPKS1_KPS1_EviT_PT9_S7_lS9_S7_lPT10_S7_li.uses_vcc, 1
	.set _ZL37rocblas_syrkx_herkx_restricted_kernelIl19rocblas_complex_numIfELi16ELi32ELi8ELi1ELin1ELb0ELc78ELc76EKPKS1_KPS1_EviT_PT9_S7_lS9_S7_lPT10_S7_li.uses_flat_scratch, 0
	.set _ZL37rocblas_syrkx_herkx_restricted_kernelIl19rocblas_complex_numIfELi16ELi32ELi8ELi1ELin1ELb0ELc78ELc76EKPKS1_KPS1_EviT_PT9_S7_lS9_S7_lPT10_S7_li.has_dyn_sized_stack, 0
	.set _ZL37rocblas_syrkx_herkx_restricted_kernelIl19rocblas_complex_numIfELi16ELi32ELi8ELi1ELin1ELb0ELc78ELc76EKPKS1_KPS1_EviT_PT9_S7_lS9_S7_lPT10_S7_li.has_recursion, 0
	.set _ZL37rocblas_syrkx_herkx_restricted_kernelIl19rocblas_complex_numIfELi16ELi32ELi8ELi1ELin1ELb0ELc78ELc76EKPKS1_KPS1_EviT_PT9_S7_lS9_S7_lPT10_S7_li.has_indirect_call, 0
	.section	.AMDGPU.csdata,"",@progbits
; Kernel info:
; codeLenInByte = 2000
; TotalNumSgprs: 26
; NumVgprs: 43
; ScratchSize: 0
; MemoryBound: 0
; FloatMode: 240
; IeeeMode: 1
; LDSByteSize: 4096 bytes/workgroup (compile time only)
; SGPRBlocks: 3
; VGPRBlocks: 10
; NumSGPRsForWavesPerEU: 26
; NumVGPRsForWavesPerEU: 43
; Occupancy: 5
; WaveLimiterHint : 1
; COMPUTE_PGM_RSRC2:SCRATCH_EN: 0
; COMPUTE_PGM_RSRC2:USER_SGPR: 6
; COMPUTE_PGM_RSRC2:TRAP_HANDLER: 0
; COMPUTE_PGM_RSRC2:TGID_X_EN: 1
; COMPUTE_PGM_RSRC2:TGID_Y_EN: 1
; COMPUTE_PGM_RSRC2:TGID_Z_EN: 1
; COMPUTE_PGM_RSRC2:TIDIG_COMP_CNT: 1
	.section	.text._ZL37rocblas_syrkx_herkx_restricted_kernelIl19rocblas_complex_numIfELi16ELi32ELi8ELi1ELin1ELb0ELc84ELc85EKPKS1_KPS1_EviT_PT9_S7_lS9_S7_lPT10_S7_li,"axG",@progbits,_ZL37rocblas_syrkx_herkx_restricted_kernelIl19rocblas_complex_numIfELi16ELi32ELi8ELi1ELin1ELb0ELc84ELc85EKPKS1_KPS1_EviT_PT9_S7_lS9_S7_lPT10_S7_li,comdat
	.globl	_ZL37rocblas_syrkx_herkx_restricted_kernelIl19rocblas_complex_numIfELi16ELi32ELi8ELi1ELin1ELb0ELc84ELc85EKPKS1_KPS1_EviT_PT9_S7_lS9_S7_lPT10_S7_li ; -- Begin function _ZL37rocblas_syrkx_herkx_restricted_kernelIl19rocblas_complex_numIfELi16ELi32ELi8ELi1ELin1ELb0ELc84ELc85EKPKS1_KPS1_EviT_PT9_S7_lS9_S7_lPT10_S7_li
	.p2align	8
	.type	_ZL37rocblas_syrkx_herkx_restricted_kernelIl19rocblas_complex_numIfELi16ELi32ELi8ELi1ELin1ELb0ELc84ELc85EKPKS1_KPS1_EviT_PT9_S7_lS9_S7_lPT10_S7_li,@function
_ZL37rocblas_syrkx_herkx_restricted_kernelIl19rocblas_complex_numIfELi16ELi32ELi8ELi1ELin1ELb0ELc84ELc85EKPKS1_KPS1_EviT_PT9_S7_lS9_S7_lPT10_S7_li: ; @_ZL37rocblas_syrkx_herkx_restricted_kernelIl19rocblas_complex_numIfELi16ELi32ELi8ELi1ELin1ELb0ELc84ELc85EKPKS1_KPS1_EviT_PT9_S7_lS9_S7_lPT10_S7_li
; %bb.0:
	s_load_dwordx4 s[0:3], s[4:5], 0x40
	s_load_dwordx4 s[12:15], s[4:5], 0x8
	s_mov_b32 s9, 0
	s_lshl_b64 s[10:11], s[8:9], 3
	s_waitcnt lgkmcnt(0)
	s_add_u32 s0, s0, s10
	s_addc_u32 s1, s1, s11
	s_load_dwordx2 s[8:9], s[0:1], 0x0
	v_cmp_lt_i64_e64 s[0:1], s[12:13], 1
	s_lshl_b32 s6, s6, 5
	s_lshl_b32 s7, s7, 5
	s_and_b64 vcc, exec, s[0:1]
	s_cbranch_vccnz .LBB1551_3
; %bb.1:
	s_load_dwordx2 s[0:1], s[4:5], 0x18
	s_load_dwordx4 s[16:19], s[4:5], 0x28
	v_lshl_add_u32 v4, v1, 4, v0
	v_lshrrev_b32_e32 v6, 3, v4
	v_add_u32_e32 v2, s7, v6
	v_ashrrev_i32_e32 v3, 31, v2
	v_and_b32_e32 v9, 7, v0
	v_mov_b32_e32 v10, 0
	s_waitcnt lgkmcnt(0)
	v_mul_lo_u32 v5, s18, v3
	v_mul_lo_u32 v7, s19, v2
	v_mad_u64_u32 v[2:3], s[18:19], s18, v2, v[9:10]
	s_add_u32 s14, s14, s10
	s_addc_u32 s15, s15, s11
	v_add3_u32 v3, v7, v3, v5
	v_and_b32_e32 v7, 31, v4
	v_lshrrev_b32_e32 v4, 5, v4
	v_lshlrev_b32_e32 v8, 3, v7
	v_lshl_or_b32 v11, v4, 8, v8
	v_lshlrev_b32_e32 v8, 3, v9
	v_lshl_or_b32 v6, v6, 6, v8
	v_add_u32_e32 v12, 0x800, v6
	v_add_u32_e32 v6, s6, v7
	s_add_u32 s10, s16, s10
	v_mov_b32_e32 v5, v10
	v_ashrrev_i32_e32 v7, 31, v6
	s_addc_u32 s11, s17, s11
	v_mul_lo_u32 v7, s0, v7
	v_mad_u64_u32 v[4:5], s[16:17], s0, v6, v[4:5]
	v_mul_lo_u32 v6, s1, v6
	s_load_dwordx2 s[14:15], s[14:15], 0x0
	v_lshlrev_b64 v[2:3], 3, v[2:3]
	s_load_dwordx2 s[10:11], s[10:11], 0x0
	v_add3_u32 v5, v6, v5, v7
	v_lshlrev_b64 v[4:5], 3, v[4:5]
	s_waitcnt lgkmcnt(0)
	v_mov_b32_e32 v7, s15
	v_add_co_u32_e32 v6, vcc, s14, v4
	v_mov_b32_e32 v8, 0x800
	v_addc_co_u32_e32 v7, vcc, v7, v5, vcc
	v_lshl_add_u32 v14, v1, 6, v8
	v_mov_b32_e32 v4, s11
	v_add_co_u32_e32 v8, vcc, s10, v2
	v_lshlrev_b32_e32 v13, 3, v0
	v_addc_co_u32_e32 v9, vcc, v4, v3, vcc
	s_mov_b64 s[0:1], 0
	v_mov_b32_e32 v15, v10
	v_mov_b32_e32 v16, v10
	;; [unrolled: 1-line block ×7, first 2 shown]
.LBB1551_2:                             ; =>This Inner Loop Header: Depth=1
	flat_load_dwordx2 v[2:3], v[6:7]
	s_add_u32 s0, s0, 8
	v_add_co_u32_e32 v6, vcc, 64, v6
	s_addc_u32 s1, s1, 0
	v_addc_co_u32_e32 v7, vcc, 0, v7, vcc
	s_waitcnt vmcnt(0) lgkmcnt(0)
	ds_write_b64 v11, v[2:3]
	flat_load_dwordx2 v[2:3], v[8:9]
	v_add_co_u32_e32 v8, vcc, 64, v8
	v_addc_co_u32_e32 v9, vcc, 0, v9, vcc
	s_waitcnt vmcnt(0) lgkmcnt(0)
	ds_write_b64 v12, v[2:3]
	s_waitcnt lgkmcnt(0)
	s_barrier
	ds_read_b128 v[22:25], v14
	ds_read_b128 v[26:29], v14 offset:16
	ds_read_b128 v[30:33], v14 offset:32
	;; [unrolled: 1-line block ×3, first 2 shown]
	ds_read2_b64 v[34:37], v13 offset1:16
	s_waitcnt lgkmcnt(0)
	v_mul_f32_e32 v38, v23, v35
	v_mul_f32_e32 v39, v22, v35
	v_fma_f32 v38, v22, v34, -v38
	v_fmac_f32_e32 v39, v23, v34
	v_add_f32_e32 v38, v20, v38
	v_add_f32_e32 v39, v21, v39
	v_mul_f32_e32 v20, v23, v37
	v_mul_f32_e32 v21, v22, v37
	v_fma_f32 v20, v22, v36, -v20
	v_fmac_f32_e32 v21, v23, v36
	v_add_f32_e32 v22, v19, v20
	v_add_f32_e32 v23, v18, v21
	ds_read_b128 v[18:21], v14 offset:1024
	s_waitcnt lgkmcnt(0)
	v_mul_f32_e32 v40, v19, v35
	v_mul_f32_e32 v35, v18, v35
	v_fma_f32 v40, v18, v34, -v40
	v_fmac_f32_e32 v35, v19, v34
	v_add_f32_e32 v34, v17, v40
	v_add_f32_e32 v35, v16, v35
	v_mul_f32_e32 v16, v19, v37
	v_mul_f32_e32 v17, v18, v37
	v_fma_f32 v16, v18, v36, -v16
	v_fmac_f32_e32 v17, v19, v36
	v_add_f32_e32 v19, v15, v16
	v_add_f32_e32 v10, v10, v17
	ds_read2_b64 v[15:18], v13 offset0:32 offset1:48
	s_waitcnt lgkmcnt(0)
	v_mul_f32_e32 v36, v25, v16
	v_fma_f32 v36, v24, v15, -v36
	v_add_f32_e32 v36, v38, v36
	v_mul_f32_e32 v38, v25, v18
	v_mul_f32_e32 v37, v24, v16
	v_fma_f32 v38, v24, v17, -v38
	v_mul_f32_e32 v24, v24, v18
	v_fmac_f32_e32 v24, v25, v17
	v_add_f32_e32 v23, v23, v24
	v_mul_f32_e32 v24, v21, v16
	v_mul_f32_e32 v16, v20, v16
	v_fmac_f32_e32 v16, v21, v15
	v_fmac_f32_e32 v37, v25, v15
	v_fma_f32 v24, v20, v15, -v24
	v_add_f32_e32 v25, v35, v16
	v_mul_f32_e32 v15, v21, v18
	v_mul_f32_e32 v16, v20, v18
	v_fma_f32 v15, v20, v17, -v15
	v_fmac_f32_e32 v16, v21, v17
	v_add_f32_e32 v24, v34, v24
	v_add_f32_e32 v34, v19, v15
	;; [unrolled: 1-line block ×3, first 2 shown]
	ds_read2_b64 v[15:18], v13 offset0:64 offset1:80
	v_add_f32_e32 v37, v39, v37
	v_add_f32_e32 v22, v22, v38
	s_waitcnt lgkmcnt(0)
	v_mul_f32_e32 v19, v27, v16
	v_mul_f32_e32 v20, v26, v16
	v_fma_f32 v19, v26, v15, -v19
	v_fmac_f32_e32 v20, v27, v15
	v_add_f32_e32 v35, v36, v19
	v_add_f32_e32 v36, v37, v20
	v_mul_f32_e32 v19, v27, v18
	v_mul_f32_e32 v20, v26, v18
	v_fma_f32 v19, v26, v17, -v19
	v_fmac_f32_e32 v20, v27, v17
	v_add_f32_e32 v26, v22, v19
	v_add_f32_e32 v23, v23, v20
	ds_read_b128 v[19:22], v14 offset:1040
	s_waitcnt lgkmcnt(0)
	v_mul_f32_e32 v27, v20, v16
	v_mul_f32_e32 v16, v19, v16
	v_fmac_f32_e32 v16, v20, v15
	v_fma_f32 v27, v19, v15, -v27
	v_add_f32_e32 v25, v25, v16
	v_mul_f32_e32 v15, v20, v18
	v_mul_f32_e32 v16, v19, v18
	v_fma_f32 v15, v19, v17, -v15
	v_fmac_f32_e32 v16, v20, v17
	v_add_f32_e32 v19, v34, v15
	v_add_f32_e32 v10, v10, v16
	ds_read2_b64 v[15:18], v13 offset0:96 offset1:112
	v_add_f32_e32 v24, v24, v27
	s_waitcnt lgkmcnt(0)
	v_mul_f32_e32 v20, v29, v16
	v_mul_f32_e32 v34, v29, v18
	v_fma_f32 v20, v28, v15, -v20
	v_mul_f32_e32 v27, v28, v16
	v_fma_f32 v34, v28, v17, -v34
	v_mul_f32_e32 v28, v28, v18
	v_fmac_f32_e32 v28, v29, v17
	v_add_f32_e32 v23, v23, v28
	v_mul_f32_e32 v28, v22, v16
	v_mul_f32_e32 v16, v21, v16
	v_fmac_f32_e32 v16, v22, v15
	v_fmac_f32_e32 v27, v29, v15
	v_fma_f32 v28, v21, v15, -v28
	v_add_f32_e32 v25, v25, v16
	v_mul_f32_e32 v15, v22, v18
	v_mul_f32_e32 v16, v21, v18
	v_fma_f32 v15, v21, v17, -v15
	v_fmac_f32_e32 v16, v22, v17
	v_add_f32_e32 v24, v24, v28
	v_add_f32_e32 v28, v19, v15
	;; [unrolled: 1-line block ×3, first 2 shown]
	ds_read2_b64 v[15:18], v13 offset0:128 offset1:144
	v_add_f32_e32 v20, v35, v20
	v_add_f32_e32 v27, v36, v27
	v_add_f32_e32 v26, v26, v34
	s_waitcnt lgkmcnt(0)
	v_mul_f32_e32 v19, v31, v16
	v_fma_f32 v19, v30, v15, -v19
	v_mul_f32_e32 v21, v30, v16
	v_add_f32_e32 v29, v20, v19
	v_mul_f32_e32 v19, v31, v18
	v_mul_f32_e32 v20, v30, v18
	v_fmac_f32_e32 v21, v31, v15
	v_fma_f32 v19, v30, v17, -v19
	v_fmac_f32_e32 v20, v31, v17
	v_add_f32_e32 v27, v27, v21
	v_add_f32_e32 v26, v26, v19
	;; [unrolled: 1-line block ×3, first 2 shown]
	ds_read_b128 v[19:22], v14 offset:1056
	s_waitcnt lgkmcnt(0)
	v_mul_f32_e32 v30, v20, v16
	v_mul_f32_e32 v16, v19, v16
	v_fmac_f32_e32 v16, v20, v15
	v_fma_f32 v30, v19, v15, -v30
	v_add_f32_e32 v25, v25, v16
	v_mul_f32_e32 v15, v20, v18
	v_mul_f32_e32 v16, v19, v18
	v_fma_f32 v15, v19, v17, -v15
	v_fmac_f32_e32 v16, v20, v17
	v_add_f32_e32 v19, v28, v15
	v_add_f32_e32 v10, v10, v16
	ds_read2_b64 v[15:18], v13 offset0:160 offset1:176
	v_add_f32_e32 v24, v24, v30
	s_waitcnt lgkmcnt(0)
	v_mul_f32_e32 v28, v32, v16
	v_fmac_f32_e32 v28, v33, v15
	v_add_f32_e32 v27, v27, v28
	v_mul_f32_e32 v28, v33, v18
	v_fma_f32 v28, v32, v17, -v28
	v_mul_f32_e32 v20, v33, v16
	v_add_f32_e32 v26, v26, v28
	v_mul_f32_e32 v28, v22, v16
	v_mul_f32_e32 v16, v21, v16
	v_fmac_f32_e32 v16, v22, v15
	v_fma_f32 v20, v32, v15, -v20
	v_fma_f32 v28, v21, v15, -v28
	v_add_f32_e32 v25, v25, v16
	v_mul_f32_e32 v15, v22, v18
	v_mul_f32_e32 v16, v21, v18
	v_add_f32_e32 v20, v29, v20
	v_mul_f32_e32 v29, v32, v18
	v_fma_f32 v15, v21, v17, -v15
	v_fmac_f32_e32 v16, v22, v17
	v_fmac_f32_e32 v29, v33, v17
	v_add_f32_e32 v19, v19, v15
	v_add_f32_e32 v10, v10, v16
	ds_read2_b64 v[15:18], v13 offset0:192 offset1:208
	v_add_f32_e32 v24, v24, v28
	v_add_f32_e32 v23, v23, v29
	s_waitcnt lgkmcnt(0)
	v_mul_f32_e32 v21, v3, v16
	v_fma_f32 v21, v2, v15, -v21
	v_add_f32_e32 v28, v20, v21
	v_mul_f32_e32 v20, v3, v18
	v_mul_f32_e32 v22, v2, v16
	v_fma_f32 v20, v2, v17, -v20
	v_mul_f32_e32 v2, v2, v18
	v_fmac_f32_e32 v22, v3, v15
	v_fmac_f32_e32 v2, v3, v17
	v_add_f32_e32 v29, v27, v22
	v_add_f32_e32 v3, v26, v20
	;; [unrolled: 1-line block ×3, first 2 shown]
	ds_read_b128 v[20:23], v14 offset:1072
	s_waitcnt lgkmcnt(0)
	v_mul_f32_e32 v26, v21, v16
	v_fma_f32 v26, v20, v15, -v26
	v_mul_f32_e32 v16, v20, v16
	v_fmac_f32_e32 v16, v21, v15
	v_add_f32_e32 v15, v24, v26
	v_mul_f32_e32 v24, v21, v18
	v_fma_f32 v24, v20, v17, -v24
	v_add_f32_e32 v16, v25, v16
	v_add_f32_e32 v30, v19, v24
	ds_read2_b64 v[24:27], v13 offset0:224 offset1:240
	v_mul_f32_e32 v18, v20, v18
	v_fmac_f32_e32 v18, v21, v17
	v_add_f32_e32 v10, v10, v18
	s_waitcnt lgkmcnt(0)
	v_mul_f32_e32 v17, v5, v25
	v_fma_f32 v17, v4, v24, -v17
	v_add_f32_e32 v20, v28, v17
	v_mul_f32_e32 v17, v5, v27
	v_mul_f32_e32 v18, v4, v25
	v_fma_f32 v17, v4, v26, -v17
	v_mul_f32_e32 v4, v4, v27
	v_fmac_f32_e32 v18, v5, v24
	v_fmac_f32_e32 v4, v5, v26
	v_add_f32_e32 v21, v29, v18
	v_add_f32_e32 v19, v3, v17
	;; [unrolled: 1-line block ×3, first 2 shown]
	v_mul_f32_e32 v2, v23, v25
	v_mul_f32_e32 v3, v22, v25
	v_fma_f32 v2, v22, v24, -v2
	v_fmac_f32_e32 v3, v23, v24
	v_add_f32_e32 v17, v15, v2
	v_add_f32_e32 v16, v16, v3
	v_mul_f32_e32 v2, v23, v27
	v_mul_f32_e32 v3, v22, v27
	v_fma_f32 v2, v22, v26, -v2
	v_fmac_f32_e32 v3, v23, v26
	v_add_f32_e32 v15, v30, v2
	v_add_f32_e32 v10, v10, v3
	v_mov_b32_e32 v3, s1
	v_mov_b32_e32 v2, s0
	v_cmp_le_u64_e32 vcc, s[12:13], v[2:3]
	s_barrier
	s_cbranch_vccz .LBB1551_2
	s_branch .LBB1551_4
.LBB1551_3:
	v_mov_b32_e32 v20, 0
	v_mov_b32_e32 v21, 0
	;; [unrolled: 1-line block ×8, first 2 shown]
.LBB1551_4:
	v_add_u32_e32 v4, s7, v1
	v_ashrrev_i32_e32 v1, 31, v4
	v_mul_lo_u32 v3, s2, v1
	v_mul_lo_u32 v5, s3, v4
	v_mad_u64_u32 v[1:2], s[0:1], s2, v4, 0
	s_load_dword s10, s[4:5], 0x0
	v_add_u32_e32 v0, s6, v0
	v_add3_u32 v2, v2, v3, v5
	v_lshlrev_b64 v[1:2], 3, v[1:2]
	s_waitcnt lgkmcnt(0)
	v_mov_b32_e32 v3, s9
	v_add_co_u32_e64 v5, s[0:1], s8, v1
	v_addc_co_u32_e64 v6, s[0:1], v3, v2, s[0:1]
	v_cmp_gt_i32_e32 vcc, s10, v4
	v_cmp_le_i32_e64 s[0:1], v0, v4
	s_and_b64 s[0:1], vcc, s[0:1]
	s_and_saveexec_b64 s[4:5], s[0:1]
	s_cbranch_execz .LBB1551_6
; %bb.5:
	v_ashrrev_i32_e32 v1, 31, v0
	v_lshlrev_b64 v[1:2], 3, v[0:1]
	v_add_co_u32_e64 v1, s[0:1], v5, v1
	v_addc_co_u32_e64 v2, s[0:1], v6, v2, s[0:1]
	flat_load_dwordx2 v[7:8], v[1:2]
	s_waitcnt vmcnt(0) lgkmcnt(0)
	v_sub_f32_e32 v7, v20, v7
	v_sub_f32_e32 v8, v21, v8
	flat_store_dwordx2 v[1:2], v[7:8]
.LBB1551_6:
	s_or_b64 exec, exec, s[4:5]
	v_add_u32_e32 v2, 16, v0
	v_cmp_le_i32_e64 s[0:1], v2, v4
	s_and_b64 s[4:5], vcc, s[0:1]
	s_and_saveexec_b64 s[0:1], s[4:5]
	s_cbranch_execz .LBB1551_8
; %bb.7:
	v_ashrrev_i32_e32 v3, 31, v2
	v_lshlrev_b64 v[7:8], 3, v[2:3]
	v_add_co_u32_e32 v5, vcc, v5, v7
	v_addc_co_u32_e32 v6, vcc, v6, v8, vcc
	flat_load_dwordx2 v[7:8], v[5:6]
	s_waitcnt vmcnt(0) lgkmcnt(0)
	v_sub_f32_e32 v7, v19, v7
	v_sub_f32_e32 v8, v18, v8
	flat_store_dwordx2 v[5:6], v[7:8]
.LBB1551_8:
	s_or_b64 exec, exec, s[0:1]
	v_add_u32_e32 v3, 16, v4
	v_ashrrev_i32_e32 v1, 31, v3
	v_mul_lo_u32 v1, s2, v1
	v_mul_lo_u32 v6, s3, v3
	v_mad_u64_u32 v[4:5], s[0:1], s2, v3, 0
	v_cmp_gt_i32_e32 vcc, s10, v3
	v_add3_u32 v5, v5, v1, v6
	v_lshlrev_b64 v[4:5], 3, v[4:5]
	v_mov_b32_e32 v1, s9
	v_add_co_u32_e64 v4, s[0:1], s8, v4
	v_addc_co_u32_e64 v5, s[0:1], v1, v5, s[0:1]
	v_cmp_le_i32_e64 s[0:1], v0, v3
	s_and_b64 s[0:1], vcc, s[0:1]
	s_and_saveexec_b64 s[2:3], s[0:1]
	s_cbranch_execz .LBB1551_10
; %bb.9:
	v_ashrrev_i32_e32 v1, 31, v0
	v_lshlrev_b64 v[0:1], 3, v[0:1]
	v_add_co_u32_e64 v0, s[0:1], v4, v0
	v_addc_co_u32_e64 v1, s[0:1], v5, v1, s[0:1]
	flat_load_dwordx2 v[6:7], v[0:1]
	s_waitcnt vmcnt(0) lgkmcnt(0)
	v_sub_f32_e32 v6, v17, v6
	v_sub_f32_e32 v7, v16, v7
	flat_store_dwordx2 v[0:1], v[6:7]
.LBB1551_10:
	s_or_b64 exec, exec, s[2:3]
	v_cmp_le_i32_e64 s[0:1], v2, v3
	s_and_b64 s[0:1], vcc, s[0:1]
	s_and_saveexec_b64 s[2:3], s[0:1]
	s_cbranch_execz .LBB1551_12
; %bb.11:
	v_ashrrev_i32_e32 v3, 31, v2
	v_lshlrev_b64 v[0:1], 3, v[2:3]
	v_add_co_u32_e32 v0, vcc, v4, v0
	v_addc_co_u32_e32 v1, vcc, v5, v1, vcc
	flat_load_dwordx2 v[2:3], v[0:1]
	s_waitcnt vmcnt(0) lgkmcnt(0)
	v_sub_f32_e32 v2, v15, v2
	v_sub_f32_e32 v3, v10, v3
	flat_store_dwordx2 v[0:1], v[2:3]
.LBB1551_12:
	s_endpgm
	.section	.rodata,"a",@progbits
	.p2align	6, 0x0
	.amdhsa_kernel _ZL37rocblas_syrkx_herkx_restricted_kernelIl19rocblas_complex_numIfELi16ELi32ELi8ELi1ELin1ELb0ELc84ELc85EKPKS1_KPS1_EviT_PT9_S7_lS9_S7_lPT10_S7_li
		.amdhsa_group_segment_fixed_size 4096
		.amdhsa_private_segment_fixed_size 0
		.amdhsa_kernarg_size 92
		.amdhsa_user_sgpr_count 6
		.amdhsa_user_sgpr_private_segment_buffer 1
		.amdhsa_user_sgpr_dispatch_ptr 0
		.amdhsa_user_sgpr_queue_ptr 0
		.amdhsa_user_sgpr_kernarg_segment_ptr 1
		.amdhsa_user_sgpr_dispatch_id 0
		.amdhsa_user_sgpr_flat_scratch_init 0
		.amdhsa_user_sgpr_private_segment_size 0
		.amdhsa_uses_dynamic_stack 0
		.amdhsa_system_sgpr_private_segment_wavefront_offset 0
		.amdhsa_system_sgpr_workgroup_id_x 1
		.amdhsa_system_sgpr_workgroup_id_y 1
		.amdhsa_system_sgpr_workgroup_id_z 1
		.amdhsa_system_sgpr_workgroup_info 0
		.amdhsa_system_vgpr_workitem_id 1
		.amdhsa_next_free_vgpr 41
		.amdhsa_next_free_sgpr 20
		.amdhsa_reserve_vcc 1
		.amdhsa_reserve_flat_scratch 0
		.amdhsa_float_round_mode_32 0
		.amdhsa_float_round_mode_16_64 0
		.amdhsa_float_denorm_mode_32 3
		.amdhsa_float_denorm_mode_16_64 3
		.amdhsa_dx10_clamp 1
		.amdhsa_ieee_mode 1
		.amdhsa_fp16_overflow 0
		.amdhsa_exception_fp_ieee_invalid_op 0
		.amdhsa_exception_fp_denorm_src 0
		.amdhsa_exception_fp_ieee_div_zero 0
		.amdhsa_exception_fp_ieee_overflow 0
		.amdhsa_exception_fp_ieee_underflow 0
		.amdhsa_exception_fp_ieee_inexact 0
		.amdhsa_exception_int_div_zero 0
	.end_amdhsa_kernel
	.section	.text._ZL37rocblas_syrkx_herkx_restricted_kernelIl19rocblas_complex_numIfELi16ELi32ELi8ELi1ELin1ELb0ELc84ELc85EKPKS1_KPS1_EviT_PT9_S7_lS9_S7_lPT10_S7_li,"axG",@progbits,_ZL37rocblas_syrkx_herkx_restricted_kernelIl19rocblas_complex_numIfELi16ELi32ELi8ELi1ELin1ELb0ELc84ELc85EKPKS1_KPS1_EviT_PT9_S7_lS9_S7_lPT10_S7_li,comdat
.Lfunc_end1551:
	.size	_ZL37rocblas_syrkx_herkx_restricted_kernelIl19rocblas_complex_numIfELi16ELi32ELi8ELi1ELin1ELb0ELc84ELc85EKPKS1_KPS1_EviT_PT9_S7_lS9_S7_lPT10_S7_li, .Lfunc_end1551-_ZL37rocblas_syrkx_herkx_restricted_kernelIl19rocblas_complex_numIfELi16ELi32ELi8ELi1ELin1ELb0ELc84ELc85EKPKS1_KPS1_EviT_PT9_S7_lS9_S7_lPT10_S7_li
                                        ; -- End function
	.set _ZL37rocblas_syrkx_herkx_restricted_kernelIl19rocblas_complex_numIfELi16ELi32ELi8ELi1ELin1ELb0ELc84ELc85EKPKS1_KPS1_EviT_PT9_S7_lS9_S7_lPT10_S7_li.num_vgpr, 41
	.set _ZL37rocblas_syrkx_herkx_restricted_kernelIl19rocblas_complex_numIfELi16ELi32ELi8ELi1ELin1ELb0ELc84ELc85EKPKS1_KPS1_EviT_PT9_S7_lS9_S7_lPT10_S7_li.num_agpr, 0
	.set _ZL37rocblas_syrkx_herkx_restricted_kernelIl19rocblas_complex_numIfELi16ELi32ELi8ELi1ELin1ELb0ELc84ELc85EKPKS1_KPS1_EviT_PT9_S7_lS9_S7_lPT10_S7_li.numbered_sgpr, 20
	.set _ZL37rocblas_syrkx_herkx_restricted_kernelIl19rocblas_complex_numIfELi16ELi32ELi8ELi1ELin1ELb0ELc84ELc85EKPKS1_KPS1_EviT_PT9_S7_lS9_S7_lPT10_S7_li.num_named_barrier, 0
	.set _ZL37rocblas_syrkx_herkx_restricted_kernelIl19rocblas_complex_numIfELi16ELi32ELi8ELi1ELin1ELb0ELc84ELc85EKPKS1_KPS1_EviT_PT9_S7_lS9_S7_lPT10_S7_li.private_seg_size, 0
	.set _ZL37rocblas_syrkx_herkx_restricted_kernelIl19rocblas_complex_numIfELi16ELi32ELi8ELi1ELin1ELb0ELc84ELc85EKPKS1_KPS1_EviT_PT9_S7_lS9_S7_lPT10_S7_li.uses_vcc, 1
	.set _ZL37rocblas_syrkx_herkx_restricted_kernelIl19rocblas_complex_numIfELi16ELi32ELi8ELi1ELin1ELb0ELc84ELc85EKPKS1_KPS1_EviT_PT9_S7_lS9_S7_lPT10_S7_li.uses_flat_scratch, 0
	.set _ZL37rocblas_syrkx_herkx_restricted_kernelIl19rocblas_complex_numIfELi16ELi32ELi8ELi1ELin1ELb0ELc84ELc85EKPKS1_KPS1_EviT_PT9_S7_lS9_S7_lPT10_S7_li.has_dyn_sized_stack, 0
	.set _ZL37rocblas_syrkx_herkx_restricted_kernelIl19rocblas_complex_numIfELi16ELi32ELi8ELi1ELin1ELb0ELc84ELc85EKPKS1_KPS1_EviT_PT9_S7_lS9_S7_lPT10_S7_li.has_recursion, 0
	.set _ZL37rocblas_syrkx_herkx_restricted_kernelIl19rocblas_complex_numIfELi16ELi32ELi8ELi1ELin1ELb0ELc84ELc85EKPKS1_KPS1_EviT_PT9_S7_lS9_S7_lPT10_S7_li.has_indirect_call, 0
	.section	.AMDGPU.csdata,"",@progbits
; Kernel info:
; codeLenInByte = 2028
; TotalNumSgprs: 24
; NumVgprs: 41
; ScratchSize: 0
; MemoryBound: 0
; FloatMode: 240
; IeeeMode: 1
; LDSByteSize: 4096 bytes/workgroup (compile time only)
; SGPRBlocks: 2
; VGPRBlocks: 10
; NumSGPRsForWavesPerEU: 24
; NumVGPRsForWavesPerEU: 41
; Occupancy: 5
; WaveLimiterHint : 1
; COMPUTE_PGM_RSRC2:SCRATCH_EN: 0
; COMPUTE_PGM_RSRC2:USER_SGPR: 6
; COMPUTE_PGM_RSRC2:TRAP_HANDLER: 0
; COMPUTE_PGM_RSRC2:TGID_X_EN: 1
; COMPUTE_PGM_RSRC2:TGID_Y_EN: 1
; COMPUTE_PGM_RSRC2:TGID_Z_EN: 1
; COMPUTE_PGM_RSRC2:TIDIG_COMP_CNT: 1
	.section	.text._ZL37rocblas_syrkx_herkx_restricted_kernelIl19rocblas_complex_numIfELi16ELi32ELi8ELi1ELin1ELb0ELc67ELc85EKPKS1_KPS1_EviT_PT9_S7_lS9_S7_lPT10_S7_li,"axG",@progbits,_ZL37rocblas_syrkx_herkx_restricted_kernelIl19rocblas_complex_numIfELi16ELi32ELi8ELi1ELin1ELb0ELc67ELc85EKPKS1_KPS1_EviT_PT9_S7_lS9_S7_lPT10_S7_li,comdat
	.globl	_ZL37rocblas_syrkx_herkx_restricted_kernelIl19rocblas_complex_numIfELi16ELi32ELi8ELi1ELin1ELb0ELc67ELc85EKPKS1_KPS1_EviT_PT9_S7_lS9_S7_lPT10_S7_li ; -- Begin function _ZL37rocblas_syrkx_herkx_restricted_kernelIl19rocblas_complex_numIfELi16ELi32ELi8ELi1ELin1ELb0ELc67ELc85EKPKS1_KPS1_EviT_PT9_S7_lS9_S7_lPT10_S7_li
	.p2align	8
	.type	_ZL37rocblas_syrkx_herkx_restricted_kernelIl19rocblas_complex_numIfELi16ELi32ELi8ELi1ELin1ELb0ELc67ELc85EKPKS1_KPS1_EviT_PT9_S7_lS9_S7_lPT10_S7_li,@function
_ZL37rocblas_syrkx_herkx_restricted_kernelIl19rocblas_complex_numIfELi16ELi32ELi8ELi1ELin1ELb0ELc67ELc85EKPKS1_KPS1_EviT_PT9_S7_lS9_S7_lPT10_S7_li: ; @_ZL37rocblas_syrkx_herkx_restricted_kernelIl19rocblas_complex_numIfELi16ELi32ELi8ELi1ELin1ELb0ELc67ELc85EKPKS1_KPS1_EviT_PT9_S7_lS9_S7_lPT10_S7_li
; %bb.0:
	s_load_dwordx4 s[0:3], s[4:5], 0x40
	s_load_dwordx4 s[12:15], s[4:5], 0x8
	s_mov_b32 s9, 0
	s_lshl_b64 s[10:11], s[8:9], 3
	s_waitcnt lgkmcnt(0)
	s_add_u32 s0, s0, s10
	s_addc_u32 s1, s1, s11
	s_load_dwordx2 s[8:9], s[0:1], 0x0
	v_cmp_lt_i64_e64 s[0:1], s[12:13], 1
	s_lshl_b32 s6, s6, 5
	s_lshl_b32 s7, s7, 5
	s_and_b64 vcc, exec, s[0:1]
	s_cbranch_vccnz .LBB1552_3
; %bb.1:
	s_load_dwordx2 s[0:1], s[4:5], 0x18
	s_load_dwordx4 s[16:19], s[4:5], 0x28
	v_lshl_add_u32 v4, v1, 4, v0
	v_lshrrev_b32_e32 v6, 3, v4
	v_add_u32_e32 v2, s7, v6
	v_ashrrev_i32_e32 v3, 31, v2
	v_and_b32_e32 v9, 7, v0
	v_mov_b32_e32 v10, 0
	s_waitcnt lgkmcnt(0)
	v_mul_lo_u32 v5, s18, v3
	v_mul_lo_u32 v7, s19, v2
	v_mad_u64_u32 v[2:3], s[18:19], s18, v2, v[9:10]
	s_add_u32 s14, s14, s10
	s_addc_u32 s15, s15, s11
	v_add3_u32 v3, v7, v3, v5
	v_and_b32_e32 v7, 31, v4
	v_lshrrev_b32_e32 v4, 5, v4
	v_lshlrev_b32_e32 v8, 3, v7
	v_lshl_or_b32 v11, v4, 8, v8
	v_lshlrev_b32_e32 v8, 3, v9
	v_lshl_or_b32 v6, v6, 6, v8
	v_add_u32_e32 v12, 0x800, v6
	v_add_u32_e32 v6, s6, v7
	s_add_u32 s10, s16, s10
	v_mov_b32_e32 v5, v10
	v_ashrrev_i32_e32 v7, 31, v6
	s_addc_u32 s11, s17, s11
	v_mul_lo_u32 v7, s0, v7
	v_mad_u64_u32 v[4:5], s[16:17], s0, v6, v[4:5]
	v_mul_lo_u32 v6, s1, v6
	s_load_dwordx2 s[14:15], s[14:15], 0x0
	v_lshlrev_b64 v[2:3], 3, v[2:3]
	s_load_dwordx2 s[10:11], s[10:11], 0x0
	v_add3_u32 v5, v6, v5, v7
	v_lshlrev_b64 v[4:5], 3, v[4:5]
	s_waitcnt lgkmcnt(0)
	v_mov_b32_e32 v7, s15
	v_add_co_u32_e32 v6, vcc, s14, v4
	v_mov_b32_e32 v8, 0x800
	v_addc_co_u32_e32 v7, vcc, v7, v5, vcc
	v_lshl_add_u32 v14, v1, 6, v8
	v_mov_b32_e32 v4, s11
	v_add_co_u32_e32 v8, vcc, s10, v2
	v_lshlrev_b32_e32 v13, 3, v0
	v_addc_co_u32_e32 v9, vcc, v4, v3, vcc
	s_mov_b64 s[0:1], 0
	v_mov_b32_e32 v15, v10
	v_mov_b32_e32 v16, v10
	;; [unrolled: 1-line block ×7, first 2 shown]
.LBB1552_2:                             ; =>This Inner Loop Header: Depth=1
	flat_load_dwordx2 v[2:3], v[6:7]
	s_add_u32 s0, s0, 8
	v_add_co_u32_e32 v6, vcc, 64, v6
	s_addc_u32 s1, s1, 0
	v_addc_co_u32_e32 v7, vcc, 0, v7, vcc
	s_waitcnt vmcnt(0) lgkmcnt(0)
	ds_write_b64 v11, v[2:3]
	flat_load_dwordx2 v[2:3], v[8:9]
	v_add_co_u32_e32 v8, vcc, 64, v8
	v_addc_co_u32_e32 v9, vcc, 0, v9, vcc
	s_waitcnt vmcnt(0) lgkmcnt(0)
	ds_write_b64 v12, v[2:3]
	s_waitcnt lgkmcnt(0)
	s_barrier
	ds_read_b128 v[22:25], v14
	ds_read_b128 v[26:29], v14 offset:16
	ds_read_b128 v[30:33], v14 offset:32
	;; [unrolled: 1-line block ×3, first 2 shown]
	ds_read2_b64 v[34:37], v13 offset1:16
	s_waitcnt lgkmcnt(0)
	v_mul_f32_e32 v38, v23, v35
	v_mul_f32_e32 v39, v22, v35
	v_fma_f32 v38, v22, v34, -v38
	v_fmac_f32_e32 v39, v23, v34
	v_add_f32_e32 v38, v20, v38
	v_add_f32_e32 v39, v21, v39
	v_mul_f32_e32 v20, v23, v37
	v_mul_f32_e32 v21, v22, v37
	v_fma_f32 v20, v22, v36, -v20
	v_fmac_f32_e32 v21, v23, v36
	v_add_f32_e32 v22, v19, v20
	v_add_f32_e32 v23, v18, v21
	ds_read_b128 v[18:21], v14 offset:1024
	s_waitcnt lgkmcnt(0)
	v_mul_f32_e32 v40, v19, v35
	v_mul_f32_e32 v35, v18, v35
	v_fma_f32 v40, v18, v34, -v40
	v_fmac_f32_e32 v35, v19, v34
	v_add_f32_e32 v34, v17, v40
	v_add_f32_e32 v35, v16, v35
	v_mul_f32_e32 v16, v19, v37
	v_mul_f32_e32 v17, v18, v37
	v_fma_f32 v16, v18, v36, -v16
	v_fmac_f32_e32 v17, v19, v36
	v_add_f32_e32 v19, v15, v16
	v_add_f32_e32 v10, v10, v17
	ds_read2_b64 v[15:18], v13 offset0:32 offset1:48
	s_waitcnt lgkmcnt(0)
	v_mul_f32_e32 v36, v25, v16
	v_fma_f32 v36, v24, v15, -v36
	v_add_f32_e32 v36, v38, v36
	v_mul_f32_e32 v38, v25, v18
	v_mul_f32_e32 v37, v24, v16
	v_fma_f32 v38, v24, v17, -v38
	v_mul_f32_e32 v24, v24, v18
	v_fmac_f32_e32 v24, v25, v17
	v_add_f32_e32 v23, v23, v24
	v_mul_f32_e32 v24, v21, v16
	v_mul_f32_e32 v16, v20, v16
	v_fmac_f32_e32 v16, v21, v15
	v_fmac_f32_e32 v37, v25, v15
	v_fma_f32 v24, v20, v15, -v24
	v_add_f32_e32 v25, v35, v16
	v_mul_f32_e32 v15, v21, v18
	v_mul_f32_e32 v16, v20, v18
	v_fma_f32 v15, v20, v17, -v15
	v_fmac_f32_e32 v16, v21, v17
	v_add_f32_e32 v24, v34, v24
	v_add_f32_e32 v34, v19, v15
	;; [unrolled: 1-line block ×3, first 2 shown]
	ds_read2_b64 v[15:18], v13 offset0:64 offset1:80
	v_add_f32_e32 v37, v39, v37
	v_add_f32_e32 v22, v22, v38
	s_waitcnt lgkmcnt(0)
	v_mul_f32_e32 v19, v27, v16
	v_mul_f32_e32 v20, v26, v16
	v_fma_f32 v19, v26, v15, -v19
	v_fmac_f32_e32 v20, v27, v15
	v_add_f32_e32 v35, v36, v19
	v_add_f32_e32 v36, v37, v20
	v_mul_f32_e32 v19, v27, v18
	v_mul_f32_e32 v20, v26, v18
	v_fma_f32 v19, v26, v17, -v19
	v_fmac_f32_e32 v20, v27, v17
	v_add_f32_e32 v26, v22, v19
	v_add_f32_e32 v23, v23, v20
	ds_read_b128 v[19:22], v14 offset:1040
	s_waitcnt lgkmcnt(0)
	v_mul_f32_e32 v27, v20, v16
	v_mul_f32_e32 v16, v19, v16
	v_fmac_f32_e32 v16, v20, v15
	v_fma_f32 v27, v19, v15, -v27
	v_add_f32_e32 v25, v25, v16
	v_mul_f32_e32 v15, v20, v18
	v_mul_f32_e32 v16, v19, v18
	v_fma_f32 v15, v19, v17, -v15
	v_fmac_f32_e32 v16, v20, v17
	v_add_f32_e32 v19, v34, v15
	v_add_f32_e32 v10, v10, v16
	ds_read2_b64 v[15:18], v13 offset0:96 offset1:112
	v_add_f32_e32 v24, v24, v27
	s_waitcnt lgkmcnt(0)
	v_mul_f32_e32 v20, v29, v16
	v_mul_f32_e32 v34, v29, v18
	v_fma_f32 v20, v28, v15, -v20
	v_mul_f32_e32 v27, v28, v16
	v_fma_f32 v34, v28, v17, -v34
	v_mul_f32_e32 v28, v28, v18
	v_fmac_f32_e32 v28, v29, v17
	v_add_f32_e32 v23, v23, v28
	v_mul_f32_e32 v28, v22, v16
	v_mul_f32_e32 v16, v21, v16
	v_fmac_f32_e32 v16, v22, v15
	v_fmac_f32_e32 v27, v29, v15
	v_fma_f32 v28, v21, v15, -v28
	v_add_f32_e32 v25, v25, v16
	v_mul_f32_e32 v15, v22, v18
	v_mul_f32_e32 v16, v21, v18
	v_fma_f32 v15, v21, v17, -v15
	v_fmac_f32_e32 v16, v22, v17
	v_add_f32_e32 v24, v24, v28
	v_add_f32_e32 v28, v19, v15
	;; [unrolled: 1-line block ×3, first 2 shown]
	ds_read2_b64 v[15:18], v13 offset0:128 offset1:144
	v_add_f32_e32 v20, v35, v20
	v_add_f32_e32 v27, v36, v27
	;; [unrolled: 1-line block ×3, first 2 shown]
	s_waitcnt lgkmcnt(0)
	v_mul_f32_e32 v19, v31, v16
	v_fma_f32 v19, v30, v15, -v19
	v_mul_f32_e32 v21, v30, v16
	v_add_f32_e32 v29, v20, v19
	v_mul_f32_e32 v19, v31, v18
	v_mul_f32_e32 v20, v30, v18
	v_fmac_f32_e32 v21, v31, v15
	v_fma_f32 v19, v30, v17, -v19
	v_fmac_f32_e32 v20, v31, v17
	v_add_f32_e32 v27, v27, v21
	v_add_f32_e32 v26, v26, v19
	;; [unrolled: 1-line block ×3, first 2 shown]
	ds_read_b128 v[19:22], v14 offset:1056
	s_waitcnt lgkmcnt(0)
	v_mul_f32_e32 v30, v20, v16
	v_mul_f32_e32 v16, v19, v16
	v_fmac_f32_e32 v16, v20, v15
	v_fma_f32 v30, v19, v15, -v30
	v_add_f32_e32 v25, v25, v16
	v_mul_f32_e32 v15, v20, v18
	v_mul_f32_e32 v16, v19, v18
	v_fma_f32 v15, v19, v17, -v15
	v_fmac_f32_e32 v16, v20, v17
	v_add_f32_e32 v19, v28, v15
	v_add_f32_e32 v10, v10, v16
	ds_read2_b64 v[15:18], v13 offset0:160 offset1:176
	v_add_f32_e32 v24, v24, v30
	s_waitcnt lgkmcnt(0)
	v_mul_f32_e32 v28, v32, v16
	v_fmac_f32_e32 v28, v33, v15
	v_add_f32_e32 v27, v27, v28
	v_mul_f32_e32 v28, v33, v18
	v_fma_f32 v28, v32, v17, -v28
	v_mul_f32_e32 v20, v33, v16
	v_add_f32_e32 v26, v26, v28
	v_mul_f32_e32 v28, v22, v16
	v_mul_f32_e32 v16, v21, v16
	v_fmac_f32_e32 v16, v22, v15
	v_fma_f32 v20, v32, v15, -v20
	v_fma_f32 v28, v21, v15, -v28
	v_add_f32_e32 v25, v25, v16
	v_mul_f32_e32 v15, v22, v18
	v_mul_f32_e32 v16, v21, v18
	v_add_f32_e32 v20, v29, v20
	v_mul_f32_e32 v29, v32, v18
	v_fma_f32 v15, v21, v17, -v15
	v_fmac_f32_e32 v16, v22, v17
	v_fmac_f32_e32 v29, v33, v17
	v_add_f32_e32 v19, v19, v15
	v_add_f32_e32 v10, v10, v16
	ds_read2_b64 v[15:18], v13 offset0:192 offset1:208
	v_add_f32_e32 v24, v24, v28
	v_add_f32_e32 v23, v23, v29
	s_waitcnt lgkmcnt(0)
	v_mul_f32_e32 v21, v3, v16
	v_fma_f32 v21, v2, v15, -v21
	v_add_f32_e32 v28, v20, v21
	v_mul_f32_e32 v20, v3, v18
	v_mul_f32_e32 v22, v2, v16
	v_fma_f32 v20, v2, v17, -v20
	v_mul_f32_e32 v2, v2, v18
	v_fmac_f32_e32 v22, v3, v15
	v_fmac_f32_e32 v2, v3, v17
	v_add_f32_e32 v29, v27, v22
	v_add_f32_e32 v3, v26, v20
	;; [unrolled: 1-line block ×3, first 2 shown]
	ds_read_b128 v[20:23], v14 offset:1072
	s_waitcnt lgkmcnt(0)
	v_mul_f32_e32 v26, v21, v16
	v_fma_f32 v26, v20, v15, -v26
	v_mul_f32_e32 v16, v20, v16
	v_fmac_f32_e32 v16, v21, v15
	v_add_f32_e32 v15, v24, v26
	v_mul_f32_e32 v24, v21, v18
	v_fma_f32 v24, v20, v17, -v24
	v_add_f32_e32 v16, v25, v16
	v_add_f32_e32 v30, v19, v24
	ds_read2_b64 v[24:27], v13 offset0:224 offset1:240
	v_mul_f32_e32 v18, v20, v18
	v_fmac_f32_e32 v18, v21, v17
	v_add_f32_e32 v10, v10, v18
	s_waitcnt lgkmcnt(0)
	v_mul_f32_e32 v17, v5, v25
	v_fma_f32 v17, v4, v24, -v17
	v_add_f32_e32 v20, v28, v17
	v_mul_f32_e32 v17, v5, v27
	v_mul_f32_e32 v18, v4, v25
	v_fma_f32 v17, v4, v26, -v17
	v_mul_f32_e32 v4, v4, v27
	v_fmac_f32_e32 v18, v5, v24
	v_fmac_f32_e32 v4, v5, v26
	v_add_f32_e32 v21, v29, v18
	v_add_f32_e32 v19, v3, v17
	v_add_f32_e32 v18, v2, v4
	v_mul_f32_e32 v2, v23, v25
	v_mul_f32_e32 v3, v22, v25
	v_fma_f32 v2, v22, v24, -v2
	v_fmac_f32_e32 v3, v23, v24
	v_add_f32_e32 v17, v15, v2
	v_add_f32_e32 v16, v16, v3
	v_mul_f32_e32 v2, v23, v27
	v_mul_f32_e32 v3, v22, v27
	v_fma_f32 v2, v22, v26, -v2
	v_fmac_f32_e32 v3, v23, v26
	v_add_f32_e32 v15, v30, v2
	v_add_f32_e32 v10, v10, v3
	v_mov_b32_e32 v3, s1
	v_mov_b32_e32 v2, s0
	v_cmp_le_u64_e32 vcc, s[12:13], v[2:3]
	s_barrier
	s_cbranch_vccz .LBB1552_2
	s_branch .LBB1552_4
.LBB1552_3:
	v_mov_b32_e32 v20, 0
	v_mov_b32_e32 v21, 0
	;; [unrolled: 1-line block ×8, first 2 shown]
.LBB1552_4:
	v_add_u32_e32 v4, s7, v1
	v_ashrrev_i32_e32 v1, 31, v4
	v_mul_lo_u32 v3, s2, v1
	v_mul_lo_u32 v5, s3, v4
	v_mad_u64_u32 v[1:2], s[0:1], s2, v4, 0
	s_load_dword s10, s[4:5], 0x0
	v_add_u32_e32 v0, s6, v0
	v_add3_u32 v2, v2, v3, v5
	v_lshlrev_b64 v[1:2], 3, v[1:2]
	s_waitcnt lgkmcnt(0)
	v_mov_b32_e32 v3, s9
	v_add_co_u32_e64 v5, s[0:1], s8, v1
	v_addc_co_u32_e64 v6, s[0:1], v3, v2, s[0:1]
	v_cmp_gt_i32_e32 vcc, s10, v4
	v_cmp_le_i32_e64 s[0:1], v0, v4
	s_and_b64 s[0:1], vcc, s[0:1]
	s_and_saveexec_b64 s[4:5], s[0:1]
	s_cbranch_execz .LBB1552_6
; %bb.5:
	v_ashrrev_i32_e32 v1, 31, v0
	v_lshlrev_b64 v[1:2], 3, v[0:1]
	v_add_co_u32_e64 v1, s[0:1], v5, v1
	v_addc_co_u32_e64 v2, s[0:1], v6, v2, s[0:1]
	flat_load_dwordx2 v[7:8], v[1:2]
	s_waitcnt vmcnt(0) lgkmcnt(0)
	v_sub_f32_e32 v7, v20, v7
	v_sub_f32_e32 v8, v21, v8
	flat_store_dwordx2 v[1:2], v[7:8]
.LBB1552_6:
	s_or_b64 exec, exec, s[4:5]
	v_add_u32_e32 v2, 16, v0
	v_cmp_le_i32_e64 s[0:1], v2, v4
	s_and_b64 s[4:5], vcc, s[0:1]
	s_and_saveexec_b64 s[0:1], s[4:5]
	s_cbranch_execz .LBB1552_8
; %bb.7:
	v_ashrrev_i32_e32 v3, 31, v2
	v_lshlrev_b64 v[7:8], 3, v[2:3]
	v_add_co_u32_e32 v5, vcc, v5, v7
	v_addc_co_u32_e32 v6, vcc, v6, v8, vcc
	flat_load_dwordx2 v[7:8], v[5:6]
	s_waitcnt vmcnt(0) lgkmcnt(0)
	v_sub_f32_e32 v7, v19, v7
	v_sub_f32_e32 v8, v18, v8
	flat_store_dwordx2 v[5:6], v[7:8]
.LBB1552_8:
	s_or_b64 exec, exec, s[0:1]
	v_add_u32_e32 v3, 16, v4
	v_ashrrev_i32_e32 v1, 31, v3
	v_mul_lo_u32 v1, s2, v1
	v_mul_lo_u32 v6, s3, v3
	v_mad_u64_u32 v[4:5], s[0:1], s2, v3, 0
	v_cmp_gt_i32_e32 vcc, s10, v3
	v_add3_u32 v5, v5, v1, v6
	v_lshlrev_b64 v[4:5], 3, v[4:5]
	v_mov_b32_e32 v1, s9
	v_add_co_u32_e64 v4, s[0:1], s8, v4
	v_addc_co_u32_e64 v5, s[0:1], v1, v5, s[0:1]
	v_cmp_le_i32_e64 s[0:1], v0, v3
	s_and_b64 s[0:1], vcc, s[0:1]
	s_and_saveexec_b64 s[2:3], s[0:1]
	s_cbranch_execz .LBB1552_10
; %bb.9:
	v_ashrrev_i32_e32 v1, 31, v0
	v_lshlrev_b64 v[0:1], 3, v[0:1]
	v_add_co_u32_e64 v0, s[0:1], v4, v0
	v_addc_co_u32_e64 v1, s[0:1], v5, v1, s[0:1]
	flat_load_dwordx2 v[6:7], v[0:1]
	s_waitcnt vmcnt(0) lgkmcnt(0)
	v_sub_f32_e32 v6, v17, v6
	v_sub_f32_e32 v7, v16, v7
	flat_store_dwordx2 v[0:1], v[6:7]
.LBB1552_10:
	s_or_b64 exec, exec, s[2:3]
	v_cmp_le_i32_e64 s[0:1], v2, v3
	s_and_b64 s[0:1], vcc, s[0:1]
	s_and_saveexec_b64 s[2:3], s[0:1]
	s_cbranch_execz .LBB1552_12
; %bb.11:
	v_ashrrev_i32_e32 v3, 31, v2
	v_lshlrev_b64 v[0:1], 3, v[2:3]
	v_add_co_u32_e32 v0, vcc, v4, v0
	v_addc_co_u32_e32 v1, vcc, v5, v1, vcc
	flat_load_dwordx2 v[2:3], v[0:1]
	s_waitcnt vmcnt(0) lgkmcnt(0)
	v_sub_f32_e32 v2, v15, v2
	v_sub_f32_e32 v3, v10, v3
	flat_store_dwordx2 v[0:1], v[2:3]
.LBB1552_12:
	s_endpgm
	.section	.rodata,"a",@progbits
	.p2align	6, 0x0
	.amdhsa_kernel _ZL37rocblas_syrkx_herkx_restricted_kernelIl19rocblas_complex_numIfELi16ELi32ELi8ELi1ELin1ELb0ELc67ELc85EKPKS1_KPS1_EviT_PT9_S7_lS9_S7_lPT10_S7_li
		.amdhsa_group_segment_fixed_size 4096
		.amdhsa_private_segment_fixed_size 0
		.amdhsa_kernarg_size 92
		.amdhsa_user_sgpr_count 6
		.amdhsa_user_sgpr_private_segment_buffer 1
		.amdhsa_user_sgpr_dispatch_ptr 0
		.amdhsa_user_sgpr_queue_ptr 0
		.amdhsa_user_sgpr_kernarg_segment_ptr 1
		.amdhsa_user_sgpr_dispatch_id 0
		.amdhsa_user_sgpr_flat_scratch_init 0
		.amdhsa_user_sgpr_private_segment_size 0
		.amdhsa_uses_dynamic_stack 0
		.amdhsa_system_sgpr_private_segment_wavefront_offset 0
		.amdhsa_system_sgpr_workgroup_id_x 1
		.amdhsa_system_sgpr_workgroup_id_y 1
		.amdhsa_system_sgpr_workgroup_id_z 1
		.amdhsa_system_sgpr_workgroup_info 0
		.amdhsa_system_vgpr_workitem_id 1
		.amdhsa_next_free_vgpr 41
		.amdhsa_next_free_sgpr 20
		.amdhsa_reserve_vcc 1
		.amdhsa_reserve_flat_scratch 0
		.amdhsa_float_round_mode_32 0
		.amdhsa_float_round_mode_16_64 0
		.amdhsa_float_denorm_mode_32 3
		.amdhsa_float_denorm_mode_16_64 3
		.amdhsa_dx10_clamp 1
		.amdhsa_ieee_mode 1
		.amdhsa_fp16_overflow 0
		.amdhsa_exception_fp_ieee_invalid_op 0
		.amdhsa_exception_fp_denorm_src 0
		.amdhsa_exception_fp_ieee_div_zero 0
		.amdhsa_exception_fp_ieee_overflow 0
		.amdhsa_exception_fp_ieee_underflow 0
		.amdhsa_exception_fp_ieee_inexact 0
		.amdhsa_exception_int_div_zero 0
	.end_amdhsa_kernel
	.section	.text._ZL37rocblas_syrkx_herkx_restricted_kernelIl19rocblas_complex_numIfELi16ELi32ELi8ELi1ELin1ELb0ELc67ELc85EKPKS1_KPS1_EviT_PT9_S7_lS9_S7_lPT10_S7_li,"axG",@progbits,_ZL37rocblas_syrkx_herkx_restricted_kernelIl19rocblas_complex_numIfELi16ELi32ELi8ELi1ELin1ELb0ELc67ELc85EKPKS1_KPS1_EviT_PT9_S7_lS9_S7_lPT10_S7_li,comdat
.Lfunc_end1552:
	.size	_ZL37rocblas_syrkx_herkx_restricted_kernelIl19rocblas_complex_numIfELi16ELi32ELi8ELi1ELin1ELb0ELc67ELc85EKPKS1_KPS1_EviT_PT9_S7_lS9_S7_lPT10_S7_li, .Lfunc_end1552-_ZL37rocblas_syrkx_herkx_restricted_kernelIl19rocblas_complex_numIfELi16ELi32ELi8ELi1ELin1ELb0ELc67ELc85EKPKS1_KPS1_EviT_PT9_S7_lS9_S7_lPT10_S7_li
                                        ; -- End function
	.set _ZL37rocblas_syrkx_herkx_restricted_kernelIl19rocblas_complex_numIfELi16ELi32ELi8ELi1ELin1ELb0ELc67ELc85EKPKS1_KPS1_EviT_PT9_S7_lS9_S7_lPT10_S7_li.num_vgpr, 41
	.set _ZL37rocblas_syrkx_herkx_restricted_kernelIl19rocblas_complex_numIfELi16ELi32ELi8ELi1ELin1ELb0ELc67ELc85EKPKS1_KPS1_EviT_PT9_S7_lS9_S7_lPT10_S7_li.num_agpr, 0
	.set _ZL37rocblas_syrkx_herkx_restricted_kernelIl19rocblas_complex_numIfELi16ELi32ELi8ELi1ELin1ELb0ELc67ELc85EKPKS1_KPS1_EviT_PT9_S7_lS9_S7_lPT10_S7_li.numbered_sgpr, 20
	.set _ZL37rocblas_syrkx_herkx_restricted_kernelIl19rocblas_complex_numIfELi16ELi32ELi8ELi1ELin1ELb0ELc67ELc85EKPKS1_KPS1_EviT_PT9_S7_lS9_S7_lPT10_S7_li.num_named_barrier, 0
	.set _ZL37rocblas_syrkx_herkx_restricted_kernelIl19rocblas_complex_numIfELi16ELi32ELi8ELi1ELin1ELb0ELc67ELc85EKPKS1_KPS1_EviT_PT9_S7_lS9_S7_lPT10_S7_li.private_seg_size, 0
	.set _ZL37rocblas_syrkx_herkx_restricted_kernelIl19rocblas_complex_numIfELi16ELi32ELi8ELi1ELin1ELb0ELc67ELc85EKPKS1_KPS1_EviT_PT9_S7_lS9_S7_lPT10_S7_li.uses_vcc, 1
	.set _ZL37rocblas_syrkx_herkx_restricted_kernelIl19rocblas_complex_numIfELi16ELi32ELi8ELi1ELin1ELb0ELc67ELc85EKPKS1_KPS1_EviT_PT9_S7_lS9_S7_lPT10_S7_li.uses_flat_scratch, 0
	.set _ZL37rocblas_syrkx_herkx_restricted_kernelIl19rocblas_complex_numIfELi16ELi32ELi8ELi1ELin1ELb0ELc67ELc85EKPKS1_KPS1_EviT_PT9_S7_lS9_S7_lPT10_S7_li.has_dyn_sized_stack, 0
	.set _ZL37rocblas_syrkx_herkx_restricted_kernelIl19rocblas_complex_numIfELi16ELi32ELi8ELi1ELin1ELb0ELc67ELc85EKPKS1_KPS1_EviT_PT9_S7_lS9_S7_lPT10_S7_li.has_recursion, 0
	.set _ZL37rocblas_syrkx_herkx_restricted_kernelIl19rocblas_complex_numIfELi16ELi32ELi8ELi1ELin1ELb0ELc67ELc85EKPKS1_KPS1_EviT_PT9_S7_lS9_S7_lPT10_S7_li.has_indirect_call, 0
	.section	.AMDGPU.csdata,"",@progbits
; Kernel info:
; codeLenInByte = 2028
; TotalNumSgprs: 24
; NumVgprs: 41
; ScratchSize: 0
; MemoryBound: 0
; FloatMode: 240
; IeeeMode: 1
; LDSByteSize: 4096 bytes/workgroup (compile time only)
; SGPRBlocks: 2
; VGPRBlocks: 10
; NumSGPRsForWavesPerEU: 24
; NumVGPRsForWavesPerEU: 41
; Occupancy: 5
; WaveLimiterHint : 1
; COMPUTE_PGM_RSRC2:SCRATCH_EN: 0
; COMPUTE_PGM_RSRC2:USER_SGPR: 6
; COMPUTE_PGM_RSRC2:TRAP_HANDLER: 0
; COMPUTE_PGM_RSRC2:TGID_X_EN: 1
; COMPUTE_PGM_RSRC2:TGID_Y_EN: 1
; COMPUTE_PGM_RSRC2:TGID_Z_EN: 1
; COMPUTE_PGM_RSRC2:TIDIG_COMP_CNT: 1
	.section	.text._ZL37rocblas_syrkx_herkx_restricted_kernelIl19rocblas_complex_numIfELi16ELi32ELi8ELi1ELin1ELb0ELc78ELc85EKPKS1_KPS1_EviT_PT9_S7_lS9_S7_lPT10_S7_li,"axG",@progbits,_ZL37rocblas_syrkx_herkx_restricted_kernelIl19rocblas_complex_numIfELi16ELi32ELi8ELi1ELin1ELb0ELc78ELc85EKPKS1_KPS1_EviT_PT9_S7_lS9_S7_lPT10_S7_li,comdat
	.globl	_ZL37rocblas_syrkx_herkx_restricted_kernelIl19rocblas_complex_numIfELi16ELi32ELi8ELi1ELin1ELb0ELc78ELc85EKPKS1_KPS1_EviT_PT9_S7_lS9_S7_lPT10_S7_li ; -- Begin function _ZL37rocblas_syrkx_herkx_restricted_kernelIl19rocblas_complex_numIfELi16ELi32ELi8ELi1ELin1ELb0ELc78ELc85EKPKS1_KPS1_EviT_PT9_S7_lS9_S7_lPT10_S7_li
	.p2align	8
	.type	_ZL37rocblas_syrkx_herkx_restricted_kernelIl19rocblas_complex_numIfELi16ELi32ELi8ELi1ELin1ELb0ELc78ELc85EKPKS1_KPS1_EviT_PT9_S7_lS9_S7_lPT10_S7_li,@function
_ZL37rocblas_syrkx_herkx_restricted_kernelIl19rocblas_complex_numIfELi16ELi32ELi8ELi1ELin1ELb0ELc78ELc85EKPKS1_KPS1_EviT_PT9_S7_lS9_S7_lPT10_S7_li: ; @_ZL37rocblas_syrkx_herkx_restricted_kernelIl19rocblas_complex_numIfELi16ELi32ELi8ELi1ELin1ELb0ELc78ELc85EKPKS1_KPS1_EviT_PT9_S7_lS9_S7_lPT10_S7_li
; %bb.0:
	s_load_dwordx4 s[0:3], s[4:5], 0x40
	s_load_dwordx4 s[12:15], s[4:5], 0x8
	s_mov_b32 s9, 0
	s_lshl_b64 s[18:19], s[8:9], 3
	s_waitcnt lgkmcnt(0)
	s_add_u32 s0, s0, s18
	s_addc_u32 s1, s1, s19
	s_load_dwordx2 s[16:17], s[0:1], 0x0
	v_cmp_lt_i64_e64 s[0:1], s[12:13], 1
	s_lshl_b32 s20, s6, 5
	s_lshl_b32 s21, s7, 5
	s_and_b64 vcc, exec, s[0:1]
	s_cbranch_vccnz .LBB1553_3
; %bb.1:
	s_load_dwordx2 s[0:1], s[4:5], 0x18
	s_load_dwordx4 s[8:11], s[4:5], 0x28
	v_lshl_add_u32 v5, v1, 4, v0
	v_lshrrev_b32_e32 v7, 3, v5
	v_add_u32_e32 v2, s21, v7
	v_and_b32_e32 v6, 7, v0
	v_ashrrev_i32_e32 v3, 31, v2
	s_waitcnt lgkmcnt(0)
	v_mad_u64_u32 v[2:3], s[6:7], s10, v6, v[2:3]
	s_add_u32 s6, s14, s18
	s_addc_u32 s7, s15, s19
	v_mad_u64_u32 v[3:4], s[14:15], s11, v6, v[3:4]
	v_and_b32_e32 v4, 31, v5
	v_lshrrev_b32_e32 v8, 5, v5
	v_lshlrev_b32_e32 v5, 3, v4
	v_add_u32_e32 v4, s20, v4
	v_lshl_or_b32 v10, v8, 8, v5
	v_ashrrev_i32_e32 v5, 31, v4
	v_mad_u64_u32 v[4:5], s[14:15], s0, v8, v[4:5]
	v_lshlrev_b32_e32 v6, 3, v6
	v_lshl_or_b32 v6, v7, 6, v6
	v_add_u32_e32 v11, 0x800, v6
	v_mad_u64_u32 v[5:6], s[14:15], s1, v8, v[5:6]
	s_load_dwordx2 s[6:7], s[6:7], 0x0
	s_add_u32 s8, s8, s18
	s_addc_u32 s9, s9, s19
	s_load_dwordx2 s[8:9], s[8:9], 0x0
	v_lshlrev_b64 v[4:5], 3, v[4:5]
	v_mov_b32_e32 v6, 0x800
	v_lshl_add_u32 v13, v1, 6, v6
	s_waitcnt lgkmcnt(0)
	v_mov_b32_e32 v7, s7
	v_add_co_u32_e32 v6, vcc, s6, v4
	v_lshlrev_b64 v[2:3], 3, v[2:3]
	v_addc_co_u32_e32 v7, vcc, v7, v5, vcc
	s_lshl_b64 s[0:1], s[0:1], 6
	v_mov_b32_e32 v4, s9
	v_add_co_u32_e32 v8, vcc, s8, v2
	s_lshl_b64 s[6:7], s[10:11], 6
	v_lshlrev_b32_e32 v12, 3, v0
	v_addc_co_u32_e32 v9, vcc, v4, v3, vcc
	v_mov_b32_e32 v16, 0
	s_mov_b64 s[8:9], 0
	v_mov_b32_e32 v14, s1
	v_mov_b32_e32 v15, s7
	;; [unrolled: 1-line block ×9, first 2 shown]
.LBB1553_2:                             ; =>This Inner Loop Header: Depth=1
	flat_load_dwordx2 v[2:3], v[6:7]
	v_add_co_u32_e32 v6, vcc, s0, v6
	s_add_u32 s8, s8, 8
	v_addc_co_u32_e32 v7, vcc, v7, v14, vcc
	s_addc_u32 s9, s9, 0
	s_waitcnt vmcnt(0) lgkmcnt(0)
	ds_write_b64 v10, v[2:3]
	flat_load_dwordx2 v[2:3], v[8:9]
	v_add_co_u32_e32 v8, vcc, s6, v8
	v_addc_co_u32_e32 v9, vcc, v9, v15, vcc
	s_waitcnt vmcnt(0) lgkmcnt(0)
	ds_write_b64 v11, v[2:3]
	s_waitcnt lgkmcnt(0)
	s_barrier
	ds_read_b128 v[24:27], v13
	ds_read_b128 v[28:31], v13 offset:16
	ds_read_b128 v[32:35], v13 offset:32
	ds_read_b128 v[2:5], v13 offset:48
	ds_read2_b64 v[36:39], v12 offset1:16
	s_waitcnt lgkmcnt(0)
	v_mul_f32_e32 v40, v25, v37
	v_mul_f32_e32 v41, v24, v37
	v_fma_f32 v40, v24, v36, -v40
	v_fmac_f32_e32 v41, v25, v36
	v_add_f32_e32 v40, v22, v40
	v_add_f32_e32 v41, v23, v41
	v_mul_f32_e32 v22, v25, v39
	v_mul_f32_e32 v23, v24, v39
	v_fma_f32 v22, v24, v38, -v22
	v_fmac_f32_e32 v23, v25, v38
	v_add_f32_e32 v24, v21, v22
	v_add_f32_e32 v25, v20, v23
	ds_read_b128 v[20:23], v13 offset:1024
	s_waitcnt lgkmcnt(0)
	v_mul_f32_e32 v42, v21, v37
	v_mul_f32_e32 v37, v20, v37
	v_fma_f32 v42, v20, v36, -v42
	v_fmac_f32_e32 v37, v21, v36
	v_add_f32_e32 v36, v19, v42
	v_add_f32_e32 v37, v18, v37
	v_mul_f32_e32 v18, v21, v39
	v_mul_f32_e32 v19, v20, v39
	v_fma_f32 v18, v20, v38, -v18
	v_fmac_f32_e32 v19, v21, v38
	v_add_f32_e32 v20, v17, v18
	v_add_f32_e32 v21, v16, v19
	ds_read2_b64 v[16:19], v12 offset0:32 offset1:48
	s_waitcnt lgkmcnt(0)
	v_mul_f32_e32 v38, v27, v17
	v_fma_f32 v38, v26, v16, -v38
	v_add_f32_e32 v38, v40, v38
	v_mul_f32_e32 v40, v27, v19
	v_mul_f32_e32 v39, v26, v17
	v_fma_f32 v40, v26, v18, -v40
	v_mul_f32_e32 v26, v26, v19
	v_fmac_f32_e32 v26, v27, v18
	v_add_f32_e32 v25, v25, v26
	v_mul_f32_e32 v26, v23, v17
	v_mul_f32_e32 v17, v22, v17
	v_fmac_f32_e32 v17, v23, v16
	v_fmac_f32_e32 v39, v27, v16
	v_fma_f32 v26, v22, v16, -v26
	v_add_f32_e32 v27, v37, v17
	v_mul_f32_e32 v16, v23, v19
	v_mul_f32_e32 v17, v22, v19
	v_fma_f32 v16, v22, v18, -v16
	v_fmac_f32_e32 v17, v23, v18
	v_add_f32_e32 v26, v36, v26
	v_add_f32_e32 v36, v20, v16
	v_add_f32_e32 v37, v21, v17
	ds_read2_b64 v[16:19], v12 offset0:64 offset1:80
	v_add_f32_e32 v39, v41, v39
	v_add_f32_e32 v24, v24, v40
	s_waitcnt lgkmcnt(0)
	v_mul_f32_e32 v20, v29, v17
	v_mul_f32_e32 v21, v28, v17
	v_fma_f32 v20, v28, v16, -v20
	v_fmac_f32_e32 v21, v29, v16
	v_add_f32_e32 v38, v38, v20
	v_add_f32_e32 v39, v39, v21
	v_mul_f32_e32 v20, v29, v19
	v_mul_f32_e32 v21, v28, v19
	v_fma_f32 v20, v28, v18, -v20
	v_fmac_f32_e32 v21, v29, v18
	v_add_f32_e32 v24, v24, v20
	v_add_f32_e32 v25, v25, v21
	ds_read_b128 v[20:23], v13 offset:1040
	s_waitcnt lgkmcnt(0)
	v_mul_f32_e32 v28, v21, v17
	v_mul_f32_e32 v17, v20, v17
	v_fmac_f32_e32 v17, v21, v16
	v_fma_f32 v28, v20, v16, -v28
	v_add_f32_e32 v27, v27, v17
	v_mul_f32_e32 v16, v21, v19
	v_mul_f32_e32 v17, v20, v19
	v_fma_f32 v16, v20, v18, -v16
	v_fmac_f32_e32 v17, v21, v18
	v_add_f32_e32 v20, v36, v16
	v_add_f32_e32 v21, v37, v17
	ds_read2_b64 v[16:19], v12 offset0:96 offset1:112
	v_add_f32_e32 v26, v26, v28
	s_waitcnt lgkmcnt(0)
	v_mul_f32_e32 v28, v31, v17
	v_mul_f32_e32 v36, v31, v19
	v_fma_f32 v28, v30, v16, -v28
	v_mul_f32_e32 v29, v30, v17
	v_fma_f32 v36, v30, v18, -v36
	v_mul_f32_e32 v30, v30, v19
	v_fmac_f32_e32 v30, v31, v18
	v_add_f32_e32 v25, v25, v30
	v_mul_f32_e32 v30, v23, v17
	v_mul_f32_e32 v17, v22, v17
	v_fmac_f32_e32 v17, v23, v16
	v_fmac_f32_e32 v29, v31, v16
	v_fma_f32 v30, v22, v16, -v30
	v_add_f32_e32 v27, v27, v17
	v_mul_f32_e32 v16, v23, v19
	v_mul_f32_e32 v17, v22, v19
	v_fma_f32 v16, v22, v18, -v16
	v_fmac_f32_e32 v17, v23, v18
	v_add_f32_e32 v26, v26, v30
	v_add_f32_e32 v30, v20, v16
	;; [unrolled: 1-line block ×3, first 2 shown]
	ds_read2_b64 v[16:19], v12 offset0:128 offset1:144
	v_add_f32_e32 v28, v38, v28
	v_add_f32_e32 v29, v39, v29
	;; [unrolled: 1-line block ×3, first 2 shown]
	s_waitcnt lgkmcnt(0)
	v_mul_f32_e32 v20, v33, v17
	v_mul_f32_e32 v21, v32, v17
	v_fma_f32 v20, v32, v16, -v20
	v_fmac_f32_e32 v21, v33, v16
	v_add_f32_e32 v28, v28, v20
	v_add_f32_e32 v29, v29, v21
	v_mul_f32_e32 v20, v33, v19
	v_mul_f32_e32 v21, v32, v19
	v_fma_f32 v20, v32, v18, -v20
	v_fmac_f32_e32 v21, v33, v18
	v_add_f32_e32 v24, v24, v20
	v_add_f32_e32 v25, v25, v21
	ds_read_b128 v[20:23], v13 offset:1056
	s_waitcnt lgkmcnt(0)
	v_mul_f32_e32 v32, v21, v17
	v_mul_f32_e32 v17, v20, v17
	v_fmac_f32_e32 v17, v21, v16
	v_fma_f32 v32, v20, v16, -v32
	v_add_f32_e32 v27, v27, v17
	v_mul_f32_e32 v16, v21, v19
	v_mul_f32_e32 v17, v20, v19
	v_fma_f32 v16, v20, v18, -v16
	v_fmac_f32_e32 v17, v21, v18
	v_add_f32_e32 v20, v30, v16
	v_add_f32_e32 v21, v31, v17
	ds_read2_b64 v[16:19], v12 offset0:160 offset1:176
	v_add_f32_e32 v26, v26, v32
	s_waitcnt lgkmcnt(0)
	v_mul_f32_e32 v30, v35, v17
	v_fma_f32 v30, v34, v16, -v30
	v_add_f32_e32 v28, v28, v30
	v_mul_f32_e32 v30, v35, v19
	v_fma_f32 v30, v34, v18, -v30
	v_mul_f32_e32 v31, v34, v17
	v_add_f32_e32 v24, v24, v30
	v_mul_f32_e32 v30, v23, v17
	v_mul_f32_e32 v17, v22, v17
	v_fmac_f32_e32 v17, v23, v16
	v_fmac_f32_e32 v31, v35, v16
	v_fma_f32 v30, v22, v16, -v30
	v_add_f32_e32 v27, v27, v17
	v_mul_f32_e32 v16, v23, v19
	v_mul_f32_e32 v17, v22, v19
	v_add_f32_e32 v29, v29, v31
	v_mul_f32_e32 v31, v34, v19
	v_fma_f32 v16, v22, v18, -v16
	v_fmac_f32_e32 v17, v23, v18
	v_fmac_f32_e32 v31, v35, v18
	v_add_f32_e32 v20, v20, v16
	v_add_f32_e32 v21, v21, v17
	ds_read2_b64 v[16:19], v12 offset0:192 offset1:208
	v_add_f32_e32 v26, v26, v30
	v_add_f32_e32 v25, v25, v31
	s_waitcnt lgkmcnt(0)
	v_mul_f32_e32 v22, v3, v17
	v_fma_f32 v22, v2, v16, -v22
	v_add_f32_e32 v30, v28, v22
	v_mul_f32_e32 v22, v3, v19
	v_mul_f32_e32 v23, v2, v17
	v_fma_f32 v22, v2, v18, -v22
	v_mul_f32_e32 v2, v2, v19
	v_fmac_f32_e32 v23, v3, v16
	v_fmac_f32_e32 v2, v3, v18
	v_add_f32_e32 v31, v29, v23
	v_add_f32_e32 v3, v24, v22
	;; [unrolled: 1-line block ×3, first 2 shown]
	ds_read_b128 v[22:25], v13 offset:1072
	s_waitcnt lgkmcnt(0)
	v_mul_f32_e32 v28, v23, v17
	v_fma_f32 v28, v22, v16, -v28
	v_mul_f32_e32 v17, v22, v17
	v_fmac_f32_e32 v17, v23, v16
	v_add_f32_e32 v16, v26, v28
	v_mul_f32_e32 v26, v23, v19
	v_fma_f32 v26, v22, v18, -v26
	v_add_f32_e32 v17, v27, v17
	v_add_f32_e32 v32, v20, v26
	ds_read2_b64 v[26:29], v12 offset0:224 offset1:240
	v_mul_f32_e32 v19, v22, v19
	v_fmac_f32_e32 v19, v23, v18
	v_add_f32_e32 v33, v21, v19
	s_waitcnt lgkmcnt(0)
	v_mul_f32_e32 v18, v5, v27
	v_fma_f32 v18, v4, v26, -v18
	v_add_f32_e32 v22, v30, v18
	v_mul_f32_e32 v18, v5, v29
	v_mul_f32_e32 v19, v4, v27
	v_fma_f32 v18, v4, v28, -v18
	v_mul_f32_e32 v4, v4, v29
	v_fmac_f32_e32 v4, v5, v28
	v_add_f32_e32 v21, v3, v18
	v_add_f32_e32 v20, v2, v4
	v_mul_f32_e32 v2, v25, v27
	v_mul_f32_e32 v3, v24, v27
	v_fmac_f32_e32 v19, v5, v26
	v_fma_f32 v2, v24, v26, -v2
	v_fmac_f32_e32 v3, v25, v26
	v_add_f32_e32 v23, v31, v19
	v_add_f32_e32 v19, v16, v2
	;; [unrolled: 1-line block ×3, first 2 shown]
	v_mul_f32_e32 v2, v25, v29
	v_mul_f32_e32 v3, v24, v29
	v_fma_f32 v2, v24, v28, -v2
	v_fmac_f32_e32 v3, v25, v28
	v_add_f32_e32 v17, v32, v2
	v_add_f32_e32 v16, v33, v3
	v_mov_b32_e32 v2, s8
	v_mov_b32_e32 v3, s9
	v_cmp_le_u64_e32 vcc, s[12:13], v[2:3]
	s_barrier
	s_cbranch_vccz .LBB1553_2
	s_branch .LBB1553_4
.LBB1553_3:
	v_mov_b32_e32 v22, 0
	v_mov_b32_e32 v23, 0
	;; [unrolled: 1-line block ×8, first 2 shown]
.LBB1553_4:
	v_add_u32_e32 v4, s21, v1
	v_ashrrev_i32_e32 v1, 31, v4
	v_mul_lo_u32 v3, s2, v1
	v_mul_lo_u32 v5, s3, v4
	v_mad_u64_u32 v[1:2], s[0:1], s2, v4, 0
	s_load_dword s6, s[4:5], 0x0
	v_add_u32_e32 v0, s20, v0
	v_add3_u32 v2, v2, v3, v5
	v_lshlrev_b64 v[1:2], 3, v[1:2]
	s_waitcnt lgkmcnt(0)
	v_mov_b32_e32 v3, s17
	v_add_co_u32_e64 v5, s[0:1], s16, v1
	v_addc_co_u32_e64 v6, s[0:1], v3, v2, s[0:1]
	v_cmp_gt_i32_e32 vcc, s6, v4
	v_cmp_le_i32_e64 s[0:1], v0, v4
	s_and_b64 s[0:1], vcc, s[0:1]
	s_and_saveexec_b64 s[4:5], s[0:1]
	s_cbranch_execz .LBB1553_6
; %bb.5:
	v_ashrrev_i32_e32 v1, 31, v0
	v_lshlrev_b64 v[1:2], 3, v[0:1]
	v_add_co_u32_e64 v1, s[0:1], v5, v1
	v_addc_co_u32_e64 v2, s[0:1], v6, v2, s[0:1]
	flat_load_dwordx2 v[7:8], v[1:2]
	s_waitcnt vmcnt(0) lgkmcnt(0)
	v_sub_f32_e32 v7, v22, v7
	v_sub_f32_e32 v8, v23, v8
	flat_store_dwordx2 v[1:2], v[7:8]
.LBB1553_6:
	s_or_b64 exec, exec, s[4:5]
	v_add_u32_e32 v2, 16, v0
	v_cmp_le_i32_e64 s[0:1], v2, v4
	s_and_b64 s[4:5], vcc, s[0:1]
	s_and_saveexec_b64 s[0:1], s[4:5]
	s_cbranch_execz .LBB1553_8
; %bb.7:
	v_ashrrev_i32_e32 v3, 31, v2
	v_lshlrev_b64 v[7:8], 3, v[2:3]
	v_add_co_u32_e32 v5, vcc, v5, v7
	v_addc_co_u32_e32 v6, vcc, v6, v8, vcc
	flat_load_dwordx2 v[7:8], v[5:6]
	s_waitcnt vmcnt(0) lgkmcnt(0)
	v_sub_f32_e32 v7, v21, v7
	v_sub_f32_e32 v8, v20, v8
	flat_store_dwordx2 v[5:6], v[7:8]
.LBB1553_8:
	s_or_b64 exec, exec, s[0:1]
	v_add_u32_e32 v3, 16, v4
	v_ashrrev_i32_e32 v1, 31, v3
	v_mul_lo_u32 v1, s2, v1
	v_mul_lo_u32 v6, s3, v3
	v_mad_u64_u32 v[4:5], s[0:1], s2, v3, 0
	v_cmp_gt_i32_e32 vcc, s6, v3
	v_add3_u32 v5, v5, v1, v6
	v_lshlrev_b64 v[4:5], 3, v[4:5]
	v_mov_b32_e32 v1, s17
	v_add_co_u32_e64 v4, s[0:1], s16, v4
	v_addc_co_u32_e64 v5, s[0:1], v1, v5, s[0:1]
	v_cmp_le_i32_e64 s[0:1], v0, v3
	s_and_b64 s[0:1], vcc, s[0:1]
	s_and_saveexec_b64 s[2:3], s[0:1]
	s_cbranch_execz .LBB1553_10
; %bb.9:
	v_ashrrev_i32_e32 v1, 31, v0
	v_lshlrev_b64 v[0:1], 3, v[0:1]
	v_add_co_u32_e64 v0, s[0:1], v4, v0
	v_addc_co_u32_e64 v1, s[0:1], v5, v1, s[0:1]
	flat_load_dwordx2 v[6:7], v[0:1]
	s_waitcnt vmcnt(0) lgkmcnt(0)
	v_sub_f32_e32 v6, v19, v6
	v_sub_f32_e32 v7, v18, v7
	flat_store_dwordx2 v[0:1], v[6:7]
.LBB1553_10:
	s_or_b64 exec, exec, s[2:3]
	v_cmp_le_i32_e64 s[0:1], v2, v3
	s_and_b64 s[0:1], vcc, s[0:1]
	s_and_saveexec_b64 s[2:3], s[0:1]
	s_cbranch_execz .LBB1553_12
; %bb.11:
	v_ashrrev_i32_e32 v3, 31, v2
	v_lshlrev_b64 v[0:1], 3, v[2:3]
	v_add_co_u32_e32 v0, vcc, v4, v0
	v_addc_co_u32_e32 v1, vcc, v5, v1, vcc
	flat_load_dwordx2 v[2:3], v[0:1]
	s_waitcnt vmcnt(0) lgkmcnt(0)
	v_sub_f32_e32 v2, v17, v2
	v_sub_f32_e32 v3, v16, v3
	flat_store_dwordx2 v[0:1], v[2:3]
.LBB1553_12:
	s_endpgm
	.section	.rodata,"a",@progbits
	.p2align	6, 0x0
	.amdhsa_kernel _ZL37rocblas_syrkx_herkx_restricted_kernelIl19rocblas_complex_numIfELi16ELi32ELi8ELi1ELin1ELb0ELc78ELc85EKPKS1_KPS1_EviT_PT9_S7_lS9_S7_lPT10_S7_li
		.amdhsa_group_segment_fixed_size 4096
		.amdhsa_private_segment_fixed_size 0
		.amdhsa_kernarg_size 92
		.amdhsa_user_sgpr_count 6
		.amdhsa_user_sgpr_private_segment_buffer 1
		.amdhsa_user_sgpr_dispatch_ptr 0
		.amdhsa_user_sgpr_queue_ptr 0
		.amdhsa_user_sgpr_kernarg_segment_ptr 1
		.amdhsa_user_sgpr_dispatch_id 0
		.amdhsa_user_sgpr_flat_scratch_init 0
		.amdhsa_user_sgpr_private_segment_size 0
		.amdhsa_uses_dynamic_stack 0
		.amdhsa_system_sgpr_private_segment_wavefront_offset 0
		.amdhsa_system_sgpr_workgroup_id_x 1
		.amdhsa_system_sgpr_workgroup_id_y 1
		.amdhsa_system_sgpr_workgroup_id_z 1
		.amdhsa_system_sgpr_workgroup_info 0
		.amdhsa_system_vgpr_workitem_id 1
		.amdhsa_next_free_vgpr 43
		.amdhsa_next_free_sgpr 22
		.amdhsa_reserve_vcc 1
		.amdhsa_reserve_flat_scratch 0
		.amdhsa_float_round_mode_32 0
		.amdhsa_float_round_mode_16_64 0
		.amdhsa_float_denorm_mode_32 3
		.amdhsa_float_denorm_mode_16_64 3
		.amdhsa_dx10_clamp 1
		.amdhsa_ieee_mode 1
		.amdhsa_fp16_overflow 0
		.amdhsa_exception_fp_ieee_invalid_op 0
		.amdhsa_exception_fp_denorm_src 0
		.amdhsa_exception_fp_ieee_div_zero 0
		.amdhsa_exception_fp_ieee_overflow 0
		.amdhsa_exception_fp_ieee_underflow 0
		.amdhsa_exception_fp_ieee_inexact 0
		.amdhsa_exception_int_div_zero 0
	.end_amdhsa_kernel
	.section	.text._ZL37rocblas_syrkx_herkx_restricted_kernelIl19rocblas_complex_numIfELi16ELi32ELi8ELi1ELin1ELb0ELc78ELc85EKPKS1_KPS1_EviT_PT9_S7_lS9_S7_lPT10_S7_li,"axG",@progbits,_ZL37rocblas_syrkx_herkx_restricted_kernelIl19rocblas_complex_numIfELi16ELi32ELi8ELi1ELin1ELb0ELc78ELc85EKPKS1_KPS1_EviT_PT9_S7_lS9_S7_lPT10_S7_li,comdat
.Lfunc_end1553:
	.size	_ZL37rocblas_syrkx_herkx_restricted_kernelIl19rocblas_complex_numIfELi16ELi32ELi8ELi1ELin1ELb0ELc78ELc85EKPKS1_KPS1_EviT_PT9_S7_lS9_S7_lPT10_S7_li, .Lfunc_end1553-_ZL37rocblas_syrkx_herkx_restricted_kernelIl19rocblas_complex_numIfELi16ELi32ELi8ELi1ELin1ELb0ELc78ELc85EKPKS1_KPS1_EviT_PT9_S7_lS9_S7_lPT10_S7_li
                                        ; -- End function
	.set _ZL37rocblas_syrkx_herkx_restricted_kernelIl19rocblas_complex_numIfELi16ELi32ELi8ELi1ELin1ELb0ELc78ELc85EKPKS1_KPS1_EviT_PT9_S7_lS9_S7_lPT10_S7_li.num_vgpr, 43
	.set _ZL37rocblas_syrkx_herkx_restricted_kernelIl19rocblas_complex_numIfELi16ELi32ELi8ELi1ELin1ELb0ELc78ELc85EKPKS1_KPS1_EviT_PT9_S7_lS9_S7_lPT10_S7_li.num_agpr, 0
	.set _ZL37rocblas_syrkx_herkx_restricted_kernelIl19rocblas_complex_numIfELi16ELi32ELi8ELi1ELin1ELb0ELc78ELc85EKPKS1_KPS1_EviT_PT9_S7_lS9_S7_lPT10_S7_li.numbered_sgpr, 22
	.set _ZL37rocblas_syrkx_herkx_restricted_kernelIl19rocblas_complex_numIfELi16ELi32ELi8ELi1ELin1ELb0ELc78ELc85EKPKS1_KPS1_EviT_PT9_S7_lS9_S7_lPT10_S7_li.num_named_barrier, 0
	.set _ZL37rocblas_syrkx_herkx_restricted_kernelIl19rocblas_complex_numIfELi16ELi32ELi8ELi1ELin1ELb0ELc78ELc85EKPKS1_KPS1_EviT_PT9_S7_lS9_S7_lPT10_S7_li.private_seg_size, 0
	.set _ZL37rocblas_syrkx_herkx_restricted_kernelIl19rocblas_complex_numIfELi16ELi32ELi8ELi1ELin1ELb0ELc78ELc85EKPKS1_KPS1_EviT_PT9_S7_lS9_S7_lPT10_S7_li.uses_vcc, 1
	.set _ZL37rocblas_syrkx_herkx_restricted_kernelIl19rocblas_complex_numIfELi16ELi32ELi8ELi1ELin1ELb0ELc78ELc85EKPKS1_KPS1_EviT_PT9_S7_lS9_S7_lPT10_S7_li.uses_flat_scratch, 0
	.set _ZL37rocblas_syrkx_herkx_restricted_kernelIl19rocblas_complex_numIfELi16ELi32ELi8ELi1ELin1ELb0ELc78ELc85EKPKS1_KPS1_EviT_PT9_S7_lS9_S7_lPT10_S7_li.has_dyn_sized_stack, 0
	.set _ZL37rocblas_syrkx_herkx_restricted_kernelIl19rocblas_complex_numIfELi16ELi32ELi8ELi1ELin1ELb0ELc78ELc85EKPKS1_KPS1_EviT_PT9_S7_lS9_S7_lPT10_S7_li.has_recursion, 0
	.set _ZL37rocblas_syrkx_herkx_restricted_kernelIl19rocblas_complex_numIfELi16ELi32ELi8ELi1ELin1ELb0ELc78ELc85EKPKS1_KPS1_EviT_PT9_S7_lS9_S7_lPT10_S7_li.has_indirect_call, 0
	.section	.AMDGPU.csdata,"",@progbits
; Kernel info:
; codeLenInByte = 2008
; TotalNumSgprs: 26
; NumVgprs: 43
; ScratchSize: 0
; MemoryBound: 0
; FloatMode: 240
; IeeeMode: 1
; LDSByteSize: 4096 bytes/workgroup (compile time only)
; SGPRBlocks: 3
; VGPRBlocks: 10
; NumSGPRsForWavesPerEU: 26
; NumVGPRsForWavesPerEU: 43
; Occupancy: 5
; WaveLimiterHint : 1
; COMPUTE_PGM_RSRC2:SCRATCH_EN: 0
; COMPUTE_PGM_RSRC2:USER_SGPR: 6
; COMPUTE_PGM_RSRC2:TRAP_HANDLER: 0
; COMPUTE_PGM_RSRC2:TGID_X_EN: 1
; COMPUTE_PGM_RSRC2:TGID_Y_EN: 1
; COMPUTE_PGM_RSRC2:TGID_Z_EN: 1
; COMPUTE_PGM_RSRC2:TIDIG_COMP_CNT: 1
	.section	.text._ZL37rocblas_syrkx_herkx_restricted_kernelIl19rocblas_complex_numIfELi16ELi32ELi8ELi1ELi0ELb0ELc84ELc76EKPKS1_KPS1_EviT_PT9_S7_lS9_S7_lPT10_S7_li,"axG",@progbits,_ZL37rocblas_syrkx_herkx_restricted_kernelIl19rocblas_complex_numIfELi16ELi32ELi8ELi1ELi0ELb0ELc84ELc76EKPKS1_KPS1_EviT_PT9_S7_lS9_S7_lPT10_S7_li,comdat
	.globl	_ZL37rocblas_syrkx_herkx_restricted_kernelIl19rocblas_complex_numIfELi16ELi32ELi8ELi1ELi0ELb0ELc84ELc76EKPKS1_KPS1_EviT_PT9_S7_lS9_S7_lPT10_S7_li ; -- Begin function _ZL37rocblas_syrkx_herkx_restricted_kernelIl19rocblas_complex_numIfELi16ELi32ELi8ELi1ELi0ELb0ELc84ELc76EKPKS1_KPS1_EviT_PT9_S7_lS9_S7_lPT10_S7_li
	.p2align	8
	.type	_ZL37rocblas_syrkx_herkx_restricted_kernelIl19rocblas_complex_numIfELi16ELi32ELi8ELi1ELi0ELb0ELc84ELc76EKPKS1_KPS1_EviT_PT9_S7_lS9_S7_lPT10_S7_li,@function
_ZL37rocblas_syrkx_herkx_restricted_kernelIl19rocblas_complex_numIfELi16ELi32ELi8ELi1ELi0ELb0ELc84ELc76EKPKS1_KPS1_EviT_PT9_S7_lS9_S7_lPT10_S7_li: ; @_ZL37rocblas_syrkx_herkx_restricted_kernelIl19rocblas_complex_numIfELi16ELi32ELi8ELi1ELi0ELb0ELc84ELc76EKPKS1_KPS1_EviT_PT9_S7_lS9_S7_lPT10_S7_li
; %bb.0:
	s_load_dwordx4 s[12:15], s[4:5], 0x40
	s_load_dwordx4 s[0:3], s[4:5], 0x8
	s_mov_b32 s9, 0
	s_lshl_b64 s[10:11], s[8:9], 3
	s_waitcnt lgkmcnt(0)
	s_add_u32 s8, s12, s10
	s_addc_u32 s9, s13, s11
	s_load_dwordx2 s[8:9], s[8:9], 0x0
	v_cmp_lt_i64_e64 s[12:13], s[0:1], 1
	s_lshl_b32 s6, s6, 5
	s_lshl_b32 s7, s7, 5
	s_and_b64 vcc, exec, s[12:13]
	s_cbranch_vccnz .LBB1554_3
; %bb.1:
	s_load_dwordx2 s[12:13], s[4:5], 0x18
	s_load_dwordx4 s[16:19], s[4:5], 0x28
	v_lshl_add_u32 v4, v1, 4, v0
	v_lshrrev_b32_e32 v6, 3, v4
	v_add_u32_e32 v2, s7, v6
	v_ashrrev_i32_e32 v3, 31, v2
	v_and_b32_e32 v10, 7, v0
	v_mov_b32_e32 v11, 0
	s_waitcnt lgkmcnt(0)
	v_mul_lo_u32 v5, s18, v3
	v_mul_lo_u32 v7, s19, v2
	v_mad_u64_u32 v[2:3], s[18:19], s18, v2, v[10:11]
	s_add_u32 s2, s2, s10
	s_addc_u32 s3, s3, s11
	v_add3_u32 v3, v7, v3, v5
	v_and_b32_e32 v7, 31, v4
	v_lshrrev_b32_e32 v4, 5, v4
	v_lshlrev_b32_e32 v8, 3, v7
	v_lshl_or_b32 v18, v4, 8, v8
	v_lshlrev_b32_e32 v8, 3, v10
	v_lshl_or_b32 v6, v6, 6, v8
	v_add_u32_e32 v19, 0x800, v6
	v_add_u32_e32 v6, s6, v7
	s_add_u32 s10, s16, s10
	v_mov_b32_e32 v5, v11
	v_ashrrev_i32_e32 v7, 31, v6
	s_addc_u32 s11, s17, s11
	v_mul_lo_u32 v7, s12, v7
	v_mad_u64_u32 v[4:5], s[16:17], s12, v6, v[4:5]
	v_mul_lo_u32 v6, s13, v6
	s_load_dwordx2 s[2:3], s[2:3], 0x0
	v_lshlrev_b64 v[2:3], 3, v[2:3]
	s_load_dwordx2 s[10:11], s[10:11], 0x0
	v_add3_u32 v5, v6, v5, v7
	v_lshlrev_b64 v[4:5], 3, v[4:5]
	s_waitcnt lgkmcnt(0)
	v_mov_b32_e32 v7, s3
	v_add_co_u32_e32 v6, vcc, s2, v4
	v_mov_b32_e32 v8, 0x800
	v_addc_co_u32_e32 v7, vcc, v7, v5, vcc
	v_lshl_add_u32 v21, v1, 6, v8
	v_mov_b32_e32 v4, s11
	v_add_co_u32_e32 v8, vcc, s10, v2
	v_lshlrev_b32_e32 v20, 3, v0
	v_addc_co_u32_e32 v9, vcc, v4, v3, vcc
	s_mov_b64 s[2:3], 0
	v_mov_b32_e32 v10, v11
	v_mov_b32_e32 v13, v11
	v_mov_b32_e32 v12, v11
	v_mov_b32_e32 v15, v11
	v_mov_b32_e32 v14, v11
	v_mov_b32_e32 v17, v11
	v_mov_b32_e32 v16, v11
.LBB1554_2:                             ; =>This Inner Loop Header: Depth=1
	flat_load_dwordx2 v[2:3], v[6:7]
	v_add_co_u32_e32 v6, vcc, 64, v6
	s_add_u32 s2, s2, 8
	v_addc_co_u32_e32 v7, vcc, 0, v7, vcc
	s_addc_u32 s3, s3, 0
	s_waitcnt vmcnt(0) lgkmcnt(0)
	ds_write_b64 v18, v[2:3]
	flat_load_dwordx2 v[2:3], v[8:9]
	v_add_co_u32_e32 v8, vcc, 64, v8
	v_addc_co_u32_e32 v9, vcc, 0, v9, vcc
	s_waitcnt vmcnt(0) lgkmcnt(0)
	ds_write_b64 v19, v[2:3]
	s_waitcnt lgkmcnt(0)
	s_barrier
	ds_read_b128 v[22:25], v21
	ds_read_b128 v[26:29], v21 offset:16
	ds_read_b128 v[30:33], v21 offset:32
	;; [unrolled: 1-line block ×3, first 2 shown]
	ds_read2_b64 v[34:37], v20 offset1:16
	s_waitcnt lgkmcnt(0)
	v_mul_f32_e32 v38, v23, v35
	v_mul_f32_e32 v39, v22, v35
	v_fma_f32 v38, v22, v34, -v38
	v_fmac_f32_e32 v39, v23, v34
	v_add_f32_e32 v38, v16, v38
	v_add_f32_e32 v39, v17, v39
	v_mul_f32_e32 v16, v23, v37
	v_mul_f32_e32 v17, v22, v37
	v_fma_f32 v16, v22, v36, -v16
	v_fmac_f32_e32 v17, v23, v36
	v_add_f32_e32 v22, v14, v16
	v_add_f32_e32 v23, v15, v17
	ds_read_b128 v[14:17], v21 offset:1024
	s_waitcnt lgkmcnt(0)
	v_mul_f32_e32 v40, v15, v35
	v_mul_f32_e32 v35, v14, v35
	v_fma_f32 v40, v14, v34, -v40
	v_fmac_f32_e32 v35, v15, v34
	v_add_f32_e32 v34, v12, v40
	v_add_f32_e32 v35, v13, v35
	v_mul_f32_e32 v12, v15, v37
	v_mul_f32_e32 v13, v14, v37
	v_fma_f32 v12, v14, v36, -v12
	v_fmac_f32_e32 v13, v15, v36
	v_add_f32_e32 v14, v10, v12
	v_add_f32_e32 v15, v11, v13
	ds_read2_b64 v[10:13], v20 offset0:32 offset1:48
	s_waitcnt lgkmcnt(0)
	v_mul_f32_e32 v36, v25, v11
	v_fma_f32 v36, v24, v10, -v36
	v_add_f32_e32 v36, v38, v36
	v_mul_f32_e32 v38, v25, v13
	v_mul_f32_e32 v37, v24, v11
	v_fma_f32 v38, v24, v12, -v38
	v_mul_f32_e32 v24, v24, v13
	v_fmac_f32_e32 v24, v25, v12
	v_add_f32_e32 v23, v23, v24
	v_mul_f32_e32 v24, v17, v11
	v_mul_f32_e32 v11, v16, v11
	v_fmac_f32_e32 v11, v17, v10
	v_fmac_f32_e32 v37, v25, v10
	v_fma_f32 v24, v16, v10, -v24
	v_add_f32_e32 v25, v35, v11
	v_mul_f32_e32 v10, v17, v13
	v_mul_f32_e32 v11, v16, v13
	v_fma_f32 v10, v16, v12, -v10
	v_fmac_f32_e32 v11, v17, v12
	v_add_f32_e32 v24, v34, v24
	v_add_f32_e32 v34, v14, v10
	;; [unrolled: 1-line block ×3, first 2 shown]
	ds_read2_b64 v[10:13], v20 offset0:64 offset1:80
	v_add_f32_e32 v37, v39, v37
	v_add_f32_e32 v22, v22, v38
	s_waitcnt lgkmcnt(0)
	v_mul_f32_e32 v14, v27, v11
	v_mul_f32_e32 v15, v26, v11
	v_fma_f32 v14, v26, v10, -v14
	v_fmac_f32_e32 v15, v27, v10
	v_add_f32_e32 v36, v36, v14
	v_add_f32_e32 v37, v37, v15
	v_mul_f32_e32 v14, v27, v13
	v_mul_f32_e32 v15, v26, v13
	v_fma_f32 v14, v26, v12, -v14
	v_fmac_f32_e32 v15, v27, v12
	v_add_f32_e32 v22, v22, v14
	v_add_f32_e32 v23, v23, v15
	ds_read_b128 v[14:17], v21 offset:1040
	s_waitcnt lgkmcnt(0)
	v_mul_f32_e32 v26, v15, v11
	v_mul_f32_e32 v11, v14, v11
	v_fmac_f32_e32 v11, v15, v10
	v_fma_f32 v26, v14, v10, -v26
	v_add_f32_e32 v25, v25, v11
	v_mul_f32_e32 v10, v15, v13
	v_mul_f32_e32 v11, v14, v13
	v_fma_f32 v10, v14, v12, -v10
	v_fmac_f32_e32 v11, v15, v12
	v_add_f32_e32 v14, v34, v10
	v_add_f32_e32 v15, v35, v11
	ds_read2_b64 v[10:13], v20 offset0:96 offset1:112
	v_add_f32_e32 v24, v24, v26
	s_waitcnt lgkmcnt(0)
	v_mul_f32_e32 v26, v29, v11
	v_mul_f32_e32 v34, v29, v13
	v_fma_f32 v26, v28, v10, -v26
	v_mul_f32_e32 v27, v28, v11
	v_fma_f32 v34, v28, v12, -v34
	v_mul_f32_e32 v28, v28, v13
	v_fmac_f32_e32 v28, v29, v12
	v_add_f32_e32 v23, v23, v28
	v_mul_f32_e32 v28, v17, v11
	v_mul_f32_e32 v11, v16, v11
	v_fmac_f32_e32 v11, v17, v10
	v_fmac_f32_e32 v27, v29, v10
	v_fma_f32 v28, v16, v10, -v28
	v_add_f32_e32 v25, v25, v11
	v_mul_f32_e32 v10, v17, v13
	v_mul_f32_e32 v11, v16, v13
	v_fma_f32 v10, v16, v12, -v10
	v_fmac_f32_e32 v11, v17, v12
	v_add_f32_e32 v24, v24, v28
	v_add_f32_e32 v28, v14, v10
	;; [unrolled: 1-line block ×3, first 2 shown]
	ds_read2_b64 v[10:13], v20 offset0:128 offset1:144
	v_add_f32_e32 v26, v36, v26
	v_add_f32_e32 v27, v37, v27
	v_add_f32_e32 v22, v22, v34
	s_waitcnt lgkmcnt(0)
	v_mul_f32_e32 v14, v31, v11
	v_mul_f32_e32 v15, v30, v11
	v_fma_f32 v14, v30, v10, -v14
	v_fmac_f32_e32 v15, v31, v10
	v_add_f32_e32 v26, v26, v14
	v_add_f32_e32 v27, v27, v15
	v_mul_f32_e32 v14, v31, v13
	v_mul_f32_e32 v15, v30, v13
	v_fma_f32 v14, v30, v12, -v14
	v_fmac_f32_e32 v15, v31, v12
	v_add_f32_e32 v22, v22, v14
	v_add_f32_e32 v23, v23, v15
	ds_read_b128 v[14:17], v21 offset:1056
	s_waitcnt lgkmcnt(0)
	v_mul_f32_e32 v30, v15, v11
	v_mul_f32_e32 v11, v14, v11
	v_fmac_f32_e32 v11, v15, v10
	v_fma_f32 v30, v14, v10, -v30
	v_add_f32_e32 v25, v25, v11
	v_mul_f32_e32 v10, v15, v13
	v_mul_f32_e32 v11, v14, v13
	v_fma_f32 v10, v14, v12, -v10
	v_fmac_f32_e32 v11, v15, v12
	v_add_f32_e32 v14, v28, v10
	v_add_f32_e32 v15, v29, v11
	ds_read2_b64 v[10:13], v20 offset0:160 offset1:176
	v_add_f32_e32 v24, v24, v30
	s_waitcnt lgkmcnt(0)
	v_mul_f32_e32 v28, v33, v11
	v_fma_f32 v28, v32, v10, -v28
	v_mul_f32_e32 v29, v32, v11
	v_add_f32_e32 v26, v26, v28
	v_mul_f32_e32 v28, v33, v13
	v_fmac_f32_e32 v29, v33, v10
	v_fma_f32 v28, v32, v12, -v28
	v_add_f32_e32 v27, v27, v29
	v_mul_f32_e32 v29, v32, v13
	v_add_f32_e32 v22, v22, v28
	v_mul_f32_e32 v28, v17, v11
	v_mul_f32_e32 v11, v16, v11
	v_fmac_f32_e32 v29, v33, v12
	v_fmac_f32_e32 v11, v17, v10
	v_add_f32_e32 v23, v23, v29
	v_fma_f32 v28, v16, v10, -v28
	v_add_f32_e32 v29, v25, v11
	v_mul_f32_e32 v10, v17, v13
	v_mul_f32_e32 v11, v16, v13
	v_fma_f32 v10, v16, v12, -v10
	v_fmac_f32_e32 v11, v17, v12
	v_add_f32_e32 v14, v14, v10
	v_add_f32_e32 v15, v15, v11
	ds_read2_b64 v[10:13], v20 offset0:192 offset1:208
	v_add_f32_e32 v28, v24, v28
	s_waitcnt lgkmcnt(0)
	v_mul_f32_e32 v16, v3, v11
	v_mul_f32_e32 v24, v3, v13
	v_fma_f32 v16, v2, v10, -v16
	v_mul_f32_e32 v17, v2, v11
	v_fma_f32 v24, v2, v12, -v24
	v_mul_f32_e32 v2, v2, v13
	v_fmac_f32_e32 v2, v3, v12
	v_fmac_f32_e32 v17, v3, v10
	v_add_f32_e32 v3, v22, v24
	v_add_f32_e32 v2, v23, v2
	ds_read_b128 v[22:25], v21 offset:1072
	v_add_f32_e32 v16, v26, v16
	v_add_f32_e32 v17, v27, v17
	s_waitcnt lgkmcnt(0)
	v_mul_f32_e32 v26, v23, v11
	v_fma_f32 v26, v22, v10, -v26
	v_mul_f32_e32 v11, v22, v11
	v_fmac_f32_e32 v11, v23, v10
	v_add_f32_e32 v10, v28, v26
	v_mul_f32_e32 v26, v23, v13
	v_fma_f32 v26, v22, v12, -v26
	v_add_f32_e32 v11, v29, v11
	v_mul_f32_e32 v13, v22, v13
	v_add_f32_e32 v22, v14, v26
	ds_read2_b64 v[26:29], v20 offset0:224 offset1:240
	v_fmac_f32_e32 v13, v23, v12
	v_add_f32_e32 v23, v15, v13
	s_waitcnt lgkmcnt(0)
	s_barrier
	v_mul_f32_e32 v12, v5, v27
	v_fma_f32 v12, v4, v26, -v12
	v_add_f32_e32 v16, v16, v12
	v_mul_f32_e32 v12, v5, v29
	v_mul_f32_e32 v13, v4, v27
	v_fma_f32 v12, v4, v28, -v12
	v_mul_f32_e32 v4, v4, v29
	v_fmac_f32_e32 v4, v5, v28
	v_add_f32_e32 v14, v3, v12
	v_add_f32_e32 v15, v2, v4
	v_mul_f32_e32 v2, v25, v27
	v_mul_f32_e32 v3, v24, v27
	v_fmac_f32_e32 v13, v5, v26
	v_fma_f32 v2, v24, v26, -v2
	v_fmac_f32_e32 v3, v25, v26
	v_add_f32_e32 v17, v17, v13
	v_add_f32_e32 v12, v10, v2
	;; [unrolled: 1-line block ×3, first 2 shown]
	v_mul_f32_e32 v2, v25, v29
	v_mul_f32_e32 v3, v24, v29
	v_fma_f32 v2, v24, v28, -v2
	v_fmac_f32_e32 v3, v25, v28
	v_add_f32_e32 v10, v22, v2
	v_add_f32_e32 v11, v23, v3
	v_mov_b32_e32 v2, s2
	v_mov_b32_e32 v3, s3
	v_cmp_le_u64_e32 vcc, s[0:1], v[2:3]
	s_cbranch_vccz .LBB1554_2
	s_branch .LBB1554_4
.LBB1554_3:
	v_mov_b32_e32 v16, 0
	v_mov_b32_e32 v17, 0
	;; [unrolled: 1-line block ×8, first 2 shown]
.LBB1554_4:
	v_add_u32_e32 v4, s7, v1
	v_ashrrev_i32_e32 v1, 31, v4
	v_mul_lo_u32 v3, s14, v1
	v_mul_lo_u32 v5, s15, v4
	v_mad_u64_u32 v[1:2], s[0:1], s14, v4, 0
	s_load_dword s4, s[4:5], 0x0
	v_add_u32_e32 v0, s6, v0
	v_add3_u32 v2, v2, v3, v5
	v_lshlrev_b64 v[1:2], 3, v[1:2]
	s_waitcnt lgkmcnt(0)
	v_mov_b32_e32 v3, s9
	v_add_co_u32_e32 v5, vcc, s8, v1
	v_addc_co_u32_e32 v6, vcc, v3, v2, vcc
	v_cmp_le_i32_e64 s[0:1], v4, v0
	v_cmp_gt_i32_e32 vcc, s4, v0
	s_and_b64 s[0:1], s[0:1], vcc
	s_and_saveexec_b64 s[2:3], s[0:1]
	s_cbranch_execz .LBB1554_6
; %bb.5:
	v_ashrrev_i32_e32 v1, 31, v0
	v_lshlrev_b64 v[1:2], 3, v[0:1]
	v_add_co_u32_e64 v1, s[0:1], v5, v1
	v_addc_co_u32_e64 v2, s[0:1], v6, v2, s[0:1]
	flat_store_dwordx2 v[1:2], v[16:17]
.LBB1554_6:
	s_or_b64 exec, exec, s[2:3]
	v_add_u32_e32 v2, 16, v0
	v_cmp_le_i32_e64 s[2:3], v4, v2
	v_cmp_gt_i32_e64 s[0:1], s4, v2
	s_and_b64 s[2:3], s[2:3], s[0:1]
	s_and_saveexec_b64 s[4:5], s[2:3]
	s_cbranch_execz .LBB1554_8
; %bb.7:
	v_ashrrev_i32_e32 v3, 31, v2
	v_lshlrev_b64 v[7:8], 3, v[2:3]
	v_add_co_u32_e64 v5, s[2:3], v5, v7
	v_addc_co_u32_e64 v6, s[2:3], v6, v8, s[2:3]
	flat_store_dwordx2 v[5:6], v[14:15]
.LBB1554_8:
	s_or_b64 exec, exec, s[4:5]
	v_add_u32_e32 v3, 16, v4
	v_ashrrev_i32_e32 v1, 31, v3
	v_mul_lo_u32 v6, s15, v3
	v_mad_u64_u32 v[4:5], s[2:3], s14, v3, 0
	v_mul_lo_u32 v1, s14, v1
	v_add3_u32 v5, v5, v1, v6
	v_lshlrev_b64 v[4:5], 3, v[4:5]
	v_mov_b32_e32 v1, s9
	v_add_co_u32_e64 v4, s[2:3], s8, v4
	v_addc_co_u32_e64 v5, s[2:3], v1, v5, s[2:3]
	v_cmp_le_i32_e64 s[2:3], v3, v0
	s_and_b64 s[4:5], s[2:3], vcc
	s_and_saveexec_b64 s[2:3], s[4:5]
	s_cbranch_execz .LBB1554_10
; %bb.9:
	v_ashrrev_i32_e32 v1, 31, v0
	v_lshlrev_b64 v[0:1], 3, v[0:1]
	v_add_co_u32_e32 v0, vcc, v4, v0
	v_addc_co_u32_e32 v1, vcc, v5, v1, vcc
	flat_store_dwordx2 v[0:1], v[12:13]
.LBB1554_10:
	s_or_b64 exec, exec, s[2:3]
	v_cmp_le_i32_e32 vcc, v3, v2
	s_and_b64 s[0:1], vcc, s[0:1]
	s_and_saveexec_b64 s[2:3], s[0:1]
	s_cbranch_execz .LBB1554_12
; %bb.11:
	v_ashrrev_i32_e32 v3, 31, v2
	v_lshlrev_b64 v[0:1], 3, v[2:3]
	v_add_co_u32_e32 v0, vcc, v4, v0
	v_addc_co_u32_e32 v1, vcc, v5, v1, vcc
	flat_store_dwordx2 v[0:1], v[10:11]
.LBB1554_12:
	s_endpgm
	.section	.rodata,"a",@progbits
	.p2align	6, 0x0
	.amdhsa_kernel _ZL37rocblas_syrkx_herkx_restricted_kernelIl19rocblas_complex_numIfELi16ELi32ELi8ELi1ELi0ELb0ELc84ELc76EKPKS1_KPS1_EviT_PT9_S7_lS9_S7_lPT10_S7_li
		.amdhsa_group_segment_fixed_size 4096
		.amdhsa_private_segment_fixed_size 0
		.amdhsa_kernarg_size 92
		.amdhsa_user_sgpr_count 6
		.amdhsa_user_sgpr_private_segment_buffer 1
		.amdhsa_user_sgpr_dispatch_ptr 0
		.amdhsa_user_sgpr_queue_ptr 0
		.amdhsa_user_sgpr_kernarg_segment_ptr 1
		.amdhsa_user_sgpr_dispatch_id 0
		.amdhsa_user_sgpr_flat_scratch_init 0
		.amdhsa_user_sgpr_private_segment_size 0
		.amdhsa_uses_dynamic_stack 0
		.amdhsa_system_sgpr_private_segment_wavefront_offset 0
		.amdhsa_system_sgpr_workgroup_id_x 1
		.amdhsa_system_sgpr_workgroup_id_y 1
		.amdhsa_system_sgpr_workgroup_id_z 1
		.amdhsa_system_sgpr_workgroup_info 0
		.amdhsa_system_vgpr_workitem_id 1
		.amdhsa_next_free_vgpr 41
		.amdhsa_next_free_sgpr 20
		.amdhsa_reserve_vcc 1
		.amdhsa_reserve_flat_scratch 0
		.amdhsa_float_round_mode_32 0
		.amdhsa_float_round_mode_16_64 0
		.amdhsa_float_denorm_mode_32 3
		.amdhsa_float_denorm_mode_16_64 3
		.amdhsa_dx10_clamp 1
		.amdhsa_ieee_mode 1
		.amdhsa_fp16_overflow 0
		.amdhsa_exception_fp_ieee_invalid_op 0
		.amdhsa_exception_fp_denorm_src 0
		.amdhsa_exception_fp_ieee_div_zero 0
		.amdhsa_exception_fp_ieee_overflow 0
		.amdhsa_exception_fp_ieee_underflow 0
		.amdhsa_exception_fp_ieee_inexact 0
		.amdhsa_exception_int_div_zero 0
	.end_amdhsa_kernel
	.section	.text._ZL37rocblas_syrkx_herkx_restricted_kernelIl19rocblas_complex_numIfELi16ELi32ELi8ELi1ELi0ELb0ELc84ELc76EKPKS1_KPS1_EviT_PT9_S7_lS9_S7_lPT10_S7_li,"axG",@progbits,_ZL37rocblas_syrkx_herkx_restricted_kernelIl19rocblas_complex_numIfELi16ELi32ELi8ELi1ELi0ELb0ELc84ELc76EKPKS1_KPS1_EviT_PT9_S7_lS9_S7_lPT10_S7_li,comdat
.Lfunc_end1554:
	.size	_ZL37rocblas_syrkx_herkx_restricted_kernelIl19rocblas_complex_numIfELi16ELi32ELi8ELi1ELi0ELb0ELc84ELc76EKPKS1_KPS1_EviT_PT9_S7_lS9_S7_lPT10_S7_li, .Lfunc_end1554-_ZL37rocblas_syrkx_herkx_restricted_kernelIl19rocblas_complex_numIfELi16ELi32ELi8ELi1ELi0ELb0ELc84ELc76EKPKS1_KPS1_EviT_PT9_S7_lS9_S7_lPT10_S7_li
                                        ; -- End function
	.set _ZL37rocblas_syrkx_herkx_restricted_kernelIl19rocblas_complex_numIfELi16ELi32ELi8ELi1ELi0ELb0ELc84ELc76EKPKS1_KPS1_EviT_PT9_S7_lS9_S7_lPT10_S7_li.num_vgpr, 41
	.set _ZL37rocblas_syrkx_herkx_restricted_kernelIl19rocblas_complex_numIfELi16ELi32ELi8ELi1ELi0ELb0ELc84ELc76EKPKS1_KPS1_EviT_PT9_S7_lS9_S7_lPT10_S7_li.num_agpr, 0
	.set _ZL37rocblas_syrkx_herkx_restricted_kernelIl19rocblas_complex_numIfELi16ELi32ELi8ELi1ELi0ELb0ELc84ELc76EKPKS1_KPS1_EviT_PT9_S7_lS9_S7_lPT10_S7_li.numbered_sgpr, 20
	.set _ZL37rocblas_syrkx_herkx_restricted_kernelIl19rocblas_complex_numIfELi16ELi32ELi8ELi1ELi0ELb0ELc84ELc76EKPKS1_KPS1_EviT_PT9_S7_lS9_S7_lPT10_S7_li.num_named_barrier, 0
	.set _ZL37rocblas_syrkx_herkx_restricted_kernelIl19rocblas_complex_numIfELi16ELi32ELi8ELi1ELi0ELb0ELc84ELc76EKPKS1_KPS1_EviT_PT9_S7_lS9_S7_lPT10_S7_li.private_seg_size, 0
	.set _ZL37rocblas_syrkx_herkx_restricted_kernelIl19rocblas_complex_numIfELi16ELi32ELi8ELi1ELi0ELb0ELc84ELc76EKPKS1_KPS1_EviT_PT9_S7_lS9_S7_lPT10_S7_li.uses_vcc, 1
	.set _ZL37rocblas_syrkx_herkx_restricted_kernelIl19rocblas_complex_numIfELi16ELi32ELi8ELi1ELi0ELb0ELc84ELc76EKPKS1_KPS1_EviT_PT9_S7_lS9_S7_lPT10_S7_li.uses_flat_scratch, 0
	.set _ZL37rocblas_syrkx_herkx_restricted_kernelIl19rocblas_complex_numIfELi16ELi32ELi8ELi1ELi0ELb0ELc84ELc76EKPKS1_KPS1_EviT_PT9_S7_lS9_S7_lPT10_S7_li.has_dyn_sized_stack, 0
	.set _ZL37rocblas_syrkx_herkx_restricted_kernelIl19rocblas_complex_numIfELi16ELi32ELi8ELi1ELi0ELb0ELc84ELc76EKPKS1_KPS1_EviT_PT9_S7_lS9_S7_lPT10_S7_li.has_recursion, 0
	.set _ZL37rocblas_syrkx_herkx_restricted_kernelIl19rocblas_complex_numIfELi16ELi32ELi8ELi1ELi0ELb0ELc84ELc76EKPKS1_KPS1_EviT_PT9_S7_lS9_S7_lPT10_S7_li.has_indirect_call, 0
	.section	.AMDGPU.csdata,"",@progbits
; Kernel info:
; codeLenInByte = 1940
; TotalNumSgprs: 24
; NumVgprs: 41
; ScratchSize: 0
; MemoryBound: 0
; FloatMode: 240
; IeeeMode: 1
; LDSByteSize: 4096 bytes/workgroup (compile time only)
; SGPRBlocks: 2
; VGPRBlocks: 10
; NumSGPRsForWavesPerEU: 24
; NumVGPRsForWavesPerEU: 41
; Occupancy: 5
; WaveLimiterHint : 1
; COMPUTE_PGM_RSRC2:SCRATCH_EN: 0
; COMPUTE_PGM_RSRC2:USER_SGPR: 6
; COMPUTE_PGM_RSRC2:TRAP_HANDLER: 0
; COMPUTE_PGM_RSRC2:TGID_X_EN: 1
; COMPUTE_PGM_RSRC2:TGID_Y_EN: 1
; COMPUTE_PGM_RSRC2:TGID_Z_EN: 1
; COMPUTE_PGM_RSRC2:TIDIG_COMP_CNT: 1
	.section	.text._ZL37rocblas_syrkx_herkx_restricted_kernelIl19rocblas_complex_numIfELi16ELi32ELi8ELi1ELi0ELb0ELc67ELc76EKPKS1_KPS1_EviT_PT9_S7_lS9_S7_lPT10_S7_li,"axG",@progbits,_ZL37rocblas_syrkx_herkx_restricted_kernelIl19rocblas_complex_numIfELi16ELi32ELi8ELi1ELi0ELb0ELc67ELc76EKPKS1_KPS1_EviT_PT9_S7_lS9_S7_lPT10_S7_li,comdat
	.globl	_ZL37rocblas_syrkx_herkx_restricted_kernelIl19rocblas_complex_numIfELi16ELi32ELi8ELi1ELi0ELb0ELc67ELc76EKPKS1_KPS1_EviT_PT9_S7_lS9_S7_lPT10_S7_li ; -- Begin function _ZL37rocblas_syrkx_herkx_restricted_kernelIl19rocblas_complex_numIfELi16ELi32ELi8ELi1ELi0ELb0ELc67ELc76EKPKS1_KPS1_EviT_PT9_S7_lS9_S7_lPT10_S7_li
	.p2align	8
	.type	_ZL37rocblas_syrkx_herkx_restricted_kernelIl19rocblas_complex_numIfELi16ELi32ELi8ELi1ELi0ELb0ELc67ELc76EKPKS1_KPS1_EviT_PT9_S7_lS9_S7_lPT10_S7_li,@function
_ZL37rocblas_syrkx_herkx_restricted_kernelIl19rocblas_complex_numIfELi16ELi32ELi8ELi1ELi0ELb0ELc67ELc76EKPKS1_KPS1_EviT_PT9_S7_lS9_S7_lPT10_S7_li: ; @_ZL37rocblas_syrkx_herkx_restricted_kernelIl19rocblas_complex_numIfELi16ELi32ELi8ELi1ELi0ELb0ELc67ELc76EKPKS1_KPS1_EviT_PT9_S7_lS9_S7_lPT10_S7_li
; %bb.0:
	s_load_dwordx4 s[12:15], s[4:5], 0x40
	s_load_dwordx4 s[0:3], s[4:5], 0x8
	s_mov_b32 s9, 0
	s_lshl_b64 s[10:11], s[8:9], 3
	s_waitcnt lgkmcnt(0)
	s_add_u32 s8, s12, s10
	s_addc_u32 s9, s13, s11
	s_load_dwordx2 s[8:9], s[8:9], 0x0
	v_cmp_lt_i64_e64 s[12:13], s[0:1], 1
	s_lshl_b32 s6, s6, 5
	s_lshl_b32 s7, s7, 5
	s_and_b64 vcc, exec, s[12:13]
	s_cbranch_vccnz .LBB1555_3
; %bb.1:
	s_load_dwordx2 s[12:13], s[4:5], 0x18
	s_load_dwordx4 s[16:19], s[4:5], 0x28
	v_lshl_add_u32 v4, v1, 4, v0
	v_lshrrev_b32_e32 v6, 3, v4
	v_add_u32_e32 v2, s7, v6
	v_ashrrev_i32_e32 v3, 31, v2
	v_and_b32_e32 v10, 7, v0
	v_mov_b32_e32 v11, 0
	s_waitcnt lgkmcnt(0)
	v_mul_lo_u32 v5, s18, v3
	v_mul_lo_u32 v7, s19, v2
	v_mad_u64_u32 v[2:3], s[18:19], s18, v2, v[10:11]
	s_add_u32 s2, s2, s10
	s_addc_u32 s3, s3, s11
	v_add3_u32 v3, v7, v3, v5
	v_and_b32_e32 v7, 31, v4
	v_lshrrev_b32_e32 v4, 5, v4
	v_lshlrev_b32_e32 v8, 3, v7
	v_lshl_or_b32 v18, v4, 8, v8
	v_lshlrev_b32_e32 v8, 3, v10
	v_lshl_or_b32 v6, v6, 6, v8
	v_add_u32_e32 v19, 0x800, v6
	v_add_u32_e32 v6, s6, v7
	s_add_u32 s10, s16, s10
	v_mov_b32_e32 v5, v11
	v_ashrrev_i32_e32 v7, 31, v6
	s_addc_u32 s11, s17, s11
	v_mul_lo_u32 v7, s12, v7
	v_mad_u64_u32 v[4:5], s[16:17], s12, v6, v[4:5]
	v_mul_lo_u32 v6, s13, v6
	s_load_dwordx2 s[2:3], s[2:3], 0x0
	v_lshlrev_b64 v[2:3], 3, v[2:3]
	s_load_dwordx2 s[10:11], s[10:11], 0x0
	v_add3_u32 v5, v6, v5, v7
	v_lshlrev_b64 v[4:5], 3, v[4:5]
	s_waitcnt lgkmcnt(0)
	v_mov_b32_e32 v7, s3
	v_add_co_u32_e32 v6, vcc, s2, v4
	v_mov_b32_e32 v8, 0x800
	v_addc_co_u32_e32 v7, vcc, v7, v5, vcc
	v_lshl_add_u32 v21, v1, 6, v8
	v_mov_b32_e32 v4, s11
	v_add_co_u32_e32 v8, vcc, s10, v2
	v_lshlrev_b32_e32 v20, 3, v0
	v_addc_co_u32_e32 v9, vcc, v4, v3, vcc
	s_mov_b64 s[2:3], 0
	v_mov_b32_e32 v10, v11
	v_mov_b32_e32 v13, v11
	;; [unrolled: 1-line block ×7, first 2 shown]
.LBB1555_2:                             ; =>This Inner Loop Header: Depth=1
	flat_load_dwordx2 v[2:3], v[6:7]
	v_add_co_u32_e32 v6, vcc, 64, v6
	s_add_u32 s2, s2, 8
	v_addc_co_u32_e32 v7, vcc, 0, v7, vcc
	s_addc_u32 s3, s3, 0
	s_waitcnt vmcnt(0) lgkmcnt(0)
	ds_write_b64 v18, v[2:3]
	flat_load_dwordx2 v[2:3], v[8:9]
	v_add_co_u32_e32 v8, vcc, 64, v8
	v_addc_co_u32_e32 v9, vcc, 0, v9, vcc
	s_waitcnt vmcnt(0) lgkmcnt(0)
	ds_write_b64 v19, v[2:3]
	s_waitcnt lgkmcnt(0)
	s_barrier
	ds_read_b128 v[22:25], v21
	ds_read_b128 v[26:29], v21 offset:16
	ds_read_b128 v[30:33], v21 offset:32
	ds_read_b128 v[2:5], v21 offset:48
	ds_read2_b64 v[34:37], v20 offset1:16
	s_waitcnt lgkmcnt(0)
	v_mul_f32_e32 v38, v23, v35
	v_mul_f32_e32 v39, v22, v35
	v_fma_f32 v38, v22, v34, -v38
	v_fmac_f32_e32 v39, v23, v34
	v_add_f32_e32 v38, v16, v38
	v_add_f32_e32 v39, v17, v39
	v_mul_f32_e32 v16, v23, v37
	v_mul_f32_e32 v17, v22, v37
	v_fma_f32 v16, v22, v36, -v16
	v_fmac_f32_e32 v17, v23, v36
	v_add_f32_e32 v22, v14, v16
	v_add_f32_e32 v23, v15, v17
	ds_read_b128 v[14:17], v21 offset:1024
	s_waitcnt lgkmcnt(0)
	v_mul_f32_e32 v40, v15, v35
	v_mul_f32_e32 v35, v14, v35
	v_fma_f32 v40, v14, v34, -v40
	v_fmac_f32_e32 v35, v15, v34
	v_add_f32_e32 v34, v12, v40
	v_add_f32_e32 v35, v13, v35
	v_mul_f32_e32 v12, v15, v37
	v_mul_f32_e32 v13, v14, v37
	v_fma_f32 v12, v14, v36, -v12
	v_fmac_f32_e32 v13, v15, v36
	v_add_f32_e32 v14, v10, v12
	v_add_f32_e32 v15, v11, v13
	ds_read2_b64 v[10:13], v20 offset0:32 offset1:48
	s_waitcnt lgkmcnt(0)
	v_mul_f32_e32 v36, v25, v11
	v_fma_f32 v36, v24, v10, -v36
	v_add_f32_e32 v36, v38, v36
	v_mul_f32_e32 v38, v25, v13
	v_mul_f32_e32 v37, v24, v11
	v_fma_f32 v38, v24, v12, -v38
	v_mul_f32_e32 v24, v24, v13
	v_fmac_f32_e32 v24, v25, v12
	v_add_f32_e32 v23, v23, v24
	v_mul_f32_e32 v24, v17, v11
	v_mul_f32_e32 v11, v16, v11
	v_fmac_f32_e32 v11, v17, v10
	v_fmac_f32_e32 v37, v25, v10
	v_fma_f32 v24, v16, v10, -v24
	v_add_f32_e32 v25, v35, v11
	v_mul_f32_e32 v10, v17, v13
	v_mul_f32_e32 v11, v16, v13
	v_fma_f32 v10, v16, v12, -v10
	v_fmac_f32_e32 v11, v17, v12
	v_add_f32_e32 v24, v34, v24
	v_add_f32_e32 v34, v14, v10
	;; [unrolled: 1-line block ×3, first 2 shown]
	ds_read2_b64 v[10:13], v20 offset0:64 offset1:80
	v_add_f32_e32 v37, v39, v37
	v_add_f32_e32 v22, v22, v38
	s_waitcnt lgkmcnt(0)
	v_mul_f32_e32 v14, v27, v11
	v_mul_f32_e32 v15, v26, v11
	v_fma_f32 v14, v26, v10, -v14
	v_fmac_f32_e32 v15, v27, v10
	v_add_f32_e32 v36, v36, v14
	v_add_f32_e32 v37, v37, v15
	v_mul_f32_e32 v14, v27, v13
	v_mul_f32_e32 v15, v26, v13
	v_fma_f32 v14, v26, v12, -v14
	v_fmac_f32_e32 v15, v27, v12
	v_add_f32_e32 v22, v22, v14
	v_add_f32_e32 v23, v23, v15
	ds_read_b128 v[14:17], v21 offset:1040
	s_waitcnt lgkmcnt(0)
	v_mul_f32_e32 v26, v15, v11
	v_mul_f32_e32 v11, v14, v11
	v_fmac_f32_e32 v11, v15, v10
	v_fma_f32 v26, v14, v10, -v26
	v_add_f32_e32 v25, v25, v11
	v_mul_f32_e32 v10, v15, v13
	v_mul_f32_e32 v11, v14, v13
	v_fma_f32 v10, v14, v12, -v10
	v_fmac_f32_e32 v11, v15, v12
	v_add_f32_e32 v14, v34, v10
	v_add_f32_e32 v15, v35, v11
	ds_read2_b64 v[10:13], v20 offset0:96 offset1:112
	v_add_f32_e32 v24, v24, v26
	s_waitcnt lgkmcnt(0)
	v_mul_f32_e32 v26, v29, v11
	v_mul_f32_e32 v34, v29, v13
	v_fma_f32 v26, v28, v10, -v26
	v_mul_f32_e32 v27, v28, v11
	v_fma_f32 v34, v28, v12, -v34
	v_mul_f32_e32 v28, v28, v13
	v_fmac_f32_e32 v28, v29, v12
	v_add_f32_e32 v23, v23, v28
	v_mul_f32_e32 v28, v17, v11
	v_mul_f32_e32 v11, v16, v11
	v_fmac_f32_e32 v11, v17, v10
	v_fmac_f32_e32 v27, v29, v10
	v_fma_f32 v28, v16, v10, -v28
	v_add_f32_e32 v25, v25, v11
	v_mul_f32_e32 v10, v17, v13
	v_mul_f32_e32 v11, v16, v13
	v_fma_f32 v10, v16, v12, -v10
	v_fmac_f32_e32 v11, v17, v12
	v_add_f32_e32 v24, v24, v28
	v_add_f32_e32 v28, v14, v10
	v_add_f32_e32 v29, v15, v11
	ds_read2_b64 v[10:13], v20 offset0:128 offset1:144
	v_add_f32_e32 v26, v36, v26
	v_add_f32_e32 v27, v37, v27
	v_add_f32_e32 v22, v22, v34
	s_waitcnt lgkmcnt(0)
	v_mul_f32_e32 v14, v31, v11
	v_mul_f32_e32 v15, v30, v11
	v_fma_f32 v14, v30, v10, -v14
	v_fmac_f32_e32 v15, v31, v10
	v_add_f32_e32 v26, v26, v14
	v_add_f32_e32 v27, v27, v15
	v_mul_f32_e32 v14, v31, v13
	v_mul_f32_e32 v15, v30, v13
	v_fma_f32 v14, v30, v12, -v14
	v_fmac_f32_e32 v15, v31, v12
	v_add_f32_e32 v22, v22, v14
	v_add_f32_e32 v23, v23, v15
	ds_read_b128 v[14:17], v21 offset:1056
	s_waitcnt lgkmcnt(0)
	v_mul_f32_e32 v30, v15, v11
	v_mul_f32_e32 v11, v14, v11
	v_fmac_f32_e32 v11, v15, v10
	v_fma_f32 v30, v14, v10, -v30
	v_add_f32_e32 v25, v25, v11
	v_mul_f32_e32 v10, v15, v13
	v_mul_f32_e32 v11, v14, v13
	v_fma_f32 v10, v14, v12, -v10
	v_fmac_f32_e32 v11, v15, v12
	v_add_f32_e32 v14, v28, v10
	v_add_f32_e32 v15, v29, v11
	ds_read2_b64 v[10:13], v20 offset0:160 offset1:176
	v_add_f32_e32 v24, v24, v30
	s_waitcnt lgkmcnt(0)
	v_mul_f32_e32 v28, v33, v11
	v_fma_f32 v28, v32, v10, -v28
	v_mul_f32_e32 v29, v32, v11
	v_add_f32_e32 v26, v26, v28
	v_mul_f32_e32 v28, v33, v13
	v_fmac_f32_e32 v29, v33, v10
	v_fma_f32 v28, v32, v12, -v28
	v_add_f32_e32 v27, v27, v29
	v_mul_f32_e32 v29, v32, v13
	v_add_f32_e32 v22, v22, v28
	v_mul_f32_e32 v28, v17, v11
	v_mul_f32_e32 v11, v16, v11
	v_fmac_f32_e32 v29, v33, v12
	v_fmac_f32_e32 v11, v17, v10
	v_add_f32_e32 v23, v23, v29
	v_fma_f32 v28, v16, v10, -v28
	v_add_f32_e32 v29, v25, v11
	v_mul_f32_e32 v10, v17, v13
	v_mul_f32_e32 v11, v16, v13
	v_fma_f32 v10, v16, v12, -v10
	v_fmac_f32_e32 v11, v17, v12
	v_add_f32_e32 v14, v14, v10
	v_add_f32_e32 v15, v15, v11
	ds_read2_b64 v[10:13], v20 offset0:192 offset1:208
	v_add_f32_e32 v28, v24, v28
	s_waitcnt lgkmcnt(0)
	v_mul_f32_e32 v16, v3, v11
	v_mul_f32_e32 v24, v3, v13
	v_fma_f32 v16, v2, v10, -v16
	v_mul_f32_e32 v17, v2, v11
	v_fma_f32 v24, v2, v12, -v24
	v_mul_f32_e32 v2, v2, v13
	v_fmac_f32_e32 v2, v3, v12
	v_fmac_f32_e32 v17, v3, v10
	v_add_f32_e32 v3, v22, v24
	v_add_f32_e32 v2, v23, v2
	ds_read_b128 v[22:25], v21 offset:1072
	v_add_f32_e32 v16, v26, v16
	v_add_f32_e32 v17, v27, v17
	s_waitcnt lgkmcnt(0)
	v_mul_f32_e32 v26, v23, v11
	v_fma_f32 v26, v22, v10, -v26
	v_mul_f32_e32 v11, v22, v11
	v_fmac_f32_e32 v11, v23, v10
	v_add_f32_e32 v10, v28, v26
	v_mul_f32_e32 v26, v23, v13
	v_fma_f32 v26, v22, v12, -v26
	v_add_f32_e32 v11, v29, v11
	v_mul_f32_e32 v13, v22, v13
	v_add_f32_e32 v22, v14, v26
	ds_read2_b64 v[26:29], v20 offset0:224 offset1:240
	v_fmac_f32_e32 v13, v23, v12
	v_add_f32_e32 v23, v15, v13
	s_waitcnt lgkmcnt(0)
	s_barrier
	v_mul_f32_e32 v12, v5, v27
	v_fma_f32 v12, v4, v26, -v12
	v_add_f32_e32 v16, v16, v12
	v_mul_f32_e32 v12, v5, v29
	v_mul_f32_e32 v13, v4, v27
	v_fma_f32 v12, v4, v28, -v12
	v_mul_f32_e32 v4, v4, v29
	v_fmac_f32_e32 v4, v5, v28
	v_add_f32_e32 v14, v3, v12
	v_add_f32_e32 v15, v2, v4
	v_mul_f32_e32 v2, v25, v27
	v_mul_f32_e32 v3, v24, v27
	v_fmac_f32_e32 v13, v5, v26
	v_fma_f32 v2, v24, v26, -v2
	v_fmac_f32_e32 v3, v25, v26
	v_add_f32_e32 v17, v17, v13
	v_add_f32_e32 v12, v10, v2
	;; [unrolled: 1-line block ×3, first 2 shown]
	v_mul_f32_e32 v2, v25, v29
	v_mul_f32_e32 v3, v24, v29
	v_fma_f32 v2, v24, v28, -v2
	v_fmac_f32_e32 v3, v25, v28
	v_add_f32_e32 v10, v22, v2
	v_add_f32_e32 v11, v23, v3
	v_mov_b32_e32 v2, s2
	v_mov_b32_e32 v3, s3
	v_cmp_le_u64_e32 vcc, s[0:1], v[2:3]
	s_cbranch_vccz .LBB1555_2
	s_branch .LBB1555_4
.LBB1555_3:
	v_mov_b32_e32 v16, 0
	v_mov_b32_e32 v17, 0
	;; [unrolled: 1-line block ×8, first 2 shown]
.LBB1555_4:
	v_add_u32_e32 v4, s7, v1
	v_ashrrev_i32_e32 v1, 31, v4
	v_mul_lo_u32 v3, s14, v1
	v_mul_lo_u32 v5, s15, v4
	v_mad_u64_u32 v[1:2], s[0:1], s14, v4, 0
	s_load_dword s4, s[4:5], 0x0
	v_add_u32_e32 v0, s6, v0
	v_add3_u32 v2, v2, v3, v5
	v_lshlrev_b64 v[1:2], 3, v[1:2]
	s_waitcnt lgkmcnt(0)
	v_mov_b32_e32 v3, s9
	v_add_co_u32_e32 v5, vcc, s8, v1
	v_addc_co_u32_e32 v6, vcc, v3, v2, vcc
	v_cmp_le_i32_e64 s[0:1], v4, v0
	v_cmp_gt_i32_e32 vcc, s4, v0
	s_and_b64 s[0:1], s[0:1], vcc
	s_and_saveexec_b64 s[2:3], s[0:1]
	s_cbranch_execz .LBB1555_6
; %bb.5:
	v_ashrrev_i32_e32 v1, 31, v0
	v_lshlrev_b64 v[1:2], 3, v[0:1]
	v_add_co_u32_e64 v1, s[0:1], v5, v1
	v_addc_co_u32_e64 v2, s[0:1], v6, v2, s[0:1]
	flat_store_dwordx2 v[1:2], v[16:17]
.LBB1555_6:
	s_or_b64 exec, exec, s[2:3]
	v_add_u32_e32 v2, 16, v0
	v_cmp_le_i32_e64 s[2:3], v4, v2
	v_cmp_gt_i32_e64 s[0:1], s4, v2
	s_and_b64 s[2:3], s[2:3], s[0:1]
	s_and_saveexec_b64 s[4:5], s[2:3]
	s_cbranch_execz .LBB1555_8
; %bb.7:
	v_ashrrev_i32_e32 v3, 31, v2
	v_lshlrev_b64 v[7:8], 3, v[2:3]
	v_add_co_u32_e64 v5, s[2:3], v5, v7
	v_addc_co_u32_e64 v6, s[2:3], v6, v8, s[2:3]
	flat_store_dwordx2 v[5:6], v[14:15]
.LBB1555_8:
	s_or_b64 exec, exec, s[4:5]
	v_add_u32_e32 v3, 16, v4
	v_ashrrev_i32_e32 v1, 31, v3
	v_mul_lo_u32 v6, s15, v3
	v_mad_u64_u32 v[4:5], s[2:3], s14, v3, 0
	v_mul_lo_u32 v1, s14, v1
	v_add3_u32 v5, v5, v1, v6
	v_lshlrev_b64 v[4:5], 3, v[4:5]
	v_mov_b32_e32 v1, s9
	v_add_co_u32_e64 v4, s[2:3], s8, v4
	v_addc_co_u32_e64 v5, s[2:3], v1, v5, s[2:3]
	v_cmp_le_i32_e64 s[2:3], v3, v0
	s_and_b64 s[4:5], s[2:3], vcc
	s_and_saveexec_b64 s[2:3], s[4:5]
	s_cbranch_execz .LBB1555_10
; %bb.9:
	v_ashrrev_i32_e32 v1, 31, v0
	v_lshlrev_b64 v[0:1], 3, v[0:1]
	v_add_co_u32_e32 v0, vcc, v4, v0
	v_addc_co_u32_e32 v1, vcc, v5, v1, vcc
	flat_store_dwordx2 v[0:1], v[12:13]
.LBB1555_10:
	s_or_b64 exec, exec, s[2:3]
	v_cmp_le_i32_e32 vcc, v3, v2
	s_and_b64 s[0:1], vcc, s[0:1]
	s_and_saveexec_b64 s[2:3], s[0:1]
	s_cbranch_execz .LBB1555_12
; %bb.11:
	v_ashrrev_i32_e32 v3, 31, v2
	v_lshlrev_b64 v[0:1], 3, v[2:3]
	v_add_co_u32_e32 v0, vcc, v4, v0
	v_addc_co_u32_e32 v1, vcc, v5, v1, vcc
	flat_store_dwordx2 v[0:1], v[10:11]
.LBB1555_12:
	s_endpgm
	.section	.rodata,"a",@progbits
	.p2align	6, 0x0
	.amdhsa_kernel _ZL37rocblas_syrkx_herkx_restricted_kernelIl19rocblas_complex_numIfELi16ELi32ELi8ELi1ELi0ELb0ELc67ELc76EKPKS1_KPS1_EviT_PT9_S7_lS9_S7_lPT10_S7_li
		.amdhsa_group_segment_fixed_size 4096
		.amdhsa_private_segment_fixed_size 0
		.amdhsa_kernarg_size 92
		.amdhsa_user_sgpr_count 6
		.amdhsa_user_sgpr_private_segment_buffer 1
		.amdhsa_user_sgpr_dispatch_ptr 0
		.amdhsa_user_sgpr_queue_ptr 0
		.amdhsa_user_sgpr_kernarg_segment_ptr 1
		.amdhsa_user_sgpr_dispatch_id 0
		.amdhsa_user_sgpr_flat_scratch_init 0
		.amdhsa_user_sgpr_private_segment_size 0
		.amdhsa_uses_dynamic_stack 0
		.amdhsa_system_sgpr_private_segment_wavefront_offset 0
		.amdhsa_system_sgpr_workgroup_id_x 1
		.amdhsa_system_sgpr_workgroup_id_y 1
		.amdhsa_system_sgpr_workgroup_id_z 1
		.amdhsa_system_sgpr_workgroup_info 0
		.amdhsa_system_vgpr_workitem_id 1
		.amdhsa_next_free_vgpr 41
		.amdhsa_next_free_sgpr 20
		.amdhsa_reserve_vcc 1
		.amdhsa_reserve_flat_scratch 0
		.amdhsa_float_round_mode_32 0
		.amdhsa_float_round_mode_16_64 0
		.amdhsa_float_denorm_mode_32 3
		.amdhsa_float_denorm_mode_16_64 3
		.amdhsa_dx10_clamp 1
		.amdhsa_ieee_mode 1
		.amdhsa_fp16_overflow 0
		.amdhsa_exception_fp_ieee_invalid_op 0
		.amdhsa_exception_fp_denorm_src 0
		.amdhsa_exception_fp_ieee_div_zero 0
		.amdhsa_exception_fp_ieee_overflow 0
		.amdhsa_exception_fp_ieee_underflow 0
		.amdhsa_exception_fp_ieee_inexact 0
		.amdhsa_exception_int_div_zero 0
	.end_amdhsa_kernel
	.section	.text._ZL37rocblas_syrkx_herkx_restricted_kernelIl19rocblas_complex_numIfELi16ELi32ELi8ELi1ELi0ELb0ELc67ELc76EKPKS1_KPS1_EviT_PT9_S7_lS9_S7_lPT10_S7_li,"axG",@progbits,_ZL37rocblas_syrkx_herkx_restricted_kernelIl19rocblas_complex_numIfELi16ELi32ELi8ELi1ELi0ELb0ELc67ELc76EKPKS1_KPS1_EviT_PT9_S7_lS9_S7_lPT10_S7_li,comdat
.Lfunc_end1555:
	.size	_ZL37rocblas_syrkx_herkx_restricted_kernelIl19rocblas_complex_numIfELi16ELi32ELi8ELi1ELi0ELb0ELc67ELc76EKPKS1_KPS1_EviT_PT9_S7_lS9_S7_lPT10_S7_li, .Lfunc_end1555-_ZL37rocblas_syrkx_herkx_restricted_kernelIl19rocblas_complex_numIfELi16ELi32ELi8ELi1ELi0ELb0ELc67ELc76EKPKS1_KPS1_EviT_PT9_S7_lS9_S7_lPT10_S7_li
                                        ; -- End function
	.set _ZL37rocblas_syrkx_herkx_restricted_kernelIl19rocblas_complex_numIfELi16ELi32ELi8ELi1ELi0ELb0ELc67ELc76EKPKS1_KPS1_EviT_PT9_S7_lS9_S7_lPT10_S7_li.num_vgpr, 41
	.set _ZL37rocblas_syrkx_herkx_restricted_kernelIl19rocblas_complex_numIfELi16ELi32ELi8ELi1ELi0ELb0ELc67ELc76EKPKS1_KPS1_EviT_PT9_S7_lS9_S7_lPT10_S7_li.num_agpr, 0
	.set _ZL37rocblas_syrkx_herkx_restricted_kernelIl19rocblas_complex_numIfELi16ELi32ELi8ELi1ELi0ELb0ELc67ELc76EKPKS1_KPS1_EviT_PT9_S7_lS9_S7_lPT10_S7_li.numbered_sgpr, 20
	.set _ZL37rocblas_syrkx_herkx_restricted_kernelIl19rocblas_complex_numIfELi16ELi32ELi8ELi1ELi0ELb0ELc67ELc76EKPKS1_KPS1_EviT_PT9_S7_lS9_S7_lPT10_S7_li.num_named_barrier, 0
	.set _ZL37rocblas_syrkx_herkx_restricted_kernelIl19rocblas_complex_numIfELi16ELi32ELi8ELi1ELi0ELb0ELc67ELc76EKPKS1_KPS1_EviT_PT9_S7_lS9_S7_lPT10_S7_li.private_seg_size, 0
	.set _ZL37rocblas_syrkx_herkx_restricted_kernelIl19rocblas_complex_numIfELi16ELi32ELi8ELi1ELi0ELb0ELc67ELc76EKPKS1_KPS1_EviT_PT9_S7_lS9_S7_lPT10_S7_li.uses_vcc, 1
	.set _ZL37rocblas_syrkx_herkx_restricted_kernelIl19rocblas_complex_numIfELi16ELi32ELi8ELi1ELi0ELb0ELc67ELc76EKPKS1_KPS1_EviT_PT9_S7_lS9_S7_lPT10_S7_li.uses_flat_scratch, 0
	.set _ZL37rocblas_syrkx_herkx_restricted_kernelIl19rocblas_complex_numIfELi16ELi32ELi8ELi1ELi0ELb0ELc67ELc76EKPKS1_KPS1_EviT_PT9_S7_lS9_S7_lPT10_S7_li.has_dyn_sized_stack, 0
	.set _ZL37rocblas_syrkx_herkx_restricted_kernelIl19rocblas_complex_numIfELi16ELi32ELi8ELi1ELi0ELb0ELc67ELc76EKPKS1_KPS1_EviT_PT9_S7_lS9_S7_lPT10_S7_li.has_recursion, 0
	.set _ZL37rocblas_syrkx_herkx_restricted_kernelIl19rocblas_complex_numIfELi16ELi32ELi8ELi1ELi0ELb0ELc67ELc76EKPKS1_KPS1_EviT_PT9_S7_lS9_S7_lPT10_S7_li.has_indirect_call, 0
	.section	.AMDGPU.csdata,"",@progbits
; Kernel info:
; codeLenInByte = 1940
; TotalNumSgprs: 24
; NumVgprs: 41
; ScratchSize: 0
; MemoryBound: 0
; FloatMode: 240
; IeeeMode: 1
; LDSByteSize: 4096 bytes/workgroup (compile time only)
; SGPRBlocks: 2
; VGPRBlocks: 10
; NumSGPRsForWavesPerEU: 24
; NumVGPRsForWavesPerEU: 41
; Occupancy: 5
; WaveLimiterHint : 1
; COMPUTE_PGM_RSRC2:SCRATCH_EN: 0
; COMPUTE_PGM_RSRC2:USER_SGPR: 6
; COMPUTE_PGM_RSRC2:TRAP_HANDLER: 0
; COMPUTE_PGM_RSRC2:TGID_X_EN: 1
; COMPUTE_PGM_RSRC2:TGID_Y_EN: 1
; COMPUTE_PGM_RSRC2:TGID_Z_EN: 1
; COMPUTE_PGM_RSRC2:TIDIG_COMP_CNT: 1
	.section	.text._ZL37rocblas_syrkx_herkx_restricted_kernelIl19rocblas_complex_numIfELi16ELi32ELi8ELi1ELi0ELb0ELc78ELc76EKPKS1_KPS1_EviT_PT9_S7_lS9_S7_lPT10_S7_li,"axG",@progbits,_ZL37rocblas_syrkx_herkx_restricted_kernelIl19rocblas_complex_numIfELi16ELi32ELi8ELi1ELi0ELb0ELc78ELc76EKPKS1_KPS1_EviT_PT9_S7_lS9_S7_lPT10_S7_li,comdat
	.globl	_ZL37rocblas_syrkx_herkx_restricted_kernelIl19rocblas_complex_numIfELi16ELi32ELi8ELi1ELi0ELb0ELc78ELc76EKPKS1_KPS1_EviT_PT9_S7_lS9_S7_lPT10_S7_li ; -- Begin function _ZL37rocblas_syrkx_herkx_restricted_kernelIl19rocblas_complex_numIfELi16ELi32ELi8ELi1ELi0ELb0ELc78ELc76EKPKS1_KPS1_EviT_PT9_S7_lS9_S7_lPT10_S7_li
	.p2align	8
	.type	_ZL37rocblas_syrkx_herkx_restricted_kernelIl19rocblas_complex_numIfELi16ELi32ELi8ELi1ELi0ELb0ELc78ELc76EKPKS1_KPS1_EviT_PT9_S7_lS9_S7_lPT10_S7_li,@function
_ZL37rocblas_syrkx_herkx_restricted_kernelIl19rocblas_complex_numIfELi16ELi32ELi8ELi1ELi0ELb0ELc78ELc76EKPKS1_KPS1_EviT_PT9_S7_lS9_S7_lPT10_S7_li: ; @_ZL37rocblas_syrkx_herkx_restricted_kernelIl19rocblas_complex_numIfELi16ELi32ELi8ELi1ELi0ELb0ELc78ELc76EKPKS1_KPS1_EviT_PT9_S7_lS9_S7_lPT10_S7_li
; %bb.0:
	s_load_dwordx4 s[12:15], s[4:5], 0x40
	s_load_dwordx4 s[0:3], s[4:5], 0x8
	s_mov_b32 s9, 0
	s_lshl_b64 s[16:17], s[8:9], 3
	s_waitcnt lgkmcnt(0)
	s_add_u32 s8, s12, s16
	s_addc_u32 s9, s13, s17
	s_load_dwordx2 s[12:13], s[8:9], 0x0
	v_cmp_lt_i64_e64 s[8:9], s[0:1], 1
	s_lshl_b32 s18, s6, 5
	s_lshl_b32 s19, s7, 5
	s_and_b64 vcc, exec, s[8:9]
	s_cbranch_vccnz .LBB1556_3
; %bb.1:
	s_load_dwordx2 s[6:7], s[4:5], 0x18
	s_load_dwordx4 s[8:11], s[4:5], 0x28
	v_lshl_add_u32 v5, v1, 4, v0
	v_lshrrev_b32_e32 v7, 3, v5
	v_add_u32_e32 v2, s19, v7
	v_and_b32_e32 v6, 7, v0
	v_ashrrev_i32_e32 v3, 31, v2
	s_waitcnt lgkmcnt(0)
	v_mad_u64_u32 v[2:3], s[20:21], s10, v6, v[2:3]
	s_add_u32 s2, s2, s16
	s_addc_u32 s3, s3, s17
	v_mad_u64_u32 v[3:4], s[20:21], s11, v6, v[3:4]
	v_and_b32_e32 v4, 31, v5
	v_lshrrev_b32_e32 v8, 5, v5
	v_lshlrev_b32_e32 v5, 3, v4
	v_add_u32_e32 v4, s18, v4
	s_add_u32 s8, s8, s16
	v_lshl_or_b32 v18, v8, 8, v5
	v_ashrrev_i32_e32 v5, 31, v4
	s_addc_u32 s9, s9, s17
	v_mad_u64_u32 v[4:5], s[16:17], s6, v8, v[4:5]
	v_lshlrev_b32_e32 v6, 3, v6
	v_lshl_or_b32 v6, v7, 6, v6
	v_add_u32_e32 v19, 0x800, v6
	v_mad_u64_u32 v[5:6], s[16:17], s7, v8, v[5:6]
	s_load_dwordx2 s[2:3], s[2:3], 0x0
	v_mov_b32_e32 v6, 0x800
	s_load_dwordx2 s[8:9], s[8:9], 0x0
	v_lshlrev_b64 v[4:5], 3, v[4:5]
	v_lshl_add_u32 v21, v1, 6, v6
	s_waitcnt lgkmcnt(0)
	v_mov_b32_e32 v7, s3
	v_add_co_u32_e32 v6, vcc, s2, v4
	v_lshlrev_b64 v[2:3], 3, v[2:3]
	v_addc_co_u32_e32 v7, vcc, v7, v5, vcc
	s_lshl_b64 s[2:3], s[6:7], 6
	v_mov_b32_e32 v4, s9
	v_add_co_u32_e32 v8, vcc, s8, v2
	s_lshl_b64 s[6:7], s[10:11], 6
	v_lshlrev_b32_e32 v20, 3, v0
	v_addc_co_u32_e32 v9, vcc, v4, v3, vcc
	v_mov_b32_e32 v11, 0
	s_mov_b64 s[8:9], 0
	v_mov_b32_e32 v22, s3
	v_mov_b32_e32 v23, s7
	;; [unrolled: 1-line block ×9, first 2 shown]
.LBB1556_2:                             ; =>This Inner Loop Header: Depth=1
	flat_load_dwordx2 v[2:3], v[6:7]
	v_add_co_u32_e32 v6, vcc, s2, v6
	s_add_u32 s8, s8, 8
	v_addc_co_u32_e32 v7, vcc, v7, v22, vcc
	s_addc_u32 s9, s9, 0
	s_waitcnt vmcnt(0) lgkmcnt(0)
	ds_write_b64 v18, v[2:3]
	flat_load_dwordx2 v[2:3], v[8:9]
	v_add_co_u32_e32 v8, vcc, s6, v8
	v_addc_co_u32_e32 v9, vcc, v9, v23, vcc
	s_waitcnt vmcnt(0) lgkmcnt(0)
	ds_write_b64 v19, v[2:3]
	s_waitcnt lgkmcnt(0)
	s_barrier
	ds_read_b128 v[24:27], v21
	ds_read_b128 v[28:31], v21 offset:16
	ds_read_b128 v[32:35], v21 offset:32
	;; [unrolled: 1-line block ×3, first 2 shown]
	ds_read2_b64 v[36:39], v20 offset1:16
	s_waitcnt lgkmcnt(0)
	v_mul_f32_e32 v40, v25, v37
	v_mul_f32_e32 v41, v24, v37
	v_fma_f32 v40, v24, v36, -v40
	v_fmac_f32_e32 v41, v25, v36
	v_add_f32_e32 v40, v16, v40
	v_add_f32_e32 v41, v17, v41
	v_mul_f32_e32 v16, v25, v39
	v_mul_f32_e32 v17, v24, v39
	v_fma_f32 v16, v24, v38, -v16
	v_fmac_f32_e32 v17, v25, v38
	v_add_f32_e32 v24, v14, v16
	v_add_f32_e32 v25, v15, v17
	ds_read_b128 v[14:17], v21 offset:1024
	s_waitcnt lgkmcnt(0)
	v_mul_f32_e32 v42, v15, v37
	v_mul_f32_e32 v37, v14, v37
	v_fma_f32 v42, v14, v36, -v42
	v_fmac_f32_e32 v37, v15, v36
	v_add_f32_e32 v36, v12, v42
	v_add_f32_e32 v37, v13, v37
	v_mul_f32_e32 v12, v15, v39
	v_mul_f32_e32 v13, v14, v39
	v_fma_f32 v12, v14, v38, -v12
	v_fmac_f32_e32 v13, v15, v38
	v_add_f32_e32 v14, v10, v12
	v_add_f32_e32 v15, v11, v13
	ds_read2_b64 v[10:13], v20 offset0:32 offset1:48
	s_waitcnt lgkmcnt(0)
	v_mul_f32_e32 v38, v27, v11
	v_fma_f32 v38, v26, v10, -v38
	v_add_f32_e32 v38, v40, v38
	v_mul_f32_e32 v40, v27, v13
	v_mul_f32_e32 v39, v26, v11
	v_fma_f32 v40, v26, v12, -v40
	v_mul_f32_e32 v26, v26, v13
	v_fmac_f32_e32 v26, v27, v12
	v_add_f32_e32 v25, v25, v26
	v_mul_f32_e32 v26, v17, v11
	v_mul_f32_e32 v11, v16, v11
	v_fmac_f32_e32 v11, v17, v10
	v_fmac_f32_e32 v39, v27, v10
	v_fma_f32 v26, v16, v10, -v26
	v_add_f32_e32 v27, v37, v11
	v_mul_f32_e32 v10, v17, v13
	v_mul_f32_e32 v11, v16, v13
	v_fma_f32 v10, v16, v12, -v10
	v_fmac_f32_e32 v11, v17, v12
	v_add_f32_e32 v26, v36, v26
	v_add_f32_e32 v36, v14, v10
	;; [unrolled: 1-line block ×3, first 2 shown]
	ds_read2_b64 v[10:13], v20 offset0:64 offset1:80
	v_add_f32_e32 v39, v41, v39
	v_add_f32_e32 v24, v24, v40
	s_waitcnt lgkmcnt(0)
	v_mul_f32_e32 v14, v29, v11
	v_mul_f32_e32 v15, v28, v11
	v_fma_f32 v14, v28, v10, -v14
	v_fmac_f32_e32 v15, v29, v10
	v_add_f32_e32 v38, v38, v14
	v_add_f32_e32 v39, v39, v15
	v_mul_f32_e32 v14, v29, v13
	v_mul_f32_e32 v15, v28, v13
	v_fma_f32 v14, v28, v12, -v14
	v_fmac_f32_e32 v15, v29, v12
	v_add_f32_e32 v24, v24, v14
	v_add_f32_e32 v25, v25, v15
	ds_read_b128 v[14:17], v21 offset:1040
	s_waitcnt lgkmcnt(0)
	v_mul_f32_e32 v28, v15, v11
	v_mul_f32_e32 v11, v14, v11
	v_fmac_f32_e32 v11, v15, v10
	v_fma_f32 v28, v14, v10, -v28
	v_add_f32_e32 v27, v27, v11
	v_mul_f32_e32 v10, v15, v13
	v_mul_f32_e32 v11, v14, v13
	v_fma_f32 v10, v14, v12, -v10
	v_fmac_f32_e32 v11, v15, v12
	v_add_f32_e32 v14, v36, v10
	v_add_f32_e32 v15, v37, v11
	ds_read2_b64 v[10:13], v20 offset0:96 offset1:112
	v_add_f32_e32 v26, v26, v28
	s_waitcnt lgkmcnt(0)
	v_mul_f32_e32 v28, v31, v11
	v_mul_f32_e32 v36, v31, v13
	v_fma_f32 v28, v30, v10, -v28
	v_mul_f32_e32 v29, v30, v11
	v_fma_f32 v36, v30, v12, -v36
	v_mul_f32_e32 v30, v30, v13
	v_fmac_f32_e32 v30, v31, v12
	v_add_f32_e32 v25, v25, v30
	v_mul_f32_e32 v30, v17, v11
	v_mul_f32_e32 v11, v16, v11
	v_fmac_f32_e32 v11, v17, v10
	v_fmac_f32_e32 v29, v31, v10
	v_fma_f32 v30, v16, v10, -v30
	v_add_f32_e32 v27, v27, v11
	v_mul_f32_e32 v10, v17, v13
	v_mul_f32_e32 v11, v16, v13
	v_fma_f32 v10, v16, v12, -v10
	v_fmac_f32_e32 v11, v17, v12
	v_add_f32_e32 v26, v26, v30
	v_add_f32_e32 v30, v14, v10
	;; [unrolled: 1-line block ×3, first 2 shown]
	ds_read2_b64 v[10:13], v20 offset0:128 offset1:144
	v_add_f32_e32 v28, v38, v28
	v_add_f32_e32 v29, v39, v29
	;; [unrolled: 1-line block ×3, first 2 shown]
	s_waitcnt lgkmcnt(0)
	v_mul_f32_e32 v14, v33, v11
	v_mul_f32_e32 v15, v32, v11
	v_fma_f32 v14, v32, v10, -v14
	v_fmac_f32_e32 v15, v33, v10
	v_add_f32_e32 v28, v28, v14
	v_add_f32_e32 v29, v29, v15
	v_mul_f32_e32 v14, v33, v13
	v_mul_f32_e32 v15, v32, v13
	v_fma_f32 v14, v32, v12, -v14
	v_fmac_f32_e32 v15, v33, v12
	v_add_f32_e32 v24, v24, v14
	v_add_f32_e32 v25, v25, v15
	ds_read_b128 v[14:17], v21 offset:1056
	s_waitcnt lgkmcnt(0)
	v_mul_f32_e32 v32, v15, v11
	v_mul_f32_e32 v11, v14, v11
	v_fmac_f32_e32 v11, v15, v10
	v_fma_f32 v32, v14, v10, -v32
	v_add_f32_e32 v27, v27, v11
	v_mul_f32_e32 v10, v15, v13
	v_mul_f32_e32 v11, v14, v13
	v_fma_f32 v10, v14, v12, -v10
	v_fmac_f32_e32 v11, v15, v12
	v_add_f32_e32 v14, v30, v10
	v_add_f32_e32 v15, v31, v11
	ds_read2_b64 v[10:13], v20 offset0:160 offset1:176
	v_add_f32_e32 v26, v26, v32
	s_waitcnt lgkmcnt(0)
	v_mul_f32_e32 v30, v35, v11
	v_fma_f32 v30, v34, v10, -v30
	v_mul_f32_e32 v31, v34, v11
	v_add_f32_e32 v28, v28, v30
	v_mul_f32_e32 v30, v35, v13
	v_fmac_f32_e32 v31, v35, v10
	v_fma_f32 v30, v34, v12, -v30
	v_add_f32_e32 v29, v29, v31
	v_mul_f32_e32 v31, v34, v13
	v_add_f32_e32 v24, v24, v30
	v_mul_f32_e32 v30, v17, v11
	v_mul_f32_e32 v11, v16, v11
	v_fmac_f32_e32 v31, v35, v12
	v_fmac_f32_e32 v11, v17, v10
	v_add_f32_e32 v25, v25, v31
	v_fma_f32 v30, v16, v10, -v30
	v_add_f32_e32 v31, v27, v11
	v_mul_f32_e32 v10, v17, v13
	v_mul_f32_e32 v11, v16, v13
	v_fma_f32 v10, v16, v12, -v10
	v_fmac_f32_e32 v11, v17, v12
	v_add_f32_e32 v14, v14, v10
	v_add_f32_e32 v15, v15, v11
	ds_read2_b64 v[10:13], v20 offset0:192 offset1:208
	v_add_f32_e32 v30, v26, v30
	s_waitcnt lgkmcnt(0)
	v_mul_f32_e32 v16, v3, v11
	v_mul_f32_e32 v26, v3, v13
	v_fma_f32 v16, v2, v10, -v16
	v_mul_f32_e32 v17, v2, v11
	v_fma_f32 v26, v2, v12, -v26
	v_mul_f32_e32 v2, v2, v13
	v_fmac_f32_e32 v2, v3, v12
	v_fmac_f32_e32 v17, v3, v10
	v_add_f32_e32 v3, v24, v26
	v_add_f32_e32 v2, v25, v2
	ds_read_b128 v[24:27], v21 offset:1072
	v_add_f32_e32 v16, v28, v16
	v_add_f32_e32 v17, v29, v17
	s_waitcnt lgkmcnt(0)
	v_mul_f32_e32 v28, v25, v11
	v_fma_f32 v28, v24, v10, -v28
	v_mul_f32_e32 v11, v24, v11
	v_fmac_f32_e32 v11, v25, v10
	v_add_f32_e32 v10, v30, v28
	v_mul_f32_e32 v28, v25, v13
	v_fma_f32 v28, v24, v12, -v28
	v_add_f32_e32 v11, v31, v11
	v_mul_f32_e32 v13, v24, v13
	v_add_f32_e32 v24, v14, v28
	ds_read2_b64 v[28:31], v20 offset0:224 offset1:240
	v_fmac_f32_e32 v13, v25, v12
	v_add_f32_e32 v25, v15, v13
	s_waitcnt lgkmcnt(0)
	s_barrier
	v_mul_f32_e32 v12, v5, v29
	v_fma_f32 v12, v4, v28, -v12
	v_add_f32_e32 v16, v16, v12
	v_mul_f32_e32 v12, v5, v31
	v_mul_f32_e32 v13, v4, v29
	v_fma_f32 v12, v4, v30, -v12
	v_mul_f32_e32 v4, v4, v31
	v_fmac_f32_e32 v4, v5, v30
	v_add_f32_e32 v14, v3, v12
	v_add_f32_e32 v15, v2, v4
	v_mul_f32_e32 v2, v27, v29
	v_mul_f32_e32 v3, v26, v29
	v_fmac_f32_e32 v13, v5, v28
	v_fma_f32 v2, v26, v28, -v2
	v_fmac_f32_e32 v3, v27, v28
	v_add_f32_e32 v17, v17, v13
	v_add_f32_e32 v12, v10, v2
	;; [unrolled: 1-line block ×3, first 2 shown]
	v_mul_f32_e32 v2, v27, v31
	v_mul_f32_e32 v3, v26, v31
	v_fma_f32 v2, v26, v30, -v2
	v_fmac_f32_e32 v3, v27, v30
	v_add_f32_e32 v10, v24, v2
	v_add_f32_e32 v11, v25, v3
	v_mov_b32_e32 v2, s8
	v_mov_b32_e32 v3, s9
	v_cmp_le_u64_e32 vcc, s[0:1], v[2:3]
	s_cbranch_vccz .LBB1556_2
	s_branch .LBB1556_4
.LBB1556_3:
	v_mov_b32_e32 v16, 0
	v_mov_b32_e32 v17, 0
	;; [unrolled: 1-line block ×8, first 2 shown]
.LBB1556_4:
	v_add_u32_e32 v4, s19, v1
	v_ashrrev_i32_e32 v1, 31, v4
	v_mul_lo_u32 v3, s14, v1
	v_mul_lo_u32 v5, s15, v4
	v_mad_u64_u32 v[1:2], s[0:1], s14, v4, 0
	s_load_dword s4, s[4:5], 0x0
	v_add_u32_e32 v0, s18, v0
	v_add3_u32 v2, v2, v3, v5
	v_lshlrev_b64 v[1:2], 3, v[1:2]
	s_waitcnt lgkmcnt(0)
	v_mov_b32_e32 v3, s13
	v_add_co_u32_e32 v5, vcc, s12, v1
	v_addc_co_u32_e32 v6, vcc, v3, v2, vcc
	v_cmp_le_i32_e64 s[0:1], v4, v0
	v_cmp_gt_i32_e32 vcc, s4, v0
	s_and_b64 s[0:1], s[0:1], vcc
	s_and_saveexec_b64 s[2:3], s[0:1]
	s_cbranch_execz .LBB1556_6
; %bb.5:
	v_ashrrev_i32_e32 v1, 31, v0
	v_lshlrev_b64 v[1:2], 3, v[0:1]
	v_add_co_u32_e64 v1, s[0:1], v5, v1
	v_addc_co_u32_e64 v2, s[0:1], v6, v2, s[0:1]
	flat_store_dwordx2 v[1:2], v[16:17]
.LBB1556_6:
	s_or_b64 exec, exec, s[2:3]
	v_add_u32_e32 v2, 16, v0
	v_cmp_le_i32_e64 s[2:3], v4, v2
	v_cmp_gt_i32_e64 s[0:1], s4, v2
	s_and_b64 s[2:3], s[2:3], s[0:1]
	s_and_saveexec_b64 s[4:5], s[2:3]
	s_cbranch_execz .LBB1556_8
; %bb.7:
	v_ashrrev_i32_e32 v3, 31, v2
	v_lshlrev_b64 v[7:8], 3, v[2:3]
	v_add_co_u32_e64 v5, s[2:3], v5, v7
	v_addc_co_u32_e64 v6, s[2:3], v6, v8, s[2:3]
	flat_store_dwordx2 v[5:6], v[14:15]
.LBB1556_8:
	s_or_b64 exec, exec, s[4:5]
	v_add_u32_e32 v3, 16, v4
	v_ashrrev_i32_e32 v1, 31, v3
	v_mul_lo_u32 v6, s15, v3
	v_mad_u64_u32 v[4:5], s[2:3], s14, v3, 0
	v_mul_lo_u32 v1, s14, v1
	v_add3_u32 v5, v5, v1, v6
	v_lshlrev_b64 v[4:5], 3, v[4:5]
	v_mov_b32_e32 v1, s13
	v_add_co_u32_e64 v4, s[2:3], s12, v4
	v_addc_co_u32_e64 v5, s[2:3], v1, v5, s[2:3]
	v_cmp_le_i32_e64 s[2:3], v3, v0
	s_and_b64 s[4:5], s[2:3], vcc
	s_and_saveexec_b64 s[2:3], s[4:5]
	s_cbranch_execz .LBB1556_10
; %bb.9:
	v_ashrrev_i32_e32 v1, 31, v0
	v_lshlrev_b64 v[0:1], 3, v[0:1]
	v_add_co_u32_e32 v0, vcc, v4, v0
	v_addc_co_u32_e32 v1, vcc, v5, v1, vcc
	flat_store_dwordx2 v[0:1], v[12:13]
.LBB1556_10:
	s_or_b64 exec, exec, s[2:3]
	v_cmp_le_i32_e32 vcc, v3, v2
	s_and_b64 s[0:1], vcc, s[0:1]
	s_and_saveexec_b64 s[2:3], s[0:1]
	s_cbranch_execz .LBB1556_12
; %bb.11:
	v_ashrrev_i32_e32 v3, 31, v2
	v_lshlrev_b64 v[0:1], 3, v[2:3]
	v_add_co_u32_e32 v0, vcc, v4, v0
	v_addc_co_u32_e32 v1, vcc, v5, v1, vcc
	flat_store_dwordx2 v[0:1], v[10:11]
.LBB1556_12:
	s_endpgm
	.section	.rodata,"a",@progbits
	.p2align	6, 0x0
	.amdhsa_kernel _ZL37rocblas_syrkx_herkx_restricted_kernelIl19rocblas_complex_numIfELi16ELi32ELi8ELi1ELi0ELb0ELc78ELc76EKPKS1_KPS1_EviT_PT9_S7_lS9_S7_lPT10_S7_li
		.amdhsa_group_segment_fixed_size 4096
		.amdhsa_private_segment_fixed_size 0
		.amdhsa_kernarg_size 92
		.amdhsa_user_sgpr_count 6
		.amdhsa_user_sgpr_private_segment_buffer 1
		.amdhsa_user_sgpr_dispatch_ptr 0
		.amdhsa_user_sgpr_queue_ptr 0
		.amdhsa_user_sgpr_kernarg_segment_ptr 1
		.amdhsa_user_sgpr_dispatch_id 0
		.amdhsa_user_sgpr_flat_scratch_init 0
		.amdhsa_user_sgpr_private_segment_size 0
		.amdhsa_uses_dynamic_stack 0
		.amdhsa_system_sgpr_private_segment_wavefront_offset 0
		.amdhsa_system_sgpr_workgroup_id_x 1
		.amdhsa_system_sgpr_workgroup_id_y 1
		.amdhsa_system_sgpr_workgroup_id_z 1
		.amdhsa_system_sgpr_workgroup_info 0
		.amdhsa_system_vgpr_workitem_id 1
		.amdhsa_next_free_vgpr 43
		.amdhsa_next_free_sgpr 22
		.amdhsa_reserve_vcc 1
		.amdhsa_reserve_flat_scratch 0
		.amdhsa_float_round_mode_32 0
		.amdhsa_float_round_mode_16_64 0
		.amdhsa_float_denorm_mode_32 3
		.amdhsa_float_denorm_mode_16_64 3
		.amdhsa_dx10_clamp 1
		.amdhsa_ieee_mode 1
		.amdhsa_fp16_overflow 0
		.amdhsa_exception_fp_ieee_invalid_op 0
		.amdhsa_exception_fp_denorm_src 0
		.amdhsa_exception_fp_ieee_div_zero 0
		.amdhsa_exception_fp_ieee_overflow 0
		.amdhsa_exception_fp_ieee_underflow 0
		.amdhsa_exception_fp_ieee_inexact 0
		.amdhsa_exception_int_div_zero 0
	.end_amdhsa_kernel
	.section	.text._ZL37rocblas_syrkx_herkx_restricted_kernelIl19rocblas_complex_numIfELi16ELi32ELi8ELi1ELi0ELb0ELc78ELc76EKPKS1_KPS1_EviT_PT9_S7_lS9_S7_lPT10_S7_li,"axG",@progbits,_ZL37rocblas_syrkx_herkx_restricted_kernelIl19rocblas_complex_numIfELi16ELi32ELi8ELi1ELi0ELb0ELc78ELc76EKPKS1_KPS1_EviT_PT9_S7_lS9_S7_lPT10_S7_li,comdat
.Lfunc_end1556:
	.size	_ZL37rocblas_syrkx_herkx_restricted_kernelIl19rocblas_complex_numIfELi16ELi32ELi8ELi1ELi0ELb0ELc78ELc76EKPKS1_KPS1_EviT_PT9_S7_lS9_S7_lPT10_S7_li, .Lfunc_end1556-_ZL37rocblas_syrkx_herkx_restricted_kernelIl19rocblas_complex_numIfELi16ELi32ELi8ELi1ELi0ELb0ELc78ELc76EKPKS1_KPS1_EviT_PT9_S7_lS9_S7_lPT10_S7_li
                                        ; -- End function
	.set _ZL37rocblas_syrkx_herkx_restricted_kernelIl19rocblas_complex_numIfELi16ELi32ELi8ELi1ELi0ELb0ELc78ELc76EKPKS1_KPS1_EviT_PT9_S7_lS9_S7_lPT10_S7_li.num_vgpr, 43
	.set _ZL37rocblas_syrkx_herkx_restricted_kernelIl19rocblas_complex_numIfELi16ELi32ELi8ELi1ELi0ELb0ELc78ELc76EKPKS1_KPS1_EviT_PT9_S7_lS9_S7_lPT10_S7_li.num_agpr, 0
	.set _ZL37rocblas_syrkx_herkx_restricted_kernelIl19rocblas_complex_numIfELi16ELi32ELi8ELi1ELi0ELb0ELc78ELc76EKPKS1_KPS1_EviT_PT9_S7_lS9_S7_lPT10_S7_li.numbered_sgpr, 22
	.set _ZL37rocblas_syrkx_herkx_restricted_kernelIl19rocblas_complex_numIfELi16ELi32ELi8ELi1ELi0ELb0ELc78ELc76EKPKS1_KPS1_EviT_PT9_S7_lS9_S7_lPT10_S7_li.num_named_barrier, 0
	.set _ZL37rocblas_syrkx_herkx_restricted_kernelIl19rocblas_complex_numIfELi16ELi32ELi8ELi1ELi0ELb0ELc78ELc76EKPKS1_KPS1_EviT_PT9_S7_lS9_S7_lPT10_S7_li.private_seg_size, 0
	.set _ZL37rocblas_syrkx_herkx_restricted_kernelIl19rocblas_complex_numIfELi16ELi32ELi8ELi1ELi0ELb0ELc78ELc76EKPKS1_KPS1_EviT_PT9_S7_lS9_S7_lPT10_S7_li.uses_vcc, 1
	.set _ZL37rocblas_syrkx_herkx_restricted_kernelIl19rocblas_complex_numIfELi16ELi32ELi8ELi1ELi0ELb0ELc78ELc76EKPKS1_KPS1_EviT_PT9_S7_lS9_S7_lPT10_S7_li.uses_flat_scratch, 0
	.set _ZL37rocblas_syrkx_herkx_restricted_kernelIl19rocblas_complex_numIfELi16ELi32ELi8ELi1ELi0ELb0ELc78ELc76EKPKS1_KPS1_EviT_PT9_S7_lS9_S7_lPT10_S7_li.has_dyn_sized_stack, 0
	.set _ZL37rocblas_syrkx_herkx_restricted_kernelIl19rocblas_complex_numIfELi16ELi32ELi8ELi1ELi0ELb0ELc78ELc76EKPKS1_KPS1_EviT_PT9_S7_lS9_S7_lPT10_S7_li.has_recursion, 0
	.set _ZL37rocblas_syrkx_herkx_restricted_kernelIl19rocblas_complex_numIfELi16ELi32ELi8ELi1ELi0ELb0ELc78ELc76EKPKS1_KPS1_EviT_PT9_S7_lS9_S7_lPT10_S7_li.has_indirect_call, 0
	.section	.AMDGPU.csdata,"",@progbits
; Kernel info:
; codeLenInByte = 1920
; TotalNumSgprs: 26
; NumVgprs: 43
; ScratchSize: 0
; MemoryBound: 0
; FloatMode: 240
; IeeeMode: 1
; LDSByteSize: 4096 bytes/workgroup (compile time only)
; SGPRBlocks: 3
; VGPRBlocks: 10
; NumSGPRsForWavesPerEU: 26
; NumVGPRsForWavesPerEU: 43
; Occupancy: 5
; WaveLimiterHint : 1
; COMPUTE_PGM_RSRC2:SCRATCH_EN: 0
; COMPUTE_PGM_RSRC2:USER_SGPR: 6
; COMPUTE_PGM_RSRC2:TRAP_HANDLER: 0
; COMPUTE_PGM_RSRC2:TGID_X_EN: 1
; COMPUTE_PGM_RSRC2:TGID_Y_EN: 1
; COMPUTE_PGM_RSRC2:TGID_Z_EN: 1
; COMPUTE_PGM_RSRC2:TIDIG_COMP_CNT: 1
	.section	.text._ZL37rocblas_syrkx_herkx_restricted_kernelIl19rocblas_complex_numIfELi16ELi32ELi8ELi1ELi0ELb0ELc84ELc85EKPKS1_KPS1_EviT_PT9_S7_lS9_S7_lPT10_S7_li,"axG",@progbits,_ZL37rocblas_syrkx_herkx_restricted_kernelIl19rocblas_complex_numIfELi16ELi32ELi8ELi1ELi0ELb0ELc84ELc85EKPKS1_KPS1_EviT_PT9_S7_lS9_S7_lPT10_S7_li,comdat
	.globl	_ZL37rocblas_syrkx_herkx_restricted_kernelIl19rocblas_complex_numIfELi16ELi32ELi8ELi1ELi0ELb0ELc84ELc85EKPKS1_KPS1_EviT_PT9_S7_lS9_S7_lPT10_S7_li ; -- Begin function _ZL37rocblas_syrkx_herkx_restricted_kernelIl19rocblas_complex_numIfELi16ELi32ELi8ELi1ELi0ELb0ELc84ELc85EKPKS1_KPS1_EviT_PT9_S7_lS9_S7_lPT10_S7_li
	.p2align	8
	.type	_ZL37rocblas_syrkx_herkx_restricted_kernelIl19rocblas_complex_numIfELi16ELi32ELi8ELi1ELi0ELb0ELc84ELc85EKPKS1_KPS1_EviT_PT9_S7_lS9_S7_lPT10_S7_li,@function
_ZL37rocblas_syrkx_herkx_restricted_kernelIl19rocblas_complex_numIfELi16ELi32ELi8ELi1ELi0ELb0ELc84ELc85EKPKS1_KPS1_EviT_PT9_S7_lS9_S7_lPT10_S7_li: ; @_ZL37rocblas_syrkx_herkx_restricted_kernelIl19rocblas_complex_numIfELi16ELi32ELi8ELi1ELi0ELb0ELc84ELc85EKPKS1_KPS1_EviT_PT9_S7_lS9_S7_lPT10_S7_li
; %bb.0:
	s_load_dwordx4 s[0:3], s[4:5], 0x40
	s_load_dwordx4 s[12:15], s[4:5], 0x8
	s_mov_b32 s9, 0
	s_lshl_b64 s[10:11], s[8:9], 3
	s_waitcnt lgkmcnt(0)
	s_add_u32 s0, s0, s10
	s_addc_u32 s1, s1, s11
	s_load_dwordx2 s[8:9], s[0:1], 0x0
	v_cmp_lt_i64_e64 s[0:1], s[12:13], 1
	s_lshl_b32 s6, s6, 5
	s_lshl_b32 s7, s7, 5
	s_and_b64 vcc, exec, s[0:1]
	s_cbranch_vccnz .LBB1557_3
; %bb.1:
	s_load_dwordx2 s[0:1], s[4:5], 0x18
	s_load_dwordx4 s[16:19], s[4:5], 0x28
	v_lshl_add_u32 v4, v1, 4, v0
	v_lshrrev_b32_e32 v6, 3, v4
	v_add_u32_e32 v2, s7, v6
	v_ashrrev_i32_e32 v3, 31, v2
	v_and_b32_e32 v10, 7, v0
	v_mov_b32_e32 v11, 0
	s_waitcnt lgkmcnt(0)
	v_mul_lo_u32 v5, s18, v3
	v_mul_lo_u32 v7, s19, v2
	v_mad_u64_u32 v[2:3], s[18:19], s18, v2, v[10:11]
	s_add_u32 s14, s14, s10
	s_addc_u32 s15, s15, s11
	v_add3_u32 v3, v7, v3, v5
	v_and_b32_e32 v7, 31, v4
	v_lshrrev_b32_e32 v4, 5, v4
	v_lshlrev_b32_e32 v8, 3, v7
	v_lshl_or_b32 v18, v4, 8, v8
	v_lshlrev_b32_e32 v8, 3, v10
	v_lshl_or_b32 v6, v6, 6, v8
	v_add_u32_e32 v19, 0x800, v6
	v_add_u32_e32 v6, s6, v7
	s_add_u32 s10, s16, s10
	v_mov_b32_e32 v5, v11
	v_ashrrev_i32_e32 v7, 31, v6
	s_addc_u32 s11, s17, s11
	v_mul_lo_u32 v7, s0, v7
	v_mad_u64_u32 v[4:5], s[16:17], s0, v6, v[4:5]
	v_mul_lo_u32 v6, s1, v6
	s_load_dwordx2 s[14:15], s[14:15], 0x0
	v_lshlrev_b64 v[2:3], 3, v[2:3]
	s_load_dwordx2 s[10:11], s[10:11], 0x0
	v_add3_u32 v5, v6, v5, v7
	v_lshlrev_b64 v[4:5], 3, v[4:5]
	s_waitcnt lgkmcnt(0)
	v_mov_b32_e32 v7, s15
	v_add_co_u32_e32 v6, vcc, s14, v4
	v_mov_b32_e32 v8, 0x800
	v_addc_co_u32_e32 v7, vcc, v7, v5, vcc
	v_lshl_add_u32 v21, v1, 6, v8
	v_mov_b32_e32 v4, s11
	v_add_co_u32_e32 v8, vcc, s10, v2
	v_lshlrev_b32_e32 v20, 3, v0
	v_addc_co_u32_e32 v9, vcc, v4, v3, vcc
	s_mov_b64 s[0:1], 0
	v_mov_b32_e32 v10, v11
	v_mov_b32_e32 v13, v11
	;; [unrolled: 1-line block ×7, first 2 shown]
.LBB1557_2:                             ; =>This Inner Loop Header: Depth=1
	flat_load_dwordx2 v[2:3], v[6:7]
	s_add_u32 s0, s0, 8
	v_add_co_u32_e32 v6, vcc, 64, v6
	s_addc_u32 s1, s1, 0
	v_addc_co_u32_e32 v7, vcc, 0, v7, vcc
	s_waitcnt vmcnt(0) lgkmcnt(0)
	ds_write_b64 v18, v[2:3]
	flat_load_dwordx2 v[2:3], v[8:9]
	v_add_co_u32_e32 v8, vcc, 64, v8
	v_addc_co_u32_e32 v9, vcc, 0, v9, vcc
	s_waitcnt vmcnt(0) lgkmcnt(0)
	ds_write_b64 v19, v[2:3]
	s_waitcnt lgkmcnt(0)
	s_barrier
	ds_read_b128 v[22:25], v21
	ds_read_b128 v[26:29], v21 offset:16
	ds_read_b128 v[30:33], v21 offset:32
	;; [unrolled: 1-line block ×3, first 2 shown]
	ds_read2_b64 v[34:37], v20 offset1:16
	s_waitcnt lgkmcnt(0)
	v_mul_f32_e32 v38, v23, v35
	v_mul_f32_e32 v39, v22, v35
	v_fma_f32 v38, v22, v34, -v38
	v_fmac_f32_e32 v39, v23, v34
	v_add_f32_e32 v38, v16, v38
	v_add_f32_e32 v39, v17, v39
	v_mul_f32_e32 v16, v23, v37
	v_mul_f32_e32 v17, v22, v37
	v_fma_f32 v16, v22, v36, -v16
	v_fmac_f32_e32 v17, v23, v36
	v_add_f32_e32 v22, v14, v16
	v_add_f32_e32 v23, v15, v17
	ds_read_b128 v[14:17], v21 offset:1024
	s_waitcnt lgkmcnt(0)
	v_mul_f32_e32 v40, v15, v35
	v_mul_f32_e32 v35, v14, v35
	v_fma_f32 v40, v14, v34, -v40
	v_fmac_f32_e32 v35, v15, v34
	v_add_f32_e32 v34, v12, v40
	v_add_f32_e32 v35, v13, v35
	v_mul_f32_e32 v12, v15, v37
	v_mul_f32_e32 v13, v14, v37
	v_fma_f32 v12, v14, v36, -v12
	v_fmac_f32_e32 v13, v15, v36
	v_add_f32_e32 v14, v10, v12
	v_add_f32_e32 v15, v11, v13
	ds_read2_b64 v[10:13], v20 offset0:32 offset1:48
	s_waitcnt lgkmcnt(0)
	v_mul_f32_e32 v36, v25, v11
	v_fma_f32 v36, v24, v10, -v36
	v_add_f32_e32 v36, v38, v36
	v_mul_f32_e32 v38, v25, v13
	v_mul_f32_e32 v37, v24, v11
	v_fma_f32 v38, v24, v12, -v38
	v_mul_f32_e32 v24, v24, v13
	v_fmac_f32_e32 v24, v25, v12
	v_add_f32_e32 v23, v23, v24
	v_mul_f32_e32 v24, v17, v11
	v_mul_f32_e32 v11, v16, v11
	v_fmac_f32_e32 v11, v17, v10
	v_fmac_f32_e32 v37, v25, v10
	v_fma_f32 v24, v16, v10, -v24
	v_add_f32_e32 v25, v35, v11
	v_mul_f32_e32 v10, v17, v13
	v_mul_f32_e32 v11, v16, v13
	v_fma_f32 v10, v16, v12, -v10
	v_fmac_f32_e32 v11, v17, v12
	v_add_f32_e32 v24, v34, v24
	v_add_f32_e32 v34, v14, v10
	;; [unrolled: 1-line block ×3, first 2 shown]
	ds_read2_b64 v[10:13], v20 offset0:64 offset1:80
	v_add_f32_e32 v37, v39, v37
	v_add_f32_e32 v22, v22, v38
	s_waitcnt lgkmcnt(0)
	v_mul_f32_e32 v14, v27, v11
	v_mul_f32_e32 v15, v26, v11
	v_fma_f32 v14, v26, v10, -v14
	v_fmac_f32_e32 v15, v27, v10
	v_add_f32_e32 v36, v36, v14
	v_add_f32_e32 v37, v37, v15
	v_mul_f32_e32 v14, v27, v13
	v_mul_f32_e32 v15, v26, v13
	v_fma_f32 v14, v26, v12, -v14
	v_fmac_f32_e32 v15, v27, v12
	v_add_f32_e32 v22, v22, v14
	v_add_f32_e32 v23, v23, v15
	ds_read_b128 v[14:17], v21 offset:1040
	s_waitcnt lgkmcnt(0)
	v_mul_f32_e32 v26, v15, v11
	v_mul_f32_e32 v11, v14, v11
	v_fmac_f32_e32 v11, v15, v10
	v_fma_f32 v26, v14, v10, -v26
	v_add_f32_e32 v25, v25, v11
	v_mul_f32_e32 v10, v15, v13
	v_mul_f32_e32 v11, v14, v13
	v_fma_f32 v10, v14, v12, -v10
	v_fmac_f32_e32 v11, v15, v12
	v_add_f32_e32 v14, v34, v10
	v_add_f32_e32 v15, v35, v11
	ds_read2_b64 v[10:13], v20 offset0:96 offset1:112
	v_add_f32_e32 v24, v24, v26
	s_waitcnt lgkmcnt(0)
	v_mul_f32_e32 v26, v29, v11
	v_mul_f32_e32 v34, v29, v13
	v_fma_f32 v26, v28, v10, -v26
	v_mul_f32_e32 v27, v28, v11
	v_fma_f32 v34, v28, v12, -v34
	v_mul_f32_e32 v28, v28, v13
	v_fmac_f32_e32 v28, v29, v12
	v_add_f32_e32 v23, v23, v28
	v_mul_f32_e32 v28, v17, v11
	v_mul_f32_e32 v11, v16, v11
	v_fmac_f32_e32 v11, v17, v10
	v_fmac_f32_e32 v27, v29, v10
	v_fma_f32 v28, v16, v10, -v28
	v_add_f32_e32 v25, v25, v11
	v_mul_f32_e32 v10, v17, v13
	v_mul_f32_e32 v11, v16, v13
	v_fma_f32 v10, v16, v12, -v10
	v_fmac_f32_e32 v11, v17, v12
	v_add_f32_e32 v24, v24, v28
	v_add_f32_e32 v28, v14, v10
	;; [unrolled: 1-line block ×3, first 2 shown]
	ds_read2_b64 v[10:13], v20 offset0:128 offset1:144
	v_add_f32_e32 v26, v36, v26
	v_add_f32_e32 v27, v37, v27
	v_add_f32_e32 v22, v22, v34
	s_waitcnt lgkmcnt(0)
	v_mul_f32_e32 v14, v31, v11
	v_mul_f32_e32 v15, v30, v11
	v_fma_f32 v14, v30, v10, -v14
	v_fmac_f32_e32 v15, v31, v10
	v_add_f32_e32 v26, v26, v14
	v_add_f32_e32 v27, v27, v15
	v_mul_f32_e32 v14, v31, v13
	v_mul_f32_e32 v15, v30, v13
	v_fma_f32 v14, v30, v12, -v14
	v_fmac_f32_e32 v15, v31, v12
	v_add_f32_e32 v22, v22, v14
	v_add_f32_e32 v23, v23, v15
	ds_read_b128 v[14:17], v21 offset:1056
	s_waitcnt lgkmcnt(0)
	v_mul_f32_e32 v30, v15, v11
	v_mul_f32_e32 v11, v14, v11
	v_fmac_f32_e32 v11, v15, v10
	v_fma_f32 v30, v14, v10, -v30
	v_add_f32_e32 v25, v25, v11
	v_mul_f32_e32 v10, v15, v13
	v_mul_f32_e32 v11, v14, v13
	v_fma_f32 v10, v14, v12, -v10
	v_fmac_f32_e32 v11, v15, v12
	v_add_f32_e32 v14, v28, v10
	v_add_f32_e32 v15, v29, v11
	ds_read2_b64 v[10:13], v20 offset0:160 offset1:176
	v_add_f32_e32 v24, v24, v30
	s_waitcnt lgkmcnt(0)
	v_mul_f32_e32 v28, v33, v11
	v_fma_f32 v28, v32, v10, -v28
	v_mul_f32_e32 v29, v32, v11
	v_add_f32_e32 v26, v26, v28
	v_mul_f32_e32 v28, v33, v13
	v_fmac_f32_e32 v29, v33, v10
	v_fma_f32 v28, v32, v12, -v28
	v_add_f32_e32 v27, v27, v29
	v_mul_f32_e32 v29, v32, v13
	v_add_f32_e32 v22, v22, v28
	v_mul_f32_e32 v28, v17, v11
	v_mul_f32_e32 v11, v16, v11
	v_fmac_f32_e32 v29, v33, v12
	v_fmac_f32_e32 v11, v17, v10
	v_add_f32_e32 v23, v23, v29
	v_fma_f32 v28, v16, v10, -v28
	v_add_f32_e32 v29, v25, v11
	v_mul_f32_e32 v10, v17, v13
	v_mul_f32_e32 v11, v16, v13
	v_fma_f32 v10, v16, v12, -v10
	v_fmac_f32_e32 v11, v17, v12
	v_add_f32_e32 v14, v14, v10
	v_add_f32_e32 v15, v15, v11
	ds_read2_b64 v[10:13], v20 offset0:192 offset1:208
	v_add_f32_e32 v28, v24, v28
	s_waitcnt lgkmcnt(0)
	v_mul_f32_e32 v16, v3, v11
	v_mul_f32_e32 v24, v3, v13
	v_fma_f32 v16, v2, v10, -v16
	v_mul_f32_e32 v17, v2, v11
	v_fma_f32 v24, v2, v12, -v24
	v_mul_f32_e32 v2, v2, v13
	v_fmac_f32_e32 v2, v3, v12
	v_fmac_f32_e32 v17, v3, v10
	v_add_f32_e32 v3, v22, v24
	v_add_f32_e32 v2, v23, v2
	ds_read_b128 v[22:25], v21 offset:1072
	v_add_f32_e32 v16, v26, v16
	v_add_f32_e32 v17, v27, v17
	s_waitcnt lgkmcnt(0)
	v_mul_f32_e32 v26, v23, v11
	v_fma_f32 v26, v22, v10, -v26
	v_mul_f32_e32 v11, v22, v11
	v_fmac_f32_e32 v11, v23, v10
	v_add_f32_e32 v10, v28, v26
	v_mul_f32_e32 v26, v23, v13
	v_fma_f32 v26, v22, v12, -v26
	v_add_f32_e32 v11, v29, v11
	v_mul_f32_e32 v13, v22, v13
	v_add_f32_e32 v22, v14, v26
	ds_read2_b64 v[26:29], v20 offset0:224 offset1:240
	v_fmac_f32_e32 v13, v23, v12
	v_add_f32_e32 v23, v15, v13
	s_waitcnt lgkmcnt(0)
	s_barrier
	v_mul_f32_e32 v12, v5, v27
	v_fma_f32 v12, v4, v26, -v12
	v_add_f32_e32 v16, v16, v12
	v_mul_f32_e32 v12, v5, v29
	v_mul_f32_e32 v13, v4, v27
	v_fma_f32 v12, v4, v28, -v12
	v_mul_f32_e32 v4, v4, v29
	v_fmac_f32_e32 v4, v5, v28
	v_add_f32_e32 v14, v3, v12
	v_add_f32_e32 v15, v2, v4
	v_mul_f32_e32 v2, v25, v27
	v_mul_f32_e32 v3, v24, v27
	v_fmac_f32_e32 v13, v5, v26
	v_fma_f32 v2, v24, v26, -v2
	v_fmac_f32_e32 v3, v25, v26
	v_add_f32_e32 v17, v17, v13
	v_add_f32_e32 v12, v10, v2
	;; [unrolled: 1-line block ×3, first 2 shown]
	v_mul_f32_e32 v2, v25, v29
	v_mul_f32_e32 v3, v24, v29
	v_fma_f32 v2, v24, v28, -v2
	v_fmac_f32_e32 v3, v25, v28
	v_add_f32_e32 v10, v22, v2
	v_add_f32_e32 v11, v23, v3
	v_mov_b32_e32 v3, s1
	v_mov_b32_e32 v2, s0
	v_cmp_le_u64_e32 vcc, s[12:13], v[2:3]
	s_cbranch_vccz .LBB1557_2
	s_branch .LBB1557_4
.LBB1557_3:
	v_mov_b32_e32 v16, 0
	v_mov_b32_e32 v17, 0
	;; [unrolled: 1-line block ×8, first 2 shown]
.LBB1557_4:
	v_add_u32_e32 v4, s7, v1
	v_ashrrev_i32_e32 v1, 31, v4
	v_mul_lo_u32 v3, s2, v1
	v_mul_lo_u32 v5, s3, v4
	v_mad_u64_u32 v[1:2], s[0:1], s2, v4, 0
	s_load_dword s10, s[4:5], 0x0
	v_add_u32_e32 v0, s6, v0
	v_add3_u32 v2, v2, v3, v5
	v_lshlrev_b64 v[1:2], 3, v[1:2]
	s_waitcnt lgkmcnt(0)
	v_mov_b32_e32 v3, s9
	v_add_co_u32_e64 v5, s[0:1], s8, v1
	v_addc_co_u32_e64 v6, s[0:1], v3, v2, s[0:1]
	v_cmp_gt_i32_e32 vcc, s10, v4
	v_cmp_le_i32_e64 s[0:1], v0, v4
	s_and_b64 s[0:1], vcc, s[0:1]
	s_and_saveexec_b64 s[4:5], s[0:1]
	s_cbranch_execz .LBB1557_6
; %bb.5:
	v_ashrrev_i32_e32 v1, 31, v0
	v_lshlrev_b64 v[1:2], 3, v[0:1]
	v_add_co_u32_e64 v1, s[0:1], v5, v1
	v_addc_co_u32_e64 v2, s[0:1], v6, v2, s[0:1]
	flat_store_dwordx2 v[1:2], v[16:17]
.LBB1557_6:
	s_or_b64 exec, exec, s[4:5]
	v_add_u32_e32 v2, 16, v0
	v_cmp_le_i32_e64 s[0:1], v2, v4
	s_and_b64 s[4:5], vcc, s[0:1]
	s_and_saveexec_b64 s[0:1], s[4:5]
	s_cbranch_execz .LBB1557_8
; %bb.7:
	v_ashrrev_i32_e32 v3, 31, v2
	v_lshlrev_b64 v[7:8], 3, v[2:3]
	v_add_co_u32_e32 v5, vcc, v5, v7
	v_addc_co_u32_e32 v6, vcc, v6, v8, vcc
	flat_store_dwordx2 v[5:6], v[14:15]
.LBB1557_8:
	s_or_b64 exec, exec, s[0:1]
	v_add_u32_e32 v3, 16, v4
	v_ashrrev_i32_e32 v1, 31, v3
	v_mul_lo_u32 v1, s2, v1
	v_mul_lo_u32 v6, s3, v3
	v_mad_u64_u32 v[4:5], s[0:1], s2, v3, 0
	v_cmp_gt_i32_e32 vcc, s10, v3
	v_add3_u32 v5, v5, v1, v6
	v_lshlrev_b64 v[4:5], 3, v[4:5]
	v_mov_b32_e32 v1, s9
	v_add_co_u32_e64 v4, s[0:1], s8, v4
	v_addc_co_u32_e64 v5, s[0:1], v1, v5, s[0:1]
	v_cmp_le_i32_e64 s[0:1], v0, v3
	s_and_b64 s[0:1], vcc, s[0:1]
	s_and_saveexec_b64 s[2:3], s[0:1]
	s_cbranch_execz .LBB1557_10
; %bb.9:
	v_ashrrev_i32_e32 v1, 31, v0
	v_lshlrev_b64 v[0:1], 3, v[0:1]
	v_add_co_u32_e64 v0, s[0:1], v4, v0
	v_addc_co_u32_e64 v1, s[0:1], v5, v1, s[0:1]
	flat_store_dwordx2 v[0:1], v[12:13]
.LBB1557_10:
	s_or_b64 exec, exec, s[2:3]
	v_cmp_le_i32_e64 s[0:1], v2, v3
	s_and_b64 s[0:1], vcc, s[0:1]
	s_and_saveexec_b64 s[2:3], s[0:1]
	s_cbranch_execz .LBB1557_12
; %bb.11:
	v_ashrrev_i32_e32 v3, 31, v2
	v_lshlrev_b64 v[0:1], 3, v[2:3]
	v_add_co_u32_e32 v0, vcc, v4, v0
	v_addc_co_u32_e32 v1, vcc, v5, v1, vcc
	flat_store_dwordx2 v[0:1], v[10:11]
.LBB1557_12:
	s_endpgm
	.section	.rodata,"a",@progbits
	.p2align	6, 0x0
	.amdhsa_kernel _ZL37rocblas_syrkx_herkx_restricted_kernelIl19rocblas_complex_numIfELi16ELi32ELi8ELi1ELi0ELb0ELc84ELc85EKPKS1_KPS1_EviT_PT9_S7_lS9_S7_lPT10_S7_li
		.amdhsa_group_segment_fixed_size 4096
		.amdhsa_private_segment_fixed_size 0
		.amdhsa_kernarg_size 92
		.amdhsa_user_sgpr_count 6
		.amdhsa_user_sgpr_private_segment_buffer 1
		.amdhsa_user_sgpr_dispatch_ptr 0
		.amdhsa_user_sgpr_queue_ptr 0
		.amdhsa_user_sgpr_kernarg_segment_ptr 1
		.amdhsa_user_sgpr_dispatch_id 0
		.amdhsa_user_sgpr_flat_scratch_init 0
		.amdhsa_user_sgpr_private_segment_size 0
		.amdhsa_uses_dynamic_stack 0
		.amdhsa_system_sgpr_private_segment_wavefront_offset 0
		.amdhsa_system_sgpr_workgroup_id_x 1
		.amdhsa_system_sgpr_workgroup_id_y 1
		.amdhsa_system_sgpr_workgroup_id_z 1
		.amdhsa_system_sgpr_workgroup_info 0
		.amdhsa_system_vgpr_workitem_id 1
		.amdhsa_next_free_vgpr 41
		.amdhsa_next_free_sgpr 20
		.amdhsa_reserve_vcc 1
		.amdhsa_reserve_flat_scratch 0
		.amdhsa_float_round_mode_32 0
		.amdhsa_float_round_mode_16_64 0
		.amdhsa_float_denorm_mode_32 3
		.amdhsa_float_denorm_mode_16_64 3
		.amdhsa_dx10_clamp 1
		.amdhsa_ieee_mode 1
		.amdhsa_fp16_overflow 0
		.amdhsa_exception_fp_ieee_invalid_op 0
		.amdhsa_exception_fp_denorm_src 0
		.amdhsa_exception_fp_ieee_div_zero 0
		.amdhsa_exception_fp_ieee_overflow 0
		.amdhsa_exception_fp_ieee_underflow 0
		.amdhsa_exception_fp_ieee_inexact 0
		.amdhsa_exception_int_div_zero 0
	.end_amdhsa_kernel
	.section	.text._ZL37rocblas_syrkx_herkx_restricted_kernelIl19rocblas_complex_numIfELi16ELi32ELi8ELi1ELi0ELb0ELc84ELc85EKPKS1_KPS1_EviT_PT9_S7_lS9_S7_lPT10_S7_li,"axG",@progbits,_ZL37rocblas_syrkx_herkx_restricted_kernelIl19rocblas_complex_numIfELi16ELi32ELi8ELi1ELi0ELb0ELc84ELc85EKPKS1_KPS1_EviT_PT9_S7_lS9_S7_lPT10_S7_li,comdat
.Lfunc_end1557:
	.size	_ZL37rocblas_syrkx_herkx_restricted_kernelIl19rocblas_complex_numIfELi16ELi32ELi8ELi1ELi0ELb0ELc84ELc85EKPKS1_KPS1_EviT_PT9_S7_lS9_S7_lPT10_S7_li, .Lfunc_end1557-_ZL37rocblas_syrkx_herkx_restricted_kernelIl19rocblas_complex_numIfELi16ELi32ELi8ELi1ELi0ELb0ELc84ELc85EKPKS1_KPS1_EviT_PT9_S7_lS9_S7_lPT10_S7_li
                                        ; -- End function
	.set _ZL37rocblas_syrkx_herkx_restricted_kernelIl19rocblas_complex_numIfELi16ELi32ELi8ELi1ELi0ELb0ELc84ELc85EKPKS1_KPS1_EviT_PT9_S7_lS9_S7_lPT10_S7_li.num_vgpr, 41
	.set _ZL37rocblas_syrkx_herkx_restricted_kernelIl19rocblas_complex_numIfELi16ELi32ELi8ELi1ELi0ELb0ELc84ELc85EKPKS1_KPS1_EviT_PT9_S7_lS9_S7_lPT10_S7_li.num_agpr, 0
	.set _ZL37rocblas_syrkx_herkx_restricted_kernelIl19rocblas_complex_numIfELi16ELi32ELi8ELi1ELi0ELb0ELc84ELc85EKPKS1_KPS1_EviT_PT9_S7_lS9_S7_lPT10_S7_li.numbered_sgpr, 20
	.set _ZL37rocblas_syrkx_herkx_restricted_kernelIl19rocblas_complex_numIfELi16ELi32ELi8ELi1ELi0ELb0ELc84ELc85EKPKS1_KPS1_EviT_PT9_S7_lS9_S7_lPT10_S7_li.num_named_barrier, 0
	.set _ZL37rocblas_syrkx_herkx_restricted_kernelIl19rocblas_complex_numIfELi16ELi32ELi8ELi1ELi0ELb0ELc84ELc85EKPKS1_KPS1_EviT_PT9_S7_lS9_S7_lPT10_S7_li.private_seg_size, 0
	.set _ZL37rocblas_syrkx_herkx_restricted_kernelIl19rocblas_complex_numIfELi16ELi32ELi8ELi1ELi0ELb0ELc84ELc85EKPKS1_KPS1_EviT_PT9_S7_lS9_S7_lPT10_S7_li.uses_vcc, 1
	.set _ZL37rocblas_syrkx_herkx_restricted_kernelIl19rocblas_complex_numIfELi16ELi32ELi8ELi1ELi0ELb0ELc84ELc85EKPKS1_KPS1_EviT_PT9_S7_lS9_S7_lPT10_S7_li.uses_flat_scratch, 0
	.set _ZL37rocblas_syrkx_herkx_restricted_kernelIl19rocblas_complex_numIfELi16ELi32ELi8ELi1ELi0ELb0ELc84ELc85EKPKS1_KPS1_EviT_PT9_S7_lS9_S7_lPT10_S7_li.has_dyn_sized_stack, 0
	.set _ZL37rocblas_syrkx_herkx_restricted_kernelIl19rocblas_complex_numIfELi16ELi32ELi8ELi1ELi0ELb0ELc84ELc85EKPKS1_KPS1_EviT_PT9_S7_lS9_S7_lPT10_S7_li.has_recursion, 0
	.set _ZL37rocblas_syrkx_herkx_restricted_kernelIl19rocblas_complex_numIfELi16ELi32ELi8ELi1ELi0ELb0ELc84ELc85EKPKS1_KPS1_EviT_PT9_S7_lS9_S7_lPT10_S7_li.has_indirect_call, 0
	.section	.AMDGPU.csdata,"",@progbits
; Kernel info:
; codeLenInByte = 1948
; TotalNumSgprs: 24
; NumVgprs: 41
; ScratchSize: 0
; MemoryBound: 0
; FloatMode: 240
; IeeeMode: 1
; LDSByteSize: 4096 bytes/workgroup (compile time only)
; SGPRBlocks: 2
; VGPRBlocks: 10
; NumSGPRsForWavesPerEU: 24
; NumVGPRsForWavesPerEU: 41
; Occupancy: 5
; WaveLimiterHint : 1
; COMPUTE_PGM_RSRC2:SCRATCH_EN: 0
; COMPUTE_PGM_RSRC2:USER_SGPR: 6
; COMPUTE_PGM_RSRC2:TRAP_HANDLER: 0
; COMPUTE_PGM_RSRC2:TGID_X_EN: 1
; COMPUTE_PGM_RSRC2:TGID_Y_EN: 1
; COMPUTE_PGM_RSRC2:TGID_Z_EN: 1
; COMPUTE_PGM_RSRC2:TIDIG_COMP_CNT: 1
	.section	.text._ZL37rocblas_syrkx_herkx_restricted_kernelIl19rocblas_complex_numIfELi16ELi32ELi8ELi1ELi0ELb0ELc67ELc85EKPKS1_KPS1_EviT_PT9_S7_lS9_S7_lPT10_S7_li,"axG",@progbits,_ZL37rocblas_syrkx_herkx_restricted_kernelIl19rocblas_complex_numIfELi16ELi32ELi8ELi1ELi0ELb0ELc67ELc85EKPKS1_KPS1_EviT_PT9_S7_lS9_S7_lPT10_S7_li,comdat
	.globl	_ZL37rocblas_syrkx_herkx_restricted_kernelIl19rocblas_complex_numIfELi16ELi32ELi8ELi1ELi0ELb0ELc67ELc85EKPKS1_KPS1_EviT_PT9_S7_lS9_S7_lPT10_S7_li ; -- Begin function _ZL37rocblas_syrkx_herkx_restricted_kernelIl19rocblas_complex_numIfELi16ELi32ELi8ELi1ELi0ELb0ELc67ELc85EKPKS1_KPS1_EviT_PT9_S7_lS9_S7_lPT10_S7_li
	.p2align	8
	.type	_ZL37rocblas_syrkx_herkx_restricted_kernelIl19rocblas_complex_numIfELi16ELi32ELi8ELi1ELi0ELb0ELc67ELc85EKPKS1_KPS1_EviT_PT9_S7_lS9_S7_lPT10_S7_li,@function
_ZL37rocblas_syrkx_herkx_restricted_kernelIl19rocblas_complex_numIfELi16ELi32ELi8ELi1ELi0ELb0ELc67ELc85EKPKS1_KPS1_EviT_PT9_S7_lS9_S7_lPT10_S7_li: ; @_ZL37rocblas_syrkx_herkx_restricted_kernelIl19rocblas_complex_numIfELi16ELi32ELi8ELi1ELi0ELb0ELc67ELc85EKPKS1_KPS1_EviT_PT9_S7_lS9_S7_lPT10_S7_li
; %bb.0:
	s_load_dwordx4 s[0:3], s[4:5], 0x40
	s_load_dwordx4 s[12:15], s[4:5], 0x8
	s_mov_b32 s9, 0
	s_lshl_b64 s[10:11], s[8:9], 3
	s_waitcnt lgkmcnt(0)
	s_add_u32 s0, s0, s10
	s_addc_u32 s1, s1, s11
	s_load_dwordx2 s[8:9], s[0:1], 0x0
	v_cmp_lt_i64_e64 s[0:1], s[12:13], 1
	s_lshl_b32 s6, s6, 5
	s_lshl_b32 s7, s7, 5
	s_and_b64 vcc, exec, s[0:1]
	s_cbranch_vccnz .LBB1558_3
; %bb.1:
	s_load_dwordx2 s[0:1], s[4:5], 0x18
	s_load_dwordx4 s[16:19], s[4:5], 0x28
	v_lshl_add_u32 v4, v1, 4, v0
	v_lshrrev_b32_e32 v6, 3, v4
	v_add_u32_e32 v2, s7, v6
	v_ashrrev_i32_e32 v3, 31, v2
	v_and_b32_e32 v10, 7, v0
	v_mov_b32_e32 v11, 0
	s_waitcnt lgkmcnt(0)
	v_mul_lo_u32 v5, s18, v3
	v_mul_lo_u32 v7, s19, v2
	v_mad_u64_u32 v[2:3], s[18:19], s18, v2, v[10:11]
	s_add_u32 s14, s14, s10
	s_addc_u32 s15, s15, s11
	v_add3_u32 v3, v7, v3, v5
	v_and_b32_e32 v7, 31, v4
	v_lshrrev_b32_e32 v4, 5, v4
	v_lshlrev_b32_e32 v8, 3, v7
	v_lshl_or_b32 v18, v4, 8, v8
	v_lshlrev_b32_e32 v8, 3, v10
	v_lshl_or_b32 v6, v6, 6, v8
	v_add_u32_e32 v19, 0x800, v6
	v_add_u32_e32 v6, s6, v7
	s_add_u32 s10, s16, s10
	v_mov_b32_e32 v5, v11
	v_ashrrev_i32_e32 v7, 31, v6
	s_addc_u32 s11, s17, s11
	v_mul_lo_u32 v7, s0, v7
	v_mad_u64_u32 v[4:5], s[16:17], s0, v6, v[4:5]
	v_mul_lo_u32 v6, s1, v6
	s_load_dwordx2 s[14:15], s[14:15], 0x0
	v_lshlrev_b64 v[2:3], 3, v[2:3]
	s_load_dwordx2 s[10:11], s[10:11], 0x0
	v_add3_u32 v5, v6, v5, v7
	v_lshlrev_b64 v[4:5], 3, v[4:5]
	s_waitcnt lgkmcnt(0)
	v_mov_b32_e32 v7, s15
	v_add_co_u32_e32 v6, vcc, s14, v4
	v_mov_b32_e32 v8, 0x800
	v_addc_co_u32_e32 v7, vcc, v7, v5, vcc
	v_lshl_add_u32 v21, v1, 6, v8
	v_mov_b32_e32 v4, s11
	v_add_co_u32_e32 v8, vcc, s10, v2
	v_lshlrev_b32_e32 v20, 3, v0
	v_addc_co_u32_e32 v9, vcc, v4, v3, vcc
	s_mov_b64 s[0:1], 0
	v_mov_b32_e32 v10, v11
	v_mov_b32_e32 v13, v11
	;; [unrolled: 1-line block ×7, first 2 shown]
.LBB1558_2:                             ; =>This Inner Loop Header: Depth=1
	flat_load_dwordx2 v[2:3], v[6:7]
	s_add_u32 s0, s0, 8
	v_add_co_u32_e32 v6, vcc, 64, v6
	s_addc_u32 s1, s1, 0
	v_addc_co_u32_e32 v7, vcc, 0, v7, vcc
	s_waitcnt vmcnt(0) lgkmcnt(0)
	ds_write_b64 v18, v[2:3]
	flat_load_dwordx2 v[2:3], v[8:9]
	v_add_co_u32_e32 v8, vcc, 64, v8
	v_addc_co_u32_e32 v9, vcc, 0, v9, vcc
	s_waitcnt vmcnt(0) lgkmcnt(0)
	ds_write_b64 v19, v[2:3]
	s_waitcnt lgkmcnt(0)
	s_barrier
	ds_read_b128 v[22:25], v21
	ds_read_b128 v[26:29], v21 offset:16
	ds_read_b128 v[30:33], v21 offset:32
	;; [unrolled: 1-line block ×3, first 2 shown]
	ds_read2_b64 v[34:37], v20 offset1:16
	s_waitcnt lgkmcnt(0)
	v_mul_f32_e32 v38, v23, v35
	v_mul_f32_e32 v39, v22, v35
	v_fma_f32 v38, v22, v34, -v38
	v_fmac_f32_e32 v39, v23, v34
	v_add_f32_e32 v38, v16, v38
	v_add_f32_e32 v39, v17, v39
	v_mul_f32_e32 v16, v23, v37
	v_mul_f32_e32 v17, v22, v37
	v_fma_f32 v16, v22, v36, -v16
	v_fmac_f32_e32 v17, v23, v36
	v_add_f32_e32 v22, v14, v16
	v_add_f32_e32 v23, v15, v17
	ds_read_b128 v[14:17], v21 offset:1024
	s_waitcnt lgkmcnt(0)
	v_mul_f32_e32 v40, v15, v35
	v_mul_f32_e32 v35, v14, v35
	v_fma_f32 v40, v14, v34, -v40
	v_fmac_f32_e32 v35, v15, v34
	v_add_f32_e32 v34, v12, v40
	v_add_f32_e32 v35, v13, v35
	v_mul_f32_e32 v12, v15, v37
	v_mul_f32_e32 v13, v14, v37
	v_fma_f32 v12, v14, v36, -v12
	v_fmac_f32_e32 v13, v15, v36
	v_add_f32_e32 v14, v10, v12
	v_add_f32_e32 v15, v11, v13
	ds_read2_b64 v[10:13], v20 offset0:32 offset1:48
	s_waitcnt lgkmcnt(0)
	v_mul_f32_e32 v36, v25, v11
	v_fma_f32 v36, v24, v10, -v36
	v_add_f32_e32 v36, v38, v36
	v_mul_f32_e32 v38, v25, v13
	v_mul_f32_e32 v37, v24, v11
	v_fma_f32 v38, v24, v12, -v38
	v_mul_f32_e32 v24, v24, v13
	v_fmac_f32_e32 v24, v25, v12
	v_add_f32_e32 v23, v23, v24
	v_mul_f32_e32 v24, v17, v11
	v_mul_f32_e32 v11, v16, v11
	v_fmac_f32_e32 v11, v17, v10
	v_fmac_f32_e32 v37, v25, v10
	v_fma_f32 v24, v16, v10, -v24
	v_add_f32_e32 v25, v35, v11
	v_mul_f32_e32 v10, v17, v13
	v_mul_f32_e32 v11, v16, v13
	v_fma_f32 v10, v16, v12, -v10
	v_fmac_f32_e32 v11, v17, v12
	v_add_f32_e32 v24, v34, v24
	v_add_f32_e32 v34, v14, v10
	;; [unrolled: 1-line block ×3, first 2 shown]
	ds_read2_b64 v[10:13], v20 offset0:64 offset1:80
	v_add_f32_e32 v37, v39, v37
	v_add_f32_e32 v22, v22, v38
	s_waitcnt lgkmcnt(0)
	v_mul_f32_e32 v14, v27, v11
	v_mul_f32_e32 v15, v26, v11
	v_fma_f32 v14, v26, v10, -v14
	v_fmac_f32_e32 v15, v27, v10
	v_add_f32_e32 v36, v36, v14
	v_add_f32_e32 v37, v37, v15
	v_mul_f32_e32 v14, v27, v13
	v_mul_f32_e32 v15, v26, v13
	v_fma_f32 v14, v26, v12, -v14
	v_fmac_f32_e32 v15, v27, v12
	v_add_f32_e32 v22, v22, v14
	v_add_f32_e32 v23, v23, v15
	ds_read_b128 v[14:17], v21 offset:1040
	s_waitcnt lgkmcnt(0)
	v_mul_f32_e32 v26, v15, v11
	v_mul_f32_e32 v11, v14, v11
	v_fmac_f32_e32 v11, v15, v10
	v_fma_f32 v26, v14, v10, -v26
	v_add_f32_e32 v25, v25, v11
	v_mul_f32_e32 v10, v15, v13
	v_mul_f32_e32 v11, v14, v13
	v_fma_f32 v10, v14, v12, -v10
	v_fmac_f32_e32 v11, v15, v12
	v_add_f32_e32 v14, v34, v10
	v_add_f32_e32 v15, v35, v11
	ds_read2_b64 v[10:13], v20 offset0:96 offset1:112
	v_add_f32_e32 v24, v24, v26
	s_waitcnt lgkmcnt(0)
	v_mul_f32_e32 v26, v29, v11
	v_mul_f32_e32 v34, v29, v13
	v_fma_f32 v26, v28, v10, -v26
	v_mul_f32_e32 v27, v28, v11
	v_fma_f32 v34, v28, v12, -v34
	v_mul_f32_e32 v28, v28, v13
	v_fmac_f32_e32 v28, v29, v12
	v_add_f32_e32 v23, v23, v28
	v_mul_f32_e32 v28, v17, v11
	v_mul_f32_e32 v11, v16, v11
	v_fmac_f32_e32 v11, v17, v10
	v_fmac_f32_e32 v27, v29, v10
	v_fma_f32 v28, v16, v10, -v28
	v_add_f32_e32 v25, v25, v11
	v_mul_f32_e32 v10, v17, v13
	v_mul_f32_e32 v11, v16, v13
	v_fma_f32 v10, v16, v12, -v10
	v_fmac_f32_e32 v11, v17, v12
	v_add_f32_e32 v24, v24, v28
	v_add_f32_e32 v28, v14, v10
	;; [unrolled: 1-line block ×3, first 2 shown]
	ds_read2_b64 v[10:13], v20 offset0:128 offset1:144
	v_add_f32_e32 v26, v36, v26
	v_add_f32_e32 v27, v37, v27
	;; [unrolled: 1-line block ×3, first 2 shown]
	s_waitcnt lgkmcnt(0)
	v_mul_f32_e32 v14, v31, v11
	v_mul_f32_e32 v15, v30, v11
	v_fma_f32 v14, v30, v10, -v14
	v_fmac_f32_e32 v15, v31, v10
	v_add_f32_e32 v26, v26, v14
	v_add_f32_e32 v27, v27, v15
	v_mul_f32_e32 v14, v31, v13
	v_mul_f32_e32 v15, v30, v13
	v_fma_f32 v14, v30, v12, -v14
	v_fmac_f32_e32 v15, v31, v12
	v_add_f32_e32 v22, v22, v14
	v_add_f32_e32 v23, v23, v15
	ds_read_b128 v[14:17], v21 offset:1056
	s_waitcnt lgkmcnt(0)
	v_mul_f32_e32 v30, v15, v11
	v_mul_f32_e32 v11, v14, v11
	v_fmac_f32_e32 v11, v15, v10
	v_fma_f32 v30, v14, v10, -v30
	v_add_f32_e32 v25, v25, v11
	v_mul_f32_e32 v10, v15, v13
	v_mul_f32_e32 v11, v14, v13
	v_fma_f32 v10, v14, v12, -v10
	v_fmac_f32_e32 v11, v15, v12
	v_add_f32_e32 v14, v28, v10
	v_add_f32_e32 v15, v29, v11
	ds_read2_b64 v[10:13], v20 offset0:160 offset1:176
	v_add_f32_e32 v24, v24, v30
	s_waitcnt lgkmcnt(0)
	v_mul_f32_e32 v28, v33, v11
	v_fma_f32 v28, v32, v10, -v28
	v_mul_f32_e32 v29, v32, v11
	v_add_f32_e32 v26, v26, v28
	v_mul_f32_e32 v28, v33, v13
	v_fmac_f32_e32 v29, v33, v10
	v_fma_f32 v28, v32, v12, -v28
	v_add_f32_e32 v27, v27, v29
	v_mul_f32_e32 v29, v32, v13
	v_add_f32_e32 v22, v22, v28
	v_mul_f32_e32 v28, v17, v11
	v_mul_f32_e32 v11, v16, v11
	v_fmac_f32_e32 v29, v33, v12
	v_fmac_f32_e32 v11, v17, v10
	v_add_f32_e32 v23, v23, v29
	v_fma_f32 v28, v16, v10, -v28
	v_add_f32_e32 v29, v25, v11
	v_mul_f32_e32 v10, v17, v13
	v_mul_f32_e32 v11, v16, v13
	v_fma_f32 v10, v16, v12, -v10
	v_fmac_f32_e32 v11, v17, v12
	v_add_f32_e32 v14, v14, v10
	v_add_f32_e32 v15, v15, v11
	ds_read2_b64 v[10:13], v20 offset0:192 offset1:208
	v_add_f32_e32 v28, v24, v28
	s_waitcnt lgkmcnt(0)
	v_mul_f32_e32 v16, v3, v11
	v_mul_f32_e32 v24, v3, v13
	v_fma_f32 v16, v2, v10, -v16
	v_mul_f32_e32 v17, v2, v11
	v_fma_f32 v24, v2, v12, -v24
	v_mul_f32_e32 v2, v2, v13
	v_fmac_f32_e32 v2, v3, v12
	v_fmac_f32_e32 v17, v3, v10
	v_add_f32_e32 v3, v22, v24
	v_add_f32_e32 v2, v23, v2
	ds_read_b128 v[22:25], v21 offset:1072
	v_add_f32_e32 v16, v26, v16
	v_add_f32_e32 v17, v27, v17
	s_waitcnt lgkmcnt(0)
	v_mul_f32_e32 v26, v23, v11
	v_fma_f32 v26, v22, v10, -v26
	v_mul_f32_e32 v11, v22, v11
	v_fmac_f32_e32 v11, v23, v10
	v_add_f32_e32 v10, v28, v26
	v_mul_f32_e32 v26, v23, v13
	v_fma_f32 v26, v22, v12, -v26
	v_add_f32_e32 v11, v29, v11
	v_mul_f32_e32 v13, v22, v13
	v_add_f32_e32 v22, v14, v26
	ds_read2_b64 v[26:29], v20 offset0:224 offset1:240
	v_fmac_f32_e32 v13, v23, v12
	v_add_f32_e32 v23, v15, v13
	s_waitcnt lgkmcnt(0)
	s_barrier
	v_mul_f32_e32 v12, v5, v27
	v_fma_f32 v12, v4, v26, -v12
	v_add_f32_e32 v16, v16, v12
	v_mul_f32_e32 v12, v5, v29
	v_mul_f32_e32 v13, v4, v27
	v_fma_f32 v12, v4, v28, -v12
	v_mul_f32_e32 v4, v4, v29
	v_fmac_f32_e32 v4, v5, v28
	v_add_f32_e32 v14, v3, v12
	v_add_f32_e32 v15, v2, v4
	v_mul_f32_e32 v2, v25, v27
	v_mul_f32_e32 v3, v24, v27
	v_fmac_f32_e32 v13, v5, v26
	v_fma_f32 v2, v24, v26, -v2
	v_fmac_f32_e32 v3, v25, v26
	v_add_f32_e32 v17, v17, v13
	v_add_f32_e32 v12, v10, v2
	;; [unrolled: 1-line block ×3, first 2 shown]
	v_mul_f32_e32 v2, v25, v29
	v_mul_f32_e32 v3, v24, v29
	v_fma_f32 v2, v24, v28, -v2
	v_fmac_f32_e32 v3, v25, v28
	v_add_f32_e32 v10, v22, v2
	v_add_f32_e32 v11, v23, v3
	v_mov_b32_e32 v3, s1
	v_mov_b32_e32 v2, s0
	v_cmp_le_u64_e32 vcc, s[12:13], v[2:3]
	s_cbranch_vccz .LBB1558_2
	s_branch .LBB1558_4
.LBB1558_3:
	v_mov_b32_e32 v16, 0
	v_mov_b32_e32 v17, 0
	v_mov_b32_e32 v14, 0
	v_mov_b32_e32 v15, 0
	v_mov_b32_e32 v12, 0
	v_mov_b32_e32 v13, 0
	v_mov_b32_e32 v10, 0
	v_mov_b32_e32 v11, 0
.LBB1558_4:
	v_add_u32_e32 v4, s7, v1
	v_ashrrev_i32_e32 v1, 31, v4
	v_mul_lo_u32 v3, s2, v1
	v_mul_lo_u32 v5, s3, v4
	v_mad_u64_u32 v[1:2], s[0:1], s2, v4, 0
	s_load_dword s10, s[4:5], 0x0
	v_add_u32_e32 v0, s6, v0
	v_add3_u32 v2, v2, v3, v5
	v_lshlrev_b64 v[1:2], 3, v[1:2]
	s_waitcnt lgkmcnt(0)
	v_mov_b32_e32 v3, s9
	v_add_co_u32_e64 v5, s[0:1], s8, v1
	v_addc_co_u32_e64 v6, s[0:1], v3, v2, s[0:1]
	v_cmp_gt_i32_e32 vcc, s10, v4
	v_cmp_le_i32_e64 s[0:1], v0, v4
	s_and_b64 s[0:1], vcc, s[0:1]
	s_and_saveexec_b64 s[4:5], s[0:1]
	s_cbranch_execz .LBB1558_6
; %bb.5:
	v_ashrrev_i32_e32 v1, 31, v0
	v_lshlrev_b64 v[1:2], 3, v[0:1]
	v_add_co_u32_e64 v1, s[0:1], v5, v1
	v_addc_co_u32_e64 v2, s[0:1], v6, v2, s[0:1]
	flat_store_dwordx2 v[1:2], v[16:17]
.LBB1558_6:
	s_or_b64 exec, exec, s[4:5]
	v_add_u32_e32 v2, 16, v0
	v_cmp_le_i32_e64 s[0:1], v2, v4
	s_and_b64 s[4:5], vcc, s[0:1]
	s_and_saveexec_b64 s[0:1], s[4:5]
	s_cbranch_execz .LBB1558_8
; %bb.7:
	v_ashrrev_i32_e32 v3, 31, v2
	v_lshlrev_b64 v[7:8], 3, v[2:3]
	v_add_co_u32_e32 v5, vcc, v5, v7
	v_addc_co_u32_e32 v6, vcc, v6, v8, vcc
	flat_store_dwordx2 v[5:6], v[14:15]
.LBB1558_8:
	s_or_b64 exec, exec, s[0:1]
	v_add_u32_e32 v3, 16, v4
	v_ashrrev_i32_e32 v1, 31, v3
	v_mul_lo_u32 v1, s2, v1
	v_mul_lo_u32 v6, s3, v3
	v_mad_u64_u32 v[4:5], s[0:1], s2, v3, 0
	v_cmp_gt_i32_e32 vcc, s10, v3
	v_add3_u32 v5, v5, v1, v6
	v_lshlrev_b64 v[4:5], 3, v[4:5]
	v_mov_b32_e32 v1, s9
	v_add_co_u32_e64 v4, s[0:1], s8, v4
	v_addc_co_u32_e64 v5, s[0:1], v1, v5, s[0:1]
	v_cmp_le_i32_e64 s[0:1], v0, v3
	s_and_b64 s[0:1], vcc, s[0:1]
	s_and_saveexec_b64 s[2:3], s[0:1]
	s_cbranch_execz .LBB1558_10
; %bb.9:
	v_ashrrev_i32_e32 v1, 31, v0
	v_lshlrev_b64 v[0:1], 3, v[0:1]
	v_add_co_u32_e64 v0, s[0:1], v4, v0
	v_addc_co_u32_e64 v1, s[0:1], v5, v1, s[0:1]
	flat_store_dwordx2 v[0:1], v[12:13]
.LBB1558_10:
	s_or_b64 exec, exec, s[2:3]
	v_cmp_le_i32_e64 s[0:1], v2, v3
	s_and_b64 s[0:1], vcc, s[0:1]
	s_and_saveexec_b64 s[2:3], s[0:1]
	s_cbranch_execz .LBB1558_12
; %bb.11:
	v_ashrrev_i32_e32 v3, 31, v2
	v_lshlrev_b64 v[0:1], 3, v[2:3]
	v_add_co_u32_e32 v0, vcc, v4, v0
	v_addc_co_u32_e32 v1, vcc, v5, v1, vcc
	flat_store_dwordx2 v[0:1], v[10:11]
.LBB1558_12:
	s_endpgm
	.section	.rodata,"a",@progbits
	.p2align	6, 0x0
	.amdhsa_kernel _ZL37rocblas_syrkx_herkx_restricted_kernelIl19rocblas_complex_numIfELi16ELi32ELi8ELi1ELi0ELb0ELc67ELc85EKPKS1_KPS1_EviT_PT9_S7_lS9_S7_lPT10_S7_li
		.amdhsa_group_segment_fixed_size 4096
		.amdhsa_private_segment_fixed_size 0
		.amdhsa_kernarg_size 92
		.amdhsa_user_sgpr_count 6
		.amdhsa_user_sgpr_private_segment_buffer 1
		.amdhsa_user_sgpr_dispatch_ptr 0
		.amdhsa_user_sgpr_queue_ptr 0
		.amdhsa_user_sgpr_kernarg_segment_ptr 1
		.amdhsa_user_sgpr_dispatch_id 0
		.amdhsa_user_sgpr_flat_scratch_init 0
		.amdhsa_user_sgpr_private_segment_size 0
		.amdhsa_uses_dynamic_stack 0
		.amdhsa_system_sgpr_private_segment_wavefront_offset 0
		.amdhsa_system_sgpr_workgroup_id_x 1
		.amdhsa_system_sgpr_workgroup_id_y 1
		.amdhsa_system_sgpr_workgroup_id_z 1
		.amdhsa_system_sgpr_workgroup_info 0
		.amdhsa_system_vgpr_workitem_id 1
		.amdhsa_next_free_vgpr 41
		.amdhsa_next_free_sgpr 20
		.amdhsa_reserve_vcc 1
		.amdhsa_reserve_flat_scratch 0
		.amdhsa_float_round_mode_32 0
		.amdhsa_float_round_mode_16_64 0
		.amdhsa_float_denorm_mode_32 3
		.amdhsa_float_denorm_mode_16_64 3
		.amdhsa_dx10_clamp 1
		.amdhsa_ieee_mode 1
		.amdhsa_fp16_overflow 0
		.amdhsa_exception_fp_ieee_invalid_op 0
		.amdhsa_exception_fp_denorm_src 0
		.amdhsa_exception_fp_ieee_div_zero 0
		.amdhsa_exception_fp_ieee_overflow 0
		.amdhsa_exception_fp_ieee_underflow 0
		.amdhsa_exception_fp_ieee_inexact 0
		.amdhsa_exception_int_div_zero 0
	.end_amdhsa_kernel
	.section	.text._ZL37rocblas_syrkx_herkx_restricted_kernelIl19rocblas_complex_numIfELi16ELi32ELi8ELi1ELi0ELb0ELc67ELc85EKPKS1_KPS1_EviT_PT9_S7_lS9_S7_lPT10_S7_li,"axG",@progbits,_ZL37rocblas_syrkx_herkx_restricted_kernelIl19rocblas_complex_numIfELi16ELi32ELi8ELi1ELi0ELb0ELc67ELc85EKPKS1_KPS1_EviT_PT9_S7_lS9_S7_lPT10_S7_li,comdat
.Lfunc_end1558:
	.size	_ZL37rocblas_syrkx_herkx_restricted_kernelIl19rocblas_complex_numIfELi16ELi32ELi8ELi1ELi0ELb0ELc67ELc85EKPKS1_KPS1_EviT_PT9_S7_lS9_S7_lPT10_S7_li, .Lfunc_end1558-_ZL37rocblas_syrkx_herkx_restricted_kernelIl19rocblas_complex_numIfELi16ELi32ELi8ELi1ELi0ELb0ELc67ELc85EKPKS1_KPS1_EviT_PT9_S7_lS9_S7_lPT10_S7_li
                                        ; -- End function
	.set _ZL37rocblas_syrkx_herkx_restricted_kernelIl19rocblas_complex_numIfELi16ELi32ELi8ELi1ELi0ELb0ELc67ELc85EKPKS1_KPS1_EviT_PT9_S7_lS9_S7_lPT10_S7_li.num_vgpr, 41
	.set _ZL37rocblas_syrkx_herkx_restricted_kernelIl19rocblas_complex_numIfELi16ELi32ELi8ELi1ELi0ELb0ELc67ELc85EKPKS1_KPS1_EviT_PT9_S7_lS9_S7_lPT10_S7_li.num_agpr, 0
	.set _ZL37rocblas_syrkx_herkx_restricted_kernelIl19rocblas_complex_numIfELi16ELi32ELi8ELi1ELi0ELb0ELc67ELc85EKPKS1_KPS1_EviT_PT9_S7_lS9_S7_lPT10_S7_li.numbered_sgpr, 20
	.set _ZL37rocblas_syrkx_herkx_restricted_kernelIl19rocblas_complex_numIfELi16ELi32ELi8ELi1ELi0ELb0ELc67ELc85EKPKS1_KPS1_EviT_PT9_S7_lS9_S7_lPT10_S7_li.num_named_barrier, 0
	.set _ZL37rocblas_syrkx_herkx_restricted_kernelIl19rocblas_complex_numIfELi16ELi32ELi8ELi1ELi0ELb0ELc67ELc85EKPKS1_KPS1_EviT_PT9_S7_lS9_S7_lPT10_S7_li.private_seg_size, 0
	.set _ZL37rocblas_syrkx_herkx_restricted_kernelIl19rocblas_complex_numIfELi16ELi32ELi8ELi1ELi0ELb0ELc67ELc85EKPKS1_KPS1_EviT_PT9_S7_lS9_S7_lPT10_S7_li.uses_vcc, 1
	.set _ZL37rocblas_syrkx_herkx_restricted_kernelIl19rocblas_complex_numIfELi16ELi32ELi8ELi1ELi0ELb0ELc67ELc85EKPKS1_KPS1_EviT_PT9_S7_lS9_S7_lPT10_S7_li.uses_flat_scratch, 0
	.set _ZL37rocblas_syrkx_herkx_restricted_kernelIl19rocblas_complex_numIfELi16ELi32ELi8ELi1ELi0ELb0ELc67ELc85EKPKS1_KPS1_EviT_PT9_S7_lS9_S7_lPT10_S7_li.has_dyn_sized_stack, 0
	.set _ZL37rocblas_syrkx_herkx_restricted_kernelIl19rocblas_complex_numIfELi16ELi32ELi8ELi1ELi0ELb0ELc67ELc85EKPKS1_KPS1_EviT_PT9_S7_lS9_S7_lPT10_S7_li.has_recursion, 0
	.set _ZL37rocblas_syrkx_herkx_restricted_kernelIl19rocblas_complex_numIfELi16ELi32ELi8ELi1ELi0ELb0ELc67ELc85EKPKS1_KPS1_EviT_PT9_S7_lS9_S7_lPT10_S7_li.has_indirect_call, 0
	.section	.AMDGPU.csdata,"",@progbits
; Kernel info:
; codeLenInByte = 1948
; TotalNumSgprs: 24
; NumVgprs: 41
; ScratchSize: 0
; MemoryBound: 0
; FloatMode: 240
; IeeeMode: 1
; LDSByteSize: 4096 bytes/workgroup (compile time only)
; SGPRBlocks: 2
; VGPRBlocks: 10
; NumSGPRsForWavesPerEU: 24
; NumVGPRsForWavesPerEU: 41
; Occupancy: 5
; WaveLimiterHint : 1
; COMPUTE_PGM_RSRC2:SCRATCH_EN: 0
; COMPUTE_PGM_RSRC2:USER_SGPR: 6
; COMPUTE_PGM_RSRC2:TRAP_HANDLER: 0
; COMPUTE_PGM_RSRC2:TGID_X_EN: 1
; COMPUTE_PGM_RSRC2:TGID_Y_EN: 1
; COMPUTE_PGM_RSRC2:TGID_Z_EN: 1
; COMPUTE_PGM_RSRC2:TIDIG_COMP_CNT: 1
	.section	.text._ZL37rocblas_syrkx_herkx_restricted_kernelIl19rocblas_complex_numIfELi16ELi32ELi8ELi1ELi0ELb0ELc78ELc85EKPKS1_KPS1_EviT_PT9_S7_lS9_S7_lPT10_S7_li,"axG",@progbits,_ZL37rocblas_syrkx_herkx_restricted_kernelIl19rocblas_complex_numIfELi16ELi32ELi8ELi1ELi0ELb0ELc78ELc85EKPKS1_KPS1_EviT_PT9_S7_lS9_S7_lPT10_S7_li,comdat
	.globl	_ZL37rocblas_syrkx_herkx_restricted_kernelIl19rocblas_complex_numIfELi16ELi32ELi8ELi1ELi0ELb0ELc78ELc85EKPKS1_KPS1_EviT_PT9_S7_lS9_S7_lPT10_S7_li ; -- Begin function _ZL37rocblas_syrkx_herkx_restricted_kernelIl19rocblas_complex_numIfELi16ELi32ELi8ELi1ELi0ELb0ELc78ELc85EKPKS1_KPS1_EviT_PT9_S7_lS9_S7_lPT10_S7_li
	.p2align	8
	.type	_ZL37rocblas_syrkx_herkx_restricted_kernelIl19rocblas_complex_numIfELi16ELi32ELi8ELi1ELi0ELb0ELc78ELc85EKPKS1_KPS1_EviT_PT9_S7_lS9_S7_lPT10_S7_li,@function
_ZL37rocblas_syrkx_herkx_restricted_kernelIl19rocblas_complex_numIfELi16ELi32ELi8ELi1ELi0ELb0ELc78ELc85EKPKS1_KPS1_EviT_PT9_S7_lS9_S7_lPT10_S7_li: ; @_ZL37rocblas_syrkx_herkx_restricted_kernelIl19rocblas_complex_numIfELi16ELi32ELi8ELi1ELi0ELb0ELc78ELc85EKPKS1_KPS1_EviT_PT9_S7_lS9_S7_lPT10_S7_li
; %bb.0:
	s_load_dwordx4 s[0:3], s[4:5], 0x40
	s_load_dwordx4 s[12:15], s[4:5], 0x8
	s_mov_b32 s9, 0
	s_lshl_b64 s[18:19], s[8:9], 3
	s_waitcnt lgkmcnt(0)
	s_add_u32 s0, s0, s18
	s_addc_u32 s1, s1, s19
	s_load_dwordx2 s[16:17], s[0:1], 0x0
	v_cmp_lt_i64_e64 s[0:1], s[12:13], 1
	s_lshl_b32 s20, s6, 5
	s_lshl_b32 s21, s7, 5
	s_and_b64 vcc, exec, s[0:1]
	s_cbranch_vccnz .LBB1559_3
; %bb.1:
	s_load_dwordx2 s[0:1], s[4:5], 0x18
	s_load_dwordx4 s[8:11], s[4:5], 0x28
	v_lshl_add_u32 v5, v1, 4, v0
	v_lshrrev_b32_e32 v7, 3, v5
	v_add_u32_e32 v2, s21, v7
	v_and_b32_e32 v6, 7, v0
	v_ashrrev_i32_e32 v3, 31, v2
	s_waitcnt lgkmcnt(0)
	v_mad_u64_u32 v[2:3], s[6:7], s10, v6, v[2:3]
	s_add_u32 s6, s14, s18
	s_addc_u32 s7, s15, s19
	v_mad_u64_u32 v[3:4], s[14:15], s11, v6, v[3:4]
	v_and_b32_e32 v4, 31, v5
	v_lshrrev_b32_e32 v8, 5, v5
	v_lshlrev_b32_e32 v5, 3, v4
	v_add_u32_e32 v4, s20, v4
	v_lshl_or_b32 v18, v8, 8, v5
	v_ashrrev_i32_e32 v5, 31, v4
	v_mad_u64_u32 v[4:5], s[14:15], s0, v8, v[4:5]
	v_lshlrev_b32_e32 v6, 3, v6
	v_lshl_or_b32 v6, v7, 6, v6
	v_add_u32_e32 v19, 0x800, v6
	v_mad_u64_u32 v[5:6], s[14:15], s1, v8, v[5:6]
	s_load_dwordx2 s[6:7], s[6:7], 0x0
	s_add_u32 s8, s8, s18
	s_addc_u32 s9, s9, s19
	s_load_dwordx2 s[8:9], s[8:9], 0x0
	v_lshlrev_b64 v[4:5], 3, v[4:5]
	v_mov_b32_e32 v6, 0x800
	v_lshl_add_u32 v21, v1, 6, v6
	s_waitcnt lgkmcnt(0)
	v_mov_b32_e32 v7, s7
	v_add_co_u32_e32 v6, vcc, s6, v4
	v_lshlrev_b64 v[2:3], 3, v[2:3]
	v_addc_co_u32_e32 v7, vcc, v7, v5, vcc
	s_lshl_b64 s[0:1], s[0:1], 6
	v_mov_b32_e32 v4, s9
	v_add_co_u32_e32 v8, vcc, s8, v2
	s_lshl_b64 s[6:7], s[10:11], 6
	v_lshlrev_b32_e32 v20, 3, v0
	v_addc_co_u32_e32 v9, vcc, v4, v3, vcc
	v_mov_b32_e32 v11, 0
	s_mov_b64 s[8:9], 0
	v_mov_b32_e32 v22, s1
	v_mov_b32_e32 v23, s7
	;; [unrolled: 1-line block ×9, first 2 shown]
.LBB1559_2:                             ; =>This Inner Loop Header: Depth=1
	flat_load_dwordx2 v[2:3], v[6:7]
	v_add_co_u32_e32 v6, vcc, s0, v6
	s_add_u32 s8, s8, 8
	v_addc_co_u32_e32 v7, vcc, v7, v22, vcc
	s_addc_u32 s9, s9, 0
	s_waitcnt vmcnt(0) lgkmcnt(0)
	ds_write_b64 v18, v[2:3]
	flat_load_dwordx2 v[2:3], v[8:9]
	v_add_co_u32_e32 v8, vcc, s6, v8
	v_addc_co_u32_e32 v9, vcc, v9, v23, vcc
	s_waitcnt vmcnt(0) lgkmcnt(0)
	ds_write_b64 v19, v[2:3]
	s_waitcnt lgkmcnt(0)
	s_barrier
	ds_read_b128 v[24:27], v21
	ds_read_b128 v[28:31], v21 offset:16
	ds_read_b128 v[32:35], v21 offset:32
	ds_read_b128 v[2:5], v21 offset:48
	ds_read2_b64 v[36:39], v20 offset1:16
	s_waitcnt lgkmcnt(0)
	v_mul_f32_e32 v40, v25, v37
	v_mul_f32_e32 v41, v24, v37
	v_fma_f32 v40, v24, v36, -v40
	v_fmac_f32_e32 v41, v25, v36
	v_add_f32_e32 v40, v16, v40
	v_add_f32_e32 v41, v17, v41
	v_mul_f32_e32 v16, v25, v39
	v_mul_f32_e32 v17, v24, v39
	v_fma_f32 v16, v24, v38, -v16
	v_fmac_f32_e32 v17, v25, v38
	v_add_f32_e32 v24, v14, v16
	v_add_f32_e32 v25, v15, v17
	ds_read_b128 v[14:17], v21 offset:1024
	s_waitcnt lgkmcnt(0)
	v_mul_f32_e32 v42, v15, v37
	v_mul_f32_e32 v37, v14, v37
	v_fma_f32 v42, v14, v36, -v42
	v_fmac_f32_e32 v37, v15, v36
	v_add_f32_e32 v36, v12, v42
	v_add_f32_e32 v37, v13, v37
	v_mul_f32_e32 v12, v15, v39
	v_mul_f32_e32 v13, v14, v39
	v_fma_f32 v12, v14, v38, -v12
	v_fmac_f32_e32 v13, v15, v38
	v_add_f32_e32 v14, v10, v12
	v_add_f32_e32 v15, v11, v13
	ds_read2_b64 v[10:13], v20 offset0:32 offset1:48
	s_waitcnt lgkmcnt(0)
	v_mul_f32_e32 v38, v27, v11
	v_fma_f32 v38, v26, v10, -v38
	v_add_f32_e32 v38, v40, v38
	v_mul_f32_e32 v40, v27, v13
	v_mul_f32_e32 v39, v26, v11
	v_fma_f32 v40, v26, v12, -v40
	v_mul_f32_e32 v26, v26, v13
	v_fmac_f32_e32 v26, v27, v12
	v_add_f32_e32 v25, v25, v26
	v_mul_f32_e32 v26, v17, v11
	v_mul_f32_e32 v11, v16, v11
	v_fmac_f32_e32 v11, v17, v10
	v_fmac_f32_e32 v39, v27, v10
	v_fma_f32 v26, v16, v10, -v26
	v_add_f32_e32 v27, v37, v11
	v_mul_f32_e32 v10, v17, v13
	v_mul_f32_e32 v11, v16, v13
	v_fma_f32 v10, v16, v12, -v10
	v_fmac_f32_e32 v11, v17, v12
	v_add_f32_e32 v26, v36, v26
	v_add_f32_e32 v36, v14, v10
	;; [unrolled: 1-line block ×3, first 2 shown]
	ds_read2_b64 v[10:13], v20 offset0:64 offset1:80
	v_add_f32_e32 v39, v41, v39
	v_add_f32_e32 v24, v24, v40
	s_waitcnt lgkmcnt(0)
	v_mul_f32_e32 v14, v29, v11
	v_mul_f32_e32 v15, v28, v11
	v_fma_f32 v14, v28, v10, -v14
	v_fmac_f32_e32 v15, v29, v10
	v_add_f32_e32 v38, v38, v14
	v_add_f32_e32 v39, v39, v15
	v_mul_f32_e32 v14, v29, v13
	v_mul_f32_e32 v15, v28, v13
	v_fma_f32 v14, v28, v12, -v14
	v_fmac_f32_e32 v15, v29, v12
	v_add_f32_e32 v24, v24, v14
	v_add_f32_e32 v25, v25, v15
	ds_read_b128 v[14:17], v21 offset:1040
	s_waitcnt lgkmcnt(0)
	v_mul_f32_e32 v28, v15, v11
	v_mul_f32_e32 v11, v14, v11
	v_fmac_f32_e32 v11, v15, v10
	v_fma_f32 v28, v14, v10, -v28
	v_add_f32_e32 v27, v27, v11
	v_mul_f32_e32 v10, v15, v13
	v_mul_f32_e32 v11, v14, v13
	v_fma_f32 v10, v14, v12, -v10
	v_fmac_f32_e32 v11, v15, v12
	v_add_f32_e32 v14, v36, v10
	v_add_f32_e32 v15, v37, v11
	ds_read2_b64 v[10:13], v20 offset0:96 offset1:112
	v_add_f32_e32 v26, v26, v28
	s_waitcnt lgkmcnt(0)
	v_mul_f32_e32 v28, v31, v11
	v_mul_f32_e32 v36, v31, v13
	v_fma_f32 v28, v30, v10, -v28
	v_mul_f32_e32 v29, v30, v11
	v_fma_f32 v36, v30, v12, -v36
	v_mul_f32_e32 v30, v30, v13
	v_fmac_f32_e32 v30, v31, v12
	v_add_f32_e32 v25, v25, v30
	v_mul_f32_e32 v30, v17, v11
	v_mul_f32_e32 v11, v16, v11
	v_fmac_f32_e32 v11, v17, v10
	v_fmac_f32_e32 v29, v31, v10
	v_fma_f32 v30, v16, v10, -v30
	v_add_f32_e32 v27, v27, v11
	v_mul_f32_e32 v10, v17, v13
	v_mul_f32_e32 v11, v16, v13
	v_fma_f32 v10, v16, v12, -v10
	v_fmac_f32_e32 v11, v17, v12
	v_add_f32_e32 v26, v26, v30
	v_add_f32_e32 v30, v14, v10
	;; [unrolled: 1-line block ×3, first 2 shown]
	ds_read2_b64 v[10:13], v20 offset0:128 offset1:144
	v_add_f32_e32 v28, v38, v28
	v_add_f32_e32 v29, v39, v29
	;; [unrolled: 1-line block ×3, first 2 shown]
	s_waitcnt lgkmcnt(0)
	v_mul_f32_e32 v14, v33, v11
	v_mul_f32_e32 v15, v32, v11
	v_fma_f32 v14, v32, v10, -v14
	v_fmac_f32_e32 v15, v33, v10
	v_add_f32_e32 v28, v28, v14
	v_add_f32_e32 v29, v29, v15
	v_mul_f32_e32 v14, v33, v13
	v_mul_f32_e32 v15, v32, v13
	v_fma_f32 v14, v32, v12, -v14
	v_fmac_f32_e32 v15, v33, v12
	v_add_f32_e32 v24, v24, v14
	v_add_f32_e32 v25, v25, v15
	ds_read_b128 v[14:17], v21 offset:1056
	s_waitcnt lgkmcnt(0)
	v_mul_f32_e32 v32, v15, v11
	v_mul_f32_e32 v11, v14, v11
	v_fmac_f32_e32 v11, v15, v10
	v_fma_f32 v32, v14, v10, -v32
	v_add_f32_e32 v27, v27, v11
	v_mul_f32_e32 v10, v15, v13
	v_mul_f32_e32 v11, v14, v13
	v_fma_f32 v10, v14, v12, -v10
	v_fmac_f32_e32 v11, v15, v12
	v_add_f32_e32 v14, v30, v10
	v_add_f32_e32 v15, v31, v11
	ds_read2_b64 v[10:13], v20 offset0:160 offset1:176
	v_add_f32_e32 v26, v26, v32
	s_waitcnt lgkmcnt(0)
	v_mul_f32_e32 v30, v35, v11
	v_fma_f32 v30, v34, v10, -v30
	v_mul_f32_e32 v31, v34, v11
	v_add_f32_e32 v28, v28, v30
	v_mul_f32_e32 v30, v35, v13
	v_fmac_f32_e32 v31, v35, v10
	v_fma_f32 v30, v34, v12, -v30
	v_add_f32_e32 v29, v29, v31
	v_mul_f32_e32 v31, v34, v13
	v_add_f32_e32 v24, v24, v30
	v_mul_f32_e32 v30, v17, v11
	v_mul_f32_e32 v11, v16, v11
	v_fmac_f32_e32 v31, v35, v12
	v_fmac_f32_e32 v11, v17, v10
	v_add_f32_e32 v25, v25, v31
	v_fma_f32 v30, v16, v10, -v30
	v_add_f32_e32 v31, v27, v11
	v_mul_f32_e32 v10, v17, v13
	v_mul_f32_e32 v11, v16, v13
	v_fma_f32 v10, v16, v12, -v10
	v_fmac_f32_e32 v11, v17, v12
	v_add_f32_e32 v14, v14, v10
	v_add_f32_e32 v15, v15, v11
	ds_read2_b64 v[10:13], v20 offset0:192 offset1:208
	v_add_f32_e32 v30, v26, v30
	s_waitcnt lgkmcnt(0)
	v_mul_f32_e32 v16, v3, v11
	v_mul_f32_e32 v26, v3, v13
	v_fma_f32 v16, v2, v10, -v16
	v_mul_f32_e32 v17, v2, v11
	v_fma_f32 v26, v2, v12, -v26
	v_mul_f32_e32 v2, v2, v13
	v_fmac_f32_e32 v2, v3, v12
	v_fmac_f32_e32 v17, v3, v10
	v_add_f32_e32 v3, v24, v26
	v_add_f32_e32 v2, v25, v2
	ds_read_b128 v[24:27], v21 offset:1072
	v_add_f32_e32 v16, v28, v16
	v_add_f32_e32 v17, v29, v17
	s_waitcnt lgkmcnt(0)
	v_mul_f32_e32 v28, v25, v11
	v_fma_f32 v28, v24, v10, -v28
	v_mul_f32_e32 v11, v24, v11
	v_fmac_f32_e32 v11, v25, v10
	v_add_f32_e32 v10, v30, v28
	v_mul_f32_e32 v28, v25, v13
	v_fma_f32 v28, v24, v12, -v28
	v_add_f32_e32 v11, v31, v11
	v_mul_f32_e32 v13, v24, v13
	v_add_f32_e32 v24, v14, v28
	ds_read2_b64 v[28:31], v20 offset0:224 offset1:240
	v_fmac_f32_e32 v13, v25, v12
	v_add_f32_e32 v25, v15, v13
	s_waitcnt lgkmcnt(0)
	s_barrier
	v_mul_f32_e32 v12, v5, v29
	v_fma_f32 v12, v4, v28, -v12
	v_add_f32_e32 v16, v16, v12
	v_mul_f32_e32 v12, v5, v31
	v_mul_f32_e32 v13, v4, v29
	v_fma_f32 v12, v4, v30, -v12
	v_mul_f32_e32 v4, v4, v31
	v_fmac_f32_e32 v4, v5, v30
	v_add_f32_e32 v14, v3, v12
	v_add_f32_e32 v15, v2, v4
	v_mul_f32_e32 v2, v27, v29
	v_mul_f32_e32 v3, v26, v29
	v_fmac_f32_e32 v13, v5, v28
	v_fma_f32 v2, v26, v28, -v2
	v_fmac_f32_e32 v3, v27, v28
	v_add_f32_e32 v17, v17, v13
	v_add_f32_e32 v12, v10, v2
	;; [unrolled: 1-line block ×3, first 2 shown]
	v_mul_f32_e32 v2, v27, v31
	v_mul_f32_e32 v3, v26, v31
	v_fma_f32 v2, v26, v30, -v2
	v_fmac_f32_e32 v3, v27, v30
	v_add_f32_e32 v10, v24, v2
	v_add_f32_e32 v11, v25, v3
	v_mov_b32_e32 v2, s8
	v_mov_b32_e32 v3, s9
	v_cmp_le_u64_e32 vcc, s[12:13], v[2:3]
	s_cbranch_vccz .LBB1559_2
	s_branch .LBB1559_4
.LBB1559_3:
	v_mov_b32_e32 v16, 0
	v_mov_b32_e32 v17, 0
	;; [unrolled: 1-line block ×8, first 2 shown]
.LBB1559_4:
	v_add_u32_e32 v4, s21, v1
	v_ashrrev_i32_e32 v1, 31, v4
	v_mul_lo_u32 v3, s2, v1
	v_mul_lo_u32 v5, s3, v4
	v_mad_u64_u32 v[1:2], s[0:1], s2, v4, 0
	s_load_dword s6, s[4:5], 0x0
	v_add_u32_e32 v0, s20, v0
	v_add3_u32 v2, v2, v3, v5
	v_lshlrev_b64 v[1:2], 3, v[1:2]
	s_waitcnt lgkmcnt(0)
	v_mov_b32_e32 v3, s17
	v_add_co_u32_e64 v5, s[0:1], s16, v1
	v_addc_co_u32_e64 v6, s[0:1], v3, v2, s[0:1]
	v_cmp_gt_i32_e32 vcc, s6, v4
	v_cmp_le_i32_e64 s[0:1], v0, v4
	s_and_b64 s[0:1], vcc, s[0:1]
	s_and_saveexec_b64 s[4:5], s[0:1]
	s_cbranch_execz .LBB1559_6
; %bb.5:
	v_ashrrev_i32_e32 v1, 31, v0
	v_lshlrev_b64 v[1:2], 3, v[0:1]
	v_add_co_u32_e64 v1, s[0:1], v5, v1
	v_addc_co_u32_e64 v2, s[0:1], v6, v2, s[0:1]
	flat_store_dwordx2 v[1:2], v[16:17]
.LBB1559_6:
	s_or_b64 exec, exec, s[4:5]
	v_add_u32_e32 v2, 16, v0
	v_cmp_le_i32_e64 s[0:1], v2, v4
	s_and_b64 s[4:5], vcc, s[0:1]
	s_and_saveexec_b64 s[0:1], s[4:5]
	s_cbranch_execz .LBB1559_8
; %bb.7:
	v_ashrrev_i32_e32 v3, 31, v2
	v_lshlrev_b64 v[7:8], 3, v[2:3]
	v_add_co_u32_e32 v5, vcc, v5, v7
	v_addc_co_u32_e32 v6, vcc, v6, v8, vcc
	flat_store_dwordx2 v[5:6], v[14:15]
.LBB1559_8:
	s_or_b64 exec, exec, s[0:1]
	v_add_u32_e32 v3, 16, v4
	v_ashrrev_i32_e32 v1, 31, v3
	v_mul_lo_u32 v1, s2, v1
	v_mul_lo_u32 v6, s3, v3
	v_mad_u64_u32 v[4:5], s[0:1], s2, v3, 0
	v_cmp_gt_i32_e32 vcc, s6, v3
	v_add3_u32 v5, v5, v1, v6
	v_lshlrev_b64 v[4:5], 3, v[4:5]
	v_mov_b32_e32 v1, s17
	v_add_co_u32_e64 v4, s[0:1], s16, v4
	v_addc_co_u32_e64 v5, s[0:1], v1, v5, s[0:1]
	v_cmp_le_i32_e64 s[0:1], v0, v3
	s_and_b64 s[0:1], vcc, s[0:1]
	s_and_saveexec_b64 s[2:3], s[0:1]
	s_cbranch_execz .LBB1559_10
; %bb.9:
	v_ashrrev_i32_e32 v1, 31, v0
	v_lshlrev_b64 v[0:1], 3, v[0:1]
	v_add_co_u32_e64 v0, s[0:1], v4, v0
	v_addc_co_u32_e64 v1, s[0:1], v5, v1, s[0:1]
	flat_store_dwordx2 v[0:1], v[12:13]
.LBB1559_10:
	s_or_b64 exec, exec, s[2:3]
	v_cmp_le_i32_e64 s[0:1], v2, v3
	s_and_b64 s[0:1], vcc, s[0:1]
	s_and_saveexec_b64 s[2:3], s[0:1]
	s_cbranch_execz .LBB1559_12
; %bb.11:
	v_ashrrev_i32_e32 v3, 31, v2
	v_lshlrev_b64 v[0:1], 3, v[2:3]
	v_add_co_u32_e32 v0, vcc, v4, v0
	v_addc_co_u32_e32 v1, vcc, v5, v1, vcc
	flat_store_dwordx2 v[0:1], v[10:11]
.LBB1559_12:
	s_endpgm
	.section	.rodata,"a",@progbits
	.p2align	6, 0x0
	.amdhsa_kernel _ZL37rocblas_syrkx_herkx_restricted_kernelIl19rocblas_complex_numIfELi16ELi32ELi8ELi1ELi0ELb0ELc78ELc85EKPKS1_KPS1_EviT_PT9_S7_lS9_S7_lPT10_S7_li
		.amdhsa_group_segment_fixed_size 4096
		.amdhsa_private_segment_fixed_size 0
		.amdhsa_kernarg_size 92
		.amdhsa_user_sgpr_count 6
		.amdhsa_user_sgpr_private_segment_buffer 1
		.amdhsa_user_sgpr_dispatch_ptr 0
		.amdhsa_user_sgpr_queue_ptr 0
		.amdhsa_user_sgpr_kernarg_segment_ptr 1
		.amdhsa_user_sgpr_dispatch_id 0
		.amdhsa_user_sgpr_flat_scratch_init 0
		.amdhsa_user_sgpr_private_segment_size 0
		.amdhsa_uses_dynamic_stack 0
		.amdhsa_system_sgpr_private_segment_wavefront_offset 0
		.amdhsa_system_sgpr_workgroup_id_x 1
		.amdhsa_system_sgpr_workgroup_id_y 1
		.amdhsa_system_sgpr_workgroup_id_z 1
		.amdhsa_system_sgpr_workgroup_info 0
		.amdhsa_system_vgpr_workitem_id 1
		.amdhsa_next_free_vgpr 43
		.amdhsa_next_free_sgpr 22
		.amdhsa_reserve_vcc 1
		.amdhsa_reserve_flat_scratch 0
		.amdhsa_float_round_mode_32 0
		.amdhsa_float_round_mode_16_64 0
		.amdhsa_float_denorm_mode_32 3
		.amdhsa_float_denorm_mode_16_64 3
		.amdhsa_dx10_clamp 1
		.amdhsa_ieee_mode 1
		.amdhsa_fp16_overflow 0
		.amdhsa_exception_fp_ieee_invalid_op 0
		.amdhsa_exception_fp_denorm_src 0
		.amdhsa_exception_fp_ieee_div_zero 0
		.amdhsa_exception_fp_ieee_overflow 0
		.amdhsa_exception_fp_ieee_underflow 0
		.amdhsa_exception_fp_ieee_inexact 0
		.amdhsa_exception_int_div_zero 0
	.end_amdhsa_kernel
	.section	.text._ZL37rocblas_syrkx_herkx_restricted_kernelIl19rocblas_complex_numIfELi16ELi32ELi8ELi1ELi0ELb0ELc78ELc85EKPKS1_KPS1_EviT_PT9_S7_lS9_S7_lPT10_S7_li,"axG",@progbits,_ZL37rocblas_syrkx_herkx_restricted_kernelIl19rocblas_complex_numIfELi16ELi32ELi8ELi1ELi0ELb0ELc78ELc85EKPKS1_KPS1_EviT_PT9_S7_lS9_S7_lPT10_S7_li,comdat
.Lfunc_end1559:
	.size	_ZL37rocblas_syrkx_herkx_restricted_kernelIl19rocblas_complex_numIfELi16ELi32ELi8ELi1ELi0ELb0ELc78ELc85EKPKS1_KPS1_EviT_PT9_S7_lS9_S7_lPT10_S7_li, .Lfunc_end1559-_ZL37rocblas_syrkx_herkx_restricted_kernelIl19rocblas_complex_numIfELi16ELi32ELi8ELi1ELi0ELb0ELc78ELc85EKPKS1_KPS1_EviT_PT9_S7_lS9_S7_lPT10_S7_li
                                        ; -- End function
	.set _ZL37rocblas_syrkx_herkx_restricted_kernelIl19rocblas_complex_numIfELi16ELi32ELi8ELi1ELi0ELb0ELc78ELc85EKPKS1_KPS1_EviT_PT9_S7_lS9_S7_lPT10_S7_li.num_vgpr, 43
	.set _ZL37rocblas_syrkx_herkx_restricted_kernelIl19rocblas_complex_numIfELi16ELi32ELi8ELi1ELi0ELb0ELc78ELc85EKPKS1_KPS1_EviT_PT9_S7_lS9_S7_lPT10_S7_li.num_agpr, 0
	.set _ZL37rocblas_syrkx_herkx_restricted_kernelIl19rocblas_complex_numIfELi16ELi32ELi8ELi1ELi0ELb0ELc78ELc85EKPKS1_KPS1_EviT_PT9_S7_lS9_S7_lPT10_S7_li.numbered_sgpr, 22
	.set _ZL37rocblas_syrkx_herkx_restricted_kernelIl19rocblas_complex_numIfELi16ELi32ELi8ELi1ELi0ELb0ELc78ELc85EKPKS1_KPS1_EviT_PT9_S7_lS9_S7_lPT10_S7_li.num_named_barrier, 0
	.set _ZL37rocblas_syrkx_herkx_restricted_kernelIl19rocblas_complex_numIfELi16ELi32ELi8ELi1ELi0ELb0ELc78ELc85EKPKS1_KPS1_EviT_PT9_S7_lS9_S7_lPT10_S7_li.private_seg_size, 0
	.set _ZL37rocblas_syrkx_herkx_restricted_kernelIl19rocblas_complex_numIfELi16ELi32ELi8ELi1ELi0ELb0ELc78ELc85EKPKS1_KPS1_EviT_PT9_S7_lS9_S7_lPT10_S7_li.uses_vcc, 1
	.set _ZL37rocblas_syrkx_herkx_restricted_kernelIl19rocblas_complex_numIfELi16ELi32ELi8ELi1ELi0ELb0ELc78ELc85EKPKS1_KPS1_EviT_PT9_S7_lS9_S7_lPT10_S7_li.uses_flat_scratch, 0
	.set _ZL37rocblas_syrkx_herkx_restricted_kernelIl19rocblas_complex_numIfELi16ELi32ELi8ELi1ELi0ELb0ELc78ELc85EKPKS1_KPS1_EviT_PT9_S7_lS9_S7_lPT10_S7_li.has_dyn_sized_stack, 0
	.set _ZL37rocblas_syrkx_herkx_restricted_kernelIl19rocblas_complex_numIfELi16ELi32ELi8ELi1ELi0ELb0ELc78ELc85EKPKS1_KPS1_EviT_PT9_S7_lS9_S7_lPT10_S7_li.has_recursion, 0
	.set _ZL37rocblas_syrkx_herkx_restricted_kernelIl19rocblas_complex_numIfELi16ELi32ELi8ELi1ELi0ELb0ELc78ELc85EKPKS1_KPS1_EviT_PT9_S7_lS9_S7_lPT10_S7_li.has_indirect_call, 0
	.section	.AMDGPU.csdata,"",@progbits
; Kernel info:
; codeLenInByte = 1928
; TotalNumSgprs: 26
; NumVgprs: 43
; ScratchSize: 0
; MemoryBound: 0
; FloatMode: 240
; IeeeMode: 1
; LDSByteSize: 4096 bytes/workgroup (compile time only)
; SGPRBlocks: 3
; VGPRBlocks: 10
; NumSGPRsForWavesPerEU: 26
; NumVGPRsForWavesPerEU: 43
; Occupancy: 5
; WaveLimiterHint : 1
; COMPUTE_PGM_RSRC2:SCRATCH_EN: 0
; COMPUTE_PGM_RSRC2:USER_SGPR: 6
; COMPUTE_PGM_RSRC2:TRAP_HANDLER: 0
; COMPUTE_PGM_RSRC2:TGID_X_EN: 1
; COMPUTE_PGM_RSRC2:TGID_Y_EN: 1
; COMPUTE_PGM_RSRC2:TGID_Z_EN: 1
; COMPUTE_PGM_RSRC2:TIDIG_COMP_CNT: 1
	.section	.text._ZL37rocblas_syrkx_herkx_restricted_kernelIl19rocblas_complex_numIfELi16ELi32ELi8ELin1ELi0ELb0ELc84ELc76EKPKS1_KPS1_EviT_PT9_S7_lS9_S7_lPT10_S7_li,"axG",@progbits,_ZL37rocblas_syrkx_herkx_restricted_kernelIl19rocblas_complex_numIfELi16ELi32ELi8ELin1ELi0ELb0ELc84ELc76EKPKS1_KPS1_EviT_PT9_S7_lS9_S7_lPT10_S7_li,comdat
	.globl	_ZL37rocblas_syrkx_herkx_restricted_kernelIl19rocblas_complex_numIfELi16ELi32ELi8ELin1ELi0ELb0ELc84ELc76EKPKS1_KPS1_EviT_PT9_S7_lS9_S7_lPT10_S7_li ; -- Begin function _ZL37rocblas_syrkx_herkx_restricted_kernelIl19rocblas_complex_numIfELi16ELi32ELi8ELin1ELi0ELb0ELc84ELc76EKPKS1_KPS1_EviT_PT9_S7_lS9_S7_lPT10_S7_li
	.p2align	8
	.type	_ZL37rocblas_syrkx_herkx_restricted_kernelIl19rocblas_complex_numIfELi16ELi32ELi8ELin1ELi0ELb0ELc84ELc76EKPKS1_KPS1_EviT_PT9_S7_lS9_S7_lPT10_S7_li,@function
_ZL37rocblas_syrkx_herkx_restricted_kernelIl19rocblas_complex_numIfELi16ELi32ELi8ELin1ELi0ELb0ELc84ELc76EKPKS1_KPS1_EviT_PT9_S7_lS9_S7_lPT10_S7_li: ; @_ZL37rocblas_syrkx_herkx_restricted_kernelIl19rocblas_complex_numIfELi16ELi32ELi8ELin1ELi0ELb0ELc84ELc76EKPKS1_KPS1_EviT_PT9_S7_lS9_S7_lPT10_S7_li
; %bb.0:
	s_load_dwordx4 s[12:15], s[4:5], 0x40
	s_load_dwordx4 s[0:3], s[4:5], 0x8
	s_mov_b32 s9, 0
	s_lshl_b64 s[10:11], s[8:9], 3
	s_waitcnt lgkmcnt(0)
	s_add_u32 s8, s12, s10
	s_addc_u32 s9, s13, s11
	s_load_dwordx2 s[8:9], s[8:9], 0x0
	v_cmp_lt_i64_e64 s[12:13], s[0:1], 1
	s_lshl_b32 s6, s6, 5
	s_lshl_b32 s7, s7, 5
	s_and_b64 vcc, exec, s[12:13]
	s_cbranch_vccnz .LBB1560_3
; %bb.1:
	s_load_dwordx2 s[12:13], s[4:5], 0x18
	s_load_dwordx4 s[16:19], s[4:5], 0x28
	v_lshl_add_u32 v4, v1, 4, v0
	v_lshrrev_b32_e32 v6, 3, v4
	v_add_u32_e32 v2, s7, v6
	v_ashrrev_i32_e32 v3, 31, v2
	v_and_b32_e32 v9, 7, v0
	v_mov_b32_e32 v10, 0
	s_waitcnt lgkmcnt(0)
	v_mul_lo_u32 v5, s18, v3
	v_mul_lo_u32 v7, s19, v2
	v_mad_u64_u32 v[2:3], s[18:19], s18, v2, v[9:10]
	s_add_u32 s2, s2, s10
	s_addc_u32 s3, s3, s11
	v_add3_u32 v3, v7, v3, v5
	v_and_b32_e32 v7, 31, v4
	v_lshrrev_b32_e32 v4, 5, v4
	v_lshlrev_b32_e32 v8, 3, v7
	v_lshl_or_b32 v11, v4, 8, v8
	v_lshlrev_b32_e32 v8, 3, v9
	v_lshl_or_b32 v6, v6, 6, v8
	v_add_u32_e32 v12, 0x800, v6
	v_add_u32_e32 v6, s6, v7
	s_add_u32 s10, s16, s10
	v_mov_b32_e32 v5, v10
	v_ashrrev_i32_e32 v7, 31, v6
	s_addc_u32 s11, s17, s11
	v_mul_lo_u32 v7, s12, v7
	v_mad_u64_u32 v[4:5], s[16:17], s12, v6, v[4:5]
	v_mul_lo_u32 v6, s13, v6
	s_load_dwordx2 s[2:3], s[2:3], 0x0
	v_lshlrev_b64 v[2:3], 3, v[2:3]
	s_load_dwordx2 s[10:11], s[10:11], 0x0
	v_add3_u32 v5, v6, v5, v7
	v_lshlrev_b64 v[4:5], 3, v[4:5]
	s_waitcnt lgkmcnt(0)
	v_mov_b32_e32 v7, s3
	v_add_co_u32_e32 v6, vcc, s2, v4
	v_mov_b32_e32 v8, 0x800
	v_addc_co_u32_e32 v7, vcc, v7, v5, vcc
	v_lshl_add_u32 v14, v1, 6, v8
	v_mov_b32_e32 v4, s11
	v_add_co_u32_e32 v8, vcc, s10, v2
	v_lshlrev_b32_e32 v13, 3, v0
	v_addc_co_u32_e32 v9, vcc, v4, v3, vcc
	s_mov_b64 s[2:3], 0
	v_mov_b32_e32 v15, v10
	v_mov_b32_e32 v16, v10
	;; [unrolled: 1-line block ×7, first 2 shown]
.LBB1560_2:                             ; =>This Inner Loop Header: Depth=1
	flat_load_dwordx2 v[2:3], v[6:7]
	v_add_co_u32_e32 v6, vcc, 64, v6
	s_add_u32 s2, s2, 8
	v_addc_co_u32_e32 v7, vcc, 0, v7, vcc
	s_addc_u32 s3, s3, 0
	s_waitcnt vmcnt(0) lgkmcnt(0)
	ds_write_b64 v11, v[2:3]
	flat_load_dwordx2 v[2:3], v[8:9]
	v_add_co_u32_e32 v8, vcc, 64, v8
	v_addc_co_u32_e32 v9, vcc, 0, v9, vcc
	s_waitcnt vmcnt(0) lgkmcnt(0)
	ds_write_b64 v12, v[2:3]
	s_waitcnt lgkmcnt(0)
	s_barrier
	ds_read_b128 v[22:25], v14
	ds_read_b128 v[26:29], v14 offset:16
	ds_read_b128 v[30:33], v14 offset:32
	;; [unrolled: 1-line block ×3, first 2 shown]
	ds_read2_b64 v[34:37], v13 offset1:16
	s_waitcnt lgkmcnt(0)
	v_mul_f32_e32 v38, v23, v35
	v_mul_f32_e32 v39, v22, v35
	v_fma_f32 v38, v22, v34, -v38
	v_fmac_f32_e32 v39, v23, v34
	v_add_f32_e32 v38, v20, v38
	v_add_f32_e32 v39, v21, v39
	v_mul_f32_e32 v20, v23, v37
	v_mul_f32_e32 v21, v22, v37
	v_fma_f32 v20, v22, v36, -v20
	v_fmac_f32_e32 v21, v23, v36
	v_add_f32_e32 v22, v19, v20
	v_add_f32_e32 v23, v18, v21
	ds_read_b128 v[18:21], v14 offset:1024
	s_waitcnt lgkmcnt(0)
	v_mul_f32_e32 v40, v19, v35
	v_mul_f32_e32 v35, v18, v35
	v_fma_f32 v40, v18, v34, -v40
	v_fmac_f32_e32 v35, v19, v34
	v_add_f32_e32 v34, v17, v40
	v_add_f32_e32 v35, v16, v35
	v_mul_f32_e32 v16, v19, v37
	v_mul_f32_e32 v17, v18, v37
	v_fma_f32 v16, v18, v36, -v16
	v_fmac_f32_e32 v17, v19, v36
	v_add_f32_e32 v19, v15, v16
	v_add_f32_e32 v10, v10, v17
	ds_read2_b64 v[15:18], v13 offset0:32 offset1:48
	s_waitcnt lgkmcnt(0)
	v_mul_f32_e32 v36, v25, v16
	v_fma_f32 v36, v24, v15, -v36
	v_add_f32_e32 v36, v38, v36
	v_mul_f32_e32 v38, v25, v18
	v_mul_f32_e32 v37, v24, v16
	v_fma_f32 v38, v24, v17, -v38
	v_mul_f32_e32 v24, v24, v18
	v_fmac_f32_e32 v24, v25, v17
	v_add_f32_e32 v23, v23, v24
	v_mul_f32_e32 v24, v21, v16
	v_mul_f32_e32 v16, v20, v16
	v_fmac_f32_e32 v16, v21, v15
	v_fmac_f32_e32 v37, v25, v15
	v_fma_f32 v24, v20, v15, -v24
	v_add_f32_e32 v25, v35, v16
	v_mul_f32_e32 v15, v21, v18
	v_mul_f32_e32 v16, v20, v18
	v_fma_f32 v15, v20, v17, -v15
	v_fmac_f32_e32 v16, v21, v17
	v_add_f32_e32 v24, v34, v24
	v_add_f32_e32 v34, v19, v15
	;; [unrolled: 1-line block ×3, first 2 shown]
	ds_read2_b64 v[15:18], v13 offset0:64 offset1:80
	v_add_f32_e32 v37, v39, v37
	v_add_f32_e32 v22, v22, v38
	s_waitcnt lgkmcnt(0)
	v_mul_f32_e32 v19, v27, v16
	v_mul_f32_e32 v20, v26, v16
	v_fma_f32 v19, v26, v15, -v19
	v_fmac_f32_e32 v20, v27, v15
	v_add_f32_e32 v35, v36, v19
	v_add_f32_e32 v36, v37, v20
	v_mul_f32_e32 v19, v27, v18
	v_mul_f32_e32 v20, v26, v18
	v_fma_f32 v19, v26, v17, -v19
	v_fmac_f32_e32 v20, v27, v17
	v_add_f32_e32 v26, v22, v19
	v_add_f32_e32 v23, v23, v20
	ds_read_b128 v[19:22], v14 offset:1040
	s_waitcnt lgkmcnt(0)
	v_mul_f32_e32 v27, v20, v16
	v_mul_f32_e32 v16, v19, v16
	v_fmac_f32_e32 v16, v20, v15
	v_fma_f32 v27, v19, v15, -v27
	v_add_f32_e32 v25, v25, v16
	v_mul_f32_e32 v15, v20, v18
	v_mul_f32_e32 v16, v19, v18
	v_fma_f32 v15, v19, v17, -v15
	v_fmac_f32_e32 v16, v20, v17
	v_add_f32_e32 v19, v34, v15
	v_add_f32_e32 v10, v10, v16
	ds_read2_b64 v[15:18], v13 offset0:96 offset1:112
	v_add_f32_e32 v24, v24, v27
	s_waitcnt lgkmcnt(0)
	v_mul_f32_e32 v20, v29, v16
	v_mul_f32_e32 v34, v29, v18
	v_fma_f32 v20, v28, v15, -v20
	v_mul_f32_e32 v27, v28, v16
	v_fma_f32 v34, v28, v17, -v34
	v_mul_f32_e32 v28, v28, v18
	v_fmac_f32_e32 v28, v29, v17
	v_add_f32_e32 v23, v23, v28
	v_mul_f32_e32 v28, v22, v16
	v_mul_f32_e32 v16, v21, v16
	v_fmac_f32_e32 v16, v22, v15
	v_fmac_f32_e32 v27, v29, v15
	v_fma_f32 v28, v21, v15, -v28
	v_add_f32_e32 v25, v25, v16
	v_mul_f32_e32 v15, v22, v18
	v_mul_f32_e32 v16, v21, v18
	v_fma_f32 v15, v21, v17, -v15
	v_fmac_f32_e32 v16, v22, v17
	v_add_f32_e32 v24, v24, v28
	v_add_f32_e32 v28, v19, v15
	;; [unrolled: 1-line block ×3, first 2 shown]
	ds_read2_b64 v[15:18], v13 offset0:128 offset1:144
	v_add_f32_e32 v20, v35, v20
	v_add_f32_e32 v27, v36, v27
	;; [unrolled: 1-line block ×3, first 2 shown]
	s_waitcnt lgkmcnt(0)
	v_mul_f32_e32 v19, v31, v16
	v_fma_f32 v19, v30, v15, -v19
	v_mul_f32_e32 v21, v30, v16
	v_add_f32_e32 v29, v20, v19
	v_mul_f32_e32 v19, v31, v18
	v_mul_f32_e32 v20, v30, v18
	v_fmac_f32_e32 v21, v31, v15
	v_fma_f32 v19, v30, v17, -v19
	v_fmac_f32_e32 v20, v31, v17
	v_add_f32_e32 v27, v27, v21
	v_add_f32_e32 v26, v26, v19
	;; [unrolled: 1-line block ×3, first 2 shown]
	ds_read_b128 v[19:22], v14 offset:1056
	s_waitcnt lgkmcnt(0)
	v_mul_f32_e32 v30, v20, v16
	v_mul_f32_e32 v16, v19, v16
	v_fmac_f32_e32 v16, v20, v15
	v_fma_f32 v30, v19, v15, -v30
	v_add_f32_e32 v25, v25, v16
	v_mul_f32_e32 v15, v20, v18
	v_mul_f32_e32 v16, v19, v18
	v_fma_f32 v15, v19, v17, -v15
	v_fmac_f32_e32 v16, v20, v17
	v_add_f32_e32 v19, v28, v15
	v_add_f32_e32 v10, v10, v16
	ds_read2_b64 v[15:18], v13 offset0:160 offset1:176
	v_add_f32_e32 v24, v24, v30
	s_waitcnt lgkmcnt(0)
	v_mul_f32_e32 v28, v32, v16
	v_fmac_f32_e32 v28, v33, v15
	v_add_f32_e32 v27, v27, v28
	v_mul_f32_e32 v28, v33, v18
	v_fma_f32 v28, v32, v17, -v28
	v_mul_f32_e32 v20, v33, v16
	v_add_f32_e32 v26, v26, v28
	v_mul_f32_e32 v28, v22, v16
	v_mul_f32_e32 v16, v21, v16
	v_fmac_f32_e32 v16, v22, v15
	v_fma_f32 v20, v32, v15, -v20
	v_fma_f32 v28, v21, v15, -v28
	v_add_f32_e32 v25, v25, v16
	v_mul_f32_e32 v15, v22, v18
	v_mul_f32_e32 v16, v21, v18
	v_add_f32_e32 v20, v29, v20
	v_mul_f32_e32 v29, v32, v18
	v_fma_f32 v15, v21, v17, -v15
	v_fmac_f32_e32 v16, v22, v17
	v_fmac_f32_e32 v29, v33, v17
	v_add_f32_e32 v19, v19, v15
	v_add_f32_e32 v10, v10, v16
	ds_read2_b64 v[15:18], v13 offset0:192 offset1:208
	v_add_f32_e32 v24, v24, v28
	v_add_f32_e32 v23, v23, v29
	s_waitcnt lgkmcnt(0)
	v_mul_f32_e32 v21, v3, v16
	v_fma_f32 v21, v2, v15, -v21
	v_add_f32_e32 v28, v20, v21
	v_mul_f32_e32 v20, v3, v18
	v_mul_f32_e32 v22, v2, v16
	v_fma_f32 v20, v2, v17, -v20
	v_mul_f32_e32 v2, v2, v18
	v_fmac_f32_e32 v22, v3, v15
	v_fmac_f32_e32 v2, v3, v17
	v_add_f32_e32 v29, v27, v22
	v_add_f32_e32 v3, v26, v20
	;; [unrolled: 1-line block ×3, first 2 shown]
	ds_read_b128 v[20:23], v14 offset:1072
	s_waitcnt lgkmcnt(0)
	v_mul_f32_e32 v26, v21, v16
	v_fma_f32 v26, v20, v15, -v26
	v_mul_f32_e32 v16, v20, v16
	v_fmac_f32_e32 v16, v21, v15
	v_add_f32_e32 v15, v24, v26
	v_mul_f32_e32 v24, v21, v18
	v_fma_f32 v24, v20, v17, -v24
	v_add_f32_e32 v16, v25, v16
	v_add_f32_e32 v30, v19, v24
	ds_read2_b64 v[24:27], v13 offset0:224 offset1:240
	v_mul_f32_e32 v18, v20, v18
	v_fmac_f32_e32 v18, v21, v17
	v_add_f32_e32 v10, v10, v18
	s_waitcnt lgkmcnt(0)
	v_mul_f32_e32 v17, v5, v25
	v_fma_f32 v17, v4, v24, -v17
	v_add_f32_e32 v20, v28, v17
	v_mul_f32_e32 v17, v5, v27
	v_mul_f32_e32 v18, v4, v25
	v_fma_f32 v17, v4, v26, -v17
	v_mul_f32_e32 v4, v4, v27
	v_fmac_f32_e32 v18, v5, v24
	v_fmac_f32_e32 v4, v5, v26
	v_add_f32_e32 v21, v29, v18
	v_add_f32_e32 v19, v3, v17
	;; [unrolled: 1-line block ×3, first 2 shown]
	v_mul_f32_e32 v2, v23, v25
	v_mul_f32_e32 v3, v22, v25
	v_fma_f32 v2, v22, v24, -v2
	v_fmac_f32_e32 v3, v23, v24
	v_add_f32_e32 v17, v15, v2
	v_add_f32_e32 v16, v16, v3
	v_mul_f32_e32 v2, v23, v27
	v_mul_f32_e32 v3, v22, v27
	v_fma_f32 v2, v22, v26, -v2
	v_fmac_f32_e32 v3, v23, v26
	v_add_f32_e32 v15, v30, v2
	v_add_f32_e32 v10, v10, v3
	v_mov_b32_e32 v2, s2
	v_mov_b32_e32 v3, s3
	v_cmp_le_u64_e32 vcc, s[0:1], v[2:3]
	s_barrier
	s_cbranch_vccz .LBB1560_2
	s_branch .LBB1560_4
.LBB1560_3:
	v_mov_b32_e32 v20, 0
	v_mov_b32_e32 v21, 0
	;; [unrolled: 1-line block ×8, first 2 shown]
.LBB1560_4:
	v_add_u32_e32 v4, s7, v1
	v_ashrrev_i32_e32 v1, 31, v4
	v_mul_lo_u32 v3, s14, v1
	v_mul_lo_u32 v5, s15, v4
	v_mad_u64_u32 v[1:2], s[0:1], s14, v4, 0
	s_load_dword s4, s[4:5], 0x0
	v_add_u32_e32 v0, s6, v0
	v_add3_u32 v2, v2, v3, v5
	v_lshlrev_b64 v[1:2], 3, v[1:2]
	s_waitcnt lgkmcnt(0)
	v_mov_b32_e32 v3, s9
	v_add_co_u32_e32 v5, vcc, s8, v1
	v_addc_co_u32_e32 v6, vcc, v3, v2, vcc
	v_cmp_le_i32_e64 s[0:1], v4, v0
	v_cmp_gt_i32_e32 vcc, s4, v0
	s_and_b64 s[0:1], s[0:1], vcc
	s_and_saveexec_b64 s[2:3], s[0:1]
	s_cbranch_execz .LBB1560_6
; %bb.5:
	v_ashrrev_i32_e32 v1, 31, v0
	v_lshlrev_b64 v[7:8], 3, v[0:1]
	v_xor_b32_e32 v2, 0x80000000, v20
	v_add_co_u32_e64 v7, s[0:1], v5, v7
	v_xor_b32_e32 v3, 0x80000000, v21
	v_addc_co_u32_e64 v8, s[0:1], v6, v8, s[0:1]
	flat_store_dwordx2 v[7:8], v[2:3]
.LBB1560_6:
	s_or_b64 exec, exec, s[2:3]
	v_add_u32_e32 v2, 16, v0
	v_cmp_le_i32_e64 s[2:3], v4, v2
	v_cmp_gt_i32_e64 s[0:1], s4, v2
	s_and_b64 s[2:3], s[2:3], s[0:1]
	s_and_saveexec_b64 s[4:5], s[2:3]
	s_cbranch_execz .LBB1560_8
; %bb.7:
	v_ashrrev_i32_e32 v3, 31, v2
	v_lshlrev_b64 v[11:12], 3, v[2:3]
	v_xor_b32_e32 v7, 0x80000000, v19
	v_add_co_u32_e64 v5, s[2:3], v5, v11
	v_xor_b32_e32 v8, 0x80000000, v18
	v_addc_co_u32_e64 v6, s[2:3], v6, v12, s[2:3]
	flat_store_dwordx2 v[5:6], v[7:8]
.LBB1560_8:
	s_or_b64 exec, exec, s[4:5]
	v_add_u32_e32 v3, 16, v4
	v_ashrrev_i32_e32 v1, 31, v3
	v_mul_lo_u32 v6, s15, v3
	v_mad_u64_u32 v[4:5], s[2:3], s14, v3, 0
	v_mul_lo_u32 v1, s14, v1
	v_add3_u32 v5, v5, v1, v6
	v_lshlrev_b64 v[4:5], 3, v[4:5]
	v_mov_b32_e32 v1, s9
	v_add_co_u32_e64 v4, s[2:3], s8, v4
	v_addc_co_u32_e64 v5, s[2:3], v1, v5, s[2:3]
	v_cmp_le_i32_e64 s[2:3], v3, v0
	s_and_b64 s[4:5], s[2:3], vcc
	s_and_saveexec_b64 s[2:3], s[4:5]
	s_cbranch_execz .LBB1560_10
; %bb.9:
	v_ashrrev_i32_e32 v1, 31, v0
	v_lshlrev_b64 v[0:1], 3, v[0:1]
	v_xor_b32_e32 v6, 0x80000000, v17
	v_add_co_u32_e32 v0, vcc, v4, v0
	v_xor_b32_e32 v7, 0x80000000, v16
	v_addc_co_u32_e32 v1, vcc, v5, v1, vcc
	flat_store_dwordx2 v[0:1], v[6:7]
.LBB1560_10:
	s_or_b64 exec, exec, s[2:3]
	v_cmp_le_i32_e32 vcc, v3, v2
	s_and_b64 s[0:1], vcc, s[0:1]
	s_and_saveexec_b64 s[2:3], s[0:1]
	s_cbranch_execz .LBB1560_12
; %bb.11:
	v_ashrrev_i32_e32 v3, 31, v2
	v_lshlrev_b64 v[2:3], 3, v[2:3]
	v_xor_b32_e32 v0, 0x80000000, v15
	v_add_co_u32_e32 v2, vcc, v4, v2
	v_xor_b32_e32 v1, 0x80000000, v10
	v_addc_co_u32_e32 v3, vcc, v5, v3, vcc
	flat_store_dwordx2 v[2:3], v[0:1]
.LBB1560_12:
	s_endpgm
	.section	.rodata,"a",@progbits
	.p2align	6, 0x0
	.amdhsa_kernel _ZL37rocblas_syrkx_herkx_restricted_kernelIl19rocblas_complex_numIfELi16ELi32ELi8ELin1ELi0ELb0ELc84ELc76EKPKS1_KPS1_EviT_PT9_S7_lS9_S7_lPT10_S7_li
		.amdhsa_group_segment_fixed_size 4096
		.amdhsa_private_segment_fixed_size 0
		.amdhsa_kernarg_size 92
		.amdhsa_user_sgpr_count 6
		.amdhsa_user_sgpr_private_segment_buffer 1
		.amdhsa_user_sgpr_dispatch_ptr 0
		.amdhsa_user_sgpr_queue_ptr 0
		.amdhsa_user_sgpr_kernarg_segment_ptr 1
		.amdhsa_user_sgpr_dispatch_id 0
		.amdhsa_user_sgpr_flat_scratch_init 0
		.amdhsa_user_sgpr_private_segment_size 0
		.amdhsa_uses_dynamic_stack 0
		.amdhsa_system_sgpr_private_segment_wavefront_offset 0
		.amdhsa_system_sgpr_workgroup_id_x 1
		.amdhsa_system_sgpr_workgroup_id_y 1
		.amdhsa_system_sgpr_workgroup_id_z 1
		.amdhsa_system_sgpr_workgroup_info 0
		.amdhsa_system_vgpr_workitem_id 1
		.amdhsa_next_free_vgpr 41
		.amdhsa_next_free_sgpr 20
		.amdhsa_reserve_vcc 1
		.amdhsa_reserve_flat_scratch 0
		.amdhsa_float_round_mode_32 0
		.amdhsa_float_round_mode_16_64 0
		.amdhsa_float_denorm_mode_32 3
		.amdhsa_float_denorm_mode_16_64 3
		.amdhsa_dx10_clamp 1
		.amdhsa_ieee_mode 1
		.amdhsa_fp16_overflow 0
		.amdhsa_exception_fp_ieee_invalid_op 0
		.amdhsa_exception_fp_denorm_src 0
		.amdhsa_exception_fp_ieee_div_zero 0
		.amdhsa_exception_fp_ieee_overflow 0
		.amdhsa_exception_fp_ieee_underflow 0
		.amdhsa_exception_fp_ieee_inexact 0
		.amdhsa_exception_int_div_zero 0
	.end_amdhsa_kernel
	.section	.text._ZL37rocblas_syrkx_herkx_restricted_kernelIl19rocblas_complex_numIfELi16ELi32ELi8ELin1ELi0ELb0ELc84ELc76EKPKS1_KPS1_EviT_PT9_S7_lS9_S7_lPT10_S7_li,"axG",@progbits,_ZL37rocblas_syrkx_herkx_restricted_kernelIl19rocblas_complex_numIfELi16ELi32ELi8ELin1ELi0ELb0ELc84ELc76EKPKS1_KPS1_EviT_PT9_S7_lS9_S7_lPT10_S7_li,comdat
.Lfunc_end1560:
	.size	_ZL37rocblas_syrkx_herkx_restricted_kernelIl19rocblas_complex_numIfELi16ELi32ELi8ELin1ELi0ELb0ELc84ELc76EKPKS1_KPS1_EviT_PT9_S7_lS9_S7_lPT10_S7_li, .Lfunc_end1560-_ZL37rocblas_syrkx_herkx_restricted_kernelIl19rocblas_complex_numIfELi16ELi32ELi8ELin1ELi0ELb0ELc84ELc76EKPKS1_KPS1_EviT_PT9_S7_lS9_S7_lPT10_S7_li
                                        ; -- End function
	.set _ZL37rocblas_syrkx_herkx_restricted_kernelIl19rocblas_complex_numIfELi16ELi32ELi8ELin1ELi0ELb0ELc84ELc76EKPKS1_KPS1_EviT_PT9_S7_lS9_S7_lPT10_S7_li.num_vgpr, 41
	.set _ZL37rocblas_syrkx_herkx_restricted_kernelIl19rocblas_complex_numIfELi16ELi32ELi8ELin1ELi0ELb0ELc84ELc76EKPKS1_KPS1_EviT_PT9_S7_lS9_S7_lPT10_S7_li.num_agpr, 0
	.set _ZL37rocblas_syrkx_herkx_restricted_kernelIl19rocblas_complex_numIfELi16ELi32ELi8ELin1ELi0ELb0ELc84ELc76EKPKS1_KPS1_EviT_PT9_S7_lS9_S7_lPT10_S7_li.numbered_sgpr, 20
	.set _ZL37rocblas_syrkx_herkx_restricted_kernelIl19rocblas_complex_numIfELi16ELi32ELi8ELin1ELi0ELb0ELc84ELc76EKPKS1_KPS1_EviT_PT9_S7_lS9_S7_lPT10_S7_li.num_named_barrier, 0
	.set _ZL37rocblas_syrkx_herkx_restricted_kernelIl19rocblas_complex_numIfELi16ELi32ELi8ELin1ELi0ELb0ELc84ELc76EKPKS1_KPS1_EviT_PT9_S7_lS9_S7_lPT10_S7_li.private_seg_size, 0
	.set _ZL37rocblas_syrkx_herkx_restricted_kernelIl19rocblas_complex_numIfELi16ELi32ELi8ELin1ELi0ELb0ELc84ELc76EKPKS1_KPS1_EviT_PT9_S7_lS9_S7_lPT10_S7_li.uses_vcc, 1
	.set _ZL37rocblas_syrkx_herkx_restricted_kernelIl19rocblas_complex_numIfELi16ELi32ELi8ELin1ELi0ELb0ELc84ELc76EKPKS1_KPS1_EviT_PT9_S7_lS9_S7_lPT10_S7_li.uses_flat_scratch, 0
	.set _ZL37rocblas_syrkx_herkx_restricted_kernelIl19rocblas_complex_numIfELi16ELi32ELi8ELin1ELi0ELb0ELc84ELc76EKPKS1_KPS1_EviT_PT9_S7_lS9_S7_lPT10_S7_li.has_dyn_sized_stack, 0
	.set _ZL37rocblas_syrkx_herkx_restricted_kernelIl19rocblas_complex_numIfELi16ELi32ELi8ELin1ELi0ELb0ELc84ELc76EKPKS1_KPS1_EviT_PT9_S7_lS9_S7_lPT10_S7_li.has_recursion, 0
	.set _ZL37rocblas_syrkx_herkx_restricted_kernelIl19rocblas_complex_numIfELi16ELi32ELi8ELin1ELi0ELb0ELc84ELc76EKPKS1_KPS1_EviT_PT9_S7_lS9_S7_lPT10_S7_li.has_indirect_call, 0
	.section	.AMDGPU.csdata,"",@progbits
; Kernel info:
; codeLenInByte = 2004
; TotalNumSgprs: 24
; NumVgprs: 41
; ScratchSize: 0
; MemoryBound: 0
; FloatMode: 240
; IeeeMode: 1
; LDSByteSize: 4096 bytes/workgroup (compile time only)
; SGPRBlocks: 2
; VGPRBlocks: 10
; NumSGPRsForWavesPerEU: 24
; NumVGPRsForWavesPerEU: 41
; Occupancy: 5
; WaveLimiterHint : 1
; COMPUTE_PGM_RSRC2:SCRATCH_EN: 0
; COMPUTE_PGM_RSRC2:USER_SGPR: 6
; COMPUTE_PGM_RSRC2:TRAP_HANDLER: 0
; COMPUTE_PGM_RSRC2:TGID_X_EN: 1
; COMPUTE_PGM_RSRC2:TGID_Y_EN: 1
; COMPUTE_PGM_RSRC2:TGID_Z_EN: 1
; COMPUTE_PGM_RSRC2:TIDIG_COMP_CNT: 1
	.section	.text._ZL37rocblas_syrkx_herkx_restricted_kernelIl19rocblas_complex_numIfELi16ELi32ELi8ELin1ELi0ELb0ELc67ELc76EKPKS1_KPS1_EviT_PT9_S7_lS9_S7_lPT10_S7_li,"axG",@progbits,_ZL37rocblas_syrkx_herkx_restricted_kernelIl19rocblas_complex_numIfELi16ELi32ELi8ELin1ELi0ELb0ELc67ELc76EKPKS1_KPS1_EviT_PT9_S7_lS9_S7_lPT10_S7_li,comdat
	.globl	_ZL37rocblas_syrkx_herkx_restricted_kernelIl19rocblas_complex_numIfELi16ELi32ELi8ELin1ELi0ELb0ELc67ELc76EKPKS1_KPS1_EviT_PT9_S7_lS9_S7_lPT10_S7_li ; -- Begin function _ZL37rocblas_syrkx_herkx_restricted_kernelIl19rocblas_complex_numIfELi16ELi32ELi8ELin1ELi0ELb0ELc67ELc76EKPKS1_KPS1_EviT_PT9_S7_lS9_S7_lPT10_S7_li
	.p2align	8
	.type	_ZL37rocblas_syrkx_herkx_restricted_kernelIl19rocblas_complex_numIfELi16ELi32ELi8ELin1ELi0ELb0ELc67ELc76EKPKS1_KPS1_EviT_PT9_S7_lS9_S7_lPT10_S7_li,@function
_ZL37rocblas_syrkx_herkx_restricted_kernelIl19rocblas_complex_numIfELi16ELi32ELi8ELin1ELi0ELb0ELc67ELc76EKPKS1_KPS1_EviT_PT9_S7_lS9_S7_lPT10_S7_li: ; @_ZL37rocblas_syrkx_herkx_restricted_kernelIl19rocblas_complex_numIfELi16ELi32ELi8ELin1ELi0ELb0ELc67ELc76EKPKS1_KPS1_EviT_PT9_S7_lS9_S7_lPT10_S7_li
; %bb.0:
	s_load_dwordx4 s[12:15], s[4:5], 0x40
	s_load_dwordx4 s[0:3], s[4:5], 0x8
	s_mov_b32 s9, 0
	s_lshl_b64 s[10:11], s[8:9], 3
	s_waitcnt lgkmcnt(0)
	s_add_u32 s8, s12, s10
	s_addc_u32 s9, s13, s11
	s_load_dwordx2 s[8:9], s[8:9], 0x0
	v_cmp_lt_i64_e64 s[12:13], s[0:1], 1
	s_lshl_b32 s6, s6, 5
	s_lshl_b32 s7, s7, 5
	s_and_b64 vcc, exec, s[12:13]
	s_cbranch_vccnz .LBB1561_3
; %bb.1:
	s_load_dwordx2 s[12:13], s[4:5], 0x18
	s_load_dwordx4 s[16:19], s[4:5], 0x28
	v_lshl_add_u32 v4, v1, 4, v0
	v_lshrrev_b32_e32 v6, 3, v4
	v_add_u32_e32 v2, s7, v6
	v_ashrrev_i32_e32 v3, 31, v2
	v_and_b32_e32 v9, 7, v0
	v_mov_b32_e32 v10, 0
	s_waitcnt lgkmcnt(0)
	v_mul_lo_u32 v5, s18, v3
	v_mul_lo_u32 v7, s19, v2
	v_mad_u64_u32 v[2:3], s[18:19], s18, v2, v[9:10]
	s_add_u32 s2, s2, s10
	s_addc_u32 s3, s3, s11
	v_add3_u32 v3, v7, v3, v5
	v_and_b32_e32 v7, 31, v4
	v_lshrrev_b32_e32 v4, 5, v4
	v_lshlrev_b32_e32 v8, 3, v7
	v_lshl_or_b32 v11, v4, 8, v8
	v_lshlrev_b32_e32 v8, 3, v9
	v_lshl_or_b32 v6, v6, 6, v8
	v_add_u32_e32 v12, 0x800, v6
	v_add_u32_e32 v6, s6, v7
	s_add_u32 s10, s16, s10
	v_mov_b32_e32 v5, v10
	v_ashrrev_i32_e32 v7, 31, v6
	s_addc_u32 s11, s17, s11
	v_mul_lo_u32 v7, s12, v7
	v_mad_u64_u32 v[4:5], s[16:17], s12, v6, v[4:5]
	v_mul_lo_u32 v6, s13, v6
	s_load_dwordx2 s[2:3], s[2:3], 0x0
	v_lshlrev_b64 v[2:3], 3, v[2:3]
	s_load_dwordx2 s[10:11], s[10:11], 0x0
	v_add3_u32 v5, v6, v5, v7
	v_lshlrev_b64 v[4:5], 3, v[4:5]
	s_waitcnt lgkmcnt(0)
	v_mov_b32_e32 v7, s3
	v_add_co_u32_e32 v6, vcc, s2, v4
	v_mov_b32_e32 v8, 0x800
	v_addc_co_u32_e32 v7, vcc, v7, v5, vcc
	v_lshl_add_u32 v14, v1, 6, v8
	v_mov_b32_e32 v4, s11
	v_add_co_u32_e32 v8, vcc, s10, v2
	v_lshlrev_b32_e32 v13, 3, v0
	v_addc_co_u32_e32 v9, vcc, v4, v3, vcc
	s_mov_b64 s[2:3], 0
	v_mov_b32_e32 v15, v10
	v_mov_b32_e32 v16, v10
	;; [unrolled: 1-line block ×7, first 2 shown]
.LBB1561_2:                             ; =>This Inner Loop Header: Depth=1
	flat_load_dwordx2 v[2:3], v[6:7]
	v_add_co_u32_e32 v6, vcc, 64, v6
	s_add_u32 s2, s2, 8
	v_addc_co_u32_e32 v7, vcc, 0, v7, vcc
	s_addc_u32 s3, s3, 0
	s_waitcnt vmcnt(0) lgkmcnt(0)
	ds_write_b64 v11, v[2:3]
	flat_load_dwordx2 v[2:3], v[8:9]
	v_add_co_u32_e32 v8, vcc, 64, v8
	v_addc_co_u32_e32 v9, vcc, 0, v9, vcc
	s_waitcnt vmcnt(0) lgkmcnt(0)
	ds_write_b64 v12, v[2:3]
	s_waitcnt lgkmcnt(0)
	s_barrier
	ds_read_b128 v[22:25], v14
	ds_read_b128 v[26:29], v14 offset:16
	ds_read_b128 v[30:33], v14 offset:32
	;; [unrolled: 1-line block ×3, first 2 shown]
	ds_read2_b64 v[34:37], v13 offset1:16
	s_waitcnt lgkmcnt(0)
	v_mul_f32_e32 v38, v23, v35
	v_mul_f32_e32 v39, v22, v35
	v_fma_f32 v38, v22, v34, -v38
	v_fmac_f32_e32 v39, v23, v34
	v_add_f32_e32 v38, v20, v38
	v_add_f32_e32 v39, v21, v39
	v_mul_f32_e32 v20, v23, v37
	v_mul_f32_e32 v21, v22, v37
	v_fma_f32 v20, v22, v36, -v20
	v_fmac_f32_e32 v21, v23, v36
	v_add_f32_e32 v22, v19, v20
	v_add_f32_e32 v23, v18, v21
	ds_read_b128 v[18:21], v14 offset:1024
	s_waitcnt lgkmcnt(0)
	v_mul_f32_e32 v40, v19, v35
	v_mul_f32_e32 v35, v18, v35
	v_fma_f32 v40, v18, v34, -v40
	v_fmac_f32_e32 v35, v19, v34
	v_add_f32_e32 v34, v17, v40
	v_add_f32_e32 v35, v16, v35
	v_mul_f32_e32 v16, v19, v37
	v_mul_f32_e32 v17, v18, v37
	v_fma_f32 v16, v18, v36, -v16
	v_fmac_f32_e32 v17, v19, v36
	v_add_f32_e32 v19, v15, v16
	v_add_f32_e32 v10, v10, v17
	ds_read2_b64 v[15:18], v13 offset0:32 offset1:48
	s_waitcnt lgkmcnt(0)
	v_mul_f32_e32 v36, v25, v16
	v_fma_f32 v36, v24, v15, -v36
	v_add_f32_e32 v36, v38, v36
	v_mul_f32_e32 v38, v25, v18
	v_mul_f32_e32 v37, v24, v16
	v_fma_f32 v38, v24, v17, -v38
	v_mul_f32_e32 v24, v24, v18
	v_fmac_f32_e32 v24, v25, v17
	v_add_f32_e32 v23, v23, v24
	v_mul_f32_e32 v24, v21, v16
	v_mul_f32_e32 v16, v20, v16
	v_fmac_f32_e32 v16, v21, v15
	v_fmac_f32_e32 v37, v25, v15
	v_fma_f32 v24, v20, v15, -v24
	v_add_f32_e32 v25, v35, v16
	v_mul_f32_e32 v15, v21, v18
	v_mul_f32_e32 v16, v20, v18
	v_fma_f32 v15, v20, v17, -v15
	v_fmac_f32_e32 v16, v21, v17
	v_add_f32_e32 v24, v34, v24
	v_add_f32_e32 v34, v19, v15
	;; [unrolled: 1-line block ×3, first 2 shown]
	ds_read2_b64 v[15:18], v13 offset0:64 offset1:80
	v_add_f32_e32 v37, v39, v37
	v_add_f32_e32 v22, v22, v38
	s_waitcnt lgkmcnt(0)
	v_mul_f32_e32 v19, v27, v16
	v_mul_f32_e32 v20, v26, v16
	v_fma_f32 v19, v26, v15, -v19
	v_fmac_f32_e32 v20, v27, v15
	v_add_f32_e32 v35, v36, v19
	v_add_f32_e32 v36, v37, v20
	v_mul_f32_e32 v19, v27, v18
	v_mul_f32_e32 v20, v26, v18
	v_fma_f32 v19, v26, v17, -v19
	v_fmac_f32_e32 v20, v27, v17
	v_add_f32_e32 v26, v22, v19
	v_add_f32_e32 v23, v23, v20
	ds_read_b128 v[19:22], v14 offset:1040
	s_waitcnt lgkmcnt(0)
	v_mul_f32_e32 v27, v20, v16
	v_mul_f32_e32 v16, v19, v16
	v_fmac_f32_e32 v16, v20, v15
	v_fma_f32 v27, v19, v15, -v27
	v_add_f32_e32 v25, v25, v16
	v_mul_f32_e32 v15, v20, v18
	v_mul_f32_e32 v16, v19, v18
	v_fma_f32 v15, v19, v17, -v15
	v_fmac_f32_e32 v16, v20, v17
	v_add_f32_e32 v19, v34, v15
	v_add_f32_e32 v10, v10, v16
	ds_read2_b64 v[15:18], v13 offset0:96 offset1:112
	v_add_f32_e32 v24, v24, v27
	s_waitcnt lgkmcnt(0)
	v_mul_f32_e32 v20, v29, v16
	v_mul_f32_e32 v34, v29, v18
	v_fma_f32 v20, v28, v15, -v20
	v_mul_f32_e32 v27, v28, v16
	v_fma_f32 v34, v28, v17, -v34
	v_mul_f32_e32 v28, v28, v18
	v_fmac_f32_e32 v28, v29, v17
	v_add_f32_e32 v23, v23, v28
	v_mul_f32_e32 v28, v22, v16
	v_mul_f32_e32 v16, v21, v16
	v_fmac_f32_e32 v16, v22, v15
	v_fmac_f32_e32 v27, v29, v15
	v_fma_f32 v28, v21, v15, -v28
	v_add_f32_e32 v25, v25, v16
	v_mul_f32_e32 v15, v22, v18
	v_mul_f32_e32 v16, v21, v18
	v_fma_f32 v15, v21, v17, -v15
	v_fmac_f32_e32 v16, v22, v17
	v_add_f32_e32 v24, v24, v28
	v_add_f32_e32 v28, v19, v15
	;; [unrolled: 1-line block ×3, first 2 shown]
	ds_read2_b64 v[15:18], v13 offset0:128 offset1:144
	v_add_f32_e32 v20, v35, v20
	v_add_f32_e32 v27, v36, v27
	;; [unrolled: 1-line block ×3, first 2 shown]
	s_waitcnt lgkmcnt(0)
	v_mul_f32_e32 v19, v31, v16
	v_fma_f32 v19, v30, v15, -v19
	v_mul_f32_e32 v21, v30, v16
	v_add_f32_e32 v29, v20, v19
	v_mul_f32_e32 v19, v31, v18
	v_mul_f32_e32 v20, v30, v18
	v_fmac_f32_e32 v21, v31, v15
	v_fma_f32 v19, v30, v17, -v19
	v_fmac_f32_e32 v20, v31, v17
	v_add_f32_e32 v27, v27, v21
	v_add_f32_e32 v26, v26, v19
	;; [unrolled: 1-line block ×3, first 2 shown]
	ds_read_b128 v[19:22], v14 offset:1056
	s_waitcnt lgkmcnt(0)
	v_mul_f32_e32 v30, v20, v16
	v_mul_f32_e32 v16, v19, v16
	v_fmac_f32_e32 v16, v20, v15
	v_fma_f32 v30, v19, v15, -v30
	v_add_f32_e32 v25, v25, v16
	v_mul_f32_e32 v15, v20, v18
	v_mul_f32_e32 v16, v19, v18
	v_fma_f32 v15, v19, v17, -v15
	v_fmac_f32_e32 v16, v20, v17
	v_add_f32_e32 v19, v28, v15
	v_add_f32_e32 v10, v10, v16
	ds_read2_b64 v[15:18], v13 offset0:160 offset1:176
	v_add_f32_e32 v24, v24, v30
	s_waitcnt lgkmcnt(0)
	v_mul_f32_e32 v28, v32, v16
	v_fmac_f32_e32 v28, v33, v15
	v_add_f32_e32 v27, v27, v28
	v_mul_f32_e32 v28, v33, v18
	v_fma_f32 v28, v32, v17, -v28
	v_mul_f32_e32 v20, v33, v16
	v_add_f32_e32 v26, v26, v28
	v_mul_f32_e32 v28, v22, v16
	v_mul_f32_e32 v16, v21, v16
	v_fmac_f32_e32 v16, v22, v15
	v_fma_f32 v20, v32, v15, -v20
	v_fma_f32 v28, v21, v15, -v28
	v_add_f32_e32 v25, v25, v16
	v_mul_f32_e32 v15, v22, v18
	v_mul_f32_e32 v16, v21, v18
	v_add_f32_e32 v20, v29, v20
	v_mul_f32_e32 v29, v32, v18
	v_fma_f32 v15, v21, v17, -v15
	v_fmac_f32_e32 v16, v22, v17
	v_fmac_f32_e32 v29, v33, v17
	v_add_f32_e32 v19, v19, v15
	v_add_f32_e32 v10, v10, v16
	ds_read2_b64 v[15:18], v13 offset0:192 offset1:208
	v_add_f32_e32 v24, v24, v28
	v_add_f32_e32 v23, v23, v29
	s_waitcnt lgkmcnt(0)
	v_mul_f32_e32 v21, v3, v16
	v_fma_f32 v21, v2, v15, -v21
	v_add_f32_e32 v28, v20, v21
	v_mul_f32_e32 v20, v3, v18
	v_mul_f32_e32 v22, v2, v16
	v_fma_f32 v20, v2, v17, -v20
	v_mul_f32_e32 v2, v2, v18
	v_fmac_f32_e32 v22, v3, v15
	v_fmac_f32_e32 v2, v3, v17
	v_add_f32_e32 v29, v27, v22
	v_add_f32_e32 v3, v26, v20
	v_add_f32_e32 v2, v23, v2
	ds_read_b128 v[20:23], v14 offset:1072
	s_waitcnt lgkmcnt(0)
	v_mul_f32_e32 v26, v21, v16
	v_fma_f32 v26, v20, v15, -v26
	v_mul_f32_e32 v16, v20, v16
	v_fmac_f32_e32 v16, v21, v15
	v_add_f32_e32 v15, v24, v26
	v_mul_f32_e32 v24, v21, v18
	v_fma_f32 v24, v20, v17, -v24
	v_add_f32_e32 v16, v25, v16
	v_add_f32_e32 v30, v19, v24
	ds_read2_b64 v[24:27], v13 offset0:224 offset1:240
	v_mul_f32_e32 v18, v20, v18
	v_fmac_f32_e32 v18, v21, v17
	v_add_f32_e32 v10, v10, v18
	s_waitcnt lgkmcnt(0)
	v_mul_f32_e32 v17, v5, v25
	v_fma_f32 v17, v4, v24, -v17
	v_add_f32_e32 v20, v28, v17
	v_mul_f32_e32 v17, v5, v27
	v_mul_f32_e32 v18, v4, v25
	v_fma_f32 v17, v4, v26, -v17
	v_mul_f32_e32 v4, v4, v27
	v_fmac_f32_e32 v18, v5, v24
	v_fmac_f32_e32 v4, v5, v26
	v_add_f32_e32 v21, v29, v18
	v_add_f32_e32 v19, v3, v17
	;; [unrolled: 1-line block ×3, first 2 shown]
	v_mul_f32_e32 v2, v23, v25
	v_mul_f32_e32 v3, v22, v25
	v_fma_f32 v2, v22, v24, -v2
	v_fmac_f32_e32 v3, v23, v24
	v_add_f32_e32 v17, v15, v2
	v_add_f32_e32 v16, v16, v3
	v_mul_f32_e32 v2, v23, v27
	v_mul_f32_e32 v3, v22, v27
	v_fma_f32 v2, v22, v26, -v2
	v_fmac_f32_e32 v3, v23, v26
	v_add_f32_e32 v15, v30, v2
	v_add_f32_e32 v10, v10, v3
	v_mov_b32_e32 v2, s2
	v_mov_b32_e32 v3, s3
	v_cmp_le_u64_e32 vcc, s[0:1], v[2:3]
	s_barrier
	s_cbranch_vccz .LBB1561_2
	s_branch .LBB1561_4
.LBB1561_3:
	v_mov_b32_e32 v20, 0
	v_mov_b32_e32 v21, 0
	;; [unrolled: 1-line block ×8, first 2 shown]
.LBB1561_4:
	v_add_u32_e32 v4, s7, v1
	v_ashrrev_i32_e32 v1, 31, v4
	v_mul_lo_u32 v3, s14, v1
	v_mul_lo_u32 v5, s15, v4
	v_mad_u64_u32 v[1:2], s[0:1], s14, v4, 0
	s_load_dword s4, s[4:5], 0x0
	v_add_u32_e32 v0, s6, v0
	v_add3_u32 v2, v2, v3, v5
	v_lshlrev_b64 v[1:2], 3, v[1:2]
	s_waitcnt lgkmcnt(0)
	v_mov_b32_e32 v3, s9
	v_add_co_u32_e32 v5, vcc, s8, v1
	v_addc_co_u32_e32 v6, vcc, v3, v2, vcc
	v_cmp_le_i32_e64 s[0:1], v4, v0
	v_cmp_gt_i32_e32 vcc, s4, v0
	s_and_b64 s[0:1], s[0:1], vcc
	s_and_saveexec_b64 s[2:3], s[0:1]
	s_cbranch_execz .LBB1561_6
; %bb.5:
	v_ashrrev_i32_e32 v1, 31, v0
	v_lshlrev_b64 v[7:8], 3, v[0:1]
	v_xor_b32_e32 v2, 0x80000000, v20
	v_add_co_u32_e64 v7, s[0:1], v5, v7
	v_xor_b32_e32 v3, 0x80000000, v21
	v_addc_co_u32_e64 v8, s[0:1], v6, v8, s[0:1]
	flat_store_dwordx2 v[7:8], v[2:3]
.LBB1561_6:
	s_or_b64 exec, exec, s[2:3]
	v_add_u32_e32 v2, 16, v0
	v_cmp_le_i32_e64 s[2:3], v4, v2
	v_cmp_gt_i32_e64 s[0:1], s4, v2
	s_and_b64 s[2:3], s[2:3], s[0:1]
	s_and_saveexec_b64 s[4:5], s[2:3]
	s_cbranch_execz .LBB1561_8
; %bb.7:
	v_ashrrev_i32_e32 v3, 31, v2
	v_lshlrev_b64 v[11:12], 3, v[2:3]
	v_xor_b32_e32 v7, 0x80000000, v19
	v_add_co_u32_e64 v5, s[2:3], v5, v11
	v_xor_b32_e32 v8, 0x80000000, v18
	v_addc_co_u32_e64 v6, s[2:3], v6, v12, s[2:3]
	flat_store_dwordx2 v[5:6], v[7:8]
.LBB1561_8:
	s_or_b64 exec, exec, s[4:5]
	v_add_u32_e32 v3, 16, v4
	v_ashrrev_i32_e32 v1, 31, v3
	v_mul_lo_u32 v6, s15, v3
	v_mad_u64_u32 v[4:5], s[2:3], s14, v3, 0
	v_mul_lo_u32 v1, s14, v1
	v_add3_u32 v5, v5, v1, v6
	v_lshlrev_b64 v[4:5], 3, v[4:5]
	v_mov_b32_e32 v1, s9
	v_add_co_u32_e64 v4, s[2:3], s8, v4
	v_addc_co_u32_e64 v5, s[2:3], v1, v5, s[2:3]
	v_cmp_le_i32_e64 s[2:3], v3, v0
	s_and_b64 s[4:5], s[2:3], vcc
	s_and_saveexec_b64 s[2:3], s[4:5]
	s_cbranch_execz .LBB1561_10
; %bb.9:
	v_ashrrev_i32_e32 v1, 31, v0
	v_lshlrev_b64 v[0:1], 3, v[0:1]
	v_xor_b32_e32 v6, 0x80000000, v17
	v_add_co_u32_e32 v0, vcc, v4, v0
	v_xor_b32_e32 v7, 0x80000000, v16
	v_addc_co_u32_e32 v1, vcc, v5, v1, vcc
	flat_store_dwordx2 v[0:1], v[6:7]
.LBB1561_10:
	s_or_b64 exec, exec, s[2:3]
	v_cmp_le_i32_e32 vcc, v3, v2
	s_and_b64 s[0:1], vcc, s[0:1]
	s_and_saveexec_b64 s[2:3], s[0:1]
	s_cbranch_execz .LBB1561_12
; %bb.11:
	v_ashrrev_i32_e32 v3, 31, v2
	v_lshlrev_b64 v[2:3], 3, v[2:3]
	v_xor_b32_e32 v0, 0x80000000, v15
	v_add_co_u32_e32 v2, vcc, v4, v2
	v_xor_b32_e32 v1, 0x80000000, v10
	v_addc_co_u32_e32 v3, vcc, v5, v3, vcc
	flat_store_dwordx2 v[2:3], v[0:1]
.LBB1561_12:
	s_endpgm
	.section	.rodata,"a",@progbits
	.p2align	6, 0x0
	.amdhsa_kernel _ZL37rocblas_syrkx_herkx_restricted_kernelIl19rocblas_complex_numIfELi16ELi32ELi8ELin1ELi0ELb0ELc67ELc76EKPKS1_KPS1_EviT_PT9_S7_lS9_S7_lPT10_S7_li
		.amdhsa_group_segment_fixed_size 4096
		.amdhsa_private_segment_fixed_size 0
		.amdhsa_kernarg_size 92
		.amdhsa_user_sgpr_count 6
		.amdhsa_user_sgpr_private_segment_buffer 1
		.amdhsa_user_sgpr_dispatch_ptr 0
		.amdhsa_user_sgpr_queue_ptr 0
		.amdhsa_user_sgpr_kernarg_segment_ptr 1
		.amdhsa_user_sgpr_dispatch_id 0
		.amdhsa_user_sgpr_flat_scratch_init 0
		.amdhsa_user_sgpr_private_segment_size 0
		.amdhsa_uses_dynamic_stack 0
		.amdhsa_system_sgpr_private_segment_wavefront_offset 0
		.amdhsa_system_sgpr_workgroup_id_x 1
		.amdhsa_system_sgpr_workgroup_id_y 1
		.amdhsa_system_sgpr_workgroup_id_z 1
		.amdhsa_system_sgpr_workgroup_info 0
		.amdhsa_system_vgpr_workitem_id 1
		.amdhsa_next_free_vgpr 41
		.amdhsa_next_free_sgpr 20
		.amdhsa_reserve_vcc 1
		.amdhsa_reserve_flat_scratch 0
		.amdhsa_float_round_mode_32 0
		.amdhsa_float_round_mode_16_64 0
		.amdhsa_float_denorm_mode_32 3
		.amdhsa_float_denorm_mode_16_64 3
		.amdhsa_dx10_clamp 1
		.amdhsa_ieee_mode 1
		.amdhsa_fp16_overflow 0
		.amdhsa_exception_fp_ieee_invalid_op 0
		.amdhsa_exception_fp_denorm_src 0
		.amdhsa_exception_fp_ieee_div_zero 0
		.amdhsa_exception_fp_ieee_overflow 0
		.amdhsa_exception_fp_ieee_underflow 0
		.amdhsa_exception_fp_ieee_inexact 0
		.amdhsa_exception_int_div_zero 0
	.end_amdhsa_kernel
	.section	.text._ZL37rocblas_syrkx_herkx_restricted_kernelIl19rocblas_complex_numIfELi16ELi32ELi8ELin1ELi0ELb0ELc67ELc76EKPKS1_KPS1_EviT_PT9_S7_lS9_S7_lPT10_S7_li,"axG",@progbits,_ZL37rocblas_syrkx_herkx_restricted_kernelIl19rocblas_complex_numIfELi16ELi32ELi8ELin1ELi0ELb0ELc67ELc76EKPKS1_KPS1_EviT_PT9_S7_lS9_S7_lPT10_S7_li,comdat
.Lfunc_end1561:
	.size	_ZL37rocblas_syrkx_herkx_restricted_kernelIl19rocblas_complex_numIfELi16ELi32ELi8ELin1ELi0ELb0ELc67ELc76EKPKS1_KPS1_EviT_PT9_S7_lS9_S7_lPT10_S7_li, .Lfunc_end1561-_ZL37rocblas_syrkx_herkx_restricted_kernelIl19rocblas_complex_numIfELi16ELi32ELi8ELin1ELi0ELb0ELc67ELc76EKPKS1_KPS1_EviT_PT9_S7_lS9_S7_lPT10_S7_li
                                        ; -- End function
	.set _ZL37rocblas_syrkx_herkx_restricted_kernelIl19rocblas_complex_numIfELi16ELi32ELi8ELin1ELi0ELb0ELc67ELc76EKPKS1_KPS1_EviT_PT9_S7_lS9_S7_lPT10_S7_li.num_vgpr, 41
	.set _ZL37rocblas_syrkx_herkx_restricted_kernelIl19rocblas_complex_numIfELi16ELi32ELi8ELin1ELi0ELb0ELc67ELc76EKPKS1_KPS1_EviT_PT9_S7_lS9_S7_lPT10_S7_li.num_agpr, 0
	.set _ZL37rocblas_syrkx_herkx_restricted_kernelIl19rocblas_complex_numIfELi16ELi32ELi8ELin1ELi0ELb0ELc67ELc76EKPKS1_KPS1_EviT_PT9_S7_lS9_S7_lPT10_S7_li.numbered_sgpr, 20
	.set _ZL37rocblas_syrkx_herkx_restricted_kernelIl19rocblas_complex_numIfELi16ELi32ELi8ELin1ELi0ELb0ELc67ELc76EKPKS1_KPS1_EviT_PT9_S7_lS9_S7_lPT10_S7_li.num_named_barrier, 0
	.set _ZL37rocblas_syrkx_herkx_restricted_kernelIl19rocblas_complex_numIfELi16ELi32ELi8ELin1ELi0ELb0ELc67ELc76EKPKS1_KPS1_EviT_PT9_S7_lS9_S7_lPT10_S7_li.private_seg_size, 0
	.set _ZL37rocblas_syrkx_herkx_restricted_kernelIl19rocblas_complex_numIfELi16ELi32ELi8ELin1ELi0ELb0ELc67ELc76EKPKS1_KPS1_EviT_PT9_S7_lS9_S7_lPT10_S7_li.uses_vcc, 1
	.set _ZL37rocblas_syrkx_herkx_restricted_kernelIl19rocblas_complex_numIfELi16ELi32ELi8ELin1ELi0ELb0ELc67ELc76EKPKS1_KPS1_EviT_PT9_S7_lS9_S7_lPT10_S7_li.uses_flat_scratch, 0
	.set _ZL37rocblas_syrkx_herkx_restricted_kernelIl19rocblas_complex_numIfELi16ELi32ELi8ELin1ELi0ELb0ELc67ELc76EKPKS1_KPS1_EviT_PT9_S7_lS9_S7_lPT10_S7_li.has_dyn_sized_stack, 0
	.set _ZL37rocblas_syrkx_herkx_restricted_kernelIl19rocblas_complex_numIfELi16ELi32ELi8ELin1ELi0ELb0ELc67ELc76EKPKS1_KPS1_EviT_PT9_S7_lS9_S7_lPT10_S7_li.has_recursion, 0
	.set _ZL37rocblas_syrkx_herkx_restricted_kernelIl19rocblas_complex_numIfELi16ELi32ELi8ELin1ELi0ELb0ELc67ELc76EKPKS1_KPS1_EviT_PT9_S7_lS9_S7_lPT10_S7_li.has_indirect_call, 0
	.section	.AMDGPU.csdata,"",@progbits
; Kernel info:
; codeLenInByte = 2004
; TotalNumSgprs: 24
; NumVgprs: 41
; ScratchSize: 0
; MemoryBound: 0
; FloatMode: 240
; IeeeMode: 1
; LDSByteSize: 4096 bytes/workgroup (compile time only)
; SGPRBlocks: 2
; VGPRBlocks: 10
; NumSGPRsForWavesPerEU: 24
; NumVGPRsForWavesPerEU: 41
; Occupancy: 5
; WaveLimiterHint : 1
; COMPUTE_PGM_RSRC2:SCRATCH_EN: 0
; COMPUTE_PGM_RSRC2:USER_SGPR: 6
; COMPUTE_PGM_RSRC2:TRAP_HANDLER: 0
; COMPUTE_PGM_RSRC2:TGID_X_EN: 1
; COMPUTE_PGM_RSRC2:TGID_Y_EN: 1
; COMPUTE_PGM_RSRC2:TGID_Z_EN: 1
; COMPUTE_PGM_RSRC2:TIDIG_COMP_CNT: 1
	.section	.text._ZL37rocblas_syrkx_herkx_restricted_kernelIl19rocblas_complex_numIfELi16ELi32ELi8ELin1ELi0ELb0ELc78ELc76EKPKS1_KPS1_EviT_PT9_S7_lS9_S7_lPT10_S7_li,"axG",@progbits,_ZL37rocblas_syrkx_herkx_restricted_kernelIl19rocblas_complex_numIfELi16ELi32ELi8ELin1ELi0ELb0ELc78ELc76EKPKS1_KPS1_EviT_PT9_S7_lS9_S7_lPT10_S7_li,comdat
	.globl	_ZL37rocblas_syrkx_herkx_restricted_kernelIl19rocblas_complex_numIfELi16ELi32ELi8ELin1ELi0ELb0ELc78ELc76EKPKS1_KPS1_EviT_PT9_S7_lS9_S7_lPT10_S7_li ; -- Begin function _ZL37rocblas_syrkx_herkx_restricted_kernelIl19rocblas_complex_numIfELi16ELi32ELi8ELin1ELi0ELb0ELc78ELc76EKPKS1_KPS1_EviT_PT9_S7_lS9_S7_lPT10_S7_li
	.p2align	8
	.type	_ZL37rocblas_syrkx_herkx_restricted_kernelIl19rocblas_complex_numIfELi16ELi32ELi8ELin1ELi0ELb0ELc78ELc76EKPKS1_KPS1_EviT_PT9_S7_lS9_S7_lPT10_S7_li,@function
_ZL37rocblas_syrkx_herkx_restricted_kernelIl19rocblas_complex_numIfELi16ELi32ELi8ELin1ELi0ELb0ELc78ELc76EKPKS1_KPS1_EviT_PT9_S7_lS9_S7_lPT10_S7_li: ; @_ZL37rocblas_syrkx_herkx_restricted_kernelIl19rocblas_complex_numIfELi16ELi32ELi8ELin1ELi0ELb0ELc78ELc76EKPKS1_KPS1_EviT_PT9_S7_lS9_S7_lPT10_S7_li
; %bb.0:
	s_load_dwordx4 s[12:15], s[4:5], 0x40
	s_load_dwordx4 s[0:3], s[4:5], 0x8
	s_mov_b32 s9, 0
	s_lshl_b64 s[16:17], s[8:9], 3
	s_waitcnt lgkmcnt(0)
	s_add_u32 s8, s12, s16
	s_addc_u32 s9, s13, s17
	s_load_dwordx2 s[12:13], s[8:9], 0x0
	v_cmp_lt_i64_e64 s[8:9], s[0:1], 1
	s_lshl_b32 s18, s6, 5
	s_lshl_b32 s19, s7, 5
	s_and_b64 vcc, exec, s[8:9]
	s_cbranch_vccnz .LBB1562_3
; %bb.1:
	s_load_dwordx2 s[6:7], s[4:5], 0x18
	s_load_dwordx4 s[8:11], s[4:5], 0x28
	v_lshl_add_u32 v5, v1, 4, v0
	v_lshrrev_b32_e32 v7, 3, v5
	v_add_u32_e32 v2, s19, v7
	v_and_b32_e32 v6, 7, v0
	v_ashrrev_i32_e32 v3, 31, v2
	s_waitcnt lgkmcnt(0)
	v_mad_u64_u32 v[2:3], s[20:21], s10, v6, v[2:3]
	s_add_u32 s2, s2, s16
	s_addc_u32 s3, s3, s17
	v_mad_u64_u32 v[3:4], s[20:21], s11, v6, v[3:4]
	v_and_b32_e32 v4, 31, v5
	v_lshrrev_b32_e32 v8, 5, v5
	v_lshlrev_b32_e32 v5, 3, v4
	v_add_u32_e32 v4, s18, v4
	s_add_u32 s8, s8, s16
	v_lshl_or_b32 v10, v8, 8, v5
	v_ashrrev_i32_e32 v5, 31, v4
	s_addc_u32 s9, s9, s17
	v_mad_u64_u32 v[4:5], s[16:17], s6, v8, v[4:5]
	v_lshlrev_b32_e32 v6, 3, v6
	v_lshl_or_b32 v6, v7, 6, v6
	v_add_u32_e32 v11, 0x800, v6
	v_mad_u64_u32 v[5:6], s[16:17], s7, v8, v[5:6]
	s_load_dwordx2 s[2:3], s[2:3], 0x0
	v_mov_b32_e32 v6, 0x800
	s_load_dwordx2 s[8:9], s[8:9], 0x0
	v_lshlrev_b64 v[4:5], 3, v[4:5]
	v_lshl_add_u32 v13, v1, 6, v6
	s_waitcnt lgkmcnt(0)
	v_mov_b32_e32 v7, s3
	v_add_co_u32_e32 v6, vcc, s2, v4
	v_lshlrev_b64 v[2:3], 3, v[2:3]
	v_addc_co_u32_e32 v7, vcc, v7, v5, vcc
	s_lshl_b64 s[2:3], s[6:7], 6
	v_mov_b32_e32 v4, s9
	v_add_co_u32_e32 v8, vcc, s8, v2
	s_lshl_b64 s[6:7], s[10:11], 6
	v_lshlrev_b32_e32 v12, 3, v0
	v_addc_co_u32_e32 v9, vcc, v4, v3, vcc
	v_mov_b32_e32 v16, 0
	s_mov_b64 s[8:9], 0
	v_mov_b32_e32 v14, s3
	v_mov_b32_e32 v15, s7
	v_mov_b32_e32 v17, 0
	v_mov_b32_e32 v18, 0
	v_mov_b32_e32 v19, 0
	v_mov_b32_e32 v20, 0
	v_mov_b32_e32 v21, 0
	v_mov_b32_e32 v23, 0
	v_mov_b32_e32 v22, 0
.LBB1562_2:                             ; =>This Inner Loop Header: Depth=1
	flat_load_dwordx2 v[2:3], v[6:7]
	v_add_co_u32_e32 v6, vcc, s2, v6
	s_add_u32 s8, s8, 8
	v_addc_co_u32_e32 v7, vcc, v7, v14, vcc
	s_addc_u32 s9, s9, 0
	s_waitcnt vmcnt(0) lgkmcnt(0)
	ds_write_b64 v10, v[2:3]
	flat_load_dwordx2 v[2:3], v[8:9]
	v_add_co_u32_e32 v8, vcc, s6, v8
	v_addc_co_u32_e32 v9, vcc, v9, v15, vcc
	s_waitcnt vmcnt(0) lgkmcnt(0)
	ds_write_b64 v11, v[2:3]
	s_waitcnt lgkmcnt(0)
	s_barrier
	ds_read_b128 v[24:27], v13
	ds_read_b128 v[28:31], v13 offset:16
	ds_read_b128 v[32:35], v13 offset:32
	;; [unrolled: 1-line block ×3, first 2 shown]
	ds_read2_b64 v[36:39], v12 offset1:16
	s_waitcnt lgkmcnt(0)
	v_mul_f32_e32 v40, v25, v37
	v_mul_f32_e32 v41, v24, v37
	v_fma_f32 v40, v24, v36, -v40
	v_fmac_f32_e32 v41, v25, v36
	v_add_f32_e32 v40, v22, v40
	v_add_f32_e32 v41, v23, v41
	v_mul_f32_e32 v22, v25, v39
	v_mul_f32_e32 v23, v24, v39
	v_fma_f32 v22, v24, v38, -v22
	v_fmac_f32_e32 v23, v25, v38
	v_add_f32_e32 v24, v21, v22
	v_add_f32_e32 v25, v20, v23
	ds_read_b128 v[20:23], v13 offset:1024
	s_waitcnt lgkmcnt(0)
	v_mul_f32_e32 v42, v21, v37
	v_mul_f32_e32 v37, v20, v37
	v_fma_f32 v42, v20, v36, -v42
	v_fmac_f32_e32 v37, v21, v36
	v_add_f32_e32 v36, v19, v42
	v_add_f32_e32 v37, v18, v37
	v_mul_f32_e32 v18, v21, v39
	v_mul_f32_e32 v19, v20, v39
	v_fma_f32 v18, v20, v38, -v18
	v_fmac_f32_e32 v19, v21, v38
	v_add_f32_e32 v20, v17, v18
	v_add_f32_e32 v21, v16, v19
	ds_read2_b64 v[16:19], v12 offset0:32 offset1:48
	s_waitcnt lgkmcnt(0)
	v_mul_f32_e32 v38, v27, v17
	v_fma_f32 v38, v26, v16, -v38
	v_add_f32_e32 v38, v40, v38
	v_mul_f32_e32 v40, v27, v19
	v_mul_f32_e32 v39, v26, v17
	v_fma_f32 v40, v26, v18, -v40
	v_mul_f32_e32 v26, v26, v19
	v_fmac_f32_e32 v26, v27, v18
	v_add_f32_e32 v25, v25, v26
	v_mul_f32_e32 v26, v23, v17
	v_mul_f32_e32 v17, v22, v17
	v_fmac_f32_e32 v17, v23, v16
	v_fmac_f32_e32 v39, v27, v16
	v_fma_f32 v26, v22, v16, -v26
	v_add_f32_e32 v27, v37, v17
	v_mul_f32_e32 v16, v23, v19
	v_mul_f32_e32 v17, v22, v19
	v_fma_f32 v16, v22, v18, -v16
	v_fmac_f32_e32 v17, v23, v18
	v_add_f32_e32 v26, v36, v26
	v_add_f32_e32 v36, v20, v16
	;; [unrolled: 1-line block ×3, first 2 shown]
	ds_read2_b64 v[16:19], v12 offset0:64 offset1:80
	v_add_f32_e32 v39, v41, v39
	v_add_f32_e32 v24, v24, v40
	s_waitcnt lgkmcnt(0)
	v_mul_f32_e32 v20, v29, v17
	v_mul_f32_e32 v21, v28, v17
	v_fma_f32 v20, v28, v16, -v20
	v_fmac_f32_e32 v21, v29, v16
	v_add_f32_e32 v38, v38, v20
	v_add_f32_e32 v39, v39, v21
	v_mul_f32_e32 v20, v29, v19
	v_mul_f32_e32 v21, v28, v19
	v_fma_f32 v20, v28, v18, -v20
	v_fmac_f32_e32 v21, v29, v18
	v_add_f32_e32 v24, v24, v20
	v_add_f32_e32 v25, v25, v21
	ds_read_b128 v[20:23], v13 offset:1040
	s_waitcnt lgkmcnt(0)
	v_mul_f32_e32 v28, v21, v17
	v_mul_f32_e32 v17, v20, v17
	v_fmac_f32_e32 v17, v21, v16
	v_fma_f32 v28, v20, v16, -v28
	v_add_f32_e32 v27, v27, v17
	v_mul_f32_e32 v16, v21, v19
	v_mul_f32_e32 v17, v20, v19
	v_fma_f32 v16, v20, v18, -v16
	v_fmac_f32_e32 v17, v21, v18
	v_add_f32_e32 v20, v36, v16
	v_add_f32_e32 v21, v37, v17
	ds_read2_b64 v[16:19], v12 offset0:96 offset1:112
	v_add_f32_e32 v26, v26, v28
	s_waitcnt lgkmcnt(0)
	v_mul_f32_e32 v28, v31, v17
	v_mul_f32_e32 v36, v31, v19
	v_fma_f32 v28, v30, v16, -v28
	v_mul_f32_e32 v29, v30, v17
	v_fma_f32 v36, v30, v18, -v36
	v_mul_f32_e32 v30, v30, v19
	v_fmac_f32_e32 v30, v31, v18
	v_add_f32_e32 v25, v25, v30
	v_mul_f32_e32 v30, v23, v17
	v_mul_f32_e32 v17, v22, v17
	v_fmac_f32_e32 v17, v23, v16
	v_fmac_f32_e32 v29, v31, v16
	v_fma_f32 v30, v22, v16, -v30
	v_add_f32_e32 v27, v27, v17
	v_mul_f32_e32 v16, v23, v19
	v_mul_f32_e32 v17, v22, v19
	v_fma_f32 v16, v22, v18, -v16
	v_fmac_f32_e32 v17, v23, v18
	v_add_f32_e32 v26, v26, v30
	v_add_f32_e32 v30, v20, v16
	;; [unrolled: 1-line block ×3, first 2 shown]
	ds_read2_b64 v[16:19], v12 offset0:128 offset1:144
	v_add_f32_e32 v28, v38, v28
	v_add_f32_e32 v29, v39, v29
	;; [unrolled: 1-line block ×3, first 2 shown]
	s_waitcnt lgkmcnt(0)
	v_mul_f32_e32 v20, v33, v17
	v_mul_f32_e32 v21, v32, v17
	v_fma_f32 v20, v32, v16, -v20
	v_fmac_f32_e32 v21, v33, v16
	v_add_f32_e32 v28, v28, v20
	v_add_f32_e32 v29, v29, v21
	v_mul_f32_e32 v20, v33, v19
	v_mul_f32_e32 v21, v32, v19
	v_fma_f32 v20, v32, v18, -v20
	v_fmac_f32_e32 v21, v33, v18
	v_add_f32_e32 v24, v24, v20
	v_add_f32_e32 v25, v25, v21
	ds_read_b128 v[20:23], v13 offset:1056
	s_waitcnt lgkmcnt(0)
	v_mul_f32_e32 v32, v21, v17
	v_mul_f32_e32 v17, v20, v17
	v_fmac_f32_e32 v17, v21, v16
	v_fma_f32 v32, v20, v16, -v32
	v_add_f32_e32 v27, v27, v17
	v_mul_f32_e32 v16, v21, v19
	v_mul_f32_e32 v17, v20, v19
	v_fma_f32 v16, v20, v18, -v16
	v_fmac_f32_e32 v17, v21, v18
	v_add_f32_e32 v20, v30, v16
	v_add_f32_e32 v21, v31, v17
	ds_read2_b64 v[16:19], v12 offset0:160 offset1:176
	v_add_f32_e32 v26, v26, v32
	s_waitcnt lgkmcnt(0)
	v_mul_f32_e32 v30, v35, v17
	v_fma_f32 v30, v34, v16, -v30
	v_add_f32_e32 v28, v28, v30
	v_mul_f32_e32 v30, v35, v19
	v_fma_f32 v30, v34, v18, -v30
	v_mul_f32_e32 v31, v34, v17
	v_add_f32_e32 v24, v24, v30
	v_mul_f32_e32 v30, v23, v17
	v_mul_f32_e32 v17, v22, v17
	v_fmac_f32_e32 v17, v23, v16
	v_fmac_f32_e32 v31, v35, v16
	v_fma_f32 v30, v22, v16, -v30
	v_add_f32_e32 v27, v27, v17
	v_mul_f32_e32 v16, v23, v19
	v_mul_f32_e32 v17, v22, v19
	v_add_f32_e32 v29, v29, v31
	v_mul_f32_e32 v31, v34, v19
	v_fma_f32 v16, v22, v18, -v16
	v_fmac_f32_e32 v17, v23, v18
	v_fmac_f32_e32 v31, v35, v18
	v_add_f32_e32 v20, v20, v16
	v_add_f32_e32 v21, v21, v17
	ds_read2_b64 v[16:19], v12 offset0:192 offset1:208
	v_add_f32_e32 v26, v26, v30
	v_add_f32_e32 v25, v25, v31
	s_waitcnt lgkmcnt(0)
	v_mul_f32_e32 v22, v3, v17
	v_fma_f32 v22, v2, v16, -v22
	v_add_f32_e32 v30, v28, v22
	v_mul_f32_e32 v22, v3, v19
	v_mul_f32_e32 v23, v2, v17
	v_fma_f32 v22, v2, v18, -v22
	v_mul_f32_e32 v2, v2, v19
	v_fmac_f32_e32 v23, v3, v16
	v_fmac_f32_e32 v2, v3, v18
	v_add_f32_e32 v31, v29, v23
	v_add_f32_e32 v3, v24, v22
	;; [unrolled: 1-line block ×3, first 2 shown]
	ds_read_b128 v[22:25], v13 offset:1072
	s_waitcnt lgkmcnt(0)
	v_mul_f32_e32 v28, v23, v17
	v_fma_f32 v28, v22, v16, -v28
	v_mul_f32_e32 v17, v22, v17
	v_fmac_f32_e32 v17, v23, v16
	v_add_f32_e32 v16, v26, v28
	v_mul_f32_e32 v26, v23, v19
	v_fma_f32 v26, v22, v18, -v26
	v_add_f32_e32 v17, v27, v17
	v_add_f32_e32 v32, v20, v26
	ds_read2_b64 v[26:29], v12 offset0:224 offset1:240
	v_mul_f32_e32 v19, v22, v19
	v_fmac_f32_e32 v19, v23, v18
	v_add_f32_e32 v33, v21, v19
	s_waitcnt lgkmcnt(0)
	v_mul_f32_e32 v18, v5, v27
	v_fma_f32 v18, v4, v26, -v18
	v_add_f32_e32 v22, v30, v18
	v_mul_f32_e32 v18, v5, v29
	v_mul_f32_e32 v19, v4, v27
	v_fma_f32 v18, v4, v28, -v18
	v_mul_f32_e32 v4, v4, v29
	v_fmac_f32_e32 v4, v5, v28
	v_add_f32_e32 v21, v3, v18
	v_add_f32_e32 v20, v2, v4
	v_mul_f32_e32 v2, v25, v27
	v_mul_f32_e32 v3, v24, v27
	v_fmac_f32_e32 v19, v5, v26
	v_fma_f32 v2, v24, v26, -v2
	v_fmac_f32_e32 v3, v25, v26
	v_add_f32_e32 v23, v31, v19
	v_add_f32_e32 v19, v16, v2
	;; [unrolled: 1-line block ×3, first 2 shown]
	v_mul_f32_e32 v2, v25, v29
	v_mul_f32_e32 v3, v24, v29
	v_fma_f32 v2, v24, v28, -v2
	v_fmac_f32_e32 v3, v25, v28
	v_add_f32_e32 v17, v32, v2
	v_add_f32_e32 v16, v33, v3
	v_mov_b32_e32 v2, s8
	v_mov_b32_e32 v3, s9
	v_cmp_le_u64_e32 vcc, s[0:1], v[2:3]
	s_barrier
	s_cbranch_vccz .LBB1562_2
	s_branch .LBB1562_4
.LBB1562_3:
	v_mov_b32_e32 v22, 0
	v_mov_b32_e32 v23, 0
	;; [unrolled: 1-line block ×8, first 2 shown]
.LBB1562_4:
	v_add_u32_e32 v4, s19, v1
	v_ashrrev_i32_e32 v1, 31, v4
	v_mul_lo_u32 v3, s14, v1
	v_mul_lo_u32 v5, s15, v4
	v_mad_u64_u32 v[1:2], s[0:1], s14, v4, 0
	s_load_dword s4, s[4:5], 0x0
	v_add_u32_e32 v0, s18, v0
	v_add3_u32 v2, v2, v3, v5
	v_lshlrev_b64 v[1:2], 3, v[1:2]
	s_waitcnt lgkmcnt(0)
	v_mov_b32_e32 v3, s13
	v_add_co_u32_e32 v5, vcc, s12, v1
	v_addc_co_u32_e32 v6, vcc, v3, v2, vcc
	v_cmp_le_i32_e64 s[0:1], v4, v0
	v_cmp_gt_i32_e32 vcc, s4, v0
	s_and_b64 s[0:1], s[0:1], vcc
	s_and_saveexec_b64 s[2:3], s[0:1]
	s_cbranch_execz .LBB1562_6
; %bb.5:
	v_ashrrev_i32_e32 v1, 31, v0
	v_lshlrev_b64 v[7:8], 3, v[0:1]
	v_xor_b32_e32 v2, 0x80000000, v22
	v_add_co_u32_e64 v7, s[0:1], v5, v7
	v_xor_b32_e32 v3, 0x80000000, v23
	v_addc_co_u32_e64 v8, s[0:1], v6, v8, s[0:1]
	flat_store_dwordx2 v[7:8], v[2:3]
.LBB1562_6:
	s_or_b64 exec, exec, s[2:3]
	v_add_u32_e32 v2, 16, v0
	v_cmp_le_i32_e64 s[2:3], v4, v2
	v_cmp_gt_i32_e64 s[0:1], s4, v2
	s_and_b64 s[2:3], s[2:3], s[0:1]
	s_and_saveexec_b64 s[4:5], s[2:3]
	s_cbranch_execz .LBB1562_8
; %bb.7:
	v_ashrrev_i32_e32 v3, 31, v2
	v_lshlrev_b64 v[9:10], 3, v[2:3]
	v_xor_b32_e32 v7, 0x80000000, v21
	v_add_co_u32_e64 v5, s[2:3], v5, v9
	v_xor_b32_e32 v8, 0x80000000, v20
	v_addc_co_u32_e64 v6, s[2:3], v6, v10, s[2:3]
	flat_store_dwordx2 v[5:6], v[7:8]
.LBB1562_8:
	s_or_b64 exec, exec, s[4:5]
	v_add_u32_e32 v3, 16, v4
	v_ashrrev_i32_e32 v1, 31, v3
	v_mul_lo_u32 v6, s15, v3
	v_mad_u64_u32 v[4:5], s[2:3], s14, v3, 0
	v_mul_lo_u32 v1, s14, v1
	v_add3_u32 v5, v5, v1, v6
	v_lshlrev_b64 v[4:5], 3, v[4:5]
	v_mov_b32_e32 v1, s13
	v_add_co_u32_e64 v4, s[2:3], s12, v4
	v_addc_co_u32_e64 v5, s[2:3], v1, v5, s[2:3]
	v_cmp_le_i32_e64 s[2:3], v3, v0
	s_and_b64 s[4:5], s[2:3], vcc
	s_and_saveexec_b64 s[2:3], s[4:5]
	s_cbranch_execz .LBB1562_10
; %bb.9:
	v_ashrrev_i32_e32 v1, 31, v0
	v_lshlrev_b64 v[0:1], 3, v[0:1]
	v_xor_b32_e32 v6, 0x80000000, v19
	v_add_co_u32_e32 v0, vcc, v4, v0
	v_xor_b32_e32 v7, 0x80000000, v18
	v_addc_co_u32_e32 v1, vcc, v5, v1, vcc
	flat_store_dwordx2 v[0:1], v[6:7]
.LBB1562_10:
	s_or_b64 exec, exec, s[2:3]
	v_cmp_le_i32_e32 vcc, v3, v2
	s_and_b64 s[0:1], vcc, s[0:1]
	s_and_saveexec_b64 s[2:3], s[0:1]
	s_cbranch_execz .LBB1562_12
; %bb.11:
	v_ashrrev_i32_e32 v3, 31, v2
	v_lshlrev_b64 v[2:3], 3, v[2:3]
	v_xor_b32_e32 v0, 0x80000000, v17
	v_add_co_u32_e32 v2, vcc, v4, v2
	v_xor_b32_e32 v1, 0x80000000, v16
	v_addc_co_u32_e32 v3, vcc, v5, v3, vcc
	flat_store_dwordx2 v[2:3], v[0:1]
.LBB1562_12:
	s_endpgm
	.section	.rodata,"a",@progbits
	.p2align	6, 0x0
	.amdhsa_kernel _ZL37rocblas_syrkx_herkx_restricted_kernelIl19rocblas_complex_numIfELi16ELi32ELi8ELin1ELi0ELb0ELc78ELc76EKPKS1_KPS1_EviT_PT9_S7_lS9_S7_lPT10_S7_li
		.amdhsa_group_segment_fixed_size 4096
		.amdhsa_private_segment_fixed_size 0
		.amdhsa_kernarg_size 92
		.amdhsa_user_sgpr_count 6
		.amdhsa_user_sgpr_private_segment_buffer 1
		.amdhsa_user_sgpr_dispatch_ptr 0
		.amdhsa_user_sgpr_queue_ptr 0
		.amdhsa_user_sgpr_kernarg_segment_ptr 1
		.amdhsa_user_sgpr_dispatch_id 0
		.amdhsa_user_sgpr_flat_scratch_init 0
		.amdhsa_user_sgpr_private_segment_size 0
		.amdhsa_uses_dynamic_stack 0
		.amdhsa_system_sgpr_private_segment_wavefront_offset 0
		.amdhsa_system_sgpr_workgroup_id_x 1
		.amdhsa_system_sgpr_workgroup_id_y 1
		.amdhsa_system_sgpr_workgroup_id_z 1
		.amdhsa_system_sgpr_workgroup_info 0
		.amdhsa_system_vgpr_workitem_id 1
		.amdhsa_next_free_vgpr 43
		.amdhsa_next_free_sgpr 22
		.amdhsa_reserve_vcc 1
		.amdhsa_reserve_flat_scratch 0
		.amdhsa_float_round_mode_32 0
		.amdhsa_float_round_mode_16_64 0
		.amdhsa_float_denorm_mode_32 3
		.amdhsa_float_denorm_mode_16_64 3
		.amdhsa_dx10_clamp 1
		.amdhsa_ieee_mode 1
		.amdhsa_fp16_overflow 0
		.amdhsa_exception_fp_ieee_invalid_op 0
		.amdhsa_exception_fp_denorm_src 0
		.amdhsa_exception_fp_ieee_div_zero 0
		.amdhsa_exception_fp_ieee_overflow 0
		.amdhsa_exception_fp_ieee_underflow 0
		.amdhsa_exception_fp_ieee_inexact 0
		.amdhsa_exception_int_div_zero 0
	.end_amdhsa_kernel
	.section	.text._ZL37rocblas_syrkx_herkx_restricted_kernelIl19rocblas_complex_numIfELi16ELi32ELi8ELin1ELi0ELb0ELc78ELc76EKPKS1_KPS1_EviT_PT9_S7_lS9_S7_lPT10_S7_li,"axG",@progbits,_ZL37rocblas_syrkx_herkx_restricted_kernelIl19rocblas_complex_numIfELi16ELi32ELi8ELin1ELi0ELb0ELc78ELc76EKPKS1_KPS1_EviT_PT9_S7_lS9_S7_lPT10_S7_li,comdat
.Lfunc_end1562:
	.size	_ZL37rocblas_syrkx_herkx_restricted_kernelIl19rocblas_complex_numIfELi16ELi32ELi8ELin1ELi0ELb0ELc78ELc76EKPKS1_KPS1_EviT_PT9_S7_lS9_S7_lPT10_S7_li, .Lfunc_end1562-_ZL37rocblas_syrkx_herkx_restricted_kernelIl19rocblas_complex_numIfELi16ELi32ELi8ELin1ELi0ELb0ELc78ELc76EKPKS1_KPS1_EviT_PT9_S7_lS9_S7_lPT10_S7_li
                                        ; -- End function
	.set _ZL37rocblas_syrkx_herkx_restricted_kernelIl19rocblas_complex_numIfELi16ELi32ELi8ELin1ELi0ELb0ELc78ELc76EKPKS1_KPS1_EviT_PT9_S7_lS9_S7_lPT10_S7_li.num_vgpr, 43
	.set _ZL37rocblas_syrkx_herkx_restricted_kernelIl19rocblas_complex_numIfELi16ELi32ELi8ELin1ELi0ELb0ELc78ELc76EKPKS1_KPS1_EviT_PT9_S7_lS9_S7_lPT10_S7_li.num_agpr, 0
	.set _ZL37rocblas_syrkx_herkx_restricted_kernelIl19rocblas_complex_numIfELi16ELi32ELi8ELin1ELi0ELb0ELc78ELc76EKPKS1_KPS1_EviT_PT9_S7_lS9_S7_lPT10_S7_li.numbered_sgpr, 22
	.set _ZL37rocblas_syrkx_herkx_restricted_kernelIl19rocblas_complex_numIfELi16ELi32ELi8ELin1ELi0ELb0ELc78ELc76EKPKS1_KPS1_EviT_PT9_S7_lS9_S7_lPT10_S7_li.num_named_barrier, 0
	.set _ZL37rocblas_syrkx_herkx_restricted_kernelIl19rocblas_complex_numIfELi16ELi32ELi8ELin1ELi0ELb0ELc78ELc76EKPKS1_KPS1_EviT_PT9_S7_lS9_S7_lPT10_S7_li.private_seg_size, 0
	.set _ZL37rocblas_syrkx_herkx_restricted_kernelIl19rocblas_complex_numIfELi16ELi32ELi8ELin1ELi0ELb0ELc78ELc76EKPKS1_KPS1_EviT_PT9_S7_lS9_S7_lPT10_S7_li.uses_vcc, 1
	.set _ZL37rocblas_syrkx_herkx_restricted_kernelIl19rocblas_complex_numIfELi16ELi32ELi8ELin1ELi0ELb0ELc78ELc76EKPKS1_KPS1_EviT_PT9_S7_lS9_S7_lPT10_S7_li.uses_flat_scratch, 0
	.set _ZL37rocblas_syrkx_herkx_restricted_kernelIl19rocblas_complex_numIfELi16ELi32ELi8ELin1ELi0ELb0ELc78ELc76EKPKS1_KPS1_EviT_PT9_S7_lS9_S7_lPT10_S7_li.has_dyn_sized_stack, 0
	.set _ZL37rocblas_syrkx_herkx_restricted_kernelIl19rocblas_complex_numIfELi16ELi32ELi8ELin1ELi0ELb0ELc78ELc76EKPKS1_KPS1_EviT_PT9_S7_lS9_S7_lPT10_S7_li.has_recursion, 0
	.set _ZL37rocblas_syrkx_herkx_restricted_kernelIl19rocblas_complex_numIfELi16ELi32ELi8ELin1ELi0ELb0ELc78ELc76EKPKS1_KPS1_EviT_PT9_S7_lS9_S7_lPT10_S7_li.has_indirect_call, 0
	.section	.AMDGPU.csdata,"",@progbits
; Kernel info:
; codeLenInByte = 1984
; TotalNumSgprs: 26
; NumVgprs: 43
; ScratchSize: 0
; MemoryBound: 0
; FloatMode: 240
; IeeeMode: 1
; LDSByteSize: 4096 bytes/workgroup (compile time only)
; SGPRBlocks: 3
; VGPRBlocks: 10
; NumSGPRsForWavesPerEU: 26
; NumVGPRsForWavesPerEU: 43
; Occupancy: 5
; WaveLimiterHint : 1
; COMPUTE_PGM_RSRC2:SCRATCH_EN: 0
; COMPUTE_PGM_RSRC2:USER_SGPR: 6
; COMPUTE_PGM_RSRC2:TRAP_HANDLER: 0
; COMPUTE_PGM_RSRC2:TGID_X_EN: 1
; COMPUTE_PGM_RSRC2:TGID_Y_EN: 1
; COMPUTE_PGM_RSRC2:TGID_Z_EN: 1
; COMPUTE_PGM_RSRC2:TIDIG_COMP_CNT: 1
	.section	.text._ZL37rocblas_syrkx_herkx_restricted_kernelIl19rocblas_complex_numIfELi16ELi32ELi8ELin1ELi0ELb0ELc84ELc85EKPKS1_KPS1_EviT_PT9_S7_lS9_S7_lPT10_S7_li,"axG",@progbits,_ZL37rocblas_syrkx_herkx_restricted_kernelIl19rocblas_complex_numIfELi16ELi32ELi8ELin1ELi0ELb0ELc84ELc85EKPKS1_KPS1_EviT_PT9_S7_lS9_S7_lPT10_S7_li,comdat
	.globl	_ZL37rocblas_syrkx_herkx_restricted_kernelIl19rocblas_complex_numIfELi16ELi32ELi8ELin1ELi0ELb0ELc84ELc85EKPKS1_KPS1_EviT_PT9_S7_lS9_S7_lPT10_S7_li ; -- Begin function _ZL37rocblas_syrkx_herkx_restricted_kernelIl19rocblas_complex_numIfELi16ELi32ELi8ELin1ELi0ELb0ELc84ELc85EKPKS1_KPS1_EviT_PT9_S7_lS9_S7_lPT10_S7_li
	.p2align	8
	.type	_ZL37rocblas_syrkx_herkx_restricted_kernelIl19rocblas_complex_numIfELi16ELi32ELi8ELin1ELi0ELb0ELc84ELc85EKPKS1_KPS1_EviT_PT9_S7_lS9_S7_lPT10_S7_li,@function
_ZL37rocblas_syrkx_herkx_restricted_kernelIl19rocblas_complex_numIfELi16ELi32ELi8ELin1ELi0ELb0ELc84ELc85EKPKS1_KPS1_EviT_PT9_S7_lS9_S7_lPT10_S7_li: ; @_ZL37rocblas_syrkx_herkx_restricted_kernelIl19rocblas_complex_numIfELi16ELi32ELi8ELin1ELi0ELb0ELc84ELc85EKPKS1_KPS1_EviT_PT9_S7_lS9_S7_lPT10_S7_li
; %bb.0:
	s_load_dwordx4 s[0:3], s[4:5], 0x40
	s_load_dwordx4 s[12:15], s[4:5], 0x8
	s_mov_b32 s9, 0
	s_lshl_b64 s[10:11], s[8:9], 3
	s_waitcnt lgkmcnt(0)
	s_add_u32 s0, s0, s10
	s_addc_u32 s1, s1, s11
	s_load_dwordx2 s[8:9], s[0:1], 0x0
	v_cmp_lt_i64_e64 s[0:1], s[12:13], 1
	s_lshl_b32 s6, s6, 5
	s_lshl_b32 s7, s7, 5
	s_and_b64 vcc, exec, s[0:1]
	s_cbranch_vccnz .LBB1563_3
; %bb.1:
	s_load_dwordx2 s[0:1], s[4:5], 0x18
	s_load_dwordx4 s[16:19], s[4:5], 0x28
	v_lshl_add_u32 v4, v1, 4, v0
	v_lshrrev_b32_e32 v6, 3, v4
	v_add_u32_e32 v2, s7, v6
	v_ashrrev_i32_e32 v3, 31, v2
	v_and_b32_e32 v9, 7, v0
	v_mov_b32_e32 v10, 0
	s_waitcnt lgkmcnt(0)
	v_mul_lo_u32 v5, s18, v3
	v_mul_lo_u32 v7, s19, v2
	v_mad_u64_u32 v[2:3], s[18:19], s18, v2, v[9:10]
	s_add_u32 s14, s14, s10
	s_addc_u32 s15, s15, s11
	v_add3_u32 v3, v7, v3, v5
	v_and_b32_e32 v7, 31, v4
	v_lshrrev_b32_e32 v4, 5, v4
	v_lshlrev_b32_e32 v8, 3, v7
	v_lshl_or_b32 v11, v4, 8, v8
	v_lshlrev_b32_e32 v8, 3, v9
	v_lshl_or_b32 v6, v6, 6, v8
	v_add_u32_e32 v12, 0x800, v6
	v_add_u32_e32 v6, s6, v7
	s_add_u32 s10, s16, s10
	v_mov_b32_e32 v5, v10
	v_ashrrev_i32_e32 v7, 31, v6
	s_addc_u32 s11, s17, s11
	v_mul_lo_u32 v7, s0, v7
	v_mad_u64_u32 v[4:5], s[16:17], s0, v6, v[4:5]
	v_mul_lo_u32 v6, s1, v6
	s_load_dwordx2 s[14:15], s[14:15], 0x0
	v_lshlrev_b64 v[2:3], 3, v[2:3]
	s_load_dwordx2 s[10:11], s[10:11], 0x0
	v_add3_u32 v5, v6, v5, v7
	v_lshlrev_b64 v[4:5], 3, v[4:5]
	s_waitcnt lgkmcnt(0)
	v_mov_b32_e32 v7, s15
	v_add_co_u32_e32 v6, vcc, s14, v4
	v_mov_b32_e32 v8, 0x800
	v_addc_co_u32_e32 v7, vcc, v7, v5, vcc
	v_lshl_add_u32 v14, v1, 6, v8
	v_mov_b32_e32 v4, s11
	v_add_co_u32_e32 v8, vcc, s10, v2
	v_lshlrev_b32_e32 v13, 3, v0
	v_addc_co_u32_e32 v9, vcc, v4, v3, vcc
	s_mov_b64 s[0:1], 0
	v_mov_b32_e32 v15, v10
	v_mov_b32_e32 v16, v10
	;; [unrolled: 1-line block ×7, first 2 shown]
.LBB1563_2:                             ; =>This Inner Loop Header: Depth=1
	flat_load_dwordx2 v[2:3], v[6:7]
	s_add_u32 s0, s0, 8
	v_add_co_u32_e32 v6, vcc, 64, v6
	s_addc_u32 s1, s1, 0
	v_addc_co_u32_e32 v7, vcc, 0, v7, vcc
	s_waitcnt vmcnt(0) lgkmcnt(0)
	ds_write_b64 v11, v[2:3]
	flat_load_dwordx2 v[2:3], v[8:9]
	v_add_co_u32_e32 v8, vcc, 64, v8
	v_addc_co_u32_e32 v9, vcc, 0, v9, vcc
	s_waitcnt vmcnt(0) lgkmcnt(0)
	ds_write_b64 v12, v[2:3]
	s_waitcnt lgkmcnt(0)
	s_barrier
	ds_read_b128 v[22:25], v14
	ds_read_b128 v[26:29], v14 offset:16
	ds_read_b128 v[30:33], v14 offset:32
	;; [unrolled: 1-line block ×3, first 2 shown]
	ds_read2_b64 v[34:37], v13 offset1:16
	s_waitcnt lgkmcnt(0)
	v_mul_f32_e32 v38, v23, v35
	v_mul_f32_e32 v39, v22, v35
	v_fma_f32 v38, v22, v34, -v38
	v_fmac_f32_e32 v39, v23, v34
	v_add_f32_e32 v38, v20, v38
	v_add_f32_e32 v39, v21, v39
	v_mul_f32_e32 v20, v23, v37
	v_mul_f32_e32 v21, v22, v37
	v_fma_f32 v20, v22, v36, -v20
	v_fmac_f32_e32 v21, v23, v36
	v_add_f32_e32 v22, v19, v20
	v_add_f32_e32 v23, v18, v21
	ds_read_b128 v[18:21], v14 offset:1024
	s_waitcnt lgkmcnt(0)
	v_mul_f32_e32 v40, v19, v35
	v_mul_f32_e32 v35, v18, v35
	v_fma_f32 v40, v18, v34, -v40
	v_fmac_f32_e32 v35, v19, v34
	v_add_f32_e32 v34, v17, v40
	v_add_f32_e32 v35, v16, v35
	v_mul_f32_e32 v16, v19, v37
	v_mul_f32_e32 v17, v18, v37
	v_fma_f32 v16, v18, v36, -v16
	v_fmac_f32_e32 v17, v19, v36
	v_add_f32_e32 v19, v15, v16
	v_add_f32_e32 v10, v10, v17
	ds_read2_b64 v[15:18], v13 offset0:32 offset1:48
	s_waitcnt lgkmcnt(0)
	v_mul_f32_e32 v36, v25, v16
	v_fma_f32 v36, v24, v15, -v36
	v_add_f32_e32 v36, v38, v36
	v_mul_f32_e32 v38, v25, v18
	v_mul_f32_e32 v37, v24, v16
	v_fma_f32 v38, v24, v17, -v38
	v_mul_f32_e32 v24, v24, v18
	v_fmac_f32_e32 v24, v25, v17
	v_add_f32_e32 v23, v23, v24
	v_mul_f32_e32 v24, v21, v16
	v_mul_f32_e32 v16, v20, v16
	v_fmac_f32_e32 v16, v21, v15
	v_fmac_f32_e32 v37, v25, v15
	v_fma_f32 v24, v20, v15, -v24
	v_add_f32_e32 v25, v35, v16
	v_mul_f32_e32 v15, v21, v18
	v_mul_f32_e32 v16, v20, v18
	v_fma_f32 v15, v20, v17, -v15
	v_fmac_f32_e32 v16, v21, v17
	v_add_f32_e32 v24, v34, v24
	v_add_f32_e32 v34, v19, v15
	;; [unrolled: 1-line block ×3, first 2 shown]
	ds_read2_b64 v[15:18], v13 offset0:64 offset1:80
	v_add_f32_e32 v37, v39, v37
	v_add_f32_e32 v22, v22, v38
	s_waitcnt lgkmcnt(0)
	v_mul_f32_e32 v19, v27, v16
	v_mul_f32_e32 v20, v26, v16
	v_fma_f32 v19, v26, v15, -v19
	v_fmac_f32_e32 v20, v27, v15
	v_add_f32_e32 v35, v36, v19
	v_add_f32_e32 v36, v37, v20
	v_mul_f32_e32 v19, v27, v18
	v_mul_f32_e32 v20, v26, v18
	v_fma_f32 v19, v26, v17, -v19
	v_fmac_f32_e32 v20, v27, v17
	v_add_f32_e32 v26, v22, v19
	v_add_f32_e32 v23, v23, v20
	ds_read_b128 v[19:22], v14 offset:1040
	s_waitcnt lgkmcnt(0)
	v_mul_f32_e32 v27, v20, v16
	v_mul_f32_e32 v16, v19, v16
	v_fmac_f32_e32 v16, v20, v15
	v_fma_f32 v27, v19, v15, -v27
	v_add_f32_e32 v25, v25, v16
	v_mul_f32_e32 v15, v20, v18
	v_mul_f32_e32 v16, v19, v18
	v_fma_f32 v15, v19, v17, -v15
	v_fmac_f32_e32 v16, v20, v17
	v_add_f32_e32 v19, v34, v15
	v_add_f32_e32 v10, v10, v16
	ds_read2_b64 v[15:18], v13 offset0:96 offset1:112
	v_add_f32_e32 v24, v24, v27
	s_waitcnt lgkmcnt(0)
	v_mul_f32_e32 v20, v29, v16
	v_mul_f32_e32 v34, v29, v18
	v_fma_f32 v20, v28, v15, -v20
	v_mul_f32_e32 v27, v28, v16
	v_fma_f32 v34, v28, v17, -v34
	v_mul_f32_e32 v28, v28, v18
	v_fmac_f32_e32 v28, v29, v17
	v_add_f32_e32 v23, v23, v28
	v_mul_f32_e32 v28, v22, v16
	v_mul_f32_e32 v16, v21, v16
	v_fmac_f32_e32 v16, v22, v15
	v_fmac_f32_e32 v27, v29, v15
	v_fma_f32 v28, v21, v15, -v28
	v_add_f32_e32 v25, v25, v16
	v_mul_f32_e32 v15, v22, v18
	v_mul_f32_e32 v16, v21, v18
	v_fma_f32 v15, v21, v17, -v15
	v_fmac_f32_e32 v16, v22, v17
	v_add_f32_e32 v24, v24, v28
	v_add_f32_e32 v28, v19, v15
	;; [unrolled: 1-line block ×3, first 2 shown]
	ds_read2_b64 v[15:18], v13 offset0:128 offset1:144
	v_add_f32_e32 v20, v35, v20
	v_add_f32_e32 v27, v36, v27
	;; [unrolled: 1-line block ×3, first 2 shown]
	s_waitcnt lgkmcnt(0)
	v_mul_f32_e32 v19, v31, v16
	v_fma_f32 v19, v30, v15, -v19
	v_mul_f32_e32 v21, v30, v16
	v_add_f32_e32 v29, v20, v19
	v_mul_f32_e32 v19, v31, v18
	v_mul_f32_e32 v20, v30, v18
	v_fmac_f32_e32 v21, v31, v15
	v_fma_f32 v19, v30, v17, -v19
	v_fmac_f32_e32 v20, v31, v17
	v_add_f32_e32 v27, v27, v21
	v_add_f32_e32 v26, v26, v19
	;; [unrolled: 1-line block ×3, first 2 shown]
	ds_read_b128 v[19:22], v14 offset:1056
	s_waitcnt lgkmcnt(0)
	v_mul_f32_e32 v30, v20, v16
	v_mul_f32_e32 v16, v19, v16
	v_fmac_f32_e32 v16, v20, v15
	v_fma_f32 v30, v19, v15, -v30
	v_add_f32_e32 v25, v25, v16
	v_mul_f32_e32 v15, v20, v18
	v_mul_f32_e32 v16, v19, v18
	v_fma_f32 v15, v19, v17, -v15
	v_fmac_f32_e32 v16, v20, v17
	v_add_f32_e32 v19, v28, v15
	v_add_f32_e32 v10, v10, v16
	ds_read2_b64 v[15:18], v13 offset0:160 offset1:176
	v_add_f32_e32 v24, v24, v30
	s_waitcnt lgkmcnt(0)
	v_mul_f32_e32 v28, v32, v16
	v_fmac_f32_e32 v28, v33, v15
	v_add_f32_e32 v27, v27, v28
	v_mul_f32_e32 v28, v33, v18
	v_fma_f32 v28, v32, v17, -v28
	v_mul_f32_e32 v20, v33, v16
	v_add_f32_e32 v26, v26, v28
	v_mul_f32_e32 v28, v22, v16
	v_mul_f32_e32 v16, v21, v16
	v_fmac_f32_e32 v16, v22, v15
	v_fma_f32 v20, v32, v15, -v20
	v_fma_f32 v28, v21, v15, -v28
	v_add_f32_e32 v25, v25, v16
	v_mul_f32_e32 v15, v22, v18
	v_mul_f32_e32 v16, v21, v18
	v_add_f32_e32 v20, v29, v20
	v_mul_f32_e32 v29, v32, v18
	v_fma_f32 v15, v21, v17, -v15
	v_fmac_f32_e32 v16, v22, v17
	v_fmac_f32_e32 v29, v33, v17
	v_add_f32_e32 v19, v19, v15
	v_add_f32_e32 v10, v10, v16
	ds_read2_b64 v[15:18], v13 offset0:192 offset1:208
	v_add_f32_e32 v24, v24, v28
	v_add_f32_e32 v23, v23, v29
	s_waitcnt lgkmcnt(0)
	v_mul_f32_e32 v21, v3, v16
	v_fma_f32 v21, v2, v15, -v21
	v_add_f32_e32 v28, v20, v21
	v_mul_f32_e32 v20, v3, v18
	v_mul_f32_e32 v22, v2, v16
	v_fma_f32 v20, v2, v17, -v20
	v_mul_f32_e32 v2, v2, v18
	v_fmac_f32_e32 v22, v3, v15
	v_fmac_f32_e32 v2, v3, v17
	v_add_f32_e32 v29, v27, v22
	v_add_f32_e32 v3, v26, v20
	;; [unrolled: 1-line block ×3, first 2 shown]
	ds_read_b128 v[20:23], v14 offset:1072
	s_waitcnt lgkmcnt(0)
	v_mul_f32_e32 v26, v21, v16
	v_fma_f32 v26, v20, v15, -v26
	v_mul_f32_e32 v16, v20, v16
	v_fmac_f32_e32 v16, v21, v15
	v_add_f32_e32 v15, v24, v26
	v_mul_f32_e32 v24, v21, v18
	v_fma_f32 v24, v20, v17, -v24
	v_add_f32_e32 v16, v25, v16
	v_add_f32_e32 v30, v19, v24
	ds_read2_b64 v[24:27], v13 offset0:224 offset1:240
	v_mul_f32_e32 v18, v20, v18
	v_fmac_f32_e32 v18, v21, v17
	v_add_f32_e32 v10, v10, v18
	s_waitcnt lgkmcnt(0)
	v_mul_f32_e32 v17, v5, v25
	v_fma_f32 v17, v4, v24, -v17
	v_add_f32_e32 v20, v28, v17
	v_mul_f32_e32 v17, v5, v27
	v_mul_f32_e32 v18, v4, v25
	v_fma_f32 v17, v4, v26, -v17
	v_mul_f32_e32 v4, v4, v27
	v_fmac_f32_e32 v18, v5, v24
	v_fmac_f32_e32 v4, v5, v26
	v_add_f32_e32 v21, v29, v18
	v_add_f32_e32 v19, v3, v17
	;; [unrolled: 1-line block ×3, first 2 shown]
	v_mul_f32_e32 v2, v23, v25
	v_mul_f32_e32 v3, v22, v25
	v_fma_f32 v2, v22, v24, -v2
	v_fmac_f32_e32 v3, v23, v24
	v_add_f32_e32 v17, v15, v2
	v_add_f32_e32 v16, v16, v3
	v_mul_f32_e32 v2, v23, v27
	v_mul_f32_e32 v3, v22, v27
	v_fma_f32 v2, v22, v26, -v2
	v_fmac_f32_e32 v3, v23, v26
	v_add_f32_e32 v15, v30, v2
	v_add_f32_e32 v10, v10, v3
	v_mov_b32_e32 v3, s1
	v_mov_b32_e32 v2, s0
	v_cmp_le_u64_e32 vcc, s[12:13], v[2:3]
	s_barrier
	s_cbranch_vccz .LBB1563_2
	s_branch .LBB1563_4
.LBB1563_3:
	v_mov_b32_e32 v20, 0
	v_mov_b32_e32 v21, 0
	v_mov_b32_e32 v19, 0
	v_mov_b32_e32 v18, 0
	v_mov_b32_e32 v17, 0
	v_mov_b32_e32 v16, 0
	v_mov_b32_e32 v15, 0
	v_mov_b32_e32 v10, 0
.LBB1563_4:
	v_add_u32_e32 v4, s7, v1
	v_ashrrev_i32_e32 v1, 31, v4
	v_mul_lo_u32 v3, s2, v1
	v_mul_lo_u32 v5, s3, v4
	v_mad_u64_u32 v[1:2], s[0:1], s2, v4, 0
	s_load_dword s10, s[4:5], 0x0
	v_add_u32_e32 v0, s6, v0
	v_add3_u32 v2, v2, v3, v5
	v_lshlrev_b64 v[1:2], 3, v[1:2]
	s_waitcnt lgkmcnt(0)
	v_mov_b32_e32 v3, s9
	v_add_co_u32_e64 v5, s[0:1], s8, v1
	v_addc_co_u32_e64 v6, s[0:1], v3, v2, s[0:1]
	v_cmp_gt_i32_e32 vcc, s10, v4
	v_cmp_le_i32_e64 s[0:1], v0, v4
	s_and_b64 s[0:1], vcc, s[0:1]
	s_and_saveexec_b64 s[4:5], s[0:1]
	s_cbranch_execz .LBB1563_6
; %bb.5:
	v_ashrrev_i32_e32 v1, 31, v0
	v_lshlrev_b64 v[7:8], 3, v[0:1]
	v_xor_b32_e32 v2, 0x80000000, v20
	v_add_co_u32_e64 v7, s[0:1], v5, v7
	v_xor_b32_e32 v3, 0x80000000, v21
	v_addc_co_u32_e64 v8, s[0:1], v6, v8, s[0:1]
	flat_store_dwordx2 v[7:8], v[2:3]
.LBB1563_6:
	s_or_b64 exec, exec, s[4:5]
	v_add_u32_e32 v2, 16, v0
	v_cmp_le_i32_e64 s[0:1], v2, v4
	s_and_b64 s[4:5], vcc, s[0:1]
	s_and_saveexec_b64 s[0:1], s[4:5]
	s_cbranch_execz .LBB1563_8
; %bb.7:
	v_ashrrev_i32_e32 v3, 31, v2
	v_lshlrev_b64 v[11:12], 3, v[2:3]
	v_xor_b32_e32 v7, 0x80000000, v19
	v_add_co_u32_e32 v5, vcc, v5, v11
	v_xor_b32_e32 v8, 0x80000000, v18
	v_addc_co_u32_e32 v6, vcc, v6, v12, vcc
	flat_store_dwordx2 v[5:6], v[7:8]
.LBB1563_8:
	s_or_b64 exec, exec, s[0:1]
	v_add_u32_e32 v3, 16, v4
	v_ashrrev_i32_e32 v1, 31, v3
	v_mul_lo_u32 v1, s2, v1
	v_mul_lo_u32 v6, s3, v3
	v_mad_u64_u32 v[4:5], s[0:1], s2, v3, 0
	v_cmp_gt_i32_e32 vcc, s10, v3
	v_add3_u32 v5, v5, v1, v6
	v_lshlrev_b64 v[4:5], 3, v[4:5]
	v_mov_b32_e32 v1, s9
	v_add_co_u32_e64 v4, s[0:1], s8, v4
	v_addc_co_u32_e64 v5, s[0:1], v1, v5, s[0:1]
	v_cmp_le_i32_e64 s[0:1], v0, v3
	s_and_b64 s[0:1], vcc, s[0:1]
	s_and_saveexec_b64 s[2:3], s[0:1]
	s_cbranch_execz .LBB1563_10
; %bb.9:
	v_ashrrev_i32_e32 v1, 31, v0
	v_lshlrev_b64 v[0:1], 3, v[0:1]
	v_xor_b32_e32 v6, 0x80000000, v17
	v_add_co_u32_e64 v0, s[0:1], v4, v0
	v_xor_b32_e32 v7, 0x80000000, v16
	v_addc_co_u32_e64 v1, s[0:1], v5, v1, s[0:1]
	flat_store_dwordx2 v[0:1], v[6:7]
.LBB1563_10:
	s_or_b64 exec, exec, s[2:3]
	v_cmp_le_i32_e64 s[0:1], v2, v3
	s_and_b64 s[0:1], vcc, s[0:1]
	s_and_saveexec_b64 s[2:3], s[0:1]
	s_cbranch_execz .LBB1563_12
; %bb.11:
	v_ashrrev_i32_e32 v3, 31, v2
	v_lshlrev_b64 v[2:3], 3, v[2:3]
	v_xor_b32_e32 v0, 0x80000000, v15
	v_add_co_u32_e32 v2, vcc, v4, v2
	v_xor_b32_e32 v1, 0x80000000, v10
	v_addc_co_u32_e32 v3, vcc, v5, v3, vcc
	flat_store_dwordx2 v[2:3], v[0:1]
.LBB1563_12:
	s_endpgm
	.section	.rodata,"a",@progbits
	.p2align	6, 0x0
	.amdhsa_kernel _ZL37rocblas_syrkx_herkx_restricted_kernelIl19rocblas_complex_numIfELi16ELi32ELi8ELin1ELi0ELb0ELc84ELc85EKPKS1_KPS1_EviT_PT9_S7_lS9_S7_lPT10_S7_li
		.amdhsa_group_segment_fixed_size 4096
		.amdhsa_private_segment_fixed_size 0
		.amdhsa_kernarg_size 92
		.amdhsa_user_sgpr_count 6
		.amdhsa_user_sgpr_private_segment_buffer 1
		.amdhsa_user_sgpr_dispatch_ptr 0
		.amdhsa_user_sgpr_queue_ptr 0
		.amdhsa_user_sgpr_kernarg_segment_ptr 1
		.amdhsa_user_sgpr_dispatch_id 0
		.amdhsa_user_sgpr_flat_scratch_init 0
		.amdhsa_user_sgpr_private_segment_size 0
		.amdhsa_uses_dynamic_stack 0
		.amdhsa_system_sgpr_private_segment_wavefront_offset 0
		.amdhsa_system_sgpr_workgroup_id_x 1
		.amdhsa_system_sgpr_workgroup_id_y 1
		.amdhsa_system_sgpr_workgroup_id_z 1
		.amdhsa_system_sgpr_workgroup_info 0
		.amdhsa_system_vgpr_workitem_id 1
		.amdhsa_next_free_vgpr 41
		.amdhsa_next_free_sgpr 20
		.amdhsa_reserve_vcc 1
		.amdhsa_reserve_flat_scratch 0
		.amdhsa_float_round_mode_32 0
		.amdhsa_float_round_mode_16_64 0
		.amdhsa_float_denorm_mode_32 3
		.amdhsa_float_denorm_mode_16_64 3
		.amdhsa_dx10_clamp 1
		.amdhsa_ieee_mode 1
		.amdhsa_fp16_overflow 0
		.amdhsa_exception_fp_ieee_invalid_op 0
		.amdhsa_exception_fp_denorm_src 0
		.amdhsa_exception_fp_ieee_div_zero 0
		.amdhsa_exception_fp_ieee_overflow 0
		.amdhsa_exception_fp_ieee_underflow 0
		.amdhsa_exception_fp_ieee_inexact 0
		.amdhsa_exception_int_div_zero 0
	.end_amdhsa_kernel
	.section	.text._ZL37rocblas_syrkx_herkx_restricted_kernelIl19rocblas_complex_numIfELi16ELi32ELi8ELin1ELi0ELb0ELc84ELc85EKPKS1_KPS1_EviT_PT9_S7_lS9_S7_lPT10_S7_li,"axG",@progbits,_ZL37rocblas_syrkx_herkx_restricted_kernelIl19rocblas_complex_numIfELi16ELi32ELi8ELin1ELi0ELb0ELc84ELc85EKPKS1_KPS1_EviT_PT9_S7_lS9_S7_lPT10_S7_li,comdat
.Lfunc_end1563:
	.size	_ZL37rocblas_syrkx_herkx_restricted_kernelIl19rocblas_complex_numIfELi16ELi32ELi8ELin1ELi0ELb0ELc84ELc85EKPKS1_KPS1_EviT_PT9_S7_lS9_S7_lPT10_S7_li, .Lfunc_end1563-_ZL37rocblas_syrkx_herkx_restricted_kernelIl19rocblas_complex_numIfELi16ELi32ELi8ELin1ELi0ELb0ELc84ELc85EKPKS1_KPS1_EviT_PT9_S7_lS9_S7_lPT10_S7_li
                                        ; -- End function
	.set _ZL37rocblas_syrkx_herkx_restricted_kernelIl19rocblas_complex_numIfELi16ELi32ELi8ELin1ELi0ELb0ELc84ELc85EKPKS1_KPS1_EviT_PT9_S7_lS9_S7_lPT10_S7_li.num_vgpr, 41
	.set _ZL37rocblas_syrkx_herkx_restricted_kernelIl19rocblas_complex_numIfELi16ELi32ELi8ELin1ELi0ELb0ELc84ELc85EKPKS1_KPS1_EviT_PT9_S7_lS9_S7_lPT10_S7_li.num_agpr, 0
	.set _ZL37rocblas_syrkx_herkx_restricted_kernelIl19rocblas_complex_numIfELi16ELi32ELi8ELin1ELi0ELb0ELc84ELc85EKPKS1_KPS1_EviT_PT9_S7_lS9_S7_lPT10_S7_li.numbered_sgpr, 20
	.set _ZL37rocblas_syrkx_herkx_restricted_kernelIl19rocblas_complex_numIfELi16ELi32ELi8ELin1ELi0ELb0ELc84ELc85EKPKS1_KPS1_EviT_PT9_S7_lS9_S7_lPT10_S7_li.num_named_barrier, 0
	.set _ZL37rocblas_syrkx_herkx_restricted_kernelIl19rocblas_complex_numIfELi16ELi32ELi8ELin1ELi0ELb0ELc84ELc85EKPKS1_KPS1_EviT_PT9_S7_lS9_S7_lPT10_S7_li.private_seg_size, 0
	.set _ZL37rocblas_syrkx_herkx_restricted_kernelIl19rocblas_complex_numIfELi16ELi32ELi8ELin1ELi0ELb0ELc84ELc85EKPKS1_KPS1_EviT_PT9_S7_lS9_S7_lPT10_S7_li.uses_vcc, 1
	.set _ZL37rocblas_syrkx_herkx_restricted_kernelIl19rocblas_complex_numIfELi16ELi32ELi8ELin1ELi0ELb0ELc84ELc85EKPKS1_KPS1_EviT_PT9_S7_lS9_S7_lPT10_S7_li.uses_flat_scratch, 0
	.set _ZL37rocblas_syrkx_herkx_restricted_kernelIl19rocblas_complex_numIfELi16ELi32ELi8ELin1ELi0ELb0ELc84ELc85EKPKS1_KPS1_EviT_PT9_S7_lS9_S7_lPT10_S7_li.has_dyn_sized_stack, 0
	.set _ZL37rocblas_syrkx_herkx_restricted_kernelIl19rocblas_complex_numIfELi16ELi32ELi8ELin1ELi0ELb0ELc84ELc85EKPKS1_KPS1_EviT_PT9_S7_lS9_S7_lPT10_S7_li.has_recursion, 0
	.set _ZL37rocblas_syrkx_herkx_restricted_kernelIl19rocblas_complex_numIfELi16ELi32ELi8ELin1ELi0ELb0ELc84ELc85EKPKS1_KPS1_EviT_PT9_S7_lS9_S7_lPT10_S7_li.has_indirect_call, 0
	.section	.AMDGPU.csdata,"",@progbits
; Kernel info:
; codeLenInByte = 2012
; TotalNumSgprs: 24
; NumVgprs: 41
; ScratchSize: 0
; MemoryBound: 0
; FloatMode: 240
; IeeeMode: 1
; LDSByteSize: 4096 bytes/workgroup (compile time only)
; SGPRBlocks: 2
; VGPRBlocks: 10
; NumSGPRsForWavesPerEU: 24
; NumVGPRsForWavesPerEU: 41
; Occupancy: 5
; WaveLimiterHint : 1
; COMPUTE_PGM_RSRC2:SCRATCH_EN: 0
; COMPUTE_PGM_RSRC2:USER_SGPR: 6
; COMPUTE_PGM_RSRC2:TRAP_HANDLER: 0
; COMPUTE_PGM_RSRC2:TGID_X_EN: 1
; COMPUTE_PGM_RSRC2:TGID_Y_EN: 1
; COMPUTE_PGM_RSRC2:TGID_Z_EN: 1
; COMPUTE_PGM_RSRC2:TIDIG_COMP_CNT: 1
	.section	.text._ZL37rocblas_syrkx_herkx_restricted_kernelIl19rocblas_complex_numIfELi16ELi32ELi8ELin1ELi0ELb0ELc67ELc85EKPKS1_KPS1_EviT_PT9_S7_lS9_S7_lPT10_S7_li,"axG",@progbits,_ZL37rocblas_syrkx_herkx_restricted_kernelIl19rocblas_complex_numIfELi16ELi32ELi8ELin1ELi0ELb0ELc67ELc85EKPKS1_KPS1_EviT_PT9_S7_lS9_S7_lPT10_S7_li,comdat
	.globl	_ZL37rocblas_syrkx_herkx_restricted_kernelIl19rocblas_complex_numIfELi16ELi32ELi8ELin1ELi0ELb0ELc67ELc85EKPKS1_KPS1_EviT_PT9_S7_lS9_S7_lPT10_S7_li ; -- Begin function _ZL37rocblas_syrkx_herkx_restricted_kernelIl19rocblas_complex_numIfELi16ELi32ELi8ELin1ELi0ELb0ELc67ELc85EKPKS1_KPS1_EviT_PT9_S7_lS9_S7_lPT10_S7_li
	.p2align	8
	.type	_ZL37rocblas_syrkx_herkx_restricted_kernelIl19rocblas_complex_numIfELi16ELi32ELi8ELin1ELi0ELb0ELc67ELc85EKPKS1_KPS1_EviT_PT9_S7_lS9_S7_lPT10_S7_li,@function
_ZL37rocblas_syrkx_herkx_restricted_kernelIl19rocblas_complex_numIfELi16ELi32ELi8ELin1ELi0ELb0ELc67ELc85EKPKS1_KPS1_EviT_PT9_S7_lS9_S7_lPT10_S7_li: ; @_ZL37rocblas_syrkx_herkx_restricted_kernelIl19rocblas_complex_numIfELi16ELi32ELi8ELin1ELi0ELb0ELc67ELc85EKPKS1_KPS1_EviT_PT9_S7_lS9_S7_lPT10_S7_li
; %bb.0:
	s_load_dwordx4 s[0:3], s[4:5], 0x40
	s_load_dwordx4 s[12:15], s[4:5], 0x8
	s_mov_b32 s9, 0
	s_lshl_b64 s[10:11], s[8:9], 3
	s_waitcnt lgkmcnt(0)
	s_add_u32 s0, s0, s10
	s_addc_u32 s1, s1, s11
	s_load_dwordx2 s[8:9], s[0:1], 0x0
	v_cmp_lt_i64_e64 s[0:1], s[12:13], 1
	s_lshl_b32 s6, s6, 5
	s_lshl_b32 s7, s7, 5
	s_and_b64 vcc, exec, s[0:1]
	s_cbranch_vccnz .LBB1564_3
; %bb.1:
	s_load_dwordx2 s[0:1], s[4:5], 0x18
	s_load_dwordx4 s[16:19], s[4:5], 0x28
	v_lshl_add_u32 v4, v1, 4, v0
	v_lshrrev_b32_e32 v6, 3, v4
	v_add_u32_e32 v2, s7, v6
	v_ashrrev_i32_e32 v3, 31, v2
	v_and_b32_e32 v9, 7, v0
	v_mov_b32_e32 v10, 0
	s_waitcnt lgkmcnt(0)
	v_mul_lo_u32 v5, s18, v3
	v_mul_lo_u32 v7, s19, v2
	v_mad_u64_u32 v[2:3], s[18:19], s18, v2, v[9:10]
	s_add_u32 s14, s14, s10
	s_addc_u32 s15, s15, s11
	v_add3_u32 v3, v7, v3, v5
	v_and_b32_e32 v7, 31, v4
	v_lshrrev_b32_e32 v4, 5, v4
	v_lshlrev_b32_e32 v8, 3, v7
	v_lshl_or_b32 v11, v4, 8, v8
	v_lshlrev_b32_e32 v8, 3, v9
	v_lshl_or_b32 v6, v6, 6, v8
	v_add_u32_e32 v12, 0x800, v6
	v_add_u32_e32 v6, s6, v7
	s_add_u32 s10, s16, s10
	v_mov_b32_e32 v5, v10
	v_ashrrev_i32_e32 v7, 31, v6
	s_addc_u32 s11, s17, s11
	v_mul_lo_u32 v7, s0, v7
	v_mad_u64_u32 v[4:5], s[16:17], s0, v6, v[4:5]
	v_mul_lo_u32 v6, s1, v6
	s_load_dwordx2 s[14:15], s[14:15], 0x0
	v_lshlrev_b64 v[2:3], 3, v[2:3]
	s_load_dwordx2 s[10:11], s[10:11], 0x0
	v_add3_u32 v5, v6, v5, v7
	v_lshlrev_b64 v[4:5], 3, v[4:5]
	s_waitcnt lgkmcnt(0)
	v_mov_b32_e32 v7, s15
	v_add_co_u32_e32 v6, vcc, s14, v4
	v_mov_b32_e32 v8, 0x800
	v_addc_co_u32_e32 v7, vcc, v7, v5, vcc
	v_lshl_add_u32 v14, v1, 6, v8
	v_mov_b32_e32 v4, s11
	v_add_co_u32_e32 v8, vcc, s10, v2
	v_lshlrev_b32_e32 v13, 3, v0
	v_addc_co_u32_e32 v9, vcc, v4, v3, vcc
	s_mov_b64 s[0:1], 0
	v_mov_b32_e32 v15, v10
	v_mov_b32_e32 v16, v10
	;; [unrolled: 1-line block ×7, first 2 shown]
.LBB1564_2:                             ; =>This Inner Loop Header: Depth=1
	flat_load_dwordx2 v[2:3], v[6:7]
	s_add_u32 s0, s0, 8
	v_add_co_u32_e32 v6, vcc, 64, v6
	s_addc_u32 s1, s1, 0
	v_addc_co_u32_e32 v7, vcc, 0, v7, vcc
	s_waitcnt vmcnt(0) lgkmcnt(0)
	ds_write_b64 v11, v[2:3]
	flat_load_dwordx2 v[2:3], v[8:9]
	v_add_co_u32_e32 v8, vcc, 64, v8
	v_addc_co_u32_e32 v9, vcc, 0, v9, vcc
	s_waitcnt vmcnt(0) lgkmcnt(0)
	ds_write_b64 v12, v[2:3]
	s_waitcnt lgkmcnt(0)
	s_barrier
	ds_read_b128 v[22:25], v14
	ds_read_b128 v[26:29], v14 offset:16
	ds_read_b128 v[30:33], v14 offset:32
	;; [unrolled: 1-line block ×3, first 2 shown]
	ds_read2_b64 v[34:37], v13 offset1:16
	s_waitcnt lgkmcnt(0)
	v_mul_f32_e32 v38, v23, v35
	v_mul_f32_e32 v39, v22, v35
	v_fma_f32 v38, v22, v34, -v38
	v_fmac_f32_e32 v39, v23, v34
	v_add_f32_e32 v38, v20, v38
	v_add_f32_e32 v39, v21, v39
	v_mul_f32_e32 v20, v23, v37
	v_mul_f32_e32 v21, v22, v37
	v_fma_f32 v20, v22, v36, -v20
	v_fmac_f32_e32 v21, v23, v36
	v_add_f32_e32 v22, v19, v20
	v_add_f32_e32 v23, v18, v21
	ds_read_b128 v[18:21], v14 offset:1024
	s_waitcnt lgkmcnt(0)
	v_mul_f32_e32 v40, v19, v35
	v_mul_f32_e32 v35, v18, v35
	v_fma_f32 v40, v18, v34, -v40
	v_fmac_f32_e32 v35, v19, v34
	v_add_f32_e32 v34, v17, v40
	v_add_f32_e32 v35, v16, v35
	v_mul_f32_e32 v16, v19, v37
	v_mul_f32_e32 v17, v18, v37
	v_fma_f32 v16, v18, v36, -v16
	v_fmac_f32_e32 v17, v19, v36
	v_add_f32_e32 v19, v15, v16
	v_add_f32_e32 v10, v10, v17
	ds_read2_b64 v[15:18], v13 offset0:32 offset1:48
	s_waitcnt lgkmcnt(0)
	v_mul_f32_e32 v36, v25, v16
	v_fma_f32 v36, v24, v15, -v36
	v_add_f32_e32 v36, v38, v36
	v_mul_f32_e32 v38, v25, v18
	v_mul_f32_e32 v37, v24, v16
	v_fma_f32 v38, v24, v17, -v38
	v_mul_f32_e32 v24, v24, v18
	v_fmac_f32_e32 v24, v25, v17
	v_add_f32_e32 v23, v23, v24
	v_mul_f32_e32 v24, v21, v16
	v_mul_f32_e32 v16, v20, v16
	v_fmac_f32_e32 v16, v21, v15
	v_fmac_f32_e32 v37, v25, v15
	v_fma_f32 v24, v20, v15, -v24
	v_add_f32_e32 v25, v35, v16
	v_mul_f32_e32 v15, v21, v18
	v_mul_f32_e32 v16, v20, v18
	v_fma_f32 v15, v20, v17, -v15
	v_fmac_f32_e32 v16, v21, v17
	v_add_f32_e32 v24, v34, v24
	v_add_f32_e32 v34, v19, v15
	;; [unrolled: 1-line block ×3, first 2 shown]
	ds_read2_b64 v[15:18], v13 offset0:64 offset1:80
	v_add_f32_e32 v37, v39, v37
	v_add_f32_e32 v22, v22, v38
	s_waitcnt lgkmcnt(0)
	v_mul_f32_e32 v19, v27, v16
	v_mul_f32_e32 v20, v26, v16
	v_fma_f32 v19, v26, v15, -v19
	v_fmac_f32_e32 v20, v27, v15
	v_add_f32_e32 v35, v36, v19
	v_add_f32_e32 v36, v37, v20
	v_mul_f32_e32 v19, v27, v18
	v_mul_f32_e32 v20, v26, v18
	v_fma_f32 v19, v26, v17, -v19
	v_fmac_f32_e32 v20, v27, v17
	v_add_f32_e32 v26, v22, v19
	v_add_f32_e32 v23, v23, v20
	ds_read_b128 v[19:22], v14 offset:1040
	s_waitcnt lgkmcnt(0)
	v_mul_f32_e32 v27, v20, v16
	v_mul_f32_e32 v16, v19, v16
	v_fmac_f32_e32 v16, v20, v15
	v_fma_f32 v27, v19, v15, -v27
	v_add_f32_e32 v25, v25, v16
	v_mul_f32_e32 v15, v20, v18
	v_mul_f32_e32 v16, v19, v18
	v_fma_f32 v15, v19, v17, -v15
	v_fmac_f32_e32 v16, v20, v17
	v_add_f32_e32 v19, v34, v15
	v_add_f32_e32 v10, v10, v16
	ds_read2_b64 v[15:18], v13 offset0:96 offset1:112
	v_add_f32_e32 v24, v24, v27
	s_waitcnt lgkmcnt(0)
	v_mul_f32_e32 v20, v29, v16
	v_mul_f32_e32 v34, v29, v18
	v_fma_f32 v20, v28, v15, -v20
	v_mul_f32_e32 v27, v28, v16
	v_fma_f32 v34, v28, v17, -v34
	v_mul_f32_e32 v28, v28, v18
	v_fmac_f32_e32 v28, v29, v17
	v_add_f32_e32 v23, v23, v28
	v_mul_f32_e32 v28, v22, v16
	v_mul_f32_e32 v16, v21, v16
	v_fmac_f32_e32 v16, v22, v15
	v_fmac_f32_e32 v27, v29, v15
	v_fma_f32 v28, v21, v15, -v28
	v_add_f32_e32 v25, v25, v16
	v_mul_f32_e32 v15, v22, v18
	v_mul_f32_e32 v16, v21, v18
	v_fma_f32 v15, v21, v17, -v15
	v_fmac_f32_e32 v16, v22, v17
	v_add_f32_e32 v24, v24, v28
	v_add_f32_e32 v28, v19, v15
	v_add_f32_e32 v10, v10, v16
	ds_read2_b64 v[15:18], v13 offset0:128 offset1:144
	v_add_f32_e32 v20, v35, v20
	v_add_f32_e32 v27, v36, v27
	v_add_f32_e32 v26, v26, v34
	s_waitcnt lgkmcnt(0)
	v_mul_f32_e32 v19, v31, v16
	v_fma_f32 v19, v30, v15, -v19
	v_mul_f32_e32 v21, v30, v16
	v_add_f32_e32 v29, v20, v19
	v_mul_f32_e32 v19, v31, v18
	v_mul_f32_e32 v20, v30, v18
	v_fmac_f32_e32 v21, v31, v15
	v_fma_f32 v19, v30, v17, -v19
	v_fmac_f32_e32 v20, v31, v17
	v_add_f32_e32 v27, v27, v21
	v_add_f32_e32 v26, v26, v19
	;; [unrolled: 1-line block ×3, first 2 shown]
	ds_read_b128 v[19:22], v14 offset:1056
	s_waitcnt lgkmcnt(0)
	v_mul_f32_e32 v30, v20, v16
	v_mul_f32_e32 v16, v19, v16
	v_fmac_f32_e32 v16, v20, v15
	v_fma_f32 v30, v19, v15, -v30
	v_add_f32_e32 v25, v25, v16
	v_mul_f32_e32 v15, v20, v18
	v_mul_f32_e32 v16, v19, v18
	v_fma_f32 v15, v19, v17, -v15
	v_fmac_f32_e32 v16, v20, v17
	v_add_f32_e32 v19, v28, v15
	v_add_f32_e32 v10, v10, v16
	ds_read2_b64 v[15:18], v13 offset0:160 offset1:176
	v_add_f32_e32 v24, v24, v30
	s_waitcnt lgkmcnt(0)
	v_mul_f32_e32 v28, v32, v16
	v_fmac_f32_e32 v28, v33, v15
	v_add_f32_e32 v27, v27, v28
	v_mul_f32_e32 v28, v33, v18
	v_fma_f32 v28, v32, v17, -v28
	v_mul_f32_e32 v20, v33, v16
	v_add_f32_e32 v26, v26, v28
	v_mul_f32_e32 v28, v22, v16
	v_mul_f32_e32 v16, v21, v16
	v_fmac_f32_e32 v16, v22, v15
	v_fma_f32 v20, v32, v15, -v20
	v_fma_f32 v28, v21, v15, -v28
	v_add_f32_e32 v25, v25, v16
	v_mul_f32_e32 v15, v22, v18
	v_mul_f32_e32 v16, v21, v18
	v_add_f32_e32 v20, v29, v20
	v_mul_f32_e32 v29, v32, v18
	v_fma_f32 v15, v21, v17, -v15
	v_fmac_f32_e32 v16, v22, v17
	v_fmac_f32_e32 v29, v33, v17
	v_add_f32_e32 v19, v19, v15
	v_add_f32_e32 v10, v10, v16
	ds_read2_b64 v[15:18], v13 offset0:192 offset1:208
	v_add_f32_e32 v24, v24, v28
	v_add_f32_e32 v23, v23, v29
	s_waitcnt lgkmcnt(0)
	v_mul_f32_e32 v21, v3, v16
	v_fma_f32 v21, v2, v15, -v21
	v_add_f32_e32 v28, v20, v21
	v_mul_f32_e32 v20, v3, v18
	v_mul_f32_e32 v22, v2, v16
	v_fma_f32 v20, v2, v17, -v20
	v_mul_f32_e32 v2, v2, v18
	v_fmac_f32_e32 v22, v3, v15
	v_fmac_f32_e32 v2, v3, v17
	v_add_f32_e32 v29, v27, v22
	v_add_f32_e32 v3, v26, v20
	;; [unrolled: 1-line block ×3, first 2 shown]
	ds_read_b128 v[20:23], v14 offset:1072
	s_waitcnt lgkmcnt(0)
	v_mul_f32_e32 v26, v21, v16
	v_fma_f32 v26, v20, v15, -v26
	v_mul_f32_e32 v16, v20, v16
	v_fmac_f32_e32 v16, v21, v15
	v_add_f32_e32 v15, v24, v26
	v_mul_f32_e32 v24, v21, v18
	v_fma_f32 v24, v20, v17, -v24
	v_add_f32_e32 v16, v25, v16
	v_add_f32_e32 v30, v19, v24
	ds_read2_b64 v[24:27], v13 offset0:224 offset1:240
	v_mul_f32_e32 v18, v20, v18
	v_fmac_f32_e32 v18, v21, v17
	v_add_f32_e32 v10, v10, v18
	s_waitcnt lgkmcnt(0)
	v_mul_f32_e32 v17, v5, v25
	v_fma_f32 v17, v4, v24, -v17
	v_add_f32_e32 v20, v28, v17
	v_mul_f32_e32 v17, v5, v27
	v_mul_f32_e32 v18, v4, v25
	v_fma_f32 v17, v4, v26, -v17
	v_mul_f32_e32 v4, v4, v27
	v_fmac_f32_e32 v18, v5, v24
	v_fmac_f32_e32 v4, v5, v26
	v_add_f32_e32 v21, v29, v18
	v_add_f32_e32 v19, v3, v17
	;; [unrolled: 1-line block ×3, first 2 shown]
	v_mul_f32_e32 v2, v23, v25
	v_mul_f32_e32 v3, v22, v25
	v_fma_f32 v2, v22, v24, -v2
	v_fmac_f32_e32 v3, v23, v24
	v_add_f32_e32 v17, v15, v2
	v_add_f32_e32 v16, v16, v3
	v_mul_f32_e32 v2, v23, v27
	v_mul_f32_e32 v3, v22, v27
	v_fma_f32 v2, v22, v26, -v2
	v_fmac_f32_e32 v3, v23, v26
	v_add_f32_e32 v15, v30, v2
	v_add_f32_e32 v10, v10, v3
	v_mov_b32_e32 v3, s1
	v_mov_b32_e32 v2, s0
	v_cmp_le_u64_e32 vcc, s[12:13], v[2:3]
	s_barrier
	s_cbranch_vccz .LBB1564_2
	s_branch .LBB1564_4
.LBB1564_3:
	v_mov_b32_e32 v20, 0
	v_mov_b32_e32 v21, 0
	;; [unrolled: 1-line block ×8, first 2 shown]
.LBB1564_4:
	v_add_u32_e32 v4, s7, v1
	v_ashrrev_i32_e32 v1, 31, v4
	v_mul_lo_u32 v3, s2, v1
	v_mul_lo_u32 v5, s3, v4
	v_mad_u64_u32 v[1:2], s[0:1], s2, v4, 0
	s_load_dword s10, s[4:5], 0x0
	v_add_u32_e32 v0, s6, v0
	v_add3_u32 v2, v2, v3, v5
	v_lshlrev_b64 v[1:2], 3, v[1:2]
	s_waitcnt lgkmcnt(0)
	v_mov_b32_e32 v3, s9
	v_add_co_u32_e64 v5, s[0:1], s8, v1
	v_addc_co_u32_e64 v6, s[0:1], v3, v2, s[0:1]
	v_cmp_gt_i32_e32 vcc, s10, v4
	v_cmp_le_i32_e64 s[0:1], v0, v4
	s_and_b64 s[0:1], vcc, s[0:1]
	s_and_saveexec_b64 s[4:5], s[0:1]
	s_cbranch_execz .LBB1564_6
; %bb.5:
	v_ashrrev_i32_e32 v1, 31, v0
	v_lshlrev_b64 v[7:8], 3, v[0:1]
	v_xor_b32_e32 v2, 0x80000000, v20
	v_add_co_u32_e64 v7, s[0:1], v5, v7
	v_xor_b32_e32 v3, 0x80000000, v21
	v_addc_co_u32_e64 v8, s[0:1], v6, v8, s[0:1]
	flat_store_dwordx2 v[7:8], v[2:3]
.LBB1564_6:
	s_or_b64 exec, exec, s[4:5]
	v_add_u32_e32 v2, 16, v0
	v_cmp_le_i32_e64 s[0:1], v2, v4
	s_and_b64 s[4:5], vcc, s[0:1]
	s_and_saveexec_b64 s[0:1], s[4:5]
	s_cbranch_execz .LBB1564_8
; %bb.7:
	v_ashrrev_i32_e32 v3, 31, v2
	v_lshlrev_b64 v[11:12], 3, v[2:3]
	v_xor_b32_e32 v7, 0x80000000, v19
	v_add_co_u32_e32 v5, vcc, v5, v11
	v_xor_b32_e32 v8, 0x80000000, v18
	v_addc_co_u32_e32 v6, vcc, v6, v12, vcc
	flat_store_dwordx2 v[5:6], v[7:8]
.LBB1564_8:
	s_or_b64 exec, exec, s[0:1]
	v_add_u32_e32 v3, 16, v4
	v_ashrrev_i32_e32 v1, 31, v3
	v_mul_lo_u32 v1, s2, v1
	v_mul_lo_u32 v6, s3, v3
	v_mad_u64_u32 v[4:5], s[0:1], s2, v3, 0
	v_cmp_gt_i32_e32 vcc, s10, v3
	v_add3_u32 v5, v5, v1, v6
	v_lshlrev_b64 v[4:5], 3, v[4:5]
	v_mov_b32_e32 v1, s9
	v_add_co_u32_e64 v4, s[0:1], s8, v4
	v_addc_co_u32_e64 v5, s[0:1], v1, v5, s[0:1]
	v_cmp_le_i32_e64 s[0:1], v0, v3
	s_and_b64 s[0:1], vcc, s[0:1]
	s_and_saveexec_b64 s[2:3], s[0:1]
	s_cbranch_execz .LBB1564_10
; %bb.9:
	v_ashrrev_i32_e32 v1, 31, v0
	v_lshlrev_b64 v[0:1], 3, v[0:1]
	v_xor_b32_e32 v6, 0x80000000, v17
	v_add_co_u32_e64 v0, s[0:1], v4, v0
	v_xor_b32_e32 v7, 0x80000000, v16
	v_addc_co_u32_e64 v1, s[0:1], v5, v1, s[0:1]
	flat_store_dwordx2 v[0:1], v[6:7]
.LBB1564_10:
	s_or_b64 exec, exec, s[2:3]
	v_cmp_le_i32_e64 s[0:1], v2, v3
	s_and_b64 s[0:1], vcc, s[0:1]
	s_and_saveexec_b64 s[2:3], s[0:1]
	s_cbranch_execz .LBB1564_12
; %bb.11:
	v_ashrrev_i32_e32 v3, 31, v2
	v_lshlrev_b64 v[2:3], 3, v[2:3]
	v_xor_b32_e32 v0, 0x80000000, v15
	v_add_co_u32_e32 v2, vcc, v4, v2
	v_xor_b32_e32 v1, 0x80000000, v10
	v_addc_co_u32_e32 v3, vcc, v5, v3, vcc
	flat_store_dwordx2 v[2:3], v[0:1]
.LBB1564_12:
	s_endpgm
	.section	.rodata,"a",@progbits
	.p2align	6, 0x0
	.amdhsa_kernel _ZL37rocblas_syrkx_herkx_restricted_kernelIl19rocblas_complex_numIfELi16ELi32ELi8ELin1ELi0ELb0ELc67ELc85EKPKS1_KPS1_EviT_PT9_S7_lS9_S7_lPT10_S7_li
		.amdhsa_group_segment_fixed_size 4096
		.amdhsa_private_segment_fixed_size 0
		.amdhsa_kernarg_size 92
		.amdhsa_user_sgpr_count 6
		.amdhsa_user_sgpr_private_segment_buffer 1
		.amdhsa_user_sgpr_dispatch_ptr 0
		.amdhsa_user_sgpr_queue_ptr 0
		.amdhsa_user_sgpr_kernarg_segment_ptr 1
		.amdhsa_user_sgpr_dispatch_id 0
		.amdhsa_user_sgpr_flat_scratch_init 0
		.amdhsa_user_sgpr_private_segment_size 0
		.amdhsa_uses_dynamic_stack 0
		.amdhsa_system_sgpr_private_segment_wavefront_offset 0
		.amdhsa_system_sgpr_workgroup_id_x 1
		.amdhsa_system_sgpr_workgroup_id_y 1
		.amdhsa_system_sgpr_workgroup_id_z 1
		.amdhsa_system_sgpr_workgroup_info 0
		.amdhsa_system_vgpr_workitem_id 1
		.amdhsa_next_free_vgpr 41
		.amdhsa_next_free_sgpr 20
		.amdhsa_reserve_vcc 1
		.amdhsa_reserve_flat_scratch 0
		.amdhsa_float_round_mode_32 0
		.amdhsa_float_round_mode_16_64 0
		.amdhsa_float_denorm_mode_32 3
		.amdhsa_float_denorm_mode_16_64 3
		.amdhsa_dx10_clamp 1
		.amdhsa_ieee_mode 1
		.amdhsa_fp16_overflow 0
		.amdhsa_exception_fp_ieee_invalid_op 0
		.amdhsa_exception_fp_denorm_src 0
		.amdhsa_exception_fp_ieee_div_zero 0
		.amdhsa_exception_fp_ieee_overflow 0
		.amdhsa_exception_fp_ieee_underflow 0
		.amdhsa_exception_fp_ieee_inexact 0
		.amdhsa_exception_int_div_zero 0
	.end_amdhsa_kernel
	.section	.text._ZL37rocblas_syrkx_herkx_restricted_kernelIl19rocblas_complex_numIfELi16ELi32ELi8ELin1ELi0ELb0ELc67ELc85EKPKS1_KPS1_EviT_PT9_S7_lS9_S7_lPT10_S7_li,"axG",@progbits,_ZL37rocblas_syrkx_herkx_restricted_kernelIl19rocblas_complex_numIfELi16ELi32ELi8ELin1ELi0ELb0ELc67ELc85EKPKS1_KPS1_EviT_PT9_S7_lS9_S7_lPT10_S7_li,comdat
.Lfunc_end1564:
	.size	_ZL37rocblas_syrkx_herkx_restricted_kernelIl19rocblas_complex_numIfELi16ELi32ELi8ELin1ELi0ELb0ELc67ELc85EKPKS1_KPS1_EviT_PT9_S7_lS9_S7_lPT10_S7_li, .Lfunc_end1564-_ZL37rocblas_syrkx_herkx_restricted_kernelIl19rocblas_complex_numIfELi16ELi32ELi8ELin1ELi0ELb0ELc67ELc85EKPKS1_KPS1_EviT_PT9_S7_lS9_S7_lPT10_S7_li
                                        ; -- End function
	.set _ZL37rocblas_syrkx_herkx_restricted_kernelIl19rocblas_complex_numIfELi16ELi32ELi8ELin1ELi0ELb0ELc67ELc85EKPKS1_KPS1_EviT_PT9_S7_lS9_S7_lPT10_S7_li.num_vgpr, 41
	.set _ZL37rocblas_syrkx_herkx_restricted_kernelIl19rocblas_complex_numIfELi16ELi32ELi8ELin1ELi0ELb0ELc67ELc85EKPKS1_KPS1_EviT_PT9_S7_lS9_S7_lPT10_S7_li.num_agpr, 0
	.set _ZL37rocblas_syrkx_herkx_restricted_kernelIl19rocblas_complex_numIfELi16ELi32ELi8ELin1ELi0ELb0ELc67ELc85EKPKS1_KPS1_EviT_PT9_S7_lS9_S7_lPT10_S7_li.numbered_sgpr, 20
	.set _ZL37rocblas_syrkx_herkx_restricted_kernelIl19rocblas_complex_numIfELi16ELi32ELi8ELin1ELi0ELb0ELc67ELc85EKPKS1_KPS1_EviT_PT9_S7_lS9_S7_lPT10_S7_li.num_named_barrier, 0
	.set _ZL37rocblas_syrkx_herkx_restricted_kernelIl19rocblas_complex_numIfELi16ELi32ELi8ELin1ELi0ELb0ELc67ELc85EKPKS1_KPS1_EviT_PT9_S7_lS9_S7_lPT10_S7_li.private_seg_size, 0
	.set _ZL37rocblas_syrkx_herkx_restricted_kernelIl19rocblas_complex_numIfELi16ELi32ELi8ELin1ELi0ELb0ELc67ELc85EKPKS1_KPS1_EviT_PT9_S7_lS9_S7_lPT10_S7_li.uses_vcc, 1
	.set _ZL37rocblas_syrkx_herkx_restricted_kernelIl19rocblas_complex_numIfELi16ELi32ELi8ELin1ELi0ELb0ELc67ELc85EKPKS1_KPS1_EviT_PT9_S7_lS9_S7_lPT10_S7_li.uses_flat_scratch, 0
	.set _ZL37rocblas_syrkx_herkx_restricted_kernelIl19rocblas_complex_numIfELi16ELi32ELi8ELin1ELi0ELb0ELc67ELc85EKPKS1_KPS1_EviT_PT9_S7_lS9_S7_lPT10_S7_li.has_dyn_sized_stack, 0
	.set _ZL37rocblas_syrkx_herkx_restricted_kernelIl19rocblas_complex_numIfELi16ELi32ELi8ELin1ELi0ELb0ELc67ELc85EKPKS1_KPS1_EviT_PT9_S7_lS9_S7_lPT10_S7_li.has_recursion, 0
	.set _ZL37rocblas_syrkx_herkx_restricted_kernelIl19rocblas_complex_numIfELi16ELi32ELi8ELin1ELi0ELb0ELc67ELc85EKPKS1_KPS1_EviT_PT9_S7_lS9_S7_lPT10_S7_li.has_indirect_call, 0
	.section	.AMDGPU.csdata,"",@progbits
; Kernel info:
; codeLenInByte = 2012
; TotalNumSgprs: 24
; NumVgprs: 41
; ScratchSize: 0
; MemoryBound: 0
; FloatMode: 240
; IeeeMode: 1
; LDSByteSize: 4096 bytes/workgroup (compile time only)
; SGPRBlocks: 2
; VGPRBlocks: 10
; NumSGPRsForWavesPerEU: 24
; NumVGPRsForWavesPerEU: 41
; Occupancy: 5
; WaveLimiterHint : 1
; COMPUTE_PGM_RSRC2:SCRATCH_EN: 0
; COMPUTE_PGM_RSRC2:USER_SGPR: 6
; COMPUTE_PGM_RSRC2:TRAP_HANDLER: 0
; COMPUTE_PGM_RSRC2:TGID_X_EN: 1
; COMPUTE_PGM_RSRC2:TGID_Y_EN: 1
; COMPUTE_PGM_RSRC2:TGID_Z_EN: 1
; COMPUTE_PGM_RSRC2:TIDIG_COMP_CNT: 1
	.section	.text._ZL37rocblas_syrkx_herkx_restricted_kernelIl19rocblas_complex_numIfELi16ELi32ELi8ELin1ELi0ELb0ELc78ELc85EKPKS1_KPS1_EviT_PT9_S7_lS9_S7_lPT10_S7_li,"axG",@progbits,_ZL37rocblas_syrkx_herkx_restricted_kernelIl19rocblas_complex_numIfELi16ELi32ELi8ELin1ELi0ELb0ELc78ELc85EKPKS1_KPS1_EviT_PT9_S7_lS9_S7_lPT10_S7_li,comdat
	.globl	_ZL37rocblas_syrkx_herkx_restricted_kernelIl19rocblas_complex_numIfELi16ELi32ELi8ELin1ELi0ELb0ELc78ELc85EKPKS1_KPS1_EviT_PT9_S7_lS9_S7_lPT10_S7_li ; -- Begin function _ZL37rocblas_syrkx_herkx_restricted_kernelIl19rocblas_complex_numIfELi16ELi32ELi8ELin1ELi0ELb0ELc78ELc85EKPKS1_KPS1_EviT_PT9_S7_lS9_S7_lPT10_S7_li
	.p2align	8
	.type	_ZL37rocblas_syrkx_herkx_restricted_kernelIl19rocblas_complex_numIfELi16ELi32ELi8ELin1ELi0ELb0ELc78ELc85EKPKS1_KPS1_EviT_PT9_S7_lS9_S7_lPT10_S7_li,@function
_ZL37rocblas_syrkx_herkx_restricted_kernelIl19rocblas_complex_numIfELi16ELi32ELi8ELin1ELi0ELb0ELc78ELc85EKPKS1_KPS1_EviT_PT9_S7_lS9_S7_lPT10_S7_li: ; @_ZL37rocblas_syrkx_herkx_restricted_kernelIl19rocblas_complex_numIfELi16ELi32ELi8ELin1ELi0ELb0ELc78ELc85EKPKS1_KPS1_EviT_PT9_S7_lS9_S7_lPT10_S7_li
; %bb.0:
	s_load_dwordx4 s[0:3], s[4:5], 0x40
	s_load_dwordx4 s[12:15], s[4:5], 0x8
	s_mov_b32 s9, 0
	s_lshl_b64 s[18:19], s[8:9], 3
	s_waitcnt lgkmcnt(0)
	s_add_u32 s0, s0, s18
	s_addc_u32 s1, s1, s19
	s_load_dwordx2 s[16:17], s[0:1], 0x0
	v_cmp_lt_i64_e64 s[0:1], s[12:13], 1
	s_lshl_b32 s20, s6, 5
	s_lshl_b32 s21, s7, 5
	s_and_b64 vcc, exec, s[0:1]
	s_cbranch_vccnz .LBB1565_3
; %bb.1:
	s_load_dwordx2 s[0:1], s[4:5], 0x18
	s_load_dwordx4 s[8:11], s[4:5], 0x28
	v_lshl_add_u32 v5, v1, 4, v0
	v_lshrrev_b32_e32 v7, 3, v5
	v_add_u32_e32 v2, s21, v7
	v_and_b32_e32 v6, 7, v0
	v_ashrrev_i32_e32 v3, 31, v2
	s_waitcnt lgkmcnt(0)
	v_mad_u64_u32 v[2:3], s[6:7], s10, v6, v[2:3]
	s_add_u32 s6, s14, s18
	s_addc_u32 s7, s15, s19
	v_mad_u64_u32 v[3:4], s[14:15], s11, v6, v[3:4]
	v_and_b32_e32 v4, 31, v5
	v_lshrrev_b32_e32 v8, 5, v5
	v_lshlrev_b32_e32 v5, 3, v4
	v_add_u32_e32 v4, s20, v4
	v_lshl_or_b32 v10, v8, 8, v5
	v_ashrrev_i32_e32 v5, 31, v4
	v_mad_u64_u32 v[4:5], s[14:15], s0, v8, v[4:5]
	v_lshlrev_b32_e32 v6, 3, v6
	v_lshl_or_b32 v6, v7, 6, v6
	v_add_u32_e32 v11, 0x800, v6
	v_mad_u64_u32 v[5:6], s[14:15], s1, v8, v[5:6]
	s_load_dwordx2 s[6:7], s[6:7], 0x0
	s_add_u32 s8, s8, s18
	s_addc_u32 s9, s9, s19
	s_load_dwordx2 s[8:9], s[8:9], 0x0
	v_lshlrev_b64 v[4:5], 3, v[4:5]
	v_mov_b32_e32 v6, 0x800
	v_lshl_add_u32 v13, v1, 6, v6
	s_waitcnt lgkmcnt(0)
	v_mov_b32_e32 v7, s7
	v_add_co_u32_e32 v6, vcc, s6, v4
	v_lshlrev_b64 v[2:3], 3, v[2:3]
	v_addc_co_u32_e32 v7, vcc, v7, v5, vcc
	s_lshl_b64 s[0:1], s[0:1], 6
	v_mov_b32_e32 v4, s9
	v_add_co_u32_e32 v8, vcc, s8, v2
	s_lshl_b64 s[6:7], s[10:11], 6
	v_lshlrev_b32_e32 v12, 3, v0
	v_addc_co_u32_e32 v9, vcc, v4, v3, vcc
	v_mov_b32_e32 v16, 0
	s_mov_b64 s[8:9], 0
	v_mov_b32_e32 v14, s1
	v_mov_b32_e32 v15, s7
	;; [unrolled: 1-line block ×9, first 2 shown]
.LBB1565_2:                             ; =>This Inner Loop Header: Depth=1
	flat_load_dwordx2 v[2:3], v[6:7]
	v_add_co_u32_e32 v6, vcc, s0, v6
	s_add_u32 s8, s8, 8
	v_addc_co_u32_e32 v7, vcc, v7, v14, vcc
	s_addc_u32 s9, s9, 0
	s_waitcnt vmcnt(0) lgkmcnt(0)
	ds_write_b64 v10, v[2:3]
	flat_load_dwordx2 v[2:3], v[8:9]
	v_add_co_u32_e32 v8, vcc, s6, v8
	v_addc_co_u32_e32 v9, vcc, v9, v15, vcc
	s_waitcnt vmcnt(0) lgkmcnt(0)
	ds_write_b64 v11, v[2:3]
	s_waitcnt lgkmcnt(0)
	s_barrier
	ds_read_b128 v[24:27], v13
	ds_read_b128 v[28:31], v13 offset:16
	ds_read_b128 v[32:35], v13 offset:32
	;; [unrolled: 1-line block ×3, first 2 shown]
	ds_read2_b64 v[36:39], v12 offset1:16
	s_waitcnt lgkmcnt(0)
	v_mul_f32_e32 v40, v25, v37
	v_mul_f32_e32 v41, v24, v37
	v_fma_f32 v40, v24, v36, -v40
	v_fmac_f32_e32 v41, v25, v36
	v_add_f32_e32 v40, v22, v40
	v_add_f32_e32 v41, v23, v41
	v_mul_f32_e32 v22, v25, v39
	v_mul_f32_e32 v23, v24, v39
	v_fma_f32 v22, v24, v38, -v22
	v_fmac_f32_e32 v23, v25, v38
	v_add_f32_e32 v24, v21, v22
	v_add_f32_e32 v25, v20, v23
	ds_read_b128 v[20:23], v13 offset:1024
	s_waitcnt lgkmcnt(0)
	v_mul_f32_e32 v42, v21, v37
	v_mul_f32_e32 v37, v20, v37
	v_fma_f32 v42, v20, v36, -v42
	v_fmac_f32_e32 v37, v21, v36
	v_add_f32_e32 v36, v19, v42
	v_add_f32_e32 v37, v18, v37
	v_mul_f32_e32 v18, v21, v39
	v_mul_f32_e32 v19, v20, v39
	v_fma_f32 v18, v20, v38, -v18
	v_fmac_f32_e32 v19, v21, v38
	v_add_f32_e32 v20, v17, v18
	v_add_f32_e32 v21, v16, v19
	ds_read2_b64 v[16:19], v12 offset0:32 offset1:48
	s_waitcnt lgkmcnt(0)
	v_mul_f32_e32 v38, v27, v17
	v_fma_f32 v38, v26, v16, -v38
	v_add_f32_e32 v38, v40, v38
	v_mul_f32_e32 v40, v27, v19
	v_mul_f32_e32 v39, v26, v17
	v_fma_f32 v40, v26, v18, -v40
	v_mul_f32_e32 v26, v26, v19
	v_fmac_f32_e32 v26, v27, v18
	v_add_f32_e32 v25, v25, v26
	v_mul_f32_e32 v26, v23, v17
	v_mul_f32_e32 v17, v22, v17
	v_fmac_f32_e32 v17, v23, v16
	v_fmac_f32_e32 v39, v27, v16
	v_fma_f32 v26, v22, v16, -v26
	v_add_f32_e32 v27, v37, v17
	v_mul_f32_e32 v16, v23, v19
	v_mul_f32_e32 v17, v22, v19
	v_fma_f32 v16, v22, v18, -v16
	v_fmac_f32_e32 v17, v23, v18
	v_add_f32_e32 v26, v36, v26
	v_add_f32_e32 v36, v20, v16
	;; [unrolled: 1-line block ×3, first 2 shown]
	ds_read2_b64 v[16:19], v12 offset0:64 offset1:80
	v_add_f32_e32 v39, v41, v39
	v_add_f32_e32 v24, v24, v40
	s_waitcnt lgkmcnt(0)
	v_mul_f32_e32 v20, v29, v17
	v_mul_f32_e32 v21, v28, v17
	v_fma_f32 v20, v28, v16, -v20
	v_fmac_f32_e32 v21, v29, v16
	v_add_f32_e32 v38, v38, v20
	v_add_f32_e32 v39, v39, v21
	v_mul_f32_e32 v20, v29, v19
	v_mul_f32_e32 v21, v28, v19
	v_fma_f32 v20, v28, v18, -v20
	v_fmac_f32_e32 v21, v29, v18
	v_add_f32_e32 v24, v24, v20
	v_add_f32_e32 v25, v25, v21
	ds_read_b128 v[20:23], v13 offset:1040
	s_waitcnt lgkmcnt(0)
	v_mul_f32_e32 v28, v21, v17
	v_mul_f32_e32 v17, v20, v17
	v_fmac_f32_e32 v17, v21, v16
	v_fma_f32 v28, v20, v16, -v28
	v_add_f32_e32 v27, v27, v17
	v_mul_f32_e32 v16, v21, v19
	v_mul_f32_e32 v17, v20, v19
	v_fma_f32 v16, v20, v18, -v16
	v_fmac_f32_e32 v17, v21, v18
	v_add_f32_e32 v20, v36, v16
	v_add_f32_e32 v21, v37, v17
	ds_read2_b64 v[16:19], v12 offset0:96 offset1:112
	v_add_f32_e32 v26, v26, v28
	s_waitcnt lgkmcnt(0)
	v_mul_f32_e32 v28, v31, v17
	v_mul_f32_e32 v36, v31, v19
	v_fma_f32 v28, v30, v16, -v28
	v_mul_f32_e32 v29, v30, v17
	v_fma_f32 v36, v30, v18, -v36
	v_mul_f32_e32 v30, v30, v19
	v_fmac_f32_e32 v30, v31, v18
	v_add_f32_e32 v25, v25, v30
	v_mul_f32_e32 v30, v23, v17
	v_mul_f32_e32 v17, v22, v17
	v_fmac_f32_e32 v17, v23, v16
	v_fmac_f32_e32 v29, v31, v16
	v_fma_f32 v30, v22, v16, -v30
	v_add_f32_e32 v27, v27, v17
	v_mul_f32_e32 v16, v23, v19
	v_mul_f32_e32 v17, v22, v19
	v_fma_f32 v16, v22, v18, -v16
	v_fmac_f32_e32 v17, v23, v18
	v_add_f32_e32 v26, v26, v30
	v_add_f32_e32 v30, v20, v16
	;; [unrolled: 1-line block ×3, first 2 shown]
	ds_read2_b64 v[16:19], v12 offset0:128 offset1:144
	v_add_f32_e32 v28, v38, v28
	v_add_f32_e32 v29, v39, v29
	;; [unrolled: 1-line block ×3, first 2 shown]
	s_waitcnt lgkmcnt(0)
	v_mul_f32_e32 v20, v33, v17
	v_mul_f32_e32 v21, v32, v17
	v_fma_f32 v20, v32, v16, -v20
	v_fmac_f32_e32 v21, v33, v16
	v_add_f32_e32 v28, v28, v20
	v_add_f32_e32 v29, v29, v21
	v_mul_f32_e32 v20, v33, v19
	v_mul_f32_e32 v21, v32, v19
	v_fma_f32 v20, v32, v18, -v20
	v_fmac_f32_e32 v21, v33, v18
	v_add_f32_e32 v24, v24, v20
	v_add_f32_e32 v25, v25, v21
	ds_read_b128 v[20:23], v13 offset:1056
	s_waitcnt lgkmcnt(0)
	v_mul_f32_e32 v32, v21, v17
	v_mul_f32_e32 v17, v20, v17
	v_fmac_f32_e32 v17, v21, v16
	v_fma_f32 v32, v20, v16, -v32
	v_add_f32_e32 v27, v27, v17
	v_mul_f32_e32 v16, v21, v19
	v_mul_f32_e32 v17, v20, v19
	v_fma_f32 v16, v20, v18, -v16
	v_fmac_f32_e32 v17, v21, v18
	v_add_f32_e32 v20, v30, v16
	v_add_f32_e32 v21, v31, v17
	ds_read2_b64 v[16:19], v12 offset0:160 offset1:176
	v_add_f32_e32 v26, v26, v32
	s_waitcnt lgkmcnt(0)
	v_mul_f32_e32 v30, v35, v17
	v_fma_f32 v30, v34, v16, -v30
	v_add_f32_e32 v28, v28, v30
	v_mul_f32_e32 v30, v35, v19
	v_fma_f32 v30, v34, v18, -v30
	v_mul_f32_e32 v31, v34, v17
	v_add_f32_e32 v24, v24, v30
	v_mul_f32_e32 v30, v23, v17
	v_mul_f32_e32 v17, v22, v17
	v_fmac_f32_e32 v17, v23, v16
	v_fmac_f32_e32 v31, v35, v16
	v_fma_f32 v30, v22, v16, -v30
	v_add_f32_e32 v27, v27, v17
	v_mul_f32_e32 v16, v23, v19
	v_mul_f32_e32 v17, v22, v19
	v_add_f32_e32 v29, v29, v31
	v_mul_f32_e32 v31, v34, v19
	v_fma_f32 v16, v22, v18, -v16
	v_fmac_f32_e32 v17, v23, v18
	v_fmac_f32_e32 v31, v35, v18
	v_add_f32_e32 v20, v20, v16
	v_add_f32_e32 v21, v21, v17
	ds_read2_b64 v[16:19], v12 offset0:192 offset1:208
	v_add_f32_e32 v26, v26, v30
	v_add_f32_e32 v25, v25, v31
	s_waitcnt lgkmcnt(0)
	v_mul_f32_e32 v22, v3, v17
	v_fma_f32 v22, v2, v16, -v22
	v_add_f32_e32 v30, v28, v22
	v_mul_f32_e32 v22, v3, v19
	v_mul_f32_e32 v23, v2, v17
	v_fma_f32 v22, v2, v18, -v22
	v_mul_f32_e32 v2, v2, v19
	v_fmac_f32_e32 v23, v3, v16
	v_fmac_f32_e32 v2, v3, v18
	v_add_f32_e32 v31, v29, v23
	v_add_f32_e32 v3, v24, v22
	;; [unrolled: 1-line block ×3, first 2 shown]
	ds_read_b128 v[22:25], v13 offset:1072
	s_waitcnt lgkmcnt(0)
	v_mul_f32_e32 v28, v23, v17
	v_fma_f32 v28, v22, v16, -v28
	v_mul_f32_e32 v17, v22, v17
	v_fmac_f32_e32 v17, v23, v16
	v_add_f32_e32 v16, v26, v28
	v_mul_f32_e32 v26, v23, v19
	v_fma_f32 v26, v22, v18, -v26
	v_add_f32_e32 v17, v27, v17
	v_add_f32_e32 v32, v20, v26
	ds_read2_b64 v[26:29], v12 offset0:224 offset1:240
	v_mul_f32_e32 v19, v22, v19
	v_fmac_f32_e32 v19, v23, v18
	v_add_f32_e32 v33, v21, v19
	s_waitcnt lgkmcnt(0)
	v_mul_f32_e32 v18, v5, v27
	v_fma_f32 v18, v4, v26, -v18
	v_add_f32_e32 v22, v30, v18
	v_mul_f32_e32 v18, v5, v29
	v_mul_f32_e32 v19, v4, v27
	v_fma_f32 v18, v4, v28, -v18
	v_mul_f32_e32 v4, v4, v29
	v_fmac_f32_e32 v4, v5, v28
	v_add_f32_e32 v21, v3, v18
	v_add_f32_e32 v20, v2, v4
	v_mul_f32_e32 v2, v25, v27
	v_mul_f32_e32 v3, v24, v27
	v_fmac_f32_e32 v19, v5, v26
	v_fma_f32 v2, v24, v26, -v2
	v_fmac_f32_e32 v3, v25, v26
	v_add_f32_e32 v23, v31, v19
	v_add_f32_e32 v19, v16, v2
	;; [unrolled: 1-line block ×3, first 2 shown]
	v_mul_f32_e32 v2, v25, v29
	v_mul_f32_e32 v3, v24, v29
	v_fma_f32 v2, v24, v28, -v2
	v_fmac_f32_e32 v3, v25, v28
	v_add_f32_e32 v17, v32, v2
	v_add_f32_e32 v16, v33, v3
	v_mov_b32_e32 v2, s8
	v_mov_b32_e32 v3, s9
	v_cmp_le_u64_e32 vcc, s[12:13], v[2:3]
	s_barrier
	s_cbranch_vccz .LBB1565_2
	s_branch .LBB1565_4
.LBB1565_3:
	v_mov_b32_e32 v22, 0
	v_mov_b32_e32 v23, 0
	;; [unrolled: 1-line block ×8, first 2 shown]
.LBB1565_4:
	v_add_u32_e32 v4, s21, v1
	v_ashrrev_i32_e32 v1, 31, v4
	v_mul_lo_u32 v3, s2, v1
	v_mul_lo_u32 v5, s3, v4
	v_mad_u64_u32 v[1:2], s[0:1], s2, v4, 0
	s_load_dword s6, s[4:5], 0x0
	v_add_u32_e32 v0, s20, v0
	v_add3_u32 v2, v2, v3, v5
	v_lshlrev_b64 v[1:2], 3, v[1:2]
	s_waitcnt lgkmcnt(0)
	v_mov_b32_e32 v3, s17
	v_add_co_u32_e64 v5, s[0:1], s16, v1
	v_addc_co_u32_e64 v6, s[0:1], v3, v2, s[0:1]
	v_cmp_gt_i32_e32 vcc, s6, v4
	v_cmp_le_i32_e64 s[0:1], v0, v4
	s_and_b64 s[0:1], vcc, s[0:1]
	s_and_saveexec_b64 s[4:5], s[0:1]
	s_cbranch_execz .LBB1565_6
; %bb.5:
	v_ashrrev_i32_e32 v1, 31, v0
	v_lshlrev_b64 v[7:8], 3, v[0:1]
	v_xor_b32_e32 v2, 0x80000000, v22
	v_add_co_u32_e64 v7, s[0:1], v5, v7
	v_xor_b32_e32 v3, 0x80000000, v23
	v_addc_co_u32_e64 v8, s[0:1], v6, v8, s[0:1]
	flat_store_dwordx2 v[7:8], v[2:3]
.LBB1565_6:
	s_or_b64 exec, exec, s[4:5]
	v_add_u32_e32 v2, 16, v0
	v_cmp_le_i32_e64 s[0:1], v2, v4
	s_and_b64 s[4:5], vcc, s[0:1]
	s_and_saveexec_b64 s[0:1], s[4:5]
	s_cbranch_execz .LBB1565_8
; %bb.7:
	v_ashrrev_i32_e32 v3, 31, v2
	v_lshlrev_b64 v[9:10], 3, v[2:3]
	v_xor_b32_e32 v7, 0x80000000, v21
	v_add_co_u32_e32 v5, vcc, v5, v9
	v_xor_b32_e32 v8, 0x80000000, v20
	v_addc_co_u32_e32 v6, vcc, v6, v10, vcc
	flat_store_dwordx2 v[5:6], v[7:8]
.LBB1565_8:
	s_or_b64 exec, exec, s[0:1]
	v_add_u32_e32 v3, 16, v4
	v_ashrrev_i32_e32 v1, 31, v3
	v_mul_lo_u32 v1, s2, v1
	v_mul_lo_u32 v6, s3, v3
	v_mad_u64_u32 v[4:5], s[0:1], s2, v3, 0
	v_cmp_gt_i32_e32 vcc, s6, v3
	v_add3_u32 v5, v5, v1, v6
	v_lshlrev_b64 v[4:5], 3, v[4:5]
	v_mov_b32_e32 v1, s17
	v_add_co_u32_e64 v4, s[0:1], s16, v4
	v_addc_co_u32_e64 v5, s[0:1], v1, v5, s[0:1]
	v_cmp_le_i32_e64 s[0:1], v0, v3
	s_and_b64 s[0:1], vcc, s[0:1]
	s_and_saveexec_b64 s[2:3], s[0:1]
	s_cbranch_execz .LBB1565_10
; %bb.9:
	v_ashrrev_i32_e32 v1, 31, v0
	v_lshlrev_b64 v[0:1], 3, v[0:1]
	v_xor_b32_e32 v6, 0x80000000, v19
	v_add_co_u32_e64 v0, s[0:1], v4, v0
	v_xor_b32_e32 v7, 0x80000000, v18
	v_addc_co_u32_e64 v1, s[0:1], v5, v1, s[0:1]
	flat_store_dwordx2 v[0:1], v[6:7]
.LBB1565_10:
	s_or_b64 exec, exec, s[2:3]
	v_cmp_le_i32_e64 s[0:1], v2, v3
	s_and_b64 s[0:1], vcc, s[0:1]
	s_and_saveexec_b64 s[2:3], s[0:1]
	s_cbranch_execz .LBB1565_12
; %bb.11:
	v_ashrrev_i32_e32 v3, 31, v2
	v_lshlrev_b64 v[2:3], 3, v[2:3]
	v_xor_b32_e32 v0, 0x80000000, v17
	v_add_co_u32_e32 v2, vcc, v4, v2
	v_xor_b32_e32 v1, 0x80000000, v16
	v_addc_co_u32_e32 v3, vcc, v5, v3, vcc
	flat_store_dwordx2 v[2:3], v[0:1]
.LBB1565_12:
	s_endpgm
	.section	.rodata,"a",@progbits
	.p2align	6, 0x0
	.amdhsa_kernel _ZL37rocblas_syrkx_herkx_restricted_kernelIl19rocblas_complex_numIfELi16ELi32ELi8ELin1ELi0ELb0ELc78ELc85EKPKS1_KPS1_EviT_PT9_S7_lS9_S7_lPT10_S7_li
		.amdhsa_group_segment_fixed_size 4096
		.amdhsa_private_segment_fixed_size 0
		.amdhsa_kernarg_size 92
		.amdhsa_user_sgpr_count 6
		.amdhsa_user_sgpr_private_segment_buffer 1
		.amdhsa_user_sgpr_dispatch_ptr 0
		.amdhsa_user_sgpr_queue_ptr 0
		.amdhsa_user_sgpr_kernarg_segment_ptr 1
		.amdhsa_user_sgpr_dispatch_id 0
		.amdhsa_user_sgpr_flat_scratch_init 0
		.amdhsa_user_sgpr_private_segment_size 0
		.amdhsa_uses_dynamic_stack 0
		.amdhsa_system_sgpr_private_segment_wavefront_offset 0
		.amdhsa_system_sgpr_workgroup_id_x 1
		.amdhsa_system_sgpr_workgroup_id_y 1
		.amdhsa_system_sgpr_workgroup_id_z 1
		.amdhsa_system_sgpr_workgroup_info 0
		.amdhsa_system_vgpr_workitem_id 1
		.amdhsa_next_free_vgpr 43
		.amdhsa_next_free_sgpr 22
		.amdhsa_reserve_vcc 1
		.amdhsa_reserve_flat_scratch 0
		.amdhsa_float_round_mode_32 0
		.amdhsa_float_round_mode_16_64 0
		.amdhsa_float_denorm_mode_32 3
		.amdhsa_float_denorm_mode_16_64 3
		.amdhsa_dx10_clamp 1
		.amdhsa_ieee_mode 1
		.amdhsa_fp16_overflow 0
		.amdhsa_exception_fp_ieee_invalid_op 0
		.amdhsa_exception_fp_denorm_src 0
		.amdhsa_exception_fp_ieee_div_zero 0
		.amdhsa_exception_fp_ieee_overflow 0
		.amdhsa_exception_fp_ieee_underflow 0
		.amdhsa_exception_fp_ieee_inexact 0
		.amdhsa_exception_int_div_zero 0
	.end_amdhsa_kernel
	.section	.text._ZL37rocblas_syrkx_herkx_restricted_kernelIl19rocblas_complex_numIfELi16ELi32ELi8ELin1ELi0ELb0ELc78ELc85EKPKS1_KPS1_EviT_PT9_S7_lS9_S7_lPT10_S7_li,"axG",@progbits,_ZL37rocblas_syrkx_herkx_restricted_kernelIl19rocblas_complex_numIfELi16ELi32ELi8ELin1ELi0ELb0ELc78ELc85EKPKS1_KPS1_EviT_PT9_S7_lS9_S7_lPT10_S7_li,comdat
.Lfunc_end1565:
	.size	_ZL37rocblas_syrkx_herkx_restricted_kernelIl19rocblas_complex_numIfELi16ELi32ELi8ELin1ELi0ELb0ELc78ELc85EKPKS1_KPS1_EviT_PT9_S7_lS9_S7_lPT10_S7_li, .Lfunc_end1565-_ZL37rocblas_syrkx_herkx_restricted_kernelIl19rocblas_complex_numIfELi16ELi32ELi8ELin1ELi0ELb0ELc78ELc85EKPKS1_KPS1_EviT_PT9_S7_lS9_S7_lPT10_S7_li
                                        ; -- End function
	.set _ZL37rocblas_syrkx_herkx_restricted_kernelIl19rocblas_complex_numIfELi16ELi32ELi8ELin1ELi0ELb0ELc78ELc85EKPKS1_KPS1_EviT_PT9_S7_lS9_S7_lPT10_S7_li.num_vgpr, 43
	.set _ZL37rocblas_syrkx_herkx_restricted_kernelIl19rocblas_complex_numIfELi16ELi32ELi8ELin1ELi0ELb0ELc78ELc85EKPKS1_KPS1_EviT_PT9_S7_lS9_S7_lPT10_S7_li.num_agpr, 0
	.set _ZL37rocblas_syrkx_herkx_restricted_kernelIl19rocblas_complex_numIfELi16ELi32ELi8ELin1ELi0ELb0ELc78ELc85EKPKS1_KPS1_EviT_PT9_S7_lS9_S7_lPT10_S7_li.numbered_sgpr, 22
	.set _ZL37rocblas_syrkx_herkx_restricted_kernelIl19rocblas_complex_numIfELi16ELi32ELi8ELin1ELi0ELb0ELc78ELc85EKPKS1_KPS1_EviT_PT9_S7_lS9_S7_lPT10_S7_li.num_named_barrier, 0
	.set _ZL37rocblas_syrkx_herkx_restricted_kernelIl19rocblas_complex_numIfELi16ELi32ELi8ELin1ELi0ELb0ELc78ELc85EKPKS1_KPS1_EviT_PT9_S7_lS9_S7_lPT10_S7_li.private_seg_size, 0
	.set _ZL37rocblas_syrkx_herkx_restricted_kernelIl19rocblas_complex_numIfELi16ELi32ELi8ELin1ELi0ELb0ELc78ELc85EKPKS1_KPS1_EviT_PT9_S7_lS9_S7_lPT10_S7_li.uses_vcc, 1
	.set _ZL37rocblas_syrkx_herkx_restricted_kernelIl19rocblas_complex_numIfELi16ELi32ELi8ELin1ELi0ELb0ELc78ELc85EKPKS1_KPS1_EviT_PT9_S7_lS9_S7_lPT10_S7_li.uses_flat_scratch, 0
	.set _ZL37rocblas_syrkx_herkx_restricted_kernelIl19rocblas_complex_numIfELi16ELi32ELi8ELin1ELi0ELb0ELc78ELc85EKPKS1_KPS1_EviT_PT9_S7_lS9_S7_lPT10_S7_li.has_dyn_sized_stack, 0
	.set _ZL37rocblas_syrkx_herkx_restricted_kernelIl19rocblas_complex_numIfELi16ELi32ELi8ELin1ELi0ELb0ELc78ELc85EKPKS1_KPS1_EviT_PT9_S7_lS9_S7_lPT10_S7_li.has_recursion, 0
	.set _ZL37rocblas_syrkx_herkx_restricted_kernelIl19rocblas_complex_numIfELi16ELi32ELi8ELin1ELi0ELb0ELc78ELc85EKPKS1_KPS1_EviT_PT9_S7_lS9_S7_lPT10_S7_li.has_indirect_call, 0
	.section	.AMDGPU.csdata,"",@progbits
; Kernel info:
; codeLenInByte = 1992
; TotalNumSgprs: 26
; NumVgprs: 43
; ScratchSize: 0
; MemoryBound: 0
; FloatMode: 240
; IeeeMode: 1
; LDSByteSize: 4096 bytes/workgroup (compile time only)
; SGPRBlocks: 3
; VGPRBlocks: 10
; NumSGPRsForWavesPerEU: 26
; NumVGPRsForWavesPerEU: 43
; Occupancy: 5
; WaveLimiterHint : 1
; COMPUTE_PGM_RSRC2:SCRATCH_EN: 0
; COMPUTE_PGM_RSRC2:USER_SGPR: 6
; COMPUTE_PGM_RSRC2:TRAP_HANDLER: 0
; COMPUTE_PGM_RSRC2:TGID_X_EN: 1
; COMPUTE_PGM_RSRC2:TGID_Y_EN: 1
; COMPUTE_PGM_RSRC2:TGID_Z_EN: 1
; COMPUTE_PGM_RSRC2:TIDIG_COMP_CNT: 1
	.section	.text._ZL37rocblas_syrkx_herkx_restricted_kernelIl19rocblas_complex_numIfELi16ELi32ELi8ELb1ELb0ELc84ELc76EKPKS1_KPS1_EviT_T0_PT8_S7_lSA_S7_lS8_PT9_S7_li,"axG",@progbits,_ZL37rocblas_syrkx_herkx_restricted_kernelIl19rocblas_complex_numIfELi16ELi32ELi8ELb1ELb0ELc84ELc76EKPKS1_KPS1_EviT_T0_PT8_S7_lSA_S7_lS8_PT9_S7_li,comdat
	.globl	_ZL37rocblas_syrkx_herkx_restricted_kernelIl19rocblas_complex_numIfELi16ELi32ELi8ELb1ELb0ELc84ELc76EKPKS1_KPS1_EviT_T0_PT8_S7_lSA_S7_lS8_PT9_S7_li ; -- Begin function _ZL37rocblas_syrkx_herkx_restricted_kernelIl19rocblas_complex_numIfELi16ELi32ELi8ELb1ELb0ELc84ELc76EKPKS1_KPS1_EviT_T0_PT8_S7_lSA_S7_lS8_PT9_S7_li
	.p2align	8
	.type	_ZL37rocblas_syrkx_herkx_restricted_kernelIl19rocblas_complex_numIfELi16ELi32ELi8ELb1ELb0ELc84ELc76EKPKS1_KPS1_EviT_T0_PT8_S7_lSA_S7_lS8_PT9_S7_li,@function
_ZL37rocblas_syrkx_herkx_restricted_kernelIl19rocblas_complex_numIfELi16ELi32ELi8ELb1ELb0ELc84ELc76EKPKS1_KPS1_EviT_T0_PT8_S7_lSA_S7_lS8_PT9_S7_li: ; @_ZL37rocblas_syrkx_herkx_restricted_kernelIl19rocblas_complex_numIfELi16ELi32ELi8ELb1ELb0ELc84ELc76EKPKS1_KPS1_EviT_T0_PT8_S7_lSA_S7_lS8_PT9_S7_li
; %bb.0:
	s_load_dwordx4 s[20:23], s[4:5], 0x50
	s_load_dwordx8 s[12:19], s[4:5], 0x8
	s_mov_b32 s9, 0
	s_lshl_b64 s[0:1], s[8:9], 3
	s_waitcnt lgkmcnt(0)
	s_add_u32 s2, s20, s0
	s_addc_u32 s3, s21, s1
	s_load_dwordx2 s[8:9], s[2:3], 0x0
	v_cmp_lt_i64_e64 s[10:11], s[12:13], 1
	s_lshl_b32 s2, s6, 5
	s_lshl_b32 s3, s7, 5
	s_and_b64 vcc, exec, s[10:11]
	s_cbranch_vccnz .LBB1566_3
; %bb.1:
	s_load_dwordx4 s[24:27], s[4:5], 0x30
	v_lshl_add_u32 v5, v1, 4, v0
	v_lshrrev_b32_e32 v6, 3, v5
	v_add_u32_e32 v2, s3, v6
	v_and_b32_e32 v9, 7, v0
	v_ashrrev_i32_e32 v3, 31, v2
	v_mov_b32_e32 v10, 0
	s_waitcnt lgkmcnt(0)
	v_mul_lo_u32 v7, s26, v3
	v_mul_lo_u32 v8, s27, v2
	v_mad_u64_u32 v[2:3], s[10:11], s26, v2, v[9:10]
	v_and_b32_e32 v13, 31, v5
	v_lshrrev_b32_e32 v4, 5, v5
	v_add3_u32 v3, v8, v3, v7
	v_lshlrev_b32_e32 v7, 3, v13
	v_lshl_or_b32 v11, v4, 8, v7
	v_lshlrev_b32_e32 v7, 3, v9
	v_lshl_or_b32 v6, v6, 6, v7
	v_add_u32_e32 v12, 0x800, v6
	v_add_u32_e32 v6, s2, v13
	v_mov_b32_e32 v5, v10
	v_ashrrev_i32_e32 v7, 31, v6
	s_add_u32 s6, s16, s0
	v_mul_lo_u32 v7, s18, v7
	v_mad_u64_u32 v[4:5], s[10:11], s18, v6, v[4:5]
	v_mul_lo_u32 v6, s19, v6
	s_addc_u32 s7, s17, s1
	s_load_dwordx2 s[6:7], s[6:7], 0x0
	s_add_u32 s0, s24, s0
	s_addc_u32 s1, s25, s1
	s_load_dwordx2 s[0:1], s[0:1], 0x0
	v_add3_u32 v5, v6, v5, v7
	v_lshlrev_b64 v[4:5], 3, v[4:5]
	s_waitcnt lgkmcnt(0)
	v_mov_b32_e32 v7, s7
	v_add_co_u32_e32 v6, vcc, s6, v4
	v_lshlrev_b64 v[2:3], 3, v[2:3]
	v_mov_b32_e32 v8, 0x800
	v_addc_co_u32_e32 v7, vcc, v7, v5, vcc
	v_lshl_add_u32 v14, v1, 6, v8
	v_mov_b32_e32 v4, s1
	v_add_co_u32_e32 v8, vcc, s0, v2
	v_lshlrev_b32_e32 v13, 3, v0
	v_addc_co_u32_e32 v9, vcc, v4, v3, vcc
	s_mov_b64 s[0:1], 0
	v_mov_b32_e32 v15, v10
	v_mov_b32_e32 v17, v10
	;; [unrolled: 1-line block ×7, first 2 shown]
.LBB1566_2:                             ; =>This Inner Loop Header: Depth=1
	flat_load_dwordx2 v[2:3], v[6:7]
	s_add_u32 s0, s0, 8
	v_add_co_u32_e32 v6, vcc, 64, v6
	s_addc_u32 s1, s1, 0
	v_addc_co_u32_e32 v7, vcc, 0, v7, vcc
	s_waitcnt vmcnt(0) lgkmcnt(0)
	ds_write_b64 v11, v[2:3]
	flat_load_dwordx2 v[2:3], v[8:9]
	v_add_co_u32_e32 v8, vcc, 64, v8
	v_addc_co_u32_e32 v9, vcc, 0, v9, vcc
	s_waitcnt vmcnt(0) lgkmcnt(0)
	ds_write_b64 v12, v[2:3]
	s_waitcnt lgkmcnt(0)
	s_barrier
	ds_read_b128 v[22:25], v14
	ds_read_b128 v[26:29], v14 offset:16
	ds_read_b128 v[30:33], v14 offset:32
	;; [unrolled: 1-line block ×3, first 2 shown]
	ds_read2_b64 v[34:37], v13 offset1:16
	s_waitcnt lgkmcnt(0)
	v_mul_f32_e32 v38, v23, v35
	v_mul_f32_e32 v39, v22, v35
	v_fma_f32 v38, v22, v34, -v38
	v_fmac_f32_e32 v39, v23, v34
	v_add_f32_e32 v38, v20, v38
	v_add_f32_e32 v39, v21, v39
	v_mul_f32_e32 v20, v23, v37
	v_mul_f32_e32 v21, v22, v37
	v_fma_f32 v20, v22, v36, -v20
	v_fmac_f32_e32 v21, v23, v36
	v_add_f32_e32 v22, v18, v20
	v_add_f32_e32 v23, v19, v21
	ds_read_b128 v[18:21], v14 offset:1024
	s_waitcnt lgkmcnt(0)
	v_mul_f32_e32 v40, v19, v35
	v_mul_f32_e32 v35, v18, v35
	v_fma_f32 v40, v18, v34, -v40
	v_fmac_f32_e32 v35, v19, v34
	v_add_f32_e32 v34, v16, v40
	v_add_f32_e32 v35, v17, v35
	v_mul_f32_e32 v16, v19, v37
	v_mul_f32_e32 v17, v18, v37
	v_fma_f32 v16, v18, v36, -v16
	v_fmac_f32_e32 v17, v19, v36
	v_add_f32_e32 v19, v15, v16
	v_add_f32_e32 v10, v10, v17
	ds_read2_b64 v[15:18], v13 offset0:32 offset1:48
	s_waitcnt lgkmcnt(0)
	v_mul_f32_e32 v36, v25, v16
	v_fma_f32 v36, v24, v15, -v36
	v_add_f32_e32 v36, v38, v36
	v_mul_f32_e32 v38, v25, v18
	v_mul_f32_e32 v37, v24, v16
	v_fma_f32 v38, v24, v17, -v38
	v_mul_f32_e32 v24, v24, v18
	v_fmac_f32_e32 v24, v25, v17
	v_add_f32_e32 v23, v23, v24
	v_mul_f32_e32 v24, v21, v16
	v_mul_f32_e32 v16, v20, v16
	v_fmac_f32_e32 v16, v21, v15
	v_fmac_f32_e32 v37, v25, v15
	v_fma_f32 v24, v20, v15, -v24
	v_add_f32_e32 v25, v35, v16
	v_mul_f32_e32 v15, v21, v18
	v_mul_f32_e32 v16, v20, v18
	v_fma_f32 v15, v20, v17, -v15
	v_fmac_f32_e32 v16, v21, v17
	v_add_f32_e32 v24, v34, v24
	v_add_f32_e32 v34, v19, v15
	;; [unrolled: 1-line block ×3, first 2 shown]
	ds_read2_b64 v[15:18], v13 offset0:64 offset1:80
	v_add_f32_e32 v37, v39, v37
	v_add_f32_e32 v22, v22, v38
	s_waitcnt lgkmcnt(0)
	v_mul_f32_e32 v19, v27, v16
	v_mul_f32_e32 v20, v26, v16
	v_fma_f32 v19, v26, v15, -v19
	v_fmac_f32_e32 v20, v27, v15
	v_add_f32_e32 v35, v36, v19
	v_add_f32_e32 v36, v37, v20
	v_mul_f32_e32 v19, v27, v18
	v_mul_f32_e32 v20, v26, v18
	v_fma_f32 v19, v26, v17, -v19
	v_fmac_f32_e32 v20, v27, v17
	v_add_f32_e32 v26, v22, v19
	v_add_f32_e32 v23, v23, v20
	ds_read_b128 v[19:22], v14 offset:1040
	s_waitcnt lgkmcnt(0)
	v_mul_f32_e32 v27, v20, v16
	v_mul_f32_e32 v16, v19, v16
	v_fmac_f32_e32 v16, v20, v15
	v_fma_f32 v27, v19, v15, -v27
	v_add_f32_e32 v25, v25, v16
	v_mul_f32_e32 v15, v20, v18
	v_mul_f32_e32 v16, v19, v18
	v_fma_f32 v15, v19, v17, -v15
	v_fmac_f32_e32 v16, v20, v17
	v_add_f32_e32 v19, v34, v15
	v_add_f32_e32 v10, v10, v16
	ds_read2_b64 v[15:18], v13 offset0:96 offset1:112
	v_add_f32_e32 v24, v24, v27
	s_waitcnt lgkmcnt(0)
	v_mul_f32_e32 v20, v29, v16
	v_mul_f32_e32 v34, v29, v18
	v_fma_f32 v20, v28, v15, -v20
	v_mul_f32_e32 v27, v28, v16
	v_fma_f32 v34, v28, v17, -v34
	v_mul_f32_e32 v28, v28, v18
	v_fmac_f32_e32 v28, v29, v17
	v_add_f32_e32 v23, v23, v28
	v_mul_f32_e32 v28, v22, v16
	v_mul_f32_e32 v16, v21, v16
	v_fmac_f32_e32 v16, v22, v15
	v_fmac_f32_e32 v27, v29, v15
	v_fma_f32 v28, v21, v15, -v28
	v_add_f32_e32 v25, v25, v16
	v_mul_f32_e32 v15, v22, v18
	v_mul_f32_e32 v16, v21, v18
	v_fma_f32 v15, v21, v17, -v15
	v_fmac_f32_e32 v16, v22, v17
	v_add_f32_e32 v24, v24, v28
	v_add_f32_e32 v28, v19, v15
	v_add_f32_e32 v10, v10, v16
	ds_read2_b64 v[15:18], v13 offset0:128 offset1:144
	v_add_f32_e32 v20, v35, v20
	v_add_f32_e32 v27, v36, v27
	v_add_f32_e32 v26, v26, v34
	s_waitcnt lgkmcnt(0)
	v_mul_f32_e32 v19, v31, v16
	v_fma_f32 v19, v30, v15, -v19
	v_mul_f32_e32 v21, v30, v16
	v_add_f32_e32 v29, v20, v19
	v_mul_f32_e32 v19, v31, v18
	v_mul_f32_e32 v20, v30, v18
	v_fmac_f32_e32 v21, v31, v15
	v_fma_f32 v19, v30, v17, -v19
	v_fmac_f32_e32 v20, v31, v17
	v_add_f32_e32 v27, v27, v21
	v_add_f32_e32 v26, v26, v19
	;; [unrolled: 1-line block ×3, first 2 shown]
	ds_read_b128 v[19:22], v14 offset:1056
	s_waitcnt lgkmcnt(0)
	v_mul_f32_e32 v30, v20, v16
	v_mul_f32_e32 v16, v19, v16
	v_fmac_f32_e32 v16, v20, v15
	v_fma_f32 v30, v19, v15, -v30
	v_add_f32_e32 v25, v25, v16
	v_mul_f32_e32 v15, v20, v18
	v_mul_f32_e32 v16, v19, v18
	v_fma_f32 v15, v19, v17, -v15
	v_fmac_f32_e32 v16, v20, v17
	v_add_f32_e32 v19, v28, v15
	v_add_f32_e32 v10, v10, v16
	ds_read2_b64 v[15:18], v13 offset0:160 offset1:176
	v_add_f32_e32 v24, v24, v30
	s_waitcnt lgkmcnt(0)
	v_mul_f32_e32 v28, v32, v16
	v_fmac_f32_e32 v28, v33, v15
	v_add_f32_e32 v27, v27, v28
	v_mul_f32_e32 v28, v33, v18
	v_fma_f32 v28, v32, v17, -v28
	v_mul_f32_e32 v20, v33, v16
	v_add_f32_e32 v26, v26, v28
	v_mul_f32_e32 v28, v22, v16
	v_mul_f32_e32 v16, v21, v16
	v_fmac_f32_e32 v16, v22, v15
	v_fma_f32 v20, v32, v15, -v20
	v_fma_f32 v28, v21, v15, -v28
	v_add_f32_e32 v25, v25, v16
	v_mul_f32_e32 v15, v22, v18
	v_mul_f32_e32 v16, v21, v18
	v_add_f32_e32 v20, v29, v20
	v_mul_f32_e32 v29, v32, v18
	v_fma_f32 v15, v21, v17, -v15
	v_fmac_f32_e32 v16, v22, v17
	v_fmac_f32_e32 v29, v33, v17
	v_add_f32_e32 v19, v19, v15
	v_add_f32_e32 v10, v10, v16
	ds_read2_b64 v[15:18], v13 offset0:192 offset1:208
	v_add_f32_e32 v24, v24, v28
	v_add_f32_e32 v23, v23, v29
	s_waitcnt lgkmcnt(0)
	v_mul_f32_e32 v21, v3, v16
	v_fma_f32 v21, v2, v15, -v21
	v_add_f32_e32 v28, v20, v21
	v_mul_f32_e32 v20, v3, v18
	v_mul_f32_e32 v22, v2, v16
	v_fma_f32 v20, v2, v17, -v20
	v_mul_f32_e32 v2, v2, v18
	v_fmac_f32_e32 v22, v3, v15
	v_fmac_f32_e32 v2, v3, v17
	v_add_f32_e32 v29, v27, v22
	v_add_f32_e32 v3, v26, v20
	;; [unrolled: 1-line block ×3, first 2 shown]
	ds_read_b128 v[20:23], v14 offset:1072
	s_waitcnt lgkmcnt(0)
	v_mul_f32_e32 v26, v21, v16
	v_mul_f32_e32 v16, v20, v16
	v_fma_f32 v26, v20, v15, -v26
	v_fmac_f32_e32 v16, v21, v15
	v_add_f32_e32 v15, v24, v26
	v_add_f32_e32 v30, v25, v16
	ds_read2_b64 v[24:27], v13 offset0:224 offset1:240
	v_mul_f32_e32 v16, v21, v18
	v_fma_f32 v16, v20, v17, -v16
	v_add_f32_e32 v31, v19, v16
	v_mul_f32_e32 v18, v20, v18
	s_waitcnt lgkmcnt(0)
	v_mul_f32_e32 v16, v5, v25
	v_fma_f32 v16, v4, v24, -v16
	v_add_f32_e32 v20, v28, v16
	v_mul_f32_e32 v16, v5, v27
	v_fmac_f32_e32 v18, v21, v17
	v_mul_f32_e32 v17, v4, v25
	v_fma_f32 v16, v4, v26, -v16
	v_mul_f32_e32 v4, v4, v27
	v_fmac_f32_e32 v4, v5, v26
	v_add_f32_e32 v10, v10, v18
	v_add_f32_e32 v18, v3, v16
	;; [unrolled: 1-line block ×3, first 2 shown]
	v_mul_f32_e32 v2, v23, v25
	v_mul_f32_e32 v3, v22, v25
	v_fmac_f32_e32 v17, v5, v24
	v_fma_f32 v2, v22, v24, -v2
	v_fmac_f32_e32 v3, v23, v24
	v_add_f32_e32 v21, v29, v17
	v_add_f32_e32 v16, v15, v2
	v_add_f32_e32 v17, v30, v3
	v_mul_f32_e32 v2, v23, v27
	v_mul_f32_e32 v3, v22, v27
	v_fma_f32 v2, v22, v26, -v2
	v_fmac_f32_e32 v3, v23, v26
	v_add_f32_e32 v15, v31, v2
	v_add_f32_e32 v10, v10, v3
	v_mov_b32_e32 v3, s1
	v_mov_b32_e32 v2, s0
	v_cmp_le_u64_e32 vcc, s[12:13], v[2:3]
	s_barrier
	s_cbranch_vccz .LBB1566_2
	s_branch .LBB1566_4
.LBB1566_3:
	v_mov_b32_e32 v20, 0
	v_mov_b32_e32 v21, 0
	v_mov_b32_e32 v18, 0
	v_mov_b32_e32 v19, 0
	v_mov_b32_e32 v16, 0
	v_mov_b32_e32 v17, 0
	v_mov_b32_e32 v15, 0
	v_mov_b32_e32 v10, 0
.LBB1566_4:
	v_add_u32_e32 v4, s3, v1
	v_ashrrev_i32_e32 v1, 31, v4
	v_mul_lo_u32 v3, s22, v1
	v_mul_lo_u32 v5, s23, v4
	v_mad_u64_u32 v[1:2], s[0:1], s22, v4, 0
	s_load_dword s4, s[4:5], 0x0
	v_add_u32_e32 v0, s2, v0
	v_add3_u32 v2, v2, v3, v5
	v_lshlrev_b64 v[1:2], 3, v[1:2]
	s_waitcnt lgkmcnt(0)
	v_mov_b32_e32 v3, s9
	v_add_co_u32_e32 v5, vcc, s8, v1
	v_addc_co_u32_e32 v6, vcc, v3, v2, vcc
	v_cmp_le_i32_e64 s[0:1], v4, v0
	v_cmp_gt_i32_e32 vcc, s4, v0
	s_and_b64 s[0:1], s[0:1], vcc
	s_and_saveexec_b64 s[2:3], s[0:1]
	s_cbranch_execz .LBB1566_6
; %bb.5:
	v_mul_f32_e32 v1, s15, v21
	v_fma_f32 v2, v20, s14, -v1
	v_ashrrev_i32_e32 v1, 31, v0
	v_lshlrev_b64 v[7:8], 3, v[0:1]
	v_mul_f32_e32 v3, s14, v21
	v_add_co_u32_e64 v7, s[0:1], v5, v7
	v_fmac_f32_e32 v3, s15, v20
	v_addc_co_u32_e64 v8, s[0:1], v6, v8, s[0:1]
	flat_store_dwordx2 v[7:8], v[2:3]
.LBB1566_6:
	s_or_b64 exec, exec, s[2:3]
	v_add_u32_e32 v2, 16, v0
	v_cmp_le_i32_e64 s[2:3], v4, v2
	v_cmp_gt_i32_e64 s[0:1], s4, v2
	s_and_b64 s[2:3], s[2:3], s[0:1]
	s_and_saveexec_b64 s[4:5], s[2:3]
	s_cbranch_execz .LBB1566_8
; %bb.7:
	v_ashrrev_i32_e32 v3, 31, v2
	v_lshlrev_b64 v[11:12], 3, v[2:3]
	v_mul_f32_e32 v1, s15, v19
	v_mul_f32_e32 v8, s14, v19
	v_add_co_u32_e64 v5, s[2:3], v5, v11
	v_fma_f32 v7, v18, s14, -v1
	v_fmac_f32_e32 v8, s15, v18
	v_addc_co_u32_e64 v6, s[2:3], v6, v12, s[2:3]
	flat_store_dwordx2 v[5:6], v[7:8]
.LBB1566_8:
	s_or_b64 exec, exec, s[4:5]
	v_add_u32_e32 v3, 16, v4
	v_ashrrev_i32_e32 v1, 31, v3
	v_mul_lo_u32 v6, s23, v3
	v_mad_u64_u32 v[4:5], s[2:3], s22, v3, 0
	v_mul_lo_u32 v1, s22, v1
	v_add3_u32 v5, v5, v1, v6
	v_lshlrev_b64 v[4:5], 3, v[4:5]
	v_mov_b32_e32 v1, s9
	v_add_co_u32_e64 v4, s[2:3], s8, v4
	v_addc_co_u32_e64 v5, s[2:3], v1, v5, s[2:3]
	v_cmp_le_i32_e64 s[2:3], v3, v0
	s_and_b64 s[4:5], s[2:3], vcc
	s_and_saveexec_b64 s[2:3], s[4:5]
	s_cbranch_execz .LBB1566_10
; %bb.9:
	v_mul_f32_e32 v1, s15, v17
	v_fma_f32 v6, v16, s14, -v1
	v_ashrrev_i32_e32 v1, 31, v0
	v_lshlrev_b64 v[0:1], 3, v[0:1]
	v_mul_f32_e32 v7, s14, v17
	v_add_co_u32_e32 v0, vcc, v4, v0
	v_fmac_f32_e32 v7, s15, v16
	v_addc_co_u32_e32 v1, vcc, v5, v1, vcc
	flat_store_dwordx2 v[0:1], v[6:7]
.LBB1566_10:
	s_or_b64 exec, exec, s[2:3]
	v_cmp_le_i32_e32 vcc, v3, v2
	s_and_b64 s[0:1], vcc, s[0:1]
	s_and_saveexec_b64 s[2:3], s[0:1]
	s_cbranch_execz .LBB1566_12
; %bb.11:
	v_ashrrev_i32_e32 v3, 31, v2
	v_lshlrev_b64 v[2:3], 3, v[2:3]
	v_mul_f32_e32 v0, s15, v10
	v_mul_f32_e32 v1, s14, v10
	v_add_co_u32_e32 v2, vcc, v4, v2
	v_fma_f32 v0, v15, s14, -v0
	v_fmac_f32_e32 v1, s15, v15
	v_addc_co_u32_e32 v3, vcc, v5, v3, vcc
	flat_store_dwordx2 v[2:3], v[0:1]
.LBB1566_12:
	s_endpgm
	.section	.rodata,"a",@progbits
	.p2align	6, 0x0
	.amdhsa_kernel _ZL37rocblas_syrkx_herkx_restricted_kernelIl19rocblas_complex_numIfELi16ELi32ELi8ELb1ELb0ELc84ELc76EKPKS1_KPS1_EviT_T0_PT8_S7_lSA_S7_lS8_PT9_S7_li
		.amdhsa_group_segment_fixed_size 4096
		.amdhsa_private_segment_fixed_size 0
		.amdhsa_kernarg_size 108
		.amdhsa_user_sgpr_count 6
		.amdhsa_user_sgpr_private_segment_buffer 1
		.amdhsa_user_sgpr_dispatch_ptr 0
		.amdhsa_user_sgpr_queue_ptr 0
		.amdhsa_user_sgpr_kernarg_segment_ptr 1
		.amdhsa_user_sgpr_dispatch_id 0
		.amdhsa_user_sgpr_flat_scratch_init 0
		.amdhsa_user_sgpr_private_segment_size 0
		.amdhsa_uses_dynamic_stack 0
		.amdhsa_system_sgpr_private_segment_wavefront_offset 0
		.amdhsa_system_sgpr_workgroup_id_x 1
		.amdhsa_system_sgpr_workgroup_id_y 1
		.amdhsa_system_sgpr_workgroup_id_z 1
		.amdhsa_system_sgpr_workgroup_info 0
		.amdhsa_system_vgpr_workitem_id 1
		.amdhsa_next_free_vgpr 41
		.amdhsa_next_free_sgpr 28
		.amdhsa_reserve_vcc 1
		.amdhsa_reserve_flat_scratch 0
		.amdhsa_float_round_mode_32 0
		.amdhsa_float_round_mode_16_64 0
		.amdhsa_float_denorm_mode_32 3
		.amdhsa_float_denorm_mode_16_64 3
		.amdhsa_dx10_clamp 1
		.amdhsa_ieee_mode 1
		.amdhsa_fp16_overflow 0
		.amdhsa_exception_fp_ieee_invalid_op 0
		.amdhsa_exception_fp_denorm_src 0
		.amdhsa_exception_fp_ieee_div_zero 0
		.amdhsa_exception_fp_ieee_overflow 0
		.amdhsa_exception_fp_ieee_underflow 0
		.amdhsa_exception_fp_ieee_inexact 0
		.amdhsa_exception_int_div_zero 0
	.end_amdhsa_kernel
	.section	.text._ZL37rocblas_syrkx_herkx_restricted_kernelIl19rocblas_complex_numIfELi16ELi32ELi8ELb1ELb0ELc84ELc76EKPKS1_KPS1_EviT_T0_PT8_S7_lSA_S7_lS8_PT9_S7_li,"axG",@progbits,_ZL37rocblas_syrkx_herkx_restricted_kernelIl19rocblas_complex_numIfELi16ELi32ELi8ELb1ELb0ELc84ELc76EKPKS1_KPS1_EviT_T0_PT8_S7_lSA_S7_lS8_PT9_S7_li,comdat
.Lfunc_end1566:
	.size	_ZL37rocblas_syrkx_herkx_restricted_kernelIl19rocblas_complex_numIfELi16ELi32ELi8ELb1ELb0ELc84ELc76EKPKS1_KPS1_EviT_T0_PT8_S7_lSA_S7_lS8_PT9_S7_li, .Lfunc_end1566-_ZL37rocblas_syrkx_herkx_restricted_kernelIl19rocblas_complex_numIfELi16ELi32ELi8ELb1ELb0ELc84ELc76EKPKS1_KPS1_EviT_T0_PT8_S7_lSA_S7_lS8_PT9_S7_li
                                        ; -- End function
	.set _ZL37rocblas_syrkx_herkx_restricted_kernelIl19rocblas_complex_numIfELi16ELi32ELi8ELb1ELb0ELc84ELc76EKPKS1_KPS1_EviT_T0_PT8_S7_lSA_S7_lS8_PT9_S7_li.num_vgpr, 41
	.set _ZL37rocblas_syrkx_herkx_restricted_kernelIl19rocblas_complex_numIfELi16ELi32ELi8ELb1ELb0ELc84ELc76EKPKS1_KPS1_EviT_T0_PT8_S7_lSA_S7_lS8_PT9_S7_li.num_agpr, 0
	.set _ZL37rocblas_syrkx_herkx_restricted_kernelIl19rocblas_complex_numIfELi16ELi32ELi8ELb1ELb0ELc84ELc76EKPKS1_KPS1_EviT_T0_PT8_S7_lSA_S7_lS8_PT9_S7_li.numbered_sgpr, 28
	.set _ZL37rocblas_syrkx_herkx_restricted_kernelIl19rocblas_complex_numIfELi16ELi32ELi8ELb1ELb0ELc84ELc76EKPKS1_KPS1_EviT_T0_PT8_S7_lSA_S7_lS8_PT9_S7_li.num_named_barrier, 0
	.set _ZL37rocblas_syrkx_herkx_restricted_kernelIl19rocblas_complex_numIfELi16ELi32ELi8ELb1ELb0ELc84ELc76EKPKS1_KPS1_EviT_T0_PT8_S7_lSA_S7_lS8_PT9_S7_li.private_seg_size, 0
	.set _ZL37rocblas_syrkx_herkx_restricted_kernelIl19rocblas_complex_numIfELi16ELi32ELi8ELb1ELb0ELc84ELc76EKPKS1_KPS1_EviT_T0_PT8_S7_lSA_S7_lS8_PT9_S7_li.uses_vcc, 1
	.set _ZL37rocblas_syrkx_herkx_restricted_kernelIl19rocblas_complex_numIfELi16ELi32ELi8ELb1ELb0ELc84ELc76EKPKS1_KPS1_EviT_T0_PT8_S7_lSA_S7_lS8_PT9_S7_li.uses_flat_scratch, 0
	.set _ZL37rocblas_syrkx_herkx_restricted_kernelIl19rocblas_complex_numIfELi16ELi32ELi8ELb1ELb0ELc84ELc76EKPKS1_KPS1_EviT_T0_PT8_S7_lSA_S7_lS8_PT9_S7_li.has_dyn_sized_stack, 0
	.set _ZL37rocblas_syrkx_herkx_restricted_kernelIl19rocblas_complex_numIfELi16ELi32ELi8ELb1ELb0ELc84ELc76EKPKS1_KPS1_EviT_T0_PT8_S7_lSA_S7_lS8_PT9_S7_li.has_recursion, 0
	.set _ZL37rocblas_syrkx_herkx_restricted_kernelIl19rocblas_complex_numIfELi16ELi32ELi8ELb1ELb0ELc84ELc76EKPKS1_KPS1_EviT_T0_PT8_S7_lSA_S7_lS8_PT9_S7_li.has_indirect_call, 0
	.section	.AMDGPU.csdata,"",@progbits
; Kernel info:
; codeLenInByte = 2012
; TotalNumSgprs: 32
; NumVgprs: 41
; ScratchSize: 0
; MemoryBound: 0
; FloatMode: 240
; IeeeMode: 1
; LDSByteSize: 4096 bytes/workgroup (compile time only)
; SGPRBlocks: 3
; VGPRBlocks: 10
; NumSGPRsForWavesPerEU: 32
; NumVGPRsForWavesPerEU: 41
; Occupancy: 5
; WaveLimiterHint : 1
; COMPUTE_PGM_RSRC2:SCRATCH_EN: 0
; COMPUTE_PGM_RSRC2:USER_SGPR: 6
; COMPUTE_PGM_RSRC2:TRAP_HANDLER: 0
; COMPUTE_PGM_RSRC2:TGID_X_EN: 1
; COMPUTE_PGM_RSRC2:TGID_Y_EN: 1
; COMPUTE_PGM_RSRC2:TGID_Z_EN: 1
; COMPUTE_PGM_RSRC2:TIDIG_COMP_CNT: 1
	.section	.text._ZL37rocblas_syrkx_herkx_restricted_kernelIl19rocblas_complex_numIfELi16ELi32ELi8ELb1ELb0ELc67ELc76EKPKS1_KPS1_EviT_T0_PT8_S7_lSA_S7_lS8_PT9_S7_li,"axG",@progbits,_ZL37rocblas_syrkx_herkx_restricted_kernelIl19rocblas_complex_numIfELi16ELi32ELi8ELb1ELb0ELc67ELc76EKPKS1_KPS1_EviT_T0_PT8_S7_lSA_S7_lS8_PT9_S7_li,comdat
	.globl	_ZL37rocblas_syrkx_herkx_restricted_kernelIl19rocblas_complex_numIfELi16ELi32ELi8ELb1ELb0ELc67ELc76EKPKS1_KPS1_EviT_T0_PT8_S7_lSA_S7_lS8_PT9_S7_li ; -- Begin function _ZL37rocblas_syrkx_herkx_restricted_kernelIl19rocblas_complex_numIfELi16ELi32ELi8ELb1ELb0ELc67ELc76EKPKS1_KPS1_EviT_T0_PT8_S7_lSA_S7_lS8_PT9_S7_li
	.p2align	8
	.type	_ZL37rocblas_syrkx_herkx_restricted_kernelIl19rocblas_complex_numIfELi16ELi32ELi8ELb1ELb0ELc67ELc76EKPKS1_KPS1_EviT_T0_PT8_S7_lSA_S7_lS8_PT9_S7_li,@function
_ZL37rocblas_syrkx_herkx_restricted_kernelIl19rocblas_complex_numIfELi16ELi32ELi8ELb1ELb0ELc67ELc76EKPKS1_KPS1_EviT_T0_PT8_S7_lSA_S7_lS8_PT9_S7_li: ; @_ZL37rocblas_syrkx_herkx_restricted_kernelIl19rocblas_complex_numIfELi16ELi32ELi8ELb1ELb0ELc67ELc76EKPKS1_KPS1_EviT_T0_PT8_S7_lSA_S7_lS8_PT9_S7_li
; %bb.0:
	s_load_dwordx4 s[20:23], s[4:5], 0x50
	s_load_dwordx8 s[12:19], s[4:5], 0x8
	s_mov_b32 s9, 0
	s_lshl_b64 s[0:1], s[8:9], 3
	s_waitcnt lgkmcnt(0)
	s_add_u32 s2, s20, s0
	s_addc_u32 s3, s21, s1
	s_load_dwordx2 s[8:9], s[2:3], 0x0
	v_cmp_lt_i64_e64 s[10:11], s[12:13], 1
	s_lshl_b32 s2, s6, 5
	s_lshl_b32 s3, s7, 5
	s_and_b64 vcc, exec, s[10:11]
	s_cbranch_vccnz .LBB1567_3
; %bb.1:
	s_load_dwordx4 s[24:27], s[4:5], 0x30
	v_lshl_add_u32 v5, v1, 4, v0
	v_lshrrev_b32_e32 v6, 3, v5
	v_add_u32_e32 v2, s3, v6
	v_and_b32_e32 v9, 7, v0
	v_ashrrev_i32_e32 v3, 31, v2
	v_mov_b32_e32 v10, 0
	s_waitcnt lgkmcnt(0)
	v_mul_lo_u32 v7, s26, v3
	v_mul_lo_u32 v8, s27, v2
	v_mad_u64_u32 v[2:3], s[10:11], s26, v2, v[9:10]
	v_and_b32_e32 v13, 31, v5
	v_lshrrev_b32_e32 v4, 5, v5
	v_add3_u32 v3, v8, v3, v7
	v_lshlrev_b32_e32 v7, 3, v13
	v_lshl_or_b32 v11, v4, 8, v7
	v_lshlrev_b32_e32 v7, 3, v9
	v_lshl_or_b32 v6, v6, 6, v7
	v_add_u32_e32 v12, 0x800, v6
	v_add_u32_e32 v6, s2, v13
	v_mov_b32_e32 v5, v10
	v_ashrrev_i32_e32 v7, 31, v6
	s_add_u32 s6, s16, s0
	v_mul_lo_u32 v7, s18, v7
	v_mad_u64_u32 v[4:5], s[10:11], s18, v6, v[4:5]
	v_mul_lo_u32 v6, s19, v6
	s_addc_u32 s7, s17, s1
	s_load_dwordx2 s[6:7], s[6:7], 0x0
	s_add_u32 s0, s24, s0
	s_addc_u32 s1, s25, s1
	s_load_dwordx2 s[0:1], s[0:1], 0x0
	v_add3_u32 v5, v6, v5, v7
	v_lshlrev_b64 v[4:5], 3, v[4:5]
	s_waitcnt lgkmcnt(0)
	v_mov_b32_e32 v7, s7
	v_add_co_u32_e32 v6, vcc, s6, v4
	v_lshlrev_b64 v[2:3], 3, v[2:3]
	v_mov_b32_e32 v8, 0x800
	v_addc_co_u32_e32 v7, vcc, v7, v5, vcc
	v_lshl_add_u32 v14, v1, 6, v8
	v_mov_b32_e32 v4, s1
	v_add_co_u32_e32 v8, vcc, s0, v2
	v_lshlrev_b32_e32 v13, 3, v0
	v_addc_co_u32_e32 v9, vcc, v4, v3, vcc
	s_mov_b64 s[0:1], 0
	v_mov_b32_e32 v15, v10
	v_mov_b32_e32 v17, v10
	v_mov_b32_e32 v16, v10
	v_mov_b32_e32 v19, v10
	v_mov_b32_e32 v18, v10
	v_mov_b32_e32 v21, v10
	v_mov_b32_e32 v20, v10
.LBB1567_2:                             ; =>This Inner Loop Header: Depth=1
	flat_load_dwordx2 v[2:3], v[6:7]
	s_add_u32 s0, s0, 8
	v_add_co_u32_e32 v6, vcc, 64, v6
	s_addc_u32 s1, s1, 0
	v_addc_co_u32_e32 v7, vcc, 0, v7, vcc
	s_waitcnt vmcnt(0) lgkmcnt(0)
	ds_write_b64 v11, v[2:3]
	flat_load_dwordx2 v[2:3], v[8:9]
	v_add_co_u32_e32 v8, vcc, 64, v8
	v_addc_co_u32_e32 v9, vcc, 0, v9, vcc
	s_waitcnt vmcnt(0) lgkmcnt(0)
	ds_write_b64 v12, v[2:3]
	s_waitcnt lgkmcnt(0)
	s_barrier
	ds_read_b128 v[22:25], v14
	ds_read_b128 v[26:29], v14 offset:16
	ds_read_b128 v[30:33], v14 offset:32
	;; [unrolled: 1-line block ×3, first 2 shown]
	ds_read2_b64 v[34:37], v13 offset1:16
	s_waitcnt lgkmcnt(0)
	v_mul_f32_e32 v38, v23, v35
	v_mul_f32_e32 v39, v22, v35
	v_fma_f32 v38, v22, v34, -v38
	v_fmac_f32_e32 v39, v23, v34
	v_add_f32_e32 v38, v20, v38
	v_add_f32_e32 v39, v21, v39
	v_mul_f32_e32 v20, v23, v37
	v_mul_f32_e32 v21, v22, v37
	v_fma_f32 v20, v22, v36, -v20
	v_fmac_f32_e32 v21, v23, v36
	v_add_f32_e32 v22, v18, v20
	v_add_f32_e32 v23, v19, v21
	ds_read_b128 v[18:21], v14 offset:1024
	s_waitcnt lgkmcnt(0)
	v_mul_f32_e32 v40, v19, v35
	v_mul_f32_e32 v35, v18, v35
	v_fma_f32 v40, v18, v34, -v40
	v_fmac_f32_e32 v35, v19, v34
	v_add_f32_e32 v34, v16, v40
	v_add_f32_e32 v35, v17, v35
	v_mul_f32_e32 v16, v19, v37
	v_mul_f32_e32 v17, v18, v37
	v_fma_f32 v16, v18, v36, -v16
	v_fmac_f32_e32 v17, v19, v36
	v_add_f32_e32 v19, v15, v16
	v_add_f32_e32 v10, v10, v17
	ds_read2_b64 v[15:18], v13 offset0:32 offset1:48
	s_waitcnt lgkmcnt(0)
	v_mul_f32_e32 v36, v25, v16
	v_fma_f32 v36, v24, v15, -v36
	v_add_f32_e32 v36, v38, v36
	v_mul_f32_e32 v38, v25, v18
	v_mul_f32_e32 v37, v24, v16
	v_fma_f32 v38, v24, v17, -v38
	v_mul_f32_e32 v24, v24, v18
	v_fmac_f32_e32 v24, v25, v17
	v_add_f32_e32 v23, v23, v24
	v_mul_f32_e32 v24, v21, v16
	v_mul_f32_e32 v16, v20, v16
	v_fmac_f32_e32 v16, v21, v15
	v_fmac_f32_e32 v37, v25, v15
	v_fma_f32 v24, v20, v15, -v24
	v_add_f32_e32 v25, v35, v16
	v_mul_f32_e32 v15, v21, v18
	v_mul_f32_e32 v16, v20, v18
	v_fma_f32 v15, v20, v17, -v15
	v_fmac_f32_e32 v16, v21, v17
	v_add_f32_e32 v24, v34, v24
	v_add_f32_e32 v34, v19, v15
	;; [unrolled: 1-line block ×3, first 2 shown]
	ds_read2_b64 v[15:18], v13 offset0:64 offset1:80
	v_add_f32_e32 v37, v39, v37
	v_add_f32_e32 v22, v22, v38
	s_waitcnt lgkmcnt(0)
	v_mul_f32_e32 v19, v27, v16
	v_mul_f32_e32 v20, v26, v16
	v_fma_f32 v19, v26, v15, -v19
	v_fmac_f32_e32 v20, v27, v15
	v_add_f32_e32 v35, v36, v19
	v_add_f32_e32 v36, v37, v20
	v_mul_f32_e32 v19, v27, v18
	v_mul_f32_e32 v20, v26, v18
	v_fma_f32 v19, v26, v17, -v19
	v_fmac_f32_e32 v20, v27, v17
	v_add_f32_e32 v26, v22, v19
	v_add_f32_e32 v23, v23, v20
	ds_read_b128 v[19:22], v14 offset:1040
	s_waitcnt lgkmcnt(0)
	v_mul_f32_e32 v27, v20, v16
	v_mul_f32_e32 v16, v19, v16
	v_fmac_f32_e32 v16, v20, v15
	v_fma_f32 v27, v19, v15, -v27
	v_add_f32_e32 v25, v25, v16
	v_mul_f32_e32 v15, v20, v18
	v_mul_f32_e32 v16, v19, v18
	v_fma_f32 v15, v19, v17, -v15
	v_fmac_f32_e32 v16, v20, v17
	v_add_f32_e32 v19, v34, v15
	v_add_f32_e32 v10, v10, v16
	ds_read2_b64 v[15:18], v13 offset0:96 offset1:112
	v_add_f32_e32 v24, v24, v27
	s_waitcnt lgkmcnt(0)
	v_mul_f32_e32 v20, v29, v16
	v_mul_f32_e32 v34, v29, v18
	v_fma_f32 v20, v28, v15, -v20
	v_mul_f32_e32 v27, v28, v16
	v_fma_f32 v34, v28, v17, -v34
	v_mul_f32_e32 v28, v28, v18
	v_fmac_f32_e32 v28, v29, v17
	v_add_f32_e32 v23, v23, v28
	v_mul_f32_e32 v28, v22, v16
	v_mul_f32_e32 v16, v21, v16
	v_fmac_f32_e32 v16, v22, v15
	v_fmac_f32_e32 v27, v29, v15
	v_fma_f32 v28, v21, v15, -v28
	v_add_f32_e32 v25, v25, v16
	v_mul_f32_e32 v15, v22, v18
	v_mul_f32_e32 v16, v21, v18
	v_fma_f32 v15, v21, v17, -v15
	v_fmac_f32_e32 v16, v22, v17
	v_add_f32_e32 v24, v24, v28
	v_add_f32_e32 v28, v19, v15
	;; [unrolled: 1-line block ×3, first 2 shown]
	ds_read2_b64 v[15:18], v13 offset0:128 offset1:144
	v_add_f32_e32 v20, v35, v20
	v_add_f32_e32 v27, v36, v27
	;; [unrolled: 1-line block ×3, first 2 shown]
	s_waitcnt lgkmcnt(0)
	v_mul_f32_e32 v19, v31, v16
	v_fma_f32 v19, v30, v15, -v19
	v_mul_f32_e32 v21, v30, v16
	v_add_f32_e32 v29, v20, v19
	v_mul_f32_e32 v19, v31, v18
	v_mul_f32_e32 v20, v30, v18
	v_fmac_f32_e32 v21, v31, v15
	v_fma_f32 v19, v30, v17, -v19
	v_fmac_f32_e32 v20, v31, v17
	v_add_f32_e32 v27, v27, v21
	v_add_f32_e32 v26, v26, v19
	;; [unrolled: 1-line block ×3, first 2 shown]
	ds_read_b128 v[19:22], v14 offset:1056
	s_waitcnt lgkmcnt(0)
	v_mul_f32_e32 v30, v20, v16
	v_mul_f32_e32 v16, v19, v16
	v_fmac_f32_e32 v16, v20, v15
	v_fma_f32 v30, v19, v15, -v30
	v_add_f32_e32 v25, v25, v16
	v_mul_f32_e32 v15, v20, v18
	v_mul_f32_e32 v16, v19, v18
	v_fma_f32 v15, v19, v17, -v15
	v_fmac_f32_e32 v16, v20, v17
	v_add_f32_e32 v19, v28, v15
	v_add_f32_e32 v10, v10, v16
	ds_read2_b64 v[15:18], v13 offset0:160 offset1:176
	v_add_f32_e32 v24, v24, v30
	s_waitcnt lgkmcnt(0)
	v_mul_f32_e32 v28, v32, v16
	v_fmac_f32_e32 v28, v33, v15
	v_add_f32_e32 v27, v27, v28
	v_mul_f32_e32 v28, v33, v18
	v_fma_f32 v28, v32, v17, -v28
	v_mul_f32_e32 v20, v33, v16
	v_add_f32_e32 v26, v26, v28
	v_mul_f32_e32 v28, v22, v16
	v_mul_f32_e32 v16, v21, v16
	v_fmac_f32_e32 v16, v22, v15
	v_fma_f32 v20, v32, v15, -v20
	v_fma_f32 v28, v21, v15, -v28
	v_add_f32_e32 v25, v25, v16
	v_mul_f32_e32 v15, v22, v18
	v_mul_f32_e32 v16, v21, v18
	v_add_f32_e32 v20, v29, v20
	v_mul_f32_e32 v29, v32, v18
	v_fma_f32 v15, v21, v17, -v15
	v_fmac_f32_e32 v16, v22, v17
	v_fmac_f32_e32 v29, v33, v17
	v_add_f32_e32 v19, v19, v15
	v_add_f32_e32 v10, v10, v16
	ds_read2_b64 v[15:18], v13 offset0:192 offset1:208
	v_add_f32_e32 v24, v24, v28
	v_add_f32_e32 v23, v23, v29
	s_waitcnt lgkmcnt(0)
	v_mul_f32_e32 v21, v3, v16
	v_fma_f32 v21, v2, v15, -v21
	v_add_f32_e32 v28, v20, v21
	v_mul_f32_e32 v20, v3, v18
	v_mul_f32_e32 v22, v2, v16
	v_fma_f32 v20, v2, v17, -v20
	v_mul_f32_e32 v2, v2, v18
	v_fmac_f32_e32 v22, v3, v15
	v_fmac_f32_e32 v2, v3, v17
	v_add_f32_e32 v29, v27, v22
	v_add_f32_e32 v3, v26, v20
	;; [unrolled: 1-line block ×3, first 2 shown]
	ds_read_b128 v[20:23], v14 offset:1072
	s_waitcnt lgkmcnt(0)
	v_mul_f32_e32 v26, v21, v16
	v_mul_f32_e32 v16, v20, v16
	v_fma_f32 v26, v20, v15, -v26
	v_fmac_f32_e32 v16, v21, v15
	v_add_f32_e32 v15, v24, v26
	v_add_f32_e32 v30, v25, v16
	ds_read2_b64 v[24:27], v13 offset0:224 offset1:240
	v_mul_f32_e32 v16, v21, v18
	v_fma_f32 v16, v20, v17, -v16
	v_add_f32_e32 v31, v19, v16
	v_mul_f32_e32 v18, v20, v18
	s_waitcnt lgkmcnt(0)
	v_mul_f32_e32 v16, v5, v25
	v_fma_f32 v16, v4, v24, -v16
	v_add_f32_e32 v20, v28, v16
	v_mul_f32_e32 v16, v5, v27
	v_fmac_f32_e32 v18, v21, v17
	v_mul_f32_e32 v17, v4, v25
	v_fma_f32 v16, v4, v26, -v16
	v_mul_f32_e32 v4, v4, v27
	v_fmac_f32_e32 v4, v5, v26
	v_add_f32_e32 v10, v10, v18
	v_add_f32_e32 v18, v3, v16
	;; [unrolled: 1-line block ×3, first 2 shown]
	v_mul_f32_e32 v2, v23, v25
	v_mul_f32_e32 v3, v22, v25
	v_fmac_f32_e32 v17, v5, v24
	v_fma_f32 v2, v22, v24, -v2
	v_fmac_f32_e32 v3, v23, v24
	v_add_f32_e32 v21, v29, v17
	v_add_f32_e32 v16, v15, v2
	;; [unrolled: 1-line block ×3, first 2 shown]
	v_mul_f32_e32 v2, v23, v27
	v_mul_f32_e32 v3, v22, v27
	v_fma_f32 v2, v22, v26, -v2
	v_fmac_f32_e32 v3, v23, v26
	v_add_f32_e32 v15, v31, v2
	v_add_f32_e32 v10, v10, v3
	v_mov_b32_e32 v3, s1
	v_mov_b32_e32 v2, s0
	v_cmp_le_u64_e32 vcc, s[12:13], v[2:3]
	s_barrier
	s_cbranch_vccz .LBB1567_2
	s_branch .LBB1567_4
.LBB1567_3:
	v_mov_b32_e32 v20, 0
	v_mov_b32_e32 v21, 0
	;; [unrolled: 1-line block ×8, first 2 shown]
.LBB1567_4:
	v_add_u32_e32 v4, s3, v1
	v_ashrrev_i32_e32 v1, 31, v4
	v_mul_lo_u32 v3, s22, v1
	v_mul_lo_u32 v5, s23, v4
	v_mad_u64_u32 v[1:2], s[0:1], s22, v4, 0
	s_load_dword s4, s[4:5], 0x0
	v_add_u32_e32 v0, s2, v0
	v_add3_u32 v2, v2, v3, v5
	v_lshlrev_b64 v[1:2], 3, v[1:2]
	s_waitcnt lgkmcnt(0)
	v_mov_b32_e32 v3, s9
	v_add_co_u32_e32 v5, vcc, s8, v1
	v_addc_co_u32_e32 v6, vcc, v3, v2, vcc
	v_cmp_le_i32_e64 s[0:1], v4, v0
	v_cmp_gt_i32_e32 vcc, s4, v0
	s_and_b64 s[0:1], s[0:1], vcc
	s_and_saveexec_b64 s[2:3], s[0:1]
	s_cbranch_execz .LBB1567_6
; %bb.5:
	v_mul_f32_e32 v1, s15, v21
	v_fma_f32 v2, v20, s14, -v1
	v_ashrrev_i32_e32 v1, 31, v0
	v_lshlrev_b64 v[7:8], 3, v[0:1]
	v_mul_f32_e32 v3, s14, v21
	v_add_co_u32_e64 v7, s[0:1], v5, v7
	v_fmac_f32_e32 v3, s15, v20
	v_addc_co_u32_e64 v8, s[0:1], v6, v8, s[0:1]
	flat_store_dwordx2 v[7:8], v[2:3]
.LBB1567_6:
	s_or_b64 exec, exec, s[2:3]
	v_add_u32_e32 v2, 16, v0
	v_cmp_le_i32_e64 s[2:3], v4, v2
	v_cmp_gt_i32_e64 s[0:1], s4, v2
	s_and_b64 s[2:3], s[2:3], s[0:1]
	s_and_saveexec_b64 s[4:5], s[2:3]
	s_cbranch_execz .LBB1567_8
; %bb.7:
	v_ashrrev_i32_e32 v3, 31, v2
	v_lshlrev_b64 v[11:12], 3, v[2:3]
	v_mul_f32_e32 v1, s15, v19
	v_mul_f32_e32 v8, s14, v19
	v_add_co_u32_e64 v5, s[2:3], v5, v11
	v_fma_f32 v7, v18, s14, -v1
	v_fmac_f32_e32 v8, s15, v18
	v_addc_co_u32_e64 v6, s[2:3], v6, v12, s[2:3]
	flat_store_dwordx2 v[5:6], v[7:8]
.LBB1567_8:
	s_or_b64 exec, exec, s[4:5]
	v_add_u32_e32 v3, 16, v4
	v_ashrrev_i32_e32 v1, 31, v3
	v_mul_lo_u32 v6, s23, v3
	v_mad_u64_u32 v[4:5], s[2:3], s22, v3, 0
	v_mul_lo_u32 v1, s22, v1
	v_add3_u32 v5, v5, v1, v6
	v_lshlrev_b64 v[4:5], 3, v[4:5]
	v_mov_b32_e32 v1, s9
	v_add_co_u32_e64 v4, s[2:3], s8, v4
	v_addc_co_u32_e64 v5, s[2:3], v1, v5, s[2:3]
	v_cmp_le_i32_e64 s[2:3], v3, v0
	s_and_b64 s[4:5], s[2:3], vcc
	s_and_saveexec_b64 s[2:3], s[4:5]
	s_cbranch_execz .LBB1567_10
; %bb.9:
	v_mul_f32_e32 v1, s15, v17
	v_fma_f32 v6, v16, s14, -v1
	v_ashrrev_i32_e32 v1, 31, v0
	v_lshlrev_b64 v[0:1], 3, v[0:1]
	v_mul_f32_e32 v7, s14, v17
	v_add_co_u32_e32 v0, vcc, v4, v0
	v_fmac_f32_e32 v7, s15, v16
	v_addc_co_u32_e32 v1, vcc, v5, v1, vcc
	flat_store_dwordx2 v[0:1], v[6:7]
.LBB1567_10:
	s_or_b64 exec, exec, s[2:3]
	v_cmp_le_i32_e32 vcc, v3, v2
	s_and_b64 s[0:1], vcc, s[0:1]
	s_and_saveexec_b64 s[2:3], s[0:1]
	s_cbranch_execz .LBB1567_12
; %bb.11:
	v_ashrrev_i32_e32 v3, 31, v2
	v_lshlrev_b64 v[2:3], 3, v[2:3]
	v_mul_f32_e32 v0, s15, v10
	v_mul_f32_e32 v1, s14, v10
	v_add_co_u32_e32 v2, vcc, v4, v2
	v_fma_f32 v0, v15, s14, -v0
	v_fmac_f32_e32 v1, s15, v15
	v_addc_co_u32_e32 v3, vcc, v5, v3, vcc
	flat_store_dwordx2 v[2:3], v[0:1]
.LBB1567_12:
	s_endpgm
	.section	.rodata,"a",@progbits
	.p2align	6, 0x0
	.amdhsa_kernel _ZL37rocblas_syrkx_herkx_restricted_kernelIl19rocblas_complex_numIfELi16ELi32ELi8ELb1ELb0ELc67ELc76EKPKS1_KPS1_EviT_T0_PT8_S7_lSA_S7_lS8_PT9_S7_li
		.amdhsa_group_segment_fixed_size 4096
		.amdhsa_private_segment_fixed_size 0
		.amdhsa_kernarg_size 108
		.amdhsa_user_sgpr_count 6
		.amdhsa_user_sgpr_private_segment_buffer 1
		.amdhsa_user_sgpr_dispatch_ptr 0
		.amdhsa_user_sgpr_queue_ptr 0
		.amdhsa_user_sgpr_kernarg_segment_ptr 1
		.amdhsa_user_sgpr_dispatch_id 0
		.amdhsa_user_sgpr_flat_scratch_init 0
		.amdhsa_user_sgpr_private_segment_size 0
		.amdhsa_uses_dynamic_stack 0
		.amdhsa_system_sgpr_private_segment_wavefront_offset 0
		.amdhsa_system_sgpr_workgroup_id_x 1
		.amdhsa_system_sgpr_workgroup_id_y 1
		.amdhsa_system_sgpr_workgroup_id_z 1
		.amdhsa_system_sgpr_workgroup_info 0
		.amdhsa_system_vgpr_workitem_id 1
		.amdhsa_next_free_vgpr 41
		.amdhsa_next_free_sgpr 28
		.amdhsa_reserve_vcc 1
		.amdhsa_reserve_flat_scratch 0
		.amdhsa_float_round_mode_32 0
		.amdhsa_float_round_mode_16_64 0
		.amdhsa_float_denorm_mode_32 3
		.amdhsa_float_denorm_mode_16_64 3
		.amdhsa_dx10_clamp 1
		.amdhsa_ieee_mode 1
		.amdhsa_fp16_overflow 0
		.amdhsa_exception_fp_ieee_invalid_op 0
		.amdhsa_exception_fp_denorm_src 0
		.amdhsa_exception_fp_ieee_div_zero 0
		.amdhsa_exception_fp_ieee_overflow 0
		.amdhsa_exception_fp_ieee_underflow 0
		.amdhsa_exception_fp_ieee_inexact 0
		.amdhsa_exception_int_div_zero 0
	.end_amdhsa_kernel
	.section	.text._ZL37rocblas_syrkx_herkx_restricted_kernelIl19rocblas_complex_numIfELi16ELi32ELi8ELb1ELb0ELc67ELc76EKPKS1_KPS1_EviT_T0_PT8_S7_lSA_S7_lS8_PT9_S7_li,"axG",@progbits,_ZL37rocblas_syrkx_herkx_restricted_kernelIl19rocblas_complex_numIfELi16ELi32ELi8ELb1ELb0ELc67ELc76EKPKS1_KPS1_EviT_T0_PT8_S7_lSA_S7_lS8_PT9_S7_li,comdat
.Lfunc_end1567:
	.size	_ZL37rocblas_syrkx_herkx_restricted_kernelIl19rocblas_complex_numIfELi16ELi32ELi8ELb1ELb0ELc67ELc76EKPKS1_KPS1_EviT_T0_PT8_S7_lSA_S7_lS8_PT9_S7_li, .Lfunc_end1567-_ZL37rocblas_syrkx_herkx_restricted_kernelIl19rocblas_complex_numIfELi16ELi32ELi8ELb1ELb0ELc67ELc76EKPKS1_KPS1_EviT_T0_PT8_S7_lSA_S7_lS8_PT9_S7_li
                                        ; -- End function
	.set _ZL37rocblas_syrkx_herkx_restricted_kernelIl19rocblas_complex_numIfELi16ELi32ELi8ELb1ELb0ELc67ELc76EKPKS1_KPS1_EviT_T0_PT8_S7_lSA_S7_lS8_PT9_S7_li.num_vgpr, 41
	.set _ZL37rocblas_syrkx_herkx_restricted_kernelIl19rocblas_complex_numIfELi16ELi32ELi8ELb1ELb0ELc67ELc76EKPKS1_KPS1_EviT_T0_PT8_S7_lSA_S7_lS8_PT9_S7_li.num_agpr, 0
	.set _ZL37rocblas_syrkx_herkx_restricted_kernelIl19rocblas_complex_numIfELi16ELi32ELi8ELb1ELb0ELc67ELc76EKPKS1_KPS1_EviT_T0_PT8_S7_lSA_S7_lS8_PT9_S7_li.numbered_sgpr, 28
	.set _ZL37rocblas_syrkx_herkx_restricted_kernelIl19rocblas_complex_numIfELi16ELi32ELi8ELb1ELb0ELc67ELc76EKPKS1_KPS1_EviT_T0_PT8_S7_lSA_S7_lS8_PT9_S7_li.num_named_barrier, 0
	.set _ZL37rocblas_syrkx_herkx_restricted_kernelIl19rocblas_complex_numIfELi16ELi32ELi8ELb1ELb0ELc67ELc76EKPKS1_KPS1_EviT_T0_PT8_S7_lSA_S7_lS8_PT9_S7_li.private_seg_size, 0
	.set _ZL37rocblas_syrkx_herkx_restricted_kernelIl19rocblas_complex_numIfELi16ELi32ELi8ELb1ELb0ELc67ELc76EKPKS1_KPS1_EviT_T0_PT8_S7_lSA_S7_lS8_PT9_S7_li.uses_vcc, 1
	.set _ZL37rocblas_syrkx_herkx_restricted_kernelIl19rocblas_complex_numIfELi16ELi32ELi8ELb1ELb0ELc67ELc76EKPKS1_KPS1_EviT_T0_PT8_S7_lSA_S7_lS8_PT9_S7_li.uses_flat_scratch, 0
	.set _ZL37rocblas_syrkx_herkx_restricted_kernelIl19rocblas_complex_numIfELi16ELi32ELi8ELb1ELb0ELc67ELc76EKPKS1_KPS1_EviT_T0_PT8_S7_lSA_S7_lS8_PT9_S7_li.has_dyn_sized_stack, 0
	.set _ZL37rocblas_syrkx_herkx_restricted_kernelIl19rocblas_complex_numIfELi16ELi32ELi8ELb1ELb0ELc67ELc76EKPKS1_KPS1_EviT_T0_PT8_S7_lSA_S7_lS8_PT9_S7_li.has_recursion, 0
	.set _ZL37rocblas_syrkx_herkx_restricted_kernelIl19rocblas_complex_numIfELi16ELi32ELi8ELb1ELb0ELc67ELc76EKPKS1_KPS1_EviT_T0_PT8_S7_lSA_S7_lS8_PT9_S7_li.has_indirect_call, 0
	.section	.AMDGPU.csdata,"",@progbits
; Kernel info:
; codeLenInByte = 2012
; TotalNumSgprs: 32
; NumVgprs: 41
; ScratchSize: 0
; MemoryBound: 0
; FloatMode: 240
; IeeeMode: 1
; LDSByteSize: 4096 bytes/workgroup (compile time only)
; SGPRBlocks: 3
; VGPRBlocks: 10
; NumSGPRsForWavesPerEU: 32
; NumVGPRsForWavesPerEU: 41
; Occupancy: 5
; WaveLimiterHint : 1
; COMPUTE_PGM_RSRC2:SCRATCH_EN: 0
; COMPUTE_PGM_RSRC2:USER_SGPR: 6
; COMPUTE_PGM_RSRC2:TRAP_HANDLER: 0
; COMPUTE_PGM_RSRC2:TGID_X_EN: 1
; COMPUTE_PGM_RSRC2:TGID_Y_EN: 1
; COMPUTE_PGM_RSRC2:TGID_Z_EN: 1
; COMPUTE_PGM_RSRC2:TIDIG_COMP_CNT: 1
	.section	.text._ZL37rocblas_syrkx_herkx_restricted_kernelIl19rocblas_complex_numIfELi16ELi32ELi8ELb1ELb0ELc78ELc76EKPKS1_KPS1_EviT_T0_PT8_S7_lSA_S7_lS8_PT9_S7_li,"axG",@progbits,_ZL37rocblas_syrkx_herkx_restricted_kernelIl19rocblas_complex_numIfELi16ELi32ELi8ELb1ELb0ELc78ELc76EKPKS1_KPS1_EviT_T0_PT8_S7_lSA_S7_lS8_PT9_S7_li,comdat
	.globl	_ZL37rocblas_syrkx_herkx_restricted_kernelIl19rocblas_complex_numIfELi16ELi32ELi8ELb1ELb0ELc78ELc76EKPKS1_KPS1_EviT_T0_PT8_S7_lSA_S7_lS8_PT9_S7_li ; -- Begin function _ZL37rocblas_syrkx_herkx_restricted_kernelIl19rocblas_complex_numIfELi16ELi32ELi8ELb1ELb0ELc78ELc76EKPKS1_KPS1_EviT_T0_PT8_S7_lSA_S7_lS8_PT9_S7_li
	.p2align	8
	.type	_ZL37rocblas_syrkx_herkx_restricted_kernelIl19rocblas_complex_numIfELi16ELi32ELi8ELb1ELb0ELc78ELc76EKPKS1_KPS1_EviT_T0_PT8_S7_lSA_S7_lS8_PT9_S7_li,@function
_ZL37rocblas_syrkx_herkx_restricted_kernelIl19rocblas_complex_numIfELi16ELi32ELi8ELb1ELb0ELc78ELc76EKPKS1_KPS1_EviT_T0_PT8_S7_lSA_S7_lS8_PT9_S7_li: ; @_ZL37rocblas_syrkx_herkx_restricted_kernelIl19rocblas_complex_numIfELi16ELi32ELi8ELb1ELb0ELc78ELc76EKPKS1_KPS1_EviT_T0_PT8_S7_lSA_S7_lS8_PT9_S7_li
; %bb.0:
	s_load_dwordx4 s[20:23], s[4:5], 0x50
	s_load_dwordx8 s[12:19], s[4:5], 0x8
	s_mov_b32 s9, 0
	s_lshl_b64 s[10:11], s[8:9], 3
	s_waitcnt lgkmcnt(0)
	s_add_u32 s0, s20, s10
	s_addc_u32 s1, s21, s11
	s_load_dwordx2 s[8:9], s[0:1], 0x0
	v_cmp_lt_i64_e64 s[0:1], s[12:13], 1
	s_lshl_b32 s20, s6, 5
	s_lshl_b32 s21, s7, 5
	s_and_b64 vcc, exec, s[0:1]
	s_cbranch_vccnz .LBB1568_3
; %bb.1:
	s_load_dwordx4 s[0:3], s[4:5], 0x30
	v_lshl_add_u32 v5, v1, 4, v0
	v_lshrrev_b32_e32 v6, 3, v5
	v_add_u32_e32 v2, s21, v6
	s_add_u32 s6, s16, s10
	v_and_b32_e32 v7, 7, v0
	v_ashrrev_i32_e32 v3, 31, v2
	s_addc_u32 s7, s17, s11
	s_waitcnt lgkmcnt(0)
	v_mad_u64_u32 v[2:3], s[16:17], s2, v7, v[2:3]
	s_add_u32 s0, s0, s10
	s_addc_u32 s1, s1, s11
	v_mad_u64_u32 v[3:4], s[10:11], s3, v7, v[3:4]
	v_and_b32_e32 v4, 31, v5
	v_lshrrev_b32_e32 v8, 5, v5
	v_lshlrev_b32_e32 v5, 3, v4
	v_add_u32_e32 v4, s20, v4
	v_lshl_or_b32 v10, v8, 8, v5
	v_ashrrev_i32_e32 v5, 31, v4
	s_load_dwordx2 s[10:11], s[0:1], 0x0
	v_mad_u64_u32 v[4:5], s[0:1], s18, v8, v[4:5]
	v_lshlrev_b32_e32 v7, 3, v7
	v_lshl_or_b32 v6, v6, 6, v7
	v_add_u32_e32 v11, 0x800, v6
	v_mad_u64_u32 v[5:6], s[0:1], s19, v8, v[5:6]
	s_load_dwordx2 s[6:7], s[6:7], 0x0
	v_mov_b32_e32 v6, 0x800
	v_lshlrev_b64 v[4:5], 3, v[4:5]
	v_lshl_add_u32 v13, v1, 6, v6
	v_lshlrev_b64 v[2:3], 3, v[2:3]
	s_waitcnt lgkmcnt(0)
	v_mov_b32_e32 v7, s7
	v_add_co_u32_e32 v6, vcc, s6, v4
	v_addc_co_u32_e32 v7, vcc, v7, v5, vcc
	s_lshl_b64 s[0:1], s[18:19], 6
	v_mov_b32_e32 v4, s11
	v_add_co_u32_e32 v8, vcc, s10, v2
	s_lshl_b64 s[2:3], s[2:3], 6
	v_lshlrev_b32_e32 v12, 3, v0
	v_addc_co_u32_e32 v9, vcc, v4, v3, vcc
	v_mov_b32_e32 v16, 0
	s_mov_b64 s[6:7], 0
	v_mov_b32_e32 v14, s1
	v_mov_b32_e32 v15, s3
	;; [unrolled: 1-line block ×9, first 2 shown]
.LBB1568_2:                             ; =>This Inner Loop Header: Depth=1
	flat_load_dwordx2 v[2:3], v[6:7]
	v_add_co_u32_e32 v6, vcc, s0, v6
	s_add_u32 s6, s6, 8
	v_addc_co_u32_e32 v7, vcc, v7, v14, vcc
	s_addc_u32 s7, s7, 0
	s_waitcnt vmcnt(0) lgkmcnt(0)
	ds_write_b64 v10, v[2:3]
	flat_load_dwordx2 v[2:3], v[8:9]
	v_add_co_u32_e32 v8, vcc, s2, v8
	v_addc_co_u32_e32 v9, vcc, v9, v15, vcc
	s_waitcnt vmcnt(0) lgkmcnt(0)
	ds_write_b64 v11, v[2:3]
	s_waitcnt lgkmcnt(0)
	s_barrier
	ds_read_b128 v[24:27], v13
	ds_read_b128 v[28:31], v13 offset:16
	ds_read_b128 v[32:35], v13 offset:32
	;; [unrolled: 1-line block ×3, first 2 shown]
	ds_read2_b64 v[36:39], v12 offset1:16
	s_waitcnt lgkmcnt(0)
	v_mul_f32_e32 v40, v25, v37
	v_mul_f32_e32 v41, v24, v37
	v_fma_f32 v40, v24, v36, -v40
	v_fmac_f32_e32 v41, v25, v36
	v_add_f32_e32 v40, v22, v40
	v_add_f32_e32 v41, v23, v41
	v_mul_f32_e32 v22, v25, v39
	v_mul_f32_e32 v23, v24, v39
	v_fma_f32 v22, v24, v38, -v22
	v_fmac_f32_e32 v23, v25, v38
	v_add_f32_e32 v24, v20, v22
	v_add_f32_e32 v25, v21, v23
	ds_read_b128 v[20:23], v13 offset:1024
	s_waitcnt lgkmcnt(0)
	v_mul_f32_e32 v42, v21, v37
	v_mul_f32_e32 v37, v20, v37
	v_fma_f32 v42, v20, v36, -v42
	v_fmac_f32_e32 v37, v21, v36
	v_add_f32_e32 v36, v18, v42
	v_add_f32_e32 v37, v19, v37
	v_mul_f32_e32 v18, v21, v39
	v_mul_f32_e32 v19, v20, v39
	v_fma_f32 v18, v20, v38, -v18
	v_fmac_f32_e32 v19, v21, v38
	v_add_f32_e32 v20, v17, v18
	v_add_f32_e32 v21, v16, v19
	ds_read2_b64 v[16:19], v12 offset0:32 offset1:48
	s_waitcnt lgkmcnt(0)
	v_mul_f32_e32 v38, v27, v17
	v_fma_f32 v38, v26, v16, -v38
	v_add_f32_e32 v38, v40, v38
	v_mul_f32_e32 v40, v27, v19
	v_mul_f32_e32 v39, v26, v17
	v_fma_f32 v40, v26, v18, -v40
	v_mul_f32_e32 v26, v26, v19
	v_fmac_f32_e32 v26, v27, v18
	v_add_f32_e32 v25, v25, v26
	v_mul_f32_e32 v26, v23, v17
	v_mul_f32_e32 v17, v22, v17
	v_fmac_f32_e32 v17, v23, v16
	v_fmac_f32_e32 v39, v27, v16
	v_fma_f32 v26, v22, v16, -v26
	v_add_f32_e32 v27, v37, v17
	v_mul_f32_e32 v16, v23, v19
	v_mul_f32_e32 v17, v22, v19
	v_fma_f32 v16, v22, v18, -v16
	v_fmac_f32_e32 v17, v23, v18
	v_add_f32_e32 v26, v36, v26
	v_add_f32_e32 v36, v20, v16
	;; [unrolled: 1-line block ×3, first 2 shown]
	ds_read2_b64 v[16:19], v12 offset0:64 offset1:80
	v_add_f32_e32 v39, v41, v39
	v_add_f32_e32 v24, v24, v40
	s_waitcnt lgkmcnt(0)
	v_mul_f32_e32 v20, v29, v17
	v_mul_f32_e32 v21, v28, v17
	v_fma_f32 v20, v28, v16, -v20
	v_fmac_f32_e32 v21, v29, v16
	v_add_f32_e32 v38, v38, v20
	v_add_f32_e32 v39, v39, v21
	v_mul_f32_e32 v20, v29, v19
	v_mul_f32_e32 v21, v28, v19
	v_fma_f32 v20, v28, v18, -v20
	v_fmac_f32_e32 v21, v29, v18
	v_add_f32_e32 v24, v24, v20
	v_add_f32_e32 v25, v25, v21
	ds_read_b128 v[20:23], v13 offset:1040
	s_waitcnt lgkmcnt(0)
	v_mul_f32_e32 v28, v21, v17
	v_mul_f32_e32 v17, v20, v17
	v_fmac_f32_e32 v17, v21, v16
	v_fma_f32 v28, v20, v16, -v28
	v_add_f32_e32 v27, v27, v17
	v_mul_f32_e32 v16, v21, v19
	v_mul_f32_e32 v17, v20, v19
	v_fma_f32 v16, v20, v18, -v16
	v_fmac_f32_e32 v17, v21, v18
	v_add_f32_e32 v20, v36, v16
	v_add_f32_e32 v21, v37, v17
	ds_read2_b64 v[16:19], v12 offset0:96 offset1:112
	v_add_f32_e32 v26, v26, v28
	s_waitcnt lgkmcnt(0)
	v_mul_f32_e32 v28, v31, v17
	v_mul_f32_e32 v36, v31, v19
	v_fma_f32 v28, v30, v16, -v28
	v_mul_f32_e32 v29, v30, v17
	v_fma_f32 v36, v30, v18, -v36
	v_mul_f32_e32 v30, v30, v19
	v_fmac_f32_e32 v30, v31, v18
	v_add_f32_e32 v25, v25, v30
	v_mul_f32_e32 v30, v23, v17
	v_mul_f32_e32 v17, v22, v17
	v_fmac_f32_e32 v17, v23, v16
	v_fmac_f32_e32 v29, v31, v16
	v_fma_f32 v30, v22, v16, -v30
	v_add_f32_e32 v27, v27, v17
	v_mul_f32_e32 v16, v23, v19
	v_mul_f32_e32 v17, v22, v19
	v_fma_f32 v16, v22, v18, -v16
	v_fmac_f32_e32 v17, v23, v18
	v_add_f32_e32 v26, v26, v30
	v_add_f32_e32 v30, v20, v16
	;; [unrolled: 1-line block ×3, first 2 shown]
	ds_read2_b64 v[16:19], v12 offset0:128 offset1:144
	v_add_f32_e32 v28, v38, v28
	v_add_f32_e32 v29, v39, v29
	;; [unrolled: 1-line block ×3, first 2 shown]
	s_waitcnt lgkmcnt(0)
	v_mul_f32_e32 v20, v33, v17
	v_mul_f32_e32 v21, v32, v17
	v_fma_f32 v20, v32, v16, -v20
	v_fmac_f32_e32 v21, v33, v16
	v_add_f32_e32 v28, v28, v20
	v_add_f32_e32 v29, v29, v21
	v_mul_f32_e32 v20, v33, v19
	v_mul_f32_e32 v21, v32, v19
	v_fma_f32 v20, v32, v18, -v20
	v_fmac_f32_e32 v21, v33, v18
	v_add_f32_e32 v24, v24, v20
	v_add_f32_e32 v25, v25, v21
	ds_read_b128 v[20:23], v13 offset:1056
	s_waitcnt lgkmcnt(0)
	v_mul_f32_e32 v32, v21, v17
	v_mul_f32_e32 v17, v20, v17
	v_fmac_f32_e32 v17, v21, v16
	v_fma_f32 v32, v20, v16, -v32
	v_add_f32_e32 v27, v27, v17
	v_mul_f32_e32 v16, v21, v19
	v_mul_f32_e32 v17, v20, v19
	v_fma_f32 v16, v20, v18, -v16
	v_fmac_f32_e32 v17, v21, v18
	v_add_f32_e32 v20, v30, v16
	v_add_f32_e32 v21, v31, v17
	ds_read2_b64 v[16:19], v12 offset0:160 offset1:176
	v_add_f32_e32 v26, v26, v32
	s_waitcnt lgkmcnt(0)
	v_mul_f32_e32 v30, v35, v17
	v_fma_f32 v30, v34, v16, -v30
	v_add_f32_e32 v28, v28, v30
	v_mul_f32_e32 v30, v35, v19
	v_fma_f32 v30, v34, v18, -v30
	v_mul_f32_e32 v31, v34, v17
	v_add_f32_e32 v24, v24, v30
	v_mul_f32_e32 v30, v23, v17
	v_mul_f32_e32 v17, v22, v17
	v_fmac_f32_e32 v17, v23, v16
	v_fmac_f32_e32 v31, v35, v16
	v_fma_f32 v30, v22, v16, -v30
	v_add_f32_e32 v27, v27, v17
	v_mul_f32_e32 v16, v23, v19
	v_mul_f32_e32 v17, v22, v19
	v_add_f32_e32 v29, v29, v31
	v_mul_f32_e32 v31, v34, v19
	v_fma_f32 v16, v22, v18, -v16
	v_fmac_f32_e32 v17, v23, v18
	v_fmac_f32_e32 v31, v35, v18
	v_add_f32_e32 v20, v20, v16
	v_add_f32_e32 v21, v21, v17
	ds_read2_b64 v[16:19], v12 offset0:192 offset1:208
	v_add_f32_e32 v26, v26, v30
	v_add_f32_e32 v25, v25, v31
	s_waitcnt lgkmcnt(0)
	v_mul_f32_e32 v22, v3, v17
	v_fma_f32 v22, v2, v16, -v22
	v_add_f32_e32 v30, v28, v22
	v_mul_f32_e32 v22, v3, v19
	v_mul_f32_e32 v23, v2, v17
	v_fma_f32 v22, v2, v18, -v22
	v_mul_f32_e32 v2, v2, v19
	v_fmac_f32_e32 v23, v3, v16
	v_fmac_f32_e32 v2, v3, v18
	v_add_f32_e32 v31, v29, v23
	v_add_f32_e32 v3, v24, v22
	;; [unrolled: 1-line block ×3, first 2 shown]
	ds_read_b128 v[22:25], v13 offset:1072
	s_waitcnt lgkmcnt(0)
	v_mul_f32_e32 v28, v23, v17
	v_fma_f32 v28, v22, v16, -v28
	v_mul_f32_e32 v17, v22, v17
	v_fmac_f32_e32 v17, v23, v16
	v_add_f32_e32 v16, v26, v28
	v_mul_f32_e32 v26, v23, v19
	v_fma_f32 v26, v22, v18, -v26
	v_add_f32_e32 v17, v27, v17
	v_add_f32_e32 v32, v20, v26
	ds_read2_b64 v[26:29], v12 offset0:224 offset1:240
	v_mul_f32_e32 v19, v22, v19
	v_fmac_f32_e32 v19, v23, v18
	v_add_f32_e32 v33, v21, v19
	s_waitcnt lgkmcnt(0)
	v_mul_f32_e32 v18, v5, v27
	v_fma_f32 v18, v4, v26, -v18
	v_add_f32_e32 v22, v30, v18
	v_mul_f32_e32 v18, v5, v29
	v_mul_f32_e32 v19, v4, v27
	v_fma_f32 v18, v4, v28, -v18
	v_mul_f32_e32 v4, v4, v29
	v_fmac_f32_e32 v4, v5, v28
	v_add_f32_e32 v20, v3, v18
	v_add_f32_e32 v21, v2, v4
	v_mul_f32_e32 v2, v25, v27
	v_mul_f32_e32 v3, v24, v27
	v_fmac_f32_e32 v19, v5, v26
	v_fma_f32 v2, v24, v26, -v2
	v_fmac_f32_e32 v3, v25, v26
	v_add_f32_e32 v23, v31, v19
	v_add_f32_e32 v18, v16, v2
	;; [unrolled: 1-line block ×3, first 2 shown]
	v_mul_f32_e32 v2, v25, v29
	v_mul_f32_e32 v3, v24, v29
	v_fma_f32 v2, v24, v28, -v2
	v_fmac_f32_e32 v3, v25, v28
	v_add_f32_e32 v17, v32, v2
	v_add_f32_e32 v16, v33, v3
	v_mov_b32_e32 v2, s6
	v_mov_b32_e32 v3, s7
	v_cmp_le_u64_e32 vcc, s[12:13], v[2:3]
	s_barrier
	s_cbranch_vccz .LBB1568_2
	s_branch .LBB1568_4
.LBB1568_3:
	v_mov_b32_e32 v22, 0
	v_mov_b32_e32 v23, 0
	;; [unrolled: 1-line block ×8, first 2 shown]
.LBB1568_4:
	v_add_u32_e32 v4, s21, v1
	v_ashrrev_i32_e32 v1, 31, v4
	v_mul_lo_u32 v3, s22, v1
	v_mul_lo_u32 v5, s23, v4
	v_mad_u64_u32 v[1:2], s[0:1], s22, v4, 0
	s_load_dword s4, s[4:5], 0x0
	v_add_u32_e32 v0, s20, v0
	v_add3_u32 v2, v2, v3, v5
	v_lshlrev_b64 v[1:2], 3, v[1:2]
	s_waitcnt lgkmcnt(0)
	v_mov_b32_e32 v3, s9
	v_add_co_u32_e32 v5, vcc, s8, v1
	v_addc_co_u32_e32 v6, vcc, v3, v2, vcc
	v_cmp_le_i32_e64 s[0:1], v4, v0
	v_cmp_gt_i32_e32 vcc, s4, v0
	s_and_b64 s[0:1], s[0:1], vcc
	s_and_saveexec_b64 s[2:3], s[0:1]
	s_cbranch_execz .LBB1568_6
; %bb.5:
	v_mul_f32_e32 v1, s15, v23
	v_fma_f32 v2, v22, s14, -v1
	v_ashrrev_i32_e32 v1, 31, v0
	v_lshlrev_b64 v[7:8], 3, v[0:1]
	v_mul_f32_e32 v3, s14, v23
	v_add_co_u32_e64 v7, s[0:1], v5, v7
	v_fmac_f32_e32 v3, s15, v22
	v_addc_co_u32_e64 v8, s[0:1], v6, v8, s[0:1]
	flat_store_dwordx2 v[7:8], v[2:3]
.LBB1568_6:
	s_or_b64 exec, exec, s[2:3]
	v_add_u32_e32 v2, 16, v0
	v_cmp_le_i32_e64 s[2:3], v4, v2
	v_cmp_gt_i32_e64 s[0:1], s4, v2
	s_and_b64 s[2:3], s[2:3], s[0:1]
	s_and_saveexec_b64 s[4:5], s[2:3]
	s_cbranch_execz .LBB1568_8
; %bb.7:
	v_ashrrev_i32_e32 v3, 31, v2
	v_lshlrev_b64 v[9:10], 3, v[2:3]
	v_mul_f32_e32 v1, s15, v21
	v_mul_f32_e32 v8, s14, v21
	v_add_co_u32_e64 v5, s[2:3], v5, v9
	v_fma_f32 v7, v20, s14, -v1
	v_fmac_f32_e32 v8, s15, v20
	v_addc_co_u32_e64 v6, s[2:3], v6, v10, s[2:3]
	flat_store_dwordx2 v[5:6], v[7:8]
.LBB1568_8:
	s_or_b64 exec, exec, s[4:5]
	v_add_u32_e32 v3, 16, v4
	v_ashrrev_i32_e32 v1, 31, v3
	v_mul_lo_u32 v6, s23, v3
	v_mad_u64_u32 v[4:5], s[2:3], s22, v3, 0
	v_mul_lo_u32 v1, s22, v1
	v_add3_u32 v5, v5, v1, v6
	v_lshlrev_b64 v[4:5], 3, v[4:5]
	v_mov_b32_e32 v1, s9
	v_add_co_u32_e64 v4, s[2:3], s8, v4
	v_addc_co_u32_e64 v5, s[2:3], v1, v5, s[2:3]
	v_cmp_le_i32_e64 s[2:3], v3, v0
	s_and_b64 s[4:5], s[2:3], vcc
	s_and_saveexec_b64 s[2:3], s[4:5]
	s_cbranch_execz .LBB1568_10
; %bb.9:
	v_mul_f32_e32 v1, s15, v19
	v_fma_f32 v6, v18, s14, -v1
	v_ashrrev_i32_e32 v1, 31, v0
	v_lshlrev_b64 v[0:1], 3, v[0:1]
	v_mul_f32_e32 v7, s14, v19
	v_add_co_u32_e32 v0, vcc, v4, v0
	v_fmac_f32_e32 v7, s15, v18
	v_addc_co_u32_e32 v1, vcc, v5, v1, vcc
	flat_store_dwordx2 v[0:1], v[6:7]
.LBB1568_10:
	s_or_b64 exec, exec, s[2:3]
	v_cmp_le_i32_e32 vcc, v3, v2
	s_and_b64 s[0:1], vcc, s[0:1]
	s_and_saveexec_b64 s[2:3], s[0:1]
	s_cbranch_execz .LBB1568_12
; %bb.11:
	v_ashrrev_i32_e32 v3, 31, v2
	v_lshlrev_b64 v[2:3], 3, v[2:3]
	v_mul_f32_e32 v0, s15, v16
	v_mul_f32_e32 v1, s14, v16
	v_add_co_u32_e32 v2, vcc, v4, v2
	v_fma_f32 v0, v17, s14, -v0
	v_fmac_f32_e32 v1, s15, v17
	v_addc_co_u32_e32 v3, vcc, v5, v3, vcc
	flat_store_dwordx2 v[2:3], v[0:1]
.LBB1568_12:
	s_endpgm
	.section	.rodata,"a",@progbits
	.p2align	6, 0x0
	.amdhsa_kernel _ZL37rocblas_syrkx_herkx_restricted_kernelIl19rocblas_complex_numIfELi16ELi32ELi8ELb1ELb0ELc78ELc76EKPKS1_KPS1_EviT_T0_PT8_S7_lSA_S7_lS8_PT9_S7_li
		.amdhsa_group_segment_fixed_size 4096
		.amdhsa_private_segment_fixed_size 0
		.amdhsa_kernarg_size 108
		.amdhsa_user_sgpr_count 6
		.amdhsa_user_sgpr_private_segment_buffer 1
		.amdhsa_user_sgpr_dispatch_ptr 0
		.amdhsa_user_sgpr_queue_ptr 0
		.amdhsa_user_sgpr_kernarg_segment_ptr 1
		.amdhsa_user_sgpr_dispatch_id 0
		.amdhsa_user_sgpr_flat_scratch_init 0
		.amdhsa_user_sgpr_private_segment_size 0
		.amdhsa_uses_dynamic_stack 0
		.amdhsa_system_sgpr_private_segment_wavefront_offset 0
		.amdhsa_system_sgpr_workgroup_id_x 1
		.amdhsa_system_sgpr_workgroup_id_y 1
		.amdhsa_system_sgpr_workgroup_id_z 1
		.amdhsa_system_sgpr_workgroup_info 0
		.amdhsa_system_vgpr_workitem_id 1
		.amdhsa_next_free_vgpr 43
		.amdhsa_next_free_sgpr 24
		.amdhsa_reserve_vcc 1
		.amdhsa_reserve_flat_scratch 0
		.amdhsa_float_round_mode_32 0
		.amdhsa_float_round_mode_16_64 0
		.amdhsa_float_denorm_mode_32 3
		.amdhsa_float_denorm_mode_16_64 3
		.amdhsa_dx10_clamp 1
		.amdhsa_ieee_mode 1
		.amdhsa_fp16_overflow 0
		.amdhsa_exception_fp_ieee_invalid_op 0
		.amdhsa_exception_fp_denorm_src 0
		.amdhsa_exception_fp_ieee_div_zero 0
		.amdhsa_exception_fp_ieee_overflow 0
		.amdhsa_exception_fp_ieee_underflow 0
		.amdhsa_exception_fp_ieee_inexact 0
		.amdhsa_exception_int_div_zero 0
	.end_amdhsa_kernel
	.section	.text._ZL37rocblas_syrkx_herkx_restricted_kernelIl19rocblas_complex_numIfELi16ELi32ELi8ELb1ELb0ELc78ELc76EKPKS1_KPS1_EviT_T0_PT8_S7_lSA_S7_lS8_PT9_S7_li,"axG",@progbits,_ZL37rocblas_syrkx_herkx_restricted_kernelIl19rocblas_complex_numIfELi16ELi32ELi8ELb1ELb0ELc78ELc76EKPKS1_KPS1_EviT_T0_PT8_S7_lSA_S7_lS8_PT9_S7_li,comdat
.Lfunc_end1568:
	.size	_ZL37rocblas_syrkx_herkx_restricted_kernelIl19rocblas_complex_numIfELi16ELi32ELi8ELb1ELb0ELc78ELc76EKPKS1_KPS1_EviT_T0_PT8_S7_lSA_S7_lS8_PT9_S7_li, .Lfunc_end1568-_ZL37rocblas_syrkx_herkx_restricted_kernelIl19rocblas_complex_numIfELi16ELi32ELi8ELb1ELb0ELc78ELc76EKPKS1_KPS1_EviT_T0_PT8_S7_lSA_S7_lS8_PT9_S7_li
                                        ; -- End function
	.set _ZL37rocblas_syrkx_herkx_restricted_kernelIl19rocblas_complex_numIfELi16ELi32ELi8ELb1ELb0ELc78ELc76EKPKS1_KPS1_EviT_T0_PT8_S7_lSA_S7_lS8_PT9_S7_li.num_vgpr, 43
	.set _ZL37rocblas_syrkx_herkx_restricted_kernelIl19rocblas_complex_numIfELi16ELi32ELi8ELb1ELb0ELc78ELc76EKPKS1_KPS1_EviT_T0_PT8_S7_lSA_S7_lS8_PT9_S7_li.num_agpr, 0
	.set _ZL37rocblas_syrkx_herkx_restricted_kernelIl19rocblas_complex_numIfELi16ELi32ELi8ELb1ELb0ELc78ELc76EKPKS1_KPS1_EviT_T0_PT8_S7_lSA_S7_lS8_PT9_S7_li.numbered_sgpr, 24
	.set _ZL37rocblas_syrkx_herkx_restricted_kernelIl19rocblas_complex_numIfELi16ELi32ELi8ELb1ELb0ELc78ELc76EKPKS1_KPS1_EviT_T0_PT8_S7_lSA_S7_lS8_PT9_S7_li.num_named_barrier, 0
	.set _ZL37rocblas_syrkx_herkx_restricted_kernelIl19rocblas_complex_numIfELi16ELi32ELi8ELb1ELb0ELc78ELc76EKPKS1_KPS1_EviT_T0_PT8_S7_lSA_S7_lS8_PT9_S7_li.private_seg_size, 0
	.set _ZL37rocblas_syrkx_herkx_restricted_kernelIl19rocblas_complex_numIfELi16ELi32ELi8ELb1ELb0ELc78ELc76EKPKS1_KPS1_EviT_T0_PT8_S7_lSA_S7_lS8_PT9_S7_li.uses_vcc, 1
	.set _ZL37rocblas_syrkx_herkx_restricted_kernelIl19rocblas_complex_numIfELi16ELi32ELi8ELb1ELb0ELc78ELc76EKPKS1_KPS1_EviT_T0_PT8_S7_lSA_S7_lS8_PT9_S7_li.uses_flat_scratch, 0
	.set _ZL37rocblas_syrkx_herkx_restricted_kernelIl19rocblas_complex_numIfELi16ELi32ELi8ELb1ELb0ELc78ELc76EKPKS1_KPS1_EviT_T0_PT8_S7_lSA_S7_lS8_PT9_S7_li.has_dyn_sized_stack, 0
	.set _ZL37rocblas_syrkx_herkx_restricted_kernelIl19rocblas_complex_numIfELi16ELi32ELi8ELb1ELb0ELc78ELc76EKPKS1_KPS1_EviT_T0_PT8_S7_lSA_S7_lS8_PT9_S7_li.has_recursion, 0
	.set _ZL37rocblas_syrkx_herkx_restricted_kernelIl19rocblas_complex_numIfELi16ELi32ELi8ELb1ELb0ELc78ELc76EKPKS1_KPS1_EviT_T0_PT8_S7_lSA_S7_lS8_PT9_S7_li.has_indirect_call, 0
	.section	.AMDGPU.csdata,"",@progbits
; Kernel info:
; codeLenInByte = 1992
; TotalNumSgprs: 28
; NumVgprs: 43
; ScratchSize: 0
; MemoryBound: 0
; FloatMode: 240
; IeeeMode: 1
; LDSByteSize: 4096 bytes/workgroup (compile time only)
; SGPRBlocks: 3
; VGPRBlocks: 10
; NumSGPRsForWavesPerEU: 28
; NumVGPRsForWavesPerEU: 43
; Occupancy: 5
; WaveLimiterHint : 1
; COMPUTE_PGM_RSRC2:SCRATCH_EN: 0
; COMPUTE_PGM_RSRC2:USER_SGPR: 6
; COMPUTE_PGM_RSRC2:TRAP_HANDLER: 0
; COMPUTE_PGM_RSRC2:TGID_X_EN: 1
; COMPUTE_PGM_RSRC2:TGID_Y_EN: 1
; COMPUTE_PGM_RSRC2:TGID_Z_EN: 1
; COMPUTE_PGM_RSRC2:TIDIG_COMP_CNT: 1
	.section	.text._ZL37rocblas_syrkx_herkx_restricted_kernelIl19rocblas_complex_numIfELi16ELi32ELi8ELb1ELb0ELc84ELc85EKPKS1_KPS1_EviT_T0_PT8_S7_lSA_S7_lS8_PT9_S7_li,"axG",@progbits,_ZL37rocblas_syrkx_herkx_restricted_kernelIl19rocblas_complex_numIfELi16ELi32ELi8ELb1ELb0ELc84ELc85EKPKS1_KPS1_EviT_T0_PT8_S7_lSA_S7_lS8_PT9_S7_li,comdat
	.globl	_ZL37rocblas_syrkx_herkx_restricted_kernelIl19rocblas_complex_numIfELi16ELi32ELi8ELb1ELb0ELc84ELc85EKPKS1_KPS1_EviT_T0_PT8_S7_lSA_S7_lS8_PT9_S7_li ; -- Begin function _ZL37rocblas_syrkx_herkx_restricted_kernelIl19rocblas_complex_numIfELi16ELi32ELi8ELb1ELb0ELc84ELc85EKPKS1_KPS1_EviT_T0_PT8_S7_lSA_S7_lS8_PT9_S7_li
	.p2align	8
	.type	_ZL37rocblas_syrkx_herkx_restricted_kernelIl19rocblas_complex_numIfELi16ELi32ELi8ELb1ELb0ELc84ELc85EKPKS1_KPS1_EviT_T0_PT8_S7_lSA_S7_lS8_PT9_S7_li,@function
_ZL37rocblas_syrkx_herkx_restricted_kernelIl19rocblas_complex_numIfELi16ELi32ELi8ELb1ELb0ELc84ELc85EKPKS1_KPS1_EviT_T0_PT8_S7_lSA_S7_lS8_PT9_S7_li: ; @_ZL37rocblas_syrkx_herkx_restricted_kernelIl19rocblas_complex_numIfELi16ELi32ELi8ELb1ELb0ELc84ELc85EKPKS1_KPS1_EviT_T0_PT8_S7_lSA_S7_lS8_PT9_S7_li
; %bb.0:
	s_load_dwordx4 s[0:3], s[4:5], 0x50
	s_load_dwordx8 s[12:19], s[4:5], 0x8
	s_mov_b32 s9, 0
	s_lshl_b64 s[10:11], s[8:9], 3
	s_waitcnt lgkmcnt(0)
	s_add_u32 s0, s0, s10
	s_addc_u32 s1, s1, s11
	s_load_dwordx2 s[8:9], s[0:1], 0x0
	v_cmp_lt_i64_e64 s[0:1], s[12:13], 1
	s_lshl_b32 s6, s6, 5
	s_lshl_b32 s7, s7, 5
	s_and_b64 vcc, exec, s[0:1]
	s_cbranch_vccnz .LBB1569_3
; %bb.1:
	s_load_dwordx4 s[20:23], s[4:5], 0x30
	v_lshl_add_u32 v5, v1, 4, v0
	v_lshrrev_b32_e32 v6, 3, v5
	v_add_u32_e32 v2, s7, v6
	s_add_u32 s0, s16, s10
	v_and_b32_e32 v9, 7, v0
	v_ashrrev_i32_e32 v3, 31, v2
	v_mov_b32_e32 v10, 0
	s_addc_u32 s1, s17, s11
	s_waitcnt lgkmcnt(0)
	v_mul_lo_u32 v7, s22, v3
	v_mul_lo_u32 v8, s23, v2
	v_mad_u64_u32 v[2:3], s[16:17], s22, v2, v[9:10]
	v_and_b32_e32 v13, 31, v5
	v_lshrrev_b32_e32 v4, 5, v5
	v_add3_u32 v3, v8, v3, v7
	v_lshlrev_b32_e32 v7, 3, v13
	v_lshl_or_b32 v11, v4, 8, v7
	v_lshlrev_b32_e32 v7, 3, v9
	v_lshl_or_b32 v6, v6, 6, v7
	v_add_u32_e32 v12, 0x800, v6
	v_add_u32_e32 v6, s6, v13
	v_mov_b32_e32 v5, v10
	v_ashrrev_i32_e32 v7, 31, v6
	v_mul_lo_u32 v7, s18, v7
	v_mad_u64_u32 v[4:5], s[16:17], s18, v6, v[4:5]
	v_mul_lo_u32 v6, s19, v6
	s_load_dwordx2 s[0:1], s[0:1], 0x0
	s_add_u32 s10, s20, s10
	s_addc_u32 s11, s21, s11
	s_load_dwordx2 s[10:11], s[10:11], 0x0
	v_add3_u32 v5, v6, v5, v7
	v_lshlrev_b64 v[4:5], 3, v[4:5]
	s_waitcnt lgkmcnt(0)
	v_mov_b32_e32 v7, s1
	v_add_co_u32_e32 v6, vcc, s0, v4
	v_lshlrev_b64 v[2:3], 3, v[2:3]
	v_mov_b32_e32 v8, 0x800
	v_addc_co_u32_e32 v7, vcc, v7, v5, vcc
	v_lshl_add_u32 v14, v1, 6, v8
	v_mov_b32_e32 v4, s11
	v_add_co_u32_e32 v8, vcc, s10, v2
	v_lshlrev_b32_e32 v13, 3, v0
	v_addc_co_u32_e32 v9, vcc, v4, v3, vcc
	s_mov_b64 s[0:1], 0
	v_mov_b32_e32 v15, v10
	v_mov_b32_e32 v17, v10
	;; [unrolled: 1-line block ×7, first 2 shown]
.LBB1569_2:                             ; =>This Inner Loop Header: Depth=1
	flat_load_dwordx2 v[2:3], v[6:7]
	s_add_u32 s0, s0, 8
	v_add_co_u32_e32 v6, vcc, 64, v6
	s_addc_u32 s1, s1, 0
	v_addc_co_u32_e32 v7, vcc, 0, v7, vcc
	s_waitcnt vmcnt(0) lgkmcnt(0)
	ds_write_b64 v11, v[2:3]
	flat_load_dwordx2 v[2:3], v[8:9]
	v_add_co_u32_e32 v8, vcc, 64, v8
	v_addc_co_u32_e32 v9, vcc, 0, v9, vcc
	s_waitcnt vmcnt(0) lgkmcnt(0)
	ds_write_b64 v12, v[2:3]
	s_waitcnt lgkmcnt(0)
	s_barrier
	ds_read_b128 v[22:25], v14
	ds_read_b128 v[26:29], v14 offset:16
	ds_read_b128 v[30:33], v14 offset:32
	;; [unrolled: 1-line block ×3, first 2 shown]
	ds_read2_b64 v[34:37], v13 offset1:16
	s_waitcnt lgkmcnt(0)
	v_mul_f32_e32 v38, v23, v35
	v_mul_f32_e32 v39, v22, v35
	v_fma_f32 v38, v22, v34, -v38
	v_fmac_f32_e32 v39, v23, v34
	v_add_f32_e32 v38, v20, v38
	v_add_f32_e32 v39, v21, v39
	v_mul_f32_e32 v20, v23, v37
	v_mul_f32_e32 v21, v22, v37
	v_fma_f32 v20, v22, v36, -v20
	v_fmac_f32_e32 v21, v23, v36
	v_add_f32_e32 v22, v18, v20
	v_add_f32_e32 v23, v19, v21
	ds_read_b128 v[18:21], v14 offset:1024
	s_waitcnt lgkmcnt(0)
	v_mul_f32_e32 v40, v19, v35
	v_mul_f32_e32 v35, v18, v35
	v_fma_f32 v40, v18, v34, -v40
	v_fmac_f32_e32 v35, v19, v34
	v_add_f32_e32 v34, v16, v40
	v_add_f32_e32 v35, v17, v35
	v_mul_f32_e32 v16, v19, v37
	v_mul_f32_e32 v17, v18, v37
	v_fma_f32 v16, v18, v36, -v16
	v_fmac_f32_e32 v17, v19, v36
	v_add_f32_e32 v19, v15, v16
	v_add_f32_e32 v10, v10, v17
	ds_read2_b64 v[15:18], v13 offset0:32 offset1:48
	s_waitcnt lgkmcnt(0)
	v_mul_f32_e32 v36, v25, v16
	v_fma_f32 v36, v24, v15, -v36
	v_add_f32_e32 v36, v38, v36
	v_mul_f32_e32 v38, v25, v18
	v_mul_f32_e32 v37, v24, v16
	v_fma_f32 v38, v24, v17, -v38
	v_mul_f32_e32 v24, v24, v18
	v_fmac_f32_e32 v24, v25, v17
	v_add_f32_e32 v23, v23, v24
	v_mul_f32_e32 v24, v21, v16
	v_mul_f32_e32 v16, v20, v16
	v_fmac_f32_e32 v16, v21, v15
	v_fmac_f32_e32 v37, v25, v15
	v_fma_f32 v24, v20, v15, -v24
	v_add_f32_e32 v25, v35, v16
	v_mul_f32_e32 v15, v21, v18
	v_mul_f32_e32 v16, v20, v18
	v_fma_f32 v15, v20, v17, -v15
	v_fmac_f32_e32 v16, v21, v17
	v_add_f32_e32 v24, v34, v24
	v_add_f32_e32 v34, v19, v15
	;; [unrolled: 1-line block ×3, first 2 shown]
	ds_read2_b64 v[15:18], v13 offset0:64 offset1:80
	v_add_f32_e32 v37, v39, v37
	v_add_f32_e32 v22, v22, v38
	s_waitcnt lgkmcnt(0)
	v_mul_f32_e32 v19, v27, v16
	v_mul_f32_e32 v20, v26, v16
	v_fma_f32 v19, v26, v15, -v19
	v_fmac_f32_e32 v20, v27, v15
	v_add_f32_e32 v35, v36, v19
	v_add_f32_e32 v36, v37, v20
	v_mul_f32_e32 v19, v27, v18
	v_mul_f32_e32 v20, v26, v18
	v_fma_f32 v19, v26, v17, -v19
	v_fmac_f32_e32 v20, v27, v17
	v_add_f32_e32 v26, v22, v19
	v_add_f32_e32 v23, v23, v20
	ds_read_b128 v[19:22], v14 offset:1040
	s_waitcnt lgkmcnt(0)
	v_mul_f32_e32 v27, v20, v16
	v_mul_f32_e32 v16, v19, v16
	v_fmac_f32_e32 v16, v20, v15
	v_fma_f32 v27, v19, v15, -v27
	v_add_f32_e32 v25, v25, v16
	v_mul_f32_e32 v15, v20, v18
	v_mul_f32_e32 v16, v19, v18
	v_fma_f32 v15, v19, v17, -v15
	v_fmac_f32_e32 v16, v20, v17
	v_add_f32_e32 v19, v34, v15
	v_add_f32_e32 v10, v10, v16
	ds_read2_b64 v[15:18], v13 offset0:96 offset1:112
	v_add_f32_e32 v24, v24, v27
	s_waitcnt lgkmcnt(0)
	v_mul_f32_e32 v20, v29, v16
	v_mul_f32_e32 v34, v29, v18
	v_fma_f32 v20, v28, v15, -v20
	v_mul_f32_e32 v27, v28, v16
	v_fma_f32 v34, v28, v17, -v34
	v_mul_f32_e32 v28, v28, v18
	v_fmac_f32_e32 v28, v29, v17
	v_add_f32_e32 v23, v23, v28
	v_mul_f32_e32 v28, v22, v16
	v_mul_f32_e32 v16, v21, v16
	v_fmac_f32_e32 v16, v22, v15
	v_fmac_f32_e32 v27, v29, v15
	v_fma_f32 v28, v21, v15, -v28
	v_add_f32_e32 v25, v25, v16
	v_mul_f32_e32 v15, v22, v18
	v_mul_f32_e32 v16, v21, v18
	v_fma_f32 v15, v21, v17, -v15
	v_fmac_f32_e32 v16, v22, v17
	v_add_f32_e32 v24, v24, v28
	v_add_f32_e32 v28, v19, v15
	;; [unrolled: 1-line block ×3, first 2 shown]
	ds_read2_b64 v[15:18], v13 offset0:128 offset1:144
	v_add_f32_e32 v20, v35, v20
	v_add_f32_e32 v27, v36, v27
	;; [unrolled: 1-line block ×3, first 2 shown]
	s_waitcnt lgkmcnt(0)
	v_mul_f32_e32 v19, v31, v16
	v_fma_f32 v19, v30, v15, -v19
	v_mul_f32_e32 v21, v30, v16
	v_add_f32_e32 v29, v20, v19
	v_mul_f32_e32 v19, v31, v18
	v_mul_f32_e32 v20, v30, v18
	v_fmac_f32_e32 v21, v31, v15
	v_fma_f32 v19, v30, v17, -v19
	v_fmac_f32_e32 v20, v31, v17
	v_add_f32_e32 v27, v27, v21
	v_add_f32_e32 v26, v26, v19
	;; [unrolled: 1-line block ×3, first 2 shown]
	ds_read_b128 v[19:22], v14 offset:1056
	s_waitcnt lgkmcnt(0)
	v_mul_f32_e32 v30, v20, v16
	v_mul_f32_e32 v16, v19, v16
	v_fmac_f32_e32 v16, v20, v15
	v_fma_f32 v30, v19, v15, -v30
	v_add_f32_e32 v25, v25, v16
	v_mul_f32_e32 v15, v20, v18
	v_mul_f32_e32 v16, v19, v18
	v_fma_f32 v15, v19, v17, -v15
	v_fmac_f32_e32 v16, v20, v17
	v_add_f32_e32 v19, v28, v15
	v_add_f32_e32 v10, v10, v16
	ds_read2_b64 v[15:18], v13 offset0:160 offset1:176
	v_add_f32_e32 v24, v24, v30
	s_waitcnt lgkmcnt(0)
	v_mul_f32_e32 v28, v32, v16
	v_fmac_f32_e32 v28, v33, v15
	v_add_f32_e32 v27, v27, v28
	v_mul_f32_e32 v28, v33, v18
	v_fma_f32 v28, v32, v17, -v28
	v_mul_f32_e32 v20, v33, v16
	v_add_f32_e32 v26, v26, v28
	v_mul_f32_e32 v28, v22, v16
	v_mul_f32_e32 v16, v21, v16
	v_fmac_f32_e32 v16, v22, v15
	v_fma_f32 v20, v32, v15, -v20
	v_fma_f32 v28, v21, v15, -v28
	v_add_f32_e32 v25, v25, v16
	v_mul_f32_e32 v15, v22, v18
	v_mul_f32_e32 v16, v21, v18
	v_add_f32_e32 v20, v29, v20
	v_mul_f32_e32 v29, v32, v18
	v_fma_f32 v15, v21, v17, -v15
	v_fmac_f32_e32 v16, v22, v17
	v_fmac_f32_e32 v29, v33, v17
	v_add_f32_e32 v19, v19, v15
	v_add_f32_e32 v10, v10, v16
	ds_read2_b64 v[15:18], v13 offset0:192 offset1:208
	v_add_f32_e32 v24, v24, v28
	v_add_f32_e32 v23, v23, v29
	s_waitcnt lgkmcnt(0)
	v_mul_f32_e32 v21, v3, v16
	v_fma_f32 v21, v2, v15, -v21
	v_add_f32_e32 v28, v20, v21
	v_mul_f32_e32 v20, v3, v18
	v_mul_f32_e32 v22, v2, v16
	v_fma_f32 v20, v2, v17, -v20
	v_mul_f32_e32 v2, v2, v18
	v_fmac_f32_e32 v22, v3, v15
	v_fmac_f32_e32 v2, v3, v17
	v_add_f32_e32 v29, v27, v22
	v_add_f32_e32 v3, v26, v20
	;; [unrolled: 1-line block ×3, first 2 shown]
	ds_read_b128 v[20:23], v14 offset:1072
	s_waitcnt lgkmcnt(0)
	v_mul_f32_e32 v26, v21, v16
	v_mul_f32_e32 v16, v20, v16
	v_fma_f32 v26, v20, v15, -v26
	v_fmac_f32_e32 v16, v21, v15
	v_add_f32_e32 v15, v24, v26
	v_add_f32_e32 v30, v25, v16
	ds_read2_b64 v[24:27], v13 offset0:224 offset1:240
	v_mul_f32_e32 v16, v21, v18
	v_fma_f32 v16, v20, v17, -v16
	v_add_f32_e32 v31, v19, v16
	v_mul_f32_e32 v18, v20, v18
	s_waitcnt lgkmcnt(0)
	v_mul_f32_e32 v16, v5, v25
	v_fma_f32 v16, v4, v24, -v16
	v_add_f32_e32 v20, v28, v16
	v_mul_f32_e32 v16, v5, v27
	v_fmac_f32_e32 v18, v21, v17
	v_mul_f32_e32 v17, v4, v25
	v_fma_f32 v16, v4, v26, -v16
	v_mul_f32_e32 v4, v4, v27
	v_fmac_f32_e32 v4, v5, v26
	v_add_f32_e32 v10, v10, v18
	v_add_f32_e32 v18, v3, v16
	;; [unrolled: 1-line block ×3, first 2 shown]
	v_mul_f32_e32 v2, v23, v25
	v_mul_f32_e32 v3, v22, v25
	v_fmac_f32_e32 v17, v5, v24
	v_fma_f32 v2, v22, v24, -v2
	v_fmac_f32_e32 v3, v23, v24
	v_add_f32_e32 v21, v29, v17
	v_add_f32_e32 v16, v15, v2
	;; [unrolled: 1-line block ×3, first 2 shown]
	v_mul_f32_e32 v2, v23, v27
	v_mul_f32_e32 v3, v22, v27
	v_fma_f32 v2, v22, v26, -v2
	v_fmac_f32_e32 v3, v23, v26
	v_add_f32_e32 v15, v31, v2
	v_add_f32_e32 v10, v10, v3
	v_mov_b32_e32 v3, s1
	v_mov_b32_e32 v2, s0
	v_cmp_le_u64_e32 vcc, s[12:13], v[2:3]
	s_barrier
	s_cbranch_vccz .LBB1569_2
	s_branch .LBB1569_4
.LBB1569_3:
	v_mov_b32_e32 v20, 0
	v_mov_b32_e32 v21, 0
	;; [unrolled: 1-line block ×8, first 2 shown]
.LBB1569_4:
	v_add_u32_e32 v4, s7, v1
	v_ashrrev_i32_e32 v1, 31, v4
	v_mul_lo_u32 v3, s2, v1
	v_mul_lo_u32 v5, s3, v4
	v_mad_u64_u32 v[1:2], s[0:1], s2, v4, 0
	s_load_dword s10, s[4:5], 0x0
	v_add_u32_e32 v0, s6, v0
	v_add3_u32 v2, v2, v3, v5
	v_lshlrev_b64 v[1:2], 3, v[1:2]
	s_waitcnt lgkmcnt(0)
	v_mov_b32_e32 v3, s9
	v_add_co_u32_e64 v5, s[0:1], s8, v1
	v_addc_co_u32_e64 v6, s[0:1], v3, v2, s[0:1]
	v_cmp_gt_i32_e32 vcc, s10, v4
	v_cmp_le_i32_e64 s[0:1], v0, v4
	s_and_b64 s[0:1], vcc, s[0:1]
	s_and_saveexec_b64 s[4:5], s[0:1]
	s_cbranch_execz .LBB1569_6
; %bb.5:
	v_mul_f32_e32 v1, s15, v21
	v_fma_f32 v2, v20, s14, -v1
	v_ashrrev_i32_e32 v1, 31, v0
	v_lshlrev_b64 v[7:8], 3, v[0:1]
	v_mul_f32_e32 v3, s14, v21
	v_add_co_u32_e64 v7, s[0:1], v5, v7
	v_fmac_f32_e32 v3, s15, v20
	v_addc_co_u32_e64 v8, s[0:1], v6, v8, s[0:1]
	flat_store_dwordx2 v[7:8], v[2:3]
.LBB1569_6:
	s_or_b64 exec, exec, s[4:5]
	v_add_u32_e32 v2, 16, v0
	v_cmp_le_i32_e64 s[0:1], v2, v4
	s_and_b64 s[4:5], vcc, s[0:1]
	s_and_saveexec_b64 s[0:1], s[4:5]
	s_cbranch_execz .LBB1569_8
; %bb.7:
	v_ashrrev_i32_e32 v3, 31, v2
	v_lshlrev_b64 v[11:12], 3, v[2:3]
	v_mul_f32_e32 v1, s15, v19
	v_mul_f32_e32 v8, s14, v19
	v_add_co_u32_e32 v5, vcc, v5, v11
	v_fma_f32 v7, v18, s14, -v1
	v_fmac_f32_e32 v8, s15, v18
	v_addc_co_u32_e32 v6, vcc, v6, v12, vcc
	flat_store_dwordx2 v[5:6], v[7:8]
.LBB1569_8:
	s_or_b64 exec, exec, s[0:1]
	v_add_u32_e32 v3, 16, v4
	v_ashrrev_i32_e32 v1, 31, v3
	v_mul_lo_u32 v1, s2, v1
	v_mul_lo_u32 v6, s3, v3
	v_mad_u64_u32 v[4:5], s[0:1], s2, v3, 0
	v_cmp_gt_i32_e32 vcc, s10, v3
	v_add3_u32 v5, v5, v1, v6
	v_lshlrev_b64 v[4:5], 3, v[4:5]
	v_mov_b32_e32 v1, s9
	v_add_co_u32_e64 v4, s[0:1], s8, v4
	v_addc_co_u32_e64 v5, s[0:1], v1, v5, s[0:1]
	v_cmp_le_i32_e64 s[0:1], v0, v3
	s_and_b64 s[0:1], vcc, s[0:1]
	s_and_saveexec_b64 s[2:3], s[0:1]
	s_cbranch_execz .LBB1569_10
; %bb.9:
	v_mul_f32_e32 v1, s15, v17
	v_fma_f32 v6, v16, s14, -v1
	v_ashrrev_i32_e32 v1, 31, v0
	v_lshlrev_b64 v[0:1], 3, v[0:1]
	v_mul_f32_e32 v7, s14, v17
	v_add_co_u32_e64 v0, s[0:1], v4, v0
	v_fmac_f32_e32 v7, s15, v16
	v_addc_co_u32_e64 v1, s[0:1], v5, v1, s[0:1]
	flat_store_dwordx2 v[0:1], v[6:7]
.LBB1569_10:
	s_or_b64 exec, exec, s[2:3]
	v_cmp_le_i32_e64 s[0:1], v2, v3
	s_and_b64 s[0:1], vcc, s[0:1]
	s_and_saveexec_b64 s[2:3], s[0:1]
	s_cbranch_execz .LBB1569_12
; %bb.11:
	v_ashrrev_i32_e32 v3, 31, v2
	v_lshlrev_b64 v[2:3], 3, v[2:3]
	v_mul_f32_e32 v0, s15, v10
	v_mul_f32_e32 v1, s14, v10
	v_add_co_u32_e32 v2, vcc, v4, v2
	v_fma_f32 v0, v15, s14, -v0
	v_fmac_f32_e32 v1, s15, v15
	v_addc_co_u32_e32 v3, vcc, v5, v3, vcc
	flat_store_dwordx2 v[2:3], v[0:1]
.LBB1569_12:
	s_endpgm
	.section	.rodata,"a",@progbits
	.p2align	6, 0x0
	.amdhsa_kernel _ZL37rocblas_syrkx_herkx_restricted_kernelIl19rocblas_complex_numIfELi16ELi32ELi8ELb1ELb0ELc84ELc85EKPKS1_KPS1_EviT_T0_PT8_S7_lSA_S7_lS8_PT9_S7_li
		.amdhsa_group_segment_fixed_size 4096
		.amdhsa_private_segment_fixed_size 0
		.amdhsa_kernarg_size 108
		.amdhsa_user_sgpr_count 6
		.amdhsa_user_sgpr_private_segment_buffer 1
		.amdhsa_user_sgpr_dispatch_ptr 0
		.amdhsa_user_sgpr_queue_ptr 0
		.amdhsa_user_sgpr_kernarg_segment_ptr 1
		.amdhsa_user_sgpr_dispatch_id 0
		.amdhsa_user_sgpr_flat_scratch_init 0
		.amdhsa_user_sgpr_private_segment_size 0
		.amdhsa_uses_dynamic_stack 0
		.amdhsa_system_sgpr_private_segment_wavefront_offset 0
		.amdhsa_system_sgpr_workgroup_id_x 1
		.amdhsa_system_sgpr_workgroup_id_y 1
		.amdhsa_system_sgpr_workgroup_id_z 1
		.amdhsa_system_sgpr_workgroup_info 0
		.amdhsa_system_vgpr_workitem_id 1
		.amdhsa_next_free_vgpr 41
		.amdhsa_next_free_sgpr 24
		.amdhsa_reserve_vcc 1
		.amdhsa_reserve_flat_scratch 0
		.amdhsa_float_round_mode_32 0
		.amdhsa_float_round_mode_16_64 0
		.amdhsa_float_denorm_mode_32 3
		.amdhsa_float_denorm_mode_16_64 3
		.amdhsa_dx10_clamp 1
		.amdhsa_ieee_mode 1
		.amdhsa_fp16_overflow 0
		.amdhsa_exception_fp_ieee_invalid_op 0
		.amdhsa_exception_fp_denorm_src 0
		.amdhsa_exception_fp_ieee_div_zero 0
		.amdhsa_exception_fp_ieee_overflow 0
		.amdhsa_exception_fp_ieee_underflow 0
		.amdhsa_exception_fp_ieee_inexact 0
		.amdhsa_exception_int_div_zero 0
	.end_amdhsa_kernel
	.section	.text._ZL37rocblas_syrkx_herkx_restricted_kernelIl19rocblas_complex_numIfELi16ELi32ELi8ELb1ELb0ELc84ELc85EKPKS1_KPS1_EviT_T0_PT8_S7_lSA_S7_lS8_PT9_S7_li,"axG",@progbits,_ZL37rocblas_syrkx_herkx_restricted_kernelIl19rocblas_complex_numIfELi16ELi32ELi8ELb1ELb0ELc84ELc85EKPKS1_KPS1_EviT_T0_PT8_S7_lSA_S7_lS8_PT9_S7_li,comdat
.Lfunc_end1569:
	.size	_ZL37rocblas_syrkx_herkx_restricted_kernelIl19rocblas_complex_numIfELi16ELi32ELi8ELb1ELb0ELc84ELc85EKPKS1_KPS1_EviT_T0_PT8_S7_lSA_S7_lS8_PT9_S7_li, .Lfunc_end1569-_ZL37rocblas_syrkx_herkx_restricted_kernelIl19rocblas_complex_numIfELi16ELi32ELi8ELb1ELb0ELc84ELc85EKPKS1_KPS1_EviT_T0_PT8_S7_lSA_S7_lS8_PT9_S7_li
                                        ; -- End function
	.set _ZL37rocblas_syrkx_herkx_restricted_kernelIl19rocblas_complex_numIfELi16ELi32ELi8ELb1ELb0ELc84ELc85EKPKS1_KPS1_EviT_T0_PT8_S7_lSA_S7_lS8_PT9_S7_li.num_vgpr, 41
	.set _ZL37rocblas_syrkx_herkx_restricted_kernelIl19rocblas_complex_numIfELi16ELi32ELi8ELb1ELb0ELc84ELc85EKPKS1_KPS1_EviT_T0_PT8_S7_lSA_S7_lS8_PT9_S7_li.num_agpr, 0
	.set _ZL37rocblas_syrkx_herkx_restricted_kernelIl19rocblas_complex_numIfELi16ELi32ELi8ELb1ELb0ELc84ELc85EKPKS1_KPS1_EviT_T0_PT8_S7_lSA_S7_lS8_PT9_S7_li.numbered_sgpr, 24
	.set _ZL37rocblas_syrkx_herkx_restricted_kernelIl19rocblas_complex_numIfELi16ELi32ELi8ELb1ELb0ELc84ELc85EKPKS1_KPS1_EviT_T0_PT8_S7_lSA_S7_lS8_PT9_S7_li.num_named_barrier, 0
	.set _ZL37rocblas_syrkx_herkx_restricted_kernelIl19rocblas_complex_numIfELi16ELi32ELi8ELb1ELb0ELc84ELc85EKPKS1_KPS1_EviT_T0_PT8_S7_lSA_S7_lS8_PT9_S7_li.private_seg_size, 0
	.set _ZL37rocblas_syrkx_herkx_restricted_kernelIl19rocblas_complex_numIfELi16ELi32ELi8ELb1ELb0ELc84ELc85EKPKS1_KPS1_EviT_T0_PT8_S7_lSA_S7_lS8_PT9_S7_li.uses_vcc, 1
	.set _ZL37rocblas_syrkx_herkx_restricted_kernelIl19rocblas_complex_numIfELi16ELi32ELi8ELb1ELb0ELc84ELc85EKPKS1_KPS1_EviT_T0_PT8_S7_lSA_S7_lS8_PT9_S7_li.uses_flat_scratch, 0
	.set _ZL37rocblas_syrkx_herkx_restricted_kernelIl19rocblas_complex_numIfELi16ELi32ELi8ELb1ELb0ELc84ELc85EKPKS1_KPS1_EviT_T0_PT8_S7_lSA_S7_lS8_PT9_S7_li.has_dyn_sized_stack, 0
	.set _ZL37rocblas_syrkx_herkx_restricted_kernelIl19rocblas_complex_numIfELi16ELi32ELi8ELb1ELb0ELc84ELc85EKPKS1_KPS1_EviT_T0_PT8_S7_lSA_S7_lS8_PT9_S7_li.has_recursion, 0
	.set _ZL37rocblas_syrkx_herkx_restricted_kernelIl19rocblas_complex_numIfELi16ELi32ELi8ELb1ELb0ELc84ELc85EKPKS1_KPS1_EviT_T0_PT8_S7_lSA_S7_lS8_PT9_S7_li.has_indirect_call, 0
	.section	.AMDGPU.csdata,"",@progbits
; Kernel info:
; codeLenInByte = 2020
; TotalNumSgprs: 28
; NumVgprs: 41
; ScratchSize: 0
; MemoryBound: 0
; FloatMode: 240
; IeeeMode: 1
; LDSByteSize: 4096 bytes/workgroup (compile time only)
; SGPRBlocks: 3
; VGPRBlocks: 10
; NumSGPRsForWavesPerEU: 28
; NumVGPRsForWavesPerEU: 41
; Occupancy: 5
; WaveLimiterHint : 1
; COMPUTE_PGM_RSRC2:SCRATCH_EN: 0
; COMPUTE_PGM_RSRC2:USER_SGPR: 6
; COMPUTE_PGM_RSRC2:TRAP_HANDLER: 0
; COMPUTE_PGM_RSRC2:TGID_X_EN: 1
; COMPUTE_PGM_RSRC2:TGID_Y_EN: 1
; COMPUTE_PGM_RSRC2:TGID_Z_EN: 1
; COMPUTE_PGM_RSRC2:TIDIG_COMP_CNT: 1
	.section	.text._ZL37rocblas_syrkx_herkx_restricted_kernelIl19rocblas_complex_numIfELi16ELi32ELi8ELb1ELb0ELc67ELc85EKPKS1_KPS1_EviT_T0_PT8_S7_lSA_S7_lS8_PT9_S7_li,"axG",@progbits,_ZL37rocblas_syrkx_herkx_restricted_kernelIl19rocblas_complex_numIfELi16ELi32ELi8ELb1ELb0ELc67ELc85EKPKS1_KPS1_EviT_T0_PT8_S7_lSA_S7_lS8_PT9_S7_li,comdat
	.globl	_ZL37rocblas_syrkx_herkx_restricted_kernelIl19rocblas_complex_numIfELi16ELi32ELi8ELb1ELb0ELc67ELc85EKPKS1_KPS1_EviT_T0_PT8_S7_lSA_S7_lS8_PT9_S7_li ; -- Begin function _ZL37rocblas_syrkx_herkx_restricted_kernelIl19rocblas_complex_numIfELi16ELi32ELi8ELb1ELb0ELc67ELc85EKPKS1_KPS1_EviT_T0_PT8_S7_lSA_S7_lS8_PT9_S7_li
	.p2align	8
	.type	_ZL37rocblas_syrkx_herkx_restricted_kernelIl19rocblas_complex_numIfELi16ELi32ELi8ELb1ELb0ELc67ELc85EKPKS1_KPS1_EviT_T0_PT8_S7_lSA_S7_lS8_PT9_S7_li,@function
_ZL37rocblas_syrkx_herkx_restricted_kernelIl19rocblas_complex_numIfELi16ELi32ELi8ELb1ELb0ELc67ELc85EKPKS1_KPS1_EviT_T0_PT8_S7_lSA_S7_lS8_PT9_S7_li: ; @_ZL37rocblas_syrkx_herkx_restricted_kernelIl19rocblas_complex_numIfELi16ELi32ELi8ELb1ELb0ELc67ELc85EKPKS1_KPS1_EviT_T0_PT8_S7_lSA_S7_lS8_PT9_S7_li
; %bb.0:
	s_load_dwordx4 s[0:3], s[4:5], 0x50
	s_load_dwordx8 s[12:19], s[4:5], 0x8
	s_mov_b32 s9, 0
	s_lshl_b64 s[10:11], s[8:9], 3
	s_waitcnt lgkmcnt(0)
	s_add_u32 s0, s0, s10
	s_addc_u32 s1, s1, s11
	s_load_dwordx2 s[8:9], s[0:1], 0x0
	v_cmp_lt_i64_e64 s[0:1], s[12:13], 1
	s_lshl_b32 s6, s6, 5
	s_lshl_b32 s7, s7, 5
	s_and_b64 vcc, exec, s[0:1]
	s_cbranch_vccnz .LBB1570_3
; %bb.1:
	s_load_dwordx4 s[20:23], s[4:5], 0x30
	v_lshl_add_u32 v5, v1, 4, v0
	v_lshrrev_b32_e32 v6, 3, v5
	v_add_u32_e32 v2, s7, v6
	s_add_u32 s0, s16, s10
	v_and_b32_e32 v9, 7, v0
	v_ashrrev_i32_e32 v3, 31, v2
	v_mov_b32_e32 v10, 0
	s_addc_u32 s1, s17, s11
	s_waitcnt lgkmcnt(0)
	v_mul_lo_u32 v7, s22, v3
	v_mul_lo_u32 v8, s23, v2
	v_mad_u64_u32 v[2:3], s[16:17], s22, v2, v[9:10]
	v_and_b32_e32 v13, 31, v5
	v_lshrrev_b32_e32 v4, 5, v5
	v_add3_u32 v3, v8, v3, v7
	v_lshlrev_b32_e32 v7, 3, v13
	v_lshl_or_b32 v11, v4, 8, v7
	v_lshlrev_b32_e32 v7, 3, v9
	v_lshl_or_b32 v6, v6, 6, v7
	v_add_u32_e32 v12, 0x800, v6
	v_add_u32_e32 v6, s6, v13
	v_mov_b32_e32 v5, v10
	v_ashrrev_i32_e32 v7, 31, v6
	v_mul_lo_u32 v7, s18, v7
	v_mad_u64_u32 v[4:5], s[16:17], s18, v6, v[4:5]
	v_mul_lo_u32 v6, s19, v6
	s_load_dwordx2 s[0:1], s[0:1], 0x0
	s_add_u32 s10, s20, s10
	s_addc_u32 s11, s21, s11
	s_load_dwordx2 s[10:11], s[10:11], 0x0
	v_add3_u32 v5, v6, v5, v7
	v_lshlrev_b64 v[4:5], 3, v[4:5]
	s_waitcnt lgkmcnt(0)
	v_mov_b32_e32 v7, s1
	v_add_co_u32_e32 v6, vcc, s0, v4
	v_lshlrev_b64 v[2:3], 3, v[2:3]
	v_mov_b32_e32 v8, 0x800
	v_addc_co_u32_e32 v7, vcc, v7, v5, vcc
	v_lshl_add_u32 v14, v1, 6, v8
	v_mov_b32_e32 v4, s11
	v_add_co_u32_e32 v8, vcc, s10, v2
	v_lshlrev_b32_e32 v13, 3, v0
	v_addc_co_u32_e32 v9, vcc, v4, v3, vcc
	s_mov_b64 s[0:1], 0
	v_mov_b32_e32 v15, v10
	v_mov_b32_e32 v17, v10
	;; [unrolled: 1-line block ×7, first 2 shown]
.LBB1570_2:                             ; =>This Inner Loop Header: Depth=1
	flat_load_dwordx2 v[2:3], v[6:7]
	s_add_u32 s0, s0, 8
	v_add_co_u32_e32 v6, vcc, 64, v6
	s_addc_u32 s1, s1, 0
	v_addc_co_u32_e32 v7, vcc, 0, v7, vcc
	s_waitcnt vmcnt(0) lgkmcnt(0)
	ds_write_b64 v11, v[2:3]
	flat_load_dwordx2 v[2:3], v[8:9]
	v_add_co_u32_e32 v8, vcc, 64, v8
	v_addc_co_u32_e32 v9, vcc, 0, v9, vcc
	s_waitcnt vmcnt(0) lgkmcnt(0)
	ds_write_b64 v12, v[2:3]
	s_waitcnt lgkmcnt(0)
	s_barrier
	ds_read_b128 v[22:25], v14
	ds_read_b128 v[26:29], v14 offset:16
	ds_read_b128 v[30:33], v14 offset:32
	;; [unrolled: 1-line block ×3, first 2 shown]
	ds_read2_b64 v[34:37], v13 offset1:16
	s_waitcnt lgkmcnt(0)
	v_mul_f32_e32 v38, v23, v35
	v_mul_f32_e32 v39, v22, v35
	v_fma_f32 v38, v22, v34, -v38
	v_fmac_f32_e32 v39, v23, v34
	v_add_f32_e32 v38, v20, v38
	v_add_f32_e32 v39, v21, v39
	v_mul_f32_e32 v20, v23, v37
	v_mul_f32_e32 v21, v22, v37
	v_fma_f32 v20, v22, v36, -v20
	v_fmac_f32_e32 v21, v23, v36
	v_add_f32_e32 v22, v18, v20
	v_add_f32_e32 v23, v19, v21
	ds_read_b128 v[18:21], v14 offset:1024
	s_waitcnt lgkmcnt(0)
	v_mul_f32_e32 v40, v19, v35
	v_mul_f32_e32 v35, v18, v35
	v_fma_f32 v40, v18, v34, -v40
	v_fmac_f32_e32 v35, v19, v34
	v_add_f32_e32 v34, v16, v40
	v_add_f32_e32 v35, v17, v35
	v_mul_f32_e32 v16, v19, v37
	v_mul_f32_e32 v17, v18, v37
	v_fma_f32 v16, v18, v36, -v16
	v_fmac_f32_e32 v17, v19, v36
	v_add_f32_e32 v19, v15, v16
	v_add_f32_e32 v10, v10, v17
	ds_read2_b64 v[15:18], v13 offset0:32 offset1:48
	s_waitcnt lgkmcnt(0)
	v_mul_f32_e32 v36, v25, v16
	v_fma_f32 v36, v24, v15, -v36
	v_add_f32_e32 v36, v38, v36
	v_mul_f32_e32 v38, v25, v18
	v_mul_f32_e32 v37, v24, v16
	v_fma_f32 v38, v24, v17, -v38
	v_mul_f32_e32 v24, v24, v18
	v_fmac_f32_e32 v24, v25, v17
	v_add_f32_e32 v23, v23, v24
	v_mul_f32_e32 v24, v21, v16
	v_mul_f32_e32 v16, v20, v16
	v_fmac_f32_e32 v16, v21, v15
	v_fmac_f32_e32 v37, v25, v15
	v_fma_f32 v24, v20, v15, -v24
	v_add_f32_e32 v25, v35, v16
	v_mul_f32_e32 v15, v21, v18
	v_mul_f32_e32 v16, v20, v18
	v_fma_f32 v15, v20, v17, -v15
	v_fmac_f32_e32 v16, v21, v17
	v_add_f32_e32 v24, v34, v24
	v_add_f32_e32 v34, v19, v15
	;; [unrolled: 1-line block ×3, first 2 shown]
	ds_read2_b64 v[15:18], v13 offset0:64 offset1:80
	v_add_f32_e32 v37, v39, v37
	v_add_f32_e32 v22, v22, v38
	s_waitcnt lgkmcnt(0)
	v_mul_f32_e32 v19, v27, v16
	v_mul_f32_e32 v20, v26, v16
	v_fma_f32 v19, v26, v15, -v19
	v_fmac_f32_e32 v20, v27, v15
	v_add_f32_e32 v35, v36, v19
	v_add_f32_e32 v36, v37, v20
	v_mul_f32_e32 v19, v27, v18
	v_mul_f32_e32 v20, v26, v18
	v_fma_f32 v19, v26, v17, -v19
	v_fmac_f32_e32 v20, v27, v17
	v_add_f32_e32 v26, v22, v19
	v_add_f32_e32 v23, v23, v20
	ds_read_b128 v[19:22], v14 offset:1040
	s_waitcnt lgkmcnt(0)
	v_mul_f32_e32 v27, v20, v16
	v_mul_f32_e32 v16, v19, v16
	v_fmac_f32_e32 v16, v20, v15
	v_fma_f32 v27, v19, v15, -v27
	v_add_f32_e32 v25, v25, v16
	v_mul_f32_e32 v15, v20, v18
	v_mul_f32_e32 v16, v19, v18
	v_fma_f32 v15, v19, v17, -v15
	v_fmac_f32_e32 v16, v20, v17
	v_add_f32_e32 v19, v34, v15
	v_add_f32_e32 v10, v10, v16
	ds_read2_b64 v[15:18], v13 offset0:96 offset1:112
	v_add_f32_e32 v24, v24, v27
	s_waitcnt lgkmcnt(0)
	v_mul_f32_e32 v20, v29, v16
	v_mul_f32_e32 v34, v29, v18
	v_fma_f32 v20, v28, v15, -v20
	v_mul_f32_e32 v27, v28, v16
	v_fma_f32 v34, v28, v17, -v34
	v_mul_f32_e32 v28, v28, v18
	v_fmac_f32_e32 v28, v29, v17
	v_add_f32_e32 v23, v23, v28
	v_mul_f32_e32 v28, v22, v16
	v_mul_f32_e32 v16, v21, v16
	v_fmac_f32_e32 v16, v22, v15
	v_fmac_f32_e32 v27, v29, v15
	v_fma_f32 v28, v21, v15, -v28
	v_add_f32_e32 v25, v25, v16
	v_mul_f32_e32 v15, v22, v18
	v_mul_f32_e32 v16, v21, v18
	v_fma_f32 v15, v21, v17, -v15
	v_fmac_f32_e32 v16, v22, v17
	v_add_f32_e32 v24, v24, v28
	v_add_f32_e32 v28, v19, v15
	;; [unrolled: 1-line block ×3, first 2 shown]
	ds_read2_b64 v[15:18], v13 offset0:128 offset1:144
	v_add_f32_e32 v20, v35, v20
	v_add_f32_e32 v27, v36, v27
	;; [unrolled: 1-line block ×3, first 2 shown]
	s_waitcnt lgkmcnt(0)
	v_mul_f32_e32 v19, v31, v16
	v_fma_f32 v19, v30, v15, -v19
	v_mul_f32_e32 v21, v30, v16
	v_add_f32_e32 v29, v20, v19
	v_mul_f32_e32 v19, v31, v18
	v_mul_f32_e32 v20, v30, v18
	v_fmac_f32_e32 v21, v31, v15
	v_fma_f32 v19, v30, v17, -v19
	v_fmac_f32_e32 v20, v31, v17
	v_add_f32_e32 v27, v27, v21
	v_add_f32_e32 v26, v26, v19
	;; [unrolled: 1-line block ×3, first 2 shown]
	ds_read_b128 v[19:22], v14 offset:1056
	s_waitcnt lgkmcnt(0)
	v_mul_f32_e32 v30, v20, v16
	v_mul_f32_e32 v16, v19, v16
	v_fmac_f32_e32 v16, v20, v15
	v_fma_f32 v30, v19, v15, -v30
	v_add_f32_e32 v25, v25, v16
	v_mul_f32_e32 v15, v20, v18
	v_mul_f32_e32 v16, v19, v18
	v_fma_f32 v15, v19, v17, -v15
	v_fmac_f32_e32 v16, v20, v17
	v_add_f32_e32 v19, v28, v15
	v_add_f32_e32 v10, v10, v16
	ds_read2_b64 v[15:18], v13 offset0:160 offset1:176
	v_add_f32_e32 v24, v24, v30
	s_waitcnt lgkmcnt(0)
	v_mul_f32_e32 v28, v32, v16
	v_fmac_f32_e32 v28, v33, v15
	v_add_f32_e32 v27, v27, v28
	v_mul_f32_e32 v28, v33, v18
	v_fma_f32 v28, v32, v17, -v28
	v_mul_f32_e32 v20, v33, v16
	v_add_f32_e32 v26, v26, v28
	v_mul_f32_e32 v28, v22, v16
	v_mul_f32_e32 v16, v21, v16
	v_fmac_f32_e32 v16, v22, v15
	v_fma_f32 v20, v32, v15, -v20
	v_fma_f32 v28, v21, v15, -v28
	v_add_f32_e32 v25, v25, v16
	v_mul_f32_e32 v15, v22, v18
	v_mul_f32_e32 v16, v21, v18
	v_add_f32_e32 v20, v29, v20
	v_mul_f32_e32 v29, v32, v18
	v_fma_f32 v15, v21, v17, -v15
	v_fmac_f32_e32 v16, v22, v17
	v_fmac_f32_e32 v29, v33, v17
	v_add_f32_e32 v19, v19, v15
	v_add_f32_e32 v10, v10, v16
	ds_read2_b64 v[15:18], v13 offset0:192 offset1:208
	v_add_f32_e32 v24, v24, v28
	v_add_f32_e32 v23, v23, v29
	s_waitcnt lgkmcnt(0)
	v_mul_f32_e32 v21, v3, v16
	v_fma_f32 v21, v2, v15, -v21
	v_add_f32_e32 v28, v20, v21
	v_mul_f32_e32 v20, v3, v18
	v_mul_f32_e32 v22, v2, v16
	v_fma_f32 v20, v2, v17, -v20
	v_mul_f32_e32 v2, v2, v18
	v_fmac_f32_e32 v22, v3, v15
	v_fmac_f32_e32 v2, v3, v17
	v_add_f32_e32 v29, v27, v22
	v_add_f32_e32 v3, v26, v20
	;; [unrolled: 1-line block ×3, first 2 shown]
	ds_read_b128 v[20:23], v14 offset:1072
	s_waitcnt lgkmcnt(0)
	v_mul_f32_e32 v26, v21, v16
	v_mul_f32_e32 v16, v20, v16
	v_fma_f32 v26, v20, v15, -v26
	v_fmac_f32_e32 v16, v21, v15
	v_add_f32_e32 v15, v24, v26
	v_add_f32_e32 v30, v25, v16
	ds_read2_b64 v[24:27], v13 offset0:224 offset1:240
	v_mul_f32_e32 v16, v21, v18
	v_fma_f32 v16, v20, v17, -v16
	v_add_f32_e32 v31, v19, v16
	v_mul_f32_e32 v18, v20, v18
	s_waitcnt lgkmcnt(0)
	v_mul_f32_e32 v16, v5, v25
	v_fma_f32 v16, v4, v24, -v16
	v_add_f32_e32 v20, v28, v16
	v_mul_f32_e32 v16, v5, v27
	v_fmac_f32_e32 v18, v21, v17
	v_mul_f32_e32 v17, v4, v25
	v_fma_f32 v16, v4, v26, -v16
	v_mul_f32_e32 v4, v4, v27
	v_fmac_f32_e32 v4, v5, v26
	v_add_f32_e32 v10, v10, v18
	v_add_f32_e32 v18, v3, v16
	;; [unrolled: 1-line block ×3, first 2 shown]
	v_mul_f32_e32 v2, v23, v25
	v_mul_f32_e32 v3, v22, v25
	v_fmac_f32_e32 v17, v5, v24
	v_fma_f32 v2, v22, v24, -v2
	v_fmac_f32_e32 v3, v23, v24
	v_add_f32_e32 v21, v29, v17
	v_add_f32_e32 v16, v15, v2
	;; [unrolled: 1-line block ×3, first 2 shown]
	v_mul_f32_e32 v2, v23, v27
	v_mul_f32_e32 v3, v22, v27
	v_fma_f32 v2, v22, v26, -v2
	v_fmac_f32_e32 v3, v23, v26
	v_add_f32_e32 v15, v31, v2
	v_add_f32_e32 v10, v10, v3
	v_mov_b32_e32 v3, s1
	v_mov_b32_e32 v2, s0
	v_cmp_le_u64_e32 vcc, s[12:13], v[2:3]
	s_barrier
	s_cbranch_vccz .LBB1570_2
	s_branch .LBB1570_4
.LBB1570_3:
	v_mov_b32_e32 v20, 0
	v_mov_b32_e32 v21, 0
	;; [unrolled: 1-line block ×8, first 2 shown]
.LBB1570_4:
	v_add_u32_e32 v4, s7, v1
	v_ashrrev_i32_e32 v1, 31, v4
	v_mul_lo_u32 v3, s2, v1
	v_mul_lo_u32 v5, s3, v4
	v_mad_u64_u32 v[1:2], s[0:1], s2, v4, 0
	s_load_dword s10, s[4:5], 0x0
	v_add_u32_e32 v0, s6, v0
	v_add3_u32 v2, v2, v3, v5
	v_lshlrev_b64 v[1:2], 3, v[1:2]
	s_waitcnt lgkmcnt(0)
	v_mov_b32_e32 v3, s9
	v_add_co_u32_e64 v5, s[0:1], s8, v1
	v_addc_co_u32_e64 v6, s[0:1], v3, v2, s[0:1]
	v_cmp_gt_i32_e32 vcc, s10, v4
	v_cmp_le_i32_e64 s[0:1], v0, v4
	s_and_b64 s[0:1], vcc, s[0:1]
	s_and_saveexec_b64 s[4:5], s[0:1]
	s_cbranch_execz .LBB1570_6
; %bb.5:
	v_mul_f32_e32 v1, s15, v21
	v_fma_f32 v2, v20, s14, -v1
	v_ashrrev_i32_e32 v1, 31, v0
	v_lshlrev_b64 v[7:8], 3, v[0:1]
	v_mul_f32_e32 v3, s14, v21
	v_add_co_u32_e64 v7, s[0:1], v5, v7
	v_fmac_f32_e32 v3, s15, v20
	v_addc_co_u32_e64 v8, s[0:1], v6, v8, s[0:1]
	flat_store_dwordx2 v[7:8], v[2:3]
.LBB1570_6:
	s_or_b64 exec, exec, s[4:5]
	v_add_u32_e32 v2, 16, v0
	v_cmp_le_i32_e64 s[0:1], v2, v4
	s_and_b64 s[4:5], vcc, s[0:1]
	s_and_saveexec_b64 s[0:1], s[4:5]
	s_cbranch_execz .LBB1570_8
; %bb.7:
	v_ashrrev_i32_e32 v3, 31, v2
	v_lshlrev_b64 v[11:12], 3, v[2:3]
	v_mul_f32_e32 v1, s15, v19
	v_mul_f32_e32 v8, s14, v19
	v_add_co_u32_e32 v5, vcc, v5, v11
	v_fma_f32 v7, v18, s14, -v1
	v_fmac_f32_e32 v8, s15, v18
	v_addc_co_u32_e32 v6, vcc, v6, v12, vcc
	flat_store_dwordx2 v[5:6], v[7:8]
.LBB1570_8:
	s_or_b64 exec, exec, s[0:1]
	v_add_u32_e32 v3, 16, v4
	v_ashrrev_i32_e32 v1, 31, v3
	v_mul_lo_u32 v1, s2, v1
	v_mul_lo_u32 v6, s3, v3
	v_mad_u64_u32 v[4:5], s[0:1], s2, v3, 0
	v_cmp_gt_i32_e32 vcc, s10, v3
	v_add3_u32 v5, v5, v1, v6
	v_lshlrev_b64 v[4:5], 3, v[4:5]
	v_mov_b32_e32 v1, s9
	v_add_co_u32_e64 v4, s[0:1], s8, v4
	v_addc_co_u32_e64 v5, s[0:1], v1, v5, s[0:1]
	v_cmp_le_i32_e64 s[0:1], v0, v3
	s_and_b64 s[0:1], vcc, s[0:1]
	s_and_saveexec_b64 s[2:3], s[0:1]
	s_cbranch_execz .LBB1570_10
; %bb.9:
	v_mul_f32_e32 v1, s15, v17
	v_fma_f32 v6, v16, s14, -v1
	v_ashrrev_i32_e32 v1, 31, v0
	v_lshlrev_b64 v[0:1], 3, v[0:1]
	v_mul_f32_e32 v7, s14, v17
	v_add_co_u32_e64 v0, s[0:1], v4, v0
	v_fmac_f32_e32 v7, s15, v16
	v_addc_co_u32_e64 v1, s[0:1], v5, v1, s[0:1]
	flat_store_dwordx2 v[0:1], v[6:7]
.LBB1570_10:
	s_or_b64 exec, exec, s[2:3]
	v_cmp_le_i32_e64 s[0:1], v2, v3
	s_and_b64 s[0:1], vcc, s[0:1]
	s_and_saveexec_b64 s[2:3], s[0:1]
	s_cbranch_execz .LBB1570_12
; %bb.11:
	v_ashrrev_i32_e32 v3, 31, v2
	v_lshlrev_b64 v[2:3], 3, v[2:3]
	v_mul_f32_e32 v0, s15, v10
	v_mul_f32_e32 v1, s14, v10
	v_add_co_u32_e32 v2, vcc, v4, v2
	v_fma_f32 v0, v15, s14, -v0
	v_fmac_f32_e32 v1, s15, v15
	v_addc_co_u32_e32 v3, vcc, v5, v3, vcc
	flat_store_dwordx2 v[2:3], v[0:1]
.LBB1570_12:
	s_endpgm
	.section	.rodata,"a",@progbits
	.p2align	6, 0x0
	.amdhsa_kernel _ZL37rocblas_syrkx_herkx_restricted_kernelIl19rocblas_complex_numIfELi16ELi32ELi8ELb1ELb0ELc67ELc85EKPKS1_KPS1_EviT_T0_PT8_S7_lSA_S7_lS8_PT9_S7_li
		.amdhsa_group_segment_fixed_size 4096
		.amdhsa_private_segment_fixed_size 0
		.amdhsa_kernarg_size 108
		.amdhsa_user_sgpr_count 6
		.amdhsa_user_sgpr_private_segment_buffer 1
		.amdhsa_user_sgpr_dispatch_ptr 0
		.amdhsa_user_sgpr_queue_ptr 0
		.amdhsa_user_sgpr_kernarg_segment_ptr 1
		.amdhsa_user_sgpr_dispatch_id 0
		.amdhsa_user_sgpr_flat_scratch_init 0
		.amdhsa_user_sgpr_private_segment_size 0
		.amdhsa_uses_dynamic_stack 0
		.amdhsa_system_sgpr_private_segment_wavefront_offset 0
		.amdhsa_system_sgpr_workgroup_id_x 1
		.amdhsa_system_sgpr_workgroup_id_y 1
		.amdhsa_system_sgpr_workgroup_id_z 1
		.amdhsa_system_sgpr_workgroup_info 0
		.amdhsa_system_vgpr_workitem_id 1
		.amdhsa_next_free_vgpr 41
		.amdhsa_next_free_sgpr 24
		.amdhsa_reserve_vcc 1
		.amdhsa_reserve_flat_scratch 0
		.amdhsa_float_round_mode_32 0
		.amdhsa_float_round_mode_16_64 0
		.amdhsa_float_denorm_mode_32 3
		.amdhsa_float_denorm_mode_16_64 3
		.amdhsa_dx10_clamp 1
		.amdhsa_ieee_mode 1
		.amdhsa_fp16_overflow 0
		.amdhsa_exception_fp_ieee_invalid_op 0
		.amdhsa_exception_fp_denorm_src 0
		.amdhsa_exception_fp_ieee_div_zero 0
		.amdhsa_exception_fp_ieee_overflow 0
		.amdhsa_exception_fp_ieee_underflow 0
		.amdhsa_exception_fp_ieee_inexact 0
		.amdhsa_exception_int_div_zero 0
	.end_amdhsa_kernel
	.section	.text._ZL37rocblas_syrkx_herkx_restricted_kernelIl19rocblas_complex_numIfELi16ELi32ELi8ELb1ELb0ELc67ELc85EKPKS1_KPS1_EviT_T0_PT8_S7_lSA_S7_lS8_PT9_S7_li,"axG",@progbits,_ZL37rocblas_syrkx_herkx_restricted_kernelIl19rocblas_complex_numIfELi16ELi32ELi8ELb1ELb0ELc67ELc85EKPKS1_KPS1_EviT_T0_PT8_S7_lSA_S7_lS8_PT9_S7_li,comdat
.Lfunc_end1570:
	.size	_ZL37rocblas_syrkx_herkx_restricted_kernelIl19rocblas_complex_numIfELi16ELi32ELi8ELb1ELb0ELc67ELc85EKPKS1_KPS1_EviT_T0_PT8_S7_lSA_S7_lS8_PT9_S7_li, .Lfunc_end1570-_ZL37rocblas_syrkx_herkx_restricted_kernelIl19rocblas_complex_numIfELi16ELi32ELi8ELb1ELb0ELc67ELc85EKPKS1_KPS1_EviT_T0_PT8_S7_lSA_S7_lS8_PT9_S7_li
                                        ; -- End function
	.set _ZL37rocblas_syrkx_herkx_restricted_kernelIl19rocblas_complex_numIfELi16ELi32ELi8ELb1ELb0ELc67ELc85EKPKS1_KPS1_EviT_T0_PT8_S7_lSA_S7_lS8_PT9_S7_li.num_vgpr, 41
	.set _ZL37rocblas_syrkx_herkx_restricted_kernelIl19rocblas_complex_numIfELi16ELi32ELi8ELb1ELb0ELc67ELc85EKPKS1_KPS1_EviT_T0_PT8_S7_lSA_S7_lS8_PT9_S7_li.num_agpr, 0
	.set _ZL37rocblas_syrkx_herkx_restricted_kernelIl19rocblas_complex_numIfELi16ELi32ELi8ELb1ELb0ELc67ELc85EKPKS1_KPS1_EviT_T0_PT8_S7_lSA_S7_lS8_PT9_S7_li.numbered_sgpr, 24
	.set _ZL37rocblas_syrkx_herkx_restricted_kernelIl19rocblas_complex_numIfELi16ELi32ELi8ELb1ELb0ELc67ELc85EKPKS1_KPS1_EviT_T0_PT8_S7_lSA_S7_lS8_PT9_S7_li.num_named_barrier, 0
	.set _ZL37rocblas_syrkx_herkx_restricted_kernelIl19rocblas_complex_numIfELi16ELi32ELi8ELb1ELb0ELc67ELc85EKPKS1_KPS1_EviT_T0_PT8_S7_lSA_S7_lS8_PT9_S7_li.private_seg_size, 0
	.set _ZL37rocblas_syrkx_herkx_restricted_kernelIl19rocblas_complex_numIfELi16ELi32ELi8ELb1ELb0ELc67ELc85EKPKS1_KPS1_EviT_T0_PT8_S7_lSA_S7_lS8_PT9_S7_li.uses_vcc, 1
	.set _ZL37rocblas_syrkx_herkx_restricted_kernelIl19rocblas_complex_numIfELi16ELi32ELi8ELb1ELb0ELc67ELc85EKPKS1_KPS1_EviT_T0_PT8_S7_lSA_S7_lS8_PT9_S7_li.uses_flat_scratch, 0
	.set _ZL37rocblas_syrkx_herkx_restricted_kernelIl19rocblas_complex_numIfELi16ELi32ELi8ELb1ELb0ELc67ELc85EKPKS1_KPS1_EviT_T0_PT8_S7_lSA_S7_lS8_PT9_S7_li.has_dyn_sized_stack, 0
	.set _ZL37rocblas_syrkx_herkx_restricted_kernelIl19rocblas_complex_numIfELi16ELi32ELi8ELb1ELb0ELc67ELc85EKPKS1_KPS1_EviT_T0_PT8_S7_lSA_S7_lS8_PT9_S7_li.has_recursion, 0
	.set _ZL37rocblas_syrkx_herkx_restricted_kernelIl19rocblas_complex_numIfELi16ELi32ELi8ELb1ELb0ELc67ELc85EKPKS1_KPS1_EviT_T0_PT8_S7_lSA_S7_lS8_PT9_S7_li.has_indirect_call, 0
	.section	.AMDGPU.csdata,"",@progbits
; Kernel info:
; codeLenInByte = 2020
; TotalNumSgprs: 28
; NumVgprs: 41
; ScratchSize: 0
; MemoryBound: 0
; FloatMode: 240
; IeeeMode: 1
; LDSByteSize: 4096 bytes/workgroup (compile time only)
; SGPRBlocks: 3
; VGPRBlocks: 10
; NumSGPRsForWavesPerEU: 28
; NumVGPRsForWavesPerEU: 41
; Occupancy: 5
; WaveLimiterHint : 1
; COMPUTE_PGM_RSRC2:SCRATCH_EN: 0
; COMPUTE_PGM_RSRC2:USER_SGPR: 6
; COMPUTE_PGM_RSRC2:TRAP_HANDLER: 0
; COMPUTE_PGM_RSRC2:TGID_X_EN: 1
; COMPUTE_PGM_RSRC2:TGID_Y_EN: 1
; COMPUTE_PGM_RSRC2:TGID_Z_EN: 1
; COMPUTE_PGM_RSRC2:TIDIG_COMP_CNT: 1
	.section	.text._ZL37rocblas_syrkx_herkx_restricted_kernelIl19rocblas_complex_numIfELi16ELi32ELi8ELb1ELb0ELc78ELc85EKPKS1_KPS1_EviT_T0_PT8_S7_lSA_S7_lS8_PT9_S7_li,"axG",@progbits,_ZL37rocblas_syrkx_herkx_restricted_kernelIl19rocblas_complex_numIfELi16ELi32ELi8ELb1ELb0ELc78ELc85EKPKS1_KPS1_EviT_T0_PT8_S7_lSA_S7_lS8_PT9_S7_li,comdat
	.globl	_ZL37rocblas_syrkx_herkx_restricted_kernelIl19rocblas_complex_numIfELi16ELi32ELi8ELb1ELb0ELc78ELc85EKPKS1_KPS1_EviT_T0_PT8_S7_lSA_S7_lS8_PT9_S7_li ; -- Begin function _ZL37rocblas_syrkx_herkx_restricted_kernelIl19rocblas_complex_numIfELi16ELi32ELi8ELb1ELb0ELc78ELc85EKPKS1_KPS1_EviT_T0_PT8_S7_lSA_S7_lS8_PT9_S7_li
	.p2align	8
	.type	_ZL37rocblas_syrkx_herkx_restricted_kernelIl19rocblas_complex_numIfELi16ELi32ELi8ELb1ELb0ELc78ELc85EKPKS1_KPS1_EviT_T0_PT8_S7_lSA_S7_lS8_PT9_S7_li,@function
_ZL37rocblas_syrkx_herkx_restricted_kernelIl19rocblas_complex_numIfELi16ELi32ELi8ELb1ELb0ELc78ELc85EKPKS1_KPS1_EviT_T0_PT8_S7_lSA_S7_lS8_PT9_S7_li: ; @_ZL37rocblas_syrkx_herkx_restricted_kernelIl19rocblas_complex_numIfELi16ELi32ELi8ELb1ELb0ELc78ELc85EKPKS1_KPS1_EviT_T0_PT8_S7_lSA_S7_lS8_PT9_S7_li
; %bb.0:
	s_load_dwordx4 s[0:3], s[4:5], 0x50
	s_load_dwordx8 s[12:19], s[4:5], 0x8
	s_mov_b32 s9, 0
	s_lshl_b64 s[22:23], s[8:9], 3
	s_waitcnt lgkmcnt(0)
	s_add_u32 s0, s0, s22
	s_addc_u32 s1, s1, s23
	s_load_dwordx2 s[20:21], s[0:1], 0x0
	v_cmp_lt_i64_e64 s[0:1], s[12:13], 1
	s_lshl_b32 s24, s6, 5
	s_lshl_b32 s25, s7, 5
	s_and_b64 vcc, exec, s[0:1]
	s_cbranch_vccnz .LBB1571_3
; %bb.1:
	s_load_dwordx4 s[8:11], s[4:5], 0x30
	v_lshl_add_u32 v5, v1, 4, v0
	v_lshrrev_b32_e32 v6, 3, v5
	v_add_u32_e32 v2, s25, v6
	v_and_b32_e32 v7, 7, v0
	v_ashrrev_i32_e32 v3, 31, v2
	s_waitcnt lgkmcnt(0)
	v_mad_u64_u32 v[2:3], s[6:7], s10, v7, v[2:3]
	s_add_u32 s0, s16, s22
	s_addc_u32 s1, s17, s23
	s_add_u32 s6, s8, s22
	s_addc_u32 s7, s9, s23
	v_mad_u64_u32 v[3:4], s[8:9], s11, v7, v[3:4]
	v_and_b32_e32 v4, 31, v5
	v_lshrrev_b32_e32 v8, 5, v5
	v_lshlrev_b32_e32 v5, 3, v4
	v_add_u32_e32 v4, s24, v4
	v_lshl_or_b32 v10, v8, 8, v5
	v_ashrrev_i32_e32 v5, 31, v4
	v_mad_u64_u32 v[4:5], s[8:9], s18, v8, v[4:5]
	v_lshlrev_b32_e32 v7, 3, v7
	v_lshl_or_b32 v6, v6, 6, v7
	v_add_u32_e32 v11, 0x800, v6
	v_mad_u64_u32 v[5:6], s[8:9], s19, v8, v[5:6]
	s_load_dwordx2 s[0:1], s[0:1], 0x0
	v_mov_b32_e32 v6, 0x800
	s_load_dwordx2 s[6:7], s[6:7], 0x0
	v_lshlrev_b64 v[4:5], 3, v[4:5]
	v_lshl_add_u32 v13, v1, 6, v6
	s_waitcnt lgkmcnt(0)
	v_mov_b32_e32 v7, s1
	v_add_co_u32_e32 v6, vcc, s0, v4
	v_lshlrev_b64 v[2:3], 3, v[2:3]
	v_addc_co_u32_e32 v7, vcc, v7, v5, vcc
	s_lshl_b64 s[0:1], s[18:19], 6
	v_mov_b32_e32 v4, s7
	v_add_co_u32_e32 v8, vcc, s6, v2
	s_lshl_b64 s[6:7], s[10:11], 6
	v_lshlrev_b32_e32 v12, 3, v0
	v_addc_co_u32_e32 v9, vcc, v4, v3, vcc
	v_mov_b32_e32 v16, 0
	s_mov_b64 s[8:9], 0
	v_mov_b32_e32 v14, s1
	v_mov_b32_e32 v15, s7
	v_mov_b32_e32 v17, 0
	v_mov_b32_e32 v19, 0
	v_mov_b32_e32 v18, 0
	v_mov_b32_e32 v21, 0
	v_mov_b32_e32 v20, 0
	v_mov_b32_e32 v23, 0
	v_mov_b32_e32 v22, 0
.LBB1571_2:                             ; =>This Inner Loop Header: Depth=1
	flat_load_dwordx2 v[2:3], v[6:7]
	v_add_co_u32_e32 v6, vcc, s0, v6
	s_add_u32 s8, s8, 8
	v_addc_co_u32_e32 v7, vcc, v7, v14, vcc
	s_addc_u32 s9, s9, 0
	s_waitcnt vmcnt(0) lgkmcnt(0)
	ds_write_b64 v10, v[2:3]
	flat_load_dwordx2 v[2:3], v[8:9]
	v_add_co_u32_e32 v8, vcc, s6, v8
	v_addc_co_u32_e32 v9, vcc, v9, v15, vcc
	s_waitcnt vmcnt(0) lgkmcnt(0)
	ds_write_b64 v11, v[2:3]
	s_waitcnt lgkmcnt(0)
	s_barrier
	ds_read_b128 v[24:27], v13
	ds_read_b128 v[28:31], v13 offset:16
	ds_read_b128 v[32:35], v13 offset:32
	;; [unrolled: 1-line block ×3, first 2 shown]
	ds_read2_b64 v[36:39], v12 offset1:16
	s_waitcnt lgkmcnt(0)
	v_mul_f32_e32 v40, v25, v37
	v_mul_f32_e32 v41, v24, v37
	v_fma_f32 v40, v24, v36, -v40
	v_fmac_f32_e32 v41, v25, v36
	v_add_f32_e32 v40, v22, v40
	v_add_f32_e32 v41, v23, v41
	v_mul_f32_e32 v22, v25, v39
	v_mul_f32_e32 v23, v24, v39
	v_fma_f32 v22, v24, v38, -v22
	v_fmac_f32_e32 v23, v25, v38
	v_add_f32_e32 v24, v20, v22
	v_add_f32_e32 v25, v21, v23
	ds_read_b128 v[20:23], v13 offset:1024
	s_waitcnt lgkmcnt(0)
	v_mul_f32_e32 v42, v21, v37
	v_mul_f32_e32 v37, v20, v37
	v_fma_f32 v42, v20, v36, -v42
	v_fmac_f32_e32 v37, v21, v36
	v_add_f32_e32 v36, v18, v42
	v_add_f32_e32 v37, v19, v37
	v_mul_f32_e32 v18, v21, v39
	v_mul_f32_e32 v19, v20, v39
	v_fma_f32 v18, v20, v38, -v18
	v_fmac_f32_e32 v19, v21, v38
	v_add_f32_e32 v20, v17, v18
	v_add_f32_e32 v21, v16, v19
	ds_read2_b64 v[16:19], v12 offset0:32 offset1:48
	s_waitcnt lgkmcnt(0)
	v_mul_f32_e32 v38, v27, v17
	v_fma_f32 v38, v26, v16, -v38
	v_add_f32_e32 v38, v40, v38
	v_mul_f32_e32 v40, v27, v19
	v_mul_f32_e32 v39, v26, v17
	v_fma_f32 v40, v26, v18, -v40
	v_mul_f32_e32 v26, v26, v19
	v_fmac_f32_e32 v26, v27, v18
	v_add_f32_e32 v25, v25, v26
	v_mul_f32_e32 v26, v23, v17
	v_mul_f32_e32 v17, v22, v17
	v_fmac_f32_e32 v17, v23, v16
	v_fmac_f32_e32 v39, v27, v16
	v_fma_f32 v26, v22, v16, -v26
	v_add_f32_e32 v27, v37, v17
	v_mul_f32_e32 v16, v23, v19
	v_mul_f32_e32 v17, v22, v19
	v_fma_f32 v16, v22, v18, -v16
	v_fmac_f32_e32 v17, v23, v18
	v_add_f32_e32 v26, v36, v26
	v_add_f32_e32 v36, v20, v16
	;; [unrolled: 1-line block ×3, first 2 shown]
	ds_read2_b64 v[16:19], v12 offset0:64 offset1:80
	v_add_f32_e32 v39, v41, v39
	v_add_f32_e32 v24, v24, v40
	s_waitcnt lgkmcnt(0)
	v_mul_f32_e32 v20, v29, v17
	v_mul_f32_e32 v21, v28, v17
	v_fma_f32 v20, v28, v16, -v20
	v_fmac_f32_e32 v21, v29, v16
	v_add_f32_e32 v38, v38, v20
	v_add_f32_e32 v39, v39, v21
	v_mul_f32_e32 v20, v29, v19
	v_mul_f32_e32 v21, v28, v19
	v_fma_f32 v20, v28, v18, -v20
	v_fmac_f32_e32 v21, v29, v18
	v_add_f32_e32 v24, v24, v20
	v_add_f32_e32 v25, v25, v21
	ds_read_b128 v[20:23], v13 offset:1040
	s_waitcnt lgkmcnt(0)
	v_mul_f32_e32 v28, v21, v17
	v_mul_f32_e32 v17, v20, v17
	v_fmac_f32_e32 v17, v21, v16
	v_fma_f32 v28, v20, v16, -v28
	v_add_f32_e32 v27, v27, v17
	v_mul_f32_e32 v16, v21, v19
	v_mul_f32_e32 v17, v20, v19
	v_fma_f32 v16, v20, v18, -v16
	v_fmac_f32_e32 v17, v21, v18
	v_add_f32_e32 v20, v36, v16
	v_add_f32_e32 v21, v37, v17
	ds_read2_b64 v[16:19], v12 offset0:96 offset1:112
	v_add_f32_e32 v26, v26, v28
	s_waitcnt lgkmcnt(0)
	v_mul_f32_e32 v28, v31, v17
	v_mul_f32_e32 v36, v31, v19
	v_fma_f32 v28, v30, v16, -v28
	v_mul_f32_e32 v29, v30, v17
	v_fma_f32 v36, v30, v18, -v36
	v_mul_f32_e32 v30, v30, v19
	v_fmac_f32_e32 v30, v31, v18
	v_add_f32_e32 v25, v25, v30
	v_mul_f32_e32 v30, v23, v17
	v_mul_f32_e32 v17, v22, v17
	v_fmac_f32_e32 v17, v23, v16
	v_fmac_f32_e32 v29, v31, v16
	v_fma_f32 v30, v22, v16, -v30
	v_add_f32_e32 v27, v27, v17
	v_mul_f32_e32 v16, v23, v19
	v_mul_f32_e32 v17, v22, v19
	v_fma_f32 v16, v22, v18, -v16
	v_fmac_f32_e32 v17, v23, v18
	v_add_f32_e32 v26, v26, v30
	v_add_f32_e32 v30, v20, v16
	;; [unrolled: 1-line block ×3, first 2 shown]
	ds_read2_b64 v[16:19], v12 offset0:128 offset1:144
	v_add_f32_e32 v28, v38, v28
	v_add_f32_e32 v29, v39, v29
	;; [unrolled: 1-line block ×3, first 2 shown]
	s_waitcnt lgkmcnt(0)
	v_mul_f32_e32 v20, v33, v17
	v_mul_f32_e32 v21, v32, v17
	v_fma_f32 v20, v32, v16, -v20
	v_fmac_f32_e32 v21, v33, v16
	v_add_f32_e32 v28, v28, v20
	v_add_f32_e32 v29, v29, v21
	v_mul_f32_e32 v20, v33, v19
	v_mul_f32_e32 v21, v32, v19
	v_fma_f32 v20, v32, v18, -v20
	v_fmac_f32_e32 v21, v33, v18
	v_add_f32_e32 v24, v24, v20
	v_add_f32_e32 v25, v25, v21
	ds_read_b128 v[20:23], v13 offset:1056
	s_waitcnt lgkmcnt(0)
	v_mul_f32_e32 v32, v21, v17
	v_mul_f32_e32 v17, v20, v17
	v_fmac_f32_e32 v17, v21, v16
	v_fma_f32 v32, v20, v16, -v32
	v_add_f32_e32 v27, v27, v17
	v_mul_f32_e32 v16, v21, v19
	v_mul_f32_e32 v17, v20, v19
	v_fma_f32 v16, v20, v18, -v16
	v_fmac_f32_e32 v17, v21, v18
	v_add_f32_e32 v20, v30, v16
	v_add_f32_e32 v21, v31, v17
	ds_read2_b64 v[16:19], v12 offset0:160 offset1:176
	v_add_f32_e32 v26, v26, v32
	s_waitcnt lgkmcnt(0)
	v_mul_f32_e32 v30, v35, v17
	v_fma_f32 v30, v34, v16, -v30
	v_add_f32_e32 v28, v28, v30
	v_mul_f32_e32 v30, v35, v19
	v_fma_f32 v30, v34, v18, -v30
	v_mul_f32_e32 v31, v34, v17
	v_add_f32_e32 v24, v24, v30
	v_mul_f32_e32 v30, v23, v17
	v_mul_f32_e32 v17, v22, v17
	v_fmac_f32_e32 v17, v23, v16
	v_fmac_f32_e32 v31, v35, v16
	v_fma_f32 v30, v22, v16, -v30
	v_add_f32_e32 v27, v27, v17
	v_mul_f32_e32 v16, v23, v19
	v_mul_f32_e32 v17, v22, v19
	v_add_f32_e32 v29, v29, v31
	v_mul_f32_e32 v31, v34, v19
	v_fma_f32 v16, v22, v18, -v16
	v_fmac_f32_e32 v17, v23, v18
	v_fmac_f32_e32 v31, v35, v18
	v_add_f32_e32 v20, v20, v16
	v_add_f32_e32 v21, v21, v17
	ds_read2_b64 v[16:19], v12 offset0:192 offset1:208
	v_add_f32_e32 v26, v26, v30
	v_add_f32_e32 v25, v25, v31
	s_waitcnt lgkmcnt(0)
	v_mul_f32_e32 v22, v3, v17
	v_fma_f32 v22, v2, v16, -v22
	v_add_f32_e32 v30, v28, v22
	v_mul_f32_e32 v22, v3, v19
	v_mul_f32_e32 v23, v2, v17
	v_fma_f32 v22, v2, v18, -v22
	v_mul_f32_e32 v2, v2, v19
	v_fmac_f32_e32 v23, v3, v16
	v_fmac_f32_e32 v2, v3, v18
	v_add_f32_e32 v31, v29, v23
	v_add_f32_e32 v3, v24, v22
	;; [unrolled: 1-line block ×3, first 2 shown]
	ds_read_b128 v[22:25], v13 offset:1072
	s_waitcnt lgkmcnt(0)
	v_mul_f32_e32 v28, v23, v17
	v_fma_f32 v28, v22, v16, -v28
	v_mul_f32_e32 v17, v22, v17
	v_fmac_f32_e32 v17, v23, v16
	v_add_f32_e32 v16, v26, v28
	v_mul_f32_e32 v26, v23, v19
	v_fma_f32 v26, v22, v18, -v26
	v_add_f32_e32 v17, v27, v17
	v_add_f32_e32 v32, v20, v26
	ds_read2_b64 v[26:29], v12 offset0:224 offset1:240
	v_mul_f32_e32 v19, v22, v19
	v_fmac_f32_e32 v19, v23, v18
	v_add_f32_e32 v33, v21, v19
	s_waitcnt lgkmcnt(0)
	v_mul_f32_e32 v18, v5, v27
	v_fma_f32 v18, v4, v26, -v18
	v_add_f32_e32 v22, v30, v18
	v_mul_f32_e32 v18, v5, v29
	v_mul_f32_e32 v19, v4, v27
	v_fma_f32 v18, v4, v28, -v18
	v_mul_f32_e32 v4, v4, v29
	v_fmac_f32_e32 v4, v5, v28
	v_add_f32_e32 v20, v3, v18
	v_add_f32_e32 v21, v2, v4
	v_mul_f32_e32 v2, v25, v27
	v_mul_f32_e32 v3, v24, v27
	v_fmac_f32_e32 v19, v5, v26
	v_fma_f32 v2, v24, v26, -v2
	v_fmac_f32_e32 v3, v25, v26
	v_add_f32_e32 v23, v31, v19
	v_add_f32_e32 v18, v16, v2
	;; [unrolled: 1-line block ×3, first 2 shown]
	v_mul_f32_e32 v2, v25, v29
	v_mul_f32_e32 v3, v24, v29
	v_fma_f32 v2, v24, v28, -v2
	v_fmac_f32_e32 v3, v25, v28
	v_add_f32_e32 v17, v32, v2
	v_add_f32_e32 v16, v33, v3
	v_mov_b32_e32 v2, s8
	v_mov_b32_e32 v3, s9
	v_cmp_le_u64_e32 vcc, s[12:13], v[2:3]
	s_barrier
	s_cbranch_vccz .LBB1571_2
	s_branch .LBB1571_4
.LBB1571_3:
	v_mov_b32_e32 v22, 0
	v_mov_b32_e32 v23, 0
	;; [unrolled: 1-line block ×8, first 2 shown]
.LBB1571_4:
	v_add_u32_e32 v4, s25, v1
	v_ashrrev_i32_e32 v1, 31, v4
	v_mul_lo_u32 v3, s2, v1
	v_mul_lo_u32 v5, s3, v4
	v_mad_u64_u32 v[1:2], s[0:1], s2, v4, 0
	s_load_dword s6, s[4:5], 0x0
	v_add_u32_e32 v0, s24, v0
	v_add3_u32 v2, v2, v3, v5
	v_lshlrev_b64 v[1:2], 3, v[1:2]
	s_waitcnt lgkmcnt(0)
	v_mov_b32_e32 v3, s21
	v_add_co_u32_e64 v5, s[0:1], s20, v1
	v_addc_co_u32_e64 v6, s[0:1], v3, v2, s[0:1]
	v_cmp_gt_i32_e32 vcc, s6, v4
	v_cmp_le_i32_e64 s[0:1], v0, v4
	s_and_b64 s[0:1], vcc, s[0:1]
	s_and_saveexec_b64 s[4:5], s[0:1]
	s_cbranch_execz .LBB1571_6
; %bb.5:
	v_mul_f32_e32 v1, s15, v23
	v_fma_f32 v2, v22, s14, -v1
	v_ashrrev_i32_e32 v1, 31, v0
	v_lshlrev_b64 v[7:8], 3, v[0:1]
	v_mul_f32_e32 v3, s14, v23
	v_add_co_u32_e64 v7, s[0:1], v5, v7
	v_fmac_f32_e32 v3, s15, v22
	v_addc_co_u32_e64 v8, s[0:1], v6, v8, s[0:1]
	flat_store_dwordx2 v[7:8], v[2:3]
.LBB1571_6:
	s_or_b64 exec, exec, s[4:5]
	v_add_u32_e32 v2, 16, v0
	v_cmp_le_i32_e64 s[0:1], v2, v4
	s_and_b64 s[4:5], vcc, s[0:1]
	s_and_saveexec_b64 s[0:1], s[4:5]
	s_cbranch_execz .LBB1571_8
; %bb.7:
	v_ashrrev_i32_e32 v3, 31, v2
	v_lshlrev_b64 v[9:10], 3, v[2:3]
	v_mul_f32_e32 v1, s15, v21
	v_mul_f32_e32 v8, s14, v21
	v_add_co_u32_e32 v5, vcc, v5, v9
	v_fma_f32 v7, v20, s14, -v1
	v_fmac_f32_e32 v8, s15, v20
	v_addc_co_u32_e32 v6, vcc, v6, v10, vcc
	flat_store_dwordx2 v[5:6], v[7:8]
.LBB1571_8:
	s_or_b64 exec, exec, s[0:1]
	v_add_u32_e32 v3, 16, v4
	v_ashrrev_i32_e32 v1, 31, v3
	v_mul_lo_u32 v1, s2, v1
	v_mul_lo_u32 v6, s3, v3
	v_mad_u64_u32 v[4:5], s[0:1], s2, v3, 0
	v_cmp_gt_i32_e32 vcc, s6, v3
	v_add3_u32 v5, v5, v1, v6
	v_lshlrev_b64 v[4:5], 3, v[4:5]
	v_mov_b32_e32 v1, s21
	v_add_co_u32_e64 v4, s[0:1], s20, v4
	v_addc_co_u32_e64 v5, s[0:1], v1, v5, s[0:1]
	v_cmp_le_i32_e64 s[0:1], v0, v3
	s_and_b64 s[0:1], vcc, s[0:1]
	s_and_saveexec_b64 s[2:3], s[0:1]
	s_cbranch_execz .LBB1571_10
; %bb.9:
	v_mul_f32_e32 v1, s15, v19
	v_fma_f32 v6, v18, s14, -v1
	v_ashrrev_i32_e32 v1, 31, v0
	v_lshlrev_b64 v[0:1], 3, v[0:1]
	v_mul_f32_e32 v7, s14, v19
	v_add_co_u32_e64 v0, s[0:1], v4, v0
	v_fmac_f32_e32 v7, s15, v18
	v_addc_co_u32_e64 v1, s[0:1], v5, v1, s[0:1]
	flat_store_dwordx2 v[0:1], v[6:7]
.LBB1571_10:
	s_or_b64 exec, exec, s[2:3]
	v_cmp_le_i32_e64 s[0:1], v2, v3
	s_and_b64 s[0:1], vcc, s[0:1]
	s_and_saveexec_b64 s[2:3], s[0:1]
	s_cbranch_execz .LBB1571_12
; %bb.11:
	v_ashrrev_i32_e32 v3, 31, v2
	v_lshlrev_b64 v[2:3], 3, v[2:3]
	v_mul_f32_e32 v0, s15, v16
	v_mul_f32_e32 v1, s14, v16
	v_add_co_u32_e32 v2, vcc, v4, v2
	v_fma_f32 v0, v17, s14, -v0
	v_fmac_f32_e32 v1, s15, v17
	v_addc_co_u32_e32 v3, vcc, v5, v3, vcc
	flat_store_dwordx2 v[2:3], v[0:1]
.LBB1571_12:
	s_endpgm
	.section	.rodata,"a",@progbits
	.p2align	6, 0x0
	.amdhsa_kernel _ZL37rocblas_syrkx_herkx_restricted_kernelIl19rocblas_complex_numIfELi16ELi32ELi8ELb1ELb0ELc78ELc85EKPKS1_KPS1_EviT_T0_PT8_S7_lSA_S7_lS8_PT9_S7_li
		.amdhsa_group_segment_fixed_size 4096
		.amdhsa_private_segment_fixed_size 0
		.amdhsa_kernarg_size 108
		.amdhsa_user_sgpr_count 6
		.amdhsa_user_sgpr_private_segment_buffer 1
		.amdhsa_user_sgpr_dispatch_ptr 0
		.amdhsa_user_sgpr_queue_ptr 0
		.amdhsa_user_sgpr_kernarg_segment_ptr 1
		.amdhsa_user_sgpr_dispatch_id 0
		.amdhsa_user_sgpr_flat_scratch_init 0
		.amdhsa_user_sgpr_private_segment_size 0
		.amdhsa_uses_dynamic_stack 0
		.amdhsa_system_sgpr_private_segment_wavefront_offset 0
		.amdhsa_system_sgpr_workgroup_id_x 1
		.amdhsa_system_sgpr_workgroup_id_y 1
		.amdhsa_system_sgpr_workgroup_id_z 1
		.amdhsa_system_sgpr_workgroup_info 0
		.amdhsa_system_vgpr_workitem_id 1
		.amdhsa_next_free_vgpr 43
		.amdhsa_next_free_sgpr 26
		.amdhsa_reserve_vcc 1
		.amdhsa_reserve_flat_scratch 0
		.amdhsa_float_round_mode_32 0
		.amdhsa_float_round_mode_16_64 0
		.amdhsa_float_denorm_mode_32 3
		.amdhsa_float_denorm_mode_16_64 3
		.amdhsa_dx10_clamp 1
		.amdhsa_ieee_mode 1
		.amdhsa_fp16_overflow 0
		.amdhsa_exception_fp_ieee_invalid_op 0
		.amdhsa_exception_fp_denorm_src 0
		.amdhsa_exception_fp_ieee_div_zero 0
		.amdhsa_exception_fp_ieee_overflow 0
		.amdhsa_exception_fp_ieee_underflow 0
		.amdhsa_exception_fp_ieee_inexact 0
		.amdhsa_exception_int_div_zero 0
	.end_amdhsa_kernel
	.section	.text._ZL37rocblas_syrkx_herkx_restricted_kernelIl19rocblas_complex_numIfELi16ELi32ELi8ELb1ELb0ELc78ELc85EKPKS1_KPS1_EviT_T0_PT8_S7_lSA_S7_lS8_PT9_S7_li,"axG",@progbits,_ZL37rocblas_syrkx_herkx_restricted_kernelIl19rocblas_complex_numIfELi16ELi32ELi8ELb1ELb0ELc78ELc85EKPKS1_KPS1_EviT_T0_PT8_S7_lSA_S7_lS8_PT9_S7_li,comdat
.Lfunc_end1571:
	.size	_ZL37rocblas_syrkx_herkx_restricted_kernelIl19rocblas_complex_numIfELi16ELi32ELi8ELb1ELb0ELc78ELc85EKPKS1_KPS1_EviT_T0_PT8_S7_lSA_S7_lS8_PT9_S7_li, .Lfunc_end1571-_ZL37rocblas_syrkx_herkx_restricted_kernelIl19rocblas_complex_numIfELi16ELi32ELi8ELb1ELb0ELc78ELc85EKPKS1_KPS1_EviT_T0_PT8_S7_lSA_S7_lS8_PT9_S7_li
                                        ; -- End function
	.set _ZL37rocblas_syrkx_herkx_restricted_kernelIl19rocblas_complex_numIfELi16ELi32ELi8ELb1ELb0ELc78ELc85EKPKS1_KPS1_EviT_T0_PT8_S7_lSA_S7_lS8_PT9_S7_li.num_vgpr, 43
	.set _ZL37rocblas_syrkx_herkx_restricted_kernelIl19rocblas_complex_numIfELi16ELi32ELi8ELb1ELb0ELc78ELc85EKPKS1_KPS1_EviT_T0_PT8_S7_lSA_S7_lS8_PT9_S7_li.num_agpr, 0
	.set _ZL37rocblas_syrkx_herkx_restricted_kernelIl19rocblas_complex_numIfELi16ELi32ELi8ELb1ELb0ELc78ELc85EKPKS1_KPS1_EviT_T0_PT8_S7_lSA_S7_lS8_PT9_S7_li.numbered_sgpr, 26
	.set _ZL37rocblas_syrkx_herkx_restricted_kernelIl19rocblas_complex_numIfELi16ELi32ELi8ELb1ELb0ELc78ELc85EKPKS1_KPS1_EviT_T0_PT8_S7_lSA_S7_lS8_PT9_S7_li.num_named_barrier, 0
	.set _ZL37rocblas_syrkx_herkx_restricted_kernelIl19rocblas_complex_numIfELi16ELi32ELi8ELb1ELb0ELc78ELc85EKPKS1_KPS1_EviT_T0_PT8_S7_lSA_S7_lS8_PT9_S7_li.private_seg_size, 0
	.set _ZL37rocblas_syrkx_herkx_restricted_kernelIl19rocblas_complex_numIfELi16ELi32ELi8ELb1ELb0ELc78ELc85EKPKS1_KPS1_EviT_T0_PT8_S7_lSA_S7_lS8_PT9_S7_li.uses_vcc, 1
	.set _ZL37rocblas_syrkx_herkx_restricted_kernelIl19rocblas_complex_numIfELi16ELi32ELi8ELb1ELb0ELc78ELc85EKPKS1_KPS1_EviT_T0_PT8_S7_lSA_S7_lS8_PT9_S7_li.uses_flat_scratch, 0
	.set _ZL37rocblas_syrkx_herkx_restricted_kernelIl19rocblas_complex_numIfELi16ELi32ELi8ELb1ELb0ELc78ELc85EKPKS1_KPS1_EviT_T0_PT8_S7_lSA_S7_lS8_PT9_S7_li.has_dyn_sized_stack, 0
	.set _ZL37rocblas_syrkx_herkx_restricted_kernelIl19rocblas_complex_numIfELi16ELi32ELi8ELb1ELb0ELc78ELc85EKPKS1_KPS1_EviT_T0_PT8_S7_lSA_S7_lS8_PT9_S7_li.has_recursion, 0
	.set _ZL37rocblas_syrkx_herkx_restricted_kernelIl19rocblas_complex_numIfELi16ELi32ELi8ELb1ELb0ELc78ELc85EKPKS1_KPS1_EviT_T0_PT8_S7_lSA_S7_lS8_PT9_S7_li.has_indirect_call, 0
	.section	.AMDGPU.csdata,"",@progbits
; Kernel info:
; codeLenInByte = 2000
; TotalNumSgprs: 30
; NumVgprs: 43
; ScratchSize: 0
; MemoryBound: 0
; FloatMode: 240
; IeeeMode: 1
; LDSByteSize: 4096 bytes/workgroup (compile time only)
; SGPRBlocks: 3
; VGPRBlocks: 10
; NumSGPRsForWavesPerEU: 30
; NumVGPRsForWavesPerEU: 43
; Occupancy: 5
; WaveLimiterHint : 1
; COMPUTE_PGM_RSRC2:SCRATCH_EN: 0
; COMPUTE_PGM_RSRC2:USER_SGPR: 6
; COMPUTE_PGM_RSRC2:TRAP_HANDLER: 0
; COMPUTE_PGM_RSRC2:TGID_X_EN: 1
; COMPUTE_PGM_RSRC2:TGID_Y_EN: 1
; COMPUTE_PGM_RSRC2:TGID_Z_EN: 1
; COMPUTE_PGM_RSRC2:TIDIG_COMP_CNT: 1
	.section	.text._ZL37rocblas_syrkx_herkx_restricted_kernelIl19rocblas_complex_numIfELi16ELi32ELi8ELb0ELb0ELc84ELc76EKPKS1_KPS1_EviT_T0_PT8_S7_lSA_S7_lS8_PT9_S7_li,"axG",@progbits,_ZL37rocblas_syrkx_herkx_restricted_kernelIl19rocblas_complex_numIfELi16ELi32ELi8ELb0ELb0ELc84ELc76EKPKS1_KPS1_EviT_T0_PT8_S7_lSA_S7_lS8_PT9_S7_li,comdat
	.globl	_ZL37rocblas_syrkx_herkx_restricted_kernelIl19rocblas_complex_numIfELi16ELi32ELi8ELb0ELb0ELc84ELc76EKPKS1_KPS1_EviT_T0_PT8_S7_lSA_S7_lS8_PT9_S7_li ; -- Begin function _ZL37rocblas_syrkx_herkx_restricted_kernelIl19rocblas_complex_numIfELi16ELi32ELi8ELb0ELb0ELc84ELc76EKPKS1_KPS1_EviT_T0_PT8_S7_lSA_S7_lS8_PT9_S7_li
	.p2align	8
	.type	_ZL37rocblas_syrkx_herkx_restricted_kernelIl19rocblas_complex_numIfELi16ELi32ELi8ELb0ELb0ELc84ELc76EKPKS1_KPS1_EviT_T0_PT8_S7_lSA_S7_lS8_PT9_S7_li,@function
_ZL37rocblas_syrkx_herkx_restricted_kernelIl19rocblas_complex_numIfELi16ELi32ELi8ELb0ELb0ELc84ELc76EKPKS1_KPS1_EviT_T0_PT8_S7_lSA_S7_lS8_PT9_S7_li: ; @_ZL37rocblas_syrkx_herkx_restricted_kernelIl19rocblas_complex_numIfELi16ELi32ELi8ELb0ELb0ELc84ELc76EKPKS1_KPS1_EviT_T0_PT8_S7_lSA_S7_lS8_PT9_S7_li
; %bb.0:
	s_load_dwordx4 s[20:23], s[4:5], 0x48
	s_load_dwordx2 s[10:11], s[4:5], 0x58
	s_load_dwordx8 s[12:19], s[4:5], 0x8
	s_mov_b32 s9, 0
	s_lshl_b64 s[0:1], s[8:9], 3
	s_waitcnt lgkmcnt(0)
	s_add_u32 s2, s22, s0
	s_addc_u32 s3, s23, s1
	s_load_dwordx2 s[8:9], s[2:3], 0x0
	v_cmp_lt_i64_e64 s[22:23], s[12:13], 1
	s_lshl_b32 s2, s6, 5
	s_lshl_b32 s3, s7, 5
	s_and_b64 vcc, exec, s[22:23]
	s_cbranch_vccnz .LBB1572_3
; %bb.1:
	s_load_dwordx4 s[24:27], s[4:5], 0x30
	v_lshl_add_u32 v5, v1, 4, v0
	v_lshrrev_b32_e32 v6, 3, v5
	v_add_u32_e32 v2, s3, v6
	s_add_u32 s6, s16, s0
	v_and_b32_e32 v9, 7, v0
	v_ashrrev_i32_e32 v3, 31, v2
	v_mov_b32_e32 v10, 0
	s_addc_u32 s7, s17, s1
	s_waitcnt lgkmcnt(0)
	v_mul_lo_u32 v7, s26, v3
	v_mul_lo_u32 v8, s27, v2
	v_mad_u64_u32 v[2:3], s[16:17], s26, v2, v[9:10]
	v_and_b32_e32 v13, 31, v5
	v_lshrrev_b32_e32 v4, 5, v5
	v_add3_u32 v3, v8, v3, v7
	v_lshlrev_b32_e32 v7, 3, v13
	v_lshl_or_b32 v11, v4, 8, v7
	v_lshlrev_b32_e32 v7, 3, v9
	v_lshl_or_b32 v6, v6, 6, v7
	v_add_u32_e32 v12, 0x800, v6
	v_add_u32_e32 v6, s2, v13
	v_mov_b32_e32 v5, v10
	v_ashrrev_i32_e32 v7, 31, v6
	v_mul_lo_u32 v7, s18, v7
	v_mad_u64_u32 v[4:5], s[16:17], s18, v6, v[4:5]
	v_mul_lo_u32 v6, s19, v6
	s_load_dwordx2 s[6:7], s[6:7], 0x0
	s_add_u32 s0, s24, s0
	s_addc_u32 s1, s25, s1
	s_load_dwordx2 s[0:1], s[0:1], 0x0
	v_add3_u32 v5, v6, v5, v7
	v_lshlrev_b64 v[4:5], 3, v[4:5]
	s_waitcnt lgkmcnt(0)
	v_mov_b32_e32 v7, s7
	v_add_co_u32_e32 v6, vcc, s6, v4
	v_lshlrev_b64 v[2:3], 3, v[2:3]
	v_mov_b32_e32 v8, 0x800
	v_addc_co_u32_e32 v7, vcc, v7, v5, vcc
	v_lshl_add_u32 v14, v1, 6, v8
	v_mov_b32_e32 v4, s1
	v_add_co_u32_e32 v8, vcc, s0, v2
	v_lshlrev_b32_e32 v13, 3, v0
	v_addc_co_u32_e32 v9, vcc, v4, v3, vcc
	s_mov_b64 s[0:1], 0
	v_mov_b32_e32 v15, v10
	v_mov_b32_e32 v17, v10
	;; [unrolled: 1-line block ×7, first 2 shown]
.LBB1572_2:                             ; =>This Inner Loop Header: Depth=1
	flat_load_dwordx2 v[2:3], v[6:7]
	s_add_u32 s0, s0, 8
	v_add_co_u32_e32 v6, vcc, 64, v6
	s_addc_u32 s1, s1, 0
	v_addc_co_u32_e32 v7, vcc, 0, v7, vcc
	s_waitcnt vmcnt(0) lgkmcnt(0)
	ds_write_b64 v11, v[2:3]
	flat_load_dwordx2 v[2:3], v[8:9]
	v_add_co_u32_e32 v8, vcc, 64, v8
	v_addc_co_u32_e32 v9, vcc, 0, v9, vcc
	s_waitcnt vmcnt(0) lgkmcnt(0)
	ds_write_b64 v12, v[2:3]
	s_waitcnt lgkmcnt(0)
	s_barrier
	ds_read_b128 v[22:25], v14
	ds_read_b128 v[26:29], v14 offset:16
	ds_read_b128 v[30:33], v14 offset:32
	;; [unrolled: 1-line block ×3, first 2 shown]
	ds_read2_b64 v[34:37], v13 offset1:16
	s_waitcnt lgkmcnt(0)
	v_mul_f32_e32 v38, v23, v35
	v_mul_f32_e32 v39, v22, v35
	v_fma_f32 v38, v22, v34, -v38
	v_fmac_f32_e32 v39, v23, v34
	v_add_f32_e32 v38, v20, v38
	v_add_f32_e32 v39, v21, v39
	v_mul_f32_e32 v20, v23, v37
	v_mul_f32_e32 v21, v22, v37
	v_fma_f32 v20, v22, v36, -v20
	v_fmac_f32_e32 v21, v23, v36
	v_add_f32_e32 v22, v18, v20
	v_add_f32_e32 v23, v19, v21
	ds_read_b128 v[18:21], v14 offset:1024
	s_waitcnt lgkmcnt(0)
	v_mul_f32_e32 v40, v19, v35
	v_mul_f32_e32 v35, v18, v35
	v_fma_f32 v40, v18, v34, -v40
	v_fmac_f32_e32 v35, v19, v34
	v_add_f32_e32 v34, v16, v40
	v_add_f32_e32 v35, v17, v35
	v_mul_f32_e32 v16, v19, v37
	v_mul_f32_e32 v17, v18, v37
	v_fma_f32 v16, v18, v36, -v16
	v_fmac_f32_e32 v17, v19, v36
	v_add_f32_e32 v19, v15, v16
	v_add_f32_e32 v10, v10, v17
	ds_read2_b64 v[15:18], v13 offset0:32 offset1:48
	s_waitcnt lgkmcnt(0)
	v_mul_f32_e32 v36, v25, v16
	v_fma_f32 v36, v24, v15, -v36
	v_add_f32_e32 v36, v38, v36
	v_mul_f32_e32 v38, v25, v18
	v_mul_f32_e32 v37, v24, v16
	v_fma_f32 v38, v24, v17, -v38
	v_mul_f32_e32 v24, v24, v18
	v_fmac_f32_e32 v24, v25, v17
	v_add_f32_e32 v23, v23, v24
	v_mul_f32_e32 v24, v21, v16
	v_mul_f32_e32 v16, v20, v16
	v_fmac_f32_e32 v16, v21, v15
	v_fmac_f32_e32 v37, v25, v15
	v_fma_f32 v24, v20, v15, -v24
	v_add_f32_e32 v25, v35, v16
	v_mul_f32_e32 v15, v21, v18
	v_mul_f32_e32 v16, v20, v18
	v_fma_f32 v15, v20, v17, -v15
	v_fmac_f32_e32 v16, v21, v17
	v_add_f32_e32 v24, v34, v24
	v_add_f32_e32 v34, v19, v15
	;; [unrolled: 1-line block ×3, first 2 shown]
	ds_read2_b64 v[15:18], v13 offset0:64 offset1:80
	v_add_f32_e32 v37, v39, v37
	v_add_f32_e32 v22, v22, v38
	s_waitcnt lgkmcnt(0)
	v_mul_f32_e32 v19, v27, v16
	v_mul_f32_e32 v20, v26, v16
	v_fma_f32 v19, v26, v15, -v19
	v_fmac_f32_e32 v20, v27, v15
	v_add_f32_e32 v35, v36, v19
	v_add_f32_e32 v36, v37, v20
	v_mul_f32_e32 v19, v27, v18
	v_mul_f32_e32 v20, v26, v18
	v_fma_f32 v19, v26, v17, -v19
	v_fmac_f32_e32 v20, v27, v17
	v_add_f32_e32 v26, v22, v19
	v_add_f32_e32 v23, v23, v20
	ds_read_b128 v[19:22], v14 offset:1040
	s_waitcnt lgkmcnt(0)
	v_mul_f32_e32 v27, v20, v16
	v_mul_f32_e32 v16, v19, v16
	v_fmac_f32_e32 v16, v20, v15
	v_fma_f32 v27, v19, v15, -v27
	v_add_f32_e32 v25, v25, v16
	v_mul_f32_e32 v15, v20, v18
	v_mul_f32_e32 v16, v19, v18
	v_fma_f32 v15, v19, v17, -v15
	v_fmac_f32_e32 v16, v20, v17
	v_add_f32_e32 v19, v34, v15
	v_add_f32_e32 v10, v10, v16
	ds_read2_b64 v[15:18], v13 offset0:96 offset1:112
	v_add_f32_e32 v24, v24, v27
	s_waitcnt lgkmcnt(0)
	v_mul_f32_e32 v20, v29, v16
	v_mul_f32_e32 v34, v29, v18
	v_fma_f32 v20, v28, v15, -v20
	v_mul_f32_e32 v27, v28, v16
	v_fma_f32 v34, v28, v17, -v34
	v_mul_f32_e32 v28, v28, v18
	v_fmac_f32_e32 v28, v29, v17
	v_add_f32_e32 v23, v23, v28
	v_mul_f32_e32 v28, v22, v16
	v_mul_f32_e32 v16, v21, v16
	v_fmac_f32_e32 v16, v22, v15
	v_fmac_f32_e32 v27, v29, v15
	v_fma_f32 v28, v21, v15, -v28
	v_add_f32_e32 v25, v25, v16
	v_mul_f32_e32 v15, v22, v18
	v_mul_f32_e32 v16, v21, v18
	v_fma_f32 v15, v21, v17, -v15
	v_fmac_f32_e32 v16, v22, v17
	v_add_f32_e32 v24, v24, v28
	v_add_f32_e32 v28, v19, v15
	;; [unrolled: 1-line block ×3, first 2 shown]
	ds_read2_b64 v[15:18], v13 offset0:128 offset1:144
	v_add_f32_e32 v20, v35, v20
	v_add_f32_e32 v27, v36, v27
	;; [unrolled: 1-line block ×3, first 2 shown]
	s_waitcnt lgkmcnt(0)
	v_mul_f32_e32 v19, v31, v16
	v_fma_f32 v19, v30, v15, -v19
	v_mul_f32_e32 v21, v30, v16
	v_add_f32_e32 v29, v20, v19
	v_mul_f32_e32 v19, v31, v18
	v_mul_f32_e32 v20, v30, v18
	v_fmac_f32_e32 v21, v31, v15
	v_fma_f32 v19, v30, v17, -v19
	v_fmac_f32_e32 v20, v31, v17
	v_add_f32_e32 v27, v27, v21
	v_add_f32_e32 v26, v26, v19
	;; [unrolled: 1-line block ×3, first 2 shown]
	ds_read_b128 v[19:22], v14 offset:1056
	s_waitcnt lgkmcnt(0)
	v_mul_f32_e32 v30, v20, v16
	v_mul_f32_e32 v16, v19, v16
	v_fmac_f32_e32 v16, v20, v15
	v_fma_f32 v30, v19, v15, -v30
	v_add_f32_e32 v25, v25, v16
	v_mul_f32_e32 v15, v20, v18
	v_mul_f32_e32 v16, v19, v18
	v_fma_f32 v15, v19, v17, -v15
	v_fmac_f32_e32 v16, v20, v17
	v_add_f32_e32 v19, v28, v15
	v_add_f32_e32 v10, v10, v16
	ds_read2_b64 v[15:18], v13 offset0:160 offset1:176
	v_add_f32_e32 v24, v24, v30
	s_waitcnt lgkmcnt(0)
	v_mul_f32_e32 v28, v32, v16
	v_fmac_f32_e32 v28, v33, v15
	v_add_f32_e32 v27, v27, v28
	v_mul_f32_e32 v28, v33, v18
	v_fma_f32 v28, v32, v17, -v28
	v_mul_f32_e32 v20, v33, v16
	v_add_f32_e32 v26, v26, v28
	v_mul_f32_e32 v28, v22, v16
	v_mul_f32_e32 v16, v21, v16
	v_fmac_f32_e32 v16, v22, v15
	v_fma_f32 v20, v32, v15, -v20
	v_fma_f32 v28, v21, v15, -v28
	v_add_f32_e32 v25, v25, v16
	v_mul_f32_e32 v15, v22, v18
	v_mul_f32_e32 v16, v21, v18
	v_add_f32_e32 v20, v29, v20
	v_mul_f32_e32 v29, v32, v18
	v_fma_f32 v15, v21, v17, -v15
	v_fmac_f32_e32 v16, v22, v17
	v_fmac_f32_e32 v29, v33, v17
	v_add_f32_e32 v19, v19, v15
	v_add_f32_e32 v10, v10, v16
	ds_read2_b64 v[15:18], v13 offset0:192 offset1:208
	v_add_f32_e32 v24, v24, v28
	v_add_f32_e32 v23, v23, v29
	s_waitcnt lgkmcnt(0)
	v_mul_f32_e32 v21, v3, v16
	v_fma_f32 v21, v2, v15, -v21
	v_add_f32_e32 v28, v20, v21
	v_mul_f32_e32 v20, v3, v18
	v_mul_f32_e32 v22, v2, v16
	v_fma_f32 v20, v2, v17, -v20
	v_mul_f32_e32 v2, v2, v18
	v_fmac_f32_e32 v22, v3, v15
	v_fmac_f32_e32 v2, v3, v17
	v_add_f32_e32 v29, v27, v22
	v_add_f32_e32 v3, v26, v20
	;; [unrolled: 1-line block ×3, first 2 shown]
	ds_read_b128 v[20:23], v14 offset:1072
	s_waitcnt lgkmcnt(0)
	v_mul_f32_e32 v26, v21, v16
	v_mul_f32_e32 v16, v20, v16
	v_fma_f32 v26, v20, v15, -v26
	v_fmac_f32_e32 v16, v21, v15
	v_add_f32_e32 v15, v24, v26
	v_add_f32_e32 v30, v25, v16
	ds_read2_b64 v[24:27], v13 offset0:224 offset1:240
	v_mul_f32_e32 v16, v21, v18
	v_fma_f32 v16, v20, v17, -v16
	v_add_f32_e32 v31, v19, v16
	v_mul_f32_e32 v18, v20, v18
	s_waitcnt lgkmcnt(0)
	v_mul_f32_e32 v16, v5, v25
	v_fma_f32 v16, v4, v24, -v16
	v_add_f32_e32 v20, v28, v16
	v_mul_f32_e32 v16, v5, v27
	v_fmac_f32_e32 v18, v21, v17
	v_mul_f32_e32 v17, v4, v25
	v_fma_f32 v16, v4, v26, -v16
	v_mul_f32_e32 v4, v4, v27
	v_fmac_f32_e32 v4, v5, v26
	v_add_f32_e32 v10, v10, v18
	v_add_f32_e32 v18, v3, v16
	;; [unrolled: 1-line block ×3, first 2 shown]
	v_mul_f32_e32 v2, v23, v25
	v_mul_f32_e32 v3, v22, v25
	v_fmac_f32_e32 v17, v5, v24
	v_fma_f32 v2, v22, v24, -v2
	v_fmac_f32_e32 v3, v23, v24
	v_add_f32_e32 v21, v29, v17
	v_add_f32_e32 v16, v15, v2
	;; [unrolled: 1-line block ×3, first 2 shown]
	v_mul_f32_e32 v2, v23, v27
	v_mul_f32_e32 v3, v22, v27
	v_fma_f32 v2, v22, v26, -v2
	v_fmac_f32_e32 v3, v23, v26
	v_add_f32_e32 v15, v31, v2
	v_add_f32_e32 v10, v10, v3
	v_mov_b32_e32 v3, s1
	v_mov_b32_e32 v2, s0
	v_cmp_le_u64_e32 vcc, s[12:13], v[2:3]
	s_barrier
	s_cbranch_vccz .LBB1572_2
	s_branch .LBB1572_4
.LBB1572_3:
	v_mov_b32_e32 v20, 0
	v_mov_b32_e32 v21, 0
	;; [unrolled: 1-line block ×8, first 2 shown]
.LBB1572_4:
	v_add_u32_e32 v4, s3, v1
	v_ashrrev_i32_e32 v1, 31, v4
	v_mul_lo_u32 v3, s10, v1
	v_mul_lo_u32 v5, s11, v4
	v_mad_u64_u32 v[1:2], s[0:1], s10, v4, 0
	s_load_dword s4, s[4:5], 0x0
	v_add_u32_e32 v0, s2, v0
	v_add3_u32 v2, v2, v3, v5
	v_lshlrev_b64 v[1:2], 3, v[1:2]
	s_waitcnt lgkmcnt(0)
	v_mov_b32_e32 v3, s9
	v_add_co_u32_e32 v5, vcc, s8, v1
	v_addc_co_u32_e32 v6, vcc, v3, v2, vcc
	v_cmp_le_i32_e64 s[0:1], v4, v0
	v_cmp_gt_i32_e32 vcc, s4, v0
	s_and_b64 s[0:1], s[0:1], vcc
	s_and_saveexec_b64 s[2:3], s[0:1]
	s_cbranch_execz .LBB1572_6
; %bb.5:
	v_ashrrev_i32_e32 v1, 31, v0
	v_lshlrev_b64 v[1:2], 3, v[0:1]
	v_mul_f32_e32 v3, s15, v21
	v_add_co_u32_e64 v1, s[0:1], v5, v1
	v_addc_co_u32_e64 v2, s[0:1], v6, v2, s[0:1]
	flat_load_dwordx2 v[7:8], v[1:2]
	v_mul_f32_e32 v9, s14, v21
	v_fma_f32 v3, v20, s14, -v3
	v_fmac_f32_e32 v9, s15, v20
	s_waitcnt vmcnt(0) lgkmcnt(0)
	v_mul_f32_e32 v11, s21, v8
	v_mul_f32_e32 v8, s20, v8
	v_fma_f32 v11, v7, s20, -v11
	v_fmac_f32_e32 v8, s21, v7
	v_add_f32_e32 v7, v3, v11
	v_add_f32_e32 v8, v9, v8
	flat_store_dwordx2 v[1:2], v[7:8]
.LBB1572_6:
	s_or_b64 exec, exec, s[2:3]
	v_add_u32_e32 v2, 16, v0
	v_cmp_le_i32_e64 s[2:3], v4, v2
	v_cmp_gt_i32_e64 s[0:1], s4, v2
	s_and_b64 s[2:3], s[2:3], s[0:1]
	s_and_saveexec_b64 s[4:5], s[2:3]
	s_cbranch_execz .LBB1572_8
; %bb.7:
	v_ashrrev_i32_e32 v3, 31, v2
	v_lshlrev_b64 v[7:8], 3, v[2:3]
	v_mul_f32_e32 v1, s15, v19
	v_add_co_u32_e64 v5, s[2:3], v5, v7
	v_addc_co_u32_e64 v6, s[2:3], v6, v8, s[2:3]
	flat_load_dwordx2 v[7:8], v[5:6]
	v_mul_f32_e32 v3, s14, v19
	v_fma_f32 v1, v18, s14, -v1
	v_fmac_f32_e32 v3, s15, v18
	s_waitcnt vmcnt(0) lgkmcnt(0)
	v_mul_f32_e32 v9, s21, v8
	v_mul_f32_e32 v8, s20, v8
	v_fma_f32 v9, v7, s20, -v9
	v_fmac_f32_e32 v8, s21, v7
	v_add_f32_e32 v7, v1, v9
	v_add_f32_e32 v8, v3, v8
	flat_store_dwordx2 v[5:6], v[7:8]
.LBB1572_8:
	s_or_b64 exec, exec, s[4:5]
	v_add_u32_e32 v3, 16, v4
	v_ashrrev_i32_e32 v1, 31, v3
	v_mul_lo_u32 v6, s11, v3
	v_mad_u64_u32 v[4:5], s[2:3], s10, v3, 0
	v_mul_lo_u32 v1, s10, v1
	v_add3_u32 v5, v5, v1, v6
	v_lshlrev_b64 v[4:5], 3, v[4:5]
	v_mov_b32_e32 v1, s9
	v_add_co_u32_e64 v4, s[2:3], s8, v4
	v_addc_co_u32_e64 v5, s[2:3], v1, v5, s[2:3]
	v_cmp_le_i32_e64 s[2:3], v3, v0
	s_and_b64 s[4:5], s[2:3], vcc
	s_and_saveexec_b64 s[2:3], s[4:5]
	s_cbranch_execz .LBB1572_10
; %bb.9:
	v_ashrrev_i32_e32 v1, 31, v0
	v_lshlrev_b64 v[0:1], 3, v[0:1]
	v_mul_f32_e32 v8, s15, v17
	v_add_co_u32_e32 v0, vcc, v4, v0
	v_addc_co_u32_e32 v1, vcc, v5, v1, vcc
	flat_load_dwordx2 v[6:7], v[0:1]
	v_mul_f32_e32 v9, s14, v17
	v_fma_f32 v8, v16, s14, -v8
	v_fmac_f32_e32 v9, s15, v16
	s_waitcnt vmcnt(0) lgkmcnt(0)
	v_mul_f32_e32 v11, s21, v7
	v_mul_f32_e32 v7, s20, v7
	v_fma_f32 v11, v6, s20, -v11
	v_fmac_f32_e32 v7, s21, v6
	v_add_f32_e32 v6, v8, v11
	v_add_f32_e32 v7, v9, v7
	flat_store_dwordx2 v[0:1], v[6:7]
.LBB1572_10:
	s_or_b64 exec, exec, s[2:3]
	v_cmp_le_i32_e32 vcc, v3, v2
	s_and_b64 s[0:1], vcc, s[0:1]
	s_and_saveexec_b64 s[2:3], s[0:1]
	s_cbranch_execz .LBB1572_12
; %bb.11:
	v_ashrrev_i32_e32 v3, 31, v2
	v_lshlrev_b64 v[0:1], 3, v[2:3]
	v_add_co_u32_e32 v0, vcc, v4, v0
	v_addc_co_u32_e32 v1, vcc, v5, v1, vcc
	flat_load_dwordx2 v[2:3], v[0:1]
	v_mul_f32_e32 v4, s15, v10
	v_mul_f32_e32 v5, s14, v10
	v_fma_f32 v4, v15, s14, -v4
	v_fmac_f32_e32 v5, s15, v15
	s_waitcnt vmcnt(0) lgkmcnt(0)
	v_mul_f32_e32 v6, s21, v3
	v_mul_f32_e32 v3, s20, v3
	v_fma_f32 v6, v2, s20, -v6
	v_fmac_f32_e32 v3, s21, v2
	v_add_f32_e32 v2, v4, v6
	v_add_f32_e32 v3, v5, v3
	flat_store_dwordx2 v[0:1], v[2:3]
.LBB1572_12:
	s_endpgm
	.section	.rodata,"a",@progbits
	.p2align	6, 0x0
	.amdhsa_kernel _ZL37rocblas_syrkx_herkx_restricted_kernelIl19rocblas_complex_numIfELi16ELi32ELi8ELb0ELb0ELc84ELc76EKPKS1_KPS1_EviT_T0_PT8_S7_lSA_S7_lS8_PT9_S7_li
		.amdhsa_group_segment_fixed_size 4096
		.amdhsa_private_segment_fixed_size 0
		.amdhsa_kernarg_size 108
		.amdhsa_user_sgpr_count 6
		.amdhsa_user_sgpr_private_segment_buffer 1
		.amdhsa_user_sgpr_dispatch_ptr 0
		.amdhsa_user_sgpr_queue_ptr 0
		.amdhsa_user_sgpr_kernarg_segment_ptr 1
		.amdhsa_user_sgpr_dispatch_id 0
		.amdhsa_user_sgpr_flat_scratch_init 0
		.amdhsa_user_sgpr_private_segment_size 0
		.amdhsa_uses_dynamic_stack 0
		.amdhsa_system_sgpr_private_segment_wavefront_offset 0
		.amdhsa_system_sgpr_workgroup_id_x 1
		.amdhsa_system_sgpr_workgroup_id_y 1
		.amdhsa_system_sgpr_workgroup_id_z 1
		.amdhsa_system_sgpr_workgroup_info 0
		.amdhsa_system_vgpr_workitem_id 1
		.amdhsa_next_free_vgpr 41
		.amdhsa_next_free_sgpr 28
		.amdhsa_reserve_vcc 1
		.amdhsa_reserve_flat_scratch 0
		.amdhsa_float_round_mode_32 0
		.amdhsa_float_round_mode_16_64 0
		.amdhsa_float_denorm_mode_32 3
		.amdhsa_float_denorm_mode_16_64 3
		.amdhsa_dx10_clamp 1
		.amdhsa_ieee_mode 1
		.amdhsa_fp16_overflow 0
		.amdhsa_exception_fp_ieee_invalid_op 0
		.amdhsa_exception_fp_denorm_src 0
		.amdhsa_exception_fp_ieee_div_zero 0
		.amdhsa_exception_fp_ieee_overflow 0
		.amdhsa_exception_fp_ieee_underflow 0
		.amdhsa_exception_fp_ieee_inexact 0
		.amdhsa_exception_int_div_zero 0
	.end_amdhsa_kernel
	.section	.text._ZL37rocblas_syrkx_herkx_restricted_kernelIl19rocblas_complex_numIfELi16ELi32ELi8ELb0ELb0ELc84ELc76EKPKS1_KPS1_EviT_T0_PT8_S7_lSA_S7_lS8_PT9_S7_li,"axG",@progbits,_ZL37rocblas_syrkx_herkx_restricted_kernelIl19rocblas_complex_numIfELi16ELi32ELi8ELb0ELb0ELc84ELc76EKPKS1_KPS1_EviT_T0_PT8_S7_lSA_S7_lS8_PT9_S7_li,comdat
.Lfunc_end1572:
	.size	_ZL37rocblas_syrkx_herkx_restricted_kernelIl19rocblas_complex_numIfELi16ELi32ELi8ELb0ELb0ELc84ELc76EKPKS1_KPS1_EviT_T0_PT8_S7_lSA_S7_lS8_PT9_S7_li, .Lfunc_end1572-_ZL37rocblas_syrkx_herkx_restricted_kernelIl19rocblas_complex_numIfELi16ELi32ELi8ELb0ELb0ELc84ELc76EKPKS1_KPS1_EviT_T0_PT8_S7_lSA_S7_lS8_PT9_S7_li
                                        ; -- End function
	.set _ZL37rocblas_syrkx_herkx_restricted_kernelIl19rocblas_complex_numIfELi16ELi32ELi8ELb0ELb0ELc84ELc76EKPKS1_KPS1_EviT_T0_PT8_S7_lSA_S7_lS8_PT9_S7_li.num_vgpr, 41
	.set _ZL37rocblas_syrkx_herkx_restricted_kernelIl19rocblas_complex_numIfELi16ELi32ELi8ELb0ELb0ELc84ELc76EKPKS1_KPS1_EviT_T0_PT8_S7_lSA_S7_lS8_PT9_S7_li.num_agpr, 0
	.set _ZL37rocblas_syrkx_herkx_restricted_kernelIl19rocblas_complex_numIfELi16ELi32ELi8ELb0ELb0ELc84ELc76EKPKS1_KPS1_EviT_T0_PT8_S7_lSA_S7_lS8_PT9_S7_li.numbered_sgpr, 28
	.set _ZL37rocblas_syrkx_herkx_restricted_kernelIl19rocblas_complex_numIfELi16ELi32ELi8ELb0ELb0ELc84ELc76EKPKS1_KPS1_EviT_T0_PT8_S7_lSA_S7_lS8_PT9_S7_li.num_named_barrier, 0
	.set _ZL37rocblas_syrkx_herkx_restricted_kernelIl19rocblas_complex_numIfELi16ELi32ELi8ELb0ELb0ELc84ELc76EKPKS1_KPS1_EviT_T0_PT8_S7_lSA_S7_lS8_PT9_S7_li.private_seg_size, 0
	.set _ZL37rocblas_syrkx_herkx_restricted_kernelIl19rocblas_complex_numIfELi16ELi32ELi8ELb0ELb0ELc84ELc76EKPKS1_KPS1_EviT_T0_PT8_S7_lSA_S7_lS8_PT9_S7_li.uses_vcc, 1
	.set _ZL37rocblas_syrkx_herkx_restricted_kernelIl19rocblas_complex_numIfELi16ELi32ELi8ELb0ELb0ELc84ELc76EKPKS1_KPS1_EviT_T0_PT8_S7_lSA_S7_lS8_PT9_S7_li.uses_flat_scratch, 0
	.set _ZL37rocblas_syrkx_herkx_restricted_kernelIl19rocblas_complex_numIfELi16ELi32ELi8ELb0ELb0ELc84ELc76EKPKS1_KPS1_EviT_T0_PT8_S7_lSA_S7_lS8_PT9_S7_li.has_dyn_sized_stack, 0
	.set _ZL37rocblas_syrkx_herkx_restricted_kernelIl19rocblas_complex_numIfELi16ELi32ELi8ELb0ELb0ELc84ELc76EKPKS1_KPS1_EviT_T0_PT8_S7_lSA_S7_lS8_PT9_S7_li.has_recursion, 0
	.set _ZL37rocblas_syrkx_herkx_restricted_kernelIl19rocblas_complex_numIfELi16ELi32ELi8ELb0ELb0ELc84ELc76EKPKS1_KPS1_EviT_T0_PT8_S7_lSA_S7_lS8_PT9_S7_li.has_indirect_call, 0
	.section	.AMDGPU.csdata,"",@progbits
; Kernel info:
; codeLenInByte = 2180
; TotalNumSgprs: 32
; NumVgprs: 41
; ScratchSize: 0
; MemoryBound: 0
; FloatMode: 240
; IeeeMode: 1
; LDSByteSize: 4096 bytes/workgroup (compile time only)
; SGPRBlocks: 3
; VGPRBlocks: 10
; NumSGPRsForWavesPerEU: 32
; NumVGPRsForWavesPerEU: 41
; Occupancy: 5
; WaveLimiterHint : 1
; COMPUTE_PGM_RSRC2:SCRATCH_EN: 0
; COMPUTE_PGM_RSRC2:USER_SGPR: 6
; COMPUTE_PGM_RSRC2:TRAP_HANDLER: 0
; COMPUTE_PGM_RSRC2:TGID_X_EN: 1
; COMPUTE_PGM_RSRC2:TGID_Y_EN: 1
; COMPUTE_PGM_RSRC2:TGID_Z_EN: 1
; COMPUTE_PGM_RSRC2:TIDIG_COMP_CNT: 1
	.section	.text._ZL37rocblas_syrkx_herkx_restricted_kernelIl19rocblas_complex_numIfELi16ELi32ELi8ELb0ELb0ELc67ELc76EKPKS1_KPS1_EviT_T0_PT8_S7_lSA_S7_lS8_PT9_S7_li,"axG",@progbits,_ZL37rocblas_syrkx_herkx_restricted_kernelIl19rocblas_complex_numIfELi16ELi32ELi8ELb0ELb0ELc67ELc76EKPKS1_KPS1_EviT_T0_PT8_S7_lSA_S7_lS8_PT9_S7_li,comdat
	.globl	_ZL37rocblas_syrkx_herkx_restricted_kernelIl19rocblas_complex_numIfELi16ELi32ELi8ELb0ELb0ELc67ELc76EKPKS1_KPS1_EviT_T0_PT8_S7_lSA_S7_lS8_PT9_S7_li ; -- Begin function _ZL37rocblas_syrkx_herkx_restricted_kernelIl19rocblas_complex_numIfELi16ELi32ELi8ELb0ELb0ELc67ELc76EKPKS1_KPS1_EviT_T0_PT8_S7_lSA_S7_lS8_PT9_S7_li
	.p2align	8
	.type	_ZL37rocblas_syrkx_herkx_restricted_kernelIl19rocblas_complex_numIfELi16ELi32ELi8ELb0ELb0ELc67ELc76EKPKS1_KPS1_EviT_T0_PT8_S7_lSA_S7_lS8_PT9_S7_li,@function
_ZL37rocblas_syrkx_herkx_restricted_kernelIl19rocblas_complex_numIfELi16ELi32ELi8ELb0ELb0ELc67ELc76EKPKS1_KPS1_EviT_T0_PT8_S7_lSA_S7_lS8_PT9_S7_li: ; @_ZL37rocblas_syrkx_herkx_restricted_kernelIl19rocblas_complex_numIfELi16ELi32ELi8ELb0ELb0ELc67ELc76EKPKS1_KPS1_EviT_T0_PT8_S7_lSA_S7_lS8_PT9_S7_li
; %bb.0:
	s_load_dwordx4 s[20:23], s[4:5], 0x48
	s_load_dwordx2 s[10:11], s[4:5], 0x58
	s_load_dwordx8 s[12:19], s[4:5], 0x8
	s_mov_b32 s9, 0
	s_lshl_b64 s[0:1], s[8:9], 3
	s_waitcnt lgkmcnt(0)
	s_add_u32 s2, s22, s0
	s_addc_u32 s3, s23, s1
	s_load_dwordx2 s[8:9], s[2:3], 0x0
	v_cmp_lt_i64_e64 s[22:23], s[12:13], 1
	s_lshl_b32 s2, s6, 5
	s_lshl_b32 s3, s7, 5
	s_and_b64 vcc, exec, s[22:23]
	s_cbranch_vccnz .LBB1573_3
; %bb.1:
	s_load_dwordx4 s[24:27], s[4:5], 0x30
	v_lshl_add_u32 v5, v1, 4, v0
	v_lshrrev_b32_e32 v6, 3, v5
	v_add_u32_e32 v2, s3, v6
	s_add_u32 s6, s16, s0
	v_and_b32_e32 v9, 7, v0
	v_ashrrev_i32_e32 v3, 31, v2
	v_mov_b32_e32 v10, 0
	s_addc_u32 s7, s17, s1
	s_waitcnt lgkmcnt(0)
	v_mul_lo_u32 v7, s26, v3
	v_mul_lo_u32 v8, s27, v2
	v_mad_u64_u32 v[2:3], s[16:17], s26, v2, v[9:10]
	v_and_b32_e32 v13, 31, v5
	v_lshrrev_b32_e32 v4, 5, v5
	v_add3_u32 v3, v8, v3, v7
	v_lshlrev_b32_e32 v7, 3, v13
	v_lshl_or_b32 v11, v4, 8, v7
	v_lshlrev_b32_e32 v7, 3, v9
	v_lshl_or_b32 v6, v6, 6, v7
	v_add_u32_e32 v12, 0x800, v6
	v_add_u32_e32 v6, s2, v13
	v_mov_b32_e32 v5, v10
	v_ashrrev_i32_e32 v7, 31, v6
	v_mul_lo_u32 v7, s18, v7
	v_mad_u64_u32 v[4:5], s[16:17], s18, v6, v[4:5]
	v_mul_lo_u32 v6, s19, v6
	s_load_dwordx2 s[6:7], s[6:7], 0x0
	s_add_u32 s0, s24, s0
	s_addc_u32 s1, s25, s1
	s_load_dwordx2 s[0:1], s[0:1], 0x0
	v_add3_u32 v5, v6, v5, v7
	v_lshlrev_b64 v[4:5], 3, v[4:5]
	s_waitcnt lgkmcnt(0)
	v_mov_b32_e32 v7, s7
	v_add_co_u32_e32 v6, vcc, s6, v4
	v_lshlrev_b64 v[2:3], 3, v[2:3]
	v_mov_b32_e32 v8, 0x800
	v_addc_co_u32_e32 v7, vcc, v7, v5, vcc
	v_lshl_add_u32 v14, v1, 6, v8
	v_mov_b32_e32 v4, s1
	v_add_co_u32_e32 v8, vcc, s0, v2
	v_lshlrev_b32_e32 v13, 3, v0
	v_addc_co_u32_e32 v9, vcc, v4, v3, vcc
	s_mov_b64 s[0:1], 0
	v_mov_b32_e32 v15, v10
	v_mov_b32_e32 v17, v10
	;; [unrolled: 1-line block ×7, first 2 shown]
.LBB1573_2:                             ; =>This Inner Loop Header: Depth=1
	flat_load_dwordx2 v[2:3], v[6:7]
	s_add_u32 s0, s0, 8
	v_add_co_u32_e32 v6, vcc, 64, v6
	s_addc_u32 s1, s1, 0
	v_addc_co_u32_e32 v7, vcc, 0, v7, vcc
	s_waitcnt vmcnt(0) lgkmcnt(0)
	ds_write_b64 v11, v[2:3]
	flat_load_dwordx2 v[2:3], v[8:9]
	v_add_co_u32_e32 v8, vcc, 64, v8
	v_addc_co_u32_e32 v9, vcc, 0, v9, vcc
	s_waitcnt vmcnt(0) lgkmcnt(0)
	ds_write_b64 v12, v[2:3]
	s_waitcnt lgkmcnt(0)
	s_barrier
	ds_read_b128 v[22:25], v14
	ds_read_b128 v[26:29], v14 offset:16
	ds_read_b128 v[30:33], v14 offset:32
	;; [unrolled: 1-line block ×3, first 2 shown]
	ds_read2_b64 v[34:37], v13 offset1:16
	s_waitcnt lgkmcnt(0)
	v_mul_f32_e32 v38, v23, v35
	v_mul_f32_e32 v39, v22, v35
	v_fma_f32 v38, v22, v34, -v38
	v_fmac_f32_e32 v39, v23, v34
	v_add_f32_e32 v38, v20, v38
	v_add_f32_e32 v39, v21, v39
	v_mul_f32_e32 v20, v23, v37
	v_mul_f32_e32 v21, v22, v37
	v_fma_f32 v20, v22, v36, -v20
	v_fmac_f32_e32 v21, v23, v36
	v_add_f32_e32 v22, v18, v20
	v_add_f32_e32 v23, v19, v21
	ds_read_b128 v[18:21], v14 offset:1024
	s_waitcnt lgkmcnt(0)
	v_mul_f32_e32 v40, v19, v35
	v_mul_f32_e32 v35, v18, v35
	v_fma_f32 v40, v18, v34, -v40
	v_fmac_f32_e32 v35, v19, v34
	v_add_f32_e32 v34, v16, v40
	v_add_f32_e32 v35, v17, v35
	v_mul_f32_e32 v16, v19, v37
	v_mul_f32_e32 v17, v18, v37
	v_fma_f32 v16, v18, v36, -v16
	v_fmac_f32_e32 v17, v19, v36
	v_add_f32_e32 v19, v15, v16
	v_add_f32_e32 v10, v10, v17
	ds_read2_b64 v[15:18], v13 offset0:32 offset1:48
	s_waitcnt lgkmcnt(0)
	v_mul_f32_e32 v36, v25, v16
	v_fma_f32 v36, v24, v15, -v36
	v_add_f32_e32 v36, v38, v36
	v_mul_f32_e32 v38, v25, v18
	v_mul_f32_e32 v37, v24, v16
	v_fma_f32 v38, v24, v17, -v38
	v_mul_f32_e32 v24, v24, v18
	v_fmac_f32_e32 v24, v25, v17
	v_add_f32_e32 v23, v23, v24
	v_mul_f32_e32 v24, v21, v16
	v_mul_f32_e32 v16, v20, v16
	v_fmac_f32_e32 v16, v21, v15
	v_fmac_f32_e32 v37, v25, v15
	v_fma_f32 v24, v20, v15, -v24
	v_add_f32_e32 v25, v35, v16
	v_mul_f32_e32 v15, v21, v18
	v_mul_f32_e32 v16, v20, v18
	v_fma_f32 v15, v20, v17, -v15
	v_fmac_f32_e32 v16, v21, v17
	v_add_f32_e32 v24, v34, v24
	v_add_f32_e32 v34, v19, v15
	v_add_f32_e32 v10, v10, v16
	ds_read2_b64 v[15:18], v13 offset0:64 offset1:80
	v_add_f32_e32 v37, v39, v37
	v_add_f32_e32 v22, v22, v38
	s_waitcnt lgkmcnt(0)
	v_mul_f32_e32 v19, v27, v16
	v_mul_f32_e32 v20, v26, v16
	v_fma_f32 v19, v26, v15, -v19
	v_fmac_f32_e32 v20, v27, v15
	v_add_f32_e32 v35, v36, v19
	v_add_f32_e32 v36, v37, v20
	v_mul_f32_e32 v19, v27, v18
	v_mul_f32_e32 v20, v26, v18
	v_fma_f32 v19, v26, v17, -v19
	v_fmac_f32_e32 v20, v27, v17
	v_add_f32_e32 v26, v22, v19
	v_add_f32_e32 v23, v23, v20
	ds_read_b128 v[19:22], v14 offset:1040
	s_waitcnt lgkmcnt(0)
	v_mul_f32_e32 v27, v20, v16
	v_mul_f32_e32 v16, v19, v16
	v_fmac_f32_e32 v16, v20, v15
	v_fma_f32 v27, v19, v15, -v27
	v_add_f32_e32 v25, v25, v16
	v_mul_f32_e32 v15, v20, v18
	v_mul_f32_e32 v16, v19, v18
	v_fma_f32 v15, v19, v17, -v15
	v_fmac_f32_e32 v16, v20, v17
	v_add_f32_e32 v19, v34, v15
	v_add_f32_e32 v10, v10, v16
	ds_read2_b64 v[15:18], v13 offset0:96 offset1:112
	v_add_f32_e32 v24, v24, v27
	s_waitcnt lgkmcnt(0)
	v_mul_f32_e32 v20, v29, v16
	v_mul_f32_e32 v34, v29, v18
	v_fma_f32 v20, v28, v15, -v20
	v_mul_f32_e32 v27, v28, v16
	v_fma_f32 v34, v28, v17, -v34
	v_mul_f32_e32 v28, v28, v18
	v_fmac_f32_e32 v28, v29, v17
	v_add_f32_e32 v23, v23, v28
	v_mul_f32_e32 v28, v22, v16
	v_mul_f32_e32 v16, v21, v16
	v_fmac_f32_e32 v16, v22, v15
	v_fmac_f32_e32 v27, v29, v15
	v_fma_f32 v28, v21, v15, -v28
	v_add_f32_e32 v25, v25, v16
	v_mul_f32_e32 v15, v22, v18
	v_mul_f32_e32 v16, v21, v18
	v_fma_f32 v15, v21, v17, -v15
	v_fmac_f32_e32 v16, v22, v17
	v_add_f32_e32 v24, v24, v28
	v_add_f32_e32 v28, v19, v15
	;; [unrolled: 1-line block ×3, first 2 shown]
	ds_read2_b64 v[15:18], v13 offset0:128 offset1:144
	v_add_f32_e32 v20, v35, v20
	v_add_f32_e32 v27, v36, v27
	;; [unrolled: 1-line block ×3, first 2 shown]
	s_waitcnt lgkmcnt(0)
	v_mul_f32_e32 v19, v31, v16
	v_fma_f32 v19, v30, v15, -v19
	v_mul_f32_e32 v21, v30, v16
	v_add_f32_e32 v29, v20, v19
	v_mul_f32_e32 v19, v31, v18
	v_mul_f32_e32 v20, v30, v18
	v_fmac_f32_e32 v21, v31, v15
	v_fma_f32 v19, v30, v17, -v19
	v_fmac_f32_e32 v20, v31, v17
	v_add_f32_e32 v27, v27, v21
	v_add_f32_e32 v26, v26, v19
	;; [unrolled: 1-line block ×3, first 2 shown]
	ds_read_b128 v[19:22], v14 offset:1056
	s_waitcnt lgkmcnt(0)
	v_mul_f32_e32 v30, v20, v16
	v_mul_f32_e32 v16, v19, v16
	v_fmac_f32_e32 v16, v20, v15
	v_fma_f32 v30, v19, v15, -v30
	v_add_f32_e32 v25, v25, v16
	v_mul_f32_e32 v15, v20, v18
	v_mul_f32_e32 v16, v19, v18
	v_fma_f32 v15, v19, v17, -v15
	v_fmac_f32_e32 v16, v20, v17
	v_add_f32_e32 v19, v28, v15
	v_add_f32_e32 v10, v10, v16
	ds_read2_b64 v[15:18], v13 offset0:160 offset1:176
	v_add_f32_e32 v24, v24, v30
	s_waitcnt lgkmcnt(0)
	v_mul_f32_e32 v28, v32, v16
	v_fmac_f32_e32 v28, v33, v15
	v_add_f32_e32 v27, v27, v28
	v_mul_f32_e32 v28, v33, v18
	v_fma_f32 v28, v32, v17, -v28
	v_mul_f32_e32 v20, v33, v16
	v_add_f32_e32 v26, v26, v28
	v_mul_f32_e32 v28, v22, v16
	v_mul_f32_e32 v16, v21, v16
	v_fmac_f32_e32 v16, v22, v15
	v_fma_f32 v20, v32, v15, -v20
	v_fma_f32 v28, v21, v15, -v28
	v_add_f32_e32 v25, v25, v16
	v_mul_f32_e32 v15, v22, v18
	v_mul_f32_e32 v16, v21, v18
	v_add_f32_e32 v20, v29, v20
	v_mul_f32_e32 v29, v32, v18
	v_fma_f32 v15, v21, v17, -v15
	v_fmac_f32_e32 v16, v22, v17
	v_fmac_f32_e32 v29, v33, v17
	v_add_f32_e32 v19, v19, v15
	v_add_f32_e32 v10, v10, v16
	ds_read2_b64 v[15:18], v13 offset0:192 offset1:208
	v_add_f32_e32 v24, v24, v28
	v_add_f32_e32 v23, v23, v29
	s_waitcnt lgkmcnt(0)
	v_mul_f32_e32 v21, v3, v16
	v_fma_f32 v21, v2, v15, -v21
	v_add_f32_e32 v28, v20, v21
	v_mul_f32_e32 v20, v3, v18
	v_mul_f32_e32 v22, v2, v16
	v_fma_f32 v20, v2, v17, -v20
	v_mul_f32_e32 v2, v2, v18
	v_fmac_f32_e32 v22, v3, v15
	v_fmac_f32_e32 v2, v3, v17
	v_add_f32_e32 v29, v27, v22
	v_add_f32_e32 v3, v26, v20
	;; [unrolled: 1-line block ×3, first 2 shown]
	ds_read_b128 v[20:23], v14 offset:1072
	s_waitcnt lgkmcnt(0)
	v_mul_f32_e32 v26, v21, v16
	v_mul_f32_e32 v16, v20, v16
	v_fma_f32 v26, v20, v15, -v26
	v_fmac_f32_e32 v16, v21, v15
	v_add_f32_e32 v15, v24, v26
	v_add_f32_e32 v30, v25, v16
	ds_read2_b64 v[24:27], v13 offset0:224 offset1:240
	v_mul_f32_e32 v16, v21, v18
	v_fma_f32 v16, v20, v17, -v16
	v_add_f32_e32 v31, v19, v16
	v_mul_f32_e32 v18, v20, v18
	s_waitcnt lgkmcnt(0)
	v_mul_f32_e32 v16, v5, v25
	v_fma_f32 v16, v4, v24, -v16
	v_add_f32_e32 v20, v28, v16
	v_mul_f32_e32 v16, v5, v27
	v_fmac_f32_e32 v18, v21, v17
	v_mul_f32_e32 v17, v4, v25
	v_fma_f32 v16, v4, v26, -v16
	v_mul_f32_e32 v4, v4, v27
	v_fmac_f32_e32 v4, v5, v26
	v_add_f32_e32 v10, v10, v18
	v_add_f32_e32 v18, v3, v16
	;; [unrolled: 1-line block ×3, first 2 shown]
	v_mul_f32_e32 v2, v23, v25
	v_mul_f32_e32 v3, v22, v25
	v_fmac_f32_e32 v17, v5, v24
	v_fma_f32 v2, v22, v24, -v2
	v_fmac_f32_e32 v3, v23, v24
	v_add_f32_e32 v21, v29, v17
	v_add_f32_e32 v16, v15, v2
	v_add_f32_e32 v17, v30, v3
	v_mul_f32_e32 v2, v23, v27
	v_mul_f32_e32 v3, v22, v27
	v_fma_f32 v2, v22, v26, -v2
	v_fmac_f32_e32 v3, v23, v26
	v_add_f32_e32 v15, v31, v2
	v_add_f32_e32 v10, v10, v3
	v_mov_b32_e32 v3, s1
	v_mov_b32_e32 v2, s0
	v_cmp_le_u64_e32 vcc, s[12:13], v[2:3]
	s_barrier
	s_cbranch_vccz .LBB1573_2
	s_branch .LBB1573_4
.LBB1573_3:
	v_mov_b32_e32 v20, 0
	v_mov_b32_e32 v21, 0
	;; [unrolled: 1-line block ×8, first 2 shown]
.LBB1573_4:
	v_add_u32_e32 v4, s3, v1
	v_ashrrev_i32_e32 v1, 31, v4
	v_mul_lo_u32 v3, s10, v1
	v_mul_lo_u32 v5, s11, v4
	v_mad_u64_u32 v[1:2], s[0:1], s10, v4, 0
	s_load_dword s4, s[4:5], 0x0
	v_add_u32_e32 v0, s2, v0
	v_add3_u32 v2, v2, v3, v5
	v_lshlrev_b64 v[1:2], 3, v[1:2]
	s_waitcnt lgkmcnt(0)
	v_mov_b32_e32 v3, s9
	v_add_co_u32_e32 v5, vcc, s8, v1
	v_addc_co_u32_e32 v6, vcc, v3, v2, vcc
	v_cmp_le_i32_e64 s[0:1], v4, v0
	v_cmp_gt_i32_e32 vcc, s4, v0
	s_and_b64 s[0:1], s[0:1], vcc
	s_and_saveexec_b64 s[2:3], s[0:1]
	s_cbranch_execz .LBB1573_6
; %bb.5:
	v_ashrrev_i32_e32 v1, 31, v0
	v_lshlrev_b64 v[1:2], 3, v[0:1]
	v_mul_f32_e32 v3, s15, v21
	v_add_co_u32_e64 v1, s[0:1], v5, v1
	v_addc_co_u32_e64 v2, s[0:1], v6, v2, s[0:1]
	flat_load_dwordx2 v[7:8], v[1:2]
	v_mul_f32_e32 v9, s14, v21
	v_fma_f32 v3, v20, s14, -v3
	v_fmac_f32_e32 v9, s15, v20
	s_waitcnt vmcnt(0) lgkmcnt(0)
	v_mul_f32_e32 v11, s21, v8
	v_mul_f32_e32 v8, s20, v8
	v_fma_f32 v11, v7, s20, -v11
	v_fmac_f32_e32 v8, s21, v7
	v_add_f32_e32 v7, v3, v11
	v_add_f32_e32 v8, v9, v8
	flat_store_dwordx2 v[1:2], v[7:8]
.LBB1573_6:
	s_or_b64 exec, exec, s[2:3]
	v_add_u32_e32 v2, 16, v0
	v_cmp_le_i32_e64 s[2:3], v4, v2
	v_cmp_gt_i32_e64 s[0:1], s4, v2
	s_and_b64 s[2:3], s[2:3], s[0:1]
	s_and_saveexec_b64 s[4:5], s[2:3]
	s_cbranch_execz .LBB1573_8
; %bb.7:
	v_ashrrev_i32_e32 v3, 31, v2
	v_lshlrev_b64 v[7:8], 3, v[2:3]
	v_mul_f32_e32 v1, s15, v19
	v_add_co_u32_e64 v5, s[2:3], v5, v7
	v_addc_co_u32_e64 v6, s[2:3], v6, v8, s[2:3]
	flat_load_dwordx2 v[7:8], v[5:6]
	v_mul_f32_e32 v3, s14, v19
	v_fma_f32 v1, v18, s14, -v1
	v_fmac_f32_e32 v3, s15, v18
	s_waitcnt vmcnt(0) lgkmcnt(0)
	v_mul_f32_e32 v9, s21, v8
	v_mul_f32_e32 v8, s20, v8
	v_fma_f32 v9, v7, s20, -v9
	v_fmac_f32_e32 v8, s21, v7
	v_add_f32_e32 v7, v1, v9
	v_add_f32_e32 v8, v3, v8
	flat_store_dwordx2 v[5:6], v[7:8]
.LBB1573_8:
	s_or_b64 exec, exec, s[4:5]
	v_add_u32_e32 v3, 16, v4
	v_ashrrev_i32_e32 v1, 31, v3
	v_mul_lo_u32 v6, s11, v3
	v_mad_u64_u32 v[4:5], s[2:3], s10, v3, 0
	v_mul_lo_u32 v1, s10, v1
	v_add3_u32 v5, v5, v1, v6
	v_lshlrev_b64 v[4:5], 3, v[4:5]
	v_mov_b32_e32 v1, s9
	v_add_co_u32_e64 v4, s[2:3], s8, v4
	v_addc_co_u32_e64 v5, s[2:3], v1, v5, s[2:3]
	v_cmp_le_i32_e64 s[2:3], v3, v0
	s_and_b64 s[4:5], s[2:3], vcc
	s_and_saveexec_b64 s[2:3], s[4:5]
	s_cbranch_execz .LBB1573_10
; %bb.9:
	v_ashrrev_i32_e32 v1, 31, v0
	v_lshlrev_b64 v[0:1], 3, v[0:1]
	v_mul_f32_e32 v8, s15, v17
	v_add_co_u32_e32 v0, vcc, v4, v0
	v_addc_co_u32_e32 v1, vcc, v5, v1, vcc
	flat_load_dwordx2 v[6:7], v[0:1]
	v_mul_f32_e32 v9, s14, v17
	v_fma_f32 v8, v16, s14, -v8
	v_fmac_f32_e32 v9, s15, v16
	s_waitcnt vmcnt(0) lgkmcnt(0)
	v_mul_f32_e32 v11, s21, v7
	v_mul_f32_e32 v7, s20, v7
	v_fma_f32 v11, v6, s20, -v11
	v_fmac_f32_e32 v7, s21, v6
	v_add_f32_e32 v6, v8, v11
	v_add_f32_e32 v7, v9, v7
	flat_store_dwordx2 v[0:1], v[6:7]
.LBB1573_10:
	s_or_b64 exec, exec, s[2:3]
	v_cmp_le_i32_e32 vcc, v3, v2
	s_and_b64 s[0:1], vcc, s[0:1]
	s_and_saveexec_b64 s[2:3], s[0:1]
	s_cbranch_execz .LBB1573_12
; %bb.11:
	v_ashrrev_i32_e32 v3, 31, v2
	v_lshlrev_b64 v[0:1], 3, v[2:3]
	v_add_co_u32_e32 v0, vcc, v4, v0
	v_addc_co_u32_e32 v1, vcc, v5, v1, vcc
	flat_load_dwordx2 v[2:3], v[0:1]
	v_mul_f32_e32 v4, s15, v10
	v_mul_f32_e32 v5, s14, v10
	v_fma_f32 v4, v15, s14, -v4
	v_fmac_f32_e32 v5, s15, v15
	s_waitcnt vmcnt(0) lgkmcnt(0)
	v_mul_f32_e32 v6, s21, v3
	v_mul_f32_e32 v3, s20, v3
	v_fma_f32 v6, v2, s20, -v6
	v_fmac_f32_e32 v3, s21, v2
	v_add_f32_e32 v2, v4, v6
	v_add_f32_e32 v3, v5, v3
	flat_store_dwordx2 v[0:1], v[2:3]
.LBB1573_12:
	s_endpgm
	.section	.rodata,"a",@progbits
	.p2align	6, 0x0
	.amdhsa_kernel _ZL37rocblas_syrkx_herkx_restricted_kernelIl19rocblas_complex_numIfELi16ELi32ELi8ELb0ELb0ELc67ELc76EKPKS1_KPS1_EviT_T0_PT8_S7_lSA_S7_lS8_PT9_S7_li
		.amdhsa_group_segment_fixed_size 4096
		.amdhsa_private_segment_fixed_size 0
		.amdhsa_kernarg_size 108
		.amdhsa_user_sgpr_count 6
		.amdhsa_user_sgpr_private_segment_buffer 1
		.amdhsa_user_sgpr_dispatch_ptr 0
		.amdhsa_user_sgpr_queue_ptr 0
		.amdhsa_user_sgpr_kernarg_segment_ptr 1
		.amdhsa_user_sgpr_dispatch_id 0
		.amdhsa_user_sgpr_flat_scratch_init 0
		.amdhsa_user_sgpr_private_segment_size 0
		.amdhsa_uses_dynamic_stack 0
		.amdhsa_system_sgpr_private_segment_wavefront_offset 0
		.amdhsa_system_sgpr_workgroup_id_x 1
		.amdhsa_system_sgpr_workgroup_id_y 1
		.amdhsa_system_sgpr_workgroup_id_z 1
		.amdhsa_system_sgpr_workgroup_info 0
		.amdhsa_system_vgpr_workitem_id 1
		.amdhsa_next_free_vgpr 41
		.amdhsa_next_free_sgpr 28
		.amdhsa_reserve_vcc 1
		.amdhsa_reserve_flat_scratch 0
		.amdhsa_float_round_mode_32 0
		.amdhsa_float_round_mode_16_64 0
		.amdhsa_float_denorm_mode_32 3
		.amdhsa_float_denorm_mode_16_64 3
		.amdhsa_dx10_clamp 1
		.amdhsa_ieee_mode 1
		.amdhsa_fp16_overflow 0
		.amdhsa_exception_fp_ieee_invalid_op 0
		.amdhsa_exception_fp_denorm_src 0
		.amdhsa_exception_fp_ieee_div_zero 0
		.amdhsa_exception_fp_ieee_overflow 0
		.amdhsa_exception_fp_ieee_underflow 0
		.amdhsa_exception_fp_ieee_inexact 0
		.amdhsa_exception_int_div_zero 0
	.end_amdhsa_kernel
	.section	.text._ZL37rocblas_syrkx_herkx_restricted_kernelIl19rocblas_complex_numIfELi16ELi32ELi8ELb0ELb0ELc67ELc76EKPKS1_KPS1_EviT_T0_PT8_S7_lSA_S7_lS8_PT9_S7_li,"axG",@progbits,_ZL37rocblas_syrkx_herkx_restricted_kernelIl19rocblas_complex_numIfELi16ELi32ELi8ELb0ELb0ELc67ELc76EKPKS1_KPS1_EviT_T0_PT8_S7_lSA_S7_lS8_PT9_S7_li,comdat
.Lfunc_end1573:
	.size	_ZL37rocblas_syrkx_herkx_restricted_kernelIl19rocblas_complex_numIfELi16ELi32ELi8ELb0ELb0ELc67ELc76EKPKS1_KPS1_EviT_T0_PT8_S7_lSA_S7_lS8_PT9_S7_li, .Lfunc_end1573-_ZL37rocblas_syrkx_herkx_restricted_kernelIl19rocblas_complex_numIfELi16ELi32ELi8ELb0ELb0ELc67ELc76EKPKS1_KPS1_EviT_T0_PT8_S7_lSA_S7_lS8_PT9_S7_li
                                        ; -- End function
	.set _ZL37rocblas_syrkx_herkx_restricted_kernelIl19rocblas_complex_numIfELi16ELi32ELi8ELb0ELb0ELc67ELc76EKPKS1_KPS1_EviT_T0_PT8_S7_lSA_S7_lS8_PT9_S7_li.num_vgpr, 41
	.set _ZL37rocblas_syrkx_herkx_restricted_kernelIl19rocblas_complex_numIfELi16ELi32ELi8ELb0ELb0ELc67ELc76EKPKS1_KPS1_EviT_T0_PT8_S7_lSA_S7_lS8_PT9_S7_li.num_agpr, 0
	.set _ZL37rocblas_syrkx_herkx_restricted_kernelIl19rocblas_complex_numIfELi16ELi32ELi8ELb0ELb0ELc67ELc76EKPKS1_KPS1_EviT_T0_PT8_S7_lSA_S7_lS8_PT9_S7_li.numbered_sgpr, 28
	.set _ZL37rocblas_syrkx_herkx_restricted_kernelIl19rocblas_complex_numIfELi16ELi32ELi8ELb0ELb0ELc67ELc76EKPKS1_KPS1_EviT_T0_PT8_S7_lSA_S7_lS8_PT9_S7_li.num_named_barrier, 0
	.set _ZL37rocblas_syrkx_herkx_restricted_kernelIl19rocblas_complex_numIfELi16ELi32ELi8ELb0ELb0ELc67ELc76EKPKS1_KPS1_EviT_T0_PT8_S7_lSA_S7_lS8_PT9_S7_li.private_seg_size, 0
	.set _ZL37rocblas_syrkx_herkx_restricted_kernelIl19rocblas_complex_numIfELi16ELi32ELi8ELb0ELb0ELc67ELc76EKPKS1_KPS1_EviT_T0_PT8_S7_lSA_S7_lS8_PT9_S7_li.uses_vcc, 1
	.set _ZL37rocblas_syrkx_herkx_restricted_kernelIl19rocblas_complex_numIfELi16ELi32ELi8ELb0ELb0ELc67ELc76EKPKS1_KPS1_EviT_T0_PT8_S7_lSA_S7_lS8_PT9_S7_li.uses_flat_scratch, 0
	.set _ZL37rocblas_syrkx_herkx_restricted_kernelIl19rocblas_complex_numIfELi16ELi32ELi8ELb0ELb0ELc67ELc76EKPKS1_KPS1_EviT_T0_PT8_S7_lSA_S7_lS8_PT9_S7_li.has_dyn_sized_stack, 0
	.set _ZL37rocblas_syrkx_herkx_restricted_kernelIl19rocblas_complex_numIfELi16ELi32ELi8ELb0ELb0ELc67ELc76EKPKS1_KPS1_EviT_T0_PT8_S7_lSA_S7_lS8_PT9_S7_li.has_recursion, 0
	.set _ZL37rocblas_syrkx_herkx_restricted_kernelIl19rocblas_complex_numIfELi16ELi32ELi8ELb0ELb0ELc67ELc76EKPKS1_KPS1_EviT_T0_PT8_S7_lSA_S7_lS8_PT9_S7_li.has_indirect_call, 0
	.section	.AMDGPU.csdata,"",@progbits
; Kernel info:
; codeLenInByte = 2180
; TotalNumSgprs: 32
; NumVgprs: 41
; ScratchSize: 0
; MemoryBound: 0
; FloatMode: 240
; IeeeMode: 1
; LDSByteSize: 4096 bytes/workgroup (compile time only)
; SGPRBlocks: 3
; VGPRBlocks: 10
; NumSGPRsForWavesPerEU: 32
; NumVGPRsForWavesPerEU: 41
; Occupancy: 5
; WaveLimiterHint : 1
; COMPUTE_PGM_RSRC2:SCRATCH_EN: 0
; COMPUTE_PGM_RSRC2:USER_SGPR: 6
; COMPUTE_PGM_RSRC2:TRAP_HANDLER: 0
; COMPUTE_PGM_RSRC2:TGID_X_EN: 1
; COMPUTE_PGM_RSRC2:TGID_Y_EN: 1
; COMPUTE_PGM_RSRC2:TGID_Z_EN: 1
; COMPUTE_PGM_RSRC2:TIDIG_COMP_CNT: 1
	.section	.text._ZL37rocblas_syrkx_herkx_restricted_kernelIl19rocblas_complex_numIfELi16ELi32ELi8ELb0ELb0ELc78ELc76EKPKS1_KPS1_EviT_T0_PT8_S7_lSA_S7_lS8_PT9_S7_li,"axG",@progbits,_ZL37rocblas_syrkx_herkx_restricted_kernelIl19rocblas_complex_numIfELi16ELi32ELi8ELb0ELb0ELc78ELc76EKPKS1_KPS1_EviT_T0_PT8_S7_lSA_S7_lS8_PT9_S7_li,comdat
	.globl	_ZL37rocblas_syrkx_herkx_restricted_kernelIl19rocblas_complex_numIfELi16ELi32ELi8ELb0ELb0ELc78ELc76EKPKS1_KPS1_EviT_T0_PT8_S7_lSA_S7_lS8_PT9_S7_li ; -- Begin function _ZL37rocblas_syrkx_herkx_restricted_kernelIl19rocblas_complex_numIfELi16ELi32ELi8ELb0ELb0ELc78ELc76EKPKS1_KPS1_EviT_T0_PT8_S7_lSA_S7_lS8_PT9_S7_li
	.p2align	8
	.type	_ZL37rocblas_syrkx_herkx_restricted_kernelIl19rocblas_complex_numIfELi16ELi32ELi8ELb0ELb0ELc78ELc76EKPKS1_KPS1_EviT_T0_PT8_S7_lSA_S7_lS8_PT9_S7_li,@function
_ZL37rocblas_syrkx_herkx_restricted_kernelIl19rocblas_complex_numIfELi16ELi32ELi8ELb0ELb0ELc78ELc76EKPKS1_KPS1_EviT_T0_PT8_S7_lSA_S7_lS8_PT9_S7_li: ; @_ZL37rocblas_syrkx_herkx_restricted_kernelIl19rocblas_complex_numIfELi16ELi32ELi8ELb0ELb0ELc78ELc76EKPKS1_KPS1_EviT_T0_PT8_S7_lSA_S7_lS8_PT9_S7_li
; %bb.0:
	s_load_dwordx4 s[20:23], s[4:5], 0x48
	s_load_dwordx2 s[10:11], s[4:5], 0x58
	s_load_dwordx8 s[12:19], s[4:5], 0x8
	s_mov_b32 s9, 0
	s_lshl_b64 s[24:25], s[8:9], 3
	s_waitcnt lgkmcnt(0)
	s_add_u32 s0, s22, s24
	s_addc_u32 s1, s23, s25
	s_load_dwordx2 s[8:9], s[0:1], 0x0
	v_cmp_lt_i64_e64 s[0:1], s[12:13], 1
	s_lshl_b32 s22, s6, 5
	s_lshl_b32 s23, s7, 5
	s_and_b64 vcc, exec, s[0:1]
	s_cbranch_vccnz .LBB1574_3
; %bb.1:
	s_load_dwordx4 s[0:3], s[4:5], 0x30
	v_lshl_add_u32 v5, v1, 4, v0
	v_lshrrev_b32_e32 v6, 3, v5
	v_add_u32_e32 v2, s23, v6
	s_add_u32 s6, s16, s24
	v_and_b32_e32 v7, 7, v0
	v_ashrrev_i32_e32 v3, 31, v2
	s_addc_u32 s7, s17, s25
	s_waitcnt lgkmcnt(0)
	v_mad_u64_u32 v[2:3], s[16:17], s2, v7, v[2:3]
	s_add_u32 s0, s0, s24
	v_lshrrev_b32_e32 v8, 5, v5
	v_mad_u64_u32 v[3:4], s[16:17], s3, v7, v[3:4]
	v_and_b32_e32 v4, 31, v5
	v_lshlrev_b32_e32 v5, 3, v4
	v_add_u32_e32 v4, s22, v4
	s_addc_u32 s1, s1, s25
	v_lshl_or_b32 v10, v8, 8, v5
	v_ashrrev_i32_e32 v5, 31, v4
	s_load_dwordx2 s[16:17], s[0:1], 0x0
	v_mad_u64_u32 v[4:5], s[0:1], s18, v8, v[4:5]
	v_lshlrev_b32_e32 v7, 3, v7
	v_lshl_or_b32 v6, v6, 6, v7
	v_add_u32_e32 v11, 0x800, v6
	v_mad_u64_u32 v[5:6], s[0:1], s19, v8, v[5:6]
	s_load_dwordx2 s[6:7], s[6:7], 0x0
	v_mov_b32_e32 v6, 0x800
	v_lshlrev_b64 v[4:5], 3, v[4:5]
	v_lshl_add_u32 v13, v1, 6, v6
	v_lshlrev_b64 v[2:3], 3, v[2:3]
	s_waitcnt lgkmcnt(0)
	v_mov_b32_e32 v7, s7
	v_add_co_u32_e32 v6, vcc, s6, v4
	v_addc_co_u32_e32 v7, vcc, v7, v5, vcc
	s_lshl_b64 s[0:1], s[18:19], 6
	v_mov_b32_e32 v4, s17
	v_add_co_u32_e32 v8, vcc, s16, v2
	s_lshl_b64 s[2:3], s[2:3], 6
	v_lshlrev_b32_e32 v12, 3, v0
	v_addc_co_u32_e32 v9, vcc, v4, v3, vcc
	v_mov_b32_e32 v16, 0
	s_mov_b64 s[6:7], 0
	v_mov_b32_e32 v14, s1
	v_mov_b32_e32 v15, s3
	;; [unrolled: 1-line block ×9, first 2 shown]
.LBB1574_2:                             ; =>This Inner Loop Header: Depth=1
	flat_load_dwordx2 v[2:3], v[6:7]
	v_add_co_u32_e32 v6, vcc, s0, v6
	s_add_u32 s6, s6, 8
	v_addc_co_u32_e32 v7, vcc, v7, v14, vcc
	s_addc_u32 s7, s7, 0
	s_waitcnt vmcnt(0) lgkmcnt(0)
	ds_write_b64 v10, v[2:3]
	flat_load_dwordx2 v[2:3], v[8:9]
	v_add_co_u32_e32 v8, vcc, s2, v8
	v_addc_co_u32_e32 v9, vcc, v9, v15, vcc
	s_waitcnt vmcnt(0) lgkmcnt(0)
	ds_write_b64 v11, v[2:3]
	s_waitcnt lgkmcnt(0)
	s_barrier
	ds_read_b128 v[24:27], v13
	ds_read_b128 v[28:31], v13 offset:16
	ds_read_b128 v[32:35], v13 offset:32
	;; [unrolled: 1-line block ×3, first 2 shown]
	ds_read2_b64 v[36:39], v12 offset1:16
	s_waitcnt lgkmcnt(0)
	v_mul_f32_e32 v40, v25, v37
	v_mul_f32_e32 v41, v24, v37
	v_fma_f32 v40, v24, v36, -v40
	v_fmac_f32_e32 v41, v25, v36
	v_add_f32_e32 v40, v22, v40
	v_add_f32_e32 v41, v23, v41
	v_mul_f32_e32 v22, v25, v39
	v_mul_f32_e32 v23, v24, v39
	v_fma_f32 v22, v24, v38, -v22
	v_fmac_f32_e32 v23, v25, v38
	v_add_f32_e32 v24, v20, v22
	v_add_f32_e32 v25, v21, v23
	ds_read_b128 v[20:23], v13 offset:1024
	s_waitcnt lgkmcnt(0)
	v_mul_f32_e32 v42, v21, v37
	v_mul_f32_e32 v37, v20, v37
	v_fma_f32 v42, v20, v36, -v42
	v_fmac_f32_e32 v37, v21, v36
	v_add_f32_e32 v36, v18, v42
	v_add_f32_e32 v37, v19, v37
	v_mul_f32_e32 v18, v21, v39
	v_mul_f32_e32 v19, v20, v39
	v_fma_f32 v18, v20, v38, -v18
	v_fmac_f32_e32 v19, v21, v38
	v_add_f32_e32 v20, v17, v18
	v_add_f32_e32 v21, v16, v19
	ds_read2_b64 v[16:19], v12 offset0:32 offset1:48
	s_waitcnt lgkmcnt(0)
	v_mul_f32_e32 v38, v27, v17
	v_fma_f32 v38, v26, v16, -v38
	v_add_f32_e32 v38, v40, v38
	v_mul_f32_e32 v40, v27, v19
	v_mul_f32_e32 v39, v26, v17
	v_fma_f32 v40, v26, v18, -v40
	v_mul_f32_e32 v26, v26, v19
	v_fmac_f32_e32 v26, v27, v18
	v_add_f32_e32 v25, v25, v26
	v_mul_f32_e32 v26, v23, v17
	v_mul_f32_e32 v17, v22, v17
	v_fmac_f32_e32 v17, v23, v16
	v_fmac_f32_e32 v39, v27, v16
	v_fma_f32 v26, v22, v16, -v26
	v_add_f32_e32 v27, v37, v17
	v_mul_f32_e32 v16, v23, v19
	v_mul_f32_e32 v17, v22, v19
	v_fma_f32 v16, v22, v18, -v16
	v_fmac_f32_e32 v17, v23, v18
	v_add_f32_e32 v26, v36, v26
	v_add_f32_e32 v36, v20, v16
	v_add_f32_e32 v37, v21, v17
	ds_read2_b64 v[16:19], v12 offset0:64 offset1:80
	v_add_f32_e32 v39, v41, v39
	v_add_f32_e32 v24, v24, v40
	s_waitcnt lgkmcnt(0)
	v_mul_f32_e32 v20, v29, v17
	v_mul_f32_e32 v21, v28, v17
	v_fma_f32 v20, v28, v16, -v20
	v_fmac_f32_e32 v21, v29, v16
	v_add_f32_e32 v38, v38, v20
	v_add_f32_e32 v39, v39, v21
	v_mul_f32_e32 v20, v29, v19
	v_mul_f32_e32 v21, v28, v19
	v_fma_f32 v20, v28, v18, -v20
	v_fmac_f32_e32 v21, v29, v18
	v_add_f32_e32 v24, v24, v20
	v_add_f32_e32 v25, v25, v21
	ds_read_b128 v[20:23], v13 offset:1040
	s_waitcnt lgkmcnt(0)
	v_mul_f32_e32 v28, v21, v17
	v_mul_f32_e32 v17, v20, v17
	v_fmac_f32_e32 v17, v21, v16
	v_fma_f32 v28, v20, v16, -v28
	v_add_f32_e32 v27, v27, v17
	v_mul_f32_e32 v16, v21, v19
	v_mul_f32_e32 v17, v20, v19
	v_fma_f32 v16, v20, v18, -v16
	v_fmac_f32_e32 v17, v21, v18
	v_add_f32_e32 v20, v36, v16
	v_add_f32_e32 v21, v37, v17
	ds_read2_b64 v[16:19], v12 offset0:96 offset1:112
	v_add_f32_e32 v26, v26, v28
	s_waitcnt lgkmcnt(0)
	v_mul_f32_e32 v28, v31, v17
	v_mul_f32_e32 v36, v31, v19
	v_fma_f32 v28, v30, v16, -v28
	v_mul_f32_e32 v29, v30, v17
	v_fma_f32 v36, v30, v18, -v36
	v_mul_f32_e32 v30, v30, v19
	v_fmac_f32_e32 v30, v31, v18
	v_add_f32_e32 v25, v25, v30
	v_mul_f32_e32 v30, v23, v17
	v_mul_f32_e32 v17, v22, v17
	v_fmac_f32_e32 v17, v23, v16
	v_fmac_f32_e32 v29, v31, v16
	v_fma_f32 v30, v22, v16, -v30
	v_add_f32_e32 v27, v27, v17
	v_mul_f32_e32 v16, v23, v19
	v_mul_f32_e32 v17, v22, v19
	v_fma_f32 v16, v22, v18, -v16
	v_fmac_f32_e32 v17, v23, v18
	v_add_f32_e32 v26, v26, v30
	v_add_f32_e32 v30, v20, v16
	v_add_f32_e32 v31, v21, v17
	ds_read2_b64 v[16:19], v12 offset0:128 offset1:144
	v_add_f32_e32 v28, v38, v28
	v_add_f32_e32 v29, v39, v29
	;; [unrolled: 1-line block ×3, first 2 shown]
	s_waitcnt lgkmcnt(0)
	v_mul_f32_e32 v20, v33, v17
	v_mul_f32_e32 v21, v32, v17
	v_fma_f32 v20, v32, v16, -v20
	v_fmac_f32_e32 v21, v33, v16
	v_add_f32_e32 v28, v28, v20
	v_add_f32_e32 v29, v29, v21
	v_mul_f32_e32 v20, v33, v19
	v_mul_f32_e32 v21, v32, v19
	v_fma_f32 v20, v32, v18, -v20
	v_fmac_f32_e32 v21, v33, v18
	v_add_f32_e32 v24, v24, v20
	v_add_f32_e32 v25, v25, v21
	ds_read_b128 v[20:23], v13 offset:1056
	s_waitcnt lgkmcnt(0)
	v_mul_f32_e32 v32, v21, v17
	v_mul_f32_e32 v17, v20, v17
	v_fmac_f32_e32 v17, v21, v16
	v_fma_f32 v32, v20, v16, -v32
	v_add_f32_e32 v27, v27, v17
	v_mul_f32_e32 v16, v21, v19
	v_mul_f32_e32 v17, v20, v19
	v_fma_f32 v16, v20, v18, -v16
	v_fmac_f32_e32 v17, v21, v18
	v_add_f32_e32 v20, v30, v16
	v_add_f32_e32 v21, v31, v17
	ds_read2_b64 v[16:19], v12 offset0:160 offset1:176
	v_add_f32_e32 v26, v26, v32
	s_waitcnt lgkmcnt(0)
	v_mul_f32_e32 v30, v35, v17
	v_fma_f32 v30, v34, v16, -v30
	v_add_f32_e32 v28, v28, v30
	v_mul_f32_e32 v30, v35, v19
	v_fma_f32 v30, v34, v18, -v30
	v_mul_f32_e32 v31, v34, v17
	v_add_f32_e32 v24, v24, v30
	v_mul_f32_e32 v30, v23, v17
	v_mul_f32_e32 v17, v22, v17
	v_fmac_f32_e32 v17, v23, v16
	v_fmac_f32_e32 v31, v35, v16
	v_fma_f32 v30, v22, v16, -v30
	v_add_f32_e32 v27, v27, v17
	v_mul_f32_e32 v16, v23, v19
	v_mul_f32_e32 v17, v22, v19
	v_add_f32_e32 v29, v29, v31
	v_mul_f32_e32 v31, v34, v19
	v_fma_f32 v16, v22, v18, -v16
	v_fmac_f32_e32 v17, v23, v18
	v_fmac_f32_e32 v31, v35, v18
	v_add_f32_e32 v20, v20, v16
	v_add_f32_e32 v21, v21, v17
	ds_read2_b64 v[16:19], v12 offset0:192 offset1:208
	v_add_f32_e32 v26, v26, v30
	v_add_f32_e32 v25, v25, v31
	s_waitcnt lgkmcnt(0)
	v_mul_f32_e32 v22, v3, v17
	v_fma_f32 v22, v2, v16, -v22
	v_add_f32_e32 v30, v28, v22
	v_mul_f32_e32 v22, v3, v19
	v_mul_f32_e32 v23, v2, v17
	v_fma_f32 v22, v2, v18, -v22
	v_mul_f32_e32 v2, v2, v19
	v_fmac_f32_e32 v23, v3, v16
	v_fmac_f32_e32 v2, v3, v18
	v_add_f32_e32 v31, v29, v23
	v_add_f32_e32 v3, v24, v22
	;; [unrolled: 1-line block ×3, first 2 shown]
	ds_read_b128 v[22:25], v13 offset:1072
	s_waitcnt lgkmcnt(0)
	v_mul_f32_e32 v28, v23, v17
	v_fma_f32 v28, v22, v16, -v28
	v_mul_f32_e32 v17, v22, v17
	v_fmac_f32_e32 v17, v23, v16
	v_add_f32_e32 v16, v26, v28
	v_mul_f32_e32 v26, v23, v19
	v_fma_f32 v26, v22, v18, -v26
	v_add_f32_e32 v17, v27, v17
	v_add_f32_e32 v32, v20, v26
	ds_read2_b64 v[26:29], v12 offset0:224 offset1:240
	v_mul_f32_e32 v19, v22, v19
	v_fmac_f32_e32 v19, v23, v18
	v_add_f32_e32 v33, v21, v19
	s_waitcnt lgkmcnt(0)
	v_mul_f32_e32 v18, v5, v27
	v_fma_f32 v18, v4, v26, -v18
	v_add_f32_e32 v22, v30, v18
	v_mul_f32_e32 v18, v5, v29
	v_mul_f32_e32 v19, v4, v27
	v_fma_f32 v18, v4, v28, -v18
	v_mul_f32_e32 v4, v4, v29
	v_fmac_f32_e32 v4, v5, v28
	v_add_f32_e32 v20, v3, v18
	v_add_f32_e32 v21, v2, v4
	v_mul_f32_e32 v2, v25, v27
	v_mul_f32_e32 v3, v24, v27
	v_fmac_f32_e32 v19, v5, v26
	v_fma_f32 v2, v24, v26, -v2
	v_fmac_f32_e32 v3, v25, v26
	v_add_f32_e32 v23, v31, v19
	v_add_f32_e32 v18, v16, v2
	;; [unrolled: 1-line block ×3, first 2 shown]
	v_mul_f32_e32 v2, v25, v29
	v_mul_f32_e32 v3, v24, v29
	v_fma_f32 v2, v24, v28, -v2
	v_fmac_f32_e32 v3, v25, v28
	v_add_f32_e32 v17, v32, v2
	v_add_f32_e32 v16, v33, v3
	v_mov_b32_e32 v2, s6
	v_mov_b32_e32 v3, s7
	v_cmp_le_u64_e32 vcc, s[12:13], v[2:3]
	s_barrier
	s_cbranch_vccz .LBB1574_2
	s_branch .LBB1574_4
.LBB1574_3:
	v_mov_b32_e32 v22, 0
	v_mov_b32_e32 v23, 0
	;; [unrolled: 1-line block ×8, first 2 shown]
.LBB1574_4:
	v_add_u32_e32 v4, s23, v1
	v_ashrrev_i32_e32 v1, 31, v4
	v_mul_lo_u32 v3, s10, v1
	v_mul_lo_u32 v5, s11, v4
	v_mad_u64_u32 v[1:2], s[0:1], s10, v4, 0
	s_load_dword s4, s[4:5], 0x0
	v_add_u32_e32 v0, s22, v0
	v_add3_u32 v2, v2, v3, v5
	v_lshlrev_b64 v[1:2], 3, v[1:2]
	s_waitcnt lgkmcnt(0)
	v_mov_b32_e32 v3, s9
	v_add_co_u32_e32 v5, vcc, s8, v1
	v_addc_co_u32_e32 v6, vcc, v3, v2, vcc
	v_cmp_le_i32_e64 s[0:1], v4, v0
	v_cmp_gt_i32_e32 vcc, s4, v0
	s_and_b64 s[0:1], s[0:1], vcc
	s_and_saveexec_b64 s[2:3], s[0:1]
	s_cbranch_execz .LBB1574_6
; %bb.5:
	v_ashrrev_i32_e32 v1, 31, v0
	v_lshlrev_b64 v[1:2], 3, v[0:1]
	v_mul_f32_e32 v3, s15, v23
	v_add_co_u32_e64 v1, s[0:1], v5, v1
	v_addc_co_u32_e64 v2, s[0:1], v6, v2, s[0:1]
	flat_load_dwordx2 v[7:8], v[1:2]
	v_mul_f32_e32 v9, s14, v23
	v_fma_f32 v3, v22, s14, -v3
	v_fmac_f32_e32 v9, s15, v22
	s_waitcnt vmcnt(0) lgkmcnt(0)
	v_mul_f32_e32 v10, s21, v8
	v_mul_f32_e32 v8, s20, v8
	v_fma_f32 v10, v7, s20, -v10
	v_fmac_f32_e32 v8, s21, v7
	v_add_f32_e32 v7, v3, v10
	v_add_f32_e32 v8, v9, v8
	flat_store_dwordx2 v[1:2], v[7:8]
.LBB1574_6:
	s_or_b64 exec, exec, s[2:3]
	v_add_u32_e32 v2, 16, v0
	v_cmp_le_i32_e64 s[2:3], v4, v2
	v_cmp_gt_i32_e64 s[0:1], s4, v2
	s_and_b64 s[2:3], s[2:3], s[0:1]
	s_and_saveexec_b64 s[4:5], s[2:3]
	s_cbranch_execz .LBB1574_8
; %bb.7:
	v_ashrrev_i32_e32 v3, 31, v2
	v_lshlrev_b64 v[7:8], 3, v[2:3]
	v_mul_f32_e32 v1, s15, v21
	v_add_co_u32_e64 v5, s[2:3], v5, v7
	v_addc_co_u32_e64 v6, s[2:3], v6, v8, s[2:3]
	flat_load_dwordx2 v[7:8], v[5:6]
	v_mul_f32_e32 v3, s14, v21
	v_fma_f32 v1, v20, s14, -v1
	v_fmac_f32_e32 v3, s15, v20
	s_waitcnt vmcnt(0) lgkmcnt(0)
	v_mul_f32_e32 v9, s21, v8
	v_mul_f32_e32 v8, s20, v8
	v_fma_f32 v9, v7, s20, -v9
	v_fmac_f32_e32 v8, s21, v7
	v_add_f32_e32 v7, v1, v9
	v_add_f32_e32 v8, v3, v8
	flat_store_dwordx2 v[5:6], v[7:8]
.LBB1574_8:
	s_or_b64 exec, exec, s[4:5]
	v_add_u32_e32 v3, 16, v4
	v_ashrrev_i32_e32 v1, 31, v3
	v_mul_lo_u32 v6, s11, v3
	v_mad_u64_u32 v[4:5], s[2:3], s10, v3, 0
	v_mul_lo_u32 v1, s10, v1
	v_add3_u32 v5, v5, v1, v6
	v_lshlrev_b64 v[4:5], 3, v[4:5]
	v_mov_b32_e32 v1, s9
	v_add_co_u32_e64 v4, s[2:3], s8, v4
	v_addc_co_u32_e64 v5, s[2:3], v1, v5, s[2:3]
	v_cmp_le_i32_e64 s[2:3], v3, v0
	s_and_b64 s[4:5], s[2:3], vcc
	s_and_saveexec_b64 s[2:3], s[4:5]
	s_cbranch_execz .LBB1574_10
; %bb.9:
	v_ashrrev_i32_e32 v1, 31, v0
	v_lshlrev_b64 v[0:1], 3, v[0:1]
	v_mul_f32_e32 v8, s15, v19
	v_add_co_u32_e32 v0, vcc, v4, v0
	v_addc_co_u32_e32 v1, vcc, v5, v1, vcc
	flat_load_dwordx2 v[6:7], v[0:1]
	v_mul_f32_e32 v9, s14, v19
	v_fma_f32 v8, v18, s14, -v8
	v_fmac_f32_e32 v9, s15, v18
	s_waitcnt vmcnt(0) lgkmcnt(0)
	v_mul_f32_e32 v10, s21, v7
	v_mul_f32_e32 v7, s20, v7
	v_fma_f32 v10, v6, s20, -v10
	v_fmac_f32_e32 v7, s21, v6
	v_add_f32_e32 v6, v8, v10
	v_add_f32_e32 v7, v9, v7
	flat_store_dwordx2 v[0:1], v[6:7]
.LBB1574_10:
	s_or_b64 exec, exec, s[2:3]
	v_cmp_le_i32_e32 vcc, v3, v2
	s_and_b64 s[0:1], vcc, s[0:1]
	s_and_saveexec_b64 s[2:3], s[0:1]
	s_cbranch_execz .LBB1574_12
; %bb.11:
	v_ashrrev_i32_e32 v3, 31, v2
	v_lshlrev_b64 v[0:1], 3, v[2:3]
	v_add_co_u32_e32 v0, vcc, v4, v0
	v_addc_co_u32_e32 v1, vcc, v5, v1, vcc
	flat_load_dwordx2 v[2:3], v[0:1]
	v_mul_f32_e32 v4, s15, v16
	v_mul_f32_e32 v5, s14, v16
	v_fma_f32 v4, v17, s14, -v4
	v_fmac_f32_e32 v5, s15, v17
	s_waitcnt vmcnt(0) lgkmcnt(0)
	v_mul_f32_e32 v6, s21, v3
	v_mul_f32_e32 v3, s20, v3
	v_fma_f32 v6, v2, s20, -v6
	v_fmac_f32_e32 v3, s21, v2
	v_add_f32_e32 v2, v4, v6
	v_add_f32_e32 v3, v5, v3
	flat_store_dwordx2 v[0:1], v[2:3]
.LBB1574_12:
	s_endpgm
	.section	.rodata,"a",@progbits
	.p2align	6, 0x0
	.amdhsa_kernel _ZL37rocblas_syrkx_herkx_restricted_kernelIl19rocblas_complex_numIfELi16ELi32ELi8ELb0ELb0ELc78ELc76EKPKS1_KPS1_EviT_T0_PT8_S7_lSA_S7_lS8_PT9_S7_li
		.amdhsa_group_segment_fixed_size 4096
		.amdhsa_private_segment_fixed_size 0
		.amdhsa_kernarg_size 108
		.amdhsa_user_sgpr_count 6
		.amdhsa_user_sgpr_private_segment_buffer 1
		.amdhsa_user_sgpr_dispatch_ptr 0
		.amdhsa_user_sgpr_queue_ptr 0
		.amdhsa_user_sgpr_kernarg_segment_ptr 1
		.amdhsa_user_sgpr_dispatch_id 0
		.amdhsa_user_sgpr_flat_scratch_init 0
		.amdhsa_user_sgpr_private_segment_size 0
		.amdhsa_uses_dynamic_stack 0
		.amdhsa_system_sgpr_private_segment_wavefront_offset 0
		.amdhsa_system_sgpr_workgroup_id_x 1
		.amdhsa_system_sgpr_workgroup_id_y 1
		.amdhsa_system_sgpr_workgroup_id_z 1
		.amdhsa_system_sgpr_workgroup_info 0
		.amdhsa_system_vgpr_workitem_id 1
		.amdhsa_next_free_vgpr 43
		.amdhsa_next_free_sgpr 26
		.amdhsa_reserve_vcc 1
		.amdhsa_reserve_flat_scratch 0
		.amdhsa_float_round_mode_32 0
		.amdhsa_float_round_mode_16_64 0
		.amdhsa_float_denorm_mode_32 3
		.amdhsa_float_denorm_mode_16_64 3
		.amdhsa_dx10_clamp 1
		.amdhsa_ieee_mode 1
		.amdhsa_fp16_overflow 0
		.amdhsa_exception_fp_ieee_invalid_op 0
		.amdhsa_exception_fp_denorm_src 0
		.amdhsa_exception_fp_ieee_div_zero 0
		.amdhsa_exception_fp_ieee_overflow 0
		.amdhsa_exception_fp_ieee_underflow 0
		.amdhsa_exception_fp_ieee_inexact 0
		.amdhsa_exception_int_div_zero 0
	.end_amdhsa_kernel
	.section	.text._ZL37rocblas_syrkx_herkx_restricted_kernelIl19rocblas_complex_numIfELi16ELi32ELi8ELb0ELb0ELc78ELc76EKPKS1_KPS1_EviT_T0_PT8_S7_lSA_S7_lS8_PT9_S7_li,"axG",@progbits,_ZL37rocblas_syrkx_herkx_restricted_kernelIl19rocblas_complex_numIfELi16ELi32ELi8ELb0ELb0ELc78ELc76EKPKS1_KPS1_EviT_T0_PT8_S7_lSA_S7_lS8_PT9_S7_li,comdat
.Lfunc_end1574:
	.size	_ZL37rocblas_syrkx_herkx_restricted_kernelIl19rocblas_complex_numIfELi16ELi32ELi8ELb0ELb0ELc78ELc76EKPKS1_KPS1_EviT_T0_PT8_S7_lSA_S7_lS8_PT9_S7_li, .Lfunc_end1574-_ZL37rocblas_syrkx_herkx_restricted_kernelIl19rocblas_complex_numIfELi16ELi32ELi8ELb0ELb0ELc78ELc76EKPKS1_KPS1_EviT_T0_PT8_S7_lSA_S7_lS8_PT9_S7_li
                                        ; -- End function
	.set _ZL37rocblas_syrkx_herkx_restricted_kernelIl19rocblas_complex_numIfELi16ELi32ELi8ELb0ELb0ELc78ELc76EKPKS1_KPS1_EviT_T0_PT8_S7_lSA_S7_lS8_PT9_S7_li.num_vgpr, 43
	.set _ZL37rocblas_syrkx_herkx_restricted_kernelIl19rocblas_complex_numIfELi16ELi32ELi8ELb0ELb0ELc78ELc76EKPKS1_KPS1_EviT_T0_PT8_S7_lSA_S7_lS8_PT9_S7_li.num_agpr, 0
	.set _ZL37rocblas_syrkx_herkx_restricted_kernelIl19rocblas_complex_numIfELi16ELi32ELi8ELb0ELb0ELc78ELc76EKPKS1_KPS1_EviT_T0_PT8_S7_lSA_S7_lS8_PT9_S7_li.numbered_sgpr, 26
	.set _ZL37rocblas_syrkx_herkx_restricted_kernelIl19rocblas_complex_numIfELi16ELi32ELi8ELb0ELb0ELc78ELc76EKPKS1_KPS1_EviT_T0_PT8_S7_lSA_S7_lS8_PT9_S7_li.num_named_barrier, 0
	.set _ZL37rocblas_syrkx_herkx_restricted_kernelIl19rocblas_complex_numIfELi16ELi32ELi8ELb0ELb0ELc78ELc76EKPKS1_KPS1_EviT_T0_PT8_S7_lSA_S7_lS8_PT9_S7_li.private_seg_size, 0
	.set _ZL37rocblas_syrkx_herkx_restricted_kernelIl19rocblas_complex_numIfELi16ELi32ELi8ELb0ELb0ELc78ELc76EKPKS1_KPS1_EviT_T0_PT8_S7_lSA_S7_lS8_PT9_S7_li.uses_vcc, 1
	.set _ZL37rocblas_syrkx_herkx_restricted_kernelIl19rocblas_complex_numIfELi16ELi32ELi8ELb0ELb0ELc78ELc76EKPKS1_KPS1_EviT_T0_PT8_S7_lSA_S7_lS8_PT9_S7_li.uses_flat_scratch, 0
	.set _ZL37rocblas_syrkx_herkx_restricted_kernelIl19rocblas_complex_numIfELi16ELi32ELi8ELb0ELb0ELc78ELc76EKPKS1_KPS1_EviT_T0_PT8_S7_lSA_S7_lS8_PT9_S7_li.has_dyn_sized_stack, 0
	.set _ZL37rocblas_syrkx_herkx_restricted_kernelIl19rocblas_complex_numIfELi16ELi32ELi8ELb0ELb0ELc78ELc76EKPKS1_KPS1_EviT_T0_PT8_S7_lSA_S7_lS8_PT9_S7_li.has_recursion, 0
	.set _ZL37rocblas_syrkx_herkx_restricted_kernelIl19rocblas_complex_numIfELi16ELi32ELi8ELb0ELb0ELc78ELc76EKPKS1_KPS1_EviT_T0_PT8_S7_lSA_S7_lS8_PT9_S7_li.has_indirect_call, 0
	.section	.AMDGPU.csdata,"",@progbits
; Kernel info:
; codeLenInByte = 2160
; TotalNumSgprs: 30
; NumVgprs: 43
; ScratchSize: 0
; MemoryBound: 0
; FloatMode: 240
; IeeeMode: 1
; LDSByteSize: 4096 bytes/workgroup (compile time only)
; SGPRBlocks: 3
; VGPRBlocks: 10
; NumSGPRsForWavesPerEU: 30
; NumVGPRsForWavesPerEU: 43
; Occupancy: 5
; WaveLimiterHint : 1
; COMPUTE_PGM_RSRC2:SCRATCH_EN: 0
; COMPUTE_PGM_RSRC2:USER_SGPR: 6
; COMPUTE_PGM_RSRC2:TRAP_HANDLER: 0
; COMPUTE_PGM_RSRC2:TGID_X_EN: 1
; COMPUTE_PGM_RSRC2:TGID_Y_EN: 1
; COMPUTE_PGM_RSRC2:TGID_Z_EN: 1
; COMPUTE_PGM_RSRC2:TIDIG_COMP_CNT: 1
	.section	.text._ZL37rocblas_syrkx_herkx_restricted_kernelIl19rocblas_complex_numIfELi16ELi32ELi8ELb0ELb0ELc84ELc85EKPKS1_KPS1_EviT_T0_PT8_S7_lSA_S7_lS8_PT9_S7_li,"axG",@progbits,_ZL37rocblas_syrkx_herkx_restricted_kernelIl19rocblas_complex_numIfELi16ELi32ELi8ELb0ELb0ELc84ELc85EKPKS1_KPS1_EviT_T0_PT8_S7_lSA_S7_lS8_PT9_S7_li,comdat
	.globl	_ZL37rocblas_syrkx_herkx_restricted_kernelIl19rocblas_complex_numIfELi16ELi32ELi8ELb0ELb0ELc84ELc85EKPKS1_KPS1_EviT_T0_PT8_S7_lSA_S7_lS8_PT9_S7_li ; -- Begin function _ZL37rocblas_syrkx_herkx_restricted_kernelIl19rocblas_complex_numIfELi16ELi32ELi8ELb0ELb0ELc84ELc85EKPKS1_KPS1_EviT_T0_PT8_S7_lSA_S7_lS8_PT9_S7_li
	.p2align	8
	.type	_ZL37rocblas_syrkx_herkx_restricted_kernelIl19rocblas_complex_numIfELi16ELi32ELi8ELb0ELb0ELc84ELc85EKPKS1_KPS1_EviT_T0_PT8_S7_lSA_S7_lS8_PT9_S7_li,@function
_ZL37rocblas_syrkx_herkx_restricted_kernelIl19rocblas_complex_numIfELi16ELi32ELi8ELb0ELb0ELc84ELc85EKPKS1_KPS1_EviT_T0_PT8_S7_lSA_S7_lS8_PT9_S7_li: ; @_ZL37rocblas_syrkx_herkx_restricted_kernelIl19rocblas_complex_numIfELi16ELi32ELi8ELb0ELb0ELc84ELc85EKPKS1_KPS1_EviT_T0_PT8_S7_lSA_S7_lS8_PT9_S7_li
; %bb.0:
	s_load_dwordx4 s[20:23], s[4:5], 0x48
	s_load_dwordx2 s[2:3], s[4:5], 0x58
	s_load_dwordx8 s[12:19], s[4:5], 0x8
	s_mov_b32 s9, 0
	s_lshl_b64 s[0:1], s[8:9], 3
	s_waitcnt lgkmcnt(0)
	s_add_u32 s8, s22, s0
	s_addc_u32 s9, s23, s1
	s_load_dwordx2 s[8:9], s[8:9], 0x0
	v_cmp_lt_i64_e64 s[10:11], s[12:13], 1
	s_lshl_b32 s6, s6, 5
	s_lshl_b32 s7, s7, 5
	s_and_b64 vcc, exec, s[10:11]
	s_cbranch_vccnz .LBB1575_3
; %bb.1:
	s_load_dwordx4 s[24:27], s[4:5], 0x30
	v_lshl_add_u32 v5, v1, 4, v0
	v_lshrrev_b32_e32 v6, 3, v5
	v_add_u32_e32 v2, s7, v6
	s_add_u32 s10, s16, s0
	v_and_b32_e32 v9, 7, v0
	v_ashrrev_i32_e32 v3, 31, v2
	v_mov_b32_e32 v10, 0
	s_addc_u32 s11, s17, s1
	s_waitcnt lgkmcnt(0)
	v_mul_lo_u32 v7, s26, v3
	v_mul_lo_u32 v8, s27, v2
	v_mad_u64_u32 v[2:3], s[16:17], s26, v2, v[9:10]
	v_and_b32_e32 v13, 31, v5
	v_lshrrev_b32_e32 v4, 5, v5
	v_add3_u32 v3, v8, v3, v7
	v_lshlrev_b32_e32 v7, 3, v13
	v_lshl_or_b32 v11, v4, 8, v7
	v_lshlrev_b32_e32 v7, 3, v9
	v_lshl_or_b32 v6, v6, 6, v7
	v_add_u32_e32 v12, 0x800, v6
	v_add_u32_e32 v6, s6, v13
	v_mov_b32_e32 v5, v10
	v_ashrrev_i32_e32 v7, 31, v6
	v_mul_lo_u32 v7, s18, v7
	v_mad_u64_u32 v[4:5], s[16:17], s18, v6, v[4:5]
	v_mul_lo_u32 v6, s19, v6
	s_load_dwordx2 s[10:11], s[10:11], 0x0
	s_add_u32 s0, s24, s0
	s_addc_u32 s1, s25, s1
	s_load_dwordx2 s[0:1], s[0:1], 0x0
	v_add3_u32 v5, v6, v5, v7
	v_lshlrev_b64 v[4:5], 3, v[4:5]
	s_waitcnt lgkmcnt(0)
	v_mov_b32_e32 v7, s11
	v_add_co_u32_e32 v6, vcc, s10, v4
	v_lshlrev_b64 v[2:3], 3, v[2:3]
	v_mov_b32_e32 v8, 0x800
	v_addc_co_u32_e32 v7, vcc, v7, v5, vcc
	v_lshl_add_u32 v14, v1, 6, v8
	v_mov_b32_e32 v4, s1
	v_add_co_u32_e32 v8, vcc, s0, v2
	v_lshlrev_b32_e32 v13, 3, v0
	v_addc_co_u32_e32 v9, vcc, v4, v3, vcc
	s_mov_b64 s[0:1], 0
	v_mov_b32_e32 v15, v10
	v_mov_b32_e32 v17, v10
	v_mov_b32_e32 v16, v10
	v_mov_b32_e32 v19, v10
	v_mov_b32_e32 v18, v10
	v_mov_b32_e32 v21, v10
	v_mov_b32_e32 v20, v10
.LBB1575_2:                             ; =>This Inner Loop Header: Depth=1
	flat_load_dwordx2 v[2:3], v[6:7]
	s_add_u32 s0, s0, 8
	v_add_co_u32_e32 v6, vcc, 64, v6
	s_addc_u32 s1, s1, 0
	v_addc_co_u32_e32 v7, vcc, 0, v7, vcc
	s_waitcnt vmcnt(0) lgkmcnt(0)
	ds_write_b64 v11, v[2:3]
	flat_load_dwordx2 v[2:3], v[8:9]
	v_add_co_u32_e32 v8, vcc, 64, v8
	v_addc_co_u32_e32 v9, vcc, 0, v9, vcc
	s_waitcnt vmcnt(0) lgkmcnt(0)
	ds_write_b64 v12, v[2:3]
	s_waitcnt lgkmcnt(0)
	s_barrier
	ds_read_b128 v[22:25], v14
	ds_read_b128 v[26:29], v14 offset:16
	ds_read_b128 v[30:33], v14 offset:32
	;; [unrolled: 1-line block ×3, first 2 shown]
	ds_read2_b64 v[34:37], v13 offset1:16
	s_waitcnt lgkmcnt(0)
	v_mul_f32_e32 v38, v23, v35
	v_mul_f32_e32 v39, v22, v35
	v_fma_f32 v38, v22, v34, -v38
	v_fmac_f32_e32 v39, v23, v34
	v_add_f32_e32 v38, v20, v38
	v_add_f32_e32 v39, v21, v39
	v_mul_f32_e32 v20, v23, v37
	v_mul_f32_e32 v21, v22, v37
	v_fma_f32 v20, v22, v36, -v20
	v_fmac_f32_e32 v21, v23, v36
	v_add_f32_e32 v22, v18, v20
	v_add_f32_e32 v23, v19, v21
	ds_read_b128 v[18:21], v14 offset:1024
	s_waitcnt lgkmcnt(0)
	v_mul_f32_e32 v40, v19, v35
	v_mul_f32_e32 v35, v18, v35
	v_fma_f32 v40, v18, v34, -v40
	v_fmac_f32_e32 v35, v19, v34
	v_add_f32_e32 v34, v16, v40
	v_add_f32_e32 v35, v17, v35
	v_mul_f32_e32 v16, v19, v37
	v_mul_f32_e32 v17, v18, v37
	v_fma_f32 v16, v18, v36, -v16
	v_fmac_f32_e32 v17, v19, v36
	v_add_f32_e32 v19, v15, v16
	v_add_f32_e32 v10, v10, v17
	ds_read2_b64 v[15:18], v13 offset0:32 offset1:48
	s_waitcnt lgkmcnt(0)
	v_mul_f32_e32 v36, v25, v16
	v_fma_f32 v36, v24, v15, -v36
	v_add_f32_e32 v36, v38, v36
	v_mul_f32_e32 v38, v25, v18
	v_mul_f32_e32 v37, v24, v16
	v_fma_f32 v38, v24, v17, -v38
	v_mul_f32_e32 v24, v24, v18
	v_fmac_f32_e32 v24, v25, v17
	v_add_f32_e32 v23, v23, v24
	v_mul_f32_e32 v24, v21, v16
	v_mul_f32_e32 v16, v20, v16
	v_fmac_f32_e32 v16, v21, v15
	v_fmac_f32_e32 v37, v25, v15
	v_fma_f32 v24, v20, v15, -v24
	v_add_f32_e32 v25, v35, v16
	v_mul_f32_e32 v15, v21, v18
	v_mul_f32_e32 v16, v20, v18
	v_fma_f32 v15, v20, v17, -v15
	v_fmac_f32_e32 v16, v21, v17
	v_add_f32_e32 v24, v34, v24
	v_add_f32_e32 v34, v19, v15
	;; [unrolled: 1-line block ×3, first 2 shown]
	ds_read2_b64 v[15:18], v13 offset0:64 offset1:80
	v_add_f32_e32 v37, v39, v37
	v_add_f32_e32 v22, v22, v38
	s_waitcnt lgkmcnt(0)
	v_mul_f32_e32 v19, v27, v16
	v_mul_f32_e32 v20, v26, v16
	v_fma_f32 v19, v26, v15, -v19
	v_fmac_f32_e32 v20, v27, v15
	v_add_f32_e32 v35, v36, v19
	v_add_f32_e32 v36, v37, v20
	v_mul_f32_e32 v19, v27, v18
	v_mul_f32_e32 v20, v26, v18
	v_fma_f32 v19, v26, v17, -v19
	v_fmac_f32_e32 v20, v27, v17
	v_add_f32_e32 v26, v22, v19
	v_add_f32_e32 v23, v23, v20
	ds_read_b128 v[19:22], v14 offset:1040
	s_waitcnt lgkmcnt(0)
	v_mul_f32_e32 v27, v20, v16
	v_mul_f32_e32 v16, v19, v16
	v_fmac_f32_e32 v16, v20, v15
	v_fma_f32 v27, v19, v15, -v27
	v_add_f32_e32 v25, v25, v16
	v_mul_f32_e32 v15, v20, v18
	v_mul_f32_e32 v16, v19, v18
	v_fma_f32 v15, v19, v17, -v15
	v_fmac_f32_e32 v16, v20, v17
	v_add_f32_e32 v19, v34, v15
	v_add_f32_e32 v10, v10, v16
	ds_read2_b64 v[15:18], v13 offset0:96 offset1:112
	v_add_f32_e32 v24, v24, v27
	s_waitcnt lgkmcnt(0)
	v_mul_f32_e32 v20, v29, v16
	v_mul_f32_e32 v34, v29, v18
	v_fma_f32 v20, v28, v15, -v20
	v_mul_f32_e32 v27, v28, v16
	v_fma_f32 v34, v28, v17, -v34
	v_mul_f32_e32 v28, v28, v18
	v_fmac_f32_e32 v28, v29, v17
	v_add_f32_e32 v23, v23, v28
	v_mul_f32_e32 v28, v22, v16
	v_mul_f32_e32 v16, v21, v16
	v_fmac_f32_e32 v16, v22, v15
	v_fmac_f32_e32 v27, v29, v15
	v_fma_f32 v28, v21, v15, -v28
	v_add_f32_e32 v25, v25, v16
	v_mul_f32_e32 v15, v22, v18
	v_mul_f32_e32 v16, v21, v18
	v_fma_f32 v15, v21, v17, -v15
	v_fmac_f32_e32 v16, v22, v17
	v_add_f32_e32 v24, v24, v28
	v_add_f32_e32 v28, v19, v15
	;; [unrolled: 1-line block ×3, first 2 shown]
	ds_read2_b64 v[15:18], v13 offset0:128 offset1:144
	v_add_f32_e32 v20, v35, v20
	v_add_f32_e32 v27, v36, v27
	;; [unrolled: 1-line block ×3, first 2 shown]
	s_waitcnt lgkmcnt(0)
	v_mul_f32_e32 v19, v31, v16
	v_fma_f32 v19, v30, v15, -v19
	v_mul_f32_e32 v21, v30, v16
	v_add_f32_e32 v29, v20, v19
	v_mul_f32_e32 v19, v31, v18
	v_mul_f32_e32 v20, v30, v18
	v_fmac_f32_e32 v21, v31, v15
	v_fma_f32 v19, v30, v17, -v19
	v_fmac_f32_e32 v20, v31, v17
	v_add_f32_e32 v27, v27, v21
	v_add_f32_e32 v26, v26, v19
	;; [unrolled: 1-line block ×3, first 2 shown]
	ds_read_b128 v[19:22], v14 offset:1056
	s_waitcnt lgkmcnt(0)
	v_mul_f32_e32 v30, v20, v16
	v_mul_f32_e32 v16, v19, v16
	v_fmac_f32_e32 v16, v20, v15
	v_fma_f32 v30, v19, v15, -v30
	v_add_f32_e32 v25, v25, v16
	v_mul_f32_e32 v15, v20, v18
	v_mul_f32_e32 v16, v19, v18
	v_fma_f32 v15, v19, v17, -v15
	v_fmac_f32_e32 v16, v20, v17
	v_add_f32_e32 v19, v28, v15
	v_add_f32_e32 v10, v10, v16
	ds_read2_b64 v[15:18], v13 offset0:160 offset1:176
	v_add_f32_e32 v24, v24, v30
	s_waitcnt lgkmcnt(0)
	v_mul_f32_e32 v28, v32, v16
	v_fmac_f32_e32 v28, v33, v15
	v_add_f32_e32 v27, v27, v28
	v_mul_f32_e32 v28, v33, v18
	v_fma_f32 v28, v32, v17, -v28
	v_mul_f32_e32 v20, v33, v16
	v_add_f32_e32 v26, v26, v28
	v_mul_f32_e32 v28, v22, v16
	v_mul_f32_e32 v16, v21, v16
	v_fmac_f32_e32 v16, v22, v15
	v_fma_f32 v20, v32, v15, -v20
	v_fma_f32 v28, v21, v15, -v28
	v_add_f32_e32 v25, v25, v16
	v_mul_f32_e32 v15, v22, v18
	v_mul_f32_e32 v16, v21, v18
	v_add_f32_e32 v20, v29, v20
	v_mul_f32_e32 v29, v32, v18
	v_fma_f32 v15, v21, v17, -v15
	v_fmac_f32_e32 v16, v22, v17
	v_fmac_f32_e32 v29, v33, v17
	v_add_f32_e32 v19, v19, v15
	v_add_f32_e32 v10, v10, v16
	ds_read2_b64 v[15:18], v13 offset0:192 offset1:208
	v_add_f32_e32 v24, v24, v28
	v_add_f32_e32 v23, v23, v29
	s_waitcnt lgkmcnt(0)
	v_mul_f32_e32 v21, v3, v16
	v_fma_f32 v21, v2, v15, -v21
	v_add_f32_e32 v28, v20, v21
	v_mul_f32_e32 v20, v3, v18
	v_mul_f32_e32 v22, v2, v16
	v_fma_f32 v20, v2, v17, -v20
	v_mul_f32_e32 v2, v2, v18
	v_fmac_f32_e32 v22, v3, v15
	v_fmac_f32_e32 v2, v3, v17
	v_add_f32_e32 v29, v27, v22
	v_add_f32_e32 v3, v26, v20
	;; [unrolled: 1-line block ×3, first 2 shown]
	ds_read_b128 v[20:23], v14 offset:1072
	s_waitcnt lgkmcnt(0)
	v_mul_f32_e32 v26, v21, v16
	v_mul_f32_e32 v16, v20, v16
	v_fma_f32 v26, v20, v15, -v26
	v_fmac_f32_e32 v16, v21, v15
	v_add_f32_e32 v15, v24, v26
	v_add_f32_e32 v30, v25, v16
	ds_read2_b64 v[24:27], v13 offset0:224 offset1:240
	v_mul_f32_e32 v16, v21, v18
	v_fma_f32 v16, v20, v17, -v16
	v_add_f32_e32 v31, v19, v16
	v_mul_f32_e32 v18, v20, v18
	s_waitcnt lgkmcnt(0)
	v_mul_f32_e32 v16, v5, v25
	v_fma_f32 v16, v4, v24, -v16
	v_add_f32_e32 v20, v28, v16
	v_mul_f32_e32 v16, v5, v27
	v_fmac_f32_e32 v18, v21, v17
	v_mul_f32_e32 v17, v4, v25
	v_fma_f32 v16, v4, v26, -v16
	v_mul_f32_e32 v4, v4, v27
	v_fmac_f32_e32 v4, v5, v26
	v_add_f32_e32 v10, v10, v18
	v_add_f32_e32 v18, v3, v16
	;; [unrolled: 1-line block ×3, first 2 shown]
	v_mul_f32_e32 v2, v23, v25
	v_mul_f32_e32 v3, v22, v25
	v_fmac_f32_e32 v17, v5, v24
	v_fma_f32 v2, v22, v24, -v2
	v_fmac_f32_e32 v3, v23, v24
	v_add_f32_e32 v21, v29, v17
	v_add_f32_e32 v16, v15, v2
	;; [unrolled: 1-line block ×3, first 2 shown]
	v_mul_f32_e32 v2, v23, v27
	v_mul_f32_e32 v3, v22, v27
	v_fma_f32 v2, v22, v26, -v2
	v_fmac_f32_e32 v3, v23, v26
	v_add_f32_e32 v15, v31, v2
	v_add_f32_e32 v10, v10, v3
	v_mov_b32_e32 v3, s1
	v_mov_b32_e32 v2, s0
	v_cmp_le_u64_e32 vcc, s[12:13], v[2:3]
	s_barrier
	s_cbranch_vccz .LBB1575_2
	s_branch .LBB1575_4
.LBB1575_3:
	v_mov_b32_e32 v20, 0
	v_mov_b32_e32 v21, 0
	;; [unrolled: 1-line block ×8, first 2 shown]
.LBB1575_4:
	v_add_u32_e32 v4, s7, v1
	v_ashrrev_i32_e32 v1, 31, v4
	v_mul_lo_u32 v3, s2, v1
	v_mul_lo_u32 v5, s3, v4
	v_mad_u64_u32 v[1:2], s[0:1], s2, v4, 0
	s_load_dword s10, s[4:5], 0x0
	v_add_u32_e32 v0, s6, v0
	v_add3_u32 v2, v2, v3, v5
	v_lshlrev_b64 v[1:2], 3, v[1:2]
	s_waitcnt lgkmcnt(0)
	v_mov_b32_e32 v3, s9
	v_add_co_u32_e64 v5, s[0:1], s8, v1
	v_addc_co_u32_e64 v6, s[0:1], v3, v2, s[0:1]
	v_cmp_gt_i32_e32 vcc, s10, v4
	v_cmp_le_i32_e64 s[0:1], v0, v4
	s_and_b64 s[0:1], vcc, s[0:1]
	s_and_saveexec_b64 s[4:5], s[0:1]
	s_cbranch_execz .LBB1575_6
; %bb.5:
	v_ashrrev_i32_e32 v1, 31, v0
	v_lshlrev_b64 v[1:2], 3, v[0:1]
	v_mul_f32_e32 v3, s15, v21
	v_add_co_u32_e64 v1, s[0:1], v5, v1
	v_addc_co_u32_e64 v2, s[0:1], v6, v2, s[0:1]
	flat_load_dwordx2 v[7:8], v[1:2]
	v_mul_f32_e32 v9, s14, v21
	v_fma_f32 v3, v20, s14, -v3
	v_fmac_f32_e32 v9, s15, v20
	s_waitcnt vmcnt(0) lgkmcnt(0)
	v_mul_f32_e32 v11, s21, v8
	v_mul_f32_e32 v8, s20, v8
	v_fma_f32 v11, v7, s20, -v11
	v_fmac_f32_e32 v8, s21, v7
	v_add_f32_e32 v7, v3, v11
	v_add_f32_e32 v8, v9, v8
	flat_store_dwordx2 v[1:2], v[7:8]
.LBB1575_6:
	s_or_b64 exec, exec, s[4:5]
	v_add_u32_e32 v2, 16, v0
	v_cmp_le_i32_e64 s[0:1], v2, v4
	s_and_b64 s[4:5], vcc, s[0:1]
	s_and_saveexec_b64 s[0:1], s[4:5]
	s_cbranch_execz .LBB1575_8
; %bb.7:
	v_ashrrev_i32_e32 v3, 31, v2
	v_lshlrev_b64 v[7:8], 3, v[2:3]
	v_mul_f32_e32 v1, s15, v19
	v_add_co_u32_e32 v5, vcc, v5, v7
	v_addc_co_u32_e32 v6, vcc, v6, v8, vcc
	flat_load_dwordx2 v[7:8], v[5:6]
	v_mul_f32_e32 v3, s14, v19
	v_fma_f32 v1, v18, s14, -v1
	v_fmac_f32_e32 v3, s15, v18
	s_waitcnt vmcnt(0) lgkmcnt(0)
	v_mul_f32_e32 v9, s21, v8
	v_mul_f32_e32 v8, s20, v8
	v_fma_f32 v9, v7, s20, -v9
	v_fmac_f32_e32 v8, s21, v7
	v_add_f32_e32 v7, v1, v9
	v_add_f32_e32 v8, v3, v8
	flat_store_dwordx2 v[5:6], v[7:8]
.LBB1575_8:
	s_or_b64 exec, exec, s[0:1]
	v_add_u32_e32 v3, 16, v4
	v_ashrrev_i32_e32 v1, 31, v3
	v_mul_lo_u32 v1, s2, v1
	v_mul_lo_u32 v6, s3, v3
	v_mad_u64_u32 v[4:5], s[0:1], s2, v3, 0
	v_cmp_gt_i32_e32 vcc, s10, v3
	v_add3_u32 v5, v5, v1, v6
	v_lshlrev_b64 v[4:5], 3, v[4:5]
	v_mov_b32_e32 v1, s9
	v_add_co_u32_e64 v4, s[0:1], s8, v4
	v_addc_co_u32_e64 v5, s[0:1], v1, v5, s[0:1]
	v_cmp_le_i32_e64 s[0:1], v0, v3
	s_and_b64 s[0:1], vcc, s[0:1]
	s_and_saveexec_b64 s[2:3], s[0:1]
	s_cbranch_execz .LBB1575_10
; %bb.9:
	v_ashrrev_i32_e32 v1, 31, v0
	v_lshlrev_b64 v[0:1], 3, v[0:1]
	v_mul_f32_e32 v8, s15, v17
	v_add_co_u32_e64 v0, s[0:1], v4, v0
	v_addc_co_u32_e64 v1, s[0:1], v5, v1, s[0:1]
	flat_load_dwordx2 v[6:7], v[0:1]
	v_mul_f32_e32 v9, s14, v17
	v_fma_f32 v8, v16, s14, -v8
	v_fmac_f32_e32 v9, s15, v16
	s_waitcnt vmcnt(0) lgkmcnt(0)
	v_mul_f32_e32 v11, s21, v7
	v_mul_f32_e32 v7, s20, v7
	v_fma_f32 v11, v6, s20, -v11
	v_fmac_f32_e32 v7, s21, v6
	v_add_f32_e32 v6, v8, v11
	v_add_f32_e32 v7, v9, v7
	flat_store_dwordx2 v[0:1], v[6:7]
.LBB1575_10:
	s_or_b64 exec, exec, s[2:3]
	v_cmp_le_i32_e64 s[0:1], v2, v3
	s_and_b64 s[0:1], vcc, s[0:1]
	s_and_saveexec_b64 s[2:3], s[0:1]
	s_cbranch_execz .LBB1575_12
; %bb.11:
	v_ashrrev_i32_e32 v3, 31, v2
	v_lshlrev_b64 v[0:1], 3, v[2:3]
	v_add_co_u32_e32 v0, vcc, v4, v0
	v_addc_co_u32_e32 v1, vcc, v5, v1, vcc
	flat_load_dwordx2 v[2:3], v[0:1]
	v_mul_f32_e32 v4, s15, v10
	v_mul_f32_e32 v5, s14, v10
	v_fma_f32 v4, v15, s14, -v4
	v_fmac_f32_e32 v5, s15, v15
	s_waitcnt vmcnt(0) lgkmcnt(0)
	v_mul_f32_e32 v6, s21, v3
	v_mul_f32_e32 v3, s20, v3
	v_fma_f32 v6, v2, s20, -v6
	v_fmac_f32_e32 v3, s21, v2
	v_add_f32_e32 v2, v4, v6
	v_add_f32_e32 v3, v5, v3
	flat_store_dwordx2 v[0:1], v[2:3]
.LBB1575_12:
	s_endpgm
	.section	.rodata,"a",@progbits
	.p2align	6, 0x0
	.amdhsa_kernel _ZL37rocblas_syrkx_herkx_restricted_kernelIl19rocblas_complex_numIfELi16ELi32ELi8ELb0ELb0ELc84ELc85EKPKS1_KPS1_EviT_T0_PT8_S7_lSA_S7_lS8_PT9_S7_li
		.amdhsa_group_segment_fixed_size 4096
		.amdhsa_private_segment_fixed_size 0
		.amdhsa_kernarg_size 108
		.amdhsa_user_sgpr_count 6
		.amdhsa_user_sgpr_private_segment_buffer 1
		.amdhsa_user_sgpr_dispatch_ptr 0
		.amdhsa_user_sgpr_queue_ptr 0
		.amdhsa_user_sgpr_kernarg_segment_ptr 1
		.amdhsa_user_sgpr_dispatch_id 0
		.amdhsa_user_sgpr_flat_scratch_init 0
		.amdhsa_user_sgpr_private_segment_size 0
		.amdhsa_uses_dynamic_stack 0
		.amdhsa_system_sgpr_private_segment_wavefront_offset 0
		.amdhsa_system_sgpr_workgroup_id_x 1
		.amdhsa_system_sgpr_workgroup_id_y 1
		.amdhsa_system_sgpr_workgroup_id_z 1
		.amdhsa_system_sgpr_workgroup_info 0
		.amdhsa_system_vgpr_workitem_id 1
		.amdhsa_next_free_vgpr 41
		.amdhsa_next_free_sgpr 28
		.amdhsa_reserve_vcc 1
		.amdhsa_reserve_flat_scratch 0
		.amdhsa_float_round_mode_32 0
		.amdhsa_float_round_mode_16_64 0
		.amdhsa_float_denorm_mode_32 3
		.amdhsa_float_denorm_mode_16_64 3
		.amdhsa_dx10_clamp 1
		.amdhsa_ieee_mode 1
		.amdhsa_fp16_overflow 0
		.amdhsa_exception_fp_ieee_invalid_op 0
		.amdhsa_exception_fp_denorm_src 0
		.amdhsa_exception_fp_ieee_div_zero 0
		.amdhsa_exception_fp_ieee_overflow 0
		.amdhsa_exception_fp_ieee_underflow 0
		.amdhsa_exception_fp_ieee_inexact 0
		.amdhsa_exception_int_div_zero 0
	.end_amdhsa_kernel
	.section	.text._ZL37rocblas_syrkx_herkx_restricted_kernelIl19rocblas_complex_numIfELi16ELi32ELi8ELb0ELb0ELc84ELc85EKPKS1_KPS1_EviT_T0_PT8_S7_lSA_S7_lS8_PT9_S7_li,"axG",@progbits,_ZL37rocblas_syrkx_herkx_restricted_kernelIl19rocblas_complex_numIfELi16ELi32ELi8ELb0ELb0ELc84ELc85EKPKS1_KPS1_EviT_T0_PT8_S7_lSA_S7_lS8_PT9_S7_li,comdat
.Lfunc_end1575:
	.size	_ZL37rocblas_syrkx_herkx_restricted_kernelIl19rocblas_complex_numIfELi16ELi32ELi8ELb0ELb0ELc84ELc85EKPKS1_KPS1_EviT_T0_PT8_S7_lSA_S7_lS8_PT9_S7_li, .Lfunc_end1575-_ZL37rocblas_syrkx_herkx_restricted_kernelIl19rocblas_complex_numIfELi16ELi32ELi8ELb0ELb0ELc84ELc85EKPKS1_KPS1_EviT_T0_PT8_S7_lSA_S7_lS8_PT9_S7_li
                                        ; -- End function
	.set _ZL37rocblas_syrkx_herkx_restricted_kernelIl19rocblas_complex_numIfELi16ELi32ELi8ELb0ELb0ELc84ELc85EKPKS1_KPS1_EviT_T0_PT8_S7_lSA_S7_lS8_PT9_S7_li.num_vgpr, 41
	.set _ZL37rocblas_syrkx_herkx_restricted_kernelIl19rocblas_complex_numIfELi16ELi32ELi8ELb0ELb0ELc84ELc85EKPKS1_KPS1_EviT_T0_PT8_S7_lSA_S7_lS8_PT9_S7_li.num_agpr, 0
	.set _ZL37rocblas_syrkx_herkx_restricted_kernelIl19rocblas_complex_numIfELi16ELi32ELi8ELb0ELb0ELc84ELc85EKPKS1_KPS1_EviT_T0_PT8_S7_lSA_S7_lS8_PT9_S7_li.numbered_sgpr, 28
	.set _ZL37rocblas_syrkx_herkx_restricted_kernelIl19rocblas_complex_numIfELi16ELi32ELi8ELb0ELb0ELc84ELc85EKPKS1_KPS1_EviT_T0_PT8_S7_lSA_S7_lS8_PT9_S7_li.num_named_barrier, 0
	.set _ZL37rocblas_syrkx_herkx_restricted_kernelIl19rocblas_complex_numIfELi16ELi32ELi8ELb0ELb0ELc84ELc85EKPKS1_KPS1_EviT_T0_PT8_S7_lSA_S7_lS8_PT9_S7_li.private_seg_size, 0
	.set _ZL37rocblas_syrkx_herkx_restricted_kernelIl19rocblas_complex_numIfELi16ELi32ELi8ELb0ELb0ELc84ELc85EKPKS1_KPS1_EviT_T0_PT8_S7_lSA_S7_lS8_PT9_S7_li.uses_vcc, 1
	.set _ZL37rocblas_syrkx_herkx_restricted_kernelIl19rocblas_complex_numIfELi16ELi32ELi8ELb0ELb0ELc84ELc85EKPKS1_KPS1_EviT_T0_PT8_S7_lSA_S7_lS8_PT9_S7_li.uses_flat_scratch, 0
	.set _ZL37rocblas_syrkx_herkx_restricted_kernelIl19rocblas_complex_numIfELi16ELi32ELi8ELb0ELb0ELc84ELc85EKPKS1_KPS1_EviT_T0_PT8_S7_lSA_S7_lS8_PT9_S7_li.has_dyn_sized_stack, 0
	.set _ZL37rocblas_syrkx_herkx_restricted_kernelIl19rocblas_complex_numIfELi16ELi32ELi8ELb0ELb0ELc84ELc85EKPKS1_KPS1_EviT_T0_PT8_S7_lSA_S7_lS8_PT9_S7_li.has_recursion, 0
	.set _ZL37rocblas_syrkx_herkx_restricted_kernelIl19rocblas_complex_numIfELi16ELi32ELi8ELb0ELb0ELc84ELc85EKPKS1_KPS1_EviT_T0_PT8_S7_lSA_S7_lS8_PT9_S7_li.has_indirect_call, 0
	.section	.AMDGPU.csdata,"",@progbits
; Kernel info:
; codeLenInByte = 2188
; TotalNumSgprs: 32
; NumVgprs: 41
; ScratchSize: 0
; MemoryBound: 0
; FloatMode: 240
; IeeeMode: 1
; LDSByteSize: 4096 bytes/workgroup (compile time only)
; SGPRBlocks: 3
; VGPRBlocks: 10
; NumSGPRsForWavesPerEU: 32
; NumVGPRsForWavesPerEU: 41
; Occupancy: 5
; WaveLimiterHint : 1
; COMPUTE_PGM_RSRC2:SCRATCH_EN: 0
; COMPUTE_PGM_RSRC2:USER_SGPR: 6
; COMPUTE_PGM_RSRC2:TRAP_HANDLER: 0
; COMPUTE_PGM_RSRC2:TGID_X_EN: 1
; COMPUTE_PGM_RSRC2:TGID_Y_EN: 1
; COMPUTE_PGM_RSRC2:TGID_Z_EN: 1
; COMPUTE_PGM_RSRC2:TIDIG_COMP_CNT: 1
	.section	.text._ZL37rocblas_syrkx_herkx_restricted_kernelIl19rocblas_complex_numIfELi16ELi32ELi8ELb0ELb0ELc67ELc85EKPKS1_KPS1_EviT_T0_PT8_S7_lSA_S7_lS8_PT9_S7_li,"axG",@progbits,_ZL37rocblas_syrkx_herkx_restricted_kernelIl19rocblas_complex_numIfELi16ELi32ELi8ELb0ELb0ELc67ELc85EKPKS1_KPS1_EviT_T0_PT8_S7_lSA_S7_lS8_PT9_S7_li,comdat
	.globl	_ZL37rocblas_syrkx_herkx_restricted_kernelIl19rocblas_complex_numIfELi16ELi32ELi8ELb0ELb0ELc67ELc85EKPKS1_KPS1_EviT_T0_PT8_S7_lSA_S7_lS8_PT9_S7_li ; -- Begin function _ZL37rocblas_syrkx_herkx_restricted_kernelIl19rocblas_complex_numIfELi16ELi32ELi8ELb0ELb0ELc67ELc85EKPKS1_KPS1_EviT_T0_PT8_S7_lSA_S7_lS8_PT9_S7_li
	.p2align	8
	.type	_ZL37rocblas_syrkx_herkx_restricted_kernelIl19rocblas_complex_numIfELi16ELi32ELi8ELb0ELb0ELc67ELc85EKPKS1_KPS1_EviT_T0_PT8_S7_lSA_S7_lS8_PT9_S7_li,@function
_ZL37rocblas_syrkx_herkx_restricted_kernelIl19rocblas_complex_numIfELi16ELi32ELi8ELb0ELb0ELc67ELc85EKPKS1_KPS1_EviT_T0_PT8_S7_lSA_S7_lS8_PT9_S7_li: ; @_ZL37rocblas_syrkx_herkx_restricted_kernelIl19rocblas_complex_numIfELi16ELi32ELi8ELb0ELb0ELc67ELc85EKPKS1_KPS1_EviT_T0_PT8_S7_lSA_S7_lS8_PT9_S7_li
; %bb.0:
	s_load_dwordx4 s[20:23], s[4:5], 0x48
	s_load_dwordx2 s[2:3], s[4:5], 0x58
	s_load_dwordx8 s[12:19], s[4:5], 0x8
	s_mov_b32 s9, 0
	s_lshl_b64 s[0:1], s[8:9], 3
	s_waitcnt lgkmcnt(0)
	s_add_u32 s8, s22, s0
	s_addc_u32 s9, s23, s1
	s_load_dwordx2 s[8:9], s[8:9], 0x0
	v_cmp_lt_i64_e64 s[10:11], s[12:13], 1
	s_lshl_b32 s6, s6, 5
	s_lshl_b32 s7, s7, 5
	s_and_b64 vcc, exec, s[10:11]
	s_cbranch_vccnz .LBB1576_3
; %bb.1:
	s_load_dwordx4 s[24:27], s[4:5], 0x30
	v_lshl_add_u32 v5, v1, 4, v0
	v_lshrrev_b32_e32 v6, 3, v5
	v_add_u32_e32 v2, s7, v6
	s_add_u32 s10, s16, s0
	v_and_b32_e32 v9, 7, v0
	v_ashrrev_i32_e32 v3, 31, v2
	v_mov_b32_e32 v10, 0
	s_addc_u32 s11, s17, s1
	s_waitcnt lgkmcnt(0)
	v_mul_lo_u32 v7, s26, v3
	v_mul_lo_u32 v8, s27, v2
	v_mad_u64_u32 v[2:3], s[16:17], s26, v2, v[9:10]
	v_and_b32_e32 v13, 31, v5
	v_lshrrev_b32_e32 v4, 5, v5
	v_add3_u32 v3, v8, v3, v7
	v_lshlrev_b32_e32 v7, 3, v13
	v_lshl_or_b32 v11, v4, 8, v7
	v_lshlrev_b32_e32 v7, 3, v9
	v_lshl_or_b32 v6, v6, 6, v7
	v_add_u32_e32 v12, 0x800, v6
	v_add_u32_e32 v6, s6, v13
	v_mov_b32_e32 v5, v10
	v_ashrrev_i32_e32 v7, 31, v6
	v_mul_lo_u32 v7, s18, v7
	v_mad_u64_u32 v[4:5], s[16:17], s18, v6, v[4:5]
	v_mul_lo_u32 v6, s19, v6
	s_load_dwordx2 s[10:11], s[10:11], 0x0
	s_add_u32 s0, s24, s0
	s_addc_u32 s1, s25, s1
	s_load_dwordx2 s[0:1], s[0:1], 0x0
	v_add3_u32 v5, v6, v5, v7
	v_lshlrev_b64 v[4:5], 3, v[4:5]
	s_waitcnt lgkmcnt(0)
	v_mov_b32_e32 v7, s11
	v_add_co_u32_e32 v6, vcc, s10, v4
	v_lshlrev_b64 v[2:3], 3, v[2:3]
	v_mov_b32_e32 v8, 0x800
	v_addc_co_u32_e32 v7, vcc, v7, v5, vcc
	v_lshl_add_u32 v14, v1, 6, v8
	v_mov_b32_e32 v4, s1
	v_add_co_u32_e32 v8, vcc, s0, v2
	v_lshlrev_b32_e32 v13, 3, v0
	v_addc_co_u32_e32 v9, vcc, v4, v3, vcc
	s_mov_b64 s[0:1], 0
	v_mov_b32_e32 v15, v10
	v_mov_b32_e32 v17, v10
	;; [unrolled: 1-line block ×7, first 2 shown]
.LBB1576_2:                             ; =>This Inner Loop Header: Depth=1
	flat_load_dwordx2 v[2:3], v[6:7]
	s_add_u32 s0, s0, 8
	v_add_co_u32_e32 v6, vcc, 64, v6
	s_addc_u32 s1, s1, 0
	v_addc_co_u32_e32 v7, vcc, 0, v7, vcc
	s_waitcnt vmcnt(0) lgkmcnt(0)
	ds_write_b64 v11, v[2:3]
	flat_load_dwordx2 v[2:3], v[8:9]
	v_add_co_u32_e32 v8, vcc, 64, v8
	v_addc_co_u32_e32 v9, vcc, 0, v9, vcc
	s_waitcnt vmcnt(0) lgkmcnt(0)
	ds_write_b64 v12, v[2:3]
	s_waitcnt lgkmcnt(0)
	s_barrier
	ds_read_b128 v[22:25], v14
	ds_read_b128 v[26:29], v14 offset:16
	ds_read_b128 v[30:33], v14 offset:32
	;; [unrolled: 1-line block ×3, first 2 shown]
	ds_read2_b64 v[34:37], v13 offset1:16
	s_waitcnt lgkmcnt(0)
	v_mul_f32_e32 v38, v23, v35
	v_mul_f32_e32 v39, v22, v35
	v_fma_f32 v38, v22, v34, -v38
	v_fmac_f32_e32 v39, v23, v34
	v_add_f32_e32 v38, v20, v38
	v_add_f32_e32 v39, v21, v39
	v_mul_f32_e32 v20, v23, v37
	v_mul_f32_e32 v21, v22, v37
	v_fma_f32 v20, v22, v36, -v20
	v_fmac_f32_e32 v21, v23, v36
	v_add_f32_e32 v22, v18, v20
	v_add_f32_e32 v23, v19, v21
	ds_read_b128 v[18:21], v14 offset:1024
	s_waitcnt lgkmcnt(0)
	v_mul_f32_e32 v40, v19, v35
	v_mul_f32_e32 v35, v18, v35
	v_fma_f32 v40, v18, v34, -v40
	v_fmac_f32_e32 v35, v19, v34
	v_add_f32_e32 v34, v16, v40
	v_add_f32_e32 v35, v17, v35
	v_mul_f32_e32 v16, v19, v37
	v_mul_f32_e32 v17, v18, v37
	v_fma_f32 v16, v18, v36, -v16
	v_fmac_f32_e32 v17, v19, v36
	v_add_f32_e32 v19, v15, v16
	v_add_f32_e32 v10, v10, v17
	ds_read2_b64 v[15:18], v13 offset0:32 offset1:48
	s_waitcnt lgkmcnt(0)
	v_mul_f32_e32 v36, v25, v16
	v_fma_f32 v36, v24, v15, -v36
	v_add_f32_e32 v36, v38, v36
	v_mul_f32_e32 v38, v25, v18
	v_mul_f32_e32 v37, v24, v16
	v_fma_f32 v38, v24, v17, -v38
	v_mul_f32_e32 v24, v24, v18
	v_fmac_f32_e32 v24, v25, v17
	v_add_f32_e32 v23, v23, v24
	v_mul_f32_e32 v24, v21, v16
	v_mul_f32_e32 v16, v20, v16
	v_fmac_f32_e32 v16, v21, v15
	v_fmac_f32_e32 v37, v25, v15
	v_fma_f32 v24, v20, v15, -v24
	v_add_f32_e32 v25, v35, v16
	v_mul_f32_e32 v15, v21, v18
	v_mul_f32_e32 v16, v20, v18
	v_fma_f32 v15, v20, v17, -v15
	v_fmac_f32_e32 v16, v21, v17
	v_add_f32_e32 v24, v34, v24
	v_add_f32_e32 v34, v19, v15
	;; [unrolled: 1-line block ×3, first 2 shown]
	ds_read2_b64 v[15:18], v13 offset0:64 offset1:80
	v_add_f32_e32 v37, v39, v37
	v_add_f32_e32 v22, v22, v38
	s_waitcnt lgkmcnt(0)
	v_mul_f32_e32 v19, v27, v16
	v_mul_f32_e32 v20, v26, v16
	v_fma_f32 v19, v26, v15, -v19
	v_fmac_f32_e32 v20, v27, v15
	v_add_f32_e32 v35, v36, v19
	v_add_f32_e32 v36, v37, v20
	v_mul_f32_e32 v19, v27, v18
	v_mul_f32_e32 v20, v26, v18
	v_fma_f32 v19, v26, v17, -v19
	v_fmac_f32_e32 v20, v27, v17
	v_add_f32_e32 v26, v22, v19
	v_add_f32_e32 v23, v23, v20
	ds_read_b128 v[19:22], v14 offset:1040
	s_waitcnt lgkmcnt(0)
	v_mul_f32_e32 v27, v20, v16
	v_mul_f32_e32 v16, v19, v16
	v_fmac_f32_e32 v16, v20, v15
	v_fma_f32 v27, v19, v15, -v27
	v_add_f32_e32 v25, v25, v16
	v_mul_f32_e32 v15, v20, v18
	v_mul_f32_e32 v16, v19, v18
	v_fma_f32 v15, v19, v17, -v15
	v_fmac_f32_e32 v16, v20, v17
	v_add_f32_e32 v19, v34, v15
	v_add_f32_e32 v10, v10, v16
	ds_read2_b64 v[15:18], v13 offset0:96 offset1:112
	v_add_f32_e32 v24, v24, v27
	s_waitcnt lgkmcnt(0)
	v_mul_f32_e32 v20, v29, v16
	v_mul_f32_e32 v34, v29, v18
	v_fma_f32 v20, v28, v15, -v20
	v_mul_f32_e32 v27, v28, v16
	v_fma_f32 v34, v28, v17, -v34
	v_mul_f32_e32 v28, v28, v18
	v_fmac_f32_e32 v28, v29, v17
	v_add_f32_e32 v23, v23, v28
	v_mul_f32_e32 v28, v22, v16
	v_mul_f32_e32 v16, v21, v16
	v_fmac_f32_e32 v16, v22, v15
	v_fmac_f32_e32 v27, v29, v15
	v_fma_f32 v28, v21, v15, -v28
	v_add_f32_e32 v25, v25, v16
	v_mul_f32_e32 v15, v22, v18
	v_mul_f32_e32 v16, v21, v18
	v_fma_f32 v15, v21, v17, -v15
	v_fmac_f32_e32 v16, v22, v17
	v_add_f32_e32 v24, v24, v28
	v_add_f32_e32 v28, v19, v15
	;; [unrolled: 1-line block ×3, first 2 shown]
	ds_read2_b64 v[15:18], v13 offset0:128 offset1:144
	v_add_f32_e32 v20, v35, v20
	v_add_f32_e32 v27, v36, v27
	;; [unrolled: 1-line block ×3, first 2 shown]
	s_waitcnt lgkmcnt(0)
	v_mul_f32_e32 v19, v31, v16
	v_fma_f32 v19, v30, v15, -v19
	v_mul_f32_e32 v21, v30, v16
	v_add_f32_e32 v29, v20, v19
	v_mul_f32_e32 v19, v31, v18
	v_mul_f32_e32 v20, v30, v18
	v_fmac_f32_e32 v21, v31, v15
	v_fma_f32 v19, v30, v17, -v19
	v_fmac_f32_e32 v20, v31, v17
	v_add_f32_e32 v27, v27, v21
	v_add_f32_e32 v26, v26, v19
	;; [unrolled: 1-line block ×3, first 2 shown]
	ds_read_b128 v[19:22], v14 offset:1056
	s_waitcnt lgkmcnt(0)
	v_mul_f32_e32 v30, v20, v16
	v_mul_f32_e32 v16, v19, v16
	v_fmac_f32_e32 v16, v20, v15
	v_fma_f32 v30, v19, v15, -v30
	v_add_f32_e32 v25, v25, v16
	v_mul_f32_e32 v15, v20, v18
	v_mul_f32_e32 v16, v19, v18
	v_fma_f32 v15, v19, v17, -v15
	v_fmac_f32_e32 v16, v20, v17
	v_add_f32_e32 v19, v28, v15
	v_add_f32_e32 v10, v10, v16
	ds_read2_b64 v[15:18], v13 offset0:160 offset1:176
	v_add_f32_e32 v24, v24, v30
	s_waitcnt lgkmcnt(0)
	v_mul_f32_e32 v28, v32, v16
	v_fmac_f32_e32 v28, v33, v15
	v_add_f32_e32 v27, v27, v28
	v_mul_f32_e32 v28, v33, v18
	v_fma_f32 v28, v32, v17, -v28
	v_mul_f32_e32 v20, v33, v16
	v_add_f32_e32 v26, v26, v28
	v_mul_f32_e32 v28, v22, v16
	v_mul_f32_e32 v16, v21, v16
	v_fmac_f32_e32 v16, v22, v15
	v_fma_f32 v20, v32, v15, -v20
	v_fma_f32 v28, v21, v15, -v28
	v_add_f32_e32 v25, v25, v16
	v_mul_f32_e32 v15, v22, v18
	v_mul_f32_e32 v16, v21, v18
	v_add_f32_e32 v20, v29, v20
	v_mul_f32_e32 v29, v32, v18
	v_fma_f32 v15, v21, v17, -v15
	v_fmac_f32_e32 v16, v22, v17
	v_fmac_f32_e32 v29, v33, v17
	v_add_f32_e32 v19, v19, v15
	v_add_f32_e32 v10, v10, v16
	ds_read2_b64 v[15:18], v13 offset0:192 offset1:208
	v_add_f32_e32 v24, v24, v28
	v_add_f32_e32 v23, v23, v29
	s_waitcnt lgkmcnt(0)
	v_mul_f32_e32 v21, v3, v16
	v_fma_f32 v21, v2, v15, -v21
	v_add_f32_e32 v28, v20, v21
	v_mul_f32_e32 v20, v3, v18
	v_mul_f32_e32 v22, v2, v16
	v_fma_f32 v20, v2, v17, -v20
	v_mul_f32_e32 v2, v2, v18
	v_fmac_f32_e32 v22, v3, v15
	v_fmac_f32_e32 v2, v3, v17
	v_add_f32_e32 v29, v27, v22
	v_add_f32_e32 v3, v26, v20
	;; [unrolled: 1-line block ×3, first 2 shown]
	ds_read_b128 v[20:23], v14 offset:1072
	s_waitcnt lgkmcnt(0)
	v_mul_f32_e32 v26, v21, v16
	v_mul_f32_e32 v16, v20, v16
	v_fma_f32 v26, v20, v15, -v26
	v_fmac_f32_e32 v16, v21, v15
	v_add_f32_e32 v15, v24, v26
	v_add_f32_e32 v30, v25, v16
	ds_read2_b64 v[24:27], v13 offset0:224 offset1:240
	v_mul_f32_e32 v16, v21, v18
	v_fma_f32 v16, v20, v17, -v16
	v_add_f32_e32 v31, v19, v16
	v_mul_f32_e32 v18, v20, v18
	s_waitcnt lgkmcnt(0)
	v_mul_f32_e32 v16, v5, v25
	v_fma_f32 v16, v4, v24, -v16
	v_add_f32_e32 v20, v28, v16
	v_mul_f32_e32 v16, v5, v27
	v_fmac_f32_e32 v18, v21, v17
	v_mul_f32_e32 v17, v4, v25
	v_fma_f32 v16, v4, v26, -v16
	v_mul_f32_e32 v4, v4, v27
	v_fmac_f32_e32 v4, v5, v26
	v_add_f32_e32 v10, v10, v18
	v_add_f32_e32 v18, v3, v16
	;; [unrolled: 1-line block ×3, first 2 shown]
	v_mul_f32_e32 v2, v23, v25
	v_mul_f32_e32 v3, v22, v25
	v_fmac_f32_e32 v17, v5, v24
	v_fma_f32 v2, v22, v24, -v2
	v_fmac_f32_e32 v3, v23, v24
	v_add_f32_e32 v21, v29, v17
	v_add_f32_e32 v16, v15, v2
	;; [unrolled: 1-line block ×3, first 2 shown]
	v_mul_f32_e32 v2, v23, v27
	v_mul_f32_e32 v3, v22, v27
	v_fma_f32 v2, v22, v26, -v2
	v_fmac_f32_e32 v3, v23, v26
	v_add_f32_e32 v15, v31, v2
	v_add_f32_e32 v10, v10, v3
	v_mov_b32_e32 v3, s1
	v_mov_b32_e32 v2, s0
	v_cmp_le_u64_e32 vcc, s[12:13], v[2:3]
	s_barrier
	s_cbranch_vccz .LBB1576_2
	s_branch .LBB1576_4
.LBB1576_3:
	v_mov_b32_e32 v20, 0
	v_mov_b32_e32 v21, 0
	;; [unrolled: 1-line block ×8, first 2 shown]
.LBB1576_4:
	v_add_u32_e32 v4, s7, v1
	v_ashrrev_i32_e32 v1, 31, v4
	v_mul_lo_u32 v3, s2, v1
	v_mul_lo_u32 v5, s3, v4
	v_mad_u64_u32 v[1:2], s[0:1], s2, v4, 0
	s_load_dword s10, s[4:5], 0x0
	v_add_u32_e32 v0, s6, v0
	v_add3_u32 v2, v2, v3, v5
	v_lshlrev_b64 v[1:2], 3, v[1:2]
	s_waitcnt lgkmcnt(0)
	v_mov_b32_e32 v3, s9
	v_add_co_u32_e64 v5, s[0:1], s8, v1
	v_addc_co_u32_e64 v6, s[0:1], v3, v2, s[0:1]
	v_cmp_gt_i32_e32 vcc, s10, v4
	v_cmp_le_i32_e64 s[0:1], v0, v4
	s_and_b64 s[0:1], vcc, s[0:1]
	s_and_saveexec_b64 s[4:5], s[0:1]
	s_cbranch_execz .LBB1576_6
; %bb.5:
	v_ashrrev_i32_e32 v1, 31, v0
	v_lshlrev_b64 v[1:2], 3, v[0:1]
	v_mul_f32_e32 v3, s15, v21
	v_add_co_u32_e64 v1, s[0:1], v5, v1
	v_addc_co_u32_e64 v2, s[0:1], v6, v2, s[0:1]
	flat_load_dwordx2 v[7:8], v[1:2]
	v_mul_f32_e32 v9, s14, v21
	v_fma_f32 v3, v20, s14, -v3
	v_fmac_f32_e32 v9, s15, v20
	s_waitcnt vmcnt(0) lgkmcnt(0)
	v_mul_f32_e32 v11, s21, v8
	v_mul_f32_e32 v8, s20, v8
	v_fma_f32 v11, v7, s20, -v11
	v_fmac_f32_e32 v8, s21, v7
	v_add_f32_e32 v7, v3, v11
	v_add_f32_e32 v8, v9, v8
	flat_store_dwordx2 v[1:2], v[7:8]
.LBB1576_6:
	s_or_b64 exec, exec, s[4:5]
	v_add_u32_e32 v2, 16, v0
	v_cmp_le_i32_e64 s[0:1], v2, v4
	s_and_b64 s[4:5], vcc, s[0:1]
	s_and_saveexec_b64 s[0:1], s[4:5]
	s_cbranch_execz .LBB1576_8
; %bb.7:
	v_ashrrev_i32_e32 v3, 31, v2
	v_lshlrev_b64 v[7:8], 3, v[2:3]
	v_mul_f32_e32 v1, s15, v19
	v_add_co_u32_e32 v5, vcc, v5, v7
	v_addc_co_u32_e32 v6, vcc, v6, v8, vcc
	flat_load_dwordx2 v[7:8], v[5:6]
	v_mul_f32_e32 v3, s14, v19
	v_fma_f32 v1, v18, s14, -v1
	v_fmac_f32_e32 v3, s15, v18
	s_waitcnt vmcnt(0) lgkmcnt(0)
	v_mul_f32_e32 v9, s21, v8
	v_mul_f32_e32 v8, s20, v8
	v_fma_f32 v9, v7, s20, -v9
	v_fmac_f32_e32 v8, s21, v7
	v_add_f32_e32 v7, v1, v9
	v_add_f32_e32 v8, v3, v8
	flat_store_dwordx2 v[5:6], v[7:8]
.LBB1576_8:
	s_or_b64 exec, exec, s[0:1]
	v_add_u32_e32 v3, 16, v4
	v_ashrrev_i32_e32 v1, 31, v3
	v_mul_lo_u32 v1, s2, v1
	v_mul_lo_u32 v6, s3, v3
	v_mad_u64_u32 v[4:5], s[0:1], s2, v3, 0
	v_cmp_gt_i32_e32 vcc, s10, v3
	v_add3_u32 v5, v5, v1, v6
	v_lshlrev_b64 v[4:5], 3, v[4:5]
	v_mov_b32_e32 v1, s9
	v_add_co_u32_e64 v4, s[0:1], s8, v4
	v_addc_co_u32_e64 v5, s[0:1], v1, v5, s[0:1]
	v_cmp_le_i32_e64 s[0:1], v0, v3
	s_and_b64 s[0:1], vcc, s[0:1]
	s_and_saveexec_b64 s[2:3], s[0:1]
	s_cbranch_execz .LBB1576_10
; %bb.9:
	v_ashrrev_i32_e32 v1, 31, v0
	v_lshlrev_b64 v[0:1], 3, v[0:1]
	v_mul_f32_e32 v8, s15, v17
	v_add_co_u32_e64 v0, s[0:1], v4, v0
	v_addc_co_u32_e64 v1, s[0:1], v5, v1, s[0:1]
	flat_load_dwordx2 v[6:7], v[0:1]
	v_mul_f32_e32 v9, s14, v17
	v_fma_f32 v8, v16, s14, -v8
	v_fmac_f32_e32 v9, s15, v16
	s_waitcnt vmcnt(0) lgkmcnt(0)
	v_mul_f32_e32 v11, s21, v7
	v_mul_f32_e32 v7, s20, v7
	v_fma_f32 v11, v6, s20, -v11
	v_fmac_f32_e32 v7, s21, v6
	v_add_f32_e32 v6, v8, v11
	v_add_f32_e32 v7, v9, v7
	flat_store_dwordx2 v[0:1], v[6:7]
.LBB1576_10:
	s_or_b64 exec, exec, s[2:3]
	v_cmp_le_i32_e64 s[0:1], v2, v3
	s_and_b64 s[0:1], vcc, s[0:1]
	s_and_saveexec_b64 s[2:3], s[0:1]
	s_cbranch_execz .LBB1576_12
; %bb.11:
	v_ashrrev_i32_e32 v3, 31, v2
	v_lshlrev_b64 v[0:1], 3, v[2:3]
	v_add_co_u32_e32 v0, vcc, v4, v0
	v_addc_co_u32_e32 v1, vcc, v5, v1, vcc
	flat_load_dwordx2 v[2:3], v[0:1]
	v_mul_f32_e32 v4, s15, v10
	v_mul_f32_e32 v5, s14, v10
	v_fma_f32 v4, v15, s14, -v4
	v_fmac_f32_e32 v5, s15, v15
	s_waitcnt vmcnt(0) lgkmcnt(0)
	v_mul_f32_e32 v6, s21, v3
	v_mul_f32_e32 v3, s20, v3
	v_fma_f32 v6, v2, s20, -v6
	v_fmac_f32_e32 v3, s21, v2
	v_add_f32_e32 v2, v4, v6
	v_add_f32_e32 v3, v5, v3
	flat_store_dwordx2 v[0:1], v[2:3]
.LBB1576_12:
	s_endpgm
	.section	.rodata,"a",@progbits
	.p2align	6, 0x0
	.amdhsa_kernel _ZL37rocblas_syrkx_herkx_restricted_kernelIl19rocblas_complex_numIfELi16ELi32ELi8ELb0ELb0ELc67ELc85EKPKS1_KPS1_EviT_T0_PT8_S7_lSA_S7_lS8_PT9_S7_li
		.amdhsa_group_segment_fixed_size 4096
		.amdhsa_private_segment_fixed_size 0
		.amdhsa_kernarg_size 108
		.amdhsa_user_sgpr_count 6
		.amdhsa_user_sgpr_private_segment_buffer 1
		.amdhsa_user_sgpr_dispatch_ptr 0
		.amdhsa_user_sgpr_queue_ptr 0
		.amdhsa_user_sgpr_kernarg_segment_ptr 1
		.amdhsa_user_sgpr_dispatch_id 0
		.amdhsa_user_sgpr_flat_scratch_init 0
		.amdhsa_user_sgpr_private_segment_size 0
		.amdhsa_uses_dynamic_stack 0
		.amdhsa_system_sgpr_private_segment_wavefront_offset 0
		.amdhsa_system_sgpr_workgroup_id_x 1
		.amdhsa_system_sgpr_workgroup_id_y 1
		.amdhsa_system_sgpr_workgroup_id_z 1
		.amdhsa_system_sgpr_workgroup_info 0
		.amdhsa_system_vgpr_workitem_id 1
		.amdhsa_next_free_vgpr 41
		.amdhsa_next_free_sgpr 28
		.amdhsa_reserve_vcc 1
		.amdhsa_reserve_flat_scratch 0
		.amdhsa_float_round_mode_32 0
		.amdhsa_float_round_mode_16_64 0
		.amdhsa_float_denorm_mode_32 3
		.amdhsa_float_denorm_mode_16_64 3
		.amdhsa_dx10_clamp 1
		.amdhsa_ieee_mode 1
		.amdhsa_fp16_overflow 0
		.amdhsa_exception_fp_ieee_invalid_op 0
		.amdhsa_exception_fp_denorm_src 0
		.amdhsa_exception_fp_ieee_div_zero 0
		.amdhsa_exception_fp_ieee_overflow 0
		.amdhsa_exception_fp_ieee_underflow 0
		.amdhsa_exception_fp_ieee_inexact 0
		.amdhsa_exception_int_div_zero 0
	.end_amdhsa_kernel
	.section	.text._ZL37rocblas_syrkx_herkx_restricted_kernelIl19rocblas_complex_numIfELi16ELi32ELi8ELb0ELb0ELc67ELc85EKPKS1_KPS1_EviT_T0_PT8_S7_lSA_S7_lS8_PT9_S7_li,"axG",@progbits,_ZL37rocblas_syrkx_herkx_restricted_kernelIl19rocblas_complex_numIfELi16ELi32ELi8ELb0ELb0ELc67ELc85EKPKS1_KPS1_EviT_T0_PT8_S7_lSA_S7_lS8_PT9_S7_li,comdat
.Lfunc_end1576:
	.size	_ZL37rocblas_syrkx_herkx_restricted_kernelIl19rocblas_complex_numIfELi16ELi32ELi8ELb0ELb0ELc67ELc85EKPKS1_KPS1_EviT_T0_PT8_S7_lSA_S7_lS8_PT9_S7_li, .Lfunc_end1576-_ZL37rocblas_syrkx_herkx_restricted_kernelIl19rocblas_complex_numIfELi16ELi32ELi8ELb0ELb0ELc67ELc85EKPKS1_KPS1_EviT_T0_PT8_S7_lSA_S7_lS8_PT9_S7_li
                                        ; -- End function
	.set _ZL37rocblas_syrkx_herkx_restricted_kernelIl19rocblas_complex_numIfELi16ELi32ELi8ELb0ELb0ELc67ELc85EKPKS1_KPS1_EviT_T0_PT8_S7_lSA_S7_lS8_PT9_S7_li.num_vgpr, 41
	.set _ZL37rocblas_syrkx_herkx_restricted_kernelIl19rocblas_complex_numIfELi16ELi32ELi8ELb0ELb0ELc67ELc85EKPKS1_KPS1_EviT_T0_PT8_S7_lSA_S7_lS8_PT9_S7_li.num_agpr, 0
	.set _ZL37rocblas_syrkx_herkx_restricted_kernelIl19rocblas_complex_numIfELi16ELi32ELi8ELb0ELb0ELc67ELc85EKPKS1_KPS1_EviT_T0_PT8_S7_lSA_S7_lS8_PT9_S7_li.numbered_sgpr, 28
	.set _ZL37rocblas_syrkx_herkx_restricted_kernelIl19rocblas_complex_numIfELi16ELi32ELi8ELb0ELb0ELc67ELc85EKPKS1_KPS1_EviT_T0_PT8_S7_lSA_S7_lS8_PT9_S7_li.num_named_barrier, 0
	.set _ZL37rocblas_syrkx_herkx_restricted_kernelIl19rocblas_complex_numIfELi16ELi32ELi8ELb0ELb0ELc67ELc85EKPKS1_KPS1_EviT_T0_PT8_S7_lSA_S7_lS8_PT9_S7_li.private_seg_size, 0
	.set _ZL37rocblas_syrkx_herkx_restricted_kernelIl19rocblas_complex_numIfELi16ELi32ELi8ELb0ELb0ELc67ELc85EKPKS1_KPS1_EviT_T0_PT8_S7_lSA_S7_lS8_PT9_S7_li.uses_vcc, 1
	.set _ZL37rocblas_syrkx_herkx_restricted_kernelIl19rocblas_complex_numIfELi16ELi32ELi8ELb0ELb0ELc67ELc85EKPKS1_KPS1_EviT_T0_PT8_S7_lSA_S7_lS8_PT9_S7_li.uses_flat_scratch, 0
	.set _ZL37rocblas_syrkx_herkx_restricted_kernelIl19rocblas_complex_numIfELi16ELi32ELi8ELb0ELb0ELc67ELc85EKPKS1_KPS1_EviT_T0_PT8_S7_lSA_S7_lS8_PT9_S7_li.has_dyn_sized_stack, 0
	.set _ZL37rocblas_syrkx_herkx_restricted_kernelIl19rocblas_complex_numIfELi16ELi32ELi8ELb0ELb0ELc67ELc85EKPKS1_KPS1_EviT_T0_PT8_S7_lSA_S7_lS8_PT9_S7_li.has_recursion, 0
	.set _ZL37rocblas_syrkx_herkx_restricted_kernelIl19rocblas_complex_numIfELi16ELi32ELi8ELb0ELb0ELc67ELc85EKPKS1_KPS1_EviT_T0_PT8_S7_lSA_S7_lS8_PT9_S7_li.has_indirect_call, 0
	.section	.AMDGPU.csdata,"",@progbits
; Kernel info:
; codeLenInByte = 2188
; TotalNumSgprs: 32
; NumVgprs: 41
; ScratchSize: 0
; MemoryBound: 0
; FloatMode: 240
; IeeeMode: 1
; LDSByteSize: 4096 bytes/workgroup (compile time only)
; SGPRBlocks: 3
; VGPRBlocks: 10
; NumSGPRsForWavesPerEU: 32
; NumVGPRsForWavesPerEU: 41
; Occupancy: 5
; WaveLimiterHint : 1
; COMPUTE_PGM_RSRC2:SCRATCH_EN: 0
; COMPUTE_PGM_RSRC2:USER_SGPR: 6
; COMPUTE_PGM_RSRC2:TRAP_HANDLER: 0
; COMPUTE_PGM_RSRC2:TGID_X_EN: 1
; COMPUTE_PGM_RSRC2:TGID_Y_EN: 1
; COMPUTE_PGM_RSRC2:TGID_Z_EN: 1
; COMPUTE_PGM_RSRC2:TIDIG_COMP_CNT: 1
	.section	.text._ZL37rocblas_syrkx_herkx_restricted_kernelIl19rocblas_complex_numIfELi16ELi32ELi8ELb0ELb0ELc78ELc85EKPKS1_KPS1_EviT_T0_PT8_S7_lSA_S7_lS8_PT9_S7_li,"axG",@progbits,_ZL37rocblas_syrkx_herkx_restricted_kernelIl19rocblas_complex_numIfELi16ELi32ELi8ELb0ELb0ELc78ELc85EKPKS1_KPS1_EviT_T0_PT8_S7_lSA_S7_lS8_PT9_S7_li,comdat
	.globl	_ZL37rocblas_syrkx_herkx_restricted_kernelIl19rocblas_complex_numIfELi16ELi32ELi8ELb0ELb0ELc78ELc85EKPKS1_KPS1_EviT_T0_PT8_S7_lSA_S7_lS8_PT9_S7_li ; -- Begin function _ZL37rocblas_syrkx_herkx_restricted_kernelIl19rocblas_complex_numIfELi16ELi32ELi8ELb0ELb0ELc78ELc85EKPKS1_KPS1_EviT_T0_PT8_S7_lSA_S7_lS8_PT9_S7_li
	.p2align	8
	.type	_ZL37rocblas_syrkx_herkx_restricted_kernelIl19rocblas_complex_numIfELi16ELi32ELi8ELb0ELb0ELc78ELc85EKPKS1_KPS1_EviT_T0_PT8_S7_lSA_S7_lS8_PT9_S7_li,@function
_ZL37rocblas_syrkx_herkx_restricted_kernelIl19rocblas_complex_numIfELi16ELi32ELi8ELb0ELb0ELc78ELc85EKPKS1_KPS1_EviT_T0_PT8_S7_lSA_S7_lS8_PT9_S7_li: ; @_ZL37rocblas_syrkx_herkx_restricted_kernelIl19rocblas_complex_numIfELi16ELi32ELi8ELb0ELb0ELc78ELc85EKPKS1_KPS1_EviT_T0_PT8_S7_lSA_S7_lS8_PT9_S7_li
; %bb.0:
	s_load_dwordx4 s[20:23], s[4:5], 0x48
	s_load_dwordx2 s[10:11], s[4:5], 0x58
	s_load_dwordx8 s[12:19], s[4:5], 0x8
	s_mov_b32 s9, 0
	s_lshl_b64 s[24:25], s[8:9], 3
	s_waitcnt lgkmcnt(0)
	s_add_u32 s0, s22, s24
	s_addc_u32 s1, s23, s25
	s_load_dwordx2 s[8:9], s[0:1], 0x0
	v_cmp_lt_i64_e64 s[0:1], s[12:13], 1
	s_lshl_b32 s22, s6, 5
	s_lshl_b32 s23, s7, 5
	s_and_b64 vcc, exec, s[0:1]
	s_cbranch_vccnz .LBB1577_3
; %bb.1:
	s_load_dwordx4 s[0:3], s[4:5], 0x30
	v_lshl_add_u32 v5, v1, 4, v0
	v_lshrrev_b32_e32 v6, 3, v5
	v_add_u32_e32 v2, s23, v6
	s_add_u32 s6, s16, s24
	v_and_b32_e32 v7, 7, v0
	v_ashrrev_i32_e32 v3, 31, v2
	s_addc_u32 s7, s17, s25
	s_waitcnt lgkmcnt(0)
	v_mad_u64_u32 v[2:3], s[16:17], s2, v7, v[2:3]
	s_add_u32 s0, s0, s24
	v_lshrrev_b32_e32 v8, 5, v5
	v_mad_u64_u32 v[3:4], s[16:17], s3, v7, v[3:4]
	v_and_b32_e32 v4, 31, v5
	v_lshlrev_b32_e32 v5, 3, v4
	v_add_u32_e32 v4, s22, v4
	s_addc_u32 s1, s1, s25
	v_lshl_or_b32 v10, v8, 8, v5
	v_ashrrev_i32_e32 v5, 31, v4
	s_load_dwordx2 s[16:17], s[0:1], 0x0
	v_mad_u64_u32 v[4:5], s[0:1], s18, v8, v[4:5]
	v_lshlrev_b32_e32 v7, 3, v7
	v_lshl_or_b32 v6, v6, 6, v7
	v_add_u32_e32 v11, 0x800, v6
	v_mad_u64_u32 v[5:6], s[0:1], s19, v8, v[5:6]
	s_load_dwordx2 s[6:7], s[6:7], 0x0
	v_mov_b32_e32 v6, 0x800
	v_lshlrev_b64 v[4:5], 3, v[4:5]
	v_lshl_add_u32 v13, v1, 6, v6
	v_lshlrev_b64 v[2:3], 3, v[2:3]
	s_waitcnt lgkmcnt(0)
	v_mov_b32_e32 v7, s7
	v_add_co_u32_e32 v6, vcc, s6, v4
	v_addc_co_u32_e32 v7, vcc, v7, v5, vcc
	s_lshl_b64 s[0:1], s[18:19], 6
	v_mov_b32_e32 v4, s17
	v_add_co_u32_e32 v8, vcc, s16, v2
	s_lshl_b64 s[2:3], s[2:3], 6
	v_lshlrev_b32_e32 v12, 3, v0
	v_addc_co_u32_e32 v9, vcc, v4, v3, vcc
	v_mov_b32_e32 v16, 0
	s_mov_b64 s[6:7], 0
	v_mov_b32_e32 v14, s1
	v_mov_b32_e32 v15, s3
	;; [unrolled: 1-line block ×9, first 2 shown]
.LBB1577_2:                             ; =>This Inner Loop Header: Depth=1
	flat_load_dwordx2 v[2:3], v[6:7]
	v_add_co_u32_e32 v6, vcc, s0, v6
	s_add_u32 s6, s6, 8
	v_addc_co_u32_e32 v7, vcc, v7, v14, vcc
	s_addc_u32 s7, s7, 0
	s_waitcnt vmcnt(0) lgkmcnt(0)
	ds_write_b64 v10, v[2:3]
	flat_load_dwordx2 v[2:3], v[8:9]
	v_add_co_u32_e32 v8, vcc, s2, v8
	v_addc_co_u32_e32 v9, vcc, v9, v15, vcc
	s_waitcnt vmcnt(0) lgkmcnt(0)
	ds_write_b64 v11, v[2:3]
	s_waitcnt lgkmcnt(0)
	s_barrier
	ds_read_b128 v[24:27], v13
	ds_read_b128 v[28:31], v13 offset:16
	ds_read_b128 v[32:35], v13 offset:32
	;; [unrolled: 1-line block ×3, first 2 shown]
	ds_read2_b64 v[36:39], v12 offset1:16
	s_waitcnt lgkmcnt(0)
	v_mul_f32_e32 v40, v25, v37
	v_mul_f32_e32 v41, v24, v37
	v_fma_f32 v40, v24, v36, -v40
	v_fmac_f32_e32 v41, v25, v36
	v_add_f32_e32 v40, v22, v40
	v_add_f32_e32 v41, v23, v41
	v_mul_f32_e32 v22, v25, v39
	v_mul_f32_e32 v23, v24, v39
	v_fma_f32 v22, v24, v38, -v22
	v_fmac_f32_e32 v23, v25, v38
	v_add_f32_e32 v24, v20, v22
	v_add_f32_e32 v25, v21, v23
	ds_read_b128 v[20:23], v13 offset:1024
	s_waitcnt lgkmcnt(0)
	v_mul_f32_e32 v42, v21, v37
	v_mul_f32_e32 v37, v20, v37
	v_fma_f32 v42, v20, v36, -v42
	v_fmac_f32_e32 v37, v21, v36
	v_add_f32_e32 v36, v18, v42
	v_add_f32_e32 v37, v19, v37
	v_mul_f32_e32 v18, v21, v39
	v_mul_f32_e32 v19, v20, v39
	v_fma_f32 v18, v20, v38, -v18
	v_fmac_f32_e32 v19, v21, v38
	v_add_f32_e32 v20, v17, v18
	v_add_f32_e32 v21, v16, v19
	ds_read2_b64 v[16:19], v12 offset0:32 offset1:48
	s_waitcnt lgkmcnt(0)
	v_mul_f32_e32 v38, v27, v17
	v_fma_f32 v38, v26, v16, -v38
	v_add_f32_e32 v38, v40, v38
	v_mul_f32_e32 v40, v27, v19
	v_mul_f32_e32 v39, v26, v17
	v_fma_f32 v40, v26, v18, -v40
	v_mul_f32_e32 v26, v26, v19
	v_fmac_f32_e32 v26, v27, v18
	v_add_f32_e32 v25, v25, v26
	v_mul_f32_e32 v26, v23, v17
	v_mul_f32_e32 v17, v22, v17
	v_fmac_f32_e32 v17, v23, v16
	v_fmac_f32_e32 v39, v27, v16
	v_fma_f32 v26, v22, v16, -v26
	v_add_f32_e32 v27, v37, v17
	v_mul_f32_e32 v16, v23, v19
	v_mul_f32_e32 v17, v22, v19
	v_fma_f32 v16, v22, v18, -v16
	v_fmac_f32_e32 v17, v23, v18
	v_add_f32_e32 v26, v36, v26
	v_add_f32_e32 v36, v20, v16
	;; [unrolled: 1-line block ×3, first 2 shown]
	ds_read2_b64 v[16:19], v12 offset0:64 offset1:80
	v_add_f32_e32 v39, v41, v39
	v_add_f32_e32 v24, v24, v40
	s_waitcnt lgkmcnt(0)
	v_mul_f32_e32 v20, v29, v17
	v_mul_f32_e32 v21, v28, v17
	v_fma_f32 v20, v28, v16, -v20
	v_fmac_f32_e32 v21, v29, v16
	v_add_f32_e32 v38, v38, v20
	v_add_f32_e32 v39, v39, v21
	v_mul_f32_e32 v20, v29, v19
	v_mul_f32_e32 v21, v28, v19
	v_fma_f32 v20, v28, v18, -v20
	v_fmac_f32_e32 v21, v29, v18
	v_add_f32_e32 v24, v24, v20
	v_add_f32_e32 v25, v25, v21
	ds_read_b128 v[20:23], v13 offset:1040
	s_waitcnt lgkmcnt(0)
	v_mul_f32_e32 v28, v21, v17
	v_mul_f32_e32 v17, v20, v17
	v_fmac_f32_e32 v17, v21, v16
	v_fma_f32 v28, v20, v16, -v28
	v_add_f32_e32 v27, v27, v17
	v_mul_f32_e32 v16, v21, v19
	v_mul_f32_e32 v17, v20, v19
	v_fma_f32 v16, v20, v18, -v16
	v_fmac_f32_e32 v17, v21, v18
	v_add_f32_e32 v20, v36, v16
	v_add_f32_e32 v21, v37, v17
	ds_read2_b64 v[16:19], v12 offset0:96 offset1:112
	v_add_f32_e32 v26, v26, v28
	s_waitcnt lgkmcnt(0)
	v_mul_f32_e32 v28, v31, v17
	v_mul_f32_e32 v36, v31, v19
	v_fma_f32 v28, v30, v16, -v28
	v_mul_f32_e32 v29, v30, v17
	v_fma_f32 v36, v30, v18, -v36
	v_mul_f32_e32 v30, v30, v19
	v_fmac_f32_e32 v30, v31, v18
	v_add_f32_e32 v25, v25, v30
	v_mul_f32_e32 v30, v23, v17
	v_mul_f32_e32 v17, v22, v17
	v_fmac_f32_e32 v17, v23, v16
	v_fmac_f32_e32 v29, v31, v16
	v_fma_f32 v30, v22, v16, -v30
	v_add_f32_e32 v27, v27, v17
	v_mul_f32_e32 v16, v23, v19
	v_mul_f32_e32 v17, v22, v19
	v_fma_f32 v16, v22, v18, -v16
	v_fmac_f32_e32 v17, v23, v18
	v_add_f32_e32 v26, v26, v30
	v_add_f32_e32 v30, v20, v16
	;; [unrolled: 1-line block ×3, first 2 shown]
	ds_read2_b64 v[16:19], v12 offset0:128 offset1:144
	v_add_f32_e32 v28, v38, v28
	v_add_f32_e32 v29, v39, v29
	;; [unrolled: 1-line block ×3, first 2 shown]
	s_waitcnt lgkmcnt(0)
	v_mul_f32_e32 v20, v33, v17
	v_mul_f32_e32 v21, v32, v17
	v_fma_f32 v20, v32, v16, -v20
	v_fmac_f32_e32 v21, v33, v16
	v_add_f32_e32 v28, v28, v20
	v_add_f32_e32 v29, v29, v21
	v_mul_f32_e32 v20, v33, v19
	v_mul_f32_e32 v21, v32, v19
	v_fma_f32 v20, v32, v18, -v20
	v_fmac_f32_e32 v21, v33, v18
	v_add_f32_e32 v24, v24, v20
	v_add_f32_e32 v25, v25, v21
	ds_read_b128 v[20:23], v13 offset:1056
	s_waitcnt lgkmcnt(0)
	v_mul_f32_e32 v32, v21, v17
	v_mul_f32_e32 v17, v20, v17
	v_fmac_f32_e32 v17, v21, v16
	v_fma_f32 v32, v20, v16, -v32
	v_add_f32_e32 v27, v27, v17
	v_mul_f32_e32 v16, v21, v19
	v_mul_f32_e32 v17, v20, v19
	v_fma_f32 v16, v20, v18, -v16
	v_fmac_f32_e32 v17, v21, v18
	v_add_f32_e32 v20, v30, v16
	v_add_f32_e32 v21, v31, v17
	ds_read2_b64 v[16:19], v12 offset0:160 offset1:176
	v_add_f32_e32 v26, v26, v32
	s_waitcnt lgkmcnt(0)
	v_mul_f32_e32 v30, v35, v17
	v_fma_f32 v30, v34, v16, -v30
	v_add_f32_e32 v28, v28, v30
	v_mul_f32_e32 v30, v35, v19
	v_fma_f32 v30, v34, v18, -v30
	v_mul_f32_e32 v31, v34, v17
	v_add_f32_e32 v24, v24, v30
	v_mul_f32_e32 v30, v23, v17
	v_mul_f32_e32 v17, v22, v17
	v_fmac_f32_e32 v17, v23, v16
	v_fmac_f32_e32 v31, v35, v16
	v_fma_f32 v30, v22, v16, -v30
	v_add_f32_e32 v27, v27, v17
	v_mul_f32_e32 v16, v23, v19
	v_mul_f32_e32 v17, v22, v19
	v_add_f32_e32 v29, v29, v31
	v_mul_f32_e32 v31, v34, v19
	v_fma_f32 v16, v22, v18, -v16
	v_fmac_f32_e32 v17, v23, v18
	v_fmac_f32_e32 v31, v35, v18
	v_add_f32_e32 v20, v20, v16
	v_add_f32_e32 v21, v21, v17
	ds_read2_b64 v[16:19], v12 offset0:192 offset1:208
	v_add_f32_e32 v26, v26, v30
	v_add_f32_e32 v25, v25, v31
	s_waitcnt lgkmcnt(0)
	v_mul_f32_e32 v22, v3, v17
	v_fma_f32 v22, v2, v16, -v22
	v_add_f32_e32 v30, v28, v22
	v_mul_f32_e32 v22, v3, v19
	v_mul_f32_e32 v23, v2, v17
	v_fma_f32 v22, v2, v18, -v22
	v_mul_f32_e32 v2, v2, v19
	v_fmac_f32_e32 v23, v3, v16
	v_fmac_f32_e32 v2, v3, v18
	v_add_f32_e32 v31, v29, v23
	v_add_f32_e32 v3, v24, v22
	;; [unrolled: 1-line block ×3, first 2 shown]
	ds_read_b128 v[22:25], v13 offset:1072
	s_waitcnt lgkmcnt(0)
	v_mul_f32_e32 v28, v23, v17
	v_fma_f32 v28, v22, v16, -v28
	v_mul_f32_e32 v17, v22, v17
	v_fmac_f32_e32 v17, v23, v16
	v_add_f32_e32 v16, v26, v28
	v_mul_f32_e32 v26, v23, v19
	v_fma_f32 v26, v22, v18, -v26
	v_add_f32_e32 v17, v27, v17
	v_add_f32_e32 v32, v20, v26
	ds_read2_b64 v[26:29], v12 offset0:224 offset1:240
	v_mul_f32_e32 v19, v22, v19
	v_fmac_f32_e32 v19, v23, v18
	v_add_f32_e32 v33, v21, v19
	s_waitcnt lgkmcnt(0)
	v_mul_f32_e32 v18, v5, v27
	v_fma_f32 v18, v4, v26, -v18
	v_add_f32_e32 v22, v30, v18
	v_mul_f32_e32 v18, v5, v29
	v_mul_f32_e32 v19, v4, v27
	v_fma_f32 v18, v4, v28, -v18
	v_mul_f32_e32 v4, v4, v29
	v_fmac_f32_e32 v4, v5, v28
	v_add_f32_e32 v20, v3, v18
	v_add_f32_e32 v21, v2, v4
	v_mul_f32_e32 v2, v25, v27
	v_mul_f32_e32 v3, v24, v27
	v_fmac_f32_e32 v19, v5, v26
	v_fma_f32 v2, v24, v26, -v2
	v_fmac_f32_e32 v3, v25, v26
	v_add_f32_e32 v23, v31, v19
	v_add_f32_e32 v18, v16, v2
	;; [unrolled: 1-line block ×3, first 2 shown]
	v_mul_f32_e32 v2, v25, v29
	v_mul_f32_e32 v3, v24, v29
	v_fma_f32 v2, v24, v28, -v2
	v_fmac_f32_e32 v3, v25, v28
	v_add_f32_e32 v17, v32, v2
	v_add_f32_e32 v16, v33, v3
	v_mov_b32_e32 v2, s6
	v_mov_b32_e32 v3, s7
	v_cmp_le_u64_e32 vcc, s[12:13], v[2:3]
	s_barrier
	s_cbranch_vccz .LBB1577_2
	s_branch .LBB1577_4
.LBB1577_3:
	v_mov_b32_e32 v22, 0
	v_mov_b32_e32 v23, 0
	;; [unrolled: 1-line block ×8, first 2 shown]
.LBB1577_4:
	v_add_u32_e32 v4, s23, v1
	v_ashrrev_i32_e32 v1, 31, v4
	v_mul_lo_u32 v3, s10, v1
	v_mul_lo_u32 v5, s11, v4
	v_mad_u64_u32 v[1:2], s[0:1], s10, v4, 0
	s_load_dword s4, s[4:5], 0x0
	v_add_u32_e32 v0, s22, v0
	v_add3_u32 v2, v2, v3, v5
	v_lshlrev_b64 v[1:2], 3, v[1:2]
	s_waitcnt lgkmcnt(0)
	v_mov_b32_e32 v3, s9
	v_add_co_u32_e64 v5, s[0:1], s8, v1
	v_addc_co_u32_e64 v6, s[0:1], v3, v2, s[0:1]
	v_cmp_gt_i32_e32 vcc, s4, v4
	v_cmp_le_i32_e64 s[0:1], v0, v4
	s_and_b64 s[0:1], vcc, s[0:1]
	s_and_saveexec_b64 s[2:3], s[0:1]
	s_cbranch_execz .LBB1577_6
; %bb.5:
	v_ashrrev_i32_e32 v1, 31, v0
	v_lshlrev_b64 v[1:2], 3, v[0:1]
	v_mul_f32_e32 v3, s15, v23
	v_add_co_u32_e64 v1, s[0:1], v5, v1
	v_addc_co_u32_e64 v2, s[0:1], v6, v2, s[0:1]
	flat_load_dwordx2 v[7:8], v[1:2]
	v_mul_f32_e32 v9, s14, v23
	v_fma_f32 v3, v22, s14, -v3
	v_fmac_f32_e32 v9, s15, v22
	s_waitcnt vmcnt(0) lgkmcnt(0)
	v_mul_f32_e32 v10, s21, v8
	v_mul_f32_e32 v8, s20, v8
	v_fma_f32 v10, v7, s20, -v10
	v_fmac_f32_e32 v8, s21, v7
	v_add_f32_e32 v7, v3, v10
	v_add_f32_e32 v8, v9, v8
	flat_store_dwordx2 v[1:2], v[7:8]
.LBB1577_6:
	s_or_b64 exec, exec, s[2:3]
	v_add_u32_e32 v2, 16, v0
	v_cmp_le_i32_e64 s[0:1], v2, v4
	s_and_b64 s[2:3], vcc, s[0:1]
	s_and_saveexec_b64 s[0:1], s[2:3]
	s_cbranch_execz .LBB1577_8
; %bb.7:
	v_ashrrev_i32_e32 v3, 31, v2
	v_lshlrev_b64 v[7:8], 3, v[2:3]
	v_mul_f32_e32 v1, s15, v21
	v_add_co_u32_e32 v5, vcc, v5, v7
	v_addc_co_u32_e32 v6, vcc, v6, v8, vcc
	flat_load_dwordx2 v[7:8], v[5:6]
	v_mul_f32_e32 v3, s14, v21
	v_fma_f32 v1, v20, s14, -v1
	v_fmac_f32_e32 v3, s15, v20
	s_waitcnt vmcnt(0) lgkmcnt(0)
	v_mul_f32_e32 v9, s21, v8
	v_mul_f32_e32 v8, s20, v8
	v_fma_f32 v9, v7, s20, -v9
	v_fmac_f32_e32 v8, s21, v7
	v_add_f32_e32 v7, v1, v9
	v_add_f32_e32 v8, v3, v8
	flat_store_dwordx2 v[5:6], v[7:8]
.LBB1577_8:
	s_or_b64 exec, exec, s[0:1]
	v_add_u32_e32 v3, 16, v4
	v_ashrrev_i32_e32 v1, 31, v3
	v_mul_lo_u32 v1, s10, v1
	v_mul_lo_u32 v6, s11, v3
	v_mad_u64_u32 v[4:5], s[0:1], s10, v3, 0
	v_cmp_gt_i32_e32 vcc, s4, v3
	v_add3_u32 v5, v5, v1, v6
	v_lshlrev_b64 v[4:5], 3, v[4:5]
	v_mov_b32_e32 v1, s9
	v_add_co_u32_e64 v4, s[0:1], s8, v4
	v_addc_co_u32_e64 v5, s[0:1], v1, v5, s[0:1]
	v_cmp_le_i32_e64 s[0:1], v0, v3
	s_and_b64 s[0:1], vcc, s[0:1]
	s_and_saveexec_b64 s[2:3], s[0:1]
	s_cbranch_execz .LBB1577_10
; %bb.9:
	v_ashrrev_i32_e32 v1, 31, v0
	v_lshlrev_b64 v[0:1], 3, v[0:1]
	v_mul_f32_e32 v8, s15, v19
	v_add_co_u32_e64 v0, s[0:1], v4, v0
	v_addc_co_u32_e64 v1, s[0:1], v5, v1, s[0:1]
	flat_load_dwordx2 v[6:7], v[0:1]
	v_mul_f32_e32 v9, s14, v19
	v_fma_f32 v8, v18, s14, -v8
	v_fmac_f32_e32 v9, s15, v18
	s_waitcnt vmcnt(0) lgkmcnt(0)
	v_mul_f32_e32 v10, s21, v7
	v_mul_f32_e32 v7, s20, v7
	v_fma_f32 v10, v6, s20, -v10
	v_fmac_f32_e32 v7, s21, v6
	v_add_f32_e32 v6, v8, v10
	v_add_f32_e32 v7, v9, v7
	flat_store_dwordx2 v[0:1], v[6:7]
.LBB1577_10:
	s_or_b64 exec, exec, s[2:3]
	v_cmp_le_i32_e64 s[0:1], v2, v3
	s_and_b64 s[0:1], vcc, s[0:1]
	s_and_saveexec_b64 s[2:3], s[0:1]
	s_cbranch_execz .LBB1577_12
; %bb.11:
	v_ashrrev_i32_e32 v3, 31, v2
	v_lshlrev_b64 v[0:1], 3, v[2:3]
	v_add_co_u32_e32 v0, vcc, v4, v0
	v_addc_co_u32_e32 v1, vcc, v5, v1, vcc
	flat_load_dwordx2 v[2:3], v[0:1]
	v_mul_f32_e32 v4, s15, v16
	v_mul_f32_e32 v5, s14, v16
	v_fma_f32 v4, v17, s14, -v4
	v_fmac_f32_e32 v5, s15, v17
	s_waitcnt vmcnt(0) lgkmcnt(0)
	v_mul_f32_e32 v6, s21, v3
	v_mul_f32_e32 v3, s20, v3
	v_fma_f32 v6, v2, s20, -v6
	v_fmac_f32_e32 v3, s21, v2
	v_add_f32_e32 v2, v4, v6
	v_add_f32_e32 v3, v5, v3
	flat_store_dwordx2 v[0:1], v[2:3]
.LBB1577_12:
	s_endpgm
	.section	.rodata,"a",@progbits
	.p2align	6, 0x0
	.amdhsa_kernel _ZL37rocblas_syrkx_herkx_restricted_kernelIl19rocblas_complex_numIfELi16ELi32ELi8ELb0ELb0ELc78ELc85EKPKS1_KPS1_EviT_T0_PT8_S7_lSA_S7_lS8_PT9_S7_li
		.amdhsa_group_segment_fixed_size 4096
		.amdhsa_private_segment_fixed_size 0
		.amdhsa_kernarg_size 108
		.amdhsa_user_sgpr_count 6
		.amdhsa_user_sgpr_private_segment_buffer 1
		.amdhsa_user_sgpr_dispatch_ptr 0
		.amdhsa_user_sgpr_queue_ptr 0
		.amdhsa_user_sgpr_kernarg_segment_ptr 1
		.amdhsa_user_sgpr_dispatch_id 0
		.amdhsa_user_sgpr_flat_scratch_init 0
		.amdhsa_user_sgpr_private_segment_size 0
		.amdhsa_uses_dynamic_stack 0
		.amdhsa_system_sgpr_private_segment_wavefront_offset 0
		.amdhsa_system_sgpr_workgroup_id_x 1
		.amdhsa_system_sgpr_workgroup_id_y 1
		.amdhsa_system_sgpr_workgroup_id_z 1
		.amdhsa_system_sgpr_workgroup_info 0
		.amdhsa_system_vgpr_workitem_id 1
		.amdhsa_next_free_vgpr 43
		.amdhsa_next_free_sgpr 26
		.amdhsa_reserve_vcc 1
		.amdhsa_reserve_flat_scratch 0
		.amdhsa_float_round_mode_32 0
		.amdhsa_float_round_mode_16_64 0
		.amdhsa_float_denorm_mode_32 3
		.amdhsa_float_denorm_mode_16_64 3
		.amdhsa_dx10_clamp 1
		.amdhsa_ieee_mode 1
		.amdhsa_fp16_overflow 0
		.amdhsa_exception_fp_ieee_invalid_op 0
		.amdhsa_exception_fp_denorm_src 0
		.amdhsa_exception_fp_ieee_div_zero 0
		.amdhsa_exception_fp_ieee_overflow 0
		.amdhsa_exception_fp_ieee_underflow 0
		.amdhsa_exception_fp_ieee_inexact 0
		.amdhsa_exception_int_div_zero 0
	.end_amdhsa_kernel
	.section	.text._ZL37rocblas_syrkx_herkx_restricted_kernelIl19rocblas_complex_numIfELi16ELi32ELi8ELb0ELb0ELc78ELc85EKPKS1_KPS1_EviT_T0_PT8_S7_lSA_S7_lS8_PT9_S7_li,"axG",@progbits,_ZL37rocblas_syrkx_herkx_restricted_kernelIl19rocblas_complex_numIfELi16ELi32ELi8ELb0ELb0ELc78ELc85EKPKS1_KPS1_EviT_T0_PT8_S7_lSA_S7_lS8_PT9_S7_li,comdat
.Lfunc_end1577:
	.size	_ZL37rocblas_syrkx_herkx_restricted_kernelIl19rocblas_complex_numIfELi16ELi32ELi8ELb0ELb0ELc78ELc85EKPKS1_KPS1_EviT_T0_PT8_S7_lSA_S7_lS8_PT9_S7_li, .Lfunc_end1577-_ZL37rocblas_syrkx_herkx_restricted_kernelIl19rocblas_complex_numIfELi16ELi32ELi8ELb0ELb0ELc78ELc85EKPKS1_KPS1_EviT_T0_PT8_S7_lSA_S7_lS8_PT9_S7_li
                                        ; -- End function
	.set _ZL37rocblas_syrkx_herkx_restricted_kernelIl19rocblas_complex_numIfELi16ELi32ELi8ELb0ELb0ELc78ELc85EKPKS1_KPS1_EviT_T0_PT8_S7_lSA_S7_lS8_PT9_S7_li.num_vgpr, 43
	.set _ZL37rocblas_syrkx_herkx_restricted_kernelIl19rocblas_complex_numIfELi16ELi32ELi8ELb0ELb0ELc78ELc85EKPKS1_KPS1_EviT_T0_PT8_S7_lSA_S7_lS8_PT9_S7_li.num_agpr, 0
	.set _ZL37rocblas_syrkx_herkx_restricted_kernelIl19rocblas_complex_numIfELi16ELi32ELi8ELb0ELb0ELc78ELc85EKPKS1_KPS1_EviT_T0_PT8_S7_lSA_S7_lS8_PT9_S7_li.numbered_sgpr, 26
	.set _ZL37rocblas_syrkx_herkx_restricted_kernelIl19rocblas_complex_numIfELi16ELi32ELi8ELb0ELb0ELc78ELc85EKPKS1_KPS1_EviT_T0_PT8_S7_lSA_S7_lS8_PT9_S7_li.num_named_barrier, 0
	.set _ZL37rocblas_syrkx_herkx_restricted_kernelIl19rocblas_complex_numIfELi16ELi32ELi8ELb0ELb0ELc78ELc85EKPKS1_KPS1_EviT_T0_PT8_S7_lSA_S7_lS8_PT9_S7_li.private_seg_size, 0
	.set _ZL37rocblas_syrkx_herkx_restricted_kernelIl19rocblas_complex_numIfELi16ELi32ELi8ELb0ELb0ELc78ELc85EKPKS1_KPS1_EviT_T0_PT8_S7_lSA_S7_lS8_PT9_S7_li.uses_vcc, 1
	.set _ZL37rocblas_syrkx_herkx_restricted_kernelIl19rocblas_complex_numIfELi16ELi32ELi8ELb0ELb0ELc78ELc85EKPKS1_KPS1_EviT_T0_PT8_S7_lSA_S7_lS8_PT9_S7_li.uses_flat_scratch, 0
	.set _ZL37rocblas_syrkx_herkx_restricted_kernelIl19rocblas_complex_numIfELi16ELi32ELi8ELb0ELb0ELc78ELc85EKPKS1_KPS1_EviT_T0_PT8_S7_lSA_S7_lS8_PT9_S7_li.has_dyn_sized_stack, 0
	.set _ZL37rocblas_syrkx_herkx_restricted_kernelIl19rocblas_complex_numIfELi16ELi32ELi8ELb0ELb0ELc78ELc85EKPKS1_KPS1_EviT_T0_PT8_S7_lSA_S7_lS8_PT9_S7_li.has_recursion, 0
	.set _ZL37rocblas_syrkx_herkx_restricted_kernelIl19rocblas_complex_numIfELi16ELi32ELi8ELb0ELb0ELc78ELc85EKPKS1_KPS1_EviT_T0_PT8_S7_lSA_S7_lS8_PT9_S7_li.has_indirect_call, 0
	.section	.AMDGPU.csdata,"",@progbits
; Kernel info:
; codeLenInByte = 2168
; TotalNumSgprs: 30
; NumVgprs: 43
; ScratchSize: 0
; MemoryBound: 0
; FloatMode: 240
; IeeeMode: 1
; LDSByteSize: 4096 bytes/workgroup (compile time only)
; SGPRBlocks: 3
; VGPRBlocks: 10
; NumSGPRsForWavesPerEU: 30
; NumVGPRsForWavesPerEU: 43
; Occupancy: 5
; WaveLimiterHint : 1
; COMPUTE_PGM_RSRC2:SCRATCH_EN: 0
; COMPUTE_PGM_RSRC2:USER_SGPR: 6
; COMPUTE_PGM_RSRC2:TRAP_HANDLER: 0
; COMPUTE_PGM_RSRC2:TGID_X_EN: 1
; COMPUTE_PGM_RSRC2:TGID_Y_EN: 1
; COMPUTE_PGM_RSRC2:TGID_Z_EN: 1
; COMPUTE_PGM_RSRC2:TIDIG_COMP_CNT: 1
	.section	.text._ZL41rocblas_syrkx_herkx_small_restrict_kernelIl19rocblas_complex_numIfELi16ELb1ELb0ELc84ELc76EKPKS1_KPS1_EviT_T0_PT6_S7_lSA_S7_lS8_PT7_S7_li,"axG",@progbits,_ZL41rocblas_syrkx_herkx_small_restrict_kernelIl19rocblas_complex_numIfELi16ELb1ELb0ELc84ELc76EKPKS1_KPS1_EviT_T0_PT6_S7_lSA_S7_lS8_PT7_S7_li,comdat
	.globl	_ZL41rocblas_syrkx_herkx_small_restrict_kernelIl19rocblas_complex_numIfELi16ELb1ELb0ELc84ELc76EKPKS1_KPS1_EviT_T0_PT6_S7_lSA_S7_lS8_PT7_S7_li ; -- Begin function _ZL41rocblas_syrkx_herkx_small_restrict_kernelIl19rocblas_complex_numIfELi16ELb1ELb0ELc84ELc76EKPKS1_KPS1_EviT_T0_PT6_S7_lSA_S7_lS8_PT7_S7_li
	.p2align	8
	.type	_ZL41rocblas_syrkx_herkx_small_restrict_kernelIl19rocblas_complex_numIfELi16ELb1ELb0ELc84ELc76EKPKS1_KPS1_EviT_T0_PT6_S7_lSA_S7_lS8_PT7_S7_li,@function
_ZL41rocblas_syrkx_herkx_small_restrict_kernelIl19rocblas_complex_numIfELi16ELb1ELb0ELc84ELc76EKPKS1_KPS1_EviT_T0_PT6_S7_lSA_S7_lS8_PT7_S7_li: ; @_ZL41rocblas_syrkx_herkx_small_restrict_kernelIl19rocblas_complex_numIfELi16ELb1ELb0ELc84ELc76EKPKS1_KPS1_EviT_T0_PT6_S7_lSA_S7_lS8_PT7_S7_li
; %bb.0:
	s_load_dwordx4 s[20:23], s[4:5], 0x50
	s_load_dwordx8 s[12:19], s[4:5], 0x8
	s_mov_b32 s9, 0
	s_lshl_b64 s[0:1], s[8:9], 3
	v_lshl_add_u32 v2, s6, 4, v0
	s_waitcnt lgkmcnt(0)
	s_add_u32 s2, s20, s0
	s_addc_u32 s3, s21, s1
	s_load_dwordx2 s[8:9], s[2:3], 0x0
	v_cmp_lt_i64_e64 s[2:3], s[12:13], 1
	v_lshl_add_u32 v8, s7, 4, v1
	s_and_b64 vcc, exec, s[2:3]
	v_ashrrev_i32_e32 v3, 31, v2
	v_ashrrev_i32_e32 v9, 31, v8
	s_cbranch_vccnz .LBB1578_6
; %bb.1:
	s_load_dwordx4 s[4:7], s[4:5], 0x30
	v_mad_u64_u32 v[4:5], s[2:3], s18, v2, 0
	v_mul_lo_u32 v6, s19, v2
	v_mul_lo_u32 v7, s18, v3
	s_waitcnt lgkmcnt(0)
	s_add_u32 s2, s4, s0
	s_addc_u32 s3, s5, s1
	s_add_u32 s0, s16, s0
	s_addc_u32 s1, s17, s1
	s_load_dwordx2 s[0:1], s[0:1], 0x0
	v_lshlrev_b32_e32 v11, 3, v1
	v_add3_u32 v5, v5, v7, v6
	v_lshlrev_b64 v[4:5], 3, v[4:5]
	s_load_dwordx2 s[2:3], s[2:3], 0x0
	s_waitcnt lgkmcnt(0)
	v_mov_b32_e32 v6, s1
	v_add_co_u32_e32 v7, vcc, s0, v11
	v_addc_co_u32_e32 v6, vcc, 0, v6, vcc
	v_add_co_u32_e32 v4, vcc, v7, v4
	v_addc_co_u32_e32 v5, vcc, v6, v5, vcc
	v_mul_lo_u32 v13, s7, v8
	v_mul_lo_u32 v14, s6, v9
	v_mad_u64_u32 v[6:7], s[0:1], s6, v8, 0
	v_lshlrev_b32_e32 v11, 3, v0
	v_mov_b32_e32 v0, s3
	v_add3_u32 v7, v7, v14, v13
	v_add_co_u32_e32 v13, vcc, s2, v11
	v_lshlrev_b32_e32 v15, 7, v1
	v_addc_co_u32_e32 v14, vcc, 0, v0, vcc
	v_lshlrev_b64 v[0:1], 3, v[6:7]
	v_mov_b32_e32 v6, s12
	v_add_co_u32_e32 v0, vcc, v13, v0
	v_add_u32_e32 v13, 0x800, v15
	v_mov_b32_e32 v10, 0
	v_add_u32_e32 v12, v11, v15
	v_addc_co_u32_e32 v1, vcc, v14, v1, vcc
	v_add_u32_e32 v14, v13, v11
	s_mov_b64 s[4:5], 0
	v_mov_b32_e32 v7, s13
	v_mov_b32_e32 v15, 0
.LBB1578_2:                             ; =>This Inner Loop Header: Depth=1
	flat_load_dwordx2 v[16:17], v[4:5]
	s_add_u32 s4, s4, 16
	s_addc_u32 s5, s5, 0
	v_cmp_lt_i64_e32 vcc, s[4:5], v[6:7]
	s_and_b64 s[0:1], exec, vcc
	s_waitcnt vmcnt(0) lgkmcnt(0)
	ds_write_b64 v12, v[16:17]
	flat_load_dwordx2 v[16:17], v[0:1]
	v_add_co_u32_e32 v0, vcc, 0x80, v0
	s_mov_b64 s[2:3], vcc
	v_add_co_u32_e32 v4, vcc, 0x80, v4
	v_addc_co_u32_e32 v5, vcc, 0, v5, vcc
	v_addc_co_u32_e64 v1, s[2:3], 0, v1, s[2:3]
	s_mov_b64 vcc, s[0:1]
	s_waitcnt vmcnt(0) lgkmcnt(0)
	ds_write_b64 v14, v[16:17]
	s_waitcnt lgkmcnt(0)
	s_barrier
	ds_read2_b64 v[16:19], v11 offset1:16
	ds_read_b128 v[20:23], v13
	ds_read_b128 v[24:27], v13 offset:16
	ds_read2_b64 v[28:31], v11 offset0:32 offset1:48
	ds_read2_b64 v[32:35], v11 offset0:64 offset1:80
	ds_read_b128 v[36:39], v13 offset:32
	ds_read_b128 v[40:43], v13 offset:48
	ds_read2_b64 v[44:47], v11 offset0:96 offset1:112
	ds_read2_b64 v[48:51], v11 offset0:128 offset1:144
	ds_read_b128 v[52:55], v13 offset:64
	ds_read_b128 v[56:59], v13 offset:80
	s_waitcnt lgkmcnt(9)
	v_mul_f32_e32 v60, v21, v17
	v_mul_f32_e32 v61, v20, v17
	;; [unrolled: 1-line block ×4, first 2 shown]
	v_fma_f32 v60, v20, v16, -v60
	v_fmac_f32_e32 v61, v21, v16
	v_fma_f32 v63, v22, v18, -v17
	v_fmac_f32_e32 v62, v23, v18
	s_waitcnt lgkmcnt(7)
	v_mul_f32_e32 v20, v25, v29
	v_mul_f32_e32 v64, v24, v29
	v_add_f32_e32 v15, v15, v60
	v_add_f32_e32 v10, v10, v61
	v_mul_f32_e32 v21, v27, v31
	v_mul_f32_e32 v65, v26, v31
	v_fma_f32 v66, v24, v28, -v20
	v_fmac_f32_e32 v64, v25, v28
	v_add_f32_e32 v15, v15, v63
	v_add_f32_e32 v10, v10, v62
	v_fma_f32 v67, v26, v30, -v21
	v_fmac_f32_e32 v65, v27, v30
	s_waitcnt lgkmcnt(5)
	v_mul_f32_e32 v24, v37, v33
	v_mul_f32_e32 v68, v36, v33
	v_add_f32_e32 v15, v15, v66
	v_add_f32_e32 v10, v10, v64
	ds_read2_b64 v[16:19], v11 offset0:160 offset1:176
	v_mul_f32_e32 v25, v39, v35
	v_mul_f32_e32 v69, v38, v35
	v_fma_f32 v36, v36, v32, -v24
	v_fmac_f32_e32 v68, v37, v32
	v_add_f32_e32 v15, v15, v67
	v_add_f32_e32 v10, v10, v65
	v_fma_f32 v37, v38, v34, -v25
	v_fmac_f32_e32 v69, v39, v34
	s_waitcnt lgkmcnt(4)
	v_mul_f32_e32 v28, v41, v45
	v_mul_f32_e32 v38, v40, v45
	v_add_f32_e32 v15, v15, v36
	v_add_f32_e32 v10, v10, v68
	ds_read2_b64 v[20:23], v11 offset0:192 offset1:208
	ds_read_b128 v[24:27], v13 offset:96
	v_mul_f32_e32 v29, v43, v47
	v_mul_f32_e32 v39, v42, v47
	v_fma_f32 v40, v40, v44, -v28
	v_fmac_f32_e32 v38, v41, v44
	v_add_f32_e32 v15, v15, v37
	v_add_f32_e32 v10, v10, v69
	v_fma_f32 v41, v42, v46, -v29
	v_fmac_f32_e32 v39, v43, v46
	s_waitcnt lgkmcnt(4)
	v_mul_f32_e32 v32, v53, v49
	v_mul_f32_e32 v42, v52, v49
	;; [unrolled: 1-line block ×3, first 2 shown]
	v_add_f32_e32 v15, v15, v40
	v_add_f32_e32 v10, v10, v38
	ds_read_b128 v[28:31], v13 offset:112
	v_mul_f32_e32 v43, v54, v51
	v_fma_f32 v44, v52, v48, -v32
	v_fmac_f32_e32 v42, v53, v48
	v_fma_f32 v45, v54, v50, -v33
	ds_read2_b64 v[32:35], v11 offset0:224 offset1:240
	v_add_f32_e32 v15, v15, v41
	v_add_f32_e32 v10, v10, v39
	v_fmac_f32_e32 v43, v55, v50
	s_waitcnt lgkmcnt(4)
	v_mul_f32_e32 v46, v57, v17
	v_mul_f32_e32 v17, v56, v17
	v_add_f32_e32 v15, v15, v44
	v_add_f32_e32 v10, v10, v42
	v_mul_f32_e32 v47, v59, v19
	v_mul_f32_e32 v19, v58, v19
	v_fma_f32 v46, v56, v16, -v46
	v_fmac_f32_e32 v17, v57, v16
	v_add_f32_e32 v15, v15, v45
	v_add_f32_e32 v10, v10, v43
	v_fma_f32 v16, v58, v18, -v47
	v_fmac_f32_e32 v19, v59, v18
	s_waitcnt lgkmcnt(2)
	v_mul_f32_e32 v18, v25, v21
	v_mul_f32_e32 v21, v24, v21
	v_add_f32_e32 v15, v15, v46
	v_add_f32_e32 v10, v10, v17
	v_mul_f32_e32 v47, v27, v23
	v_mul_f32_e32 v23, v26, v23
	v_fma_f32 v18, v24, v20, -v18
	v_fmac_f32_e32 v21, v25, v20
	v_add_f32_e32 v15, v15, v16
	v_add_f32_e32 v10, v10, v19
	s_waitcnt lgkmcnt(0)
	v_mul_f32_e32 v48, v29, v33
	v_mul_f32_e32 v33, v28, v33
	v_fma_f32 v20, v26, v22, -v47
	v_fmac_f32_e32 v23, v27, v22
	v_add_f32_e32 v15, v15, v18
	v_add_f32_e32 v10, v10, v21
	v_mul_f32_e32 v49, v31, v35
	v_mul_f32_e32 v35, v30, v35
	v_fma_f32 v22, v28, v32, -v48
	v_fmac_f32_e32 v33, v29, v32
	v_add_f32_e32 v15, v15, v20
	v_add_f32_e32 v10, v10, v23
	v_fma_f32 v24, v30, v34, -v49
	v_fmac_f32_e32 v35, v31, v34
	v_add_f32_e32 v15, v15, v22
	v_add_f32_e32 v10, v10, v33
	;; [unrolled: 1-line block ×4, first 2 shown]
	s_barrier
	s_cbranch_vccnz .LBB1578_2
; %bb.3:
	v_cmp_le_i32_e32 vcc, v8, v2
	s_and_saveexec_b64 s[0:1], vcc
	s_cbranch_execz .LBB1578_5
.LBB1578_4:
	v_mul_lo_u32 v6, s23, v8
	v_mul_lo_u32 v7, s22, v9
	v_mad_u64_u32 v[0:1], s[0:1], s22, v8, 0
	v_mul_f32_e32 v4, s15, v10
	v_mul_f32_e32 v5, s14, v10
	v_add3_u32 v1, v1, v7, v6
	v_lshlrev_b64 v[0:1], 3, v[0:1]
	s_waitcnt lgkmcnt(0)
	v_mov_b32_e32 v6, s9
	v_add_co_u32_e32 v7, vcc, s8, v0
	v_addc_co_u32_e32 v6, vcc, v6, v1, vcc
	v_lshlrev_b64 v[0:1], 3, v[2:3]
	v_fma_f32 v4, v15, s14, -v4
	v_add_co_u32_e32 v0, vcc, v7, v0
	v_fmac_f32_e32 v5, s15, v15
	v_addc_co_u32_e32 v1, vcc, v6, v1, vcc
	flat_store_dwordx2 v[0:1], v[4:5]
.LBB1578_5:
	s_endpgm
.LBB1578_6:
	v_mov_b32_e32 v10, 0
	v_mov_b32_e32 v15, 0
	v_cmp_le_i32_e32 vcc, v8, v2
	s_and_saveexec_b64 s[0:1], vcc
	s_cbranch_execnz .LBB1578_4
	s_branch .LBB1578_5
	.section	.rodata,"a",@progbits
	.p2align	6, 0x0
	.amdhsa_kernel _ZL41rocblas_syrkx_herkx_small_restrict_kernelIl19rocblas_complex_numIfELi16ELb1ELb0ELc84ELc76EKPKS1_KPS1_EviT_T0_PT6_S7_lSA_S7_lS8_PT7_S7_li
		.amdhsa_group_segment_fixed_size 4096
		.amdhsa_private_segment_fixed_size 0
		.amdhsa_kernarg_size 108
		.amdhsa_user_sgpr_count 6
		.amdhsa_user_sgpr_private_segment_buffer 1
		.amdhsa_user_sgpr_dispatch_ptr 0
		.amdhsa_user_sgpr_queue_ptr 0
		.amdhsa_user_sgpr_kernarg_segment_ptr 1
		.amdhsa_user_sgpr_dispatch_id 0
		.amdhsa_user_sgpr_flat_scratch_init 0
		.amdhsa_user_sgpr_private_segment_size 0
		.amdhsa_uses_dynamic_stack 0
		.amdhsa_system_sgpr_private_segment_wavefront_offset 0
		.amdhsa_system_sgpr_workgroup_id_x 1
		.amdhsa_system_sgpr_workgroup_id_y 1
		.amdhsa_system_sgpr_workgroup_id_z 1
		.amdhsa_system_sgpr_workgroup_info 0
		.amdhsa_system_vgpr_workitem_id 1
		.amdhsa_next_free_vgpr 70
		.amdhsa_next_free_sgpr 24
		.amdhsa_reserve_vcc 1
		.amdhsa_reserve_flat_scratch 0
		.amdhsa_float_round_mode_32 0
		.amdhsa_float_round_mode_16_64 0
		.amdhsa_float_denorm_mode_32 3
		.amdhsa_float_denorm_mode_16_64 3
		.amdhsa_dx10_clamp 1
		.amdhsa_ieee_mode 1
		.amdhsa_fp16_overflow 0
		.amdhsa_exception_fp_ieee_invalid_op 0
		.amdhsa_exception_fp_denorm_src 0
		.amdhsa_exception_fp_ieee_div_zero 0
		.amdhsa_exception_fp_ieee_overflow 0
		.amdhsa_exception_fp_ieee_underflow 0
		.amdhsa_exception_fp_ieee_inexact 0
		.amdhsa_exception_int_div_zero 0
	.end_amdhsa_kernel
	.section	.text._ZL41rocblas_syrkx_herkx_small_restrict_kernelIl19rocblas_complex_numIfELi16ELb1ELb0ELc84ELc76EKPKS1_KPS1_EviT_T0_PT6_S7_lSA_S7_lS8_PT7_S7_li,"axG",@progbits,_ZL41rocblas_syrkx_herkx_small_restrict_kernelIl19rocblas_complex_numIfELi16ELb1ELb0ELc84ELc76EKPKS1_KPS1_EviT_T0_PT6_S7_lSA_S7_lS8_PT7_S7_li,comdat
.Lfunc_end1578:
	.size	_ZL41rocblas_syrkx_herkx_small_restrict_kernelIl19rocblas_complex_numIfELi16ELb1ELb0ELc84ELc76EKPKS1_KPS1_EviT_T0_PT6_S7_lSA_S7_lS8_PT7_S7_li, .Lfunc_end1578-_ZL41rocblas_syrkx_herkx_small_restrict_kernelIl19rocblas_complex_numIfELi16ELb1ELb0ELc84ELc76EKPKS1_KPS1_EviT_T0_PT6_S7_lSA_S7_lS8_PT7_S7_li
                                        ; -- End function
	.set _ZL41rocblas_syrkx_herkx_small_restrict_kernelIl19rocblas_complex_numIfELi16ELb1ELb0ELc84ELc76EKPKS1_KPS1_EviT_T0_PT6_S7_lSA_S7_lS8_PT7_S7_li.num_vgpr, 70
	.set _ZL41rocblas_syrkx_herkx_small_restrict_kernelIl19rocblas_complex_numIfELi16ELb1ELb0ELc84ELc76EKPKS1_KPS1_EviT_T0_PT6_S7_lSA_S7_lS8_PT7_S7_li.num_agpr, 0
	.set _ZL41rocblas_syrkx_herkx_small_restrict_kernelIl19rocblas_complex_numIfELi16ELb1ELb0ELc84ELc76EKPKS1_KPS1_EviT_T0_PT6_S7_lSA_S7_lS8_PT7_S7_li.numbered_sgpr, 24
	.set _ZL41rocblas_syrkx_herkx_small_restrict_kernelIl19rocblas_complex_numIfELi16ELb1ELb0ELc84ELc76EKPKS1_KPS1_EviT_T0_PT6_S7_lSA_S7_lS8_PT7_S7_li.num_named_barrier, 0
	.set _ZL41rocblas_syrkx_herkx_small_restrict_kernelIl19rocblas_complex_numIfELi16ELb1ELb0ELc84ELc76EKPKS1_KPS1_EviT_T0_PT6_S7_lSA_S7_lS8_PT7_S7_li.private_seg_size, 0
	.set _ZL41rocblas_syrkx_herkx_small_restrict_kernelIl19rocblas_complex_numIfELi16ELb1ELb0ELc84ELc76EKPKS1_KPS1_EviT_T0_PT6_S7_lSA_S7_lS8_PT7_S7_li.uses_vcc, 1
	.set _ZL41rocblas_syrkx_herkx_small_restrict_kernelIl19rocblas_complex_numIfELi16ELb1ELb0ELc84ELc76EKPKS1_KPS1_EviT_T0_PT6_S7_lSA_S7_lS8_PT7_S7_li.uses_flat_scratch, 0
	.set _ZL41rocblas_syrkx_herkx_small_restrict_kernelIl19rocblas_complex_numIfELi16ELb1ELb0ELc84ELc76EKPKS1_KPS1_EviT_T0_PT6_S7_lSA_S7_lS8_PT7_S7_li.has_dyn_sized_stack, 0
	.set _ZL41rocblas_syrkx_herkx_small_restrict_kernelIl19rocblas_complex_numIfELi16ELb1ELb0ELc84ELc76EKPKS1_KPS1_EviT_T0_PT6_S7_lSA_S7_lS8_PT7_S7_li.has_recursion, 0
	.set _ZL41rocblas_syrkx_herkx_small_restrict_kernelIl19rocblas_complex_numIfELi16ELb1ELb0ELc84ELc76EKPKS1_KPS1_EviT_T0_PT6_S7_lSA_S7_lS8_PT7_S7_li.has_indirect_call, 0
	.section	.AMDGPU.csdata,"",@progbits
; Kernel info:
; codeLenInByte = 1156
; TotalNumSgprs: 28
; NumVgprs: 70
; ScratchSize: 0
; MemoryBound: 0
; FloatMode: 240
; IeeeMode: 1
; LDSByteSize: 4096 bytes/workgroup (compile time only)
; SGPRBlocks: 3
; VGPRBlocks: 17
; NumSGPRsForWavesPerEU: 28
; NumVGPRsForWavesPerEU: 70
; Occupancy: 3
; WaveLimiterHint : 1
; COMPUTE_PGM_RSRC2:SCRATCH_EN: 0
; COMPUTE_PGM_RSRC2:USER_SGPR: 6
; COMPUTE_PGM_RSRC2:TRAP_HANDLER: 0
; COMPUTE_PGM_RSRC2:TGID_X_EN: 1
; COMPUTE_PGM_RSRC2:TGID_Y_EN: 1
; COMPUTE_PGM_RSRC2:TGID_Z_EN: 1
; COMPUTE_PGM_RSRC2:TIDIG_COMP_CNT: 1
	.section	.text._ZL41rocblas_syrkx_herkx_small_restrict_kernelIl19rocblas_complex_numIfELi16ELb1ELb0ELc67ELc76EKPKS1_KPS1_EviT_T0_PT6_S7_lSA_S7_lS8_PT7_S7_li,"axG",@progbits,_ZL41rocblas_syrkx_herkx_small_restrict_kernelIl19rocblas_complex_numIfELi16ELb1ELb0ELc67ELc76EKPKS1_KPS1_EviT_T0_PT6_S7_lSA_S7_lS8_PT7_S7_li,comdat
	.globl	_ZL41rocblas_syrkx_herkx_small_restrict_kernelIl19rocblas_complex_numIfELi16ELb1ELb0ELc67ELc76EKPKS1_KPS1_EviT_T0_PT6_S7_lSA_S7_lS8_PT7_S7_li ; -- Begin function _ZL41rocblas_syrkx_herkx_small_restrict_kernelIl19rocblas_complex_numIfELi16ELb1ELb0ELc67ELc76EKPKS1_KPS1_EviT_T0_PT6_S7_lSA_S7_lS8_PT7_S7_li
	.p2align	8
	.type	_ZL41rocblas_syrkx_herkx_small_restrict_kernelIl19rocblas_complex_numIfELi16ELb1ELb0ELc67ELc76EKPKS1_KPS1_EviT_T0_PT6_S7_lSA_S7_lS8_PT7_S7_li,@function
_ZL41rocblas_syrkx_herkx_small_restrict_kernelIl19rocblas_complex_numIfELi16ELb1ELb0ELc67ELc76EKPKS1_KPS1_EviT_T0_PT6_S7_lSA_S7_lS8_PT7_S7_li: ; @_ZL41rocblas_syrkx_herkx_small_restrict_kernelIl19rocblas_complex_numIfELi16ELb1ELb0ELc67ELc76EKPKS1_KPS1_EviT_T0_PT6_S7_lSA_S7_lS8_PT7_S7_li
; %bb.0:
	s_load_dwordx4 s[20:23], s[4:5], 0x50
	s_load_dwordx8 s[12:19], s[4:5], 0x8
	s_mov_b32 s9, 0
	s_lshl_b64 s[0:1], s[8:9], 3
	v_lshl_add_u32 v2, s6, 4, v0
	s_waitcnt lgkmcnt(0)
	s_add_u32 s2, s20, s0
	s_addc_u32 s3, s21, s1
	s_load_dwordx2 s[8:9], s[2:3], 0x0
	v_cmp_lt_i64_e64 s[2:3], s[12:13], 1
	v_lshl_add_u32 v8, s7, 4, v1
	s_and_b64 vcc, exec, s[2:3]
	v_ashrrev_i32_e32 v3, 31, v2
	v_ashrrev_i32_e32 v9, 31, v8
	s_cbranch_vccnz .LBB1579_6
; %bb.1:
	s_load_dwordx4 s[4:7], s[4:5], 0x30
	v_mad_u64_u32 v[4:5], s[2:3], s18, v2, 0
	v_mul_lo_u32 v6, s19, v2
	v_mul_lo_u32 v7, s18, v3
	s_waitcnt lgkmcnt(0)
	s_add_u32 s2, s4, s0
	s_addc_u32 s3, s5, s1
	s_add_u32 s0, s16, s0
	s_addc_u32 s1, s17, s1
	s_load_dwordx2 s[0:1], s[0:1], 0x0
	v_lshlrev_b32_e32 v11, 3, v1
	v_add3_u32 v5, v5, v7, v6
	v_lshlrev_b64 v[4:5], 3, v[4:5]
	s_load_dwordx2 s[2:3], s[2:3], 0x0
	s_waitcnt lgkmcnt(0)
	v_mov_b32_e32 v6, s1
	v_add_co_u32_e32 v7, vcc, s0, v11
	v_addc_co_u32_e32 v6, vcc, 0, v6, vcc
	v_add_co_u32_e32 v4, vcc, v7, v4
	v_addc_co_u32_e32 v5, vcc, v6, v5, vcc
	v_mul_lo_u32 v13, s7, v8
	v_mul_lo_u32 v14, s6, v9
	v_mad_u64_u32 v[6:7], s[0:1], s6, v8, 0
	v_lshlrev_b32_e32 v11, 3, v0
	v_mov_b32_e32 v0, s3
	v_add3_u32 v7, v7, v14, v13
	v_add_co_u32_e32 v13, vcc, s2, v11
	v_lshlrev_b32_e32 v15, 7, v1
	v_addc_co_u32_e32 v14, vcc, 0, v0, vcc
	v_lshlrev_b64 v[0:1], 3, v[6:7]
	v_mov_b32_e32 v6, s12
	v_add_co_u32_e32 v0, vcc, v13, v0
	v_add_u32_e32 v13, 0x800, v15
	v_mov_b32_e32 v10, 0
	v_add_u32_e32 v12, v11, v15
	v_addc_co_u32_e32 v1, vcc, v14, v1, vcc
	v_add_u32_e32 v14, v13, v11
	s_mov_b64 s[4:5], 0
	v_mov_b32_e32 v7, s13
	v_mov_b32_e32 v15, 0
.LBB1579_2:                             ; =>This Inner Loop Header: Depth=1
	flat_load_dwordx2 v[16:17], v[4:5]
	s_add_u32 s4, s4, 16
	s_addc_u32 s5, s5, 0
	v_cmp_lt_i64_e32 vcc, s[4:5], v[6:7]
	s_and_b64 s[0:1], exec, vcc
	s_waitcnt vmcnt(0) lgkmcnt(0)
	ds_write_b64 v12, v[16:17]
	flat_load_dwordx2 v[16:17], v[0:1]
	v_add_co_u32_e32 v0, vcc, 0x80, v0
	s_mov_b64 s[2:3], vcc
	v_add_co_u32_e32 v4, vcc, 0x80, v4
	v_addc_co_u32_e32 v5, vcc, 0, v5, vcc
	v_addc_co_u32_e64 v1, s[2:3], 0, v1, s[2:3]
	s_mov_b64 vcc, s[0:1]
	s_waitcnt vmcnt(0) lgkmcnt(0)
	ds_write_b64 v14, v[16:17]
	s_waitcnt lgkmcnt(0)
	s_barrier
	ds_read2_b64 v[16:19], v11 offset1:16
	ds_read_b128 v[20:23], v13
	ds_read_b128 v[24:27], v13 offset:16
	ds_read2_b64 v[28:31], v11 offset0:32 offset1:48
	ds_read2_b64 v[32:35], v11 offset0:64 offset1:80
	ds_read_b128 v[36:39], v13 offset:32
	ds_read_b128 v[40:43], v13 offset:48
	ds_read2_b64 v[44:47], v11 offset0:96 offset1:112
	ds_read2_b64 v[48:51], v11 offset0:128 offset1:144
	ds_read_b128 v[52:55], v13 offset:64
	ds_read_b128 v[56:59], v13 offset:80
	s_waitcnt lgkmcnt(9)
	v_mul_f32_e32 v60, v21, v17
	v_mul_f32_e32 v61, v20, v17
	;; [unrolled: 1-line block ×4, first 2 shown]
	v_fma_f32 v60, v20, v16, -v60
	v_fmac_f32_e32 v61, v21, v16
	v_fma_f32 v63, v22, v18, -v17
	v_fmac_f32_e32 v62, v23, v18
	s_waitcnt lgkmcnt(7)
	v_mul_f32_e32 v20, v25, v29
	v_mul_f32_e32 v64, v24, v29
	v_add_f32_e32 v15, v15, v60
	v_add_f32_e32 v10, v10, v61
	v_mul_f32_e32 v21, v27, v31
	v_mul_f32_e32 v65, v26, v31
	v_fma_f32 v66, v24, v28, -v20
	v_fmac_f32_e32 v64, v25, v28
	v_add_f32_e32 v15, v15, v63
	v_add_f32_e32 v10, v10, v62
	v_fma_f32 v67, v26, v30, -v21
	v_fmac_f32_e32 v65, v27, v30
	s_waitcnt lgkmcnt(5)
	v_mul_f32_e32 v24, v37, v33
	v_mul_f32_e32 v68, v36, v33
	v_add_f32_e32 v15, v15, v66
	v_add_f32_e32 v10, v10, v64
	ds_read2_b64 v[16:19], v11 offset0:160 offset1:176
	v_mul_f32_e32 v25, v39, v35
	v_mul_f32_e32 v69, v38, v35
	v_fma_f32 v36, v36, v32, -v24
	v_fmac_f32_e32 v68, v37, v32
	v_add_f32_e32 v15, v15, v67
	v_add_f32_e32 v10, v10, v65
	v_fma_f32 v37, v38, v34, -v25
	v_fmac_f32_e32 v69, v39, v34
	s_waitcnt lgkmcnt(4)
	v_mul_f32_e32 v28, v41, v45
	v_mul_f32_e32 v38, v40, v45
	v_add_f32_e32 v15, v15, v36
	v_add_f32_e32 v10, v10, v68
	ds_read2_b64 v[20:23], v11 offset0:192 offset1:208
	ds_read_b128 v[24:27], v13 offset:96
	v_mul_f32_e32 v29, v43, v47
	v_mul_f32_e32 v39, v42, v47
	v_fma_f32 v40, v40, v44, -v28
	v_fmac_f32_e32 v38, v41, v44
	v_add_f32_e32 v15, v15, v37
	v_add_f32_e32 v10, v10, v69
	v_fma_f32 v41, v42, v46, -v29
	v_fmac_f32_e32 v39, v43, v46
	s_waitcnt lgkmcnt(4)
	v_mul_f32_e32 v32, v53, v49
	v_mul_f32_e32 v42, v52, v49
	;; [unrolled: 1-line block ×3, first 2 shown]
	v_add_f32_e32 v15, v15, v40
	v_add_f32_e32 v10, v10, v38
	ds_read_b128 v[28:31], v13 offset:112
	v_mul_f32_e32 v43, v54, v51
	v_fma_f32 v44, v52, v48, -v32
	v_fmac_f32_e32 v42, v53, v48
	v_fma_f32 v45, v54, v50, -v33
	ds_read2_b64 v[32:35], v11 offset0:224 offset1:240
	v_add_f32_e32 v15, v15, v41
	v_add_f32_e32 v10, v10, v39
	v_fmac_f32_e32 v43, v55, v50
	s_waitcnt lgkmcnt(4)
	v_mul_f32_e32 v46, v57, v17
	v_mul_f32_e32 v17, v56, v17
	v_add_f32_e32 v15, v15, v44
	v_add_f32_e32 v10, v10, v42
	v_mul_f32_e32 v47, v59, v19
	v_mul_f32_e32 v19, v58, v19
	v_fma_f32 v46, v56, v16, -v46
	v_fmac_f32_e32 v17, v57, v16
	v_add_f32_e32 v15, v15, v45
	v_add_f32_e32 v10, v10, v43
	v_fma_f32 v16, v58, v18, -v47
	v_fmac_f32_e32 v19, v59, v18
	s_waitcnt lgkmcnt(2)
	v_mul_f32_e32 v18, v25, v21
	v_mul_f32_e32 v21, v24, v21
	v_add_f32_e32 v15, v15, v46
	v_add_f32_e32 v10, v10, v17
	v_mul_f32_e32 v47, v27, v23
	v_mul_f32_e32 v23, v26, v23
	v_fma_f32 v18, v24, v20, -v18
	v_fmac_f32_e32 v21, v25, v20
	v_add_f32_e32 v15, v15, v16
	v_add_f32_e32 v10, v10, v19
	s_waitcnt lgkmcnt(0)
	v_mul_f32_e32 v48, v29, v33
	v_mul_f32_e32 v33, v28, v33
	v_fma_f32 v20, v26, v22, -v47
	v_fmac_f32_e32 v23, v27, v22
	v_add_f32_e32 v15, v15, v18
	v_add_f32_e32 v10, v10, v21
	v_mul_f32_e32 v49, v31, v35
	v_mul_f32_e32 v35, v30, v35
	v_fma_f32 v22, v28, v32, -v48
	v_fmac_f32_e32 v33, v29, v32
	v_add_f32_e32 v15, v15, v20
	v_add_f32_e32 v10, v10, v23
	v_fma_f32 v24, v30, v34, -v49
	v_fmac_f32_e32 v35, v31, v34
	v_add_f32_e32 v15, v15, v22
	v_add_f32_e32 v10, v10, v33
	;; [unrolled: 1-line block ×4, first 2 shown]
	s_barrier
	s_cbranch_vccnz .LBB1579_2
; %bb.3:
	v_cmp_le_i32_e32 vcc, v8, v2
	s_and_saveexec_b64 s[0:1], vcc
	s_cbranch_execz .LBB1579_5
.LBB1579_4:
	v_mul_lo_u32 v6, s23, v8
	v_mul_lo_u32 v7, s22, v9
	v_mad_u64_u32 v[0:1], s[0:1], s22, v8, 0
	v_mul_f32_e32 v4, s15, v10
	v_mul_f32_e32 v5, s14, v10
	v_add3_u32 v1, v1, v7, v6
	v_lshlrev_b64 v[0:1], 3, v[0:1]
	s_waitcnt lgkmcnt(0)
	v_mov_b32_e32 v6, s9
	v_add_co_u32_e32 v7, vcc, s8, v0
	v_addc_co_u32_e32 v6, vcc, v6, v1, vcc
	v_lshlrev_b64 v[0:1], 3, v[2:3]
	v_fma_f32 v4, v15, s14, -v4
	v_add_co_u32_e32 v0, vcc, v7, v0
	v_fmac_f32_e32 v5, s15, v15
	v_addc_co_u32_e32 v1, vcc, v6, v1, vcc
	flat_store_dwordx2 v[0:1], v[4:5]
.LBB1579_5:
	s_endpgm
.LBB1579_6:
	v_mov_b32_e32 v10, 0
	v_mov_b32_e32 v15, 0
	v_cmp_le_i32_e32 vcc, v8, v2
	s_and_saveexec_b64 s[0:1], vcc
	s_cbranch_execnz .LBB1579_4
	s_branch .LBB1579_5
	.section	.rodata,"a",@progbits
	.p2align	6, 0x0
	.amdhsa_kernel _ZL41rocblas_syrkx_herkx_small_restrict_kernelIl19rocblas_complex_numIfELi16ELb1ELb0ELc67ELc76EKPKS1_KPS1_EviT_T0_PT6_S7_lSA_S7_lS8_PT7_S7_li
		.amdhsa_group_segment_fixed_size 4096
		.amdhsa_private_segment_fixed_size 0
		.amdhsa_kernarg_size 108
		.amdhsa_user_sgpr_count 6
		.amdhsa_user_sgpr_private_segment_buffer 1
		.amdhsa_user_sgpr_dispatch_ptr 0
		.amdhsa_user_sgpr_queue_ptr 0
		.amdhsa_user_sgpr_kernarg_segment_ptr 1
		.amdhsa_user_sgpr_dispatch_id 0
		.amdhsa_user_sgpr_flat_scratch_init 0
		.amdhsa_user_sgpr_private_segment_size 0
		.amdhsa_uses_dynamic_stack 0
		.amdhsa_system_sgpr_private_segment_wavefront_offset 0
		.amdhsa_system_sgpr_workgroup_id_x 1
		.amdhsa_system_sgpr_workgroup_id_y 1
		.amdhsa_system_sgpr_workgroup_id_z 1
		.amdhsa_system_sgpr_workgroup_info 0
		.amdhsa_system_vgpr_workitem_id 1
		.amdhsa_next_free_vgpr 70
		.amdhsa_next_free_sgpr 24
		.amdhsa_reserve_vcc 1
		.amdhsa_reserve_flat_scratch 0
		.amdhsa_float_round_mode_32 0
		.amdhsa_float_round_mode_16_64 0
		.amdhsa_float_denorm_mode_32 3
		.amdhsa_float_denorm_mode_16_64 3
		.amdhsa_dx10_clamp 1
		.amdhsa_ieee_mode 1
		.amdhsa_fp16_overflow 0
		.amdhsa_exception_fp_ieee_invalid_op 0
		.amdhsa_exception_fp_denorm_src 0
		.amdhsa_exception_fp_ieee_div_zero 0
		.amdhsa_exception_fp_ieee_overflow 0
		.amdhsa_exception_fp_ieee_underflow 0
		.amdhsa_exception_fp_ieee_inexact 0
		.amdhsa_exception_int_div_zero 0
	.end_amdhsa_kernel
	.section	.text._ZL41rocblas_syrkx_herkx_small_restrict_kernelIl19rocblas_complex_numIfELi16ELb1ELb0ELc67ELc76EKPKS1_KPS1_EviT_T0_PT6_S7_lSA_S7_lS8_PT7_S7_li,"axG",@progbits,_ZL41rocblas_syrkx_herkx_small_restrict_kernelIl19rocblas_complex_numIfELi16ELb1ELb0ELc67ELc76EKPKS1_KPS1_EviT_T0_PT6_S7_lSA_S7_lS8_PT7_S7_li,comdat
.Lfunc_end1579:
	.size	_ZL41rocblas_syrkx_herkx_small_restrict_kernelIl19rocblas_complex_numIfELi16ELb1ELb0ELc67ELc76EKPKS1_KPS1_EviT_T0_PT6_S7_lSA_S7_lS8_PT7_S7_li, .Lfunc_end1579-_ZL41rocblas_syrkx_herkx_small_restrict_kernelIl19rocblas_complex_numIfELi16ELb1ELb0ELc67ELc76EKPKS1_KPS1_EviT_T0_PT6_S7_lSA_S7_lS8_PT7_S7_li
                                        ; -- End function
	.set _ZL41rocblas_syrkx_herkx_small_restrict_kernelIl19rocblas_complex_numIfELi16ELb1ELb0ELc67ELc76EKPKS1_KPS1_EviT_T0_PT6_S7_lSA_S7_lS8_PT7_S7_li.num_vgpr, 70
	.set _ZL41rocblas_syrkx_herkx_small_restrict_kernelIl19rocblas_complex_numIfELi16ELb1ELb0ELc67ELc76EKPKS1_KPS1_EviT_T0_PT6_S7_lSA_S7_lS8_PT7_S7_li.num_agpr, 0
	.set _ZL41rocblas_syrkx_herkx_small_restrict_kernelIl19rocblas_complex_numIfELi16ELb1ELb0ELc67ELc76EKPKS1_KPS1_EviT_T0_PT6_S7_lSA_S7_lS8_PT7_S7_li.numbered_sgpr, 24
	.set _ZL41rocblas_syrkx_herkx_small_restrict_kernelIl19rocblas_complex_numIfELi16ELb1ELb0ELc67ELc76EKPKS1_KPS1_EviT_T0_PT6_S7_lSA_S7_lS8_PT7_S7_li.num_named_barrier, 0
	.set _ZL41rocblas_syrkx_herkx_small_restrict_kernelIl19rocblas_complex_numIfELi16ELb1ELb0ELc67ELc76EKPKS1_KPS1_EviT_T0_PT6_S7_lSA_S7_lS8_PT7_S7_li.private_seg_size, 0
	.set _ZL41rocblas_syrkx_herkx_small_restrict_kernelIl19rocblas_complex_numIfELi16ELb1ELb0ELc67ELc76EKPKS1_KPS1_EviT_T0_PT6_S7_lSA_S7_lS8_PT7_S7_li.uses_vcc, 1
	.set _ZL41rocblas_syrkx_herkx_small_restrict_kernelIl19rocblas_complex_numIfELi16ELb1ELb0ELc67ELc76EKPKS1_KPS1_EviT_T0_PT6_S7_lSA_S7_lS8_PT7_S7_li.uses_flat_scratch, 0
	.set _ZL41rocblas_syrkx_herkx_small_restrict_kernelIl19rocblas_complex_numIfELi16ELb1ELb0ELc67ELc76EKPKS1_KPS1_EviT_T0_PT6_S7_lSA_S7_lS8_PT7_S7_li.has_dyn_sized_stack, 0
	.set _ZL41rocblas_syrkx_herkx_small_restrict_kernelIl19rocblas_complex_numIfELi16ELb1ELb0ELc67ELc76EKPKS1_KPS1_EviT_T0_PT6_S7_lSA_S7_lS8_PT7_S7_li.has_recursion, 0
	.set _ZL41rocblas_syrkx_herkx_small_restrict_kernelIl19rocblas_complex_numIfELi16ELb1ELb0ELc67ELc76EKPKS1_KPS1_EviT_T0_PT6_S7_lSA_S7_lS8_PT7_S7_li.has_indirect_call, 0
	.section	.AMDGPU.csdata,"",@progbits
; Kernel info:
; codeLenInByte = 1156
; TotalNumSgprs: 28
; NumVgprs: 70
; ScratchSize: 0
; MemoryBound: 0
; FloatMode: 240
; IeeeMode: 1
; LDSByteSize: 4096 bytes/workgroup (compile time only)
; SGPRBlocks: 3
; VGPRBlocks: 17
; NumSGPRsForWavesPerEU: 28
; NumVGPRsForWavesPerEU: 70
; Occupancy: 3
; WaveLimiterHint : 1
; COMPUTE_PGM_RSRC2:SCRATCH_EN: 0
; COMPUTE_PGM_RSRC2:USER_SGPR: 6
; COMPUTE_PGM_RSRC2:TRAP_HANDLER: 0
; COMPUTE_PGM_RSRC2:TGID_X_EN: 1
; COMPUTE_PGM_RSRC2:TGID_Y_EN: 1
; COMPUTE_PGM_RSRC2:TGID_Z_EN: 1
; COMPUTE_PGM_RSRC2:TIDIG_COMP_CNT: 1
	.section	.text._ZL41rocblas_syrkx_herkx_small_restrict_kernelIl19rocblas_complex_numIfELi16ELb1ELb0ELc78ELc76EKPKS1_KPS1_EviT_T0_PT6_S7_lSA_S7_lS8_PT7_S7_li,"axG",@progbits,_ZL41rocblas_syrkx_herkx_small_restrict_kernelIl19rocblas_complex_numIfELi16ELb1ELb0ELc78ELc76EKPKS1_KPS1_EviT_T0_PT6_S7_lSA_S7_lS8_PT7_S7_li,comdat
	.globl	_ZL41rocblas_syrkx_herkx_small_restrict_kernelIl19rocblas_complex_numIfELi16ELb1ELb0ELc78ELc76EKPKS1_KPS1_EviT_T0_PT6_S7_lSA_S7_lS8_PT7_S7_li ; -- Begin function _ZL41rocblas_syrkx_herkx_small_restrict_kernelIl19rocblas_complex_numIfELi16ELb1ELb0ELc78ELc76EKPKS1_KPS1_EviT_T0_PT6_S7_lSA_S7_lS8_PT7_S7_li
	.p2align	8
	.type	_ZL41rocblas_syrkx_herkx_small_restrict_kernelIl19rocblas_complex_numIfELi16ELb1ELb0ELc78ELc76EKPKS1_KPS1_EviT_T0_PT6_S7_lSA_S7_lS8_PT7_S7_li,@function
_ZL41rocblas_syrkx_herkx_small_restrict_kernelIl19rocblas_complex_numIfELi16ELb1ELb0ELc78ELc76EKPKS1_KPS1_EviT_T0_PT6_S7_lSA_S7_lS8_PT7_S7_li: ; @_ZL41rocblas_syrkx_herkx_small_restrict_kernelIl19rocblas_complex_numIfELi16ELb1ELb0ELc78ELc76EKPKS1_KPS1_EviT_T0_PT6_S7_lSA_S7_lS8_PT7_S7_li
; %bb.0:
	s_load_dwordx4 s[0:3], s[4:5], 0x50
	s_load_dwordx8 s[12:19], s[4:5], 0x8
	s_mov_b32 s9, 0
	s_lshl_b64 s[10:11], s[8:9], 3
	v_lshl_add_u32 v2, s6, 4, v0
	s_waitcnt lgkmcnt(0)
	s_add_u32 s0, s0, s10
	s_addc_u32 s1, s1, s11
	s_load_dwordx2 s[8:9], s[0:1], 0x0
	v_cmp_lt_i64_e64 s[0:1], s[12:13], 1
	v_lshl_add_u32 v4, s7, 4, v1
	s_and_b64 vcc, exec, s[0:1]
	v_ashrrev_i32_e32 v3, 31, v2
	v_ashrrev_i32_e32 v5, 31, v4
	s_cbranch_vccnz .LBB1580_6
; %bb.1:
	s_load_dwordx4 s[4:7], s[4:5], 0x30
	v_lshlrev_b32_e32 v9, 7, v1
	v_lshlrev_b32_e32 v10, 3, v0
	v_add_u32_e32 v11, v10, v9
	v_add_u32_e32 v12, 0x800, v9
	s_waitcnt lgkmcnt(0)
	s_add_u32 s0, s4, s10
	v_mad_u64_u32 v[6:7], s[20:21], s6, v0, 0
	s_addc_u32 s1, s5, s11
	s_add_u32 s4, s16, s10
	s_addc_u32 s5, s17, s11
	s_load_dwordx2 s[10:11], s[4:5], 0x0
	v_mad_u64_u32 v[7:8], s[4:5], s7, v0, v[7:8]
	v_mad_u64_u32 v[14:15], s[4:5], s18, v1, 0
	v_lshlrev_b64 v[6:7], 3, v[6:7]
	v_lshlrev_b64 v[8:9], 3, v[4:5]
	s_load_dwordx2 s[0:1], s[0:1], 0x0
	v_add_co_u32_e32 v8, vcc, v6, v8
	v_mov_b32_e32 v0, v15
	v_addc_co_u32_e32 v9, vcc, v7, v9, vcc
	v_mad_u64_u32 v[6:7], s[4:5], s19, v1, v[0:1]
	s_waitcnt lgkmcnt(0)
	v_mov_b32_e32 v16, s1
	v_add_co_u32_e32 v0, vcc, s0, v8
	v_mov_b32_e32 v15, v6
	v_addc_co_u32_e32 v1, vcc, v16, v9, vcc
	v_lshlrev_b64 v[6:7], 3, v[14:15]
	v_lshlrev_b64 v[8:9], 3, v[2:3]
	s_lshl_b64 s[4:5], s[6:7], 7
	v_add_co_u32_e32 v6, vcc, v6, v8
	v_addc_co_u32_e32 v7, vcc, v7, v9, vcc
	v_mov_b32_e32 v8, s11
	v_add_co_u32_e32 v6, vcc, s10, v6
	v_addc_co_u32_e32 v7, vcc, v8, v7, vcc
	s_lshl_b64 s[6:7], s[18:19], 7
	v_mov_b32_e32 v8, s12
	v_add_u32_e32 v13, v12, v10
	v_mov_b32_e32 v14, 0
	s_mov_b64 s[10:11], 0
	v_mov_b32_e32 v15, s5
	v_mov_b32_e32 v16, s7
	;; [unrolled: 1-line block ×4, first 2 shown]
.LBB1580_2:                             ; =>This Inner Loop Header: Depth=1
	flat_load_dwordx2 v[18:19], v[6:7]
	s_add_u32 s10, s10, 16
	v_add_co_u32_e32 v6, vcc, s6, v6
	v_addc_co_u32_e32 v7, vcc, v7, v16, vcc
	s_addc_u32 s11, s11, 0
	v_cmp_lt_i64_e32 vcc, s[10:11], v[8:9]
	s_and_b64 vcc, exec, vcc
	s_waitcnt vmcnt(0) lgkmcnt(0)
	ds_write_b64 v11, v[18:19]
	flat_load_dwordx2 v[18:19], v[0:1]
	v_add_co_u32_e64 v0, s[0:1], s4, v0
	v_addc_co_u32_e64 v1, s[0:1], v1, v15, s[0:1]
	s_waitcnt vmcnt(0) lgkmcnt(0)
	ds_write_b64 v13, v[18:19]
	s_waitcnt lgkmcnt(0)
	s_barrier
	ds_read2_b64 v[18:21], v10 offset1:16
	ds_read_b128 v[22:25], v12
	ds_read_b128 v[26:29], v12 offset:16
	ds_read2_b64 v[30:33], v10 offset0:32 offset1:48
	ds_read2_b64 v[34:37], v10 offset0:64 offset1:80
	ds_read_b128 v[38:41], v12 offset:32
	ds_read_b128 v[42:45], v12 offset:48
	ds_read2_b64 v[46:49], v10 offset0:96 offset1:112
	ds_read2_b64 v[50:53], v10 offset0:128 offset1:144
	ds_read_b128 v[54:57], v12 offset:64
	s_waitcnt lgkmcnt(8)
	v_mul_f32_e32 v58, v23, v19
	v_mul_f32_e32 v59, v22, v19
	v_mul_f32_e32 v19, v25, v21
	v_mul_f32_e32 v60, v24, v21
	v_fma_f32 v58, v22, v18, -v58
	v_fmac_f32_e32 v59, v23, v18
	v_fma_f32 v61, v24, v20, -v19
	v_fmac_f32_e32 v60, v25, v20
	s_waitcnt lgkmcnt(6)
	v_mul_f32_e32 v22, v27, v31
	v_mul_f32_e32 v62, v26, v31
	;; [unrolled: 1-line block ×3, first 2 shown]
	v_add_f32_e32 v17, v17, v58
	v_add_f32_e32 v14, v14, v59
	ds_read_b128 v[18:21], v12 offset:80
	v_mul_f32_e32 v63, v28, v33
	v_fma_f32 v64, v26, v30, -v22
	v_fmac_f32_e32 v62, v27, v30
	v_fma_f32 v65, v28, v32, -v23
	ds_read2_b64 v[22:25], v10 offset0:160 offset1:176
	v_add_f32_e32 v17, v17, v61
	v_add_f32_e32 v14, v14, v60
	v_fmac_f32_e32 v63, v29, v32
	s_waitcnt lgkmcnt(6)
	v_mul_f32_e32 v26, v39, v35
	v_mul_f32_e32 v66, v38, v35
	v_add_f32_e32 v17, v17, v64
	v_add_f32_e32 v14, v14, v62
	v_mul_f32_e32 v27, v41, v37
	v_mul_f32_e32 v67, v40, v37
	v_fma_f32 v38, v38, v34, -v26
	v_fmac_f32_e32 v66, v39, v34
	v_add_f32_e32 v17, v17, v65
	v_add_f32_e32 v14, v14, v63
	v_fma_f32 v39, v40, v36, -v27
	v_fmac_f32_e32 v67, v41, v36
	s_waitcnt lgkmcnt(4)
	v_mul_f32_e32 v30, v43, v47
	v_mul_f32_e32 v40, v42, v47
	;; [unrolled: 1-line block ×3, first 2 shown]
	v_add_f32_e32 v17, v17, v38
	v_add_f32_e32 v14, v14, v66
	ds_read2_b64 v[26:29], v10 offset0:192 offset1:208
	v_mul_f32_e32 v41, v44, v49
	v_fma_f32 v42, v42, v46, -v30
	v_fmac_f32_e32 v40, v43, v46
	v_fma_f32 v43, v44, v48, -v31
	ds_read_b128 v[30:33], v12 offset:96
	v_add_f32_e32 v17, v17, v39
	v_add_f32_e32 v14, v14, v67
	v_fmac_f32_e32 v41, v45, v48
	s_waitcnt lgkmcnt(4)
	v_mul_f32_e32 v34, v55, v51
	v_mul_f32_e32 v44, v54, v51
	v_mul_f32_e32 v35, v57, v53
	s_waitcnt lgkmcnt(2)
	v_mul_f32_e32 v48, v19, v23
	v_mul_f32_e32 v23, v18, v23
	;; [unrolled: 1-line block ×4, first 2 shown]
	v_add_f32_e32 v17, v17, v42
	v_add_f32_e32 v14, v14, v40
	v_mul_f32_e32 v45, v56, v53
	v_fma_f32 v46, v54, v50, -v34
	v_fmac_f32_e32 v44, v55, v50
	v_fma_f32 v47, v56, v52, -v35
	ds_read_b128 v[34:37], v12 offset:112
	v_fma_f32 v48, v18, v22, -v48
	v_fmac_f32_e32 v23, v19, v22
	v_fma_f32 v22, v20, v24, -v49
	v_fmac_f32_e32 v25, v21, v24
	ds_read2_b64 v[18:21], v10 offset0:224 offset1:240
	v_add_f32_e32 v17, v17, v43
	v_add_f32_e32 v14, v14, v41
	v_fmac_f32_e32 v45, v57, v52
	v_add_f32_e32 v17, v17, v46
	v_add_f32_e32 v14, v14, v44
	;; [unrolled: 1-line block ×4, first 2 shown]
	s_waitcnt lgkmcnt(2)
	v_mul_f32_e32 v24, v31, v27
	v_mul_f32_e32 v27, v30, v27
	v_add_f32_e32 v17, v17, v48
	v_add_f32_e32 v14, v14, v23
	v_mul_f32_e32 v49, v33, v29
	v_mul_f32_e32 v29, v32, v29
	v_fma_f32 v24, v30, v26, -v24
	v_fmac_f32_e32 v27, v31, v26
	v_add_f32_e32 v17, v17, v22
	v_add_f32_e32 v14, v14, v25
	s_waitcnt lgkmcnt(0)
	v_mul_f32_e32 v50, v35, v19
	v_mul_f32_e32 v19, v34, v19
	v_fma_f32 v26, v32, v28, -v49
	v_fmac_f32_e32 v29, v33, v28
	v_add_f32_e32 v17, v17, v24
	v_add_f32_e32 v14, v14, v27
	v_mul_f32_e32 v28, v37, v21
	v_mul_f32_e32 v21, v36, v21
	v_fma_f32 v30, v34, v18, -v50
	v_fmac_f32_e32 v19, v35, v18
	v_add_f32_e32 v17, v17, v26
	v_add_f32_e32 v14, v14, v29
	v_fma_f32 v18, v36, v20, -v28
	v_fmac_f32_e32 v21, v37, v20
	v_add_f32_e32 v17, v17, v30
	v_add_f32_e32 v14, v14, v19
	;; [unrolled: 1-line block ×4, first 2 shown]
	s_barrier
	s_cbranch_vccnz .LBB1580_2
; %bb.3:
	v_cmp_le_i32_e32 vcc, v4, v2
	s_and_saveexec_b64 s[0:1], vcc
	s_cbranch_execz .LBB1580_5
.LBB1580_4:
	v_mul_lo_u32 v7, s3, v4
	v_mul_lo_u32 v8, s2, v5
	v_mad_u64_u32 v[0:1], s[0:1], s2, v4, 0
	v_mul_f32_e32 v6, s15, v14
	v_fma_f32 v4, v17, s14, -v6
	v_add3_u32 v1, v1, v8, v7
	v_lshlrev_b64 v[0:1], 3, v[0:1]
	s_waitcnt lgkmcnt(0)
	v_mov_b32_e32 v6, s9
	v_add_co_u32_e32 v7, vcc, s8, v0
	v_addc_co_u32_e32 v6, vcc, v6, v1, vcc
	v_lshlrev_b64 v[0:1], 3, v[2:3]
	v_mul_f32_e32 v5, s14, v14
	v_add_co_u32_e32 v0, vcc, v7, v0
	v_fmac_f32_e32 v5, s15, v17
	v_addc_co_u32_e32 v1, vcc, v6, v1, vcc
	flat_store_dwordx2 v[0:1], v[4:5]
.LBB1580_5:
	s_endpgm
.LBB1580_6:
	v_mov_b32_e32 v14, 0
	v_mov_b32_e32 v17, 0
	v_cmp_le_i32_e32 vcc, v4, v2
	s_and_saveexec_b64 s[0:1], vcc
	s_cbranch_execnz .LBB1580_4
	s_branch .LBB1580_5
	.section	.rodata,"a",@progbits
	.p2align	6, 0x0
	.amdhsa_kernel _ZL41rocblas_syrkx_herkx_small_restrict_kernelIl19rocblas_complex_numIfELi16ELb1ELb0ELc78ELc76EKPKS1_KPS1_EviT_T0_PT6_S7_lSA_S7_lS8_PT7_S7_li
		.amdhsa_group_segment_fixed_size 4096
		.amdhsa_private_segment_fixed_size 0
		.amdhsa_kernarg_size 108
		.amdhsa_user_sgpr_count 6
		.amdhsa_user_sgpr_private_segment_buffer 1
		.amdhsa_user_sgpr_dispatch_ptr 0
		.amdhsa_user_sgpr_queue_ptr 0
		.amdhsa_user_sgpr_kernarg_segment_ptr 1
		.amdhsa_user_sgpr_dispatch_id 0
		.amdhsa_user_sgpr_flat_scratch_init 0
		.amdhsa_user_sgpr_private_segment_size 0
		.amdhsa_uses_dynamic_stack 0
		.amdhsa_system_sgpr_private_segment_wavefront_offset 0
		.amdhsa_system_sgpr_workgroup_id_x 1
		.amdhsa_system_sgpr_workgroup_id_y 1
		.amdhsa_system_sgpr_workgroup_id_z 1
		.amdhsa_system_sgpr_workgroup_info 0
		.amdhsa_system_vgpr_workitem_id 1
		.amdhsa_next_free_vgpr 68
		.amdhsa_next_free_sgpr 22
		.amdhsa_reserve_vcc 1
		.amdhsa_reserve_flat_scratch 0
		.amdhsa_float_round_mode_32 0
		.amdhsa_float_round_mode_16_64 0
		.amdhsa_float_denorm_mode_32 3
		.amdhsa_float_denorm_mode_16_64 3
		.amdhsa_dx10_clamp 1
		.amdhsa_ieee_mode 1
		.amdhsa_fp16_overflow 0
		.amdhsa_exception_fp_ieee_invalid_op 0
		.amdhsa_exception_fp_denorm_src 0
		.amdhsa_exception_fp_ieee_div_zero 0
		.amdhsa_exception_fp_ieee_overflow 0
		.amdhsa_exception_fp_ieee_underflow 0
		.amdhsa_exception_fp_ieee_inexact 0
		.amdhsa_exception_int_div_zero 0
	.end_amdhsa_kernel
	.section	.text._ZL41rocblas_syrkx_herkx_small_restrict_kernelIl19rocblas_complex_numIfELi16ELb1ELb0ELc78ELc76EKPKS1_KPS1_EviT_T0_PT6_S7_lSA_S7_lS8_PT7_S7_li,"axG",@progbits,_ZL41rocblas_syrkx_herkx_small_restrict_kernelIl19rocblas_complex_numIfELi16ELb1ELb0ELc78ELc76EKPKS1_KPS1_EviT_T0_PT6_S7_lSA_S7_lS8_PT7_S7_li,comdat
.Lfunc_end1580:
	.size	_ZL41rocblas_syrkx_herkx_small_restrict_kernelIl19rocblas_complex_numIfELi16ELb1ELb0ELc78ELc76EKPKS1_KPS1_EviT_T0_PT6_S7_lSA_S7_lS8_PT7_S7_li, .Lfunc_end1580-_ZL41rocblas_syrkx_herkx_small_restrict_kernelIl19rocblas_complex_numIfELi16ELb1ELb0ELc78ELc76EKPKS1_KPS1_EviT_T0_PT6_S7_lSA_S7_lS8_PT7_S7_li
                                        ; -- End function
	.set _ZL41rocblas_syrkx_herkx_small_restrict_kernelIl19rocblas_complex_numIfELi16ELb1ELb0ELc78ELc76EKPKS1_KPS1_EviT_T0_PT6_S7_lSA_S7_lS8_PT7_S7_li.num_vgpr, 68
	.set _ZL41rocblas_syrkx_herkx_small_restrict_kernelIl19rocblas_complex_numIfELi16ELb1ELb0ELc78ELc76EKPKS1_KPS1_EviT_T0_PT6_S7_lSA_S7_lS8_PT7_S7_li.num_agpr, 0
	.set _ZL41rocblas_syrkx_herkx_small_restrict_kernelIl19rocblas_complex_numIfELi16ELb1ELb0ELc78ELc76EKPKS1_KPS1_EviT_T0_PT6_S7_lSA_S7_lS8_PT7_S7_li.numbered_sgpr, 22
	.set _ZL41rocblas_syrkx_herkx_small_restrict_kernelIl19rocblas_complex_numIfELi16ELb1ELb0ELc78ELc76EKPKS1_KPS1_EviT_T0_PT6_S7_lSA_S7_lS8_PT7_S7_li.num_named_barrier, 0
	.set _ZL41rocblas_syrkx_herkx_small_restrict_kernelIl19rocblas_complex_numIfELi16ELb1ELb0ELc78ELc76EKPKS1_KPS1_EviT_T0_PT6_S7_lSA_S7_lS8_PT7_S7_li.private_seg_size, 0
	.set _ZL41rocblas_syrkx_herkx_small_restrict_kernelIl19rocblas_complex_numIfELi16ELb1ELb0ELc78ELc76EKPKS1_KPS1_EviT_T0_PT6_S7_lSA_S7_lS8_PT7_S7_li.uses_vcc, 1
	.set _ZL41rocblas_syrkx_herkx_small_restrict_kernelIl19rocblas_complex_numIfELi16ELb1ELb0ELc78ELc76EKPKS1_KPS1_EviT_T0_PT6_S7_lSA_S7_lS8_PT7_S7_li.uses_flat_scratch, 0
	.set _ZL41rocblas_syrkx_herkx_small_restrict_kernelIl19rocblas_complex_numIfELi16ELb1ELb0ELc78ELc76EKPKS1_KPS1_EviT_T0_PT6_S7_lSA_S7_lS8_PT7_S7_li.has_dyn_sized_stack, 0
	.set _ZL41rocblas_syrkx_herkx_small_restrict_kernelIl19rocblas_complex_numIfELi16ELb1ELb0ELc78ELc76EKPKS1_KPS1_EviT_T0_PT6_S7_lSA_S7_lS8_PT7_S7_li.has_recursion, 0
	.set _ZL41rocblas_syrkx_herkx_small_restrict_kernelIl19rocblas_complex_numIfELi16ELb1ELb0ELc78ELc76EKPKS1_KPS1_EviT_T0_PT6_S7_lSA_S7_lS8_PT7_S7_li.has_indirect_call, 0
	.section	.AMDGPU.csdata,"",@progbits
; Kernel info:
; codeLenInByte = 1148
; TotalNumSgprs: 26
; NumVgprs: 68
; ScratchSize: 0
; MemoryBound: 0
; FloatMode: 240
; IeeeMode: 1
; LDSByteSize: 4096 bytes/workgroup (compile time only)
; SGPRBlocks: 3
; VGPRBlocks: 16
; NumSGPRsForWavesPerEU: 26
; NumVGPRsForWavesPerEU: 68
; Occupancy: 3
; WaveLimiterHint : 1
; COMPUTE_PGM_RSRC2:SCRATCH_EN: 0
; COMPUTE_PGM_RSRC2:USER_SGPR: 6
; COMPUTE_PGM_RSRC2:TRAP_HANDLER: 0
; COMPUTE_PGM_RSRC2:TGID_X_EN: 1
; COMPUTE_PGM_RSRC2:TGID_Y_EN: 1
; COMPUTE_PGM_RSRC2:TGID_Z_EN: 1
; COMPUTE_PGM_RSRC2:TIDIG_COMP_CNT: 1
	.section	.text._ZL41rocblas_syrkx_herkx_small_restrict_kernelIl19rocblas_complex_numIfELi16ELb1ELb0ELc84ELc85EKPKS1_KPS1_EviT_T0_PT6_S7_lSA_S7_lS8_PT7_S7_li,"axG",@progbits,_ZL41rocblas_syrkx_herkx_small_restrict_kernelIl19rocblas_complex_numIfELi16ELb1ELb0ELc84ELc85EKPKS1_KPS1_EviT_T0_PT6_S7_lSA_S7_lS8_PT7_S7_li,comdat
	.globl	_ZL41rocblas_syrkx_herkx_small_restrict_kernelIl19rocblas_complex_numIfELi16ELb1ELb0ELc84ELc85EKPKS1_KPS1_EviT_T0_PT6_S7_lSA_S7_lS8_PT7_S7_li ; -- Begin function _ZL41rocblas_syrkx_herkx_small_restrict_kernelIl19rocblas_complex_numIfELi16ELb1ELb0ELc84ELc85EKPKS1_KPS1_EviT_T0_PT6_S7_lSA_S7_lS8_PT7_S7_li
	.p2align	8
	.type	_ZL41rocblas_syrkx_herkx_small_restrict_kernelIl19rocblas_complex_numIfELi16ELb1ELb0ELc84ELc85EKPKS1_KPS1_EviT_T0_PT6_S7_lSA_S7_lS8_PT7_S7_li,@function
_ZL41rocblas_syrkx_herkx_small_restrict_kernelIl19rocblas_complex_numIfELi16ELb1ELb0ELc84ELc85EKPKS1_KPS1_EviT_T0_PT6_S7_lSA_S7_lS8_PT7_S7_li: ; @_ZL41rocblas_syrkx_herkx_small_restrict_kernelIl19rocblas_complex_numIfELi16ELb1ELb0ELc84ELc85EKPKS1_KPS1_EviT_T0_PT6_S7_lSA_S7_lS8_PT7_S7_li
; %bb.0:
	s_load_dwordx4 s[20:23], s[4:5], 0x50
	s_load_dwordx8 s[12:19], s[4:5], 0x8
	s_mov_b32 s9, 0
	s_lshl_b64 s[0:1], s[8:9], 3
	v_lshl_add_u32 v2, s6, 4, v0
	s_waitcnt lgkmcnt(0)
	s_add_u32 s2, s20, s0
	s_addc_u32 s3, s21, s1
	s_load_dwordx2 s[8:9], s[2:3], 0x0
	v_cmp_lt_i64_e64 s[2:3], s[12:13], 1
	v_lshl_add_u32 v8, s7, 4, v1
	s_and_b64 vcc, exec, s[2:3]
	v_ashrrev_i32_e32 v3, 31, v2
	v_ashrrev_i32_e32 v9, 31, v8
	s_cbranch_vccnz .LBB1581_6
; %bb.1:
	s_load_dwordx4 s[4:7], s[4:5], 0x30
	v_mad_u64_u32 v[4:5], s[2:3], s18, v2, 0
	v_mul_lo_u32 v6, s19, v2
	v_mul_lo_u32 v7, s18, v3
	s_waitcnt lgkmcnt(0)
	s_add_u32 s2, s4, s0
	s_addc_u32 s3, s5, s1
	s_add_u32 s0, s16, s0
	s_addc_u32 s1, s17, s1
	s_load_dwordx2 s[0:1], s[0:1], 0x0
	v_lshlrev_b32_e32 v11, 3, v1
	v_add3_u32 v5, v5, v7, v6
	v_lshlrev_b64 v[4:5], 3, v[4:5]
	s_load_dwordx2 s[2:3], s[2:3], 0x0
	s_waitcnt lgkmcnt(0)
	v_mov_b32_e32 v6, s1
	v_add_co_u32_e32 v7, vcc, s0, v11
	v_addc_co_u32_e32 v6, vcc, 0, v6, vcc
	v_add_co_u32_e32 v4, vcc, v7, v4
	v_addc_co_u32_e32 v5, vcc, v6, v5, vcc
	v_mul_lo_u32 v13, s7, v8
	v_mul_lo_u32 v14, s6, v9
	v_mad_u64_u32 v[6:7], s[0:1], s6, v8, 0
	v_lshlrev_b32_e32 v11, 3, v0
	v_mov_b32_e32 v0, s3
	v_add3_u32 v7, v7, v14, v13
	v_add_co_u32_e32 v13, vcc, s2, v11
	v_lshlrev_b32_e32 v15, 7, v1
	v_addc_co_u32_e32 v14, vcc, 0, v0, vcc
	v_lshlrev_b64 v[0:1], 3, v[6:7]
	v_mov_b32_e32 v6, s12
	v_add_co_u32_e32 v0, vcc, v13, v0
	v_add_u32_e32 v13, 0x800, v15
	v_mov_b32_e32 v10, 0
	v_add_u32_e32 v12, v11, v15
	v_addc_co_u32_e32 v1, vcc, v14, v1, vcc
	v_add_u32_e32 v14, v13, v11
	s_mov_b64 s[4:5], 0
	v_mov_b32_e32 v7, s13
	v_mov_b32_e32 v15, 0
.LBB1581_2:                             ; =>This Inner Loop Header: Depth=1
	flat_load_dwordx2 v[16:17], v[4:5]
	s_add_u32 s4, s4, 16
	s_addc_u32 s5, s5, 0
	v_cmp_lt_i64_e32 vcc, s[4:5], v[6:7]
	s_and_b64 s[0:1], exec, vcc
	s_waitcnt vmcnt(0) lgkmcnt(0)
	ds_write_b64 v12, v[16:17]
	flat_load_dwordx2 v[16:17], v[0:1]
	v_add_co_u32_e32 v0, vcc, 0x80, v0
	s_mov_b64 s[2:3], vcc
	v_add_co_u32_e32 v4, vcc, 0x80, v4
	v_addc_co_u32_e32 v5, vcc, 0, v5, vcc
	v_addc_co_u32_e64 v1, s[2:3], 0, v1, s[2:3]
	s_mov_b64 vcc, s[0:1]
	s_waitcnt vmcnt(0) lgkmcnt(0)
	ds_write_b64 v14, v[16:17]
	s_waitcnt lgkmcnt(0)
	s_barrier
	ds_read2_b64 v[16:19], v11 offset1:16
	ds_read_b128 v[20:23], v13
	ds_read_b128 v[24:27], v13 offset:16
	ds_read2_b64 v[28:31], v11 offset0:32 offset1:48
	ds_read2_b64 v[32:35], v11 offset0:64 offset1:80
	ds_read_b128 v[36:39], v13 offset:32
	ds_read_b128 v[40:43], v13 offset:48
	ds_read2_b64 v[44:47], v11 offset0:96 offset1:112
	ds_read2_b64 v[48:51], v11 offset0:128 offset1:144
	ds_read_b128 v[52:55], v13 offset:64
	ds_read_b128 v[56:59], v13 offset:80
	s_waitcnt lgkmcnt(9)
	v_mul_f32_e32 v60, v21, v17
	v_mul_f32_e32 v61, v20, v17
	;; [unrolled: 1-line block ×4, first 2 shown]
	v_fma_f32 v60, v20, v16, -v60
	v_fmac_f32_e32 v61, v21, v16
	v_fma_f32 v63, v22, v18, -v17
	v_fmac_f32_e32 v62, v23, v18
	s_waitcnt lgkmcnt(7)
	v_mul_f32_e32 v20, v25, v29
	v_mul_f32_e32 v64, v24, v29
	v_add_f32_e32 v15, v15, v60
	v_add_f32_e32 v10, v10, v61
	v_mul_f32_e32 v21, v27, v31
	v_mul_f32_e32 v65, v26, v31
	v_fma_f32 v66, v24, v28, -v20
	v_fmac_f32_e32 v64, v25, v28
	v_add_f32_e32 v15, v15, v63
	v_add_f32_e32 v10, v10, v62
	v_fma_f32 v67, v26, v30, -v21
	v_fmac_f32_e32 v65, v27, v30
	s_waitcnt lgkmcnt(5)
	v_mul_f32_e32 v24, v37, v33
	v_mul_f32_e32 v68, v36, v33
	v_add_f32_e32 v15, v15, v66
	v_add_f32_e32 v10, v10, v64
	ds_read2_b64 v[16:19], v11 offset0:160 offset1:176
	v_mul_f32_e32 v25, v39, v35
	v_mul_f32_e32 v69, v38, v35
	v_fma_f32 v36, v36, v32, -v24
	v_fmac_f32_e32 v68, v37, v32
	v_add_f32_e32 v15, v15, v67
	v_add_f32_e32 v10, v10, v65
	v_fma_f32 v37, v38, v34, -v25
	v_fmac_f32_e32 v69, v39, v34
	s_waitcnt lgkmcnt(4)
	v_mul_f32_e32 v28, v41, v45
	v_mul_f32_e32 v38, v40, v45
	v_add_f32_e32 v15, v15, v36
	v_add_f32_e32 v10, v10, v68
	ds_read2_b64 v[20:23], v11 offset0:192 offset1:208
	ds_read_b128 v[24:27], v13 offset:96
	v_mul_f32_e32 v29, v43, v47
	v_mul_f32_e32 v39, v42, v47
	v_fma_f32 v40, v40, v44, -v28
	v_fmac_f32_e32 v38, v41, v44
	v_add_f32_e32 v15, v15, v37
	v_add_f32_e32 v10, v10, v69
	v_fma_f32 v41, v42, v46, -v29
	v_fmac_f32_e32 v39, v43, v46
	s_waitcnt lgkmcnt(4)
	v_mul_f32_e32 v32, v53, v49
	v_mul_f32_e32 v42, v52, v49
	;; [unrolled: 1-line block ×3, first 2 shown]
	v_add_f32_e32 v15, v15, v40
	v_add_f32_e32 v10, v10, v38
	ds_read_b128 v[28:31], v13 offset:112
	v_mul_f32_e32 v43, v54, v51
	v_fma_f32 v44, v52, v48, -v32
	v_fmac_f32_e32 v42, v53, v48
	v_fma_f32 v45, v54, v50, -v33
	ds_read2_b64 v[32:35], v11 offset0:224 offset1:240
	v_add_f32_e32 v15, v15, v41
	v_add_f32_e32 v10, v10, v39
	v_fmac_f32_e32 v43, v55, v50
	s_waitcnt lgkmcnt(4)
	v_mul_f32_e32 v46, v57, v17
	v_mul_f32_e32 v17, v56, v17
	v_add_f32_e32 v15, v15, v44
	v_add_f32_e32 v10, v10, v42
	v_mul_f32_e32 v47, v59, v19
	v_mul_f32_e32 v19, v58, v19
	v_fma_f32 v46, v56, v16, -v46
	v_fmac_f32_e32 v17, v57, v16
	v_add_f32_e32 v15, v15, v45
	v_add_f32_e32 v10, v10, v43
	v_fma_f32 v16, v58, v18, -v47
	v_fmac_f32_e32 v19, v59, v18
	s_waitcnt lgkmcnt(2)
	v_mul_f32_e32 v18, v25, v21
	v_mul_f32_e32 v21, v24, v21
	v_add_f32_e32 v15, v15, v46
	v_add_f32_e32 v10, v10, v17
	v_mul_f32_e32 v47, v27, v23
	v_mul_f32_e32 v23, v26, v23
	v_fma_f32 v18, v24, v20, -v18
	v_fmac_f32_e32 v21, v25, v20
	v_add_f32_e32 v15, v15, v16
	v_add_f32_e32 v10, v10, v19
	s_waitcnt lgkmcnt(0)
	v_mul_f32_e32 v48, v29, v33
	v_mul_f32_e32 v33, v28, v33
	v_fma_f32 v20, v26, v22, -v47
	v_fmac_f32_e32 v23, v27, v22
	v_add_f32_e32 v15, v15, v18
	v_add_f32_e32 v10, v10, v21
	v_mul_f32_e32 v49, v31, v35
	v_mul_f32_e32 v35, v30, v35
	v_fma_f32 v22, v28, v32, -v48
	v_fmac_f32_e32 v33, v29, v32
	v_add_f32_e32 v15, v15, v20
	v_add_f32_e32 v10, v10, v23
	v_fma_f32 v24, v30, v34, -v49
	v_fmac_f32_e32 v35, v31, v34
	v_add_f32_e32 v15, v15, v22
	v_add_f32_e32 v10, v10, v33
	;; [unrolled: 1-line block ×4, first 2 shown]
	s_barrier
	s_cbranch_vccnz .LBB1581_2
; %bb.3:
	v_cmp_le_i32_e32 vcc, v2, v8
	s_and_saveexec_b64 s[0:1], vcc
	s_cbranch_execz .LBB1581_5
.LBB1581_4:
	v_mul_lo_u32 v6, s23, v8
	v_mul_lo_u32 v7, s22, v9
	v_mad_u64_u32 v[0:1], s[0:1], s22, v8, 0
	v_mul_f32_e32 v4, s15, v10
	v_mul_f32_e32 v5, s14, v10
	v_add3_u32 v1, v1, v7, v6
	v_lshlrev_b64 v[0:1], 3, v[0:1]
	s_waitcnt lgkmcnt(0)
	v_mov_b32_e32 v6, s9
	v_add_co_u32_e32 v7, vcc, s8, v0
	v_addc_co_u32_e32 v6, vcc, v6, v1, vcc
	v_lshlrev_b64 v[0:1], 3, v[2:3]
	v_fma_f32 v4, v15, s14, -v4
	v_add_co_u32_e32 v0, vcc, v7, v0
	v_fmac_f32_e32 v5, s15, v15
	v_addc_co_u32_e32 v1, vcc, v6, v1, vcc
	flat_store_dwordx2 v[0:1], v[4:5]
.LBB1581_5:
	s_endpgm
.LBB1581_6:
	v_mov_b32_e32 v10, 0
	v_mov_b32_e32 v15, 0
	v_cmp_le_i32_e32 vcc, v2, v8
	s_and_saveexec_b64 s[0:1], vcc
	s_cbranch_execnz .LBB1581_4
	s_branch .LBB1581_5
	.section	.rodata,"a",@progbits
	.p2align	6, 0x0
	.amdhsa_kernel _ZL41rocblas_syrkx_herkx_small_restrict_kernelIl19rocblas_complex_numIfELi16ELb1ELb0ELc84ELc85EKPKS1_KPS1_EviT_T0_PT6_S7_lSA_S7_lS8_PT7_S7_li
		.amdhsa_group_segment_fixed_size 4096
		.amdhsa_private_segment_fixed_size 0
		.amdhsa_kernarg_size 108
		.amdhsa_user_sgpr_count 6
		.amdhsa_user_sgpr_private_segment_buffer 1
		.amdhsa_user_sgpr_dispatch_ptr 0
		.amdhsa_user_sgpr_queue_ptr 0
		.amdhsa_user_sgpr_kernarg_segment_ptr 1
		.amdhsa_user_sgpr_dispatch_id 0
		.amdhsa_user_sgpr_flat_scratch_init 0
		.amdhsa_user_sgpr_private_segment_size 0
		.amdhsa_uses_dynamic_stack 0
		.amdhsa_system_sgpr_private_segment_wavefront_offset 0
		.amdhsa_system_sgpr_workgroup_id_x 1
		.amdhsa_system_sgpr_workgroup_id_y 1
		.amdhsa_system_sgpr_workgroup_id_z 1
		.amdhsa_system_sgpr_workgroup_info 0
		.amdhsa_system_vgpr_workitem_id 1
		.amdhsa_next_free_vgpr 70
		.amdhsa_next_free_sgpr 24
		.amdhsa_reserve_vcc 1
		.amdhsa_reserve_flat_scratch 0
		.amdhsa_float_round_mode_32 0
		.amdhsa_float_round_mode_16_64 0
		.amdhsa_float_denorm_mode_32 3
		.amdhsa_float_denorm_mode_16_64 3
		.amdhsa_dx10_clamp 1
		.amdhsa_ieee_mode 1
		.amdhsa_fp16_overflow 0
		.amdhsa_exception_fp_ieee_invalid_op 0
		.amdhsa_exception_fp_denorm_src 0
		.amdhsa_exception_fp_ieee_div_zero 0
		.amdhsa_exception_fp_ieee_overflow 0
		.amdhsa_exception_fp_ieee_underflow 0
		.amdhsa_exception_fp_ieee_inexact 0
		.amdhsa_exception_int_div_zero 0
	.end_amdhsa_kernel
	.section	.text._ZL41rocblas_syrkx_herkx_small_restrict_kernelIl19rocblas_complex_numIfELi16ELb1ELb0ELc84ELc85EKPKS1_KPS1_EviT_T0_PT6_S7_lSA_S7_lS8_PT7_S7_li,"axG",@progbits,_ZL41rocblas_syrkx_herkx_small_restrict_kernelIl19rocblas_complex_numIfELi16ELb1ELb0ELc84ELc85EKPKS1_KPS1_EviT_T0_PT6_S7_lSA_S7_lS8_PT7_S7_li,comdat
.Lfunc_end1581:
	.size	_ZL41rocblas_syrkx_herkx_small_restrict_kernelIl19rocblas_complex_numIfELi16ELb1ELb0ELc84ELc85EKPKS1_KPS1_EviT_T0_PT6_S7_lSA_S7_lS8_PT7_S7_li, .Lfunc_end1581-_ZL41rocblas_syrkx_herkx_small_restrict_kernelIl19rocblas_complex_numIfELi16ELb1ELb0ELc84ELc85EKPKS1_KPS1_EviT_T0_PT6_S7_lSA_S7_lS8_PT7_S7_li
                                        ; -- End function
	.set _ZL41rocblas_syrkx_herkx_small_restrict_kernelIl19rocblas_complex_numIfELi16ELb1ELb0ELc84ELc85EKPKS1_KPS1_EviT_T0_PT6_S7_lSA_S7_lS8_PT7_S7_li.num_vgpr, 70
	.set _ZL41rocblas_syrkx_herkx_small_restrict_kernelIl19rocblas_complex_numIfELi16ELb1ELb0ELc84ELc85EKPKS1_KPS1_EviT_T0_PT6_S7_lSA_S7_lS8_PT7_S7_li.num_agpr, 0
	.set _ZL41rocblas_syrkx_herkx_small_restrict_kernelIl19rocblas_complex_numIfELi16ELb1ELb0ELc84ELc85EKPKS1_KPS1_EviT_T0_PT6_S7_lSA_S7_lS8_PT7_S7_li.numbered_sgpr, 24
	.set _ZL41rocblas_syrkx_herkx_small_restrict_kernelIl19rocblas_complex_numIfELi16ELb1ELb0ELc84ELc85EKPKS1_KPS1_EviT_T0_PT6_S7_lSA_S7_lS8_PT7_S7_li.num_named_barrier, 0
	.set _ZL41rocblas_syrkx_herkx_small_restrict_kernelIl19rocblas_complex_numIfELi16ELb1ELb0ELc84ELc85EKPKS1_KPS1_EviT_T0_PT6_S7_lSA_S7_lS8_PT7_S7_li.private_seg_size, 0
	.set _ZL41rocblas_syrkx_herkx_small_restrict_kernelIl19rocblas_complex_numIfELi16ELb1ELb0ELc84ELc85EKPKS1_KPS1_EviT_T0_PT6_S7_lSA_S7_lS8_PT7_S7_li.uses_vcc, 1
	.set _ZL41rocblas_syrkx_herkx_small_restrict_kernelIl19rocblas_complex_numIfELi16ELb1ELb0ELc84ELc85EKPKS1_KPS1_EviT_T0_PT6_S7_lSA_S7_lS8_PT7_S7_li.uses_flat_scratch, 0
	.set _ZL41rocblas_syrkx_herkx_small_restrict_kernelIl19rocblas_complex_numIfELi16ELb1ELb0ELc84ELc85EKPKS1_KPS1_EviT_T0_PT6_S7_lSA_S7_lS8_PT7_S7_li.has_dyn_sized_stack, 0
	.set _ZL41rocblas_syrkx_herkx_small_restrict_kernelIl19rocblas_complex_numIfELi16ELb1ELb0ELc84ELc85EKPKS1_KPS1_EviT_T0_PT6_S7_lSA_S7_lS8_PT7_S7_li.has_recursion, 0
	.set _ZL41rocblas_syrkx_herkx_small_restrict_kernelIl19rocblas_complex_numIfELi16ELb1ELb0ELc84ELc85EKPKS1_KPS1_EviT_T0_PT6_S7_lSA_S7_lS8_PT7_S7_li.has_indirect_call, 0
	.section	.AMDGPU.csdata,"",@progbits
; Kernel info:
; codeLenInByte = 1156
; TotalNumSgprs: 28
; NumVgprs: 70
; ScratchSize: 0
; MemoryBound: 0
; FloatMode: 240
; IeeeMode: 1
; LDSByteSize: 4096 bytes/workgroup (compile time only)
; SGPRBlocks: 3
; VGPRBlocks: 17
; NumSGPRsForWavesPerEU: 28
; NumVGPRsForWavesPerEU: 70
; Occupancy: 3
; WaveLimiterHint : 1
; COMPUTE_PGM_RSRC2:SCRATCH_EN: 0
; COMPUTE_PGM_RSRC2:USER_SGPR: 6
; COMPUTE_PGM_RSRC2:TRAP_HANDLER: 0
; COMPUTE_PGM_RSRC2:TGID_X_EN: 1
; COMPUTE_PGM_RSRC2:TGID_Y_EN: 1
; COMPUTE_PGM_RSRC2:TGID_Z_EN: 1
; COMPUTE_PGM_RSRC2:TIDIG_COMP_CNT: 1
	.section	.text._ZL41rocblas_syrkx_herkx_small_restrict_kernelIl19rocblas_complex_numIfELi16ELb1ELb0ELc67ELc85EKPKS1_KPS1_EviT_T0_PT6_S7_lSA_S7_lS8_PT7_S7_li,"axG",@progbits,_ZL41rocblas_syrkx_herkx_small_restrict_kernelIl19rocblas_complex_numIfELi16ELb1ELb0ELc67ELc85EKPKS1_KPS1_EviT_T0_PT6_S7_lSA_S7_lS8_PT7_S7_li,comdat
	.globl	_ZL41rocblas_syrkx_herkx_small_restrict_kernelIl19rocblas_complex_numIfELi16ELb1ELb0ELc67ELc85EKPKS1_KPS1_EviT_T0_PT6_S7_lSA_S7_lS8_PT7_S7_li ; -- Begin function _ZL41rocblas_syrkx_herkx_small_restrict_kernelIl19rocblas_complex_numIfELi16ELb1ELb0ELc67ELc85EKPKS1_KPS1_EviT_T0_PT6_S7_lSA_S7_lS8_PT7_S7_li
	.p2align	8
	.type	_ZL41rocblas_syrkx_herkx_small_restrict_kernelIl19rocblas_complex_numIfELi16ELb1ELb0ELc67ELc85EKPKS1_KPS1_EviT_T0_PT6_S7_lSA_S7_lS8_PT7_S7_li,@function
_ZL41rocblas_syrkx_herkx_small_restrict_kernelIl19rocblas_complex_numIfELi16ELb1ELb0ELc67ELc85EKPKS1_KPS1_EviT_T0_PT6_S7_lSA_S7_lS8_PT7_S7_li: ; @_ZL41rocblas_syrkx_herkx_small_restrict_kernelIl19rocblas_complex_numIfELi16ELb1ELb0ELc67ELc85EKPKS1_KPS1_EviT_T0_PT6_S7_lSA_S7_lS8_PT7_S7_li
; %bb.0:
	s_load_dwordx4 s[20:23], s[4:5], 0x50
	s_load_dwordx8 s[12:19], s[4:5], 0x8
	s_mov_b32 s9, 0
	s_lshl_b64 s[0:1], s[8:9], 3
	v_lshl_add_u32 v2, s6, 4, v0
	s_waitcnt lgkmcnt(0)
	s_add_u32 s2, s20, s0
	s_addc_u32 s3, s21, s1
	s_load_dwordx2 s[8:9], s[2:3], 0x0
	v_cmp_lt_i64_e64 s[2:3], s[12:13], 1
	v_lshl_add_u32 v8, s7, 4, v1
	s_and_b64 vcc, exec, s[2:3]
	v_ashrrev_i32_e32 v3, 31, v2
	v_ashrrev_i32_e32 v9, 31, v8
	s_cbranch_vccnz .LBB1582_6
; %bb.1:
	s_load_dwordx4 s[4:7], s[4:5], 0x30
	v_mad_u64_u32 v[4:5], s[2:3], s18, v2, 0
	v_mul_lo_u32 v6, s19, v2
	v_mul_lo_u32 v7, s18, v3
	s_waitcnt lgkmcnt(0)
	s_add_u32 s2, s4, s0
	s_addc_u32 s3, s5, s1
	s_add_u32 s0, s16, s0
	s_addc_u32 s1, s17, s1
	s_load_dwordx2 s[0:1], s[0:1], 0x0
	v_lshlrev_b32_e32 v11, 3, v1
	v_add3_u32 v5, v5, v7, v6
	v_lshlrev_b64 v[4:5], 3, v[4:5]
	s_load_dwordx2 s[2:3], s[2:3], 0x0
	s_waitcnt lgkmcnt(0)
	v_mov_b32_e32 v6, s1
	v_add_co_u32_e32 v7, vcc, s0, v11
	v_addc_co_u32_e32 v6, vcc, 0, v6, vcc
	v_add_co_u32_e32 v4, vcc, v7, v4
	v_addc_co_u32_e32 v5, vcc, v6, v5, vcc
	v_mul_lo_u32 v13, s7, v8
	v_mul_lo_u32 v14, s6, v9
	v_mad_u64_u32 v[6:7], s[0:1], s6, v8, 0
	v_lshlrev_b32_e32 v11, 3, v0
	v_mov_b32_e32 v0, s3
	v_add3_u32 v7, v7, v14, v13
	v_add_co_u32_e32 v13, vcc, s2, v11
	v_lshlrev_b32_e32 v15, 7, v1
	v_addc_co_u32_e32 v14, vcc, 0, v0, vcc
	v_lshlrev_b64 v[0:1], 3, v[6:7]
	v_mov_b32_e32 v6, s12
	v_add_co_u32_e32 v0, vcc, v13, v0
	v_add_u32_e32 v13, 0x800, v15
	v_mov_b32_e32 v10, 0
	v_add_u32_e32 v12, v11, v15
	v_addc_co_u32_e32 v1, vcc, v14, v1, vcc
	v_add_u32_e32 v14, v13, v11
	s_mov_b64 s[4:5], 0
	v_mov_b32_e32 v7, s13
	v_mov_b32_e32 v15, 0
.LBB1582_2:                             ; =>This Inner Loop Header: Depth=1
	flat_load_dwordx2 v[16:17], v[4:5]
	s_add_u32 s4, s4, 16
	s_addc_u32 s5, s5, 0
	v_cmp_lt_i64_e32 vcc, s[4:5], v[6:7]
	s_and_b64 s[0:1], exec, vcc
	s_waitcnt vmcnt(0) lgkmcnt(0)
	ds_write_b64 v12, v[16:17]
	flat_load_dwordx2 v[16:17], v[0:1]
	v_add_co_u32_e32 v0, vcc, 0x80, v0
	s_mov_b64 s[2:3], vcc
	v_add_co_u32_e32 v4, vcc, 0x80, v4
	v_addc_co_u32_e32 v5, vcc, 0, v5, vcc
	v_addc_co_u32_e64 v1, s[2:3], 0, v1, s[2:3]
	s_mov_b64 vcc, s[0:1]
	s_waitcnt vmcnt(0) lgkmcnt(0)
	ds_write_b64 v14, v[16:17]
	s_waitcnt lgkmcnt(0)
	s_barrier
	ds_read2_b64 v[16:19], v11 offset1:16
	ds_read_b128 v[20:23], v13
	ds_read_b128 v[24:27], v13 offset:16
	ds_read2_b64 v[28:31], v11 offset0:32 offset1:48
	ds_read2_b64 v[32:35], v11 offset0:64 offset1:80
	ds_read_b128 v[36:39], v13 offset:32
	ds_read_b128 v[40:43], v13 offset:48
	ds_read2_b64 v[44:47], v11 offset0:96 offset1:112
	ds_read2_b64 v[48:51], v11 offset0:128 offset1:144
	ds_read_b128 v[52:55], v13 offset:64
	ds_read_b128 v[56:59], v13 offset:80
	s_waitcnt lgkmcnt(9)
	v_mul_f32_e32 v60, v21, v17
	v_mul_f32_e32 v61, v20, v17
	;; [unrolled: 1-line block ×4, first 2 shown]
	v_fma_f32 v60, v20, v16, -v60
	v_fmac_f32_e32 v61, v21, v16
	v_fma_f32 v63, v22, v18, -v17
	v_fmac_f32_e32 v62, v23, v18
	s_waitcnt lgkmcnt(7)
	v_mul_f32_e32 v20, v25, v29
	v_mul_f32_e32 v64, v24, v29
	v_add_f32_e32 v15, v15, v60
	v_add_f32_e32 v10, v10, v61
	v_mul_f32_e32 v21, v27, v31
	v_mul_f32_e32 v65, v26, v31
	v_fma_f32 v66, v24, v28, -v20
	v_fmac_f32_e32 v64, v25, v28
	v_add_f32_e32 v15, v15, v63
	v_add_f32_e32 v10, v10, v62
	v_fma_f32 v67, v26, v30, -v21
	v_fmac_f32_e32 v65, v27, v30
	s_waitcnt lgkmcnt(5)
	v_mul_f32_e32 v24, v37, v33
	v_mul_f32_e32 v68, v36, v33
	v_add_f32_e32 v15, v15, v66
	v_add_f32_e32 v10, v10, v64
	ds_read2_b64 v[16:19], v11 offset0:160 offset1:176
	v_mul_f32_e32 v25, v39, v35
	v_mul_f32_e32 v69, v38, v35
	v_fma_f32 v36, v36, v32, -v24
	v_fmac_f32_e32 v68, v37, v32
	v_add_f32_e32 v15, v15, v67
	v_add_f32_e32 v10, v10, v65
	v_fma_f32 v37, v38, v34, -v25
	v_fmac_f32_e32 v69, v39, v34
	s_waitcnt lgkmcnt(4)
	v_mul_f32_e32 v28, v41, v45
	v_mul_f32_e32 v38, v40, v45
	v_add_f32_e32 v15, v15, v36
	v_add_f32_e32 v10, v10, v68
	ds_read2_b64 v[20:23], v11 offset0:192 offset1:208
	ds_read_b128 v[24:27], v13 offset:96
	v_mul_f32_e32 v29, v43, v47
	v_mul_f32_e32 v39, v42, v47
	v_fma_f32 v40, v40, v44, -v28
	v_fmac_f32_e32 v38, v41, v44
	v_add_f32_e32 v15, v15, v37
	v_add_f32_e32 v10, v10, v69
	v_fma_f32 v41, v42, v46, -v29
	v_fmac_f32_e32 v39, v43, v46
	s_waitcnt lgkmcnt(4)
	v_mul_f32_e32 v32, v53, v49
	v_mul_f32_e32 v42, v52, v49
	;; [unrolled: 1-line block ×3, first 2 shown]
	v_add_f32_e32 v15, v15, v40
	v_add_f32_e32 v10, v10, v38
	ds_read_b128 v[28:31], v13 offset:112
	v_mul_f32_e32 v43, v54, v51
	v_fma_f32 v44, v52, v48, -v32
	v_fmac_f32_e32 v42, v53, v48
	v_fma_f32 v45, v54, v50, -v33
	ds_read2_b64 v[32:35], v11 offset0:224 offset1:240
	v_add_f32_e32 v15, v15, v41
	v_add_f32_e32 v10, v10, v39
	v_fmac_f32_e32 v43, v55, v50
	s_waitcnt lgkmcnt(4)
	v_mul_f32_e32 v46, v57, v17
	v_mul_f32_e32 v17, v56, v17
	v_add_f32_e32 v15, v15, v44
	v_add_f32_e32 v10, v10, v42
	v_mul_f32_e32 v47, v59, v19
	v_mul_f32_e32 v19, v58, v19
	v_fma_f32 v46, v56, v16, -v46
	v_fmac_f32_e32 v17, v57, v16
	v_add_f32_e32 v15, v15, v45
	v_add_f32_e32 v10, v10, v43
	v_fma_f32 v16, v58, v18, -v47
	v_fmac_f32_e32 v19, v59, v18
	s_waitcnt lgkmcnt(2)
	v_mul_f32_e32 v18, v25, v21
	v_mul_f32_e32 v21, v24, v21
	v_add_f32_e32 v15, v15, v46
	v_add_f32_e32 v10, v10, v17
	v_mul_f32_e32 v47, v27, v23
	v_mul_f32_e32 v23, v26, v23
	v_fma_f32 v18, v24, v20, -v18
	v_fmac_f32_e32 v21, v25, v20
	v_add_f32_e32 v15, v15, v16
	v_add_f32_e32 v10, v10, v19
	s_waitcnt lgkmcnt(0)
	v_mul_f32_e32 v48, v29, v33
	v_mul_f32_e32 v33, v28, v33
	v_fma_f32 v20, v26, v22, -v47
	v_fmac_f32_e32 v23, v27, v22
	v_add_f32_e32 v15, v15, v18
	v_add_f32_e32 v10, v10, v21
	v_mul_f32_e32 v49, v31, v35
	v_mul_f32_e32 v35, v30, v35
	v_fma_f32 v22, v28, v32, -v48
	v_fmac_f32_e32 v33, v29, v32
	v_add_f32_e32 v15, v15, v20
	v_add_f32_e32 v10, v10, v23
	v_fma_f32 v24, v30, v34, -v49
	v_fmac_f32_e32 v35, v31, v34
	v_add_f32_e32 v15, v15, v22
	v_add_f32_e32 v10, v10, v33
	;; [unrolled: 1-line block ×4, first 2 shown]
	s_barrier
	s_cbranch_vccnz .LBB1582_2
; %bb.3:
	v_cmp_le_i32_e32 vcc, v2, v8
	s_and_saveexec_b64 s[0:1], vcc
	s_cbranch_execz .LBB1582_5
.LBB1582_4:
	v_mul_lo_u32 v6, s23, v8
	v_mul_lo_u32 v7, s22, v9
	v_mad_u64_u32 v[0:1], s[0:1], s22, v8, 0
	v_mul_f32_e32 v4, s15, v10
	v_mul_f32_e32 v5, s14, v10
	v_add3_u32 v1, v1, v7, v6
	v_lshlrev_b64 v[0:1], 3, v[0:1]
	s_waitcnt lgkmcnt(0)
	v_mov_b32_e32 v6, s9
	v_add_co_u32_e32 v7, vcc, s8, v0
	v_addc_co_u32_e32 v6, vcc, v6, v1, vcc
	v_lshlrev_b64 v[0:1], 3, v[2:3]
	v_fma_f32 v4, v15, s14, -v4
	v_add_co_u32_e32 v0, vcc, v7, v0
	v_fmac_f32_e32 v5, s15, v15
	v_addc_co_u32_e32 v1, vcc, v6, v1, vcc
	flat_store_dwordx2 v[0:1], v[4:5]
.LBB1582_5:
	s_endpgm
.LBB1582_6:
	v_mov_b32_e32 v10, 0
	v_mov_b32_e32 v15, 0
	v_cmp_le_i32_e32 vcc, v2, v8
	s_and_saveexec_b64 s[0:1], vcc
	s_cbranch_execnz .LBB1582_4
	s_branch .LBB1582_5
	.section	.rodata,"a",@progbits
	.p2align	6, 0x0
	.amdhsa_kernel _ZL41rocblas_syrkx_herkx_small_restrict_kernelIl19rocblas_complex_numIfELi16ELb1ELb0ELc67ELc85EKPKS1_KPS1_EviT_T0_PT6_S7_lSA_S7_lS8_PT7_S7_li
		.amdhsa_group_segment_fixed_size 4096
		.amdhsa_private_segment_fixed_size 0
		.amdhsa_kernarg_size 108
		.amdhsa_user_sgpr_count 6
		.amdhsa_user_sgpr_private_segment_buffer 1
		.amdhsa_user_sgpr_dispatch_ptr 0
		.amdhsa_user_sgpr_queue_ptr 0
		.amdhsa_user_sgpr_kernarg_segment_ptr 1
		.amdhsa_user_sgpr_dispatch_id 0
		.amdhsa_user_sgpr_flat_scratch_init 0
		.amdhsa_user_sgpr_private_segment_size 0
		.amdhsa_uses_dynamic_stack 0
		.amdhsa_system_sgpr_private_segment_wavefront_offset 0
		.amdhsa_system_sgpr_workgroup_id_x 1
		.amdhsa_system_sgpr_workgroup_id_y 1
		.amdhsa_system_sgpr_workgroup_id_z 1
		.amdhsa_system_sgpr_workgroup_info 0
		.amdhsa_system_vgpr_workitem_id 1
		.amdhsa_next_free_vgpr 70
		.amdhsa_next_free_sgpr 24
		.amdhsa_reserve_vcc 1
		.amdhsa_reserve_flat_scratch 0
		.amdhsa_float_round_mode_32 0
		.amdhsa_float_round_mode_16_64 0
		.amdhsa_float_denorm_mode_32 3
		.amdhsa_float_denorm_mode_16_64 3
		.amdhsa_dx10_clamp 1
		.amdhsa_ieee_mode 1
		.amdhsa_fp16_overflow 0
		.amdhsa_exception_fp_ieee_invalid_op 0
		.amdhsa_exception_fp_denorm_src 0
		.amdhsa_exception_fp_ieee_div_zero 0
		.amdhsa_exception_fp_ieee_overflow 0
		.amdhsa_exception_fp_ieee_underflow 0
		.amdhsa_exception_fp_ieee_inexact 0
		.amdhsa_exception_int_div_zero 0
	.end_amdhsa_kernel
	.section	.text._ZL41rocblas_syrkx_herkx_small_restrict_kernelIl19rocblas_complex_numIfELi16ELb1ELb0ELc67ELc85EKPKS1_KPS1_EviT_T0_PT6_S7_lSA_S7_lS8_PT7_S7_li,"axG",@progbits,_ZL41rocblas_syrkx_herkx_small_restrict_kernelIl19rocblas_complex_numIfELi16ELb1ELb0ELc67ELc85EKPKS1_KPS1_EviT_T0_PT6_S7_lSA_S7_lS8_PT7_S7_li,comdat
.Lfunc_end1582:
	.size	_ZL41rocblas_syrkx_herkx_small_restrict_kernelIl19rocblas_complex_numIfELi16ELb1ELb0ELc67ELc85EKPKS1_KPS1_EviT_T0_PT6_S7_lSA_S7_lS8_PT7_S7_li, .Lfunc_end1582-_ZL41rocblas_syrkx_herkx_small_restrict_kernelIl19rocblas_complex_numIfELi16ELb1ELb0ELc67ELc85EKPKS1_KPS1_EviT_T0_PT6_S7_lSA_S7_lS8_PT7_S7_li
                                        ; -- End function
	.set _ZL41rocblas_syrkx_herkx_small_restrict_kernelIl19rocblas_complex_numIfELi16ELb1ELb0ELc67ELc85EKPKS1_KPS1_EviT_T0_PT6_S7_lSA_S7_lS8_PT7_S7_li.num_vgpr, 70
	.set _ZL41rocblas_syrkx_herkx_small_restrict_kernelIl19rocblas_complex_numIfELi16ELb1ELb0ELc67ELc85EKPKS1_KPS1_EviT_T0_PT6_S7_lSA_S7_lS8_PT7_S7_li.num_agpr, 0
	.set _ZL41rocblas_syrkx_herkx_small_restrict_kernelIl19rocblas_complex_numIfELi16ELb1ELb0ELc67ELc85EKPKS1_KPS1_EviT_T0_PT6_S7_lSA_S7_lS8_PT7_S7_li.numbered_sgpr, 24
	.set _ZL41rocblas_syrkx_herkx_small_restrict_kernelIl19rocblas_complex_numIfELi16ELb1ELb0ELc67ELc85EKPKS1_KPS1_EviT_T0_PT6_S7_lSA_S7_lS8_PT7_S7_li.num_named_barrier, 0
	.set _ZL41rocblas_syrkx_herkx_small_restrict_kernelIl19rocblas_complex_numIfELi16ELb1ELb0ELc67ELc85EKPKS1_KPS1_EviT_T0_PT6_S7_lSA_S7_lS8_PT7_S7_li.private_seg_size, 0
	.set _ZL41rocblas_syrkx_herkx_small_restrict_kernelIl19rocblas_complex_numIfELi16ELb1ELb0ELc67ELc85EKPKS1_KPS1_EviT_T0_PT6_S7_lSA_S7_lS8_PT7_S7_li.uses_vcc, 1
	.set _ZL41rocblas_syrkx_herkx_small_restrict_kernelIl19rocblas_complex_numIfELi16ELb1ELb0ELc67ELc85EKPKS1_KPS1_EviT_T0_PT6_S7_lSA_S7_lS8_PT7_S7_li.uses_flat_scratch, 0
	.set _ZL41rocblas_syrkx_herkx_small_restrict_kernelIl19rocblas_complex_numIfELi16ELb1ELb0ELc67ELc85EKPKS1_KPS1_EviT_T0_PT6_S7_lSA_S7_lS8_PT7_S7_li.has_dyn_sized_stack, 0
	.set _ZL41rocblas_syrkx_herkx_small_restrict_kernelIl19rocblas_complex_numIfELi16ELb1ELb0ELc67ELc85EKPKS1_KPS1_EviT_T0_PT6_S7_lSA_S7_lS8_PT7_S7_li.has_recursion, 0
	.set _ZL41rocblas_syrkx_herkx_small_restrict_kernelIl19rocblas_complex_numIfELi16ELb1ELb0ELc67ELc85EKPKS1_KPS1_EviT_T0_PT6_S7_lSA_S7_lS8_PT7_S7_li.has_indirect_call, 0
	.section	.AMDGPU.csdata,"",@progbits
; Kernel info:
; codeLenInByte = 1156
; TotalNumSgprs: 28
; NumVgprs: 70
; ScratchSize: 0
; MemoryBound: 0
; FloatMode: 240
; IeeeMode: 1
; LDSByteSize: 4096 bytes/workgroup (compile time only)
; SGPRBlocks: 3
; VGPRBlocks: 17
; NumSGPRsForWavesPerEU: 28
; NumVGPRsForWavesPerEU: 70
; Occupancy: 3
; WaveLimiterHint : 1
; COMPUTE_PGM_RSRC2:SCRATCH_EN: 0
; COMPUTE_PGM_RSRC2:USER_SGPR: 6
; COMPUTE_PGM_RSRC2:TRAP_HANDLER: 0
; COMPUTE_PGM_RSRC2:TGID_X_EN: 1
; COMPUTE_PGM_RSRC2:TGID_Y_EN: 1
; COMPUTE_PGM_RSRC2:TGID_Z_EN: 1
; COMPUTE_PGM_RSRC2:TIDIG_COMP_CNT: 1
	.section	.text._ZL41rocblas_syrkx_herkx_small_restrict_kernelIl19rocblas_complex_numIfELi16ELb1ELb0ELc78ELc85EKPKS1_KPS1_EviT_T0_PT6_S7_lSA_S7_lS8_PT7_S7_li,"axG",@progbits,_ZL41rocblas_syrkx_herkx_small_restrict_kernelIl19rocblas_complex_numIfELi16ELb1ELb0ELc78ELc85EKPKS1_KPS1_EviT_T0_PT6_S7_lSA_S7_lS8_PT7_S7_li,comdat
	.globl	_ZL41rocblas_syrkx_herkx_small_restrict_kernelIl19rocblas_complex_numIfELi16ELb1ELb0ELc78ELc85EKPKS1_KPS1_EviT_T0_PT6_S7_lSA_S7_lS8_PT7_S7_li ; -- Begin function _ZL41rocblas_syrkx_herkx_small_restrict_kernelIl19rocblas_complex_numIfELi16ELb1ELb0ELc78ELc85EKPKS1_KPS1_EviT_T0_PT6_S7_lSA_S7_lS8_PT7_S7_li
	.p2align	8
	.type	_ZL41rocblas_syrkx_herkx_small_restrict_kernelIl19rocblas_complex_numIfELi16ELb1ELb0ELc78ELc85EKPKS1_KPS1_EviT_T0_PT6_S7_lSA_S7_lS8_PT7_S7_li,@function
_ZL41rocblas_syrkx_herkx_small_restrict_kernelIl19rocblas_complex_numIfELi16ELb1ELb0ELc78ELc85EKPKS1_KPS1_EviT_T0_PT6_S7_lSA_S7_lS8_PT7_S7_li: ; @_ZL41rocblas_syrkx_herkx_small_restrict_kernelIl19rocblas_complex_numIfELi16ELb1ELb0ELc78ELc85EKPKS1_KPS1_EviT_T0_PT6_S7_lSA_S7_lS8_PT7_S7_li
; %bb.0:
	s_load_dwordx4 s[0:3], s[4:5], 0x50
	s_load_dwordx8 s[12:19], s[4:5], 0x8
	s_mov_b32 s9, 0
	s_lshl_b64 s[10:11], s[8:9], 3
	v_lshl_add_u32 v2, s6, 4, v0
	s_waitcnt lgkmcnt(0)
	s_add_u32 s0, s0, s10
	s_addc_u32 s1, s1, s11
	s_load_dwordx2 s[8:9], s[0:1], 0x0
	v_cmp_lt_i64_e64 s[0:1], s[12:13], 1
	v_lshl_add_u32 v4, s7, 4, v1
	s_and_b64 vcc, exec, s[0:1]
	v_ashrrev_i32_e32 v3, 31, v2
	v_ashrrev_i32_e32 v5, 31, v4
	s_cbranch_vccnz .LBB1583_6
; %bb.1:
	s_load_dwordx4 s[4:7], s[4:5], 0x30
	v_lshlrev_b32_e32 v9, 7, v1
	v_lshlrev_b32_e32 v10, 3, v0
	v_add_u32_e32 v11, v10, v9
	v_add_u32_e32 v12, 0x800, v9
	s_waitcnt lgkmcnt(0)
	s_add_u32 s0, s4, s10
	v_mad_u64_u32 v[6:7], s[20:21], s6, v0, 0
	s_addc_u32 s1, s5, s11
	s_add_u32 s4, s16, s10
	s_addc_u32 s5, s17, s11
	s_load_dwordx2 s[10:11], s[4:5], 0x0
	v_mad_u64_u32 v[7:8], s[4:5], s7, v0, v[7:8]
	v_mad_u64_u32 v[14:15], s[4:5], s18, v1, 0
	v_lshlrev_b64 v[6:7], 3, v[6:7]
	v_lshlrev_b64 v[8:9], 3, v[4:5]
	s_load_dwordx2 s[0:1], s[0:1], 0x0
	v_add_co_u32_e32 v8, vcc, v6, v8
	v_mov_b32_e32 v0, v15
	v_addc_co_u32_e32 v9, vcc, v7, v9, vcc
	v_mad_u64_u32 v[6:7], s[4:5], s19, v1, v[0:1]
	s_waitcnt lgkmcnt(0)
	v_mov_b32_e32 v16, s1
	v_add_co_u32_e32 v0, vcc, s0, v8
	v_mov_b32_e32 v15, v6
	v_addc_co_u32_e32 v1, vcc, v16, v9, vcc
	v_lshlrev_b64 v[6:7], 3, v[14:15]
	v_lshlrev_b64 v[8:9], 3, v[2:3]
	s_lshl_b64 s[4:5], s[6:7], 7
	v_add_co_u32_e32 v6, vcc, v6, v8
	v_addc_co_u32_e32 v7, vcc, v7, v9, vcc
	v_mov_b32_e32 v8, s11
	v_add_co_u32_e32 v6, vcc, s10, v6
	v_addc_co_u32_e32 v7, vcc, v8, v7, vcc
	s_lshl_b64 s[6:7], s[18:19], 7
	v_mov_b32_e32 v8, s12
	v_add_u32_e32 v13, v12, v10
	v_mov_b32_e32 v14, 0
	s_mov_b64 s[10:11], 0
	v_mov_b32_e32 v15, s5
	v_mov_b32_e32 v16, s7
	;; [unrolled: 1-line block ×4, first 2 shown]
.LBB1583_2:                             ; =>This Inner Loop Header: Depth=1
	flat_load_dwordx2 v[18:19], v[6:7]
	s_add_u32 s10, s10, 16
	v_add_co_u32_e32 v6, vcc, s6, v6
	v_addc_co_u32_e32 v7, vcc, v7, v16, vcc
	s_addc_u32 s11, s11, 0
	v_cmp_lt_i64_e32 vcc, s[10:11], v[8:9]
	s_and_b64 vcc, exec, vcc
	s_waitcnt vmcnt(0) lgkmcnt(0)
	ds_write_b64 v11, v[18:19]
	flat_load_dwordx2 v[18:19], v[0:1]
	v_add_co_u32_e64 v0, s[0:1], s4, v0
	v_addc_co_u32_e64 v1, s[0:1], v1, v15, s[0:1]
	s_waitcnt vmcnt(0) lgkmcnt(0)
	ds_write_b64 v13, v[18:19]
	s_waitcnt lgkmcnt(0)
	s_barrier
	ds_read2_b64 v[18:21], v10 offset1:16
	ds_read_b128 v[22:25], v12
	ds_read_b128 v[26:29], v12 offset:16
	ds_read2_b64 v[30:33], v10 offset0:32 offset1:48
	ds_read2_b64 v[34:37], v10 offset0:64 offset1:80
	ds_read_b128 v[38:41], v12 offset:32
	ds_read_b128 v[42:45], v12 offset:48
	ds_read2_b64 v[46:49], v10 offset0:96 offset1:112
	ds_read2_b64 v[50:53], v10 offset0:128 offset1:144
	ds_read_b128 v[54:57], v12 offset:64
	s_waitcnt lgkmcnt(8)
	v_mul_f32_e32 v58, v23, v19
	v_mul_f32_e32 v59, v22, v19
	;; [unrolled: 1-line block ×4, first 2 shown]
	v_fma_f32 v58, v22, v18, -v58
	v_fmac_f32_e32 v59, v23, v18
	v_fma_f32 v61, v24, v20, -v19
	v_fmac_f32_e32 v60, v25, v20
	s_waitcnt lgkmcnt(6)
	v_mul_f32_e32 v22, v27, v31
	v_mul_f32_e32 v62, v26, v31
	;; [unrolled: 1-line block ×3, first 2 shown]
	v_add_f32_e32 v17, v17, v58
	v_add_f32_e32 v14, v14, v59
	ds_read_b128 v[18:21], v12 offset:80
	v_mul_f32_e32 v63, v28, v33
	v_fma_f32 v64, v26, v30, -v22
	v_fmac_f32_e32 v62, v27, v30
	v_fma_f32 v65, v28, v32, -v23
	ds_read2_b64 v[22:25], v10 offset0:160 offset1:176
	v_add_f32_e32 v17, v17, v61
	v_add_f32_e32 v14, v14, v60
	v_fmac_f32_e32 v63, v29, v32
	s_waitcnt lgkmcnt(6)
	v_mul_f32_e32 v26, v39, v35
	v_mul_f32_e32 v66, v38, v35
	v_add_f32_e32 v17, v17, v64
	v_add_f32_e32 v14, v14, v62
	v_mul_f32_e32 v27, v41, v37
	v_mul_f32_e32 v67, v40, v37
	v_fma_f32 v38, v38, v34, -v26
	v_fmac_f32_e32 v66, v39, v34
	v_add_f32_e32 v17, v17, v65
	v_add_f32_e32 v14, v14, v63
	v_fma_f32 v39, v40, v36, -v27
	v_fmac_f32_e32 v67, v41, v36
	s_waitcnt lgkmcnt(4)
	v_mul_f32_e32 v30, v43, v47
	v_mul_f32_e32 v40, v42, v47
	;; [unrolled: 1-line block ×3, first 2 shown]
	v_add_f32_e32 v17, v17, v38
	v_add_f32_e32 v14, v14, v66
	ds_read2_b64 v[26:29], v10 offset0:192 offset1:208
	v_mul_f32_e32 v41, v44, v49
	v_fma_f32 v42, v42, v46, -v30
	v_fmac_f32_e32 v40, v43, v46
	v_fma_f32 v43, v44, v48, -v31
	ds_read_b128 v[30:33], v12 offset:96
	v_add_f32_e32 v17, v17, v39
	v_add_f32_e32 v14, v14, v67
	v_fmac_f32_e32 v41, v45, v48
	s_waitcnt lgkmcnt(4)
	v_mul_f32_e32 v34, v55, v51
	v_mul_f32_e32 v44, v54, v51
	v_mul_f32_e32 v35, v57, v53
	s_waitcnt lgkmcnt(2)
	v_mul_f32_e32 v48, v19, v23
	v_mul_f32_e32 v23, v18, v23
	;; [unrolled: 1-line block ×4, first 2 shown]
	v_add_f32_e32 v17, v17, v42
	v_add_f32_e32 v14, v14, v40
	v_mul_f32_e32 v45, v56, v53
	v_fma_f32 v46, v54, v50, -v34
	v_fmac_f32_e32 v44, v55, v50
	v_fma_f32 v47, v56, v52, -v35
	ds_read_b128 v[34:37], v12 offset:112
	v_fma_f32 v48, v18, v22, -v48
	v_fmac_f32_e32 v23, v19, v22
	v_fma_f32 v22, v20, v24, -v49
	v_fmac_f32_e32 v25, v21, v24
	ds_read2_b64 v[18:21], v10 offset0:224 offset1:240
	v_add_f32_e32 v17, v17, v43
	v_add_f32_e32 v14, v14, v41
	v_fmac_f32_e32 v45, v57, v52
	v_add_f32_e32 v17, v17, v46
	v_add_f32_e32 v14, v14, v44
	;; [unrolled: 1-line block ×4, first 2 shown]
	s_waitcnt lgkmcnt(2)
	v_mul_f32_e32 v24, v31, v27
	v_mul_f32_e32 v27, v30, v27
	v_add_f32_e32 v17, v17, v48
	v_add_f32_e32 v14, v14, v23
	v_mul_f32_e32 v49, v33, v29
	v_mul_f32_e32 v29, v32, v29
	v_fma_f32 v24, v30, v26, -v24
	v_fmac_f32_e32 v27, v31, v26
	v_add_f32_e32 v17, v17, v22
	v_add_f32_e32 v14, v14, v25
	s_waitcnt lgkmcnt(0)
	v_mul_f32_e32 v50, v35, v19
	v_mul_f32_e32 v19, v34, v19
	v_fma_f32 v26, v32, v28, -v49
	v_fmac_f32_e32 v29, v33, v28
	v_add_f32_e32 v17, v17, v24
	v_add_f32_e32 v14, v14, v27
	v_mul_f32_e32 v28, v37, v21
	v_mul_f32_e32 v21, v36, v21
	v_fma_f32 v30, v34, v18, -v50
	v_fmac_f32_e32 v19, v35, v18
	v_add_f32_e32 v17, v17, v26
	v_add_f32_e32 v14, v14, v29
	v_fma_f32 v18, v36, v20, -v28
	v_fmac_f32_e32 v21, v37, v20
	v_add_f32_e32 v17, v17, v30
	v_add_f32_e32 v14, v14, v19
	;; [unrolled: 1-line block ×4, first 2 shown]
	s_barrier
	s_cbranch_vccnz .LBB1583_2
; %bb.3:
	v_cmp_le_i32_e32 vcc, v2, v4
	s_and_saveexec_b64 s[0:1], vcc
	s_cbranch_execz .LBB1583_5
.LBB1583_4:
	v_mul_lo_u32 v7, s3, v4
	v_mul_lo_u32 v8, s2, v5
	v_mad_u64_u32 v[0:1], s[0:1], s2, v4, 0
	v_mul_f32_e32 v6, s15, v14
	v_fma_f32 v4, v17, s14, -v6
	v_add3_u32 v1, v1, v8, v7
	v_lshlrev_b64 v[0:1], 3, v[0:1]
	s_waitcnt lgkmcnt(0)
	v_mov_b32_e32 v6, s9
	v_add_co_u32_e32 v7, vcc, s8, v0
	v_addc_co_u32_e32 v6, vcc, v6, v1, vcc
	v_lshlrev_b64 v[0:1], 3, v[2:3]
	v_mul_f32_e32 v5, s14, v14
	v_add_co_u32_e32 v0, vcc, v7, v0
	v_fmac_f32_e32 v5, s15, v17
	v_addc_co_u32_e32 v1, vcc, v6, v1, vcc
	flat_store_dwordx2 v[0:1], v[4:5]
.LBB1583_5:
	s_endpgm
.LBB1583_6:
	v_mov_b32_e32 v14, 0
	v_mov_b32_e32 v17, 0
	v_cmp_le_i32_e32 vcc, v2, v4
	s_and_saveexec_b64 s[0:1], vcc
	s_cbranch_execnz .LBB1583_4
	s_branch .LBB1583_5
	.section	.rodata,"a",@progbits
	.p2align	6, 0x0
	.amdhsa_kernel _ZL41rocblas_syrkx_herkx_small_restrict_kernelIl19rocblas_complex_numIfELi16ELb1ELb0ELc78ELc85EKPKS1_KPS1_EviT_T0_PT6_S7_lSA_S7_lS8_PT7_S7_li
		.amdhsa_group_segment_fixed_size 4096
		.amdhsa_private_segment_fixed_size 0
		.amdhsa_kernarg_size 108
		.amdhsa_user_sgpr_count 6
		.amdhsa_user_sgpr_private_segment_buffer 1
		.amdhsa_user_sgpr_dispatch_ptr 0
		.amdhsa_user_sgpr_queue_ptr 0
		.amdhsa_user_sgpr_kernarg_segment_ptr 1
		.amdhsa_user_sgpr_dispatch_id 0
		.amdhsa_user_sgpr_flat_scratch_init 0
		.amdhsa_user_sgpr_private_segment_size 0
		.amdhsa_uses_dynamic_stack 0
		.amdhsa_system_sgpr_private_segment_wavefront_offset 0
		.amdhsa_system_sgpr_workgroup_id_x 1
		.amdhsa_system_sgpr_workgroup_id_y 1
		.amdhsa_system_sgpr_workgroup_id_z 1
		.amdhsa_system_sgpr_workgroup_info 0
		.amdhsa_system_vgpr_workitem_id 1
		.amdhsa_next_free_vgpr 68
		.amdhsa_next_free_sgpr 22
		.amdhsa_reserve_vcc 1
		.amdhsa_reserve_flat_scratch 0
		.amdhsa_float_round_mode_32 0
		.amdhsa_float_round_mode_16_64 0
		.amdhsa_float_denorm_mode_32 3
		.amdhsa_float_denorm_mode_16_64 3
		.amdhsa_dx10_clamp 1
		.amdhsa_ieee_mode 1
		.amdhsa_fp16_overflow 0
		.amdhsa_exception_fp_ieee_invalid_op 0
		.amdhsa_exception_fp_denorm_src 0
		.amdhsa_exception_fp_ieee_div_zero 0
		.amdhsa_exception_fp_ieee_overflow 0
		.amdhsa_exception_fp_ieee_underflow 0
		.amdhsa_exception_fp_ieee_inexact 0
		.amdhsa_exception_int_div_zero 0
	.end_amdhsa_kernel
	.section	.text._ZL41rocblas_syrkx_herkx_small_restrict_kernelIl19rocblas_complex_numIfELi16ELb1ELb0ELc78ELc85EKPKS1_KPS1_EviT_T0_PT6_S7_lSA_S7_lS8_PT7_S7_li,"axG",@progbits,_ZL41rocblas_syrkx_herkx_small_restrict_kernelIl19rocblas_complex_numIfELi16ELb1ELb0ELc78ELc85EKPKS1_KPS1_EviT_T0_PT6_S7_lSA_S7_lS8_PT7_S7_li,comdat
.Lfunc_end1583:
	.size	_ZL41rocblas_syrkx_herkx_small_restrict_kernelIl19rocblas_complex_numIfELi16ELb1ELb0ELc78ELc85EKPKS1_KPS1_EviT_T0_PT6_S7_lSA_S7_lS8_PT7_S7_li, .Lfunc_end1583-_ZL41rocblas_syrkx_herkx_small_restrict_kernelIl19rocblas_complex_numIfELi16ELb1ELb0ELc78ELc85EKPKS1_KPS1_EviT_T0_PT6_S7_lSA_S7_lS8_PT7_S7_li
                                        ; -- End function
	.set _ZL41rocblas_syrkx_herkx_small_restrict_kernelIl19rocblas_complex_numIfELi16ELb1ELb0ELc78ELc85EKPKS1_KPS1_EviT_T0_PT6_S7_lSA_S7_lS8_PT7_S7_li.num_vgpr, 68
	.set _ZL41rocblas_syrkx_herkx_small_restrict_kernelIl19rocblas_complex_numIfELi16ELb1ELb0ELc78ELc85EKPKS1_KPS1_EviT_T0_PT6_S7_lSA_S7_lS8_PT7_S7_li.num_agpr, 0
	.set _ZL41rocblas_syrkx_herkx_small_restrict_kernelIl19rocblas_complex_numIfELi16ELb1ELb0ELc78ELc85EKPKS1_KPS1_EviT_T0_PT6_S7_lSA_S7_lS8_PT7_S7_li.numbered_sgpr, 22
	.set _ZL41rocblas_syrkx_herkx_small_restrict_kernelIl19rocblas_complex_numIfELi16ELb1ELb0ELc78ELc85EKPKS1_KPS1_EviT_T0_PT6_S7_lSA_S7_lS8_PT7_S7_li.num_named_barrier, 0
	.set _ZL41rocblas_syrkx_herkx_small_restrict_kernelIl19rocblas_complex_numIfELi16ELb1ELb0ELc78ELc85EKPKS1_KPS1_EviT_T0_PT6_S7_lSA_S7_lS8_PT7_S7_li.private_seg_size, 0
	.set _ZL41rocblas_syrkx_herkx_small_restrict_kernelIl19rocblas_complex_numIfELi16ELb1ELb0ELc78ELc85EKPKS1_KPS1_EviT_T0_PT6_S7_lSA_S7_lS8_PT7_S7_li.uses_vcc, 1
	.set _ZL41rocblas_syrkx_herkx_small_restrict_kernelIl19rocblas_complex_numIfELi16ELb1ELb0ELc78ELc85EKPKS1_KPS1_EviT_T0_PT6_S7_lSA_S7_lS8_PT7_S7_li.uses_flat_scratch, 0
	.set _ZL41rocblas_syrkx_herkx_small_restrict_kernelIl19rocblas_complex_numIfELi16ELb1ELb0ELc78ELc85EKPKS1_KPS1_EviT_T0_PT6_S7_lSA_S7_lS8_PT7_S7_li.has_dyn_sized_stack, 0
	.set _ZL41rocblas_syrkx_herkx_small_restrict_kernelIl19rocblas_complex_numIfELi16ELb1ELb0ELc78ELc85EKPKS1_KPS1_EviT_T0_PT6_S7_lSA_S7_lS8_PT7_S7_li.has_recursion, 0
	.set _ZL41rocblas_syrkx_herkx_small_restrict_kernelIl19rocblas_complex_numIfELi16ELb1ELb0ELc78ELc85EKPKS1_KPS1_EviT_T0_PT6_S7_lSA_S7_lS8_PT7_S7_li.has_indirect_call, 0
	.section	.AMDGPU.csdata,"",@progbits
; Kernel info:
; codeLenInByte = 1148
; TotalNumSgprs: 26
; NumVgprs: 68
; ScratchSize: 0
; MemoryBound: 0
; FloatMode: 240
; IeeeMode: 1
; LDSByteSize: 4096 bytes/workgroup (compile time only)
; SGPRBlocks: 3
; VGPRBlocks: 16
; NumSGPRsForWavesPerEU: 26
; NumVGPRsForWavesPerEU: 68
; Occupancy: 3
; WaveLimiterHint : 1
; COMPUTE_PGM_RSRC2:SCRATCH_EN: 0
; COMPUTE_PGM_RSRC2:USER_SGPR: 6
; COMPUTE_PGM_RSRC2:TRAP_HANDLER: 0
; COMPUTE_PGM_RSRC2:TGID_X_EN: 1
; COMPUTE_PGM_RSRC2:TGID_Y_EN: 1
; COMPUTE_PGM_RSRC2:TGID_Z_EN: 1
; COMPUTE_PGM_RSRC2:TIDIG_COMP_CNT: 1
	.section	.text._ZL41rocblas_syrkx_herkx_small_restrict_kernelIl19rocblas_complex_numIfELi16ELb0ELb0ELc84ELc76EKPKS1_KPS1_EviT_T0_PT6_S7_lSA_S7_lS8_PT7_S7_li,"axG",@progbits,_ZL41rocblas_syrkx_herkx_small_restrict_kernelIl19rocblas_complex_numIfELi16ELb0ELb0ELc84ELc76EKPKS1_KPS1_EviT_T0_PT6_S7_lSA_S7_lS8_PT7_S7_li,comdat
	.globl	_ZL41rocblas_syrkx_herkx_small_restrict_kernelIl19rocblas_complex_numIfELi16ELb0ELb0ELc84ELc76EKPKS1_KPS1_EviT_T0_PT6_S7_lSA_S7_lS8_PT7_S7_li ; -- Begin function _ZL41rocblas_syrkx_herkx_small_restrict_kernelIl19rocblas_complex_numIfELi16ELb0ELb0ELc84ELc76EKPKS1_KPS1_EviT_T0_PT6_S7_lSA_S7_lS8_PT7_S7_li
	.p2align	8
	.type	_ZL41rocblas_syrkx_herkx_small_restrict_kernelIl19rocblas_complex_numIfELi16ELb0ELb0ELc84ELc76EKPKS1_KPS1_EviT_T0_PT6_S7_lSA_S7_lS8_PT7_S7_li,@function
_ZL41rocblas_syrkx_herkx_small_restrict_kernelIl19rocblas_complex_numIfELi16ELb0ELb0ELc84ELc76EKPKS1_KPS1_EviT_T0_PT6_S7_lSA_S7_lS8_PT7_S7_li: ; @_ZL41rocblas_syrkx_herkx_small_restrict_kernelIl19rocblas_complex_numIfELi16ELb0ELb0ELc84ELc76EKPKS1_KPS1_EviT_T0_PT6_S7_lSA_S7_lS8_PT7_S7_li
; %bb.0:
	s_load_dwordx4 s[20:23], s[4:5], 0x48
	s_load_dwordx2 s[10:11], s[4:5], 0x58
	s_load_dwordx8 s[12:19], s[4:5], 0x8
	s_mov_b32 s9, 0
	s_lshl_b64 s[0:1], s[8:9], 3
	s_waitcnt lgkmcnt(0)
	s_add_u32 s2, s22, s0
	s_addc_u32 s3, s23, s1
	s_load_dwordx2 s[8:9], s[2:3], 0x0
	v_cmp_lt_i64_e64 s[2:3], s[12:13], 1
	v_lshl_add_u32 v2, s6, 4, v0
	v_lshl_add_u32 v8, s7, 4, v1
	s_and_b64 vcc, exec, s[2:3]
	v_ashrrev_i32_e32 v3, 31, v2
	v_ashrrev_i32_e32 v9, 31, v8
	s_cbranch_vccnz .LBB1584_6
; %bb.1:
	s_load_dwordx4 s[4:7], s[4:5], 0x30
	v_mad_u64_u32 v[4:5], s[2:3], s18, v2, 0
	v_mul_lo_u32 v6, s19, v2
	v_mul_lo_u32 v7, s18, v3
	s_waitcnt lgkmcnt(0)
	s_add_u32 s2, s4, s0
	s_addc_u32 s3, s5, s1
	s_add_u32 s0, s16, s0
	s_addc_u32 s1, s17, s1
	s_load_dwordx2 s[0:1], s[0:1], 0x0
	v_lshlrev_b32_e32 v11, 3, v1
	v_add3_u32 v5, v5, v7, v6
	v_lshlrev_b64 v[4:5], 3, v[4:5]
	s_load_dwordx2 s[2:3], s[2:3], 0x0
	s_waitcnt lgkmcnt(0)
	v_mov_b32_e32 v6, s1
	v_add_co_u32_e32 v7, vcc, s0, v11
	v_addc_co_u32_e32 v6, vcc, 0, v6, vcc
	v_add_co_u32_e32 v4, vcc, v7, v4
	v_addc_co_u32_e32 v5, vcc, v6, v5, vcc
	v_mul_lo_u32 v13, s7, v8
	v_mul_lo_u32 v14, s6, v9
	v_mad_u64_u32 v[6:7], s[0:1], s6, v8, 0
	v_lshlrev_b32_e32 v11, 3, v0
	v_mov_b32_e32 v0, s3
	v_add3_u32 v7, v7, v14, v13
	v_add_co_u32_e32 v13, vcc, s2, v11
	v_lshlrev_b32_e32 v15, 7, v1
	v_addc_co_u32_e32 v14, vcc, 0, v0, vcc
	v_lshlrev_b64 v[0:1], 3, v[6:7]
	v_mov_b32_e32 v6, s12
	v_add_co_u32_e32 v0, vcc, v13, v0
	v_addc_co_u32_e32 v1, vcc, v14, v1, vcc
	v_add_u32_e32 v14, 0x800, v15
	v_mov_b32_e32 v10, 0
	v_add_u32_e32 v12, v11, v15
	v_add_u32_e32 v15, v14, v11
	s_mov_b64 s[4:5], 0
	v_mov_b32_e32 v7, s13
	v_mov_b32_e32 v13, 0
.LBB1584_2:                             ; =>This Inner Loop Header: Depth=1
	flat_load_dwordx2 v[16:17], v[4:5]
	s_add_u32 s4, s4, 16
	s_addc_u32 s5, s5, 0
	v_cmp_lt_i64_e32 vcc, s[4:5], v[6:7]
	s_and_b64 s[0:1], exec, vcc
	s_waitcnt vmcnt(0) lgkmcnt(0)
	ds_write_b64 v12, v[16:17]
	flat_load_dwordx2 v[16:17], v[0:1]
	v_add_co_u32_e32 v0, vcc, 0x80, v0
	s_mov_b64 s[2:3], vcc
	v_add_co_u32_e32 v4, vcc, 0x80, v4
	v_addc_co_u32_e32 v5, vcc, 0, v5, vcc
	v_addc_co_u32_e64 v1, s[2:3], 0, v1, s[2:3]
	s_mov_b64 vcc, s[0:1]
	s_waitcnt vmcnt(0) lgkmcnt(0)
	ds_write_b64 v15, v[16:17]
	s_waitcnt lgkmcnt(0)
	s_barrier
	ds_read2_b64 v[16:19], v11 offset1:16
	ds_read_b128 v[20:23], v14
	ds_read_b128 v[24:27], v14 offset:16
	ds_read2_b64 v[28:31], v11 offset0:32 offset1:48
	ds_read2_b64 v[32:35], v11 offset0:64 offset1:80
	ds_read_b128 v[36:39], v14 offset:32
	ds_read_b128 v[40:43], v14 offset:48
	ds_read2_b64 v[44:47], v11 offset0:96 offset1:112
	ds_read2_b64 v[48:51], v11 offset0:128 offset1:144
	ds_read_b128 v[52:55], v14 offset:64
	ds_read_b128 v[56:59], v14 offset:80
	s_waitcnt lgkmcnt(9)
	v_mul_f32_e32 v60, v21, v17
	v_mul_f32_e32 v61, v20, v17
	;; [unrolled: 1-line block ×4, first 2 shown]
	v_fma_f32 v60, v20, v16, -v60
	v_fmac_f32_e32 v61, v21, v16
	v_fma_f32 v63, v22, v18, -v17
	v_fmac_f32_e32 v62, v23, v18
	s_waitcnt lgkmcnt(7)
	v_mul_f32_e32 v20, v25, v29
	v_mul_f32_e32 v64, v24, v29
	v_add_f32_e32 v13, v13, v60
	v_add_f32_e32 v10, v10, v61
	v_mul_f32_e32 v21, v27, v31
	v_mul_f32_e32 v65, v26, v31
	v_fma_f32 v66, v24, v28, -v20
	v_fmac_f32_e32 v64, v25, v28
	v_add_f32_e32 v13, v13, v63
	v_add_f32_e32 v10, v10, v62
	v_fma_f32 v67, v26, v30, -v21
	v_fmac_f32_e32 v65, v27, v30
	s_waitcnt lgkmcnt(5)
	v_mul_f32_e32 v24, v37, v33
	v_mul_f32_e32 v68, v36, v33
	v_add_f32_e32 v13, v13, v66
	v_add_f32_e32 v10, v10, v64
	ds_read2_b64 v[16:19], v11 offset0:160 offset1:176
	v_mul_f32_e32 v25, v39, v35
	v_mul_f32_e32 v69, v38, v35
	v_fma_f32 v36, v36, v32, -v24
	v_fmac_f32_e32 v68, v37, v32
	v_add_f32_e32 v13, v13, v67
	v_add_f32_e32 v10, v10, v65
	v_fma_f32 v37, v38, v34, -v25
	v_fmac_f32_e32 v69, v39, v34
	s_waitcnt lgkmcnt(4)
	v_mul_f32_e32 v28, v41, v45
	v_mul_f32_e32 v38, v40, v45
	v_add_f32_e32 v13, v13, v36
	v_add_f32_e32 v10, v10, v68
	ds_read2_b64 v[20:23], v11 offset0:192 offset1:208
	ds_read_b128 v[24:27], v14 offset:96
	v_mul_f32_e32 v29, v43, v47
	v_mul_f32_e32 v39, v42, v47
	v_fma_f32 v40, v40, v44, -v28
	v_fmac_f32_e32 v38, v41, v44
	v_add_f32_e32 v13, v13, v37
	v_add_f32_e32 v10, v10, v69
	v_fma_f32 v41, v42, v46, -v29
	v_fmac_f32_e32 v39, v43, v46
	s_waitcnt lgkmcnt(4)
	v_mul_f32_e32 v32, v53, v49
	v_mul_f32_e32 v42, v52, v49
	;; [unrolled: 1-line block ×3, first 2 shown]
	v_add_f32_e32 v13, v13, v40
	v_add_f32_e32 v10, v10, v38
	ds_read_b128 v[28:31], v14 offset:112
	v_mul_f32_e32 v43, v54, v51
	v_fma_f32 v44, v52, v48, -v32
	v_fmac_f32_e32 v42, v53, v48
	v_fma_f32 v45, v54, v50, -v33
	ds_read2_b64 v[32:35], v11 offset0:224 offset1:240
	v_add_f32_e32 v13, v13, v41
	v_add_f32_e32 v10, v10, v39
	v_fmac_f32_e32 v43, v55, v50
	s_waitcnt lgkmcnt(4)
	v_mul_f32_e32 v46, v57, v17
	v_mul_f32_e32 v17, v56, v17
	v_add_f32_e32 v13, v13, v44
	v_add_f32_e32 v10, v10, v42
	v_mul_f32_e32 v47, v59, v19
	v_mul_f32_e32 v19, v58, v19
	v_fma_f32 v46, v56, v16, -v46
	v_fmac_f32_e32 v17, v57, v16
	v_add_f32_e32 v13, v13, v45
	v_add_f32_e32 v10, v10, v43
	v_fma_f32 v16, v58, v18, -v47
	v_fmac_f32_e32 v19, v59, v18
	s_waitcnt lgkmcnt(2)
	v_mul_f32_e32 v18, v25, v21
	v_mul_f32_e32 v21, v24, v21
	v_add_f32_e32 v13, v13, v46
	v_add_f32_e32 v10, v10, v17
	v_mul_f32_e32 v47, v27, v23
	v_mul_f32_e32 v23, v26, v23
	v_fma_f32 v18, v24, v20, -v18
	v_fmac_f32_e32 v21, v25, v20
	v_add_f32_e32 v13, v13, v16
	v_add_f32_e32 v10, v10, v19
	s_waitcnt lgkmcnt(0)
	v_mul_f32_e32 v48, v29, v33
	v_mul_f32_e32 v33, v28, v33
	v_fma_f32 v20, v26, v22, -v47
	v_fmac_f32_e32 v23, v27, v22
	v_add_f32_e32 v13, v13, v18
	v_add_f32_e32 v10, v10, v21
	v_mul_f32_e32 v49, v31, v35
	v_mul_f32_e32 v35, v30, v35
	v_fma_f32 v22, v28, v32, -v48
	v_fmac_f32_e32 v33, v29, v32
	v_add_f32_e32 v13, v13, v20
	v_add_f32_e32 v10, v10, v23
	v_fma_f32 v24, v30, v34, -v49
	v_fmac_f32_e32 v35, v31, v34
	v_add_f32_e32 v13, v13, v22
	v_add_f32_e32 v10, v10, v33
	;; [unrolled: 1-line block ×4, first 2 shown]
	s_barrier
	s_cbranch_vccnz .LBB1584_2
; %bb.3:
	v_cmp_le_i32_e32 vcc, v8, v2
	s_and_saveexec_b64 s[0:1], vcc
	s_cbranch_execz .LBB1584_5
.LBB1584_4:
	v_mul_lo_u32 v4, s11, v8
	v_mul_lo_u32 v5, s10, v9
	v_mad_u64_u32 v[0:1], s[0:1], s10, v8, 0
	v_add3_u32 v1, v1, v5, v4
	v_lshlrev_b64 v[0:1], 3, v[0:1]
	s_waitcnt lgkmcnt(0)
	v_mov_b32_e32 v4, s9
	v_add_co_u32_e32 v5, vcc, s8, v0
	v_addc_co_u32_e32 v4, vcc, v4, v1, vcc
	v_lshlrev_b64 v[0:1], 3, v[2:3]
	v_add_co_u32_e32 v0, vcc, v5, v0
	v_addc_co_u32_e32 v1, vcc, v4, v1, vcc
	flat_load_dwordx2 v[2:3], v[0:1]
	v_mul_f32_e32 v4, s15, v10
	v_mul_f32_e32 v5, s14, v10
	v_fma_f32 v4, v13, s14, -v4
	v_fmac_f32_e32 v5, s15, v13
	s_waitcnt vmcnt(0) lgkmcnt(0)
	v_mul_f32_e32 v6, s21, v3
	v_mul_f32_e32 v3, s20, v3
	v_fma_f32 v6, v2, s20, -v6
	v_fmac_f32_e32 v3, s21, v2
	v_add_f32_e32 v2, v4, v6
	v_add_f32_e32 v3, v5, v3
	flat_store_dwordx2 v[0:1], v[2:3]
.LBB1584_5:
	s_endpgm
.LBB1584_6:
	v_mov_b32_e32 v10, 0
	v_mov_b32_e32 v13, 0
	v_cmp_le_i32_e32 vcc, v8, v2
	s_and_saveexec_b64 s[0:1], vcc
	s_cbranch_execnz .LBB1584_4
	s_branch .LBB1584_5
	.section	.rodata,"a",@progbits
	.p2align	6, 0x0
	.amdhsa_kernel _ZL41rocblas_syrkx_herkx_small_restrict_kernelIl19rocblas_complex_numIfELi16ELb0ELb0ELc84ELc76EKPKS1_KPS1_EviT_T0_PT6_S7_lSA_S7_lS8_PT7_S7_li
		.amdhsa_group_segment_fixed_size 4096
		.amdhsa_private_segment_fixed_size 0
		.amdhsa_kernarg_size 108
		.amdhsa_user_sgpr_count 6
		.amdhsa_user_sgpr_private_segment_buffer 1
		.amdhsa_user_sgpr_dispatch_ptr 0
		.amdhsa_user_sgpr_queue_ptr 0
		.amdhsa_user_sgpr_kernarg_segment_ptr 1
		.amdhsa_user_sgpr_dispatch_id 0
		.amdhsa_user_sgpr_flat_scratch_init 0
		.amdhsa_user_sgpr_private_segment_size 0
		.amdhsa_uses_dynamic_stack 0
		.amdhsa_system_sgpr_private_segment_wavefront_offset 0
		.amdhsa_system_sgpr_workgroup_id_x 1
		.amdhsa_system_sgpr_workgroup_id_y 1
		.amdhsa_system_sgpr_workgroup_id_z 1
		.amdhsa_system_sgpr_workgroup_info 0
		.amdhsa_system_vgpr_workitem_id 1
		.amdhsa_next_free_vgpr 70
		.amdhsa_next_free_sgpr 24
		.amdhsa_reserve_vcc 1
		.amdhsa_reserve_flat_scratch 0
		.amdhsa_float_round_mode_32 0
		.amdhsa_float_round_mode_16_64 0
		.amdhsa_float_denorm_mode_32 3
		.amdhsa_float_denorm_mode_16_64 3
		.amdhsa_dx10_clamp 1
		.amdhsa_ieee_mode 1
		.amdhsa_fp16_overflow 0
		.amdhsa_exception_fp_ieee_invalid_op 0
		.amdhsa_exception_fp_denorm_src 0
		.amdhsa_exception_fp_ieee_div_zero 0
		.amdhsa_exception_fp_ieee_overflow 0
		.amdhsa_exception_fp_ieee_underflow 0
		.amdhsa_exception_fp_ieee_inexact 0
		.amdhsa_exception_int_div_zero 0
	.end_amdhsa_kernel
	.section	.text._ZL41rocblas_syrkx_herkx_small_restrict_kernelIl19rocblas_complex_numIfELi16ELb0ELb0ELc84ELc76EKPKS1_KPS1_EviT_T0_PT6_S7_lSA_S7_lS8_PT7_S7_li,"axG",@progbits,_ZL41rocblas_syrkx_herkx_small_restrict_kernelIl19rocblas_complex_numIfELi16ELb0ELb0ELc84ELc76EKPKS1_KPS1_EviT_T0_PT6_S7_lSA_S7_lS8_PT7_S7_li,comdat
.Lfunc_end1584:
	.size	_ZL41rocblas_syrkx_herkx_small_restrict_kernelIl19rocblas_complex_numIfELi16ELb0ELb0ELc84ELc76EKPKS1_KPS1_EviT_T0_PT6_S7_lSA_S7_lS8_PT7_S7_li, .Lfunc_end1584-_ZL41rocblas_syrkx_herkx_small_restrict_kernelIl19rocblas_complex_numIfELi16ELb0ELb0ELc84ELc76EKPKS1_KPS1_EviT_T0_PT6_S7_lSA_S7_lS8_PT7_S7_li
                                        ; -- End function
	.set _ZL41rocblas_syrkx_herkx_small_restrict_kernelIl19rocblas_complex_numIfELi16ELb0ELb0ELc84ELc76EKPKS1_KPS1_EviT_T0_PT6_S7_lSA_S7_lS8_PT7_S7_li.num_vgpr, 70
	.set _ZL41rocblas_syrkx_herkx_small_restrict_kernelIl19rocblas_complex_numIfELi16ELb0ELb0ELc84ELc76EKPKS1_KPS1_EviT_T0_PT6_S7_lSA_S7_lS8_PT7_S7_li.num_agpr, 0
	.set _ZL41rocblas_syrkx_herkx_small_restrict_kernelIl19rocblas_complex_numIfELi16ELb0ELb0ELc84ELc76EKPKS1_KPS1_EviT_T0_PT6_S7_lSA_S7_lS8_PT7_S7_li.numbered_sgpr, 24
	.set _ZL41rocblas_syrkx_herkx_small_restrict_kernelIl19rocblas_complex_numIfELi16ELb0ELb0ELc84ELc76EKPKS1_KPS1_EviT_T0_PT6_S7_lSA_S7_lS8_PT7_S7_li.num_named_barrier, 0
	.set _ZL41rocblas_syrkx_herkx_small_restrict_kernelIl19rocblas_complex_numIfELi16ELb0ELb0ELc84ELc76EKPKS1_KPS1_EviT_T0_PT6_S7_lSA_S7_lS8_PT7_S7_li.private_seg_size, 0
	.set _ZL41rocblas_syrkx_herkx_small_restrict_kernelIl19rocblas_complex_numIfELi16ELb0ELb0ELc84ELc76EKPKS1_KPS1_EviT_T0_PT6_S7_lSA_S7_lS8_PT7_S7_li.uses_vcc, 1
	.set _ZL41rocblas_syrkx_herkx_small_restrict_kernelIl19rocblas_complex_numIfELi16ELb0ELb0ELc84ELc76EKPKS1_KPS1_EviT_T0_PT6_S7_lSA_S7_lS8_PT7_S7_li.uses_flat_scratch, 0
	.set _ZL41rocblas_syrkx_herkx_small_restrict_kernelIl19rocblas_complex_numIfELi16ELb0ELb0ELc84ELc76EKPKS1_KPS1_EviT_T0_PT6_S7_lSA_S7_lS8_PT7_S7_li.has_dyn_sized_stack, 0
	.set _ZL41rocblas_syrkx_herkx_small_restrict_kernelIl19rocblas_complex_numIfELi16ELb0ELb0ELc84ELc76EKPKS1_KPS1_EviT_T0_PT6_S7_lSA_S7_lS8_PT7_S7_li.has_recursion, 0
	.set _ZL41rocblas_syrkx_herkx_small_restrict_kernelIl19rocblas_complex_numIfELi16ELb0ELb0ELc84ELc76EKPKS1_KPS1_EviT_T0_PT6_S7_lSA_S7_lS8_PT7_S7_li.has_indirect_call, 0
	.section	.AMDGPU.csdata,"",@progbits
; Kernel info:
; codeLenInByte = 1204
; TotalNumSgprs: 28
; NumVgprs: 70
; ScratchSize: 0
; MemoryBound: 0
; FloatMode: 240
; IeeeMode: 1
; LDSByteSize: 4096 bytes/workgroup (compile time only)
; SGPRBlocks: 3
; VGPRBlocks: 17
; NumSGPRsForWavesPerEU: 28
; NumVGPRsForWavesPerEU: 70
; Occupancy: 3
; WaveLimiterHint : 1
; COMPUTE_PGM_RSRC2:SCRATCH_EN: 0
; COMPUTE_PGM_RSRC2:USER_SGPR: 6
; COMPUTE_PGM_RSRC2:TRAP_HANDLER: 0
; COMPUTE_PGM_RSRC2:TGID_X_EN: 1
; COMPUTE_PGM_RSRC2:TGID_Y_EN: 1
; COMPUTE_PGM_RSRC2:TGID_Z_EN: 1
; COMPUTE_PGM_RSRC2:TIDIG_COMP_CNT: 1
	.section	.text._ZL41rocblas_syrkx_herkx_small_restrict_kernelIl19rocblas_complex_numIfELi16ELb0ELb0ELc67ELc76EKPKS1_KPS1_EviT_T0_PT6_S7_lSA_S7_lS8_PT7_S7_li,"axG",@progbits,_ZL41rocblas_syrkx_herkx_small_restrict_kernelIl19rocblas_complex_numIfELi16ELb0ELb0ELc67ELc76EKPKS1_KPS1_EviT_T0_PT6_S7_lSA_S7_lS8_PT7_S7_li,comdat
	.globl	_ZL41rocblas_syrkx_herkx_small_restrict_kernelIl19rocblas_complex_numIfELi16ELb0ELb0ELc67ELc76EKPKS1_KPS1_EviT_T0_PT6_S7_lSA_S7_lS8_PT7_S7_li ; -- Begin function _ZL41rocblas_syrkx_herkx_small_restrict_kernelIl19rocblas_complex_numIfELi16ELb0ELb0ELc67ELc76EKPKS1_KPS1_EviT_T0_PT6_S7_lSA_S7_lS8_PT7_S7_li
	.p2align	8
	.type	_ZL41rocblas_syrkx_herkx_small_restrict_kernelIl19rocblas_complex_numIfELi16ELb0ELb0ELc67ELc76EKPKS1_KPS1_EviT_T0_PT6_S7_lSA_S7_lS8_PT7_S7_li,@function
_ZL41rocblas_syrkx_herkx_small_restrict_kernelIl19rocblas_complex_numIfELi16ELb0ELb0ELc67ELc76EKPKS1_KPS1_EviT_T0_PT6_S7_lSA_S7_lS8_PT7_S7_li: ; @_ZL41rocblas_syrkx_herkx_small_restrict_kernelIl19rocblas_complex_numIfELi16ELb0ELb0ELc67ELc76EKPKS1_KPS1_EviT_T0_PT6_S7_lSA_S7_lS8_PT7_S7_li
; %bb.0:
	s_load_dwordx4 s[20:23], s[4:5], 0x48
	s_load_dwordx2 s[10:11], s[4:5], 0x58
	s_load_dwordx8 s[12:19], s[4:5], 0x8
	s_mov_b32 s9, 0
	s_lshl_b64 s[0:1], s[8:9], 3
	s_waitcnt lgkmcnt(0)
	s_add_u32 s2, s22, s0
	s_addc_u32 s3, s23, s1
	s_load_dwordx2 s[8:9], s[2:3], 0x0
	v_cmp_lt_i64_e64 s[2:3], s[12:13], 1
	v_lshl_add_u32 v2, s6, 4, v0
	v_lshl_add_u32 v8, s7, 4, v1
	s_and_b64 vcc, exec, s[2:3]
	v_ashrrev_i32_e32 v3, 31, v2
	v_ashrrev_i32_e32 v9, 31, v8
	s_cbranch_vccnz .LBB1585_6
; %bb.1:
	s_load_dwordx4 s[4:7], s[4:5], 0x30
	v_mad_u64_u32 v[4:5], s[2:3], s18, v2, 0
	v_mul_lo_u32 v6, s19, v2
	v_mul_lo_u32 v7, s18, v3
	s_waitcnt lgkmcnt(0)
	s_add_u32 s2, s4, s0
	s_addc_u32 s3, s5, s1
	s_add_u32 s0, s16, s0
	s_addc_u32 s1, s17, s1
	s_load_dwordx2 s[0:1], s[0:1], 0x0
	v_lshlrev_b32_e32 v11, 3, v1
	v_add3_u32 v5, v5, v7, v6
	v_lshlrev_b64 v[4:5], 3, v[4:5]
	s_load_dwordx2 s[2:3], s[2:3], 0x0
	s_waitcnt lgkmcnt(0)
	v_mov_b32_e32 v6, s1
	v_add_co_u32_e32 v7, vcc, s0, v11
	v_addc_co_u32_e32 v6, vcc, 0, v6, vcc
	v_add_co_u32_e32 v4, vcc, v7, v4
	v_addc_co_u32_e32 v5, vcc, v6, v5, vcc
	v_mul_lo_u32 v13, s7, v8
	v_mul_lo_u32 v14, s6, v9
	v_mad_u64_u32 v[6:7], s[0:1], s6, v8, 0
	v_lshlrev_b32_e32 v11, 3, v0
	v_mov_b32_e32 v0, s3
	v_add3_u32 v7, v7, v14, v13
	v_add_co_u32_e32 v13, vcc, s2, v11
	v_lshlrev_b32_e32 v15, 7, v1
	v_addc_co_u32_e32 v14, vcc, 0, v0, vcc
	v_lshlrev_b64 v[0:1], 3, v[6:7]
	v_mov_b32_e32 v6, s12
	v_add_co_u32_e32 v0, vcc, v13, v0
	v_addc_co_u32_e32 v1, vcc, v14, v1, vcc
	v_add_u32_e32 v14, 0x800, v15
	v_mov_b32_e32 v10, 0
	v_add_u32_e32 v12, v11, v15
	v_add_u32_e32 v15, v14, v11
	s_mov_b64 s[4:5], 0
	v_mov_b32_e32 v7, s13
	v_mov_b32_e32 v13, 0
.LBB1585_2:                             ; =>This Inner Loop Header: Depth=1
	flat_load_dwordx2 v[16:17], v[4:5]
	s_add_u32 s4, s4, 16
	s_addc_u32 s5, s5, 0
	v_cmp_lt_i64_e32 vcc, s[4:5], v[6:7]
	s_and_b64 s[0:1], exec, vcc
	s_waitcnt vmcnt(0) lgkmcnt(0)
	ds_write_b64 v12, v[16:17]
	flat_load_dwordx2 v[16:17], v[0:1]
	v_add_co_u32_e32 v0, vcc, 0x80, v0
	s_mov_b64 s[2:3], vcc
	v_add_co_u32_e32 v4, vcc, 0x80, v4
	v_addc_co_u32_e32 v5, vcc, 0, v5, vcc
	v_addc_co_u32_e64 v1, s[2:3], 0, v1, s[2:3]
	s_mov_b64 vcc, s[0:1]
	s_waitcnt vmcnt(0) lgkmcnt(0)
	ds_write_b64 v15, v[16:17]
	s_waitcnt lgkmcnt(0)
	s_barrier
	ds_read2_b64 v[16:19], v11 offset1:16
	ds_read_b128 v[20:23], v14
	ds_read_b128 v[24:27], v14 offset:16
	ds_read2_b64 v[28:31], v11 offset0:32 offset1:48
	ds_read2_b64 v[32:35], v11 offset0:64 offset1:80
	ds_read_b128 v[36:39], v14 offset:32
	ds_read_b128 v[40:43], v14 offset:48
	ds_read2_b64 v[44:47], v11 offset0:96 offset1:112
	ds_read2_b64 v[48:51], v11 offset0:128 offset1:144
	ds_read_b128 v[52:55], v14 offset:64
	ds_read_b128 v[56:59], v14 offset:80
	s_waitcnt lgkmcnt(9)
	v_mul_f32_e32 v60, v21, v17
	v_mul_f32_e32 v61, v20, v17
	;; [unrolled: 1-line block ×4, first 2 shown]
	v_fma_f32 v60, v20, v16, -v60
	v_fmac_f32_e32 v61, v21, v16
	v_fma_f32 v63, v22, v18, -v17
	v_fmac_f32_e32 v62, v23, v18
	s_waitcnt lgkmcnt(7)
	v_mul_f32_e32 v20, v25, v29
	v_mul_f32_e32 v64, v24, v29
	v_add_f32_e32 v13, v13, v60
	v_add_f32_e32 v10, v10, v61
	v_mul_f32_e32 v21, v27, v31
	v_mul_f32_e32 v65, v26, v31
	v_fma_f32 v66, v24, v28, -v20
	v_fmac_f32_e32 v64, v25, v28
	v_add_f32_e32 v13, v13, v63
	v_add_f32_e32 v10, v10, v62
	v_fma_f32 v67, v26, v30, -v21
	v_fmac_f32_e32 v65, v27, v30
	s_waitcnt lgkmcnt(5)
	v_mul_f32_e32 v24, v37, v33
	v_mul_f32_e32 v68, v36, v33
	v_add_f32_e32 v13, v13, v66
	v_add_f32_e32 v10, v10, v64
	ds_read2_b64 v[16:19], v11 offset0:160 offset1:176
	v_mul_f32_e32 v25, v39, v35
	v_mul_f32_e32 v69, v38, v35
	v_fma_f32 v36, v36, v32, -v24
	v_fmac_f32_e32 v68, v37, v32
	v_add_f32_e32 v13, v13, v67
	v_add_f32_e32 v10, v10, v65
	v_fma_f32 v37, v38, v34, -v25
	v_fmac_f32_e32 v69, v39, v34
	s_waitcnt lgkmcnt(4)
	v_mul_f32_e32 v28, v41, v45
	v_mul_f32_e32 v38, v40, v45
	v_add_f32_e32 v13, v13, v36
	v_add_f32_e32 v10, v10, v68
	ds_read2_b64 v[20:23], v11 offset0:192 offset1:208
	ds_read_b128 v[24:27], v14 offset:96
	v_mul_f32_e32 v29, v43, v47
	v_mul_f32_e32 v39, v42, v47
	v_fma_f32 v40, v40, v44, -v28
	v_fmac_f32_e32 v38, v41, v44
	v_add_f32_e32 v13, v13, v37
	v_add_f32_e32 v10, v10, v69
	v_fma_f32 v41, v42, v46, -v29
	v_fmac_f32_e32 v39, v43, v46
	s_waitcnt lgkmcnt(4)
	v_mul_f32_e32 v32, v53, v49
	v_mul_f32_e32 v42, v52, v49
	;; [unrolled: 1-line block ×3, first 2 shown]
	v_add_f32_e32 v13, v13, v40
	v_add_f32_e32 v10, v10, v38
	ds_read_b128 v[28:31], v14 offset:112
	v_mul_f32_e32 v43, v54, v51
	v_fma_f32 v44, v52, v48, -v32
	v_fmac_f32_e32 v42, v53, v48
	v_fma_f32 v45, v54, v50, -v33
	ds_read2_b64 v[32:35], v11 offset0:224 offset1:240
	v_add_f32_e32 v13, v13, v41
	v_add_f32_e32 v10, v10, v39
	v_fmac_f32_e32 v43, v55, v50
	s_waitcnt lgkmcnt(4)
	v_mul_f32_e32 v46, v57, v17
	v_mul_f32_e32 v17, v56, v17
	v_add_f32_e32 v13, v13, v44
	v_add_f32_e32 v10, v10, v42
	v_mul_f32_e32 v47, v59, v19
	v_mul_f32_e32 v19, v58, v19
	v_fma_f32 v46, v56, v16, -v46
	v_fmac_f32_e32 v17, v57, v16
	v_add_f32_e32 v13, v13, v45
	v_add_f32_e32 v10, v10, v43
	v_fma_f32 v16, v58, v18, -v47
	v_fmac_f32_e32 v19, v59, v18
	s_waitcnt lgkmcnt(2)
	v_mul_f32_e32 v18, v25, v21
	v_mul_f32_e32 v21, v24, v21
	v_add_f32_e32 v13, v13, v46
	v_add_f32_e32 v10, v10, v17
	v_mul_f32_e32 v47, v27, v23
	v_mul_f32_e32 v23, v26, v23
	v_fma_f32 v18, v24, v20, -v18
	v_fmac_f32_e32 v21, v25, v20
	v_add_f32_e32 v13, v13, v16
	v_add_f32_e32 v10, v10, v19
	s_waitcnt lgkmcnt(0)
	v_mul_f32_e32 v48, v29, v33
	v_mul_f32_e32 v33, v28, v33
	v_fma_f32 v20, v26, v22, -v47
	v_fmac_f32_e32 v23, v27, v22
	v_add_f32_e32 v13, v13, v18
	v_add_f32_e32 v10, v10, v21
	v_mul_f32_e32 v49, v31, v35
	v_mul_f32_e32 v35, v30, v35
	v_fma_f32 v22, v28, v32, -v48
	v_fmac_f32_e32 v33, v29, v32
	v_add_f32_e32 v13, v13, v20
	v_add_f32_e32 v10, v10, v23
	v_fma_f32 v24, v30, v34, -v49
	v_fmac_f32_e32 v35, v31, v34
	v_add_f32_e32 v13, v13, v22
	v_add_f32_e32 v10, v10, v33
	;; [unrolled: 1-line block ×4, first 2 shown]
	s_barrier
	s_cbranch_vccnz .LBB1585_2
; %bb.3:
	v_cmp_le_i32_e32 vcc, v8, v2
	s_and_saveexec_b64 s[0:1], vcc
	s_cbranch_execz .LBB1585_5
.LBB1585_4:
	v_mul_lo_u32 v4, s11, v8
	v_mul_lo_u32 v5, s10, v9
	v_mad_u64_u32 v[0:1], s[0:1], s10, v8, 0
	v_add3_u32 v1, v1, v5, v4
	v_lshlrev_b64 v[0:1], 3, v[0:1]
	s_waitcnt lgkmcnt(0)
	v_mov_b32_e32 v4, s9
	v_add_co_u32_e32 v5, vcc, s8, v0
	v_addc_co_u32_e32 v4, vcc, v4, v1, vcc
	v_lshlrev_b64 v[0:1], 3, v[2:3]
	v_add_co_u32_e32 v0, vcc, v5, v0
	v_addc_co_u32_e32 v1, vcc, v4, v1, vcc
	flat_load_dwordx2 v[2:3], v[0:1]
	v_mul_f32_e32 v4, s15, v10
	v_mul_f32_e32 v5, s14, v10
	v_fma_f32 v4, v13, s14, -v4
	v_fmac_f32_e32 v5, s15, v13
	s_waitcnt vmcnt(0) lgkmcnt(0)
	v_mul_f32_e32 v6, s21, v3
	v_mul_f32_e32 v3, s20, v3
	v_fma_f32 v6, v2, s20, -v6
	v_fmac_f32_e32 v3, s21, v2
	v_add_f32_e32 v2, v4, v6
	v_add_f32_e32 v3, v5, v3
	flat_store_dwordx2 v[0:1], v[2:3]
.LBB1585_5:
	s_endpgm
.LBB1585_6:
	v_mov_b32_e32 v10, 0
	v_mov_b32_e32 v13, 0
	v_cmp_le_i32_e32 vcc, v8, v2
	s_and_saveexec_b64 s[0:1], vcc
	s_cbranch_execnz .LBB1585_4
	s_branch .LBB1585_5
	.section	.rodata,"a",@progbits
	.p2align	6, 0x0
	.amdhsa_kernel _ZL41rocblas_syrkx_herkx_small_restrict_kernelIl19rocblas_complex_numIfELi16ELb0ELb0ELc67ELc76EKPKS1_KPS1_EviT_T0_PT6_S7_lSA_S7_lS8_PT7_S7_li
		.amdhsa_group_segment_fixed_size 4096
		.amdhsa_private_segment_fixed_size 0
		.amdhsa_kernarg_size 108
		.amdhsa_user_sgpr_count 6
		.amdhsa_user_sgpr_private_segment_buffer 1
		.amdhsa_user_sgpr_dispatch_ptr 0
		.amdhsa_user_sgpr_queue_ptr 0
		.amdhsa_user_sgpr_kernarg_segment_ptr 1
		.amdhsa_user_sgpr_dispatch_id 0
		.amdhsa_user_sgpr_flat_scratch_init 0
		.amdhsa_user_sgpr_private_segment_size 0
		.amdhsa_uses_dynamic_stack 0
		.amdhsa_system_sgpr_private_segment_wavefront_offset 0
		.amdhsa_system_sgpr_workgroup_id_x 1
		.amdhsa_system_sgpr_workgroup_id_y 1
		.amdhsa_system_sgpr_workgroup_id_z 1
		.amdhsa_system_sgpr_workgroup_info 0
		.amdhsa_system_vgpr_workitem_id 1
		.amdhsa_next_free_vgpr 70
		.amdhsa_next_free_sgpr 24
		.amdhsa_reserve_vcc 1
		.amdhsa_reserve_flat_scratch 0
		.amdhsa_float_round_mode_32 0
		.amdhsa_float_round_mode_16_64 0
		.amdhsa_float_denorm_mode_32 3
		.amdhsa_float_denorm_mode_16_64 3
		.amdhsa_dx10_clamp 1
		.amdhsa_ieee_mode 1
		.amdhsa_fp16_overflow 0
		.amdhsa_exception_fp_ieee_invalid_op 0
		.amdhsa_exception_fp_denorm_src 0
		.amdhsa_exception_fp_ieee_div_zero 0
		.amdhsa_exception_fp_ieee_overflow 0
		.amdhsa_exception_fp_ieee_underflow 0
		.amdhsa_exception_fp_ieee_inexact 0
		.amdhsa_exception_int_div_zero 0
	.end_amdhsa_kernel
	.section	.text._ZL41rocblas_syrkx_herkx_small_restrict_kernelIl19rocblas_complex_numIfELi16ELb0ELb0ELc67ELc76EKPKS1_KPS1_EviT_T0_PT6_S7_lSA_S7_lS8_PT7_S7_li,"axG",@progbits,_ZL41rocblas_syrkx_herkx_small_restrict_kernelIl19rocblas_complex_numIfELi16ELb0ELb0ELc67ELc76EKPKS1_KPS1_EviT_T0_PT6_S7_lSA_S7_lS8_PT7_S7_li,comdat
.Lfunc_end1585:
	.size	_ZL41rocblas_syrkx_herkx_small_restrict_kernelIl19rocblas_complex_numIfELi16ELb0ELb0ELc67ELc76EKPKS1_KPS1_EviT_T0_PT6_S7_lSA_S7_lS8_PT7_S7_li, .Lfunc_end1585-_ZL41rocblas_syrkx_herkx_small_restrict_kernelIl19rocblas_complex_numIfELi16ELb0ELb0ELc67ELc76EKPKS1_KPS1_EviT_T0_PT6_S7_lSA_S7_lS8_PT7_S7_li
                                        ; -- End function
	.set _ZL41rocblas_syrkx_herkx_small_restrict_kernelIl19rocblas_complex_numIfELi16ELb0ELb0ELc67ELc76EKPKS1_KPS1_EviT_T0_PT6_S7_lSA_S7_lS8_PT7_S7_li.num_vgpr, 70
	.set _ZL41rocblas_syrkx_herkx_small_restrict_kernelIl19rocblas_complex_numIfELi16ELb0ELb0ELc67ELc76EKPKS1_KPS1_EviT_T0_PT6_S7_lSA_S7_lS8_PT7_S7_li.num_agpr, 0
	.set _ZL41rocblas_syrkx_herkx_small_restrict_kernelIl19rocblas_complex_numIfELi16ELb0ELb0ELc67ELc76EKPKS1_KPS1_EviT_T0_PT6_S7_lSA_S7_lS8_PT7_S7_li.numbered_sgpr, 24
	.set _ZL41rocblas_syrkx_herkx_small_restrict_kernelIl19rocblas_complex_numIfELi16ELb0ELb0ELc67ELc76EKPKS1_KPS1_EviT_T0_PT6_S7_lSA_S7_lS8_PT7_S7_li.num_named_barrier, 0
	.set _ZL41rocblas_syrkx_herkx_small_restrict_kernelIl19rocblas_complex_numIfELi16ELb0ELb0ELc67ELc76EKPKS1_KPS1_EviT_T0_PT6_S7_lSA_S7_lS8_PT7_S7_li.private_seg_size, 0
	.set _ZL41rocblas_syrkx_herkx_small_restrict_kernelIl19rocblas_complex_numIfELi16ELb0ELb0ELc67ELc76EKPKS1_KPS1_EviT_T0_PT6_S7_lSA_S7_lS8_PT7_S7_li.uses_vcc, 1
	.set _ZL41rocblas_syrkx_herkx_small_restrict_kernelIl19rocblas_complex_numIfELi16ELb0ELb0ELc67ELc76EKPKS1_KPS1_EviT_T0_PT6_S7_lSA_S7_lS8_PT7_S7_li.uses_flat_scratch, 0
	.set _ZL41rocblas_syrkx_herkx_small_restrict_kernelIl19rocblas_complex_numIfELi16ELb0ELb0ELc67ELc76EKPKS1_KPS1_EviT_T0_PT6_S7_lSA_S7_lS8_PT7_S7_li.has_dyn_sized_stack, 0
	.set _ZL41rocblas_syrkx_herkx_small_restrict_kernelIl19rocblas_complex_numIfELi16ELb0ELb0ELc67ELc76EKPKS1_KPS1_EviT_T0_PT6_S7_lSA_S7_lS8_PT7_S7_li.has_recursion, 0
	.set _ZL41rocblas_syrkx_herkx_small_restrict_kernelIl19rocblas_complex_numIfELi16ELb0ELb0ELc67ELc76EKPKS1_KPS1_EviT_T0_PT6_S7_lSA_S7_lS8_PT7_S7_li.has_indirect_call, 0
	.section	.AMDGPU.csdata,"",@progbits
; Kernel info:
; codeLenInByte = 1204
; TotalNumSgprs: 28
; NumVgprs: 70
; ScratchSize: 0
; MemoryBound: 0
; FloatMode: 240
; IeeeMode: 1
; LDSByteSize: 4096 bytes/workgroup (compile time only)
; SGPRBlocks: 3
; VGPRBlocks: 17
; NumSGPRsForWavesPerEU: 28
; NumVGPRsForWavesPerEU: 70
; Occupancy: 3
; WaveLimiterHint : 1
; COMPUTE_PGM_RSRC2:SCRATCH_EN: 0
; COMPUTE_PGM_RSRC2:USER_SGPR: 6
; COMPUTE_PGM_RSRC2:TRAP_HANDLER: 0
; COMPUTE_PGM_RSRC2:TGID_X_EN: 1
; COMPUTE_PGM_RSRC2:TGID_Y_EN: 1
; COMPUTE_PGM_RSRC2:TGID_Z_EN: 1
; COMPUTE_PGM_RSRC2:TIDIG_COMP_CNT: 1
	.section	.text._ZL41rocblas_syrkx_herkx_small_restrict_kernelIl19rocblas_complex_numIfELi16ELb0ELb0ELc78ELc76EKPKS1_KPS1_EviT_T0_PT6_S7_lSA_S7_lS8_PT7_S7_li,"axG",@progbits,_ZL41rocblas_syrkx_herkx_small_restrict_kernelIl19rocblas_complex_numIfELi16ELb0ELb0ELc78ELc76EKPKS1_KPS1_EviT_T0_PT6_S7_lSA_S7_lS8_PT7_S7_li,comdat
	.globl	_ZL41rocblas_syrkx_herkx_small_restrict_kernelIl19rocblas_complex_numIfELi16ELb0ELb0ELc78ELc76EKPKS1_KPS1_EviT_T0_PT6_S7_lSA_S7_lS8_PT7_S7_li ; -- Begin function _ZL41rocblas_syrkx_herkx_small_restrict_kernelIl19rocblas_complex_numIfELi16ELb0ELb0ELc78ELc76EKPKS1_KPS1_EviT_T0_PT6_S7_lSA_S7_lS8_PT7_S7_li
	.p2align	8
	.type	_ZL41rocblas_syrkx_herkx_small_restrict_kernelIl19rocblas_complex_numIfELi16ELb0ELb0ELc78ELc76EKPKS1_KPS1_EviT_T0_PT6_S7_lSA_S7_lS8_PT7_S7_li,@function
_ZL41rocblas_syrkx_herkx_small_restrict_kernelIl19rocblas_complex_numIfELi16ELb0ELb0ELc78ELc76EKPKS1_KPS1_EviT_T0_PT6_S7_lSA_S7_lS8_PT7_S7_li: ; @_ZL41rocblas_syrkx_herkx_small_restrict_kernelIl19rocblas_complex_numIfELi16ELb0ELb0ELc78ELc76EKPKS1_KPS1_EviT_T0_PT6_S7_lSA_S7_lS8_PT7_S7_li
; %bb.0:
	s_load_dwordx4 s[20:23], s[4:5], 0x48
	s_load_dwordx2 s[10:11], s[4:5], 0x58
	s_load_dwordx8 s[12:19], s[4:5], 0x8
	s_mov_b32 s9, 0
	s_lshl_b64 s[24:25], s[8:9], 3
	s_waitcnt lgkmcnt(0)
	s_add_u32 s0, s22, s24
	s_addc_u32 s1, s23, s25
	s_load_dwordx2 s[8:9], s[0:1], 0x0
	v_cmp_lt_i64_e64 s[0:1], s[12:13], 1
	v_lshl_add_u32 v2, s6, 4, v0
	v_lshl_add_u32 v4, s7, 4, v1
	s_and_b64 vcc, exec, s[0:1]
	v_ashrrev_i32_e32 v3, 31, v2
	v_ashrrev_i32_e32 v5, 31, v4
	s_cbranch_vccnz .LBB1586_6
; %bb.1:
	s_load_dwordx4 s[0:3], s[4:5], 0x30
	v_mad_u64_u32 v[14:15], s[6:7], s18, v1, 0
	v_lshlrev_b32_e32 v9, 7, v1
	v_lshlrev_b32_e32 v10, 3, v0
	s_waitcnt lgkmcnt(0)
	v_mad_u64_u32 v[6:7], s[4:5], s2, v0, 0
	s_add_u32 s0, s0, s24
	v_add_u32_e32 v11, v10, v9
	v_mad_u64_u32 v[7:8], s[6:7], s3, v0, v[7:8]
	v_add_u32_e32 v12, 0x800, v9
	v_lshlrev_b64 v[8:9], 3, v[4:5]
	v_lshlrev_b64 v[6:7], 3, v[6:7]
	s_addc_u32 s1, s1, s25
	s_load_dwordx2 s[0:1], s[0:1], 0x0
	v_add_co_u32_e32 v8, vcc, v6, v8
	v_mov_b32_e32 v0, v15
	v_addc_co_u32_e32 v9, vcc, v7, v9, vcc
	v_mad_u64_u32 v[6:7], s[6:7], s19, v1, v[0:1]
	s_add_u32 s4, s16, s24
	s_addc_u32 s5, s17, s25
	s_load_dwordx2 s[4:5], s[4:5], 0x0
	s_waitcnt lgkmcnt(0)
	v_mov_b32_e32 v16, s1
	v_add_co_u32_e32 v0, vcc, s0, v8
	v_mov_b32_e32 v15, v6
	v_addc_co_u32_e32 v1, vcc, v16, v9, vcc
	v_lshlrev_b64 v[6:7], 3, v[14:15]
	v_lshlrev_b64 v[8:9], 3, v[2:3]
	s_lshl_b64 s[2:3], s[2:3], 7
	v_add_co_u32_e32 v6, vcc, v6, v8
	v_addc_co_u32_e32 v7, vcc, v7, v9, vcc
	v_mov_b32_e32 v8, s5
	v_add_co_u32_e32 v6, vcc, s4, v6
	v_addc_co_u32_e32 v7, vcc, v8, v7, vcc
	s_lshl_b64 s[4:5], s[18:19], 7
	v_mov_b32_e32 v8, s12
	v_add_u32_e32 v13, v12, v10
	v_mov_b32_e32 v14, 0
	s_mov_b64 s[6:7], 0
	v_mov_b32_e32 v16, s3
	v_mov_b32_e32 v17, s5
	;; [unrolled: 1-line block ×4, first 2 shown]
.LBB1586_2:                             ; =>This Inner Loop Header: Depth=1
	flat_load_dwordx2 v[18:19], v[6:7]
	s_add_u32 s6, s6, 16
	v_add_co_u32_e32 v6, vcc, s4, v6
	v_addc_co_u32_e32 v7, vcc, v7, v17, vcc
	s_addc_u32 s7, s7, 0
	v_cmp_lt_i64_e32 vcc, s[6:7], v[8:9]
	s_and_b64 vcc, exec, vcc
	s_waitcnt vmcnt(0) lgkmcnt(0)
	ds_write_b64 v11, v[18:19]
	flat_load_dwordx2 v[18:19], v[0:1]
	v_add_co_u32_e64 v0, s[0:1], s2, v0
	v_addc_co_u32_e64 v1, s[0:1], v1, v16, s[0:1]
	s_waitcnt vmcnt(0) lgkmcnt(0)
	ds_write_b64 v13, v[18:19]
	s_waitcnt lgkmcnt(0)
	s_barrier
	ds_read2_b64 v[18:21], v10 offset1:16
	ds_read_b128 v[22:25], v12
	ds_read_b128 v[26:29], v12 offset:16
	ds_read2_b64 v[30:33], v10 offset0:32 offset1:48
	ds_read2_b64 v[34:37], v10 offset0:64 offset1:80
	ds_read_b128 v[38:41], v12 offset:32
	ds_read_b128 v[42:45], v12 offset:48
	ds_read2_b64 v[46:49], v10 offset0:96 offset1:112
	ds_read2_b64 v[50:53], v10 offset0:128 offset1:144
	ds_read_b128 v[54:57], v12 offset:64
	s_waitcnt lgkmcnt(8)
	v_mul_f32_e32 v58, v23, v19
	v_mul_f32_e32 v59, v22, v19
	;; [unrolled: 1-line block ×4, first 2 shown]
	v_fma_f32 v58, v22, v18, -v58
	v_fmac_f32_e32 v59, v23, v18
	v_fma_f32 v61, v24, v20, -v19
	v_fmac_f32_e32 v60, v25, v20
	s_waitcnt lgkmcnt(6)
	v_mul_f32_e32 v22, v27, v31
	v_mul_f32_e32 v62, v26, v31
	;; [unrolled: 1-line block ×3, first 2 shown]
	v_add_f32_e32 v15, v15, v58
	v_add_f32_e32 v14, v14, v59
	ds_read_b128 v[18:21], v12 offset:80
	v_mul_f32_e32 v63, v28, v33
	v_fma_f32 v64, v26, v30, -v22
	v_fmac_f32_e32 v62, v27, v30
	v_fma_f32 v65, v28, v32, -v23
	ds_read2_b64 v[22:25], v10 offset0:160 offset1:176
	v_add_f32_e32 v15, v15, v61
	v_add_f32_e32 v14, v14, v60
	v_fmac_f32_e32 v63, v29, v32
	s_waitcnt lgkmcnt(6)
	v_mul_f32_e32 v26, v39, v35
	v_mul_f32_e32 v66, v38, v35
	v_add_f32_e32 v15, v15, v64
	v_add_f32_e32 v14, v14, v62
	v_mul_f32_e32 v27, v41, v37
	v_mul_f32_e32 v67, v40, v37
	v_fma_f32 v38, v38, v34, -v26
	v_fmac_f32_e32 v66, v39, v34
	v_add_f32_e32 v15, v15, v65
	v_add_f32_e32 v14, v14, v63
	v_fma_f32 v39, v40, v36, -v27
	v_fmac_f32_e32 v67, v41, v36
	s_waitcnt lgkmcnt(4)
	v_mul_f32_e32 v30, v43, v47
	v_mul_f32_e32 v40, v42, v47
	;; [unrolled: 1-line block ×3, first 2 shown]
	v_add_f32_e32 v15, v15, v38
	v_add_f32_e32 v14, v14, v66
	ds_read2_b64 v[26:29], v10 offset0:192 offset1:208
	v_mul_f32_e32 v41, v44, v49
	v_fma_f32 v42, v42, v46, -v30
	v_fmac_f32_e32 v40, v43, v46
	v_fma_f32 v43, v44, v48, -v31
	ds_read_b128 v[30:33], v12 offset:96
	v_add_f32_e32 v15, v15, v39
	v_add_f32_e32 v14, v14, v67
	v_fmac_f32_e32 v41, v45, v48
	s_waitcnt lgkmcnt(4)
	v_mul_f32_e32 v34, v55, v51
	v_mul_f32_e32 v44, v54, v51
	;; [unrolled: 1-line block ×3, first 2 shown]
	s_waitcnt lgkmcnt(2)
	v_mul_f32_e32 v48, v19, v23
	v_mul_f32_e32 v23, v18, v23
	;; [unrolled: 1-line block ×4, first 2 shown]
	v_add_f32_e32 v15, v15, v42
	v_add_f32_e32 v14, v14, v40
	v_mul_f32_e32 v45, v56, v53
	v_fma_f32 v46, v54, v50, -v34
	v_fmac_f32_e32 v44, v55, v50
	v_fma_f32 v47, v56, v52, -v35
	ds_read_b128 v[34:37], v12 offset:112
	v_fma_f32 v48, v18, v22, -v48
	v_fmac_f32_e32 v23, v19, v22
	v_fma_f32 v22, v20, v24, -v49
	v_fmac_f32_e32 v25, v21, v24
	ds_read2_b64 v[18:21], v10 offset0:224 offset1:240
	v_add_f32_e32 v15, v15, v43
	v_add_f32_e32 v14, v14, v41
	v_fmac_f32_e32 v45, v57, v52
	v_add_f32_e32 v15, v15, v46
	v_add_f32_e32 v14, v14, v44
	v_add_f32_e32 v15, v15, v47
	v_add_f32_e32 v14, v14, v45
	s_waitcnt lgkmcnt(2)
	v_mul_f32_e32 v24, v31, v27
	v_mul_f32_e32 v27, v30, v27
	v_add_f32_e32 v15, v15, v48
	v_add_f32_e32 v14, v14, v23
	v_mul_f32_e32 v49, v33, v29
	v_mul_f32_e32 v29, v32, v29
	v_fma_f32 v24, v30, v26, -v24
	v_fmac_f32_e32 v27, v31, v26
	v_add_f32_e32 v15, v15, v22
	v_add_f32_e32 v14, v14, v25
	s_waitcnt lgkmcnt(0)
	v_mul_f32_e32 v50, v35, v19
	v_mul_f32_e32 v19, v34, v19
	v_fma_f32 v26, v32, v28, -v49
	v_fmac_f32_e32 v29, v33, v28
	v_add_f32_e32 v15, v15, v24
	v_add_f32_e32 v14, v14, v27
	v_mul_f32_e32 v28, v37, v21
	v_mul_f32_e32 v21, v36, v21
	v_fma_f32 v30, v34, v18, -v50
	v_fmac_f32_e32 v19, v35, v18
	v_add_f32_e32 v15, v15, v26
	v_add_f32_e32 v14, v14, v29
	v_fma_f32 v18, v36, v20, -v28
	v_fmac_f32_e32 v21, v37, v20
	v_add_f32_e32 v15, v15, v30
	v_add_f32_e32 v14, v14, v19
	;; [unrolled: 1-line block ×4, first 2 shown]
	s_barrier
	s_cbranch_vccnz .LBB1586_2
; %bb.3:
	v_cmp_le_i32_e32 vcc, v4, v2
	s_and_saveexec_b64 s[0:1], vcc
	s_cbranch_execz .LBB1586_5
.LBB1586_4:
	v_mul_lo_u32 v6, s11, v4
	v_mul_lo_u32 v5, s10, v5
	v_mad_u64_u32 v[0:1], s[0:1], s10, v4, 0
	s_waitcnt lgkmcnt(0)
	v_mov_b32_e32 v4, s9
	v_add3_u32 v1, v1, v5, v6
	v_lshlrev_b64 v[0:1], 3, v[0:1]
	v_add_co_u32_e32 v5, vcc, s8, v0
	v_addc_co_u32_e32 v4, vcc, v4, v1, vcc
	v_lshlrev_b64 v[0:1], 3, v[2:3]
	v_add_co_u32_e32 v0, vcc, v5, v0
	v_addc_co_u32_e32 v1, vcc, v4, v1, vcc
	flat_load_dwordx2 v[2:3], v[0:1]
	v_mul_f32_e32 v4, s15, v14
	v_mul_f32_e32 v5, s14, v14
	v_fma_f32 v4, v15, s14, -v4
	v_fmac_f32_e32 v5, s15, v15
	s_waitcnt vmcnt(0) lgkmcnt(0)
	v_mul_f32_e32 v6, s21, v3
	v_mul_f32_e32 v3, s20, v3
	v_fma_f32 v6, v2, s20, -v6
	v_fmac_f32_e32 v3, s21, v2
	v_add_f32_e32 v2, v4, v6
	v_add_f32_e32 v3, v5, v3
	flat_store_dwordx2 v[0:1], v[2:3]
.LBB1586_5:
	s_endpgm
.LBB1586_6:
	v_mov_b32_e32 v14, 0
	v_mov_b32_e32 v15, 0
	v_cmp_le_i32_e32 vcc, v4, v2
	s_and_saveexec_b64 s[0:1], vcc
	s_cbranch_execnz .LBB1586_4
	s_branch .LBB1586_5
	.section	.rodata,"a",@progbits
	.p2align	6, 0x0
	.amdhsa_kernel _ZL41rocblas_syrkx_herkx_small_restrict_kernelIl19rocblas_complex_numIfELi16ELb0ELb0ELc78ELc76EKPKS1_KPS1_EviT_T0_PT6_S7_lSA_S7_lS8_PT7_S7_li
		.amdhsa_group_segment_fixed_size 4096
		.amdhsa_private_segment_fixed_size 0
		.amdhsa_kernarg_size 108
		.amdhsa_user_sgpr_count 6
		.amdhsa_user_sgpr_private_segment_buffer 1
		.amdhsa_user_sgpr_dispatch_ptr 0
		.amdhsa_user_sgpr_queue_ptr 0
		.amdhsa_user_sgpr_kernarg_segment_ptr 1
		.amdhsa_user_sgpr_dispatch_id 0
		.amdhsa_user_sgpr_flat_scratch_init 0
		.amdhsa_user_sgpr_private_segment_size 0
		.amdhsa_uses_dynamic_stack 0
		.amdhsa_system_sgpr_private_segment_wavefront_offset 0
		.amdhsa_system_sgpr_workgroup_id_x 1
		.amdhsa_system_sgpr_workgroup_id_y 1
		.amdhsa_system_sgpr_workgroup_id_z 1
		.amdhsa_system_sgpr_workgroup_info 0
		.amdhsa_system_vgpr_workitem_id 1
		.amdhsa_next_free_vgpr 68
		.amdhsa_next_free_sgpr 26
		.amdhsa_reserve_vcc 1
		.amdhsa_reserve_flat_scratch 0
		.amdhsa_float_round_mode_32 0
		.amdhsa_float_round_mode_16_64 0
		.amdhsa_float_denorm_mode_32 3
		.amdhsa_float_denorm_mode_16_64 3
		.amdhsa_dx10_clamp 1
		.amdhsa_ieee_mode 1
		.amdhsa_fp16_overflow 0
		.amdhsa_exception_fp_ieee_invalid_op 0
		.amdhsa_exception_fp_denorm_src 0
		.amdhsa_exception_fp_ieee_div_zero 0
		.amdhsa_exception_fp_ieee_overflow 0
		.amdhsa_exception_fp_ieee_underflow 0
		.amdhsa_exception_fp_ieee_inexact 0
		.amdhsa_exception_int_div_zero 0
	.end_amdhsa_kernel
	.section	.text._ZL41rocblas_syrkx_herkx_small_restrict_kernelIl19rocblas_complex_numIfELi16ELb0ELb0ELc78ELc76EKPKS1_KPS1_EviT_T0_PT6_S7_lSA_S7_lS8_PT7_S7_li,"axG",@progbits,_ZL41rocblas_syrkx_herkx_small_restrict_kernelIl19rocblas_complex_numIfELi16ELb0ELb0ELc78ELc76EKPKS1_KPS1_EviT_T0_PT6_S7_lSA_S7_lS8_PT7_S7_li,comdat
.Lfunc_end1586:
	.size	_ZL41rocblas_syrkx_herkx_small_restrict_kernelIl19rocblas_complex_numIfELi16ELb0ELb0ELc78ELc76EKPKS1_KPS1_EviT_T0_PT6_S7_lSA_S7_lS8_PT7_S7_li, .Lfunc_end1586-_ZL41rocblas_syrkx_herkx_small_restrict_kernelIl19rocblas_complex_numIfELi16ELb0ELb0ELc78ELc76EKPKS1_KPS1_EviT_T0_PT6_S7_lSA_S7_lS8_PT7_S7_li
                                        ; -- End function
	.set _ZL41rocblas_syrkx_herkx_small_restrict_kernelIl19rocblas_complex_numIfELi16ELb0ELb0ELc78ELc76EKPKS1_KPS1_EviT_T0_PT6_S7_lSA_S7_lS8_PT7_S7_li.num_vgpr, 68
	.set _ZL41rocblas_syrkx_herkx_small_restrict_kernelIl19rocblas_complex_numIfELi16ELb0ELb0ELc78ELc76EKPKS1_KPS1_EviT_T0_PT6_S7_lSA_S7_lS8_PT7_S7_li.num_agpr, 0
	.set _ZL41rocblas_syrkx_herkx_small_restrict_kernelIl19rocblas_complex_numIfELi16ELb0ELb0ELc78ELc76EKPKS1_KPS1_EviT_T0_PT6_S7_lSA_S7_lS8_PT7_S7_li.numbered_sgpr, 26
	.set _ZL41rocblas_syrkx_herkx_small_restrict_kernelIl19rocblas_complex_numIfELi16ELb0ELb0ELc78ELc76EKPKS1_KPS1_EviT_T0_PT6_S7_lSA_S7_lS8_PT7_S7_li.num_named_barrier, 0
	.set _ZL41rocblas_syrkx_herkx_small_restrict_kernelIl19rocblas_complex_numIfELi16ELb0ELb0ELc78ELc76EKPKS1_KPS1_EviT_T0_PT6_S7_lSA_S7_lS8_PT7_S7_li.private_seg_size, 0
	.set _ZL41rocblas_syrkx_herkx_small_restrict_kernelIl19rocblas_complex_numIfELi16ELb0ELb0ELc78ELc76EKPKS1_KPS1_EviT_T0_PT6_S7_lSA_S7_lS8_PT7_S7_li.uses_vcc, 1
	.set _ZL41rocblas_syrkx_herkx_small_restrict_kernelIl19rocblas_complex_numIfELi16ELb0ELb0ELc78ELc76EKPKS1_KPS1_EviT_T0_PT6_S7_lSA_S7_lS8_PT7_S7_li.uses_flat_scratch, 0
	.set _ZL41rocblas_syrkx_herkx_small_restrict_kernelIl19rocblas_complex_numIfELi16ELb0ELb0ELc78ELc76EKPKS1_KPS1_EviT_T0_PT6_S7_lSA_S7_lS8_PT7_S7_li.has_dyn_sized_stack, 0
	.set _ZL41rocblas_syrkx_herkx_small_restrict_kernelIl19rocblas_complex_numIfELi16ELb0ELb0ELc78ELc76EKPKS1_KPS1_EviT_T0_PT6_S7_lSA_S7_lS8_PT7_S7_li.has_recursion, 0
	.set _ZL41rocblas_syrkx_herkx_small_restrict_kernelIl19rocblas_complex_numIfELi16ELb0ELb0ELc78ELc76EKPKS1_KPS1_EviT_T0_PT6_S7_lSA_S7_lS8_PT7_S7_li.has_indirect_call, 0
	.section	.AMDGPU.csdata,"",@progbits
; Kernel info:
; codeLenInByte = 1196
; TotalNumSgprs: 30
; NumVgprs: 68
; ScratchSize: 0
; MemoryBound: 0
; FloatMode: 240
; IeeeMode: 1
; LDSByteSize: 4096 bytes/workgroup (compile time only)
; SGPRBlocks: 3
; VGPRBlocks: 16
; NumSGPRsForWavesPerEU: 30
; NumVGPRsForWavesPerEU: 68
; Occupancy: 3
; WaveLimiterHint : 1
; COMPUTE_PGM_RSRC2:SCRATCH_EN: 0
; COMPUTE_PGM_RSRC2:USER_SGPR: 6
; COMPUTE_PGM_RSRC2:TRAP_HANDLER: 0
; COMPUTE_PGM_RSRC2:TGID_X_EN: 1
; COMPUTE_PGM_RSRC2:TGID_Y_EN: 1
; COMPUTE_PGM_RSRC2:TGID_Z_EN: 1
; COMPUTE_PGM_RSRC2:TIDIG_COMP_CNT: 1
	.section	.text._ZL41rocblas_syrkx_herkx_small_restrict_kernelIl19rocblas_complex_numIfELi16ELb0ELb0ELc84ELc85EKPKS1_KPS1_EviT_T0_PT6_S7_lSA_S7_lS8_PT7_S7_li,"axG",@progbits,_ZL41rocblas_syrkx_herkx_small_restrict_kernelIl19rocblas_complex_numIfELi16ELb0ELb0ELc84ELc85EKPKS1_KPS1_EviT_T0_PT6_S7_lSA_S7_lS8_PT7_S7_li,comdat
	.globl	_ZL41rocblas_syrkx_herkx_small_restrict_kernelIl19rocblas_complex_numIfELi16ELb0ELb0ELc84ELc85EKPKS1_KPS1_EviT_T0_PT6_S7_lSA_S7_lS8_PT7_S7_li ; -- Begin function _ZL41rocblas_syrkx_herkx_small_restrict_kernelIl19rocblas_complex_numIfELi16ELb0ELb0ELc84ELc85EKPKS1_KPS1_EviT_T0_PT6_S7_lSA_S7_lS8_PT7_S7_li
	.p2align	8
	.type	_ZL41rocblas_syrkx_herkx_small_restrict_kernelIl19rocblas_complex_numIfELi16ELb0ELb0ELc84ELc85EKPKS1_KPS1_EviT_T0_PT6_S7_lSA_S7_lS8_PT7_S7_li,@function
_ZL41rocblas_syrkx_herkx_small_restrict_kernelIl19rocblas_complex_numIfELi16ELb0ELb0ELc84ELc85EKPKS1_KPS1_EviT_T0_PT6_S7_lSA_S7_lS8_PT7_S7_li: ; @_ZL41rocblas_syrkx_herkx_small_restrict_kernelIl19rocblas_complex_numIfELi16ELb0ELb0ELc84ELc85EKPKS1_KPS1_EviT_T0_PT6_S7_lSA_S7_lS8_PT7_S7_li
; %bb.0:
	s_load_dwordx4 s[20:23], s[4:5], 0x48
	s_load_dwordx2 s[10:11], s[4:5], 0x58
	s_load_dwordx8 s[12:19], s[4:5], 0x8
	s_mov_b32 s9, 0
	s_lshl_b64 s[0:1], s[8:9], 3
	s_waitcnt lgkmcnt(0)
	s_add_u32 s2, s22, s0
	s_addc_u32 s3, s23, s1
	s_load_dwordx2 s[8:9], s[2:3], 0x0
	v_cmp_lt_i64_e64 s[2:3], s[12:13], 1
	v_lshl_add_u32 v2, s6, 4, v0
	v_lshl_add_u32 v8, s7, 4, v1
	s_and_b64 vcc, exec, s[2:3]
	v_ashrrev_i32_e32 v3, 31, v2
	v_ashrrev_i32_e32 v9, 31, v8
	s_cbranch_vccnz .LBB1587_6
; %bb.1:
	s_load_dwordx4 s[4:7], s[4:5], 0x30
	v_mad_u64_u32 v[4:5], s[2:3], s18, v2, 0
	v_mul_lo_u32 v6, s19, v2
	v_mul_lo_u32 v7, s18, v3
	s_waitcnt lgkmcnt(0)
	s_add_u32 s2, s4, s0
	s_addc_u32 s3, s5, s1
	s_add_u32 s0, s16, s0
	s_addc_u32 s1, s17, s1
	s_load_dwordx2 s[0:1], s[0:1], 0x0
	v_lshlrev_b32_e32 v11, 3, v1
	v_add3_u32 v5, v5, v7, v6
	v_lshlrev_b64 v[4:5], 3, v[4:5]
	s_load_dwordx2 s[2:3], s[2:3], 0x0
	s_waitcnt lgkmcnt(0)
	v_mov_b32_e32 v6, s1
	v_add_co_u32_e32 v7, vcc, s0, v11
	v_addc_co_u32_e32 v6, vcc, 0, v6, vcc
	v_add_co_u32_e32 v4, vcc, v7, v4
	v_addc_co_u32_e32 v5, vcc, v6, v5, vcc
	v_mul_lo_u32 v13, s7, v8
	v_mul_lo_u32 v14, s6, v9
	v_mad_u64_u32 v[6:7], s[0:1], s6, v8, 0
	v_lshlrev_b32_e32 v11, 3, v0
	v_mov_b32_e32 v0, s3
	v_add3_u32 v7, v7, v14, v13
	v_add_co_u32_e32 v13, vcc, s2, v11
	v_lshlrev_b32_e32 v15, 7, v1
	v_addc_co_u32_e32 v14, vcc, 0, v0, vcc
	v_lshlrev_b64 v[0:1], 3, v[6:7]
	v_mov_b32_e32 v6, s12
	v_add_co_u32_e32 v0, vcc, v13, v0
	v_addc_co_u32_e32 v1, vcc, v14, v1, vcc
	v_add_u32_e32 v14, 0x800, v15
	v_mov_b32_e32 v10, 0
	v_add_u32_e32 v12, v11, v15
	v_add_u32_e32 v15, v14, v11
	s_mov_b64 s[4:5], 0
	v_mov_b32_e32 v7, s13
	v_mov_b32_e32 v13, 0
.LBB1587_2:                             ; =>This Inner Loop Header: Depth=1
	flat_load_dwordx2 v[16:17], v[4:5]
	s_add_u32 s4, s4, 16
	s_addc_u32 s5, s5, 0
	v_cmp_lt_i64_e32 vcc, s[4:5], v[6:7]
	s_and_b64 s[0:1], exec, vcc
	s_waitcnt vmcnt(0) lgkmcnt(0)
	ds_write_b64 v12, v[16:17]
	flat_load_dwordx2 v[16:17], v[0:1]
	v_add_co_u32_e32 v0, vcc, 0x80, v0
	s_mov_b64 s[2:3], vcc
	v_add_co_u32_e32 v4, vcc, 0x80, v4
	v_addc_co_u32_e32 v5, vcc, 0, v5, vcc
	v_addc_co_u32_e64 v1, s[2:3], 0, v1, s[2:3]
	s_mov_b64 vcc, s[0:1]
	s_waitcnt vmcnt(0) lgkmcnt(0)
	ds_write_b64 v15, v[16:17]
	s_waitcnt lgkmcnt(0)
	s_barrier
	ds_read2_b64 v[16:19], v11 offset1:16
	ds_read_b128 v[20:23], v14
	ds_read_b128 v[24:27], v14 offset:16
	ds_read2_b64 v[28:31], v11 offset0:32 offset1:48
	ds_read2_b64 v[32:35], v11 offset0:64 offset1:80
	ds_read_b128 v[36:39], v14 offset:32
	ds_read_b128 v[40:43], v14 offset:48
	ds_read2_b64 v[44:47], v11 offset0:96 offset1:112
	ds_read2_b64 v[48:51], v11 offset0:128 offset1:144
	ds_read_b128 v[52:55], v14 offset:64
	ds_read_b128 v[56:59], v14 offset:80
	s_waitcnt lgkmcnt(9)
	v_mul_f32_e32 v60, v21, v17
	v_mul_f32_e32 v61, v20, v17
	;; [unrolled: 1-line block ×4, first 2 shown]
	v_fma_f32 v60, v20, v16, -v60
	v_fmac_f32_e32 v61, v21, v16
	v_fma_f32 v63, v22, v18, -v17
	v_fmac_f32_e32 v62, v23, v18
	s_waitcnt lgkmcnt(7)
	v_mul_f32_e32 v20, v25, v29
	v_mul_f32_e32 v64, v24, v29
	v_add_f32_e32 v13, v13, v60
	v_add_f32_e32 v10, v10, v61
	v_mul_f32_e32 v21, v27, v31
	v_mul_f32_e32 v65, v26, v31
	v_fma_f32 v66, v24, v28, -v20
	v_fmac_f32_e32 v64, v25, v28
	v_add_f32_e32 v13, v13, v63
	v_add_f32_e32 v10, v10, v62
	v_fma_f32 v67, v26, v30, -v21
	v_fmac_f32_e32 v65, v27, v30
	s_waitcnt lgkmcnt(5)
	v_mul_f32_e32 v24, v37, v33
	v_mul_f32_e32 v68, v36, v33
	v_add_f32_e32 v13, v13, v66
	v_add_f32_e32 v10, v10, v64
	ds_read2_b64 v[16:19], v11 offset0:160 offset1:176
	v_mul_f32_e32 v25, v39, v35
	v_mul_f32_e32 v69, v38, v35
	v_fma_f32 v36, v36, v32, -v24
	v_fmac_f32_e32 v68, v37, v32
	v_add_f32_e32 v13, v13, v67
	v_add_f32_e32 v10, v10, v65
	v_fma_f32 v37, v38, v34, -v25
	v_fmac_f32_e32 v69, v39, v34
	s_waitcnt lgkmcnt(4)
	v_mul_f32_e32 v28, v41, v45
	v_mul_f32_e32 v38, v40, v45
	v_add_f32_e32 v13, v13, v36
	v_add_f32_e32 v10, v10, v68
	ds_read2_b64 v[20:23], v11 offset0:192 offset1:208
	ds_read_b128 v[24:27], v14 offset:96
	v_mul_f32_e32 v29, v43, v47
	v_mul_f32_e32 v39, v42, v47
	v_fma_f32 v40, v40, v44, -v28
	v_fmac_f32_e32 v38, v41, v44
	v_add_f32_e32 v13, v13, v37
	v_add_f32_e32 v10, v10, v69
	v_fma_f32 v41, v42, v46, -v29
	v_fmac_f32_e32 v39, v43, v46
	s_waitcnt lgkmcnt(4)
	v_mul_f32_e32 v32, v53, v49
	v_mul_f32_e32 v42, v52, v49
	;; [unrolled: 1-line block ×3, first 2 shown]
	v_add_f32_e32 v13, v13, v40
	v_add_f32_e32 v10, v10, v38
	ds_read_b128 v[28:31], v14 offset:112
	v_mul_f32_e32 v43, v54, v51
	v_fma_f32 v44, v52, v48, -v32
	v_fmac_f32_e32 v42, v53, v48
	v_fma_f32 v45, v54, v50, -v33
	ds_read2_b64 v[32:35], v11 offset0:224 offset1:240
	v_add_f32_e32 v13, v13, v41
	v_add_f32_e32 v10, v10, v39
	v_fmac_f32_e32 v43, v55, v50
	s_waitcnt lgkmcnt(4)
	v_mul_f32_e32 v46, v57, v17
	v_mul_f32_e32 v17, v56, v17
	v_add_f32_e32 v13, v13, v44
	v_add_f32_e32 v10, v10, v42
	v_mul_f32_e32 v47, v59, v19
	v_mul_f32_e32 v19, v58, v19
	v_fma_f32 v46, v56, v16, -v46
	v_fmac_f32_e32 v17, v57, v16
	v_add_f32_e32 v13, v13, v45
	v_add_f32_e32 v10, v10, v43
	v_fma_f32 v16, v58, v18, -v47
	v_fmac_f32_e32 v19, v59, v18
	s_waitcnt lgkmcnt(2)
	v_mul_f32_e32 v18, v25, v21
	v_mul_f32_e32 v21, v24, v21
	v_add_f32_e32 v13, v13, v46
	v_add_f32_e32 v10, v10, v17
	v_mul_f32_e32 v47, v27, v23
	v_mul_f32_e32 v23, v26, v23
	v_fma_f32 v18, v24, v20, -v18
	v_fmac_f32_e32 v21, v25, v20
	v_add_f32_e32 v13, v13, v16
	v_add_f32_e32 v10, v10, v19
	s_waitcnt lgkmcnt(0)
	v_mul_f32_e32 v48, v29, v33
	v_mul_f32_e32 v33, v28, v33
	v_fma_f32 v20, v26, v22, -v47
	v_fmac_f32_e32 v23, v27, v22
	v_add_f32_e32 v13, v13, v18
	v_add_f32_e32 v10, v10, v21
	v_mul_f32_e32 v49, v31, v35
	v_mul_f32_e32 v35, v30, v35
	v_fma_f32 v22, v28, v32, -v48
	v_fmac_f32_e32 v33, v29, v32
	v_add_f32_e32 v13, v13, v20
	v_add_f32_e32 v10, v10, v23
	v_fma_f32 v24, v30, v34, -v49
	v_fmac_f32_e32 v35, v31, v34
	v_add_f32_e32 v13, v13, v22
	v_add_f32_e32 v10, v10, v33
	;; [unrolled: 1-line block ×4, first 2 shown]
	s_barrier
	s_cbranch_vccnz .LBB1587_2
; %bb.3:
	v_cmp_le_i32_e32 vcc, v2, v8
	s_and_saveexec_b64 s[0:1], vcc
	s_cbranch_execz .LBB1587_5
.LBB1587_4:
	v_mul_lo_u32 v4, s11, v8
	v_mul_lo_u32 v5, s10, v9
	v_mad_u64_u32 v[0:1], s[0:1], s10, v8, 0
	v_add3_u32 v1, v1, v5, v4
	v_lshlrev_b64 v[0:1], 3, v[0:1]
	s_waitcnt lgkmcnt(0)
	v_mov_b32_e32 v4, s9
	v_add_co_u32_e32 v5, vcc, s8, v0
	v_addc_co_u32_e32 v4, vcc, v4, v1, vcc
	v_lshlrev_b64 v[0:1], 3, v[2:3]
	v_add_co_u32_e32 v0, vcc, v5, v0
	v_addc_co_u32_e32 v1, vcc, v4, v1, vcc
	flat_load_dwordx2 v[2:3], v[0:1]
	v_mul_f32_e32 v4, s15, v10
	v_mul_f32_e32 v5, s14, v10
	v_fma_f32 v4, v13, s14, -v4
	v_fmac_f32_e32 v5, s15, v13
	s_waitcnt vmcnt(0) lgkmcnt(0)
	v_mul_f32_e32 v6, s21, v3
	v_mul_f32_e32 v3, s20, v3
	v_fma_f32 v6, v2, s20, -v6
	v_fmac_f32_e32 v3, s21, v2
	v_add_f32_e32 v2, v4, v6
	v_add_f32_e32 v3, v5, v3
	flat_store_dwordx2 v[0:1], v[2:3]
.LBB1587_5:
	s_endpgm
.LBB1587_6:
	v_mov_b32_e32 v10, 0
	v_mov_b32_e32 v13, 0
	v_cmp_le_i32_e32 vcc, v2, v8
	s_and_saveexec_b64 s[0:1], vcc
	s_cbranch_execnz .LBB1587_4
	s_branch .LBB1587_5
	.section	.rodata,"a",@progbits
	.p2align	6, 0x0
	.amdhsa_kernel _ZL41rocblas_syrkx_herkx_small_restrict_kernelIl19rocblas_complex_numIfELi16ELb0ELb0ELc84ELc85EKPKS1_KPS1_EviT_T0_PT6_S7_lSA_S7_lS8_PT7_S7_li
		.amdhsa_group_segment_fixed_size 4096
		.amdhsa_private_segment_fixed_size 0
		.amdhsa_kernarg_size 108
		.amdhsa_user_sgpr_count 6
		.amdhsa_user_sgpr_private_segment_buffer 1
		.amdhsa_user_sgpr_dispatch_ptr 0
		.amdhsa_user_sgpr_queue_ptr 0
		.amdhsa_user_sgpr_kernarg_segment_ptr 1
		.amdhsa_user_sgpr_dispatch_id 0
		.amdhsa_user_sgpr_flat_scratch_init 0
		.amdhsa_user_sgpr_private_segment_size 0
		.amdhsa_uses_dynamic_stack 0
		.amdhsa_system_sgpr_private_segment_wavefront_offset 0
		.amdhsa_system_sgpr_workgroup_id_x 1
		.amdhsa_system_sgpr_workgroup_id_y 1
		.amdhsa_system_sgpr_workgroup_id_z 1
		.amdhsa_system_sgpr_workgroup_info 0
		.amdhsa_system_vgpr_workitem_id 1
		.amdhsa_next_free_vgpr 70
		.amdhsa_next_free_sgpr 24
		.amdhsa_reserve_vcc 1
		.amdhsa_reserve_flat_scratch 0
		.amdhsa_float_round_mode_32 0
		.amdhsa_float_round_mode_16_64 0
		.amdhsa_float_denorm_mode_32 3
		.amdhsa_float_denorm_mode_16_64 3
		.amdhsa_dx10_clamp 1
		.amdhsa_ieee_mode 1
		.amdhsa_fp16_overflow 0
		.amdhsa_exception_fp_ieee_invalid_op 0
		.amdhsa_exception_fp_denorm_src 0
		.amdhsa_exception_fp_ieee_div_zero 0
		.amdhsa_exception_fp_ieee_overflow 0
		.amdhsa_exception_fp_ieee_underflow 0
		.amdhsa_exception_fp_ieee_inexact 0
		.amdhsa_exception_int_div_zero 0
	.end_amdhsa_kernel
	.section	.text._ZL41rocblas_syrkx_herkx_small_restrict_kernelIl19rocblas_complex_numIfELi16ELb0ELb0ELc84ELc85EKPKS1_KPS1_EviT_T0_PT6_S7_lSA_S7_lS8_PT7_S7_li,"axG",@progbits,_ZL41rocblas_syrkx_herkx_small_restrict_kernelIl19rocblas_complex_numIfELi16ELb0ELb0ELc84ELc85EKPKS1_KPS1_EviT_T0_PT6_S7_lSA_S7_lS8_PT7_S7_li,comdat
.Lfunc_end1587:
	.size	_ZL41rocblas_syrkx_herkx_small_restrict_kernelIl19rocblas_complex_numIfELi16ELb0ELb0ELc84ELc85EKPKS1_KPS1_EviT_T0_PT6_S7_lSA_S7_lS8_PT7_S7_li, .Lfunc_end1587-_ZL41rocblas_syrkx_herkx_small_restrict_kernelIl19rocblas_complex_numIfELi16ELb0ELb0ELc84ELc85EKPKS1_KPS1_EviT_T0_PT6_S7_lSA_S7_lS8_PT7_S7_li
                                        ; -- End function
	.set _ZL41rocblas_syrkx_herkx_small_restrict_kernelIl19rocblas_complex_numIfELi16ELb0ELb0ELc84ELc85EKPKS1_KPS1_EviT_T0_PT6_S7_lSA_S7_lS8_PT7_S7_li.num_vgpr, 70
	.set _ZL41rocblas_syrkx_herkx_small_restrict_kernelIl19rocblas_complex_numIfELi16ELb0ELb0ELc84ELc85EKPKS1_KPS1_EviT_T0_PT6_S7_lSA_S7_lS8_PT7_S7_li.num_agpr, 0
	.set _ZL41rocblas_syrkx_herkx_small_restrict_kernelIl19rocblas_complex_numIfELi16ELb0ELb0ELc84ELc85EKPKS1_KPS1_EviT_T0_PT6_S7_lSA_S7_lS8_PT7_S7_li.numbered_sgpr, 24
	.set _ZL41rocblas_syrkx_herkx_small_restrict_kernelIl19rocblas_complex_numIfELi16ELb0ELb0ELc84ELc85EKPKS1_KPS1_EviT_T0_PT6_S7_lSA_S7_lS8_PT7_S7_li.num_named_barrier, 0
	.set _ZL41rocblas_syrkx_herkx_small_restrict_kernelIl19rocblas_complex_numIfELi16ELb0ELb0ELc84ELc85EKPKS1_KPS1_EviT_T0_PT6_S7_lSA_S7_lS8_PT7_S7_li.private_seg_size, 0
	.set _ZL41rocblas_syrkx_herkx_small_restrict_kernelIl19rocblas_complex_numIfELi16ELb0ELb0ELc84ELc85EKPKS1_KPS1_EviT_T0_PT6_S7_lSA_S7_lS8_PT7_S7_li.uses_vcc, 1
	.set _ZL41rocblas_syrkx_herkx_small_restrict_kernelIl19rocblas_complex_numIfELi16ELb0ELb0ELc84ELc85EKPKS1_KPS1_EviT_T0_PT6_S7_lSA_S7_lS8_PT7_S7_li.uses_flat_scratch, 0
	.set _ZL41rocblas_syrkx_herkx_small_restrict_kernelIl19rocblas_complex_numIfELi16ELb0ELb0ELc84ELc85EKPKS1_KPS1_EviT_T0_PT6_S7_lSA_S7_lS8_PT7_S7_li.has_dyn_sized_stack, 0
	.set _ZL41rocblas_syrkx_herkx_small_restrict_kernelIl19rocblas_complex_numIfELi16ELb0ELb0ELc84ELc85EKPKS1_KPS1_EviT_T0_PT6_S7_lSA_S7_lS8_PT7_S7_li.has_recursion, 0
	.set _ZL41rocblas_syrkx_herkx_small_restrict_kernelIl19rocblas_complex_numIfELi16ELb0ELb0ELc84ELc85EKPKS1_KPS1_EviT_T0_PT6_S7_lSA_S7_lS8_PT7_S7_li.has_indirect_call, 0
	.section	.AMDGPU.csdata,"",@progbits
; Kernel info:
; codeLenInByte = 1204
; TotalNumSgprs: 28
; NumVgprs: 70
; ScratchSize: 0
; MemoryBound: 0
; FloatMode: 240
; IeeeMode: 1
; LDSByteSize: 4096 bytes/workgroup (compile time only)
; SGPRBlocks: 3
; VGPRBlocks: 17
; NumSGPRsForWavesPerEU: 28
; NumVGPRsForWavesPerEU: 70
; Occupancy: 3
; WaveLimiterHint : 1
; COMPUTE_PGM_RSRC2:SCRATCH_EN: 0
; COMPUTE_PGM_RSRC2:USER_SGPR: 6
; COMPUTE_PGM_RSRC2:TRAP_HANDLER: 0
; COMPUTE_PGM_RSRC2:TGID_X_EN: 1
; COMPUTE_PGM_RSRC2:TGID_Y_EN: 1
; COMPUTE_PGM_RSRC2:TGID_Z_EN: 1
; COMPUTE_PGM_RSRC2:TIDIG_COMP_CNT: 1
	.section	.text._ZL41rocblas_syrkx_herkx_small_restrict_kernelIl19rocblas_complex_numIfELi16ELb0ELb0ELc67ELc85EKPKS1_KPS1_EviT_T0_PT6_S7_lSA_S7_lS8_PT7_S7_li,"axG",@progbits,_ZL41rocblas_syrkx_herkx_small_restrict_kernelIl19rocblas_complex_numIfELi16ELb0ELb0ELc67ELc85EKPKS1_KPS1_EviT_T0_PT6_S7_lSA_S7_lS8_PT7_S7_li,comdat
	.globl	_ZL41rocblas_syrkx_herkx_small_restrict_kernelIl19rocblas_complex_numIfELi16ELb0ELb0ELc67ELc85EKPKS1_KPS1_EviT_T0_PT6_S7_lSA_S7_lS8_PT7_S7_li ; -- Begin function _ZL41rocblas_syrkx_herkx_small_restrict_kernelIl19rocblas_complex_numIfELi16ELb0ELb0ELc67ELc85EKPKS1_KPS1_EviT_T0_PT6_S7_lSA_S7_lS8_PT7_S7_li
	.p2align	8
	.type	_ZL41rocblas_syrkx_herkx_small_restrict_kernelIl19rocblas_complex_numIfELi16ELb0ELb0ELc67ELc85EKPKS1_KPS1_EviT_T0_PT6_S7_lSA_S7_lS8_PT7_S7_li,@function
_ZL41rocblas_syrkx_herkx_small_restrict_kernelIl19rocblas_complex_numIfELi16ELb0ELb0ELc67ELc85EKPKS1_KPS1_EviT_T0_PT6_S7_lSA_S7_lS8_PT7_S7_li: ; @_ZL41rocblas_syrkx_herkx_small_restrict_kernelIl19rocblas_complex_numIfELi16ELb0ELb0ELc67ELc85EKPKS1_KPS1_EviT_T0_PT6_S7_lSA_S7_lS8_PT7_S7_li
; %bb.0:
	s_load_dwordx4 s[20:23], s[4:5], 0x48
	s_load_dwordx2 s[10:11], s[4:5], 0x58
	s_load_dwordx8 s[12:19], s[4:5], 0x8
	s_mov_b32 s9, 0
	s_lshl_b64 s[0:1], s[8:9], 3
	s_waitcnt lgkmcnt(0)
	s_add_u32 s2, s22, s0
	s_addc_u32 s3, s23, s1
	s_load_dwordx2 s[8:9], s[2:3], 0x0
	v_cmp_lt_i64_e64 s[2:3], s[12:13], 1
	v_lshl_add_u32 v2, s6, 4, v0
	v_lshl_add_u32 v8, s7, 4, v1
	s_and_b64 vcc, exec, s[2:3]
	v_ashrrev_i32_e32 v3, 31, v2
	v_ashrrev_i32_e32 v9, 31, v8
	s_cbranch_vccnz .LBB1588_6
; %bb.1:
	s_load_dwordx4 s[4:7], s[4:5], 0x30
	v_mad_u64_u32 v[4:5], s[2:3], s18, v2, 0
	v_mul_lo_u32 v6, s19, v2
	v_mul_lo_u32 v7, s18, v3
	s_waitcnt lgkmcnt(0)
	s_add_u32 s2, s4, s0
	s_addc_u32 s3, s5, s1
	s_add_u32 s0, s16, s0
	s_addc_u32 s1, s17, s1
	s_load_dwordx2 s[0:1], s[0:1], 0x0
	v_lshlrev_b32_e32 v11, 3, v1
	v_add3_u32 v5, v5, v7, v6
	v_lshlrev_b64 v[4:5], 3, v[4:5]
	s_load_dwordx2 s[2:3], s[2:3], 0x0
	s_waitcnt lgkmcnt(0)
	v_mov_b32_e32 v6, s1
	v_add_co_u32_e32 v7, vcc, s0, v11
	v_addc_co_u32_e32 v6, vcc, 0, v6, vcc
	v_add_co_u32_e32 v4, vcc, v7, v4
	v_addc_co_u32_e32 v5, vcc, v6, v5, vcc
	v_mul_lo_u32 v13, s7, v8
	v_mul_lo_u32 v14, s6, v9
	v_mad_u64_u32 v[6:7], s[0:1], s6, v8, 0
	v_lshlrev_b32_e32 v11, 3, v0
	v_mov_b32_e32 v0, s3
	v_add3_u32 v7, v7, v14, v13
	v_add_co_u32_e32 v13, vcc, s2, v11
	v_lshlrev_b32_e32 v15, 7, v1
	v_addc_co_u32_e32 v14, vcc, 0, v0, vcc
	v_lshlrev_b64 v[0:1], 3, v[6:7]
	v_mov_b32_e32 v6, s12
	v_add_co_u32_e32 v0, vcc, v13, v0
	v_addc_co_u32_e32 v1, vcc, v14, v1, vcc
	v_add_u32_e32 v14, 0x800, v15
	v_mov_b32_e32 v10, 0
	v_add_u32_e32 v12, v11, v15
	v_add_u32_e32 v15, v14, v11
	s_mov_b64 s[4:5], 0
	v_mov_b32_e32 v7, s13
	v_mov_b32_e32 v13, 0
.LBB1588_2:                             ; =>This Inner Loop Header: Depth=1
	flat_load_dwordx2 v[16:17], v[4:5]
	s_add_u32 s4, s4, 16
	s_addc_u32 s5, s5, 0
	v_cmp_lt_i64_e32 vcc, s[4:5], v[6:7]
	s_and_b64 s[0:1], exec, vcc
	s_waitcnt vmcnt(0) lgkmcnt(0)
	ds_write_b64 v12, v[16:17]
	flat_load_dwordx2 v[16:17], v[0:1]
	v_add_co_u32_e32 v0, vcc, 0x80, v0
	s_mov_b64 s[2:3], vcc
	v_add_co_u32_e32 v4, vcc, 0x80, v4
	v_addc_co_u32_e32 v5, vcc, 0, v5, vcc
	v_addc_co_u32_e64 v1, s[2:3], 0, v1, s[2:3]
	s_mov_b64 vcc, s[0:1]
	s_waitcnt vmcnt(0) lgkmcnt(0)
	ds_write_b64 v15, v[16:17]
	s_waitcnt lgkmcnt(0)
	s_barrier
	ds_read2_b64 v[16:19], v11 offset1:16
	ds_read_b128 v[20:23], v14
	ds_read_b128 v[24:27], v14 offset:16
	ds_read2_b64 v[28:31], v11 offset0:32 offset1:48
	ds_read2_b64 v[32:35], v11 offset0:64 offset1:80
	ds_read_b128 v[36:39], v14 offset:32
	ds_read_b128 v[40:43], v14 offset:48
	ds_read2_b64 v[44:47], v11 offset0:96 offset1:112
	ds_read2_b64 v[48:51], v11 offset0:128 offset1:144
	ds_read_b128 v[52:55], v14 offset:64
	ds_read_b128 v[56:59], v14 offset:80
	s_waitcnt lgkmcnt(9)
	v_mul_f32_e32 v60, v21, v17
	v_mul_f32_e32 v61, v20, v17
	;; [unrolled: 1-line block ×4, first 2 shown]
	v_fma_f32 v60, v20, v16, -v60
	v_fmac_f32_e32 v61, v21, v16
	v_fma_f32 v63, v22, v18, -v17
	v_fmac_f32_e32 v62, v23, v18
	s_waitcnt lgkmcnt(7)
	v_mul_f32_e32 v20, v25, v29
	v_mul_f32_e32 v64, v24, v29
	v_add_f32_e32 v13, v13, v60
	v_add_f32_e32 v10, v10, v61
	v_mul_f32_e32 v21, v27, v31
	v_mul_f32_e32 v65, v26, v31
	v_fma_f32 v66, v24, v28, -v20
	v_fmac_f32_e32 v64, v25, v28
	v_add_f32_e32 v13, v13, v63
	v_add_f32_e32 v10, v10, v62
	v_fma_f32 v67, v26, v30, -v21
	v_fmac_f32_e32 v65, v27, v30
	s_waitcnt lgkmcnt(5)
	v_mul_f32_e32 v24, v37, v33
	v_mul_f32_e32 v68, v36, v33
	v_add_f32_e32 v13, v13, v66
	v_add_f32_e32 v10, v10, v64
	ds_read2_b64 v[16:19], v11 offset0:160 offset1:176
	v_mul_f32_e32 v25, v39, v35
	v_mul_f32_e32 v69, v38, v35
	v_fma_f32 v36, v36, v32, -v24
	v_fmac_f32_e32 v68, v37, v32
	v_add_f32_e32 v13, v13, v67
	v_add_f32_e32 v10, v10, v65
	v_fma_f32 v37, v38, v34, -v25
	v_fmac_f32_e32 v69, v39, v34
	s_waitcnt lgkmcnt(4)
	v_mul_f32_e32 v28, v41, v45
	v_mul_f32_e32 v38, v40, v45
	v_add_f32_e32 v13, v13, v36
	v_add_f32_e32 v10, v10, v68
	ds_read2_b64 v[20:23], v11 offset0:192 offset1:208
	ds_read_b128 v[24:27], v14 offset:96
	v_mul_f32_e32 v29, v43, v47
	v_mul_f32_e32 v39, v42, v47
	v_fma_f32 v40, v40, v44, -v28
	v_fmac_f32_e32 v38, v41, v44
	v_add_f32_e32 v13, v13, v37
	v_add_f32_e32 v10, v10, v69
	v_fma_f32 v41, v42, v46, -v29
	v_fmac_f32_e32 v39, v43, v46
	s_waitcnt lgkmcnt(4)
	v_mul_f32_e32 v32, v53, v49
	v_mul_f32_e32 v42, v52, v49
	;; [unrolled: 1-line block ×3, first 2 shown]
	v_add_f32_e32 v13, v13, v40
	v_add_f32_e32 v10, v10, v38
	ds_read_b128 v[28:31], v14 offset:112
	v_mul_f32_e32 v43, v54, v51
	v_fma_f32 v44, v52, v48, -v32
	v_fmac_f32_e32 v42, v53, v48
	v_fma_f32 v45, v54, v50, -v33
	ds_read2_b64 v[32:35], v11 offset0:224 offset1:240
	v_add_f32_e32 v13, v13, v41
	v_add_f32_e32 v10, v10, v39
	v_fmac_f32_e32 v43, v55, v50
	s_waitcnt lgkmcnt(4)
	v_mul_f32_e32 v46, v57, v17
	v_mul_f32_e32 v17, v56, v17
	v_add_f32_e32 v13, v13, v44
	v_add_f32_e32 v10, v10, v42
	v_mul_f32_e32 v47, v59, v19
	v_mul_f32_e32 v19, v58, v19
	v_fma_f32 v46, v56, v16, -v46
	v_fmac_f32_e32 v17, v57, v16
	v_add_f32_e32 v13, v13, v45
	v_add_f32_e32 v10, v10, v43
	v_fma_f32 v16, v58, v18, -v47
	v_fmac_f32_e32 v19, v59, v18
	s_waitcnt lgkmcnt(2)
	v_mul_f32_e32 v18, v25, v21
	v_mul_f32_e32 v21, v24, v21
	v_add_f32_e32 v13, v13, v46
	v_add_f32_e32 v10, v10, v17
	v_mul_f32_e32 v47, v27, v23
	v_mul_f32_e32 v23, v26, v23
	v_fma_f32 v18, v24, v20, -v18
	v_fmac_f32_e32 v21, v25, v20
	v_add_f32_e32 v13, v13, v16
	v_add_f32_e32 v10, v10, v19
	s_waitcnt lgkmcnt(0)
	v_mul_f32_e32 v48, v29, v33
	v_mul_f32_e32 v33, v28, v33
	v_fma_f32 v20, v26, v22, -v47
	v_fmac_f32_e32 v23, v27, v22
	v_add_f32_e32 v13, v13, v18
	v_add_f32_e32 v10, v10, v21
	v_mul_f32_e32 v49, v31, v35
	v_mul_f32_e32 v35, v30, v35
	v_fma_f32 v22, v28, v32, -v48
	v_fmac_f32_e32 v33, v29, v32
	v_add_f32_e32 v13, v13, v20
	v_add_f32_e32 v10, v10, v23
	v_fma_f32 v24, v30, v34, -v49
	v_fmac_f32_e32 v35, v31, v34
	v_add_f32_e32 v13, v13, v22
	v_add_f32_e32 v10, v10, v33
	;; [unrolled: 1-line block ×4, first 2 shown]
	s_barrier
	s_cbranch_vccnz .LBB1588_2
; %bb.3:
	v_cmp_le_i32_e32 vcc, v2, v8
	s_and_saveexec_b64 s[0:1], vcc
	s_cbranch_execz .LBB1588_5
.LBB1588_4:
	v_mul_lo_u32 v4, s11, v8
	v_mul_lo_u32 v5, s10, v9
	v_mad_u64_u32 v[0:1], s[0:1], s10, v8, 0
	v_add3_u32 v1, v1, v5, v4
	v_lshlrev_b64 v[0:1], 3, v[0:1]
	s_waitcnt lgkmcnt(0)
	v_mov_b32_e32 v4, s9
	v_add_co_u32_e32 v5, vcc, s8, v0
	v_addc_co_u32_e32 v4, vcc, v4, v1, vcc
	v_lshlrev_b64 v[0:1], 3, v[2:3]
	v_add_co_u32_e32 v0, vcc, v5, v0
	v_addc_co_u32_e32 v1, vcc, v4, v1, vcc
	flat_load_dwordx2 v[2:3], v[0:1]
	v_mul_f32_e32 v4, s15, v10
	v_mul_f32_e32 v5, s14, v10
	v_fma_f32 v4, v13, s14, -v4
	v_fmac_f32_e32 v5, s15, v13
	s_waitcnt vmcnt(0) lgkmcnt(0)
	v_mul_f32_e32 v6, s21, v3
	v_mul_f32_e32 v3, s20, v3
	v_fma_f32 v6, v2, s20, -v6
	v_fmac_f32_e32 v3, s21, v2
	v_add_f32_e32 v2, v4, v6
	v_add_f32_e32 v3, v5, v3
	flat_store_dwordx2 v[0:1], v[2:3]
.LBB1588_5:
	s_endpgm
.LBB1588_6:
	v_mov_b32_e32 v10, 0
	v_mov_b32_e32 v13, 0
	v_cmp_le_i32_e32 vcc, v2, v8
	s_and_saveexec_b64 s[0:1], vcc
	s_cbranch_execnz .LBB1588_4
	s_branch .LBB1588_5
	.section	.rodata,"a",@progbits
	.p2align	6, 0x0
	.amdhsa_kernel _ZL41rocblas_syrkx_herkx_small_restrict_kernelIl19rocblas_complex_numIfELi16ELb0ELb0ELc67ELc85EKPKS1_KPS1_EviT_T0_PT6_S7_lSA_S7_lS8_PT7_S7_li
		.amdhsa_group_segment_fixed_size 4096
		.amdhsa_private_segment_fixed_size 0
		.amdhsa_kernarg_size 108
		.amdhsa_user_sgpr_count 6
		.amdhsa_user_sgpr_private_segment_buffer 1
		.amdhsa_user_sgpr_dispatch_ptr 0
		.amdhsa_user_sgpr_queue_ptr 0
		.amdhsa_user_sgpr_kernarg_segment_ptr 1
		.amdhsa_user_sgpr_dispatch_id 0
		.amdhsa_user_sgpr_flat_scratch_init 0
		.amdhsa_user_sgpr_private_segment_size 0
		.amdhsa_uses_dynamic_stack 0
		.amdhsa_system_sgpr_private_segment_wavefront_offset 0
		.amdhsa_system_sgpr_workgroup_id_x 1
		.amdhsa_system_sgpr_workgroup_id_y 1
		.amdhsa_system_sgpr_workgroup_id_z 1
		.amdhsa_system_sgpr_workgroup_info 0
		.amdhsa_system_vgpr_workitem_id 1
		.amdhsa_next_free_vgpr 70
		.amdhsa_next_free_sgpr 24
		.amdhsa_reserve_vcc 1
		.amdhsa_reserve_flat_scratch 0
		.amdhsa_float_round_mode_32 0
		.amdhsa_float_round_mode_16_64 0
		.amdhsa_float_denorm_mode_32 3
		.amdhsa_float_denorm_mode_16_64 3
		.amdhsa_dx10_clamp 1
		.amdhsa_ieee_mode 1
		.amdhsa_fp16_overflow 0
		.amdhsa_exception_fp_ieee_invalid_op 0
		.amdhsa_exception_fp_denorm_src 0
		.amdhsa_exception_fp_ieee_div_zero 0
		.amdhsa_exception_fp_ieee_overflow 0
		.amdhsa_exception_fp_ieee_underflow 0
		.amdhsa_exception_fp_ieee_inexact 0
		.amdhsa_exception_int_div_zero 0
	.end_amdhsa_kernel
	.section	.text._ZL41rocblas_syrkx_herkx_small_restrict_kernelIl19rocblas_complex_numIfELi16ELb0ELb0ELc67ELc85EKPKS1_KPS1_EviT_T0_PT6_S7_lSA_S7_lS8_PT7_S7_li,"axG",@progbits,_ZL41rocblas_syrkx_herkx_small_restrict_kernelIl19rocblas_complex_numIfELi16ELb0ELb0ELc67ELc85EKPKS1_KPS1_EviT_T0_PT6_S7_lSA_S7_lS8_PT7_S7_li,comdat
.Lfunc_end1588:
	.size	_ZL41rocblas_syrkx_herkx_small_restrict_kernelIl19rocblas_complex_numIfELi16ELb0ELb0ELc67ELc85EKPKS1_KPS1_EviT_T0_PT6_S7_lSA_S7_lS8_PT7_S7_li, .Lfunc_end1588-_ZL41rocblas_syrkx_herkx_small_restrict_kernelIl19rocblas_complex_numIfELi16ELb0ELb0ELc67ELc85EKPKS1_KPS1_EviT_T0_PT6_S7_lSA_S7_lS8_PT7_S7_li
                                        ; -- End function
	.set _ZL41rocblas_syrkx_herkx_small_restrict_kernelIl19rocblas_complex_numIfELi16ELb0ELb0ELc67ELc85EKPKS1_KPS1_EviT_T0_PT6_S7_lSA_S7_lS8_PT7_S7_li.num_vgpr, 70
	.set _ZL41rocblas_syrkx_herkx_small_restrict_kernelIl19rocblas_complex_numIfELi16ELb0ELb0ELc67ELc85EKPKS1_KPS1_EviT_T0_PT6_S7_lSA_S7_lS8_PT7_S7_li.num_agpr, 0
	.set _ZL41rocblas_syrkx_herkx_small_restrict_kernelIl19rocblas_complex_numIfELi16ELb0ELb0ELc67ELc85EKPKS1_KPS1_EviT_T0_PT6_S7_lSA_S7_lS8_PT7_S7_li.numbered_sgpr, 24
	.set _ZL41rocblas_syrkx_herkx_small_restrict_kernelIl19rocblas_complex_numIfELi16ELb0ELb0ELc67ELc85EKPKS1_KPS1_EviT_T0_PT6_S7_lSA_S7_lS8_PT7_S7_li.num_named_barrier, 0
	.set _ZL41rocblas_syrkx_herkx_small_restrict_kernelIl19rocblas_complex_numIfELi16ELb0ELb0ELc67ELc85EKPKS1_KPS1_EviT_T0_PT6_S7_lSA_S7_lS8_PT7_S7_li.private_seg_size, 0
	.set _ZL41rocblas_syrkx_herkx_small_restrict_kernelIl19rocblas_complex_numIfELi16ELb0ELb0ELc67ELc85EKPKS1_KPS1_EviT_T0_PT6_S7_lSA_S7_lS8_PT7_S7_li.uses_vcc, 1
	.set _ZL41rocblas_syrkx_herkx_small_restrict_kernelIl19rocblas_complex_numIfELi16ELb0ELb0ELc67ELc85EKPKS1_KPS1_EviT_T0_PT6_S7_lSA_S7_lS8_PT7_S7_li.uses_flat_scratch, 0
	.set _ZL41rocblas_syrkx_herkx_small_restrict_kernelIl19rocblas_complex_numIfELi16ELb0ELb0ELc67ELc85EKPKS1_KPS1_EviT_T0_PT6_S7_lSA_S7_lS8_PT7_S7_li.has_dyn_sized_stack, 0
	.set _ZL41rocblas_syrkx_herkx_small_restrict_kernelIl19rocblas_complex_numIfELi16ELb0ELb0ELc67ELc85EKPKS1_KPS1_EviT_T0_PT6_S7_lSA_S7_lS8_PT7_S7_li.has_recursion, 0
	.set _ZL41rocblas_syrkx_herkx_small_restrict_kernelIl19rocblas_complex_numIfELi16ELb0ELb0ELc67ELc85EKPKS1_KPS1_EviT_T0_PT6_S7_lSA_S7_lS8_PT7_S7_li.has_indirect_call, 0
	.section	.AMDGPU.csdata,"",@progbits
; Kernel info:
; codeLenInByte = 1204
; TotalNumSgprs: 28
; NumVgprs: 70
; ScratchSize: 0
; MemoryBound: 0
; FloatMode: 240
; IeeeMode: 1
; LDSByteSize: 4096 bytes/workgroup (compile time only)
; SGPRBlocks: 3
; VGPRBlocks: 17
; NumSGPRsForWavesPerEU: 28
; NumVGPRsForWavesPerEU: 70
; Occupancy: 3
; WaveLimiterHint : 1
; COMPUTE_PGM_RSRC2:SCRATCH_EN: 0
; COMPUTE_PGM_RSRC2:USER_SGPR: 6
; COMPUTE_PGM_RSRC2:TRAP_HANDLER: 0
; COMPUTE_PGM_RSRC2:TGID_X_EN: 1
; COMPUTE_PGM_RSRC2:TGID_Y_EN: 1
; COMPUTE_PGM_RSRC2:TGID_Z_EN: 1
; COMPUTE_PGM_RSRC2:TIDIG_COMP_CNT: 1
	.section	.text._ZL41rocblas_syrkx_herkx_small_restrict_kernelIl19rocblas_complex_numIfELi16ELb0ELb0ELc78ELc85EKPKS1_KPS1_EviT_T0_PT6_S7_lSA_S7_lS8_PT7_S7_li,"axG",@progbits,_ZL41rocblas_syrkx_herkx_small_restrict_kernelIl19rocblas_complex_numIfELi16ELb0ELb0ELc78ELc85EKPKS1_KPS1_EviT_T0_PT6_S7_lSA_S7_lS8_PT7_S7_li,comdat
	.globl	_ZL41rocblas_syrkx_herkx_small_restrict_kernelIl19rocblas_complex_numIfELi16ELb0ELb0ELc78ELc85EKPKS1_KPS1_EviT_T0_PT6_S7_lSA_S7_lS8_PT7_S7_li ; -- Begin function _ZL41rocblas_syrkx_herkx_small_restrict_kernelIl19rocblas_complex_numIfELi16ELb0ELb0ELc78ELc85EKPKS1_KPS1_EviT_T0_PT6_S7_lSA_S7_lS8_PT7_S7_li
	.p2align	8
	.type	_ZL41rocblas_syrkx_herkx_small_restrict_kernelIl19rocblas_complex_numIfELi16ELb0ELb0ELc78ELc85EKPKS1_KPS1_EviT_T0_PT6_S7_lSA_S7_lS8_PT7_S7_li,@function
_ZL41rocblas_syrkx_herkx_small_restrict_kernelIl19rocblas_complex_numIfELi16ELb0ELb0ELc78ELc85EKPKS1_KPS1_EviT_T0_PT6_S7_lSA_S7_lS8_PT7_S7_li: ; @_ZL41rocblas_syrkx_herkx_small_restrict_kernelIl19rocblas_complex_numIfELi16ELb0ELb0ELc78ELc85EKPKS1_KPS1_EviT_T0_PT6_S7_lSA_S7_lS8_PT7_S7_li
; %bb.0:
	s_load_dwordx4 s[20:23], s[4:5], 0x48
	s_load_dwordx2 s[10:11], s[4:5], 0x58
	s_load_dwordx8 s[12:19], s[4:5], 0x8
	s_mov_b32 s9, 0
	s_lshl_b64 s[24:25], s[8:9], 3
	s_waitcnt lgkmcnt(0)
	s_add_u32 s0, s22, s24
	s_addc_u32 s1, s23, s25
	s_load_dwordx2 s[8:9], s[0:1], 0x0
	v_cmp_lt_i64_e64 s[0:1], s[12:13], 1
	v_lshl_add_u32 v2, s6, 4, v0
	v_lshl_add_u32 v4, s7, 4, v1
	s_and_b64 vcc, exec, s[0:1]
	v_ashrrev_i32_e32 v3, 31, v2
	v_ashrrev_i32_e32 v5, 31, v4
	s_cbranch_vccnz .LBB1589_6
; %bb.1:
	s_load_dwordx4 s[0:3], s[4:5], 0x30
	v_mad_u64_u32 v[14:15], s[6:7], s18, v1, 0
	v_lshlrev_b32_e32 v9, 7, v1
	v_lshlrev_b32_e32 v10, 3, v0
	s_waitcnt lgkmcnt(0)
	v_mad_u64_u32 v[6:7], s[4:5], s2, v0, 0
	s_add_u32 s0, s0, s24
	v_add_u32_e32 v11, v10, v9
	v_mad_u64_u32 v[7:8], s[6:7], s3, v0, v[7:8]
	v_add_u32_e32 v12, 0x800, v9
	v_lshlrev_b64 v[8:9], 3, v[4:5]
	v_lshlrev_b64 v[6:7], 3, v[6:7]
	s_addc_u32 s1, s1, s25
	s_load_dwordx2 s[0:1], s[0:1], 0x0
	v_add_co_u32_e32 v8, vcc, v6, v8
	v_mov_b32_e32 v0, v15
	v_addc_co_u32_e32 v9, vcc, v7, v9, vcc
	v_mad_u64_u32 v[6:7], s[6:7], s19, v1, v[0:1]
	s_add_u32 s4, s16, s24
	s_addc_u32 s5, s17, s25
	s_load_dwordx2 s[4:5], s[4:5], 0x0
	s_waitcnt lgkmcnt(0)
	v_mov_b32_e32 v16, s1
	v_add_co_u32_e32 v0, vcc, s0, v8
	v_mov_b32_e32 v15, v6
	v_addc_co_u32_e32 v1, vcc, v16, v9, vcc
	v_lshlrev_b64 v[6:7], 3, v[14:15]
	v_lshlrev_b64 v[8:9], 3, v[2:3]
	s_lshl_b64 s[2:3], s[2:3], 7
	v_add_co_u32_e32 v6, vcc, v6, v8
	v_addc_co_u32_e32 v7, vcc, v7, v9, vcc
	v_mov_b32_e32 v8, s5
	v_add_co_u32_e32 v6, vcc, s4, v6
	v_addc_co_u32_e32 v7, vcc, v8, v7, vcc
	s_lshl_b64 s[4:5], s[18:19], 7
	v_mov_b32_e32 v8, s12
	v_add_u32_e32 v13, v12, v10
	v_mov_b32_e32 v14, 0
	s_mov_b64 s[6:7], 0
	v_mov_b32_e32 v16, s3
	v_mov_b32_e32 v17, s5
	;; [unrolled: 1-line block ×4, first 2 shown]
.LBB1589_2:                             ; =>This Inner Loop Header: Depth=1
	flat_load_dwordx2 v[18:19], v[6:7]
	s_add_u32 s6, s6, 16
	v_add_co_u32_e32 v6, vcc, s4, v6
	v_addc_co_u32_e32 v7, vcc, v7, v17, vcc
	s_addc_u32 s7, s7, 0
	v_cmp_lt_i64_e32 vcc, s[6:7], v[8:9]
	s_and_b64 vcc, exec, vcc
	s_waitcnt vmcnt(0) lgkmcnt(0)
	ds_write_b64 v11, v[18:19]
	flat_load_dwordx2 v[18:19], v[0:1]
	v_add_co_u32_e64 v0, s[0:1], s2, v0
	v_addc_co_u32_e64 v1, s[0:1], v1, v16, s[0:1]
	s_waitcnt vmcnt(0) lgkmcnt(0)
	ds_write_b64 v13, v[18:19]
	s_waitcnt lgkmcnt(0)
	s_barrier
	ds_read2_b64 v[18:21], v10 offset1:16
	ds_read_b128 v[22:25], v12
	ds_read_b128 v[26:29], v12 offset:16
	ds_read2_b64 v[30:33], v10 offset0:32 offset1:48
	ds_read2_b64 v[34:37], v10 offset0:64 offset1:80
	ds_read_b128 v[38:41], v12 offset:32
	ds_read_b128 v[42:45], v12 offset:48
	ds_read2_b64 v[46:49], v10 offset0:96 offset1:112
	ds_read2_b64 v[50:53], v10 offset0:128 offset1:144
	ds_read_b128 v[54:57], v12 offset:64
	s_waitcnt lgkmcnt(8)
	v_mul_f32_e32 v58, v23, v19
	v_mul_f32_e32 v59, v22, v19
	;; [unrolled: 1-line block ×4, first 2 shown]
	v_fma_f32 v58, v22, v18, -v58
	v_fmac_f32_e32 v59, v23, v18
	v_fma_f32 v61, v24, v20, -v19
	v_fmac_f32_e32 v60, v25, v20
	s_waitcnt lgkmcnt(6)
	v_mul_f32_e32 v22, v27, v31
	v_mul_f32_e32 v62, v26, v31
	v_mul_f32_e32 v23, v29, v33
	v_add_f32_e32 v15, v15, v58
	v_add_f32_e32 v14, v14, v59
	ds_read_b128 v[18:21], v12 offset:80
	v_mul_f32_e32 v63, v28, v33
	v_fma_f32 v64, v26, v30, -v22
	v_fmac_f32_e32 v62, v27, v30
	v_fma_f32 v65, v28, v32, -v23
	ds_read2_b64 v[22:25], v10 offset0:160 offset1:176
	v_add_f32_e32 v15, v15, v61
	v_add_f32_e32 v14, v14, v60
	v_fmac_f32_e32 v63, v29, v32
	s_waitcnt lgkmcnt(6)
	v_mul_f32_e32 v26, v39, v35
	v_mul_f32_e32 v66, v38, v35
	v_add_f32_e32 v15, v15, v64
	v_add_f32_e32 v14, v14, v62
	v_mul_f32_e32 v27, v41, v37
	v_mul_f32_e32 v67, v40, v37
	v_fma_f32 v38, v38, v34, -v26
	v_fmac_f32_e32 v66, v39, v34
	v_add_f32_e32 v15, v15, v65
	v_add_f32_e32 v14, v14, v63
	v_fma_f32 v39, v40, v36, -v27
	v_fmac_f32_e32 v67, v41, v36
	s_waitcnt lgkmcnt(4)
	v_mul_f32_e32 v30, v43, v47
	v_mul_f32_e32 v40, v42, v47
	;; [unrolled: 1-line block ×3, first 2 shown]
	v_add_f32_e32 v15, v15, v38
	v_add_f32_e32 v14, v14, v66
	ds_read2_b64 v[26:29], v10 offset0:192 offset1:208
	v_mul_f32_e32 v41, v44, v49
	v_fma_f32 v42, v42, v46, -v30
	v_fmac_f32_e32 v40, v43, v46
	v_fma_f32 v43, v44, v48, -v31
	ds_read_b128 v[30:33], v12 offset:96
	v_add_f32_e32 v15, v15, v39
	v_add_f32_e32 v14, v14, v67
	v_fmac_f32_e32 v41, v45, v48
	s_waitcnt lgkmcnt(4)
	v_mul_f32_e32 v34, v55, v51
	v_mul_f32_e32 v44, v54, v51
	;; [unrolled: 1-line block ×3, first 2 shown]
	s_waitcnt lgkmcnt(2)
	v_mul_f32_e32 v48, v19, v23
	v_mul_f32_e32 v23, v18, v23
	;; [unrolled: 1-line block ×4, first 2 shown]
	v_add_f32_e32 v15, v15, v42
	v_add_f32_e32 v14, v14, v40
	v_mul_f32_e32 v45, v56, v53
	v_fma_f32 v46, v54, v50, -v34
	v_fmac_f32_e32 v44, v55, v50
	v_fma_f32 v47, v56, v52, -v35
	ds_read_b128 v[34:37], v12 offset:112
	v_fma_f32 v48, v18, v22, -v48
	v_fmac_f32_e32 v23, v19, v22
	v_fma_f32 v22, v20, v24, -v49
	v_fmac_f32_e32 v25, v21, v24
	ds_read2_b64 v[18:21], v10 offset0:224 offset1:240
	v_add_f32_e32 v15, v15, v43
	v_add_f32_e32 v14, v14, v41
	v_fmac_f32_e32 v45, v57, v52
	v_add_f32_e32 v15, v15, v46
	v_add_f32_e32 v14, v14, v44
	;; [unrolled: 1-line block ×4, first 2 shown]
	s_waitcnt lgkmcnt(2)
	v_mul_f32_e32 v24, v31, v27
	v_mul_f32_e32 v27, v30, v27
	v_add_f32_e32 v15, v15, v48
	v_add_f32_e32 v14, v14, v23
	v_mul_f32_e32 v49, v33, v29
	v_mul_f32_e32 v29, v32, v29
	v_fma_f32 v24, v30, v26, -v24
	v_fmac_f32_e32 v27, v31, v26
	v_add_f32_e32 v15, v15, v22
	v_add_f32_e32 v14, v14, v25
	s_waitcnt lgkmcnt(0)
	v_mul_f32_e32 v50, v35, v19
	v_mul_f32_e32 v19, v34, v19
	v_fma_f32 v26, v32, v28, -v49
	v_fmac_f32_e32 v29, v33, v28
	v_add_f32_e32 v15, v15, v24
	v_add_f32_e32 v14, v14, v27
	v_mul_f32_e32 v28, v37, v21
	v_mul_f32_e32 v21, v36, v21
	v_fma_f32 v30, v34, v18, -v50
	v_fmac_f32_e32 v19, v35, v18
	v_add_f32_e32 v15, v15, v26
	v_add_f32_e32 v14, v14, v29
	v_fma_f32 v18, v36, v20, -v28
	v_fmac_f32_e32 v21, v37, v20
	v_add_f32_e32 v15, v15, v30
	v_add_f32_e32 v14, v14, v19
	v_add_f32_e32 v15, v15, v18
	v_add_f32_e32 v14, v14, v21
	s_barrier
	s_cbranch_vccnz .LBB1589_2
; %bb.3:
	v_cmp_le_i32_e32 vcc, v2, v4
	s_and_saveexec_b64 s[0:1], vcc
	s_cbranch_execz .LBB1589_5
.LBB1589_4:
	v_mul_lo_u32 v6, s11, v4
	v_mul_lo_u32 v5, s10, v5
	v_mad_u64_u32 v[0:1], s[0:1], s10, v4, 0
	s_waitcnt lgkmcnt(0)
	v_mov_b32_e32 v4, s9
	v_add3_u32 v1, v1, v5, v6
	v_lshlrev_b64 v[0:1], 3, v[0:1]
	v_add_co_u32_e32 v5, vcc, s8, v0
	v_addc_co_u32_e32 v4, vcc, v4, v1, vcc
	v_lshlrev_b64 v[0:1], 3, v[2:3]
	v_add_co_u32_e32 v0, vcc, v5, v0
	v_addc_co_u32_e32 v1, vcc, v4, v1, vcc
	flat_load_dwordx2 v[2:3], v[0:1]
	v_mul_f32_e32 v4, s15, v14
	v_mul_f32_e32 v5, s14, v14
	v_fma_f32 v4, v15, s14, -v4
	v_fmac_f32_e32 v5, s15, v15
	s_waitcnt vmcnt(0) lgkmcnt(0)
	v_mul_f32_e32 v6, s21, v3
	v_mul_f32_e32 v3, s20, v3
	v_fma_f32 v6, v2, s20, -v6
	v_fmac_f32_e32 v3, s21, v2
	v_add_f32_e32 v2, v4, v6
	v_add_f32_e32 v3, v5, v3
	flat_store_dwordx2 v[0:1], v[2:3]
.LBB1589_5:
	s_endpgm
.LBB1589_6:
	v_mov_b32_e32 v14, 0
	v_mov_b32_e32 v15, 0
	v_cmp_le_i32_e32 vcc, v2, v4
	s_and_saveexec_b64 s[0:1], vcc
	s_cbranch_execnz .LBB1589_4
	s_branch .LBB1589_5
	.section	.rodata,"a",@progbits
	.p2align	6, 0x0
	.amdhsa_kernel _ZL41rocblas_syrkx_herkx_small_restrict_kernelIl19rocblas_complex_numIfELi16ELb0ELb0ELc78ELc85EKPKS1_KPS1_EviT_T0_PT6_S7_lSA_S7_lS8_PT7_S7_li
		.amdhsa_group_segment_fixed_size 4096
		.amdhsa_private_segment_fixed_size 0
		.amdhsa_kernarg_size 108
		.amdhsa_user_sgpr_count 6
		.amdhsa_user_sgpr_private_segment_buffer 1
		.amdhsa_user_sgpr_dispatch_ptr 0
		.amdhsa_user_sgpr_queue_ptr 0
		.amdhsa_user_sgpr_kernarg_segment_ptr 1
		.amdhsa_user_sgpr_dispatch_id 0
		.amdhsa_user_sgpr_flat_scratch_init 0
		.amdhsa_user_sgpr_private_segment_size 0
		.amdhsa_uses_dynamic_stack 0
		.amdhsa_system_sgpr_private_segment_wavefront_offset 0
		.amdhsa_system_sgpr_workgroup_id_x 1
		.amdhsa_system_sgpr_workgroup_id_y 1
		.amdhsa_system_sgpr_workgroup_id_z 1
		.amdhsa_system_sgpr_workgroup_info 0
		.amdhsa_system_vgpr_workitem_id 1
		.amdhsa_next_free_vgpr 68
		.amdhsa_next_free_sgpr 26
		.amdhsa_reserve_vcc 1
		.amdhsa_reserve_flat_scratch 0
		.amdhsa_float_round_mode_32 0
		.amdhsa_float_round_mode_16_64 0
		.amdhsa_float_denorm_mode_32 3
		.amdhsa_float_denorm_mode_16_64 3
		.amdhsa_dx10_clamp 1
		.amdhsa_ieee_mode 1
		.amdhsa_fp16_overflow 0
		.amdhsa_exception_fp_ieee_invalid_op 0
		.amdhsa_exception_fp_denorm_src 0
		.amdhsa_exception_fp_ieee_div_zero 0
		.amdhsa_exception_fp_ieee_overflow 0
		.amdhsa_exception_fp_ieee_underflow 0
		.amdhsa_exception_fp_ieee_inexact 0
		.amdhsa_exception_int_div_zero 0
	.end_amdhsa_kernel
	.section	.text._ZL41rocblas_syrkx_herkx_small_restrict_kernelIl19rocblas_complex_numIfELi16ELb0ELb0ELc78ELc85EKPKS1_KPS1_EviT_T0_PT6_S7_lSA_S7_lS8_PT7_S7_li,"axG",@progbits,_ZL41rocblas_syrkx_herkx_small_restrict_kernelIl19rocblas_complex_numIfELi16ELb0ELb0ELc78ELc85EKPKS1_KPS1_EviT_T0_PT6_S7_lSA_S7_lS8_PT7_S7_li,comdat
.Lfunc_end1589:
	.size	_ZL41rocblas_syrkx_herkx_small_restrict_kernelIl19rocblas_complex_numIfELi16ELb0ELb0ELc78ELc85EKPKS1_KPS1_EviT_T0_PT6_S7_lSA_S7_lS8_PT7_S7_li, .Lfunc_end1589-_ZL41rocblas_syrkx_herkx_small_restrict_kernelIl19rocblas_complex_numIfELi16ELb0ELb0ELc78ELc85EKPKS1_KPS1_EviT_T0_PT6_S7_lSA_S7_lS8_PT7_S7_li
                                        ; -- End function
	.set _ZL41rocblas_syrkx_herkx_small_restrict_kernelIl19rocblas_complex_numIfELi16ELb0ELb0ELc78ELc85EKPKS1_KPS1_EviT_T0_PT6_S7_lSA_S7_lS8_PT7_S7_li.num_vgpr, 68
	.set _ZL41rocblas_syrkx_herkx_small_restrict_kernelIl19rocblas_complex_numIfELi16ELb0ELb0ELc78ELc85EKPKS1_KPS1_EviT_T0_PT6_S7_lSA_S7_lS8_PT7_S7_li.num_agpr, 0
	.set _ZL41rocblas_syrkx_herkx_small_restrict_kernelIl19rocblas_complex_numIfELi16ELb0ELb0ELc78ELc85EKPKS1_KPS1_EviT_T0_PT6_S7_lSA_S7_lS8_PT7_S7_li.numbered_sgpr, 26
	.set _ZL41rocblas_syrkx_herkx_small_restrict_kernelIl19rocblas_complex_numIfELi16ELb0ELb0ELc78ELc85EKPKS1_KPS1_EviT_T0_PT6_S7_lSA_S7_lS8_PT7_S7_li.num_named_barrier, 0
	.set _ZL41rocblas_syrkx_herkx_small_restrict_kernelIl19rocblas_complex_numIfELi16ELb0ELb0ELc78ELc85EKPKS1_KPS1_EviT_T0_PT6_S7_lSA_S7_lS8_PT7_S7_li.private_seg_size, 0
	.set _ZL41rocblas_syrkx_herkx_small_restrict_kernelIl19rocblas_complex_numIfELi16ELb0ELb0ELc78ELc85EKPKS1_KPS1_EviT_T0_PT6_S7_lSA_S7_lS8_PT7_S7_li.uses_vcc, 1
	.set _ZL41rocblas_syrkx_herkx_small_restrict_kernelIl19rocblas_complex_numIfELi16ELb0ELb0ELc78ELc85EKPKS1_KPS1_EviT_T0_PT6_S7_lSA_S7_lS8_PT7_S7_li.uses_flat_scratch, 0
	.set _ZL41rocblas_syrkx_herkx_small_restrict_kernelIl19rocblas_complex_numIfELi16ELb0ELb0ELc78ELc85EKPKS1_KPS1_EviT_T0_PT6_S7_lSA_S7_lS8_PT7_S7_li.has_dyn_sized_stack, 0
	.set _ZL41rocblas_syrkx_herkx_small_restrict_kernelIl19rocblas_complex_numIfELi16ELb0ELb0ELc78ELc85EKPKS1_KPS1_EviT_T0_PT6_S7_lSA_S7_lS8_PT7_S7_li.has_recursion, 0
	.set _ZL41rocblas_syrkx_herkx_small_restrict_kernelIl19rocblas_complex_numIfELi16ELb0ELb0ELc78ELc85EKPKS1_KPS1_EviT_T0_PT6_S7_lSA_S7_lS8_PT7_S7_li.has_indirect_call, 0
	.section	.AMDGPU.csdata,"",@progbits
; Kernel info:
; codeLenInByte = 1196
; TotalNumSgprs: 30
; NumVgprs: 68
; ScratchSize: 0
; MemoryBound: 0
; FloatMode: 240
; IeeeMode: 1
; LDSByteSize: 4096 bytes/workgroup (compile time only)
; SGPRBlocks: 3
; VGPRBlocks: 16
; NumSGPRsForWavesPerEU: 30
; NumVGPRsForWavesPerEU: 68
; Occupancy: 3
; WaveLimiterHint : 1
; COMPUTE_PGM_RSRC2:SCRATCH_EN: 0
; COMPUTE_PGM_RSRC2:USER_SGPR: 6
; COMPUTE_PGM_RSRC2:TRAP_HANDLER: 0
; COMPUTE_PGM_RSRC2:TGID_X_EN: 1
; COMPUTE_PGM_RSRC2:TGID_Y_EN: 1
; COMPUTE_PGM_RSRC2:TGID_Z_EN: 1
; COMPUTE_PGM_RSRC2:TIDIG_COMP_CNT: 1
	.section	.text._ZL32rocblas_syrkx_herkx_small_kernelIl19rocblas_complex_numIfELi16ELb1ELb0ELc84ELc76EKPKS1_KPS1_EviT_T0_PT6_S7_lSA_S7_lS8_PT7_S7_li,"axG",@progbits,_ZL32rocblas_syrkx_herkx_small_kernelIl19rocblas_complex_numIfELi16ELb1ELb0ELc84ELc76EKPKS1_KPS1_EviT_T0_PT6_S7_lSA_S7_lS8_PT7_S7_li,comdat
	.globl	_ZL32rocblas_syrkx_herkx_small_kernelIl19rocblas_complex_numIfELi16ELb1ELb0ELc84ELc76EKPKS1_KPS1_EviT_T0_PT6_S7_lSA_S7_lS8_PT7_S7_li ; -- Begin function _ZL32rocblas_syrkx_herkx_small_kernelIl19rocblas_complex_numIfELi16ELb1ELb0ELc84ELc76EKPKS1_KPS1_EviT_T0_PT6_S7_lSA_S7_lS8_PT7_S7_li
	.p2align	8
	.type	_ZL32rocblas_syrkx_herkx_small_kernelIl19rocblas_complex_numIfELi16ELb1ELb0ELc84ELc76EKPKS1_KPS1_EviT_T0_PT6_S7_lSA_S7_lS8_PT7_S7_li,@function
_ZL32rocblas_syrkx_herkx_small_kernelIl19rocblas_complex_numIfELi16ELb1ELb0ELc84ELc76EKPKS1_KPS1_EviT_T0_PT6_S7_lSA_S7_lS8_PT7_S7_li: ; @_ZL32rocblas_syrkx_herkx_small_kernelIl19rocblas_complex_numIfELi16ELb1ELb0ELc84ELc76EKPKS1_KPS1_EviT_T0_PT6_S7_lSA_S7_lS8_PT7_S7_li
; %bb.0:
	s_load_dwordx4 s[20:23], s[4:5], 0x50
	s_load_dword s10, s[4:5], 0x0
	s_load_dwordx8 s[12:19], s[4:5], 0x8
	s_mov_b32 s9, 0
	s_lshl_b64 s[2:3], s[8:9], 3
	s_waitcnt lgkmcnt(0)
	s_add_u32 s0, s20, s2
	s_addc_u32 s1, s21, s3
	s_load_dwordx2 s[8:9], s[0:1], 0x0
	v_cmp_lt_i64_e64 s[0:1], s[12:13], 1
	v_lshl_add_u32 v2, s6, 4, v0
	v_lshl_add_u32 v12, s7, 4, v1
	s_and_b64 vcc, exec, s[0:1]
	v_cmp_gt_i32_e64 s[0:1], s10, v2
	v_ashrrev_i32_e32 v3, 31, v2
	v_ashrrev_i32_e32 v13, 31, v12
	s_cbranch_vccnz .LBB1590_11
; %bb.1:
	s_load_dwordx4 s[4:7], s[4:5], 0x30
	v_lshlrev_b32_e32 v14, 3, v0
	v_lshlrev_b32_e32 v7, 7, v1
	v_add_u32_e32 v15, v14, v7
	v_add_u32_e32 v16, 0x800, v7
	s_waitcnt lgkmcnt(0)
	s_add_u32 s4, s4, s2
	s_addc_u32 s5, s5, s3
	s_add_u32 s2, s16, s2
	s_addc_u32 s3, s17, s3
	s_load_dwordx2 s[16:17], s[2:3], 0x0
	v_mul_lo_u32 v8, s7, v12
	v_mul_lo_u32 v9, s6, v13
	v_mad_u64_u32 v[5:6], s[2:3], s6, v12, 0
	s_load_dwordx2 s[4:5], s[4:5], 0x0
	v_mul_lo_u32 v11, s19, v2
	v_add3_u32 v6, v6, v9, v8
	v_lshlrev_b64 v[5:6], 3, v[5:6]
	v_mul_lo_u32 v18, s18, v3
	v_add_co_u32_e64 v5, s[2:3], v5, v14
	v_addc_co_u32_e64 v7, s[2:3], 0, v6, s[2:3]
	v_mad_u64_u32 v[8:9], s[2:3], s18, v2, 0
	s_waitcnt lgkmcnt(0)
	v_mov_b32_e32 v10, s5
	v_add_co_u32_e64 v6, s[2:3], s4, v5
	v_add3_u32 v9, v9, v18, v11
	v_lshlrev_b64 v[8:9], 3, v[8:9]
	v_addc_co_u32_e64 v7, s[2:3], v10, v7, s[2:3]
	v_lshlrev_b32_e32 v5, 3, v1
	v_add_co_u32_e64 v5, s[2:3], v8, v5
	v_addc_co_u32_e64 v9, s[2:3], 0, v9, s[2:3]
	v_mov_b32_e32 v10, s17
	v_add_co_u32_e64 v8, s[2:3], s16, v5
	v_cmp_gt_i32_e32 vcc, s10, v12
	v_addc_co_u32_e64 v9, s[2:3], v10, v9, s[2:3]
	v_mov_b32_e32 v10, s12
	v_mov_b32_e32 v4, 0
	v_add_u32_e32 v17, v16, v14
	s_mov_b64 s[2:3], 0
	s_xor_b64 s[4:5], s[0:1], -1
	s_xor_b64 s[6:7], vcc, -1
	v_mov_b32_e32 v11, s13
	v_mov_b32_e32 v18, 0
	;; [unrolled: 1-line block ×3, first 2 shown]
	s_branch .LBB1590_3
.LBB1590_2:                             ;   in Loop: Header=BB1590_3 Depth=1
	s_or_b64 exec, exec, s[0:1]
	s_waitcnt lgkmcnt(0)
	s_barrier
	ds_read2_b64 v[20:23], v14 offset1:16
	ds_read_b128 v[24:27], v16
	ds_read_b128 v[28:31], v16 offset:16
	ds_read2_b64 v[32:35], v14 offset0:32 offset1:48
	s_add_u32 s2, s2, 16
	v_add_co_u32_e32 v6, vcc, 0x80, v6
	s_waitcnt lgkmcnt(2)
	v_mul_f32_e32 v5, v25, v21
	v_mul_f32_e32 v36, v24, v21
	v_fma_f32 v5, v24, v20, -v5
	v_fmac_f32_e32 v36, v25, v20
	v_mul_f32_e32 v20, v27, v23
	v_fma_f32 v37, v26, v22, -v20
	v_mul_f32_e32 v38, v26, v23
	s_waitcnt lgkmcnt(0)
	v_mul_f32_e32 v20, v29, v33
	v_fmac_f32_e32 v38, v27, v22
	v_fma_f32 v39, v28, v32, -v20
	ds_read2_b64 v[20:23], v14 offset0:64 offset1:80
	ds_read_b128 v[24:27], v16 offset:32
	v_mul_f32_e32 v40, v28, v33
	v_fmac_f32_e32 v40, v29, v32
	v_mul_f32_e32 v28, v31, v35
	v_mul_f32_e32 v42, v30, v35
	s_waitcnt lgkmcnt(0)
	v_mul_f32_e32 v32, v25, v21
	v_fma_f32 v41, v30, v34, -v28
	v_fmac_f32_e32 v42, v31, v34
	ds_read_b128 v[28:31], v16 offset:48
	v_fma_f32 v43, v24, v20, -v32
	ds_read2_b64 v[32:35], v14 offset0:96 offset1:112
	v_mul_f32_e32 v44, v24, v21
	v_fmac_f32_e32 v44, v25, v20
	v_mul_f32_e32 v20, v27, v23
	v_fma_f32 v45, v26, v22, -v20
	v_mul_f32_e32 v46, v26, v23
	s_waitcnt lgkmcnt(0)
	v_mul_f32_e32 v20, v29, v33
	v_fmac_f32_e32 v46, v27, v22
	v_fma_f32 v47, v28, v32, -v20
	ds_read2_b64 v[20:23], v14 offset0:128 offset1:144
	ds_read_b128 v[24:27], v16 offset:64
	v_mul_f32_e32 v48, v28, v33
	v_fmac_f32_e32 v48, v29, v32
	v_mul_f32_e32 v28, v31, v35
	v_mul_f32_e32 v50, v30, v35
	s_waitcnt lgkmcnt(0)
	v_mul_f32_e32 v32, v25, v21
	v_fma_f32 v49, v30, v34, -v28
	v_fmac_f32_e32 v50, v31, v34
	ds_read_b128 v[28:31], v16 offset:80
	v_fma_f32 v51, v24, v20, -v32
	ds_read2_b64 v[32:35], v14 offset0:160 offset1:176
	v_mul_f32_e32 v52, v24, v21
	v_add_f32_e32 v18, v18, v36
	v_fmac_f32_e32 v52, v25, v20
	v_mul_f32_e32 v20, v27, v23
	v_add_f32_e32 v18, v18, v38
	v_fma_f32 v53, v26, v22, -v20
	v_mul_f32_e32 v54, v26, v23
	s_waitcnt lgkmcnt(0)
	v_mul_f32_e32 v20, v29, v33
	v_add_f32_e32 v18, v18, v40
	v_fmac_f32_e32 v54, v27, v22
	v_fma_f32 v55, v28, v32, -v20
	ds_read2_b64 v[20:23], v14 offset0:192 offset1:208
	ds_read_b128 v[24:27], v16 offset:96
	v_add_f32_e32 v18, v18, v42
	v_add_f32_e32 v18, v18, v44
	;; [unrolled: 1-line block ×6, first 2 shown]
	v_mul_f32_e32 v33, v28, v33
	v_mul_f32_e32 v28, v31, v35
	;; [unrolled: 1-line block ×3, first 2 shown]
	v_add_f32_e32 v5, v5, v39
	v_add_f32_e32 v18, v18, v50
	v_fmac_f32_e32 v33, v29, v32
	v_fma_f32 v32, v30, v34, -v28
	v_fmac_f32_e32 v35, v31, v34
	s_waitcnt lgkmcnt(0)
	v_mul_f32_e32 v34, v25, v21
	v_add_f32_e32 v5, v5, v41
	v_add_f32_e32 v18, v18, v52
	v_fma_f32 v34, v24, v20, -v34
	v_mul_f32_e32 v24, v24, v21
	v_add_f32_e32 v5, v5, v43
	v_add_f32_e32 v18, v18, v54
	v_fmac_f32_e32 v24, v25, v20
	v_mul_f32_e32 v20, v27, v23
	v_mul_f32_e32 v23, v26, v23
	v_add_f32_e32 v5, v5, v45
	v_add_f32_e32 v18, v18, v33
	ds_read_b128 v[28:31], v16 offset:112
	v_fma_f32 v25, v26, v22, -v20
	v_fmac_f32_e32 v23, v27, v22
	v_add_f32_e32 v5, v5, v47
	v_add_f32_e32 v22, v18, v35
	ds_read2_b64 v[18:21], v14 offset0:224 offset1:240
	v_add_f32_e32 v5, v5, v49
	v_add_f32_e32 v5, v5, v51
	;; [unrolled: 1-line block ×7, first 2 shown]
	s_waitcnt lgkmcnt(0)
	v_mul_f32_e32 v23, v29, v19
	v_mul_f32_e32 v19, v28, v19
	v_add_f32_e32 v5, v5, v34
	v_fmac_f32_e32 v19, v29, v18
	s_addc_u32 s3, s3, 0
	v_addc_co_u32_e32 v7, vcc, 0, v7, vcc
	v_add_f32_e32 v5, v5, v25
	v_fma_f32 v23, v28, v18, -v23
	v_add_f32_e32 v18, v22, v19
	v_mul_f32_e32 v19, v31, v21
	v_mul_f32_e32 v21, v30, v21
	v_add_co_u32_e32 v8, vcc, 0x80, v8
	v_cmp_ge_i64_e64 s[0:1], s[2:3], v[10:11]
	v_add_f32_e32 v5, v5, v23
	v_fma_f32 v19, v30, v20, -v19
	v_fmac_f32_e32 v21, v31, v20
	v_addc_co_u32_e32 v9, vcc, 0, v9, vcc
	v_add_f32_e32 v19, v5, v19
	v_add_f32_e32 v18, v18, v21
	s_and_b64 vcc, exec, s[0:1]
	s_barrier
	s_cbranch_vccnz .LBB1590_12
.LBB1590_3:                             ; =>This Inner Loop Header: Depth=1
	v_mov_b32_e32 v5, s3
	v_add_co_u32_e32 v20, vcc, s2, v1
	v_addc_co_u32_e32 v21, vcc, 0, v5, vcc
	v_cmp_le_i64_e32 vcc, s[12:13], v[20:21]
	s_or_b64 s[0:1], s[4:5], vcc
	s_and_saveexec_b64 s[16:17], s[0:1]
	s_xor_b64 s[0:1], exec, s[16:17]
; %bb.4:                                ;   in Loop: Header=BB1590_3 Depth=1
	v_mov_b32_e32 v5, v4
	ds_write_b64 v15, v[4:5]
; %bb.5:                                ;   in Loop: Header=BB1590_3 Depth=1
	s_andn2_saveexec_b64 s[0:1], s[0:1]
	s_cbranch_execz .LBB1590_7
; %bb.6:                                ;   in Loop: Header=BB1590_3 Depth=1
	flat_load_dwordx2 v[20:21], v[8:9]
	s_waitcnt vmcnt(0) lgkmcnt(0)
	ds_write_b64 v15, v[20:21]
.LBB1590_7:                             ;   in Loop: Header=BB1590_3 Depth=1
	s_or_b64 exec, exec, s[0:1]
	v_mov_b32_e32 v5, s3
	v_add_co_u32_e32 v20, vcc, s2, v0
	v_addc_co_u32_e32 v21, vcc, 0, v5, vcc
	v_cmp_le_i64_e32 vcc, s[12:13], v[20:21]
	s_or_b64 s[0:1], s[6:7], vcc
	s_and_saveexec_b64 s[16:17], s[0:1]
	s_xor_b64 s[0:1], exec, s[16:17]
; %bb.8:                                ;   in Loop: Header=BB1590_3 Depth=1
	v_mov_b32_e32 v5, v4
	ds_write_b64 v17, v[4:5]
; %bb.9:                                ;   in Loop: Header=BB1590_3 Depth=1
	s_andn2_saveexec_b64 s[0:1], s[0:1]
	s_cbranch_execz .LBB1590_2
; %bb.10:                               ;   in Loop: Header=BB1590_3 Depth=1
	flat_load_dwordx2 v[20:21], v[6:7]
	s_waitcnt vmcnt(0) lgkmcnt(0)
	ds_write_b64 v17, v[20:21]
	s_branch .LBB1590_2
.LBB1590_11:
	v_mov_b32_e32 v18, 0
	v_mov_b32_e32 v19, 0
.LBB1590_12:
	v_cmp_le_i32_e32 vcc, v12, v2
	v_cmp_gt_i32_e64 s[0:1], s10, v2
	s_and_b64 s[0:1], vcc, s[0:1]
	s_and_saveexec_b64 s[2:3], s[0:1]
	s_cbranch_execz .LBB1590_14
; %bb.13:
	v_mul_lo_u32 v6, s23, v12
	v_mul_lo_u32 v7, s22, v13
	v_mad_u64_u32 v[0:1], s[0:1], s22, v12, 0
	v_mul_f32_e32 v4, s15, v18
	v_mul_f32_e32 v5, s14, v18
	v_add3_u32 v1, v1, v7, v6
	v_lshlrev_b64 v[0:1], 3, v[0:1]
	s_waitcnt lgkmcnt(0)
	v_mov_b32_e32 v6, s9
	v_add_co_u32_e32 v7, vcc, s8, v0
	v_addc_co_u32_e32 v6, vcc, v6, v1, vcc
	v_lshlrev_b64 v[0:1], 3, v[2:3]
	v_fma_f32 v4, v19, s14, -v4
	v_add_co_u32_e32 v0, vcc, v7, v0
	v_fmac_f32_e32 v5, s15, v19
	v_addc_co_u32_e32 v1, vcc, v6, v1, vcc
	flat_store_dwordx2 v[0:1], v[4:5]
.LBB1590_14:
	s_endpgm
	.section	.rodata,"a",@progbits
	.p2align	6, 0x0
	.amdhsa_kernel _ZL32rocblas_syrkx_herkx_small_kernelIl19rocblas_complex_numIfELi16ELb1ELb0ELc84ELc76EKPKS1_KPS1_EviT_T0_PT6_S7_lSA_S7_lS8_PT7_S7_li
		.amdhsa_group_segment_fixed_size 4096
		.amdhsa_private_segment_fixed_size 0
		.amdhsa_kernarg_size 108
		.amdhsa_user_sgpr_count 6
		.amdhsa_user_sgpr_private_segment_buffer 1
		.amdhsa_user_sgpr_dispatch_ptr 0
		.amdhsa_user_sgpr_queue_ptr 0
		.amdhsa_user_sgpr_kernarg_segment_ptr 1
		.amdhsa_user_sgpr_dispatch_id 0
		.amdhsa_user_sgpr_flat_scratch_init 0
		.amdhsa_user_sgpr_private_segment_size 0
		.amdhsa_uses_dynamic_stack 0
		.amdhsa_system_sgpr_private_segment_wavefront_offset 0
		.amdhsa_system_sgpr_workgroup_id_x 1
		.amdhsa_system_sgpr_workgroup_id_y 1
		.amdhsa_system_sgpr_workgroup_id_z 1
		.amdhsa_system_sgpr_workgroup_info 0
		.amdhsa_system_vgpr_workitem_id 1
		.amdhsa_next_free_vgpr 56
		.amdhsa_next_free_sgpr 24
		.amdhsa_reserve_vcc 1
		.amdhsa_reserve_flat_scratch 0
		.amdhsa_float_round_mode_32 0
		.amdhsa_float_round_mode_16_64 0
		.amdhsa_float_denorm_mode_32 3
		.amdhsa_float_denorm_mode_16_64 3
		.amdhsa_dx10_clamp 1
		.amdhsa_ieee_mode 1
		.amdhsa_fp16_overflow 0
		.amdhsa_exception_fp_ieee_invalid_op 0
		.amdhsa_exception_fp_denorm_src 0
		.amdhsa_exception_fp_ieee_div_zero 0
		.amdhsa_exception_fp_ieee_overflow 0
		.amdhsa_exception_fp_ieee_underflow 0
		.amdhsa_exception_fp_ieee_inexact 0
		.amdhsa_exception_int_div_zero 0
	.end_amdhsa_kernel
	.section	.text._ZL32rocblas_syrkx_herkx_small_kernelIl19rocblas_complex_numIfELi16ELb1ELb0ELc84ELc76EKPKS1_KPS1_EviT_T0_PT6_S7_lSA_S7_lS8_PT7_S7_li,"axG",@progbits,_ZL32rocblas_syrkx_herkx_small_kernelIl19rocblas_complex_numIfELi16ELb1ELb0ELc84ELc76EKPKS1_KPS1_EviT_T0_PT6_S7_lSA_S7_lS8_PT7_S7_li,comdat
.Lfunc_end1590:
	.size	_ZL32rocblas_syrkx_herkx_small_kernelIl19rocblas_complex_numIfELi16ELb1ELb0ELc84ELc76EKPKS1_KPS1_EviT_T0_PT6_S7_lSA_S7_lS8_PT7_S7_li, .Lfunc_end1590-_ZL32rocblas_syrkx_herkx_small_kernelIl19rocblas_complex_numIfELi16ELb1ELb0ELc84ELc76EKPKS1_KPS1_EviT_T0_PT6_S7_lSA_S7_lS8_PT7_S7_li
                                        ; -- End function
	.set _ZL32rocblas_syrkx_herkx_small_kernelIl19rocblas_complex_numIfELi16ELb1ELb0ELc84ELc76EKPKS1_KPS1_EviT_T0_PT6_S7_lSA_S7_lS8_PT7_S7_li.num_vgpr, 56
	.set _ZL32rocblas_syrkx_herkx_small_kernelIl19rocblas_complex_numIfELi16ELb1ELb0ELc84ELc76EKPKS1_KPS1_EviT_T0_PT6_S7_lSA_S7_lS8_PT7_S7_li.num_agpr, 0
	.set _ZL32rocblas_syrkx_herkx_small_kernelIl19rocblas_complex_numIfELi16ELb1ELb0ELc84ELc76EKPKS1_KPS1_EviT_T0_PT6_S7_lSA_S7_lS8_PT7_S7_li.numbered_sgpr, 24
	.set _ZL32rocblas_syrkx_herkx_small_kernelIl19rocblas_complex_numIfELi16ELb1ELb0ELc84ELc76EKPKS1_KPS1_EviT_T0_PT6_S7_lSA_S7_lS8_PT7_S7_li.num_named_barrier, 0
	.set _ZL32rocblas_syrkx_herkx_small_kernelIl19rocblas_complex_numIfELi16ELb1ELb0ELc84ELc76EKPKS1_KPS1_EviT_T0_PT6_S7_lSA_S7_lS8_PT7_S7_li.private_seg_size, 0
	.set _ZL32rocblas_syrkx_herkx_small_kernelIl19rocblas_complex_numIfELi16ELb1ELb0ELc84ELc76EKPKS1_KPS1_EviT_T0_PT6_S7_lSA_S7_lS8_PT7_S7_li.uses_vcc, 1
	.set _ZL32rocblas_syrkx_herkx_small_kernelIl19rocblas_complex_numIfELi16ELb1ELb0ELc84ELc76EKPKS1_KPS1_EviT_T0_PT6_S7_lSA_S7_lS8_PT7_S7_li.uses_flat_scratch, 0
	.set _ZL32rocblas_syrkx_herkx_small_kernelIl19rocblas_complex_numIfELi16ELb1ELb0ELc84ELc76EKPKS1_KPS1_EviT_T0_PT6_S7_lSA_S7_lS8_PT7_S7_li.has_dyn_sized_stack, 0
	.set _ZL32rocblas_syrkx_herkx_small_kernelIl19rocblas_complex_numIfELi16ELb1ELb0ELc84ELc76EKPKS1_KPS1_EviT_T0_PT6_S7_lSA_S7_lS8_PT7_S7_li.has_recursion, 0
	.set _ZL32rocblas_syrkx_herkx_small_kernelIl19rocblas_complex_numIfELi16ELb1ELb0ELc84ELc76EKPKS1_KPS1_EviT_T0_PT6_S7_lSA_S7_lS8_PT7_S7_li.has_indirect_call, 0
	.section	.AMDGPU.csdata,"",@progbits
; Kernel info:
; codeLenInByte = 1320
; TotalNumSgprs: 28
; NumVgprs: 56
; ScratchSize: 0
; MemoryBound: 1
; FloatMode: 240
; IeeeMode: 1
; LDSByteSize: 4096 bytes/workgroup (compile time only)
; SGPRBlocks: 3
; VGPRBlocks: 13
; NumSGPRsForWavesPerEU: 28
; NumVGPRsForWavesPerEU: 56
; Occupancy: 4
; WaveLimiterHint : 1
; COMPUTE_PGM_RSRC2:SCRATCH_EN: 0
; COMPUTE_PGM_RSRC2:USER_SGPR: 6
; COMPUTE_PGM_RSRC2:TRAP_HANDLER: 0
; COMPUTE_PGM_RSRC2:TGID_X_EN: 1
; COMPUTE_PGM_RSRC2:TGID_Y_EN: 1
; COMPUTE_PGM_RSRC2:TGID_Z_EN: 1
; COMPUTE_PGM_RSRC2:TIDIG_COMP_CNT: 1
	.section	.text._ZL32rocblas_syrkx_herkx_small_kernelIl19rocblas_complex_numIfELi16ELb1ELb0ELc67ELc76EKPKS1_KPS1_EviT_T0_PT6_S7_lSA_S7_lS8_PT7_S7_li,"axG",@progbits,_ZL32rocblas_syrkx_herkx_small_kernelIl19rocblas_complex_numIfELi16ELb1ELb0ELc67ELc76EKPKS1_KPS1_EviT_T0_PT6_S7_lSA_S7_lS8_PT7_S7_li,comdat
	.globl	_ZL32rocblas_syrkx_herkx_small_kernelIl19rocblas_complex_numIfELi16ELb1ELb0ELc67ELc76EKPKS1_KPS1_EviT_T0_PT6_S7_lSA_S7_lS8_PT7_S7_li ; -- Begin function _ZL32rocblas_syrkx_herkx_small_kernelIl19rocblas_complex_numIfELi16ELb1ELb0ELc67ELc76EKPKS1_KPS1_EviT_T0_PT6_S7_lSA_S7_lS8_PT7_S7_li
	.p2align	8
	.type	_ZL32rocblas_syrkx_herkx_small_kernelIl19rocblas_complex_numIfELi16ELb1ELb0ELc67ELc76EKPKS1_KPS1_EviT_T0_PT6_S7_lSA_S7_lS8_PT7_S7_li,@function
_ZL32rocblas_syrkx_herkx_small_kernelIl19rocblas_complex_numIfELi16ELb1ELb0ELc67ELc76EKPKS1_KPS1_EviT_T0_PT6_S7_lSA_S7_lS8_PT7_S7_li: ; @_ZL32rocblas_syrkx_herkx_small_kernelIl19rocblas_complex_numIfELi16ELb1ELb0ELc67ELc76EKPKS1_KPS1_EviT_T0_PT6_S7_lSA_S7_lS8_PT7_S7_li
; %bb.0:
	s_load_dwordx4 s[20:23], s[4:5], 0x50
	s_load_dword s10, s[4:5], 0x0
	s_load_dwordx8 s[12:19], s[4:5], 0x8
	s_mov_b32 s9, 0
	s_lshl_b64 s[2:3], s[8:9], 3
	s_waitcnt lgkmcnt(0)
	s_add_u32 s0, s20, s2
	s_addc_u32 s1, s21, s3
	s_load_dwordx2 s[8:9], s[0:1], 0x0
	v_cmp_lt_i64_e64 s[0:1], s[12:13], 1
	v_lshl_add_u32 v2, s6, 4, v0
	v_lshl_add_u32 v14, s7, 4, v1
	s_and_b64 vcc, exec, s[0:1]
	v_cmp_gt_i32_e64 s[0:1], s10, v2
	v_ashrrev_i32_e32 v3, 31, v2
	v_ashrrev_i32_e32 v15, 31, v14
	s_cbranch_vccnz .LBB1591_9
; %bb.1:
	s_load_dwordx4 s[4:7], s[4:5], 0x30
	v_lshlrev_b32_e32 v16, 3, v0
	v_lshlrev_b32_e32 v7, 7, v1
	v_add_u32_e32 v17, v16, v7
	v_add_u32_e32 v18, 0x800, v7
	s_waitcnt lgkmcnt(0)
	s_add_u32 s4, s4, s2
	s_addc_u32 s5, s5, s3
	s_add_u32 s2, s16, s2
	s_addc_u32 s3, s17, s3
	s_load_dwordx2 s[16:17], s[2:3], 0x0
	v_mul_lo_u32 v8, s7, v14
	v_mul_lo_u32 v9, s6, v15
	v_mad_u64_u32 v[5:6], s[2:3], s6, v14, 0
	s_load_dwordx2 s[4:5], s[4:5], 0x0
	v_mul_lo_u32 v11, s19, v2
	v_add3_u32 v6, v6, v9, v8
	v_lshlrev_b64 v[5:6], 3, v[5:6]
	v_mul_lo_u32 v12, s18, v3
	v_add_co_u32_e64 v5, s[2:3], v5, v16
	v_addc_co_u32_e64 v7, s[2:3], 0, v6, s[2:3]
	v_mad_u64_u32 v[8:9], s[2:3], s18, v2, 0
	s_waitcnt lgkmcnt(0)
	v_mov_b32_e32 v10, s5
	v_add_co_u32_e64 v6, s[2:3], s4, v5
	v_add3_u32 v9, v9, v12, v11
	v_lshlrev_b64 v[8:9], 3, v[8:9]
	v_addc_co_u32_e64 v7, s[2:3], v10, v7, s[2:3]
	v_lshlrev_b32_e32 v5, 3, v1
	v_add_co_u32_e64 v5, s[2:3], v8, v5
	v_addc_co_u32_e64 v9, s[2:3], 0, v9, s[2:3]
	v_mov_b32_e32 v10, s17
	v_add_co_u32_e64 v8, s[2:3], s16, v5
	v_cmp_gt_i32_e32 vcc, s10, v14
	v_addc_co_u32_e64 v9, s[2:3], v10, v9, s[2:3]
	v_mov_b32_e32 v10, s12
	v_mov_b32_e32 v4, 0
	v_add_u32_e32 v19, v18, v16
	s_mov_b64 s[4:5], 0
	s_xor_b64 s[6:7], vcc, -1
	v_mov_b32_e32 v11, s13
	v_mov_b32_e32 v20, 0
	;; [unrolled: 1-line block ×3, first 2 shown]
	s_branch .LBB1591_3
.LBB1591_2:                             ;   in Loop: Header=BB1591_3 Depth=1
	s_or_b64 exec, exec, s[2:3]
	s_waitcnt lgkmcnt(0)
	s_barrier
	ds_read2_b64 v[22:25], v16 offset1:16
	ds_read_b128 v[26:29], v18
	ds_read_b128 v[30:33], v18 offset:16
	ds_read2_b64 v[34:37], v16 offset0:32 offset1:48
	s_add_u32 s4, s4, 16
	v_add_co_u32_e32 v6, vcc, 0x80, v6
	s_waitcnt lgkmcnt(2)
	v_mul_f32_e32 v5, v27, v23
	v_mul_f32_e32 v12, v26, v23
	v_fma_f32 v5, v26, v22, -v5
	v_fmac_f32_e32 v12, v27, v22
	v_mul_f32_e32 v13, v29, v25
	v_mul_f32_e32 v38, v28, v25
	s_waitcnt lgkmcnt(0)
	v_mul_f32_e32 v22, v31, v35
	v_fma_f32 v13, v28, v24, -v13
	v_fmac_f32_e32 v38, v29, v24
	v_fma_f32 v39, v30, v34, -v22
	ds_read2_b64 v[22:25], v16 offset0:64 offset1:80
	ds_read_b128 v[26:29], v18 offset:32
	v_mul_f32_e32 v40, v30, v35
	v_fmac_f32_e32 v40, v31, v34
	v_mul_f32_e32 v30, v33, v37
	v_mul_f32_e32 v42, v32, v37
	s_waitcnt lgkmcnt(0)
	v_mul_f32_e32 v34, v27, v23
	v_fma_f32 v41, v32, v36, -v30
	v_fmac_f32_e32 v42, v33, v36
	ds_read_b128 v[30:33], v18 offset:48
	v_fma_f32 v43, v26, v22, -v34
	ds_read2_b64 v[34:37], v16 offset0:96 offset1:112
	v_mul_f32_e32 v44, v26, v23
	v_fmac_f32_e32 v44, v27, v22
	v_mul_f32_e32 v22, v29, v25
	v_fma_f32 v45, v28, v24, -v22
	v_mul_f32_e32 v46, v28, v25
	s_waitcnt lgkmcnt(0)
	v_mul_f32_e32 v22, v31, v35
	v_fmac_f32_e32 v46, v29, v24
	v_fma_f32 v47, v30, v34, -v22
	ds_read2_b64 v[22:25], v16 offset0:128 offset1:144
	ds_read_b128 v[26:29], v18 offset:64
	v_mul_f32_e32 v48, v30, v35
	v_fmac_f32_e32 v48, v31, v34
	v_mul_f32_e32 v30, v33, v37
	v_mul_f32_e32 v50, v32, v37
	s_waitcnt lgkmcnt(0)
	v_mul_f32_e32 v34, v27, v23
	v_fma_f32 v49, v32, v36, -v30
	v_fmac_f32_e32 v50, v33, v36
	ds_read_b128 v[30:33], v18 offset:80
	v_fma_f32 v51, v26, v22, -v34
	ds_read2_b64 v[34:37], v16 offset0:160 offset1:176
	v_mul_f32_e32 v52, v26, v23
	v_fmac_f32_e32 v52, v27, v22
	v_mul_f32_e32 v22, v29, v25
	v_fma_f32 v53, v28, v24, -v22
	v_mul_f32_e32 v54, v28, v25
	s_waitcnt lgkmcnt(0)
	v_mul_f32_e32 v22, v31, v35
	v_fmac_f32_e32 v54, v29, v24
	v_fma_f32 v55, v30, v34, -v22
	ds_read2_b64 v[22:25], v16 offset0:192 offset1:208
	ds_read_b128 v[26:29], v18 offset:96
	v_add_f32_e32 v5, v21, v5
	v_add_f32_e32 v12, v20, v12
	;; [unrolled: 1-line block ×5, first 2 shown]
	v_mul_f32_e32 v35, v30, v35
	v_mul_f32_e32 v30, v33, v37
	;; [unrolled: 1-line block ×3, first 2 shown]
	v_add_f32_e32 v12, v12, v40
	v_add_f32_e32 v5, v5, v41
	v_fmac_f32_e32 v35, v31, v34
	v_fma_f32 v34, v32, v36, -v30
	v_fmac_f32_e32 v37, v33, v36
	s_waitcnt lgkmcnt(0)
	v_mul_f32_e32 v36, v27, v23
	v_add_f32_e32 v12, v12, v42
	v_add_f32_e32 v5, v5, v43
	v_fma_f32 v36, v26, v22, -v36
	v_mul_f32_e32 v26, v26, v23
	v_add_f32_e32 v12, v12, v44
	v_add_f32_e32 v5, v5, v45
	v_fmac_f32_e32 v26, v27, v22
	v_mul_f32_e32 v22, v29, v25
	v_add_f32_e32 v12, v12, v46
	v_add_f32_e32 v5, v5, v47
	ds_read_b128 v[30:33], v18 offset:112
	v_fma_f32 v27, v28, v24, -v22
	v_add_f32_e32 v12, v12, v48
	v_add_f32_e32 v5, v5, v49
	ds_read2_b64 v[20:23], v16 offset0:224 offset1:240
	v_add_f32_e32 v12, v12, v50
	v_add_f32_e32 v5, v5, v51
	;; [unrolled: 1-line block ×8, first 2 shown]
	v_mul_f32_e32 v25, v28, v25
	v_add_f32_e32 v12, v12, v37
	v_add_f32_e32 v5, v5, v36
	s_waitcnt lgkmcnt(0)
	v_mul_f32_e32 v13, v31, v21
	v_fmac_f32_e32 v25, v29, v24
	v_add_f32_e32 v12, v12, v26
	v_add_f32_e32 v5, v5, v27
	v_fma_f32 v13, v30, v20, -v13
	v_mul_f32_e32 v21, v30, v21
	s_addc_u32 s5, s5, 0
	v_addc_co_u32_e32 v7, vcc, 0, v7, vcc
	v_add_f32_e32 v12, v12, v25
	v_fmac_f32_e32 v21, v31, v20
	v_add_f32_e32 v5, v5, v13
	v_mul_f32_e32 v13, v33, v23
	v_mul_f32_e32 v20, v32, v23
	v_add_co_u32_e32 v8, vcc, 0x80, v8
	v_cmp_ge_i64_e64 s[2:3], s[4:5], v[10:11]
	v_add_f32_e32 v12, v12, v21
	v_fma_f32 v13, v32, v22, -v13
	v_fmac_f32_e32 v20, v33, v22
	v_addc_co_u32_e32 v9, vcc, 0, v9, vcc
	v_add_f32_e32 v21, v5, v13
	v_add_f32_e32 v20, v12, v20
	s_and_b64 vcc, exec, s[2:3]
	s_barrier
	s_cbranch_vccnz .LBB1591_10
.LBB1591_3:                             ; =>This Inner Loop Header: Depth=1
	v_mov_b32_e32 v5, s5
	v_add_co_u32_e32 v12, vcc, s4, v1
	v_addc_co_u32_e32 v13, vcc, 0, v5, vcc
	v_cmp_gt_i64_e32 vcc, s[12:13], v[12:13]
	v_mov_b32_e32 v12, 0
	s_and_b64 s[16:17], s[0:1], vcc
	v_mov_b32_e32 v13, 0
	s_and_saveexec_b64 s[2:3], s[16:17]
	s_cbranch_execz .LBB1591_5
; %bb.4:                                ;   in Loop: Header=BB1591_3 Depth=1
	flat_load_dwordx2 v[12:13], v[8:9]
.LBB1591_5:                             ;   in Loop: Header=BB1591_3 Depth=1
	s_or_b64 exec, exec, s[2:3]
	v_mov_b32_e32 v5, s5
	v_add_co_u32_e32 v22, vcc, s4, v0
	v_addc_co_u32_e32 v23, vcc, 0, v5, vcc
	v_cmp_le_i64_e32 vcc, s[12:13], v[22:23]
	s_waitcnt vmcnt(0) lgkmcnt(0)
	ds_write_b64 v17, v[12:13]
	s_or_b64 s[2:3], s[6:7], vcc
	s_and_saveexec_b64 s[16:17], s[2:3]
	s_xor_b64 s[2:3], exec, s[16:17]
; %bb.6:                                ;   in Loop: Header=BB1591_3 Depth=1
	v_mov_b32_e32 v5, v4
	ds_write_b64 v19, v[4:5]
; %bb.7:                                ;   in Loop: Header=BB1591_3 Depth=1
	s_andn2_saveexec_b64 s[2:3], s[2:3]
	s_cbranch_execz .LBB1591_2
; %bb.8:                                ;   in Loop: Header=BB1591_3 Depth=1
	flat_load_dwordx2 v[12:13], v[6:7]
	s_waitcnt vmcnt(0) lgkmcnt(0)
	ds_write_b64 v19, v[12:13]
	s_branch .LBB1591_2
.LBB1591_9:
	v_mov_b32_e32 v20, 0
	v_mov_b32_e32 v21, 0
.LBB1591_10:
	v_cmp_le_i32_e32 vcc, v14, v2
	v_cmp_gt_i32_e64 s[0:1], s10, v2
	s_and_b64 s[0:1], vcc, s[0:1]
	s_and_saveexec_b64 s[2:3], s[0:1]
	s_cbranch_execz .LBB1591_12
; %bb.11:
	v_mul_lo_u32 v6, s23, v14
	v_mul_lo_u32 v7, s22, v15
	v_mad_u64_u32 v[0:1], s[0:1], s22, v14, 0
	v_mul_f32_e32 v4, s15, v20
	v_mul_f32_e32 v5, s14, v20
	v_add3_u32 v1, v1, v7, v6
	v_lshlrev_b64 v[0:1], 3, v[0:1]
	s_waitcnt lgkmcnt(0)
	v_mov_b32_e32 v6, s9
	v_add_co_u32_e32 v7, vcc, s8, v0
	v_addc_co_u32_e32 v6, vcc, v6, v1, vcc
	v_lshlrev_b64 v[0:1], 3, v[2:3]
	v_fma_f32 v4, v21, s14, -v4
	v_add_co_u32_e32 v0, vcc, v7, v0
	v_fmac_f32_e32 v5, s15, v21
	v_addc_co_u32_e32 v1, vcc, v6, v1, vcc
	flat_store_dwordx2 v[0:1], v[4:5]
.LBB1591_12:
	s_endpgm
	.section	.rodata,"a",@progbits
	.p2align	6, 0x0
	.amdhsa_kernel _ZL32rocblas_syrkx_herkx_small_kernelIl19rocblas_complex_numIfELi16ELb1ELb0ELc67ELc76EKPKS1_KPS1_EviT_T0_PT6_S7_lSA_S7_lS8_PT7_S7_li
		.amdhsa_group_segment_fixed_size 4096
		.amdhsa_private_segment_fixed_size 0
		.amdhsa_kernarg_size 108
		.amdhsa_user_sgpr_count 6
		.amdhsa_user_sgpr_private_segment_buffer 1
		.amdhsa_user_sgpr_dispatch_ptr 0
		.amdhsa_user_sgpr_queue_ptr 0
		.amdhsa_user_sgpr_kernarg_segment_ptr 1
		.amdhsa_user_sgpr_dispatch_id 0
		.amdhsa_user_sgpr_flat_scratch_init 0
		.amdhsa_user_sgpr_private_segment_size 0
		.amdhsa_uses_dynamic_stack 0
		.amdhsa_system_sgpr_private_segment_wavefront_offset 0
		.amdhsa_system_sgpr_workgroup_id_x 1
		.amdhsa_system_sgpr_workgroup_id_y 1
		.amdhsa_system_sgpr_workgroup_id_z 1
		.amdhsa_system_sgpr_workgroup_info 0
		.amdhsa_system_vgpr_workitem_id 1
		.amdhsa_next_free_vgpr 56
		.amdhsa_next_free_sgpr 24
		.amdhsa_reserve_vcc 1
		.amdhsa_reserve_flat_scratch 0
		.amdhsa_float_round_mode_32 0
		.amdhsa_float_round_mode_16_64 0
		.amdhsa_float_denorm_mode_32 3
		.amdhsa_float_denorm_mode_16_64 3
		.amdhsa_dx10_clamp 1
		.amdhsa_ieee_mode 1
		.amdhsa_fp16_overflow 0
		.amdhsa_exception_fp_ieee_invalid_op 0
		.amdhsa_exception_fp_denorm_src 0
		.amdhsa_exception_fp_ieee_div_zero 0
		.amdhsa_exception_fp_ieee_overflow 0
		.amdhsa_exception_fp_ieee_underflow 0
		.amdhsa_exception_fp_ieee_inexact 0
		.amdhsa_exception_int_div_zero 0
	.end_amdhsa_kernel
	.section	.text._ZL32rocblas_syrkx_herkx_small_kernelIl19rocblas_complex_numIfELi16ELb1ELb0ELc67ELc76EKPKS1_KPS1_EviT_T0_PT6_S7_lSA_S7_lS8_PT7_S7_li,"axG",@progbits,_ZL32rocblas_syrkx_herkx_small_kernelIl19rocblas_complex_numIfELi16ELb1ELb0ELc67ELc76EKPKS1_KPS1_EviT_T0_PT6_S7_lSA_S7_lS8_PT7_S7_li,comdat
.Lfunc_end1591:
	.size	_ZL32rocblas_syrkx_herkx_small_kernelIl19rocblas_complex_numIfELi16ELb1ELb0ELc67ELc76EKPKS1_KPS1_EviT_T0_PT6_S7_lSA_S7_lS8_PT7_S7_li, .Lfunc_end1591-_ZL32rocblas_syrkx_herkx_small_kernelIl19rocblas_complex_numIfELi16ELb1ELb0ELc67ELc76EKPKS1_KPS1_EviT_T0_PT6_S7_lSA_S7_lS8_PT7_S7_li
                                        ; -- End function
	.set _ZL32rocblas_syrkx_herkx_small_kernelIl19rocblas_complex_numIfELi16ELb1ELb0ELc67ELc76EKPKS1_KPS1_EviT_T0_PT6_S7_lSA_S7_lS8_PT7_S7_li.num_vgpr, 56
	.set _ZL32rocblas_syrkx_herkx_small_kernelIl19rocblas_complex_numIfELi16ELb1ELb0ELc67ELc76EKPKS1_KPS1_EviT_T0_PT6_S7_lSA_S7_lS8_PT7_S7_li.num_agpr, 0
	.set _ZL32rocblas_syrkx_herkx_small_kernelIl19rocblas_complex_numIfELi16ELb1ELb0ELc67ELc76EKPKS1_KPS1_EviT_T0_PT6_S7_lSA_S7_lS8_PT7_S7_li.numbered_sgpr, 24
	.set _ZL32rocblas_syrkx_herkx_small_kernelIl19rocblas_complex_numIfELi16ELb1ELb0ELc67ELc76EKPKS1_KPS1_EviT_T0_PT6_S7_lSA_S7_lS8_PT7_S7_li.num_named_barrier, 0
	.set _ZL32rocblas_syrkx_herkx_small_kernelIl19rocblas_complex_numIfELi16ELb1ELb0ELc67ELc76EKPKS1_KPS1_EviT_T0_PT6_S7_lSA_S7_lS8_PT7_S7_li.private_seg_size, 0
	.set _ZL32rocblas_syrkx_herkx_small_kernelIl19rocblas_complex_numIfELi16ELb1ELb0ELc67ELc76EKPKS1_KPS1_EviT_T0_PT6_S7_lSA_S7_lS8_PT7_S7_li.uses_vcc, 1
	.set _ZL32rocblas_syrkx_herkx_small_kernelIl19rocblas_complex_numIfELi16ELb1ELb0ELc67ELc76EKPKS1_KPS1_EviT_T0_PT6_S7_lSA_S7_lS8_PT7_S7_li.uses_flat_scratch, 0
	.set _ZL32rocblas_syrkx_herkx_small_kernelIl19rocblas_complex_numIfELi16ELb1ELb0ELc67ELc76EKPKS1_KPS1_EviT_T0_PT6_S7_lSA_S7_lS8_PT7_S7_li.has_dyn_sized_stack, 0
	.set _ZL32rocblas_syrkx_herkx_small_kernelIl19rocblas_complex_numIfELi16ELb1ELb0ELc67ELc76EKPKS1_KPS1_EviT_T0_PT6_S7_lSA_S7_lS8_PT7_S7_li.has_recursion, 0
	.set _ZL32rocblas_syrkx_herkx_small_kernelIl19rocblas_complex_numIfELi16ELb1ELb0ELc67ELc76EKPKS1_KPS1_EviT_T0_PT6_S7_lSA_S7_lS8_PT7_S7_li.has_indirect_call, 0
	.section	.AMDGPU.csdata,"",@progbits
; Kernel info:
; codeLenInByte = 1304
; TotalNumSgprs: 28
; NumVgprs: 56
; ScratchSize: 0
; MemoryBound: 1
; FloatMode: 240
; IeeeMode: 1
; LDSByteSize: 4096 bytes/workgroup (compile time only)
; SGPRBlocks: 3
; VGPRBlocks: 13
; NumSGPRsForWavesPerEU: 28
; NumVGPRsForWavesPerEU: 56
; Occupancy: 4
; WaveLimiterHint : 1
; COMPUTE_PGM_RSRC2:SCRATCH_EN: 0
; COMPUTE_PGM_RSRC2:USER_SGPR: 6
; COMPUTE_PGM_RSRC2:TRAP_HANDLER: 0
; COMPUTE_PGM_RSRC2:TGID_X_EN: 1
; COMPUTE_PGM_RSRC2:TGID_Y_EN: 1
; COMPUTE_PGM_RSRC2:TGID_Z_EN: 1
; COMPUTE_PGM_RSRC2:TIDIG_COMP_CNT: 1
	.section	.text._ZL32rocblas_syrkx_herkx_small_kernelIl19rocblas_complex_numIfELi16ELb1ELb0ELc78ELc76EKPKS1_KPS1_EviT_T0_PT6_S7_lSA_S7_lS8_PT7_S7_li,"axG",@progbits,_ZL32rocblas_syrkx_herkx_small_kernelIl19rocblas_complex_numIfELi16ELb1ELb0ELc78ELc76EKPKS1_KPS1_EviT_T0_PT6_S7_lSA_S7_lS8_PT7_S7_li,comdat
	.globl	_ZL32rocblas_syrkx_herkx_small_kernelIl19rocblas_complex_numIfELi16ELb1ELb0ELc78ELc76EKPKS1_KPS1_EviT_T0_PT6_S7_lSA_S7_lS8_PT7_S7_li ; -- Begin function _ZL32rocblas_syrkx_herkx_small_kernelIl19rocblas_complex_numIfELi16ELb1ELb0ELc78ELc76EKPKS1_KPS1_EviT_T0_PT6_S7_lSA_S7_lS8_PT7_S7_li
	.p2align	8
	.type	_ZL32rocblas_syrkx_herkx_small_kernelIl19rocblas_complex_numIfELi16ELb1ELb0ELc78ELc76EKPKS1_KPS1_EviT_T0_PT6_S7_lSA_S7_lS8_PT7_S7_li,@function
_ZL32rocblas_syrkx_herkx_small_kernelIl19rocblas_complex_numIfELi16ELb1ELb0ELc78ELc76EKPKS1_KPS1_EviT_T0_PT6_S7_lSA_S7_lS8_PT7_S7_li: ; @_ZL32rocblas_syrkx_herkx_small_kernelIl19rocblas_complex_numIfELi16ELb1ELb0ELc78ELc76EKPKS1_KPS1_EviT_T0_PT6_S7_lSA_S7_lS8_PT7_S7_li
; %bb.0:
	s_load_dwordx4 s[20:23], s[4:5], 0x50
	s_load_dword s24, s[4:5], 0x0
	s_load_dwordx8 s[12:19], s[4:5], 0x8
	s_mov_b32 s9, 0
	s_lshl_b64 s[0:1], s[8:9], 3
	s_waitcnt lgkmcnt(0)
	s_add_u32 s2, s20, s0
	s_addc_u32 s3, s21, s1
	s_load_dwordx2 s[8:9], s[2:3], 0x0
	v_cmp_lt_i64_e64 s[2:3], s[12:13], 1
	v_lshl_add_u32 v2, s6, 4, v0
	v_lshl_add_u32 v4, s7, 4, v1
	s_and_b64 vcc, exec, s[2:3]
	v_cmp_gt_i32_e64 s[2:3], s24, v2
	v_ashrrev_i32_e32 v3, 31, v2
	v_ashrrev_i32_e32 v5, 31, v4
	s_cbranch_vccnz .LBB1592_9
; %bb.1:
	s_load_dwordx4 s[4:7], s[4:5], 0x30
	v_lshlrev_b32_e32 v10, 7, v1
	v_lshlrev_b32_e32 v16, 3, v0
	v_add_u32_e32 v17, v16, v10
	v_add_u32_e32 v18, 0x800, v10
	s_waitcnt lgkmcnt(0)
	s_add_u32 s4, s4, s0
	v_mad_u64_u32 v[7:8], s[10:11], s6, v0, 0
	s_addc_u32 s5, s5, s1
	s_add_u32 s0, s16, s0
	s_addc_u32 s1, s17, s1
	s_load_dwordx2 s[10:11], s[0:1], 0x0
	v_mad_u64_u32 v[8:9], s[0:1], s7, v0, v[8:9]
	v_mad_u64_u32 v[11:12], s[16:17], s18, v1, 0
	v_lshlrev_b64 v[7:8], 3, v[7:8]
	v_lshlrev_b64 v[9:10], 3, v[4:5]
	s_load_dwordx2 s[4:5], s[4:5], 0x0
	v_add_co_u32_e32 v9, vcc, v7, v9
	v_mov_b32_e32 v7, v12
	v_addc_co_u32_e32 v10, vcc, v8, v10, vcc
	v_mad_u64_u32 v[7:8], s[16:17], s19, v1, v[7:8]
	s_waitcnt lgkmcnt(0)
	v_mov_b32_e32 v13, s5
	v_add_co_u32_e32 v8, vcc, s4, v9
	v_mov_b32_e32 v12, v7
	v_addc_co_u32_e32 v9, vcc, v13, v10, vcc
	v_lshlrev_b64 v[10:11], 3, v[11:12]
	v_lshlrev_b64 v[12:13], 3, v[2:3]
	s_lshl_b64 s[4:5], s[6:7], 7
	v_add_co_u32_e32 v7, vcc, v10, v12
	v_addc_co_u32_e32 v11, vcc, v11, v13, vcc
	v_mov_b32_e32 v12, s11
	v_add_co_u32_e32 v10, vcc, s10, v7
	v_addc_co_u32_e32 v11, vcc, v12, v11, vcc
	s_lshl_b64 s[6:7], s[18:19], 7
	v_mov_b32_e32 v12, s12
	v_mov_b32_e32 v6, 0
	v_cmp_gt_i32_e64 s[0:1], s24, v4
	v_add_u32_e32 v19, v18, v16
	s_mov_b64 s[10:11], 0
	s_xor_b64 s[16:17], s[2:3], -1
	v_mov_b32_e32 v20, s5
	v_mov_b32_e32 v21, s7
	;; [unrolled: 1-line block ×5, first 2 shown]
	s_branch .LBB1592_3
.LBB1592_2:                             ;   in Loop: Header=BB1592_3 Depth=1
	s_or_b64 exec, exec, s[2:3]
	s_waitcnt vmcnt(0) lgkmcnt(0)
	ds_write_b64 v19, v[14:15]
	s_waitcnt lgkmcnt(0)
	s_barrier
	ds_read2_b64 v[24:27], v16 offset1:16
	ds_read_b128 v[28:31], v18
	ds_read_b128 v[32:35], v18 offset:16
	ds_read2_b64 v[36:39], v16 offset0:32 offset1:48
	s_add_u32 s10, s10, 16
	v_add_co_u32_e32 v8, vcc, s4, v8
	s_waitcnt lgkmcnt(2)
	v_mul_f32_e32 v7, v29, v25
	v_mul_f32_e32 v14, v28, v25
	v_fma_f32 v7, v28, v24, -v7
	v_fmac_f32_e32 v14, v29, v24
	v_mul_f32_e32 v15, v31, v27
	v_mul_f32_e32 v40, v30, v27
	s_waitcnt lgkmcnt(0)
	v_mul_f32_e32 v24, v33, v37
	v_fma_f32 v15, v30, v26, -v15
	v_fmac_f32_e32 v40, v31, v26
	v_fma_f32 v41, v32, v36, -v24
	ds_read2_b64 v[24:27], v16 offset0:64 offset1:80
	ds_read_b128 v[28:31], v18 offset:32
	v_mul_f32_e32 v42, v32, v37
	v_fmac_f32_e32 v42, v33, v36
	v_mul_f32_e32 v32, v35, v39
	v_mul_f32_e32 v44, v34, v39
	s_waitcnt lgkmcnt(0)
	v_mul_f32_e32 v36, v29, v25
	v_fma_f32 v43, v34, v38, -v32
	v_fmac_f32_e32 v44, v35, v38
	ds_read_b128 v[32:35], v18 offset:48
	v_fma_f32 v45, v28, v24, -v36
	ds_read2_b64 v[36:39], v16 offset0:96 offset1:112
	v_mul_f32_e32 v46, v28, v25
	v_fmac_f32_e32 v46, v29, v24
	v_mul_f32_e32 v24, v31, v27
	v_fma_f32 v47, v30, v26, -v24
	v_mul_f32_e32 v48, v30, v27
	s_waitcnt lgkmcnt(0)
	v_mul_f32_e32 v24, v33, v37
	v_fmac_f32_e32 v48, v31, v26
	v_fma_f32 v49, v32, v36, -v24
	ds_read2_b64 v[24:27], v16 offset0:128 offset1:144
	ds_read_b128 v[28:31], v18 offset:64
	v_mul_f32_e32 v50, v32, v37
	v_fmac_f32_e32 v50, v33, v36
	v_mul_f32_e32 v32, v35, v39
	v_mul_f32_e32 v52, v34, v39
	s_waitcnt lgkmcnt(0)
	v_mul_f32_e32 v36, v29, v25
	v_fma_f32 v51, v34, v38, -v32
	v_fmac_f32_e32 v52, v35, v38
	ds_read_b128 v[32:35], v18 offset:80
	v_fma_f32 v53, v28, v24, -v36
	ds_read2_b64 v[36:39], v16 offset0:160 offset1:176
	v_mul_f32_e32 v54, v28, v25
	v_fmac_f32_e32 v54, v29, v24
	v_mul_f32_e32 v24, v31, v27
	v_fma_f32 v55, v30, v26, -v24
	v_mul_f32_e32 v56, v30, v27
	s_waitcnt lgkmcnt(0)
	v_mul_f32_e32 v24, v33, v37
	v_add_f32_e32 v7, v23, v7
	v_add_f32_e32 v14, v22, v14
	v_fmac_f32_e32 v56, v31, v26
	v_fma_f32 v57, v32, v36, -v24
	ds_read2_b64 v[24:27], v16 offset0:192 offset1:208
	ds_read_b128 v[28:31], v18 offset:96
	v_add_f32_e32 v7, v7, v15
	v_add_f32_e32 v14, v14, v40
	;; [unrolled: 1-line block ×8, first 2 shown]
	v_mul_f32_e32 v58, v32, v37
	v_add_f32_e32 v7, v7, v47
	v_add_f32_e32 v14, v14, v48
	v_fmac_f32_e32 v58, v33, v36
	v_mul_f32_e32 v32, v35, v39
	v_mul_f32_e32 v60, v34, v39
	s_waitcnt lgkmcnt(0)
	v_mul_f32_e32 v36, v29, v25
	v_add_f32_e32 v7, v7, v49
	v_add_f32_e32 v14, v14, v50
	v_fma_f32 v59, v34, v38, -v32
	v_fmac_f32_e32 v60, v35, v38
	ds_read_b128 v[32:35], v18 offset:112
	v_fma_f32 v61, v28, v24, -v36
	ds_read2_b64 v[36:39], v16 offset0:224 offset1:240
	v_add_f32_e32 v7, v7, v51
	v_add_f32_e32 v14, v14, v52
	;; [unrolled: 1-line block ×6, first 2 shown]
	v_mul_f32_e32 v25, v28, v25
	v_add_f32_e32 v7, v7, v57
	v_add_f32_e32 v14, v14, v58
	v_fmac_f32_e32 v25, v29, v24
	v_mul_f32_e32 v24, v31, v27
	v_mul_f32_e32 v27, v30, v27
	v_add_f32_e32 v7, v7, v59
	v_add_f32_e32 v14, v14, v60
	v_fma_f32 v24, v30, v26, -v24
	v_fmac_f32_e32 v27, v31, v26
	s_waitcnt lgkmcnt(0)
	v_mul_f32_e32 v26, v33, v37
	v_mul_f32_e32 v28, v32, v37
	v_add_f32_e32 v7, v7, v61
	v_add_f32_e32 v14, v14, v25
	s_addc_u32 s11, s11, 0
	v_addc_co_u32_e32 v9, vcc, v9, v20, vcc
	v_fma_f32 v26, v32, v36, -v26
	v_fmac_f32_e32 v28, v33, v36
	v_mul_f32_e32 v29, v35, v39
	v_mul_f32_e32 v30, v34, v39
	v_add_f32_e32 v7, v7, v24
	v_add_f32_e32 v14, v14, v27
	v_cmp_ge_i64_e32 vcc, s[10:11], v[12:13]
	v_fma_f32 v29, v34, v38, -v29
	v_fmac_f32_e32 v30, v35, v38
	v_add_f32_e32 v7, v7, v26
	v_add_f32_e32 v14, v14, v28
	v_add_co_u32_e64 v10, s[2:3], s6, v10
	v_add_f32_e32 v23, v7, v29
	v_add_f32_e32 v22, v14, v30
	v_addc_co_u32_e64 v11, s[2:3], v11, v21, s[2:3]
	s_barrier
	s_cbranch_vccnz .LBB1592_10
.LBB1592_3:                             ; =>This Inner Loop Header: Depth=1
	v_mov_b32_e32 v7, s11
	v_add_co_u32_e32 v14, vcc, s10, v1
	v_addc_co_u32_e32 v15, vcc, 0, v7, vcc
	v_cmp_le_i64_e32 vcc, s[12:13], v[14:15]
	s_or_b64 s[2:3], s[16:17], vcc
	s_and_saveexec_b64 s[18:19], s[2:3]
	s_xor_b64 s[2:3], exec, s[18:19]
; %bb.4:                                ;   in Loop: Header=BB1592_3 Depth=1
	v_mov_b32_e32 v7, v6
	ds_write_b64 v17, v[6:7]
; %bb.5:                                ;   in Loop: Header=BB1592_3 Depth=1
	s_andn2_saveexec_b64 s[2:3], s[2:3]
	s_cbranch_execz .LBB1592_7
; %bb.6:                                ;   in Loop: Header=BB1592_3 Depth=1
	flat_load_dwordx2 v[14:15], v[10:11]
	s_waitcnt vmcnt(0) lgkmcnt(0)
	ds_write_b64 v17, v[14:15]
.LBB1592_7:                             ;   in Loop: Header=BB1592_3 Depth=1
	s_or_b64 exec, exec, s[2:3]
	v_mov_b32_e32 v7, s11
	v_add_co_u32_e32 v14, vcc, s10, v0
	v_addc_co_u32_e32 v15, vcc, 0, v7, vcc
	v_cmp_gt_i64_e32 vcc, s[12:13], v[14:15]
	v_mov_b32_e32 v14, 0
	s_and_b64 s[18:19], s[0:1], vcc
	v_mov_b32_e32 v15, 0
	s_and_saveexec_b64 s[2:3], s[18:19]
	s_cbranch_execz .LBB1592_2
; %bb.8:                                ;   in Loop: Header=BB1592_3 Depth=1
	flat_load_dwordx2 v[14:15], v[8:9]
	s_branch .LBB1592_2
.LBB1592_9:
	v_mov_b32_e32 v22, 0
	v_mov_b32_e32 v23, 0
.LBB1592_10:
	v_cmp_le_i32_e32 vcc, v4, v2
	v_cmp_gt_i32_e64 s[0:1], s24, v2
	s_and_b64 s[0:1], vcc, s[0:1]
	s_and_saveexec_b64 s[2:3], s[0:1]
	s_cbranch_execz .LBB1592_12
; %bb.11:
	v_mul_lo_u32 v7, s23, v4
	v_mul_lo_u32 v8, s22, v5
	v_mad_u64_u32 v[0:1], s[0:1], s22, v4, 0
	v_mul_f32_e32 v6, s15, v22
	v_fma_f32 v4, v23, s14, -v6
	v_add3_u32 v1, v1, v8, v7
	v_lshlrev_b64 v[0:1], 3, v[0:1]
	s_waitcnt lgkmcnt(0)
	v_mov_b32_e32 v6, s9
	v_add_co_u32_e32 v7, vcc, s8, v0
	v_addc_co_u32_e32 v6, vcc, v6, v1, vcc
	v_lshlrev_b64 v[0:1], 3, v[2:3]
	v_mul_f32_e32 v5, s14, v22
	v_add_co_u32_e32 v0, vcc, v7, v0
	v_fmac_f32_e32 v5, s15, v23
	v_addc_co_u32_e32 v1, vcc, v6, v1, vcc
	flat_store_dwordx2 v[0:1], v[4:5]
.LBB1592_12:
	s_endpgm
	.section	.rodata,"a",@progbits
	.p2align	6, 0x0
	.amdhsa_kernel _ZL32rocblas_syrkx_herkx_small_kernelIl19rocblas_complex_numIfELi16ELb1ELb0ELc78ELc76EKPKS1_KPS1_EviT_T0_PT6_S7_lSA_S7_lS8_PT7_S7_li
		.amdhsa_group_segment_fixed_size 4096
		.amdhsa_private_segment_fixed_size 0
		.amdhsa_kernarg_size 108
		.amdhsa_user_sgpr_count 6
		.amdhsa_user_sgpr_private_segment_buffer 1
		.amdhsa_user_sgpr_dispatch_ptr 0
		.amdhsa_user_sgpr_queue_ptr 0
		.amdhsa_user_sgpr_kernarg_segment_ptr 1
		.amdhsa_user_sgpr_dispatch_id 0
		.amdhsa_user_sgpr_flat_scratch_init 0
		.amdhsa_user_sgpr_private_segment_size 0
		.amdhsa_uses_dynamic_stack 0
		.amdhsa_system_sgpr_private_segment_wavefront_offset 0
		.amdhsa_system_sgpr_workgroup_id_x 1
		.amdhsa_system_sgpr_workgroup_id_y 1
		.amdhsa_system_sgpr_workgroup_id_z 1
		.amdhsa_system_sgpr_workgroup_info 0
		.amdhsa_system_vgpr_workitem_id 1
		.amdhsa_next_free_vgpr 62
		.amdhsa_next_free_sgpr 25
		.amdhsa_reserve_vcc 1
		.amdhsa_reserve_flat_scratch 0
		.amdhsa_float_round_mode_32 0
		.amdhsa_float_round_mode_16_64 0
		.amdhsa_float_denorm_mode_32 3
		.amdhsa_float_denorm_mode_16_64 3
		.amdhsa_dx10_clamp 1
		.amdhsa_ieee_mode 1
		.amdhsa_fp16_overflow 0
		.amdhsa_exception_fp_ieee_invalid_op 0
		.amdhsa_exception_fp_denorm_src 0
		.amdhsa_exception_fp_ieee_div_zero 0
		.amdhsa_exception_fp_ieee_overflow 0
		.amdhsa_exception_fp_ieee_underflow 0
		.amdhsa_exception_fp_ieee_inexact 0
		.amdhsa_exception_int_div_zero 0
	.end_amdhsa_kernel
	.section	.text._ZL32rocblas_syrkx_herkx_small_kernelIl19rocblas_complex_numIfELi16ELb1ELb0ELc78ELc76EKPKS1_KPS1_EviT_T0_PT6_S7_lSA_S7_lS8_PT7_S7_li,"axG",@progbits,_ZL32rocblas_syrkx_herkx_small_kernelIl19rocblas_complex_numIfELi16ELb1ELb0ELc78ELc76EKPKS1_KPS1_EviT_T0_PT6_S7_lSA_S7_lS8_PT7_S7_li,comdat
.Lfunc_end1592:
	.size	_ZL32rocblas_syrkx_herkx_small_kernelIl19rocblas_complex_numIfELi16ELb1ELb0ELc78ELc76EKPKS1_KPS1_EviT_T0_PT6_S7_lSA_S7_lS8_PT7_S7_li, .Lfunc_end1592-_ZL32rocblas_syrkx_herkx_small_kernelIl19rocblas_complex_numIfELi16ELb1ELb0ELc78ELc76EKPKS1_KPS1_EviT_T0_PT6_S7_lSA_S7_lS8_PT7_S7_li
                                        ; -- End function
	.set _ZL32rocblas_syrkx_herkx_small_kernelIl19rocblas_complex_numIfELi16ELb1ELb0ELc78ELc76EKPKS1_KPS1_EviT_T0_PT6_S7_lSA_S7_lS8_PT7_S7_li.num_vgpr, 62
	.set _ZL32rocblas_syrkx_herkx_small_kernelIl19rocblas_complex_numIfELi16ELb1ELb0ELc78ELc76EKPKS1_KPS1_EviT_T0_PT6_S7_lSA_S7_lS8_PT7_S7_li.num_agpr, 0
	.set _ZL32rocblas_syrkx_herkx_small_kernelIl19rocblas_complex_numIfELi16ELb1ELb0ELc78ELc76EKPKS1_KPS1_EviT_T0_PT6_S7_lSA_S7_lS8_PT7_S7_li.numbered_sgpr, 25
	.set _ZL32rocblas_syrkx_herkx_small_kernelIl19rocblas_complex_numIfELi16ELb1ELb0ELc78ELc76EKPKS1_KPS1_EviT_T0_PT6_S7_lSA_S7_lS8_PT7_S7_li.num_named_barrier, 0
	.set _ZL32rocblas_syrkx_herkx_small_kernelIl19rocblas_complex_numIfELi16ELb1ELb0ELc78ELc76EKPKS1_KPS1_EviT_T0_PT6_S7_lSA_S7_lS8_PT7_S7_li.private_seg_size, 0
	.set _ZL32rocblas_syrkx_herkx_small_kernelIl19rocblas_complex_numIfELi16ELb1ELb0ELc78ELc76EKPKS1_KPS1_EviT_T0_PT6_S7_lSA_S7_lS8_PT7_S7_li.uses_vcc, 1
	.set _ZL32rocblas_syrkx_herkx_small_kernelIl19rocblas_complex_numIfELi16ELb1ELb0ELc78ELc76EKPKS1_KPS1_EviT_T0_PT6_S7_lSA_S7_lS8_PT7_S7_li.uses_flat_scratch, 0
	.set _ZL32rocblas_syrkx_herkx_small_kernelIl19rocblas_complex_numIfELi16ELb1ELb0ELc78ELc76EKPKS1_KPS1_EviT_T0_PT6_S7_lSA_S7_lS8_PT7_S7_li.has_dyn_sized_stack, 0
	.set _ZL32rocblas_syrkx_herkx_small_kernelIl19rocblas_complex_numIfELi16ELb1ELb0ELc78ELc76EKPKS1_KPS1_EviT_T0_PT6_S7_lSA_S7_lS8_PT7_S7_li.has_recursion, 0
	.set _ZL32rocblas_syrkx_herkx_small_kernelIl19rocblas_complex_numIfELi16ELb1ELb0ELc78ELc76EKPKS1_KPS1_EviT_T0_PT6_S7_lSA_S7_lS8_PT7_S7_li.has_indirect_call, 0
	.section	.AMDGPU.csdata,"",@progbits
; Kernel info:
; codeLenInByte = 1272
; TotalNumSgprs: 29
; NumVgprs: 62
; ScratchSize: 0
; MemoryBound: 1
; FloatMode: 240
; IeeeMode: 1
; LDSByteSize: 4096 bytes/workgroup (compile time only)
; SGPRBlocks: 3
; VGPRBlocks: 15
; NumSGPRsForWavesPerEU: 29
; NumVGPRsForWavesPerEU: 62
; Occupancy: 4
; WaveLimiterHint : 1
; COMPUTE_PGM_RSRC2:SCRATCH_EN: 0
; COMPUTE_PGM_RSRC2:USER_SGPR: 6
; COMPUTE_PGM_RSRC2:TRAP_HANDLER: 0
; COMPUTE_PGM_RSRC2:TGID_X_EN: 1
; COMPUTE_PGM_RSRC2:TGID_Y_EN: 1
; COMPUTE_PGM_RSRC2:TGID_Z_EN: 1
; COMPUTE_PGM_RSRC2:TIDIG_COMP_CNT: 1
	.section	.text._ZL32rocblas_syrkx_herkx_small_kernelIl19rocblas_complex_numIfELi16ELb1ELb0ELc84ELc85EKPKS1_KPS1_EviT_T0_PT6_S7_lSA_S7_lS8_PT7_S7_li,"axG",@progbits,_ZL32rocblas_syrkx_herkx_small_kernelIl19rocblas_complex_numIfELi16ELb1ELb0ELc84ELc85EKPKS1_KPS1_EviT_T0_PT6_S7_lSA_S7_lS8_PT7_S7_li,comdat
	.globl	_ZL32rocblas_syrkx_herkx_small_kernelIl19rocblas_complex_numIfELi16ELb1ELb0ELc84ELc85EKPKS1_KPS1_EviT_T0_PT6_S7_lSA_S7_lS8_PT7_S7_li ; -- Begin function _ZL32rocblas_syrkx_herkx_small_kernelIl19rocblas_complex_numIfELi16ELb1ELb0ELc84ELc85EKPKS1_KPS1_EviT_T0_PT6_S7_lSA_S7_lS8_PT7_S7_li
	.p2align	8
	.type	_ZL32rocblas_syrkx_herkx_small_kernelIl19rocblas_complex_numIfELi16ELb1ELb0ELc84ELc85EKPKS1_KPS1_EviT_T0_PT6_S7_lSA_S7_lS8_PT7_S7_li,@function
_ZL32rocblas_syrkx_herkx_small_kernelIl19rocblas_complex_numIfELi16ELb1ELb0ELc84ELc85EKPKS1_KPS1_EviT_T0_PT6_S7_lSA_S7_lS8_PT7_S7_li: ; @_ZL32rocblas_syrkx_herkx_small_kernelIl19rocblas_complex_numIfELi16ELb1ELb0ELc84ELc85EKPKS1_KPS1_EviT_T0_PT6_S7_lSA_S7_lS8_PT7_S7_li
; %bb.0:
	s_load_dwordx4 s[20:23], s[4:5], 0x50
	s_load_dword s10, s[4:5], 0x0
	s_load_dwordx8 s[12:19], s[4:5], 0x8
	s_mov_b32 s9, 0
	s_lshl_b64 s[2:3], s[8:9], 3
	s_waitcnt lgkmcnt(0)
	s_add_u32 s0, s20, s2
	s_addc_u32 s1, s21, s3
	s_load_dwordx2 s[8:9], s[0:1], 0x0
	v_cmp_lt_i64_e64 s[0:1], s[12:13], 1
	v_lshl_add_u32 v2, s6, 4, v0
	v_lshl_add_u32 v12, s7, 4, v1
	s_and_b64 vcc, exec, s[0:1]
	v_ashrrev_i32_e32 v3, 31, v2
	v_cmp_gt_i32_e64 s[0:1], s10, v12
	v_ashrrev_i32_e32 v13, 31, v12
	s_cbranch_vccnz .LBB1593_11
; %bb.1:
	s_load_dwordx4 s[4:7], s[4:5], 0x30
	v_lshlrev_b32_e32 v14, 3, v0
	v_lshlrev_b32_e32 v7, 7, v1
	v_add_u32_e32 v15, v14, v7
	v_add_u32_e32 v16, 0x800, v7
	s_waitcnt lgkmcnt(0)
	s_add_u32 s4, s4, s2
	s_addc_u32 s5, s5, s3
	s_add_u32 s2, s16, s2
	s_addc_u32 s3, s17, s3
	s_load_dwordx2 s[16:17], s[2:3], 0x0
	v_mul_lo_u32 v8, s7, v12
	v_mul_lo_u32 v9, s6, v13
	v_mad_u64_u32 v[5:6], s[2:3], s6, v12, 0
	s_load_dwordx2 s[4:5], s[4:5], 0x0
	v_mul_lo_u32 v11, s19, v2
	v_add3_u32 v6, v6, v9, v8
	v_lshlrev_b64 v[5:6], 3, v[5:6]
	v_mul_lo_u32 v18, s18, v3
	v_add_co_u32_e64 v5, s[2:3], v5, v14
	v_addc_co_u32_e64 v7, s[2:3], 0, v6, s[2:3]
	v_mad_u64_u32 v[8:9], s[2:3], s18, v2, 0
	s_waitcnt lgkmcnt(0)
	v_mov_b32_e32 v10, s5
	v_add_co_u32_e64 v6, s[2:3], s4, v5
	v_add3_u32 v9, v9, v18, v11
	v_lshlrev_b64 v[8:9], 3, v[8:9]
	v_addc_co_u32_e64 v7, s[2:3], v10, v7, s[2:3]
	v_lshlrev_b32_e32 v5, 3, v1
	v_add_co_u32_e64 v5, s[2:3], v8, v5
	v_addc_co_u32_e64 v9, s[2:3], 0, v9, s[2:3]
	v_mov_b32_e32 v10, s17
	v_add_co_u32_e64 v8, s[2:3], s16, v5
	v_cmp_gt_i32_e32 vcc, s10, v2
	v_addc_co_u32_e64 v9, s[2:3], v10, v9, s[2:3]
	v_mov_b32_e32 v10, s12
	v_mov_b32_e32 v4, 0
	v_add_u32_e32 v17, v16, v14
	s_mov_b64 s[2:3], 0
	s_xor_b64 s[4:5], vcc, -1
	s_xor_b64 s[6:7], s[0:1], -1
	v_mov_b32_e32 v11, s13
	v_mov_b32_e32 v18, 0
	;; [unrolled: 1-line block ×3, first 2 shown]
	s_branch .LBB1593_3
.LBB1593_2:                             ;   in Loop: Header=BB1593_3 Depth=1
	s_or_b64 exec, exec, s[0:1]
	s_waitcnt lgkmcnt(0)
	s_barrier
	ds_read2_b64 v[20:23], v14 offset1:16
	ds_read_b128 v[24:27], v16
	ds_read_b128 v[28:31], v16 offset:16
	ds_read2_b64 v[32:35], v14 offset0:32 offset1:48
	s_add_u32 s2, s2, 16
	v_add_co_u32_e32 v6, vcc, 0x80, v6
	s_waitcnt lgkmcnt(2)
	v_mul_f32_e32 v5, v25, v21
	v_mul_f32_e32 v36, v24, v21
	v_fma_f32 v5, v24, v20, -v5
	v_fmac_f32_e32 v36, v25, v20
	v_mul_f32_e32 v20, v27, v23
	v_fma_f32 v37, v26, v22, -v20
	v_mul_f32_e32 v38, v26, v23
	s_waitcnt lgkmcnt(0)
	v_mul_f32_e32 v20, v29, v33
	v_fmac_f32_e32 v38, v27, v22
	v_fma_f32 v39, v28, v32, -v20
	ds_read2_b64 v[20:23], v14 offset0:64 offset1:80
	ds_read_b128 v[24:27], v16 offset:32
	v_mul_f32_e32 v40, v28, v33
	v_fmac_f32_e32 v40, v29, v32
	v_mul_f32_e32 v28, v31, v35
	v_mul_f32_e32 v42, v30, v35
	s_waitcnt lgkmcnt(0)
	v_mul_f32_e32 v32, v25, v21
	v_fma_f32 v41, v30, v34, -v28
	v_fmac_f32_e32 v42, v31, v34
	ds_read_b128 v[28:31], v16 offset:48
	v_fma_f32 v43, v24, v20, -v32
	ds_read2_b64 v[32:35], v14 offset0:96 offset1:112
	v_mul_f32_e32 v44, v24, v21
	v_fmac_f32_e32 v44, v25, v20
	v_mul_f32_e32 v20, v27, v23
	v_fma_f32 v45, v26, v22, -v20
	v_mul_f32_e32 v46, v26, v23
	s_waitcnt lgkmcnt(0)
	v_mul_f32_e32 v20, v29, v33
	v_fmac_f32_e32 v46, v27, v22
	v_fma_f32 v47, v28, v32, -v20
	ds_read2_b64 v[20:23], v14 offset0:128 offset1:144
	ds_read_b128 v[24:27], v16 offset:64
	v_mul_f32_e32 v48, v28, v33
	v_fmac_f32_e32 v48, v29, v32
	v_mul_f32_e32 v28, v31, v35
	v_mul_f32_e32 v50, v30, v35
	s_waitcnt lgkmcnt(0)
	v_mul_f32_e32 v32, v25, v21
	v_fma_f32 v49, v30, v34, -v28
	v_fmac_f32_e32 v50, v31, v34
	ds_read_b128 v[28:31], v16 offset:80
	v_fma_f32 v51, v24, v20, -v32
	ds_read2_b64 v[32:35], v14 offset0:160 offset1:176
	v_mul_f32_e32 v52, v24, v21
	v_add_f32_e32 v18, v18, v36
	v_fmac_f32_e32 v52, v25, v20
	v_mul_f32_e32 v20, v27, v23
	v_add_f32_e32 v18, v18, v38
	v_fma_f32 v53, v26, v22, -v20
	v_mul_f32_e32 v54, v26, v23
	s_waitcnt lgkmcnt(0)
	v_mul_f32_e32 v20, v29, v33
	v_add_f32_e32 v18, v18, v40
	v_fmac_f32_e32 v54, v27, v22
	v_fma_f32 v55, v28, v32, -v20
	ds_read2_b64 v[20:23], v14 offset0:192 offset1:208
	ds_read_b128 v[24:27], v16 offset:96
	v_add_f32_e32 v18, v18, v42
	v_add_f32_e32 v18, v18, v44
	;; [unrolled: 1-line block ×6, first 2 shown]
	v_mul_f32_e32 v33, v28, v33
	v_mul_f32_e32 v28, v31, v35
	;; [unrolled: 1-line block ×3, first 2 shown]
	v_add_f32_e32 v5, v5, v39
	v_add_f32_e32 v18, v18, v50
	v_fmac_f32_e32 v33, v29, v32
	v_fma_f32 v32, v30, v34, -v28
	v_fmac_f32_e32 v35, v31, v34
	s_waitcnt lgkmcnt(0)
	v_mul_f32_e32 v34, v25, v21
	v_add_f32_e32 v5, v5, v41
	v_add_f32_e32 v18, v18, v52
	v_fma_f32 v34, v24, v20, -v34
	v_mul_f32_e32 v24, v24, v21
	v_add_f32_e32 v5, v5, v43
	v_add_f32_e32 v18, v18, v54
	v_fmac_f32_e32 v24, v25, v20
	v_mul_f32_e32 v20, v27, v23
	v_mul_f32_e32 v23, v26, v23
	v_add_f32_e32 v5, v5, v45
	v_add_f32_e32 v18, v18, v33
	ds_read_b128 v[28:31], v16 offset:112
	v_fma_f32 v25, v26, v22, -v20
	v_fmac_f32_e32 v23, v27, v22
	v_add_f32_e32 v5, v5, v47
	v_add_f32_e32 v22, v18, v35
	ds_read2_b64 v[18:21], v14 offset0:224 offset1:240
	v_add_f32_e32 v5, v5, v49
	v_add_f32_e32 v5, v5, v51
	;; [unrolled: 1-line block ×7, first 2 shown]
	s_waitcnt lgkmcnt(0)
	v_mul_f32_e32 v23, v29, v19
	v_mul_f32_e32 v19, v28, v19
	v_add_f32_e32 v5, v5, v34
	v_fmac_f32_e32 v19, v29, v18
	s_addc_u32 s3, s3, 0
	v_addc_co_u32_e32 v7, vcc, 0, v7, vcc
	v_add_f32_e32 v5, v5, v25
	v_fma_f32 v23, v28, v18, -v23
	v_add_f32_e32 v18, v22, v19
	v_mul_f32_e32 v19, v31, v21
	v_mul_f32_e32 v21, v30, v21
	v_add_co_u32_e32 v8, vcc, 0x80, v8
	v_cmp_ge_i64_e64 s[0:1], s[2:3], v[10:11]
	v_add_f32_e32 v5, v5, v23
	v_fma_f32 v19, v30, v20, -v19
	v_fmac_f32_e32 v21, v31, v20
	v_addc_co_u32_e32 v9, vcc, 0, v9, vcc
	v_add_f32_e32 v19, v5, v19
	v_add_f32_e32 v18, v18, v21
	s_and_b64 vcc, exec, s[0:1]
	s_barrier
	s_cbranch_vccnz .LBB1593_12
.LBB1593_3:                             ; =>This Inner Loop Header: Depth=1
	v_mov_b32_e32 v5, s3
	v_add_co_u32_e32 v20, vcc, s2, v1
	v_addc_co_u32_e32 v21, vcc, 0, v5, vcc
	v_cmp_le_i64_e32 vcc, s[12:13], v[20:21]
	s_or_b64 s[0:1], s[4:5], vcc
	s_and_saveexec_b64 s[16:17], s[0:1]
	s_xor_b64 s[0:1], exec, s[16:17]
; %bb.4:                                ;   in Loop: Header=BB1593_3 Depth=1
	v_mov_b32_e32 v5, v4
	ds_write_b64 v15, v[4:5]
; %bb.5:                                ;   in Loop: Header=BB1593_3 Depth=1
	s_andn2_saveexec_b64 s[0:1], s[0:1]
	s_cbranch_execz .LBB1593_7
; %bb.6:                                ;   in Loop: Header=BB1593_3 Depth=1
	flat_load_dwordx2 v[20:21], v[8:9]
	s_waitcnt vmcnt(0) lgkmcnt(0)
	ds_write_b64 v15, v[20:21]
.LBB1593_7:                             ;   in Loop: Header=BB1593_3 Depth=1
	s_or_b64 exec, exec, s[0:1]
	v_mov_b32_e32 v5, s3
	v_add_co_u32_e32 v20, vcc, s2, v0
	v_addc_co_u32_e32 v21, vcc, 0, v5, vcc
	v_cmp_le_i64_e32 vcc, s[12:13], v[20:21]
	s_or_b64 s[0:1], s[6:7], vcc
	s_and_saveexec_b64 s[16:17], s[0:1]
	s_xor_b64 s[0:1], exec, s[16:17]
; %bb.8:                                ;   in Loop: Header=BB1593_3 Depth=1
	v_mov_b32_e32 v5, v4
	ds_write_b64 v17, v[4:5]
; %bb.9:                                ;   in Loop: Header=BB1593_3 Depth=1
	s_andn2_saveexec_b64 s[0:1], s[0:1]
	s_cbranch_execz .LBB1593_2
; %bb.10:                               ;   in Loop: Header=BB1593_3 Depth=1
	flat_load_dwordx2 v[20:21], v[6:7]
	s_waitcnt vmcnt(0) lgkmcnt(0)
	ds_write_b64 v17, v[20:21]
	s_branch .LBB1593_2
.LBB1593_11:
	v_mov_b32_e32 v18, 0
	v_mov_b32_e32 v19, 0
.LBB1593_12:
	v_cmp_le_i32_e32 vcc, v2, v12
	v_cmp_gt_i32_e64 s[0:1], s10, v12
	s_and_b64 s[0:1], vcc, s[0:1]
	s_and_saveexec_b64 s[2:3], s[0:1]
	s_cbranch_execz .LBB1593_14
; %bb.13:
	v_mul_lo_u32 v6, s23, v12
	v_mul_lo_u32 v7, s22, v13
	v_mad_u64_u32 v[0:1], s[0:1], s22, v12, 0
	v_mul_f32_e32 v4, s15, v18
	v_mul_f32_e32 v5, s14, v18
	v_add3_u32 v1, v1, v7, v6
	v_lshlrev_b64 v[0:1], 3, v[0:1]
	s_waitcnt lgkmcnt(0)
	v_mov_b32_e32 v6, s9
	v_add_co_u32_e32 v7, vcc, s8, v0
	v_addc_co_u32_e32 v6, vcc, v6, v1, vcc
	v_lshlrev_b64 v[0:1], 3, v[2:3]
	v_fma_f32 v4, v19, s14, -v4
	v_add_co_u32_e32 v0, vcc, v7, v0
	v_fmac_f32_e32 v5, s15, v19
	v_addc_co_u32_e32 v1, vcc, v6, v1, vcc
	flat_store_dwordx2 v[0:1], v[4:5]
.LBB1593_14:
	s_endpgm
	.section	.rodata,"a",@progbits
	.p2align	6, 0x0
	.amdhsa_kernel _ZL32rocblas_syrkx_herkx_small_kernelIl19rocblas_complex_numIfELi16ELb1ELb0ELc84ELc85EKPKS1_KPS1_EviT_T0_PT6_S7_lSA_S7_lS8_PT7_S7_li
		.amdhsa_group_segment_fixed_size 4096
		.amdhsa_private_segment_fixed_size 0
		.amdhsa_kernarg_size 108
		.amdhsa_user_sgpr_count 6
		.amdhsa_user_sgpr_private_segment_buffer 1
		.amdhsa_user_sgpr_dispatch_ptr 0
		.amdhsa_user_sgpr_queue_ptr 0
		.amdhsa_user_sgpr_kernarg_segment_ptr 1
		.amdhsa_user_sgpr_dispatch_id 0
		.amdhsa_user_sgpr_flat_scratch_init 0
		.amdhsa_user_sgpr_private_segment_size 0
		.amdhsa_uses_dynamic_stack 0
		.amdhsa_system_sgpr_private_segment_wavefront_offset 0
		.amdhsa_system_sgpr_workgroup_id_x 1
		.amdhsa_system_sgpr_workgroup_id_y 1
		.amdhsa_system_sgpr_workgroup_id_z 1
		.amdhsa_system_sgpr_workgroup_info 0
		.amdhsa_system_vgpr_workitem_id 1
		.amdhsa_next_free_vgpr 56
		.amdhsa_next_free_sgpr 24
		.amdhsa_reserve_vcc 1
		.amdhsa_reserve_flat_scratch 0
		.amdhsa_float_round_mode_32 0
		.amdhsa_float_round_mode_16_64 0
		.amdhsa_float_denorm_mode_32 3
		.amdhsa_float_denorm_mode_16_64 3
		.amdhsa_dx10_clamp 1
		.amdhsa_ieee_mode 1
		.amdhsa_fp16_overflow 0
		.amdhsa_exception_fp_ieee_invalid_op 0
		.amdhsa_exception_fp_denorm_src 0
		.amdhsa_exception_fp_ieee_div_zero 0
		.amdhsa_exception_fp_ieee_overflow 0
		.amdhsa_exception_fp_ieee_underflow 0
		.amdhsa_exception_fp_ieee_inexact 0
		.amdhsa_exception_int_div_zero 0
	.end_amdhsa_kernel
	.section	.text._ZL32rocblas_syrkx_herkx_small_kernelIl19rocblas_complex_numIfELi16ELb1ELb0ELc84ELc85EKPKS1_KPS1_EviT_T0_PT6_S7_lSA_S7_lS8_PT7_S7_li,"axG",@progbits,_ZL32rocblas_syrkx_herkx_small_kernelIl19rocblas_complex_numIfELi16ELb1ELb0ELc84ELc85EKPKS1_KPS1_EviT_T0_PT6_S7_lSA_S7_lS8_PT7_S7_li,comdat
.Lfunc_end1593:
	.size	_ZL32rocblas_syrkx_herkx_small_kernelIl19rocblas_complex_numIfELi16ELb1ELb0ELc84ELc85EKPKS1_KPS1_EviT_T0_PT6_S7_lSA_S7_lS8_PT7_S7_li, .Lfunc_end1593-_ZL32rocblas_syrkx_herkx_small_kernelIl19rocblas_complex_numIfELi16ELb1ELb0ELc84ELc85EKPKS1_KPS1_EviT_T0_PT6_S7_lSA_S7_lS8_PT7_S7_li
                                        ; -- End function
	.set _ZL32rocblas_syrkx_herkx_small_kernelIl19rocblas_complex_numIfELi16ELb1ELb0ELc84ELc85EKPKS1_KPS1_EviT_T0_PT6_S7_lSA_S7_lS8_PT7_S7_li.num_vgpr, 56
	.set _ZL32rocblas_syrkx_herkx_small_kernelIl19rocblas_complex_numIfELi16ELb1ELb0ELc84ELc85EKPKS1_KPS1_EviT_T0_PT6_S7_lSA_S7_lS8_PT7_S7_li.num_agpr, 0
	.set _ZL32rocblas_syrkx_herkx_small_kernelIl19rocblas_complex_numIfELi16ELb1ELb0ELc84ELc85EKPKS1_KPS1_EviT_T0_PT6_S7_lSA_S7_lS8_PT7_S7_li.numbered_sgpr, 24
	.set _ZL32rocblas_syrkx_herkx_small_kernelIl19rocblas_complex_numIfELi16ELb1ELb0ELc84ELc85EKPKS1_KPS1_EviT_T0_PT6_S7_lSA_S7_lS8_PT7_S7_li.num_named_barrier, 0
	.set _ZL32rocblas_syrkx_herkx_small_kernelIl19rocblas_complex_numIfELi16ELb1ELb0ELc84ELc85EKPKS1_KPS1_EviT_T0_PT6_S7_lSA_S7_lS8_PT7_S7_li.private_seg_size, 0
	.set _ZL32rocblas_syrkx_herkx_small_kernelIl19rocblas_complex_numIfELi16ELb1ELb0ELc84ELc85EKPKS1_KPS1_EviT_T0_PT6_S7_lSA_S7_lS8_PT7_S7_li.uses_vcc, 1
	.set _ZL32rocblas_syrkx_herkx_small_kernelIl19rocblas_complex_numIfELi16ELb1ELb0ELc84ELc85EKPKS1_KPS1_EviT_T0_PT6_S7_lSA_S7_lS8_PT7_S7_li.uses_flat_scratch, 0
	.set _ZL32rocblas_syrkx_herkx_small_kernelIl19rocblas_complex_numIfELi16ELb1ELb0ELc84ELc85EKPKS1_KPS1_EviT_T0_PT6_S7_lSA_S7_lS8_PT7_S7_li.has_dyn_sized_stack, 0
	.set _ZL32rocblas_syrkx_herkx_small_kernelIl19rocblas_complex_numIfELi16ELb1ELb0ELc84ELc85EKPKS1_KPS1_EviT_T0_PT6_S7_lSA_S7_lS8_PT7_S7_li.has_recursion, 0
	.set _ZL32rocblas_syrkx_herkx_small_kernelIl19rocblas_complex_numIfELi16ELb1ELb0ELc84ELc85EKPKS1_KPS1_EviT_T0_PT6_S7_lSA_S7_lS8_PT7_S7_li.has_indirect_call, 0
	.section	.AMDGPU.csdata,"",@progbits
; Kernel info:
; codeLenInByte = 1320
; TotalNumSgprs: 28
; NumVgprs: 56
; ScratchSize: 0
; MemoryBound: 1
; FloatMode: 240
; IeeeMode: 1
; LDSByteSize: 4096 bytes/workgroup (compile time only)
; SGPRBlocks: 3
; VGPRBlocks: 13
; NumSGPRsForWavesPerEU: 28
; NumVGPRsForWavesPerEU: 56
; Occupancy: 4
; WaveLimiterHint : 1
; COMPUTE_PGM_RSRC2:SCRATCH_EN: 0
; COMPUTE_PGM_RSRC2:USER_SGPR: 6
; COMPUTE_PGM_RSRC2:TRAP_HANDLER: 0
; COMPUTE_PGM_RSRC2:TGID_X_EN: 1
; COMPUTE_PGM_RSRC2:TGID_Y_EN: 1
; COMPUTE_PGM_RSRC2:TGID_Z_EN: 1
; COMPUTE_PGM_RSRC2:TIDIG_COMP_CNT: 1
	.section	.text._ZL32rocblas_syrkx_herkx_small_kernelIl19rocblas_complex_numIfELi16ELb1ELb0ELc67ELc85EKPKS1_KPS1_EviT_T0_PT6_S7_lSA_S7_lS8_PT7_S7_li,"axG",@progbits,_ZL32rocblas_syrkx_herkx_small_kernelIl19rocblas_complex_numIfELi16ELb1ELb0ELc67ELc85EKPKS1_KPS1_EviT_T0_PT6_S7_lSA_S7_lS8_PT7_S7_li,comdat
	.globl	_ZL32rocblas_syrkx_herkx_small_kernelIl19rocblas_complex_numIfELi16ELb1ELb0ELc67ELc85EKPKS1_KPS1_EviT_T0_PT6_S7_lSA_S7_lS8_PT7_S7_li ; -- Begin function _ZL32rocblas_syrkx_herkx_small_kernelIl19rocblas_complex_numIfELi16ELb1ELb0ELc67ELc85EKPKS1_KPS1_EviT_T0_PT6_S7_lSA_S7_lS8_PT7_S7_li
	.p2align	8
	.type	_ZL32rocblas_syrkx_herkx_small_kernelIl19rocblas_complex_numIfELi16ELb1ELb0ELc67ELc85EKPKS1_KPS1_EviT_T0_PT6_S7_lSA_S7_lS8_PT7_S7_li,@function
_ZL32rocblas_syrkx_herkx_small_kernelIl19rocblas_complex_numIfELi16ELb1ELb0ELc67ELc85EKPKS1_KPS1_EviT_T0_PT6_S7_lSA_S7_lS8_PT7_S7_li: ; @_ZL32rocblas_syrkx_herkx_small_kernelIl19rocblas_complex_numIfELi16ELb1ELb0ELc67ELc85EKPKS1_KPS1_EviT_T0_PT6_S7_lSA_S7_lS8_PT7_S7_li
; %bb.0:
	s_load_dwordx4 s[20:23], s[4:5], 0x50
	s_load_dword s24, s[4:5], 0x0
	s_load_dwordx8 s[12:19], s[4:5], 0x8
	s_mov_b32 s9, 0
	s_lshl_b64 s[10:11], s[8:9], 3
	s_waitcnt lgkmcnt(0)
	s_add_u32 s0, s20, s10
	s_addc_u32 s1, s21, s11
	s_load_dwordx2 s[8:9], s[0:1], 0x0
	v_cmp_lt_i64_e64 s[0:1], s[12:13], 1
	v_lshl_add_u32 v2, s6, 4, v0
	v_lshl_add_u32 v14, s7, 4, v1
	s_and_b64 vcc, exec, s[0:1]
	v_ashrrev_i32_e32 v3, 31, v2
	v_cmp_gt_i32_e64 s[2:3], s24, v14
	v_ashrrev_i32_e32 v15, 31, v14
	s_cbranch_vccnz .LBB1594_9
; %bb.1:
	s_load_dwordx4 s[4:7], s[4:5], 0x30
	v_mul_lo_u32 v11, s19, v2
	v_mul_lo_u32 v12, s18, v3
	v_lshlrev_b32_e32 v16, 3, v0
	v_lshlrev_b32_e32 v7, 7, v1
	s_waitcnt lgkmcnt(0)
	v_mul_lo_u32 v8, s7, v14
	v_mul_lo_u32 v9, s6, v15
	v_mad_u64_u32 v[5:6], s[6:7], s6, v14, 0
	s_add_u32 s4, s4, s10
	s_addc_u32 s5, s5, s11
	s_load_dwordx2 s[4:5], s[4:5], 0x0
	v_add3_u32 v6, v6, v9, v8
	v_mad_u64_u32 v[8:9], s[6:7], s18, v2, 0
	v_lshlrev_b64 v[5:6], 3, v[5:6]
	s_add_u32 s10, s16, s10
	s_addc_u32 s11, s17, s11
	v_add_co_u32_e32 v5, vcc, v5, v16
	s_load_dwordx2 s[10:11], s[10:11], 0x0
	v_add_u32_e32 v17, v16, v7
	v_add_u32_e32 v18, 0x800, v7
	v_addc_co_u32_e32 v7, vcc, 0, v6, vcc
	v_add3_u32 v9, v9, v12, v11
	s_waitcnt lgkmcnt(0)
	v_mov_b32_e32 v10, s5
	v_add_co_u32_e32 v6, vcc, s4, v5
	v_lshlrev_b64 v[8:9], 3, v[8:9]
	v_addc_co_u32_e32 v7, vcc, v10, v7, vcc
	v_lshlrev_b32_e32 v5, 3, v1
	v_add_co_u32_e32 v5, vcc, v8, v5
	v_addc_co_u32_e32 v9, vcc, 0, v9, vcc
	v_mov_b32_e32 v10, s11
	v_add_co_u32_e32 v8, vcc, s10, v5
	v_addc_co_u32_e32 v9, vcc, v10, v9, vcc
	v_mov_b32_e32 v10, s12
	v_mov_b32_e32 v4, 0
	v_cmp_gt_i32_e64 s[0:1], s24, v2
	v_add_u32_e32 v19, v18, v16
	s_mov_b64 s[4:5], 0
	s_xor_b64 s[6:7], s[2:3], -1
	v_mov_b32_e32 v11, s13
	v_mov_b32_e32 v20, 0
	;; [unrolled: 1-line block ×3, first 2 shown]
	s_branch .LBB1594_3
.LBB1594_2:                             ;   in Loop: Header=BB1594_3 Depth=1
	s_or_b64 exec, exec, s[2:3]
	s_waitcnt lgkmcnt(0)
	s_barrier
	ds_read2_b64 v[22:25], v16 offset1:16
	ds_read_b128 v[26:29], v18
	ds_read_b128 v[30:33], v18 offset:16
	ds_read2_b64 v[34:37], v16 offset0:32 offset1:48
	s_add_u32 s4, s4, 16
	v_add_co_u32_e32 v6, vcc, 0x80, v6
	s_waitcnt lgkmcnt(2)
	v_mul_f32_e32 v5, v27, v23
	v_mul_f32_e32 v12, v26, v23
	v_fma_f32 v5, v26, v22, -v5
	v_fmac_f32_e32 v12, v27, v22
	v_mul_f32_e32 v13, v29, v25
	v_mul_f32_e32 v38, v28, v25
	s_waitcnt lgkmcnt(0)
	v_mul_f32_e32 v22, v31, v35
	v_fma_f32 v13, v28, v24, -v13
	v_fmac_f32_e32 v38, v29, v24
	v_fma_f32 v39, v30, v34, -v22
	ds_read2_b64 v[22:25], v16 offset0:64 offset1:80
	ds_read_b128 v[26:29], v18 offset:32
	v_mul_f32_e32 v40, v30, v35
	v_fmac_f32_e32 v40, v31, v34
	v_mul_f32_e32 v30, v33, v37
	v_mul_f32_e32 v42, v32, v37
	s_waitcnt lgkmcnt(0)
	v_mul_f32_e32 v34, v27, v23
	v_fma_f32 v41, v32, v36, -v30
	v_fmac_f32_e32 v42, v33, v36
	ds_read_b128 v[30:33], v18 offset:48
	v_fma_f32 v43, v26, v22, -v34
	ds_read2_b64 v[34:37], v16 offset0:96 offset1:112
	v_mul_f32_e32 v44, v26, v23
	v_fmac_f32_e32 v44, v27, v22
	v_mul_f32_e32 v22, v29, v25
	v_fma_f32 v45, v28, v24, -v22
	v_mul_f32_e32 v46, v28, v25
	s_waitcnt lgkmcnt(0)
	v_mul_f32_e32 v22, v31, v35
	v_fmac_f32_e32 v46, v29, v24
	v_fma_f32 v47, v30, v34, -v22
	ds_read2_b64 v[22:25], v16 offset0:128 offset1:144
	ds_read_b128 v[26:29], v18 offset:64
	v_mul_f32_e32 v48, v30, v35
	v_fmac_f32_e32 v48, v31, v34
	v_mul_f32_e32 v30, v33, v37
	v_mul_f32_e32 v50, v32, v37
	s_waitcnt lgkmcnt(0)
	v_mul_f32_e32 v34, v27, v23
	v_fma_f32 v49, v32, v36, -v30
	v_fmac_f32_e32 v50, v33, v36
	ds_read_b128 v[30:33], v18 offset:80
	v_fma_f32 v51, v26, v22, -v34
	ds_read2_b64 v[34:37], v16 offset0:160 offset1:176
	v_mul_f32_e32 v52, v26, v23
	v_fmac_f32_e32 v52, v27, v22
	v_mul_f32_e32 v22, v29, v25
	v_fma_f32 v53, v28, v24, -v22
	v_mul_f32_e32 v54, v28, v25
	s_waitcnt lgkmcnt(0)
	v_mul_f32_e32 v22, v31, v35
	v_fmac_f32_e32 v54, v29, v24
	v_fma_f32 v55, v30, v34, -v22
	ds_read2_b64 v[22:25], v16 offset0:192 offset1:208
	ds_read_b128 v[26:29], v18 offset:96
	v_add_f32_e32 v5, v21, v5
	v_add_f32_e32 v12, v20, v12
	;; [unrolled: 1-line block ×5, first 2 shown]
	v_mul_f32_e32 v35, v30, v35
	v_mul_f32_e32 v30, v33, v37
	v_mul_f32_e32 v37, v32, v37
	v_add_f32_e32 v12, v12, v40
	v_add_f32_e32 v5, v5, v41
	v_fmac_f32_e32 v35, v31, v34
	v_fma_f32 v34, v32, v36, -v30
	v_fmac_f32_e32 v37, v33, v36
	s_waitcnt lgkmcnt(0)
	v_mul_f32_e32 v36, v27, v23
	v_add_f32_e32 v12, v12, v42
	v_add_f32_e32 v5, v5, v43
	v_fma_f32 v36, v26, v22, -v36
	v_mul_f32_e32 v26, v26, v23
	v_add_f32_e32 v12, v12, v44
	v_add_f32_e32 v5, v5, v45
	v_fmac_f32_e32 v26, v27, v22
	v_mul_f32_e32 v22, v29, v25
	v_add_f32_e32 v12, v12, v46
	v_add_f32_e32 v5, v5, v47
	ds_read_b128 v[30:33], v18 offset:112
	v_fma_f32 v27, v28, v24, -v22
	v_add_f32_e32 v12, v12, v48
	v_add_f32_e32 v5, v5, v49
	ds_read2_b64 v[20:23], v16 offset0:224 offset1:240
	v_add_f32_e32 v12, v12, v50
	v_add_f32_e32 v5, v5, v51
	;; [unrolled: 1-line block ×8, first 2 shown]
	v_mul_f32_e32 v25, v28, v25
	v_add_f32_e32 v12, v12, v37
	v_add_f32_e32 v5, v5, v36
	s_waitcnt lgkmcnt(0)
	v_mul_f32_e32 v13, v31, v21
	v_fmac_f32_e32 v25, v29, v24
	v_add_f32_e32 v12, v12, v26
	v_add_f32_e32 v5, v5, v27
	v_fma_f32 v13, v30, v20, -v13
	v_mul_f32_e32 v21, v30, v21
	s_addc_u32 s5, s5, 0
	v_addc_co_u32_e32 v7, vcc, 0, v7, vcc
	v_add_f32_e32 v12, v12, v25
	v_fmac_f32_e32 v21, v31, v20
	v_add_f32_e32 v5, v5, v13
	v_mul_f32_e32 v13, v33, v23
	v_mul_f32_e32 v20, v32, v23
	v_add_co_u32_e32 v8, vcc, 0x80, v8
	v_cmp_ge_i64_e64 s[2:3], s[4:5], v[10:11]
	v_add_f32_e32 v12, v12, v21
	v_fma_f32 v13, v32, v22, -v13
	v_fmac_f32_e32 v20, v33, v22
	v_addc_co_u32_e32 v9, vcc, 0, v9, vcc
	v_add_f32_e32 v21, v5, v13
	v_add_f32_e32 v20, v12, v20
	s_and_b64 vcc, exec, s[2:3]
	s_barrier
	s_cbranch_vccnz .LBB1594_10
.LBB1594_3:                             ; =>This Inner Loop Header: Depth=1
	v_mov_b32_e32 v5, s5
	v_add_co_u32_e32 v12, vcc, s4, v1
	v_addc_co_u32_e32 v13, vcc, 0, v5, vcc
	v_cmp_gt_i64_e32 vcc, s[12:13], v[12:13]
	v_mov_b32_e32 v12, 0
	s_and_b64 s[10:11], s[0:1], vcc
	v_mov_b32_e32 v13, 0
	s_and_saveexec_b64 s[2:3], s[10:11]
	s_cbranch_execz .LBB1594_5
; %bb.4:                                ;   in Loop: Header=BB1594_3 Depth=1
	flat_load_dwordx2 v[12:13], v[8:9]
.LBB1594_5:                             ;   in Loop: Header=BB1594_3 Depth=1
	s_or_b64 exec, exec, s[2:3]
	v_mov_b32_e32 v5, s5
	v_add_co_u32_e32 v22, vcc, s4, v0
	v_addc_co_u32_e32 v23, vcc, 0, v5, vcc
	v_cmp_le_i64_e32 vcc, s[12:13], v[22:23]
	s_waitcnt vmcnt(0) lgkmcnt(0)
	ds_write_b64 v17, v[12:13]
	s_or_b64 s[2:3], s[6:7], vcc
	s_and_saveexec_b64 s[10:11], s[2:3]
	s_xor_b64 s[2:3], exec, s[10:11]
; %bb.6:                                ;   in Loop: Header=BB1594_3 Depth=1
	v_mov_b32_e32 v5, v4
	ds_write_b64 v19, v[4:5]
; %bb.7:                                ;   in Loop: Header=BB1594_3 Depth=1
	s_andn2_saveexec_b64 s[2:3], s[2:3]
	s_cbranch_execz .LBB1594_2
; %bb.8:                                ;   in Loop: Header=BB1594_3 Depth=1
	flat_load_dwordx2 v[12:13], v[6:7]
	s_waitcnt vmcnt(0) lgkmcnt(0)
	ds_write_b64 v19, v[12:13]
	s_branch .LBB1594_2
.LBB1594_9:
	v_mov_b32_e32 v20, 0
	v_mov_b32_e32 v21, 0
.LBB1594_10:
	v_cmp_le_i32_e32 vcc, v2, v14
	v_cmp_gt_i32_e64 s[0:1], s24, v14
	s_and_b64 s[0:1], vcc, s[0:1]
	s_and_saveexec_b64 s[2:3], s[0:1]
	s_cbranch_execz .LBB1594_12
; %bb.11:
	v_mul_lo_u32 v6, s23, v14
	v_mul_lo_u32 v7, s22, v15
	v_mad_u64_u32 v[0:1], s[0:1], s22, v14, 0
	v_mul_f32_e32 v4, s15, v20
	v_mul_f32_e32 v5, s14, v20
	v_add3_u32 v1, v1, v7, v6
	v_lshlrev_b64 v[0:1], 3, v[0:1]
	s_waitcnt lgkmcnt(0)
	v_mov_b32_e32 v6, s9
	v_add_co_u32_e32 v7, vcc, s8, v0
	v_addc_co_u32_e32 v6, vcc, v6, v1, vcc
	v_lshlrev_b64 v[0:1], 3, v[2:3]
	v_fma_f32 v4, v21, s14, -v4
	v_add_co_u32_e32 v0, vcc, v7, v0
	v_fmac_f32_e32 v5, s15, v21
	v_addc_co_u32_e32 v1, vcc, v6, v1, vcc
	flat_store_dwordx2 v[0:1], v[4:5]
.LBB1594_12:
	s_endpgm
	.section	.rodata,"a",@progbits
	.p2align	6, 0x0
	.amdhsa_kernel _ZL32rocblas_syrkx_herkx_small_kernelIl19rocblas_complex_numIfELi16ELb1ELb0ELc67ELc85EKPKS1_KPS1_EviT_T0_PT6_S7_lSA_S7_lS8_PT7_S7_li
		.amdhsa_group_segment_fixed_size 4096
		.amdhsa_private_segment_fixed_size 0
		.amdhsa_kernarg_size 108
		.amdhsa_user_sgpr_count 6
		.amdhsa_user_sgpr_private_segment_buffer 1
		.amdhsa_user_sgpr_dispatch_ptr 0
		.amdhsa_user_sgpr_queue_ptr 0
		.amdhsa_user_sgpr_kernarg_segment_ptr 1
		.amdhsa_user_sgpr_dispatch_id 0
		.amdhsa_user_sgpr_flat_scratch_init 0
		.amdhsa_user_sgpr_private_segment_size 0
		.amdhsa_uses_dynamic_stack 0
		.amdhsa_system_sgpr_private_segment_wavefront_offset 0
		.amdhsa_system_sgpr_workgroup_id_x 1
		.amdhsa_system_sgpr_workgroup_id_y 1
		.amdhsa_system_sgpr_workgroup_id_z 1
		.amdhsa_system_sgpr_workgroup_info 0
		.amdhsa_system_vgpr_workitem_id 1
		.amdhsa_next_free_vgpr 56
		.amdhsa_next_free_sgpr 25
		.amdhsa_reserve_vcc 1
		.amdhsa_reserve_flat_scratch 0
		.amdhsa_float_round_mode_32 0
		.amdhsa_float_round_mode_16_64 0
		.amdhsa_float_denorm_mode_32 3
		.amdhsa_float_denorm_mode_16_64 3
		.amdhsa_dx10_clamp 1
		.amdhsa_ieee_mode 1
		.amdhsa_fp16_overflow 0
		.amdhsa_exception_fp_ieee_invalid_op 0
		.amdhsa_exception_fp_denorm_src 0
		.amdhsa_exception_fp_ieee_div_zero 0
		.amdhsa_exception_fp_ieee_overflow 0
		.amdhsa_exception_fp_ieee_underflow 0
		.amdhsa_exception_fp_ieee_inexact 0
		.amdhsa_exception_int_div_zero 0
	.end_amdhsa_kernel
	.section	.text._ZL32rocblas_syrkx_herkx_small_kernelIl19rocblas_complex_numIfELi16ELb1ELb0ELc67ELc85EKPKS1_KPS1_EviT_T0_PT6_S7_lSA_S7_lS8_PT7_S7_li,"axG",@progbits,_ZL32rocblas_syrkx_herkx_small_kernelIl19rocblas_complex_numIfELi16ELb1ELb0ELc67ELc85EKPKS1_KPS1_EviT_T0_PT6_S7_lSA_S7_lS8_PT7_S7_li,comdat
.Lfunc_end1594:
	.size	_ZL32rocblas_syrkx_herkx_small_kernelIl19rocblas_complex_numIfELi16ELb1ELb0ELc67ELc85EKPKS1_KPS1_EviT_T0_PT6_S7_lSA_S7_lS8_PT7_S7_li, .Lfunc_end1594-_ZL32rocblas_syrkx_herkx_small_kernelIl19rocblas_complex_numIfELi16ELb1ELb0ELc67ELc85EKPKS1_KPS1_EviT_T0_PT6_S7_lSA_S7_lS8_PT7_S7_li
                                        ; -- End function
	.set _ZL32rocblas_syrkx_herkx_small_kernelIl19rocblas_complex_numIfELi16ELb1ELb0ELc67ELc85EKPKS1_KPS1_EviT_T0_PT6_S7_lSA_S7_lS8_PT7_S7_li.num_vgpr, 56
	.set _ZL32rocblas_syrkx_herkx_small_kernelIl19rocblas_complex_numIfELi16ELb1ELb0ELc67ELc85EKPKS1_KPS1_EviT_T0_PT6_S7_lSA_S7_lS8_PT7_S7_li.num_agpr, 0
	.set _ZL32rocblas_syrkx_herkx_small_kernelIl19rocblas_complex_numIfELi16ELb1ELb0ELc67ELc85EKPKS1_KPS1_EviT_T0_PT6_S7_lSA_S7_lS8_PT7_S7_li.numbered_sgpr, 25
	.set _ZL32rocblas_syrkx_herkx_small_kernelIl19rocblas_complex_numIfELi16ELb1ELb0ELc67ELc85EKPKS1_KPS1_EviT_T0_PT6_S7_lSA_S7_lS8_PT7_S7_li.num_named_barrier, 0
	.set _ZL32rocblas_syrkx_herkx_small_kernelIl19rocblas_complex_numIfELi16ELb1ELb0ELc67ELc85EKPKS1_KPS1_EviT_T0_PT6_S7_lSA_S7_lS8_PT7_S7_li.private_seg_size, 0
	.set _ZL32rocblas_syrkx_herkx_small_kernelIl19rocblas_complex_numIfELi16ELb1ELb0ELc67ELc85EKPKS1_KPS1_EviT_T0_PT6_S7_lSA_S7_lS8_PT7_S7_li.uses_vcc, 1
	.set _ZL32rocblas_syrkx_herkx_small_kernelIl19rocblas_complex_numIfELi16ELb1ELb0ELc67ELc85EKPKS1_KPS1_EviT_T0_PT6_S7_lSA_S7_lS8_PT7_S7_li.uses_flat_scratch, 0
	.set _ZL32rocblas_syrkx_herkx_small_kernelIl19rocblas_complex_numIfELi16ELb1ELb0ELc67ELc85EKPKS1_KPS1_EviT_T0_PT6_S7_lSA_S7_lS8_PT7_S7_li.has_dyn_sized_stack, 0
	.set _ZL32rocblas_syrkx_herkx_small_kernelIl19rocblas_complex_numIfELi16ELb1ELb0ELc67ELc85EKPKS1_KPS1_EviT_T0_PT6_S7_lSA_S7_lS8_PT7_S7_li.has_recursion, 0
	.set _ZL32rocblas_syrkx_herkx_small_kernelIl19rocblas_complex_numIfELi16ELb1ELb0ELc67ELc85EKPKS1_KPS1_EviT_T0_PT6_S7_lSA_S7_lS8_PT7_S7_li.has_indirect_call, 0
	.section	.AMDGPU.csdata,"",@progbits
; Kernel info:
; codeLenInByte = 1276
; TotalNumSgprs: 29
; NumVgprs: 56
; ScratchSize: 0
; MemoryBound: 1
; FloatMode: 240
; IeeeMode: 1
; LDSByteSize: 4096 bytes/workgroup (compile time only)
; SGPRBlocks: 3
; VGPRBlocks: 13
; NumSGPRsForWavesPerEU: 29
; NumVGPRsForWavesPerEU: 56
; Occupancy: 4
; WaveLimiterHint : 1
; COMPUTE_PGM_RSRC2:SCRATCH_EN: 0
; COMPUTE_PGM_RSRC2:USER_SGPR: 6
; COMPUTE_PGM_RSRC2:TRAP_HANDLER: 0
; COMPUTE_PGM_RSRC2:TGID_X_EN: 1
; COMPUTE_PGM_RSRC2:TGID_Y_EN: 1
; COMPUTE_PGM_RSRC2:TGID_Z_EN: 1
; COMPUTE_PGM_RSRC2:TIDIG_COMP_CNT: 1
	.section	.text._ZL32rocblas_syrkx_herkx_small_kernelIl19rocblas_complex_numIfELi16ELb1ELb0ELc78ELc85EKPKS1_KPS1_EviT_T0_PT6_S7_lSA_S7_lS8_PT7_S7_li,"axG",@progbits,_ZL32rocblas_syrkx_herkx_small_kernelIl19rocblas_complex_numIfELi16ELb1ELb0ELc78ELc85EKPKS1_KPS1_EviT_T0_PT6_S7_lSA_S7_lS8_PT7_S7_li,comdat
	.globl	_ZL32rocblas_syrkx_herkx_small_kernelIl19rocblas_complex_numIfELi16ELb1ELb0ELc78ELc85EKPKS1_KPS1_EviT_T0_PT6_S7_lSA_S7_lS8_PT7_S7_li ; -- Begin function _ZL32rocblas_syrkx_herkx_small_kernelIl19rocblas_complex_numIfELi16ELb1ELb0ELc78ELc85EKPKS1_KPS1_EviT_T0_PT6_S7_lSA_S7_lS8_PT7_S7_li
	.p2align	8
	.type	_ZL32rocblas_syrkx_herkx_small_kernelIl19rocblas_complex_numIfELi16ELb1ELb0ELc78ELc85EKPKS1_KPS1_EviT_T0_PT6_S7_lSA_S7_lS8_PT7_S7_li,@function
_ZL32rocblas_syrkx_herkx_small_kernelIl19rocblas_complex_numIfELi16ELb1ELb0ELc78ELc85EKPKS1_KPS1_EviT_T0_PT6_S7_lSA_S7_lS8_PT7_S7_li: ; @_ZL32rocblas_syrkx_herkx_small_kernelIl19rocblas_complex_numIfELi16ELb1ELb0ELc78ELc85EKPKS1_KPS1_EviT_T0_PT6_S7_lSA_S7_lS8_PT7_S7_li
; %bb.0:
	s_load_dwordx4 s[20:23], s[4:5], 0x50
	s_load_dword s24, s[4:5], 0x0
	s_load_dwordx8 s[12:19], s[4:5], 0x8
	s_mov_b32 s9, 0
	s_lshl_b64 s[2:3], s[8:9], 3
	s_waitcnt lgkmcnt(0)
	s_add_u32 s0, s20, s2
	s_addc_u32 s1, s21, s3
	s_load_dwordx2 s[8:9], s[0:1], 0x0
	v_cmp_lt_i64_e64 s[0:1], s[12:13], 1
	v_lshl_add_u32 v2, s6, 4, v0
	v_lshl_add_u32 v4, s7, 4, v1
	s_and_b64 vcc, exec, s[0:1]
	v_ashrrev_i32_e32 v3, 31, v2
	v_cmp_gt_i32_e64 s[0:1], s24, v4
	v_ashrrev_i32_e32 v5, 31, v4
	s_cbranch_vccnz .LBB1595_9
; %bb.1:
	s_load_dwordx4 s[4:7], s[4:5], 0x30
	v_lshlrev_b32_e32 v10, 7, v1
	v_lshlrev_b32_e32 v16, 3, v0
	v_add_u32_e32 v17, v16, v10
	v_add_u32_e32 v18, 0x800, v10
	s_waitcnt lgkmcnt(0)
	s_add_u32 s4, s4, s2
	v_mad_u64_u32 v[7:8], s[10:11], s6, v0, 0
	s_addc_u32 s5, s5, s3
	s_add_u32 s2, s16, s2
	s_addc_u32 s3, s17, s3
	s_load_dwordx2 s[10:11], s[2:3], 0x0
	v_mad_u64_u32 v[8:9], s[2:3], s7, v0, v[8:9]
	v_mad_u64_u32 v[11:12], s[2:3], s18, v1, 0
	v_lshlrev_b64 v[7:8], 3, v[7:8]
	v_lshlrev_b64 v[9:10], 3, v[4:5]
	s_load_dwordx2 s[4:5], s[4:5], 0x0
	v_add_co_u32_e64 v9, s[2:3], v7, v9
	v_mov_b32_e32 v7, v12
	v_addc_co_u32_e64 v10, s[2:3], v8, v10, s[2:3]
	v_mad_u64_u32 v[7:8], s[2:3], s19, v1, v[7:8]
	s_waitcnt lgkmcnt(0)
	v_mov_b32_e32 v13, s5
	v_add_co_u32_e64 v8, s[2:3], s4, v9
	v_mov_b32_e32 v12, v7
	v_addc_co_u32_e64 v9, s[2:3], v13, v10, s[2:3]
	v_lshlrev_b64 v[10:11], 3, v[11:12]
	v_lshlrev_b64 v[12:13], 3, v[2:3]
	v_cmp_gt_i32_e32 vcc, s24, v2
	v_add_co_u32_e64 v7, s[2:3], v10, v12
	v_addc_co_u32_e64 v11, s[2:3], v11, v13, s[2:3]
	v_mov_b32_e32 v12, s11
	v_add_co_u32_e64 v10, s[2:3], s10, v7
	s_lshl_b64 s[4:5], s[6:7], 7
	v_addc_co_u32_e64 v11, s[2:3], v12, v11, s[2:3]
	s_lshl_b64 s[6:7], s[18:19], 7
	v_mov_b32_e32 v12, s12
	v_mov_b32_e32 v6, 0
	v_add_u32_e32 v19, v18, v16
	s_mov_b64 s[10:11], 0
	s_xor_b64 s[16:17], vcc, -1
	v_mov_b32_e32 v20, s5
	v_mov_b32_e32 v21, s7
	;; [unrolled: 1-line block ×5, first 2 shown]
	s_branch .LBB1595_3
.LBB1595_2:                             ;   in Loop: Header=BB1595_3 Depth=1
	s_or_b64 exec, exec, s[2:3]
	s_waitcnt vmcnt(0) lgkmcnt(0)
	ds_write_b64 v19, v[14:15]
	s_waitcnt lgkmcnt(0)
	s_barrier
	ds_read2_b64 v[24:27], v16 offset1:16
	ds_read_b128 v[28:31], v18
	ds_read_b128 v[32:35], v18 offset:16
	ds_read2_b64 v[36:39], v16 offset0:32 offset1:48
	s_add_u32 s10, s10, 16
	v_add_co_u32_e32 v8, vcc, s4, v8
	s_waitcnt lgkmcnt(2)
	v_mul_f32_e32 v7, v29, v25
	v_mul_f32_e32 v14, v28, v25
	v_fma_f32 v7, v28, v24, -v7
	v_fmac_f32_e32 v14, v29, v24
	v_mul_f32_e32 v15, v31, v27
	v_mul_f32_e32 v40, v30, v27
	s_waitcnt lgkmcnt(0)
	v_mul_f32_e32 v24, v33, v37
	v_fma_f32 v15, v30, v26, -v15
	v_fmac_f32_e32 v40, v31, v26
	v_fma_f32 v41, v32, v36, -v24
	ds_read2_b64 v[24:27], v16 offset0:64 offset1:80
	ds_read_b128 v[28:31], v18 offset:32
	v_mul_f32_e32 v42, v32, v37
	v_fmac_f32_e32 v42, v33, v36
	v_mul_f32_e32 v32, v35, v39
	v_mul_f32_e32 v44, v34, v39
	s_waitcnt lgkmcnt(0)
	v_mul_f32_e32 v36, v29, v25
	v_fma_f32 v43, v34, v38, -v32
	v_fmac_f32_e32 v44, v35, v38
	ds_read_b128 v[32:35], v18 offset:48
	v_fma_f32 v45, v28, v24, -v36
	ds_read2_b64 v[36:39], v16 offset0:96 offset1:112
	v_mul_f32_e32 v46, v28, v25
	v_fmac_f32_e32 v46, v29, v24
	v_mul_f32_e32 v24, v31, v27
	v_fma_f32 v47, v30, v26, -v24
	v_mul_f32_e32 v48, v30, v27
	s_waitcnt lgkmcnt(0)
	v_mul_f32_e32 v24, v33, v37
	v_fmac_f32_e32 v48, v31, v26
	v_fma_f32 v49, v32, v36, -v24
	ds_read2_b64 v[24:27], v16 offset0:128 offset1:144
	ds_read_b128 v[28:31], v18 offset:64
	v_mul_f32_e32 v50, v32, v37
	v_fmac_f32_e32 v50, v33, v36
	v_mul_f32_e32 v32, v35, v39
	v_mul_f32_e32 v52, v34, v39
	s_waitcnt lgkmcnt(0)
	v_mul_f32_e32 v36, v29, v25
	v_fma_f32 v51, v34, v38, -v32
	v_fmac_f32_e32 v52, v35, v38
	ds_read_b128 v[32:35], v18 offset:80
	v_fma_f32 v53, v28, v24, -v36
	ds_read2_b64 v[36:39], v16 offset0:160 offset1:176
	v_mul_f32_e32 v54, v28, v25
	v_fmac_f32_e32 v54, v29, v24
	v_mul_f32_e32 v24, v31, v27
	v_fma_f32 v55, v30, v26, -v24
	v_mul_f32_e32 v56, v30, v27
	s_waitcnt lgkmcnt(0)
	v_mul_f32_e32 v24, v33, v37
	v_add_f32_e32 v7, v23, v7
	v_add_f32_e32 v14, v22, v14
	v_fmac_f32_e32 v56, v31, v26
	v_fma_f32 v57, v32, v36, -v24
	ds_read2_b64 v[24:27], v16 offset0:192 offset1:208
	ds_read_b128 v[28:31], v18 offset:96
	v_add_f32_e32 v7, v7, v15
	v_add_f32_e32 v14, v14, v40
	;; [unrolled: 1-line block ×8, first 2 shown]
	v_mul_f32_e32 v58, v32, v37
	v_add_f32_e32 v7, v7, v47
	v_add_f32_e32 v14, v14, v48
	v_fmac_f32_e32 v58, v33, v36
	v_mul_f32_e32 v32, v35, v39
	v_mul_f32_e32 v60, v34, v39
	s_waitcnt lgkmcnt(0)
	v_mul_f32_e32 v36, v29, v25
	v_add_f32_e32 v7, v7, v49
	v_add_f32_e32 v14, v14, v50
	v_fma_f32 v59, v34, v38, -v32
	v_fmac_f32_e32 v60, v35, v38
	ds_read_b128 v[32:35], v18 offset:112
	v_fma_f32 v61, v28, v24, -v36
	ds_read2_b64 v[36:39], v16 offset0:224 offset1:240
	v_add_f32_e32 v7, v7, v51
	v_add_f32_e32 v14, v14, v52
	;; [unrolled: 1-line block ×6, first 2 shown]
	v_mul_f32_e32 v25, v28, v25
	v_add_f32_e32 v7, v7, v57
	v_add_f32_e32 v14, v14, v58
	v_fmac_f32_e32 v25, v29, v24
	v_mul_f32_e32 v24, v31, v27
	v_mul_f32_e32 v27, v30, v27
	v_add_f32_e32 v7, v7, v59
	v_add_f32_e32 v14, v14, v60
	v_fma_f32 v24, v30, v26, -v24
	v_fmac_f32_e32 v27, v31, v26
	s_waitcnt lgkmcnt(0)
	v_mul_f32_e32 v26, v33, v37
	v_mul_f32_e32 v28, v32, v37
	v_add_f32_e32 v7, v7, v61
	v_add_f32_e32 v14, v14, v25
	s_addc_u32 s11, s11, 0
	v_addc_co_u32_e32 v9, vcc, v9, v20, vcc
	v_fma_f32 v26, v32, v36, -v26
	v_fmac_f32_e32 v28, v33, v36
	v_mul_f32_e32 v29, v35, v39
	v_mul_f32_e32 v30, v34, v39
	v_add_f32_e32 v7, v7, v24
	v_add_f32_e32 v14, v14, v27
	v_cmp_ge_i64_e32 vcc, s[10:11], v[12:13]
	v_fma_f32 v29, v34, v38, -v29
	v_fmac_f32_e32 v30, v35, v38
	v_add_f32_e32 v7, v7, v26
	v_add_f32_e32 v14, v14, v28
	v_add_co_u32_e64 v10, s[2:3], s6, v10
	v_add_f32_e32 v23, v7, v29
	v_add_f32_e32 v22, v14, v30
	v_addc_co_u32_e64 v11, s[2:3], v11, v21, s[2:3]
	s_barrier
	s_cbranch_vccnz .LBB1595_10
.LBB1595_3:                             ; =>This Inner Loop Header: Depth=1
	v_mov_b32_e32 v7, s11
	v_add_co_u32_e32 v14, vcc, s10, v1
	v_addc_co_u32_e32 v15, vcc, 0, v7, vcc
	v_cmp_le_i64_e32 vcc, s[12:13], v[14:15]
	s_or_b64 s[2:3], s[16:17], vcc
	s_and_saveexec_b64 s[18:19], s[2:3]
	s_xor_b64 s[2:3], exec, s[18:19]
; %bb.4:                                ;   in Loop: Header=BB1595_3 Depth=1
	v_mov_b32_e32 v7, v6
	ds_write_b64 v17, v[6:7]
; %bb.5:                                ;   in Loop: Header=BB1595_3 Depth=1
	s_andn2_saveexec_b64 s[2:3], s[2:3]
	s_cbranch_execz .LBB1595_7
; %bb.6:                                ;   in Loop: Header=BB1595_3 Depth=1
	flat_load_dwordx2 v[14:15], v[10:11]
	s_waitcnt vmcnt(0) lgkmcnt(0)
	ds_write_b64 v17, v[14:15]
.LBB1595_7:                             ;   in Loop: Header=BB1595_3 Depth=1
	s_or_b64 exec, exec, s[2:3]
	v_mov_b32_e32 v7, s11
	v_add_co_u32_e32 v14, vcc, s10, v0
	v_addc_co_u32_e32 v15, vcc, 0, v7, vcc
	v_cmp_gt_i64_e32 vcc, s[12:13], v[14:15]
	v_mov_b32_e32 v14, 0
	s_and_b64 s[18:19], s[0:1], vcc
	v_mov_b32_e32 v15, 0
	s_and_saveexec_b64 s[2:3], s[18:19]
	s_cbranch_execz .LBB1595_2
; %bb.8:                                ;   in Loop: Header=BB1595_3 Depth=1
	flat_load_dwordx2 v[14:15], v[8:9]
	s_branch .LBB1595_2
.LBB1595_9:
	v_mov_b32_e32 v22, 0
	v_mov_b32_e32 v23, 0
.LBB1595_10:
	v_cmp_le_i32_e32 vcc, v2, v4
	v_cmp_gt_i32_e64 s[0:1], s24, v4
	s_and_b64 s[0:1], vcc, s[0:1]
	s_and_saveexec_b64 s[2:3], s[0:1]
	s_cbranch_execz .LBB1595_12
; %bb.11:
	v_mul_lo_u32 v7, s23, v4
	v_mul_lo_u32 v8, s22, v5
	v_mad_u64_u32 v[0:1], s[0:1], s22, v4, 0
	v_mul_f32_e32 v6, s15, v22
	v_fma_f32 v4, v23, s14, -v6
	v_add3_u32 v1, v1, v8, v7
	v_lshlrev_b64 v[0:1], 3, v[0:1]
	s_waitcnt lgkmcnt(0)
	v_mov_b32_e32 v6, s9
	v_add_co_u32_e32 v7, vcc, s8, v0
	v_addc_co_u32_e32 v6, vcc, v6, v1, vcc
	v_lshlrev_b64 v[0:1], 3, v[2:3]
	v_mul_f32_e32 v5, s14, v22
	v_add_co_u32_e32 v0, vcc, v7, v0
	v_fmac_f32_e32 v5, s15, v23
	v_addc_co_u32_e32 v1, vcc, v6, v1, vcc
	flat_store_dwordx2 v[0:1], v[4:5]
.LBB1595_12:
	s_endpgm
	.section	.rodata,"a",@progbits
	.p2align	6, 0x0
	.amdhsa_kernel _ZL32rocblas_syrkx_herkx_small_kernelIl19rocblas_complex_numIfELi16ELb1ELb0ELc78ELc85EKPKS1_KPS1_EviT_T0_PT6_S7_lSA_S7_lS8_PT7_S7_li
		.amdhsa_group_segment_fixed_size 4096
		.amdhsa_private_segment_fixed_size 0
		.amdhsa_kernarg_size 108
		.amdhsa_user_sgpr_count 6
		.amdhsa_user_sgpr_private_segment_buffer 1
		.amdhsa_user_sgpr_dispatch_ptr 0
		.amdhsa_user_sgpr_queue_ptr 0
		.amdhsa_user_sgpr_kernarg_segment_ptr 1
		.amdhsa_user_sgpr_dispatch_id 0
		.amdhsa_user_sgpr_flat_scratch_init 0
		.amdhsa_user_sgpr_private_segment_size 0
		.amdhsa_uses_dynamic_stack 0
		.amdhsa_system_sgpr_private_segment_wavefront_offset 0
		.amdhsa_system_sgpr_workgroup_id_x 1
		.amdhsa_system_sgpr_workgroup_id_y 1
		.amdhsa_system_sgpr_workgroup_id_z 1
		.amdhsa_system_sgpr_workgroup_info 0
		.amdhsa_system_vgpr_workitem_id 1
		.amdhsa_next_free_vgpr 62
		.amdhsa_next_free_sgpr 25
		.amdhsa_reserve_vcc 1
		.amdhsa_reserve_flat_scratch 0
		.amdhsa_float_round_mode_32 0
		.amdhsa_float_round_mode_16_64 0
		.amdhsa_float_denorm_mode_32 3
		.amdhsa_float_denorm_mode_16_64 3
		.amdhsa_dx10_clamp 1
		.amdhsa_ieee_mode 1
		.amdhsa_fp16_overflow 0
		.amdhsa_exception_fp_ieee_invalid_op 0
		.amdhsa_exception_fp_denorm_src 0
		.amdhsa_exception_fp_ieee_div_zero 0
		.amdhsa_exception_fp_ieee_overflow 0
		.amdhsa_exception_fp_ieee_underflow 0
		.amdhsa_exception_fp_ieee_inexact 0
		.amdhsa_exception_int_div_zero 0
	.end_amdhsa_kernel
	.section	.text._ZL32rocblas_syrkx_herkx_small_kernelIl19rocblas_complex_numIfELi16ELb1ELb0ELc78ELc85EKPKS1_KPS1_EviT_T0_PT6_S7_lSA_S7_lS8_PT7_S7_li,"axG",@progbits,_ZL32rocblas_syrkx_herkx_small_kernelIl19rocblas_complex_numIfELi16ELb1ELb0ELc78ELc85EKPKS1_KPS1_EviT_T0_PT6_S7_lSA_S7_lS8_PT7_S7_li,comdat
.Lfunc_end1595:
	.size	_ZL32rocblas_syrkx_herkx_small_kernelIl19rocblas_complex_numIfELi16ELb1ELb0ELc78ELc85EKPKS1_KPS1_EviT_T0_PT6_S7_lSA_S7_lS8_PT7_S7_li, .Lfunc_end1595-_ZL32rocblas_syrkx_herkx_small_kernelIl19rocblas_complex_numIfELi16ELb1ELb0ELc78ELc85EKPKS1_KPS1_EviT_T0_PT6_S7_lSA_S7_lS8_PT7_S7_li
                                        ; -- End function
	.set _ZL32rocblas_syrkx_herkx_small_kernelIl19rocblas_complex_numIfELi16ELb1ELb0ELc78ELc85EKPKS1_KPS1_EviT_T0_PT6_S7_lSA_S7_lS8_PT7_S7_li.num_vgpr, 62
	.set _ZL32rocblas_syrkx_herkx_small_kernelIl19rocblas_complex_numIfELi16ELb1ELb0ELc78ELc85EKPKS1_KPS1_EviT_T0_PT6_S7_lSA_S7_lS8_PT7_S7_li.num_agpr, 0
	.set _ZL32rocblas_syrkx_herkx_small_kernelIl19rocblas_complex_numIfELi16ELb1ELb0ELc78ELc85EKPKS1_KPS1_EviT_T0_PT6_S7_lSA_S7_lS8_PT7_S7_li.numbered_sgpr, 25
	.set _ZL32rocblas_syrkx_herkx_small_kernelIl19rocblas_complex_numIfELi16ELb1ELb0ELc78ELc85EKPKS1_KPS1_EviT_T0_PT6_S7_lSA_S7_lS8_PT7_S7_li.num_named_barrier, 0
	.set _ZL32rocblas_syrkx_herkx_small_kernelIl19rocblas_complex_numIfELi16ELb1ELb0ELc78ELc85EKPKS1_KPS1_EviT_T0_PT6_S7_lSA_S7_lS8_PT7_S7_li.private_seg_size, 0
	.set _ZL32rocblas_syrkx_herkx_small_kernelIl19rocblas_complex_numIfELi16ELb1ELb0ELc78ELc85EKPKS1_KPS1_EviT_T0_PT6_S7_lSA_S7_lS8_PT7_S7_li.uses_vcc, 1
	.set _ZL32rocblas_syrkx_herkx_small_kernelIl19rocblas_complex_numIfELi16ELb1ELb0ELc78ELc85EKPKS1_KPS1_EviT_T0_PT6_S7_lSA_S7_lS8_PT7_S7_li.uses_flat_scratch, 0
	.set _ZL32rocblas_syrkx_herkx_small_kernelIl19rocblas_complex_numIfELi16ELb1ELb0ELc78ELc85EKPKS1_KPS1_EviT_T0_PT6_S7_lSA_S7_lS8_PT7_S7_li.has_dyn_sized_stack, 0
	.set _ZL32rocblas_syrkx_herkx_small_kernelIl19rocblas_complex_numIfELi16ELb1ELb0ELc78ELc85EKPKS1_KPS1_EviT_T0_PT6_S7_lSA_S7_lS8_PT7_S7_li.has_recursion, 0
	.set _ZL32rocblas_syrkx_herkx_small_kernelIl19rocblas_complex_numIfELi16ELb1ELb0ELc78ELc85EKPKS1_KPS1_EviT_T0_PT6_S7_lSA_S7_lS8_PT7_S7_li.has_indirect_call, 0
	.section	.AMDGPU.csdata,"",@progbits
; Kernel info:
; codeLenInByte = 1300
; TotalNumSgprs: 29
; NumVgprs: 62
; ScratchSize: 0
; MemoryBound: 1
; FloatMode: 240
; IeeeMode: 1
; LDSByteSize: 4096 bytes/workgroup (compile time only)
; SGPRBlocks: 3
; VGPRBlocks: 15
; NumSGPRsForWavesPerEU: 29
; NumVGPRsForWavesPerEU: 62
; Occupancy: 4
; WaveLimiterHint : 1
; COMPUTE_PGM_RSRC2:SCRATCH_EN: 0
; COMPUTE_PGM_RSRC2:USER_SGPR: 6
; COMPUTE_PGM_RSRC2:TRAP_HANDLER: 0
; COMPUTE_PGM_RSRC2:TGID_X_EN: 1
; COMPUTE_PGM_RSRC2:TGID_Y_EN: 1
; COMPUTE_PGM_RSRC2:TGID_Z_EN: 1
; COMPUTE_PGM_RSRC2:TIDIG_COMP_CNT: 1
	.section	.text._ZL32rocblas_syrkx_herkx_small_kernelIl19rocblas_complex_numIfELi16ELb0ELb0ELc84ELc76EKPKS1_KPS1_EviT_T0_PT6_S7_lSA_S7_lS8_PT7_S7_li,"axG",@progbits,_ZL32rocblas_syrkx_herkx_small_kernelIl19rocblas_complex_numIfELi16ELb0ELb0ELc84ELc76EKPKS1_KPS1_EviT_T0_PT6_S7_lSA_S7_lS8_PT7_S7_li,comdat
	.globl	_ZL32rocblas_syrkx_herkx_small_kernelIl19rocblas_complex_numIfELi16ELb0ELb0ELc84ELc76EKPKS1_KPS1_EviT_T0_PT6_S7_lSA_S7_lS8_PT7_S7_li ; -- Begin function _ZL32rocblas_syrkx_herkx_small_kernelIl19rocblas_complex_numIfELi16ELb0ELb0ELc84ELc76EKPKS1_KPS1_EviT_T0_PT6_S7_lSA_S7_lS8_PT7_S7_li
	.p2align	8
	.type	_ZL32rocblas_syrkx_herkx_small_kernelIl19rocblas_complex_numIfELi16ELb0ELb0ELc84ELc76EKPKS1_KPS1_EviT_T0_PT6_S7_lSA_S7_lS8_PT7_S7_li,@function
_ZL32rocblas_syrkx_herkx_small_kernelIl19rocblas_complex_numIfELi16ELb0ELb0ELc84ELc76EKPKS1_KPS1_EviT_T0_PT6_S7_lSA_S7_lS8_PT7_S7_li: ; @_ZL32rocblas_syrkx_herkx_small_kernelIl19rocblas_complex_numIfELi16ELb0ELb0ELc84ELc76EKPKS1_KPS1_EviT_T0_PT6_S7_lSA_S7_lS8_PT7_S7_li
; %bb.0:
	s_load_dwordx2 s[10:11], s[4:5], 0x58
	s_load_dwordx4 s[20:23], s[4:5], 0x48
	s_load_dword s24, s[4:5], 0x0
	s_load_dwordx8 s[12:19], s[4:5], 0x8
	s_mov_b32 s9, 0
	s_lshl_b64 s[2:3], s[8:9], 3
	s_waitcnt lgkmcnt(0)
	s_add_u32 s0, s22, s2
	s_addc_u32 s1, s23, s3
	s_load_dwordx2 s[8:9], s[0:1], 0x0
	v_cmp_lt_i64_e64 s[0:1], s[12:13], 1
	v_lshl_add_u32 v2, s6, 4, v0
	v_lshl_add_u32 v12, s7, 4, v1
	s_and_b64 vcc, exec, s[0:1]
	v_cmp_gt_i32_e64 s[0:1], s24, v2
	v_ashrrev_i32_e32 v3, 31, v2
	v_ashrrev_i32_e32 v13, 31, v12
	s_cbranch_vccnz .LBB1596_11
; %bb.1:
	s_load_dwordx4 s[4:7], s[4:5], 0x30
	v_lshlrev_b32_e32 v14, 3, v0
	v_lshlrev_b32_e32 v7, 7, v1
	v_add_u32_e32 v15, v14, v7
	v_add_u32_e32 v16, 0x800, v7
	s_waitcnt lgkmcnt(0)
	s_add_u32 s4, s4, s2
	s_addc_u32 s5, s5, s3
	s_add_u32 s2, s16, s2
	s_addc_u32 s3, s17, s3
	s_load_dwordx2 s[16:17], s[2:3], 0x0
	v_mul_lo_u32 v8, s7, v12
	v_mul_lo_u32 v9, s6, v13
	v_mad_u64_u32 v[5:6], s[2:3], s6, v12, 0
	s_load_dwordx2 s[4:5], s[4:5], 0x0
	v_mul_lo_u32 v11, s19, v2
	v_add3_u32 v6, v6, v9, v8
	v_lshlrev_b64 v[5:6], 3, v[5:6]
	v_mul_lo_u32 v18, s18, v3
	v_add_co_u32_e64 v5, s[2:3], v5, v14
	v_addc_co_u32_e64 v7, s[2:3], 0, v6, s[2:3]
	v_mad_u64_u32 v[8:9], s[2:3], s18, v2, 0
	s_waitcnt lgkmcnt(0)
	v_mov_b32_e32 v10, s5
	v_add_co_u32_e64 v6, s[2:3], s4, v5
	v_add3_u32 v9, v9, v18, v11
	v_lshlrev_b64 v[8:9], 3, v[8:9]
	v_addc_co_u32_e64 v7, s[2:3], v10, v7, s[2:3]
	v_lshlrev_b32_e32 v5, 3, v1
	v_add_co_u32_e64 v5, s[2:3], v8, v5
	v_addc_co_u32_e64 v9, s[2:3], 0, v9, s[2:3]
	v_mov_b32_e32 v10, s17
	v_add_co_u32_e64 v8, s[2:3], s16, v5
	v_cmp_gt_i32_e32 vcc, s24, v12
	v_addc_co_u32_e64 v9, s[2:3], v10, v9, s[2:3]
	v_mov_b32_e32 v10, s12
	v_mov_b32_e32 v4, 0
	v_add_u32_e32 v17, v16, v14
	s_mov_b64 s[2:3], 0
	s_xor_b64 s[4:5], s[0:1], -1
	s_xor_b64 s[6:7], vcc, -1
	v_mov_b32_e32 v11, s13
	v_mov_b32_e32 v18, 0
	;; [unrolled: 1-line block ×3, first 2 shown]
	s_branch .LBB1596_3
.LBB1596_2:                             ;   in Loop: Header=BB1596_3 Depth=1
	s_or_b64 exec, exec, s[0:1]
	s_waitcnt lgkmcnt(0)
	s_barrier
	ds_read2_b64 v[20:23], v14 offset1:16
	ds_read_b128 v[24:27], v16
	ds_read_b128 v[28:31], v16 offset:16
	ds_read2_b64 v[32:35], v14 offset0:32 offset1:48
	s_add_u32 s2, s2, 16
	v_add_co_u32_e32 v6, vcc, 0x80, v6
	s_waitcnt lgkmcnt(2)
	v_mul_f32_e32 v5, v25, v21
	v_mul_f32_e32 v36, v24, v21
	v_fma_f32 v5, v24, v20, -v5
	v_fmac_f32_e32 v36, v25, v20
	v_mul_f32_e32 v20, v27, v23
	v_fma_f32 v37, v26, v22, -v20
	v_mul_f32_e32 v38, v26, v23
	s_waitcnt lgkmcnt(0)
	v_mul_f32_e32 v20, v29, v33
	v_fmac_f32_e32 v38, v27, v22
	v_fma_f32 v39, v28, v32, -v20
	ds_read2_b64 v[20:23], v14 offset0:64 offset1:80
	ds_read_b128 v[24:27], v16 offset:32
	v_mul_f32_e32 v40, v28, v33
	v_fmac_f32_e32 v40, v29, v32
	v_mul_f32_e32 v28, v31, v35
	v_mul_f32_e32 v42, v30, v35
	s_waitcnt lgkmcnt(0)
	v_mul_f32_e32 v32, v25, v21
	v_fma_f32 v41, v30, v34, -v28
	v_fmac_f32_e32 v42, v31, v34
	ds_read_b128 v[28:31], v16 offset:48
	v_fma_f32 v43, v24, v20, -v32
	ds_read2_b64 v[32:35], v14 offset0:96 offset1:112
	v_mul_f32_e32 v44, v24, v21
	v_fmac_f32_e32 v44, v25, v20
	v_mul_f32_e32 v20, v27, v23
	v_fma_f32 v45, v26, v22, -v20
	v_mul_f32_e32 v46, v26, v23
	s_waitcnt lgkmcnt(0)
	v_mul_f32_e32 v20, v29, v33
	v_fmac_f32_e32 v46, v27, v22
	v_fma_f32 v47, v28, v32, -v20
	ds_read2_b64 v[20:23], v14 offset0:128 offset1:144
	ds_read_b128 v[24:27], v16 offset:64
	v_mul_f32_e32 v48, v28, v33
	v_fmac_f32_e32 v48, v29, v32
	v_mul_f32_e32 v28, v31, v35
	v_mul_f32_e32 v50, v30, v35
	s_waitcnt lgkmcnt(0)
	v_mul_f32_e32 v32, v25, v21
	v_fma_f32 v49, v30, v34, -v28
	v_fmac_f32_e32 v50, v31, v34
	ds_read_b128 v[28:31], v16 offset:80
	v_fma_f32 v51, v24, v20, -v32
	ds_read2_b64 v[32:35], v14 offset0:160 offset1:176
	v_mul_f32_e32 v52, v24, v21
	v_add_f32_e32 v18, v18, v36
	v_fmac_f32_e32 v52, v25, v20
	v_mul_f32_e32 v20, v27, v23
	v_add_f32_e32 v18, v18, v38
	v_fma_f32 v53, v26, v22, -v20
	v_mul_f32_e32 v54, v26, v23
	s_waitcnt lgkmcnt(0)
	v_mul_f32_e32 v20, v29, v33
	v_add_f32_e32 v18, v18, v40
	v_fmac_f32_e32 v54, v27, v22
	v_fma_f32 v55, v28, v32, -v20
	ds_read2_b64 v[20:23], v14 offset0:192 offset1:208
	ds_read_b128 v[24:27], v16 offset:96
	v_add_f32_e32 v18, v18, v42
	v_add_f32_e32 v18, v18, v44
	;; [unrolled: 1-line block ×6, first 2 shown]
	v_mul_f32_e32 v33, v28, v33
	v_mul_f32_e32 v28, v31, v35
	;; [unrolled: 1-line block ×3, first 2 shown]
	v_add_f32_e32 v5, v5, v39
	v_add_f32_e32 v18, v18, v50
	v_fmac_f32_e32 v33, v29, v32
	v_fma_f32 v32, v30, v34, -v28
	v_fmac_f32_e32 v35, v31, v34
	s_waitcnt lgkmcnt(0)
	v_mul_f32_e32 v34, v25, v21
	v_add_f32_e32 v5, v5, v41
	v_add_f32_e32 v18, v18, v52
	v_fma_f32 v34, v24, v20, -v34
	v_mul_f32_e32 v24, v24, v21
	v_add_f32_e32 v5, v5, v43
	v_add_f32_e32 v18, v18, v54
	v_fmac_f32_e32 v24, v25, v20
	v_mul_f32_e32 v20, v27, v23
	v_mul_f32_e32 v23, v26, v23
	v_add_f32_e32 v5, v5, v45
	v_add_f32_e32 v18, v18, v33
	ds_read_b128 v[28:31], v16 offset:112
	v_fma_f32 v25, v26, v22, -v20
	v_fmac_f32_e32 v23, v27, v22
	v_add_f32_e32 v5, v5, v47
	v_add_f32_e32 v22, v18, v35
	ds_read2_b64 v[18:21], v14 offset0:224 offset1:240
	v_add_f32_e32 v5, v5, v49
	v_add_f32_e32 v5, v5, v51
	;; [unrolled: 1-line block ×7, first 2 shown]
	s_waitcnt lgkmcnt(0)
	v_mul_f32_e32 v23, v29, v19
	v_mul_f32_e32 v19, v28, v19
	v_add_f32_e32 v5, v5, v34
	v_fmac_f32_e32 v19, v29, v18
	s_addc_u32 s3, s3, 0
	v_addc_co_u32_e32 v7, vcc, 0, v7, vcc
	v_add_f32_e32 v5, v5, v25
	v_fma_f32 v23, v28, v18, -v23
	v_add_f32_e32 v18, v22, v19
	v_mul_f32_e32 v19, v31, v21
	v_mul_f32_e32 v21, v30, v21
	v_add_co_u32_e32 v8, vcc, 0x80, v8
	v_cmp_ge_i64_e64 s[0:1], s[2:3], v[10:11]
	v_add_f32_e32 v5, v5, v23
	v_fma_f32 v19, v30, v20, -v19
	v_fmac_f32_e32 v21, v31, v20
	v_addc_co_u32_e32 v9, vcc, 0, v9, vcc
	v_add_f32_e32 v19, v5, v19
	v_add_f32_e32 v18, v18, v21
	s_and_b64 vcc, exec, s[0:1]
	s_barrier
	s_cbranch_vccnz .LBB1596_12
.LBB1596_3:                             ; =>This Inner Loop Header: Depth=1
	v_mov_b32_e32 v5, s3
	v_add_co_u32_e32 v20, vcc, s2, v1
	v_addc_co_u32_e32 v21, vcc, 0, v5, vcc
	v_cmp_le_i64_e32 vcc, s[12:13], v[20:21]
	s_or_b64 s[0:1], s[4:5], vcc
	s_and_saveexec_b64 s[16:17], s[0:1]
	s_xor_b64 s[0:1], exec, s[16:17]
; %bb.4:                                ;   in Loop: Header=BB1596_3 Depth=1
	v_mov_b32_e32 v5, v4
	ds_write_b64 v15, v[4:5]
; %bb.5:                                ;   in Loop: Header=BB1596_3 Depth=1
	s_andn2_saveexec_b64 s[0:1], s[0:1]
	s_cbranch_execz .LBB1596_7
; %bb.6:                                ;   in Loop: Header=BB1596_3 Depth=1
	flat_load_dwordx2 v[20:21], v[8:9]
	s_waitcnt vmcnt(0) lgkmcnt(0)
	ds_write_b64 v15, v[20:21]
.LBB1596_7:                             ;   in Loop: Header=BB1596_3 Depth=1
	s_or_b64 exec, exec, s[0:1]
	v_mov_b32_e32 v5, s3
	v_add_co_u32_e32 v20, vcc, s2, v0
	v_addc_co_u32_e32 v21, vcc, 0, v5, vcc
	v_cmp_le_i64_e32 vcc, s[12:13], v[20:21]
	s_or_b64 s[0:1], s[6:7], vcc
	s_and_saveexec_b64 s[16:17], s[0:1]
	s_xor_b64 s[0:1], exec, s[16:17]
; %bb.8:                                ;   in Loop: Header=BB1596_3 Depth=1
	v_mov_b32_e32 v5, v4
	ds_write_b64 v17, v[4:5]
; %bb.9:                                ;   in Loop: Header=BB1596_3 Depth=1
	s_andn2_saveexec_b64 s[0:1], s[0:1]
	s_cbranch_execz .LBB1596_2
; %bb.10:                               ;   in Loop: Header=BB1596_3 Depth=1
	flat_load_dwordx2 v[20:21], v[6:7]
	s_waitcnt vmcnt(0) lgkmcnt(0)
	ds_write_b64 v17, v[20:21]
	s_branch .LBB1596_2
.LBB1596_11:
	v_mov_b32_e32 v18, 0
	v_mov_b32_e32 v19, 0
.LBB1596_12:
	v_cmp_le_i32_e32 vcc, v12, v2
	v_cmp_gt_i32_e64 s[0:1], s24, v2
	s_and_b64 s[0:1], vcc, s[0:1]
	s_and_saveexec_b64 s[2:3], s[0:1]
	s_cbranch_execz .LBB1596_14
; %bb.13:
	v_mul_lo_u32 v4, s11, v12
	v_mul_lo_u32 v5, s10, v13
	v_mad_u64_u32 v[0:1], s[0:1], s10, v12, 0
	v_add3_u32 v1, v1, v5, v4
	v_lshlrev_b64 v[0:1], 3, v[0:1]
	s_waitcnt lgkmcnt(0)
	v_mov_b32_e32 v4, s9
	v_add_co_u32_e32 v5, vcc, s8, v0
	v_addc_co_u32_e32 v4, vcc, v4, v1, vcc
	v_lshlrev_b64 v[0:1], 3, v[2:3]
	v_add_co_u32_e32 v0, vcc, v5, v0
	v_addc_co_u32_e32 v1, vcc, v4, v1, vcc
	flat_load_dwordx2 v[2:3], v[0:1]
	v_mul_f32_e32 v4, s15, v18
	v_mul_f32_e32 v5, s14, v18
	v_fma_f32 v4, v19, s14, -v4
	v_fmac_f32_e32 v5, s15, v19
	s_waitcnt vmcnt(0) lgkmcnt(0)
	v_mul_f32_e32 v6, s21, v3
	v_mul_f32_e32 v3, s20, v3
	v_fma_f32 v6, v2, s20, -v6
	v_fmac_f32_e32 v3, s21, v2
	v_add_f32_e32 v2, v4, v6
	v_add_f32_e32 v3, v5, v3
	flat_store_dwordx2 v[0:1], v[2:3]
.LBB1596_14:
	s_endpgm
	.section	.rodata,"a",@progbits
	.p2align	6, 0x0
	.amdhsa_kernel _ZL32rocblas_syrkx_herkx_small_kernelIl19rocblas_complex_numIfELi16ELb0ELb0ELc84ELc76EKPKS1_KPS1_EviT_T0_PT6_S7_lSA_S7_lS8_PT7_S7_li
		.amdhsa_group_segment_fixed_size 4096
		.amdhsa_private_segment_fixed_size 0
		.amdhsa_kernarg_size 108
		.amdhsa_user_sgpr_count 6
		.amdhsa_user_sgpr_private_segment_buffer 1
		.amdhsa_user_sgpr_dispatch_ptr 0
		.amdhsa_user_sgpr_queue_ptr 0
		.amdhsa_user_sgpr_kernarg_segment_ptr 1
		.amdhsa_user_sgpr_dispatch_id 0
		.amdhsa_user_sgpr_flat_scratch_init 0
		.amdhsa_user_sgpr_private_segment_size 0
		.amdhsa_uses_dynamic_stack 0
		.amdhsa_system_sgpr_private_segment_wavefront_offset 0
		.amdhsa_system_sgpr_workgroup_id_x 1
		.amdhsa_system_sgpr_workgroup_id_y 1
		.amdhsa_system_sgpr_workgroup_id_z 1
		.amdhsa_system_sgpr_workgroup_info 0
		.amdhsa_system_vgpr_workitem_id 1
		.amdhsa_next_free_vgpr 56
		.amdhsa_next_free_sgpr 25
		.amdhsa_reserve_vcc 1
		.amdhsa_reserve_flat_scratch 0
		.amdhsa_float_round_mode_32 0
		.amdhsa_float_round_mode_16_64 0
		.amdhsa_float_denorm_mode_32 3
		.amdhsa_float_denorm_mode_16_64 3
		.amdhsa_dx10_clamp 1
		.amdhsa_ieee_mode 1
		.amdhsa_fp16_overflow 0
		.amdhsa_exception_fp_ieee_invalid_op 0
		.amdhsa_exception_fp_denorm_src 0
		.amdhsa_exception_fp_ieee_div_zero 0
		.amdhsa_exception_fp_ieee_overflow 0
		.amdhsa_exception_fp_ieee_underflow 0
		.amdhsa_exception_fp_ieee_inexact 0
		.amdhsa_exception_int_div_zero 0
	.end_amdhsa_kernel
	.section	.text._ZL32rocblas_syrkx_herkx_small_kernelIl19rocblas_complex_numIfELi16ELb0ELb0ELc84ELc76EKPKS1_KPS1_EviT_T0_PT6_S7_lSA_S7_lS8_PT7_S7_li,"axG",@progbits,_ZL32rocblas_syrkx_herkx_small_kernelIl19rocblas_complex_numIfELi16ELb0ELb0ELc84ELc76EKPKS1_KPS1_EviT_T0_PT6_S7_lSA_S7_lS8_PT7_S7_li,comdat
.Lfunc_end1596:
	.size	_ZL32rocblas_syrkx_herkx_small_kernelIl19rocblas_complex_numIfELi16ELb0ELb0ELc84ELc76EKPKS1_KPS1_EviT_T0_PT6_S7_lSA_S7_lS8_PT7_S7_li, .Lfunc_end1596-_ZL32rocblas_syrkx_herkx_small_kernelIl19rocblas_complex_numIfELi16ELb0ELb0ELc84ELc76EKPKS1_KPS1_EviT_T0_PT6_S7_lSA_S7_lS8_PT7_S7_li
                                        ; -- End function
	.set _ZL32rocblas_syrkx_herkx_small_kernelIl19rocblas_complex_numIfELi16ELb0ELb0ELc84ELc76EKPKS1_KPS1_EviT_T0_PT6_S7_lSA_S7_lS8_PT7_S7_li.num_vgpr, 56
	.set _ZL32rocblas_syrkx_herkx_small_kernelIl19rocblas_complex_numIfELi16ELb0ELb0ELc84ELc76EKPKS1_KPS1_EviT_T0_PT6_S7_lSA_S7_lS8_PT7_S7_li.num_agpr, 0
	.set _ZL32rocblas_syrkx_herkx_small_kernelIl19rocblas_complex_numIfELi16ELb0ELb0ELc84ELc76EKPKS1_KPS1_EviT_T0_PT6_S7_lSA_S7_lS8_PT7_S7_li.numbered_sgpr, 25
	.set _ZL32rocblas_syrkx_herkx_small_kernelIl19rocblas_complex_numIfELi16ELb0ELb0ELc84ELc76EKPKS1_KPS1_EviT_T0_PT6_S7_lSA_S7_lS8_PT7_S7_li.num_named_barrier, 0
	.set _ZL32rocblas_syrkx_herkx_small_kernelIl19rocblas_complex_numIfELi16ELb0ELb0ELc84ELc76EKPKS1_KPS1_EviT_T0_PT6_S7_lSA_S7_lS8_PT7_S7_li.private_seg_size, 0
	.set _ZL32rocblas_syrkx_herkx_small_kernelIl19rocblas_complex_numIfELi16ELb0ELb0ELc84ELc76EKPKS1_KPS1_EviT_T0_PT6_S7_lSA_S7_lS8_PT7_S7_li.uses_vcc, 1
	.set _ZL32rocblas_syrkx_herkx_small_kernelIl19rocblas_complex_numIfELi16ELb0ELb0ELc84ELc76EKPKS1_KPS1_EviT_T0_PT6_S7_lSA_S7_lS8_PT7_S7_li.uses_flat_scratch, 0
	.set _ZL32rocblas_syrkx_herkx_small_kernelIl19rocblas_complex_numIfELi16ELb0ELb0ELc84ELc76EKPKS1_KPS1_EviT_T0_PT6_S7_lSA_S7_lS8_PT7_S7_li.has_dyn_sized_stack, 0
	.set _ZL32rocblas_syrkx_herkx_small_kernelIl19rocblas_complex_numIfELi16ELb0ELb0ELc84ELc76EKPKS1_KPS1_EviT_T0_PT6_S7_lSA_S7_lS8_PT7_S7_li.has_recursion, 0
	.set _ZL32rocblas_syrkx_herkx_small_kernelIl19rocblas_complex_numIfELi16ELb0ELb0ELc84ELc76EKPKS1_KPS1_EviT_T0_PT6_S7_lSA_S7_lS8_PT7_S7_li.has_indirect_call, 0
	.section	.AMDGPU.csdata,"",@progbits
; Kernel info:
; codeLenInByte = 1368
; TotalNumSgprs: 29
; NumVgprs: 56
; ScratchSize: 0
; MemoryBound: 1
; FloatMode: 240
; IeeeMode: 1
; LDSByteSize: 4096 bytes/workgroup (compile time only)
; SGPRBlocks: 3
; VGPRBlocks: 13
; NumSGPRsForWavesPerEU: 29
; NumVGPRsForWavesPerEU: 56
; Occupancy: 4
; WaveLimiterHint : 1
; COMPUTE_PGM_RSRC2:SCRATCH_EN: 0
; COMPUTE_PGM_RSRC2:USER_SGPR: 6
; COMPUTE_PGM_RSRC2:TRAP_HANDLER: 0
; COMPUTE_PGM_RSRC2:TGID_X_EN: 1
; COMPUTE_PGM_RSRC2:TGID_Y_EN: 1
; COMPUTE_PGM_RSRC2:TGID_Z_EN: 1
; COMPUTE_PGM_RSRC2:TIDIG_COMP_CNT: 1
	.section	.text._ZL32rocblas_syrkx_herkx_small_kernelIl19rocblas_complex_numIfELi16ELb0ELb0ELc67ELc76EKPKS1_KPS1_EviT_T0_PT6_S7_lSA_S7_lS8_PT7_S7_li,"axG",@progbits,_ZL32rocblas_syrkx_herkx_small_kernelIl19rocblas_complex_numIfELi16ELb0ELb0ELc67ELc76EKPKS1_KPS1_EviT_T0_PT6_S7_lSA_S7_lS8_PT7_S7_li,comdat
	.globl	_ZL32rocblas_syrkx_herkx_small_kernelIl19rocblas_complex_numIfELi16ELb0ELb0ELc67ELc76EKPKS1_KPS1_EviT_T0_PT6_S7_lSA_S7_lS8_PT7_S7_li ; -- Begin function _ZL32rocblas_syrkx_herkx_small_kernelIl19rocblas_complex_numIfELi16ELb0ELb0ELc67ELc76EKPKS1_KPS1_EviT_T0_PT6_S7_lSA_S7_lS8_PT7_S7_li
	.p2align	8
	.type	_ZL32rocblas_syrkx_herkx_small_kernelIl19rocblas_complex_numIfELi16ELb0ELb0ELc67ELc76EKPKS1_KPS1_EviT_T0_PT6_S7_lSA_S7_lS8_PT7_S7_li,@function
_ZL32rocblas_syrkx_herkx_small_kernelIl19rocblas_complex_numIfELi16ELb0ELb0ELc67ELc76EKPKS1_KPS1_EviT_T0_PT6_S7_lSA_S7_lS8_PT7_S7_li: ; @_ZL32rocblas_syrkx_herkx_small_kernelIl19rocblas_complex_numIfELi16ELb0ELb0ELc67ELc76EKPKS1_KPS1_EviT_T0_PT6_S7_lSA_S7_lS8_PT7_S7_li
; %bb.0:
	s_load_dwordx2 s[10:11], s[4:5], 0x58
	s_load_dwordx4 s[20:23], s[4:5], 0x48
	s_load_dword s24, s[4:5], 0x0
	s_load_dwordx8 s[12:19], s[4:5], 0x8
	s_mov_b32 s9, 0
	s_lshl_b64 s[2:3], s[8:9], 3
	s_waitcnt lgkmcnt(0)
	s_add_u32 s0, s22, s2
	s_addc_u32 s1, s23, s3
	s_load_dwordx2 s[8:9], s[0:1], 0x0
	v_cmp_lt_i64_e64 s[0:1], s[12:13], 1
	v_lshl_add_u32 v2, s6, 4, v0
	v_lshl_add_u32 v14, s7, 4, v1
	s_and_b64 vcc, exec, s[0:1]
	v_cmp_gt_i32_e64 s[0:1], s24, v2
	v_ashrrev_i32_e32 v3, 31, v2
	v_ashrrev_i32_e32 v15, 31, v14
	s_cbranch_vccnz .LBB1597_9
; %bb.1:
	s_load_dwordx4 s[4:7], s[4:5], 0x30
	v_lshlrev_b32_e32 v16, 3, v0
	v_lshlrev_b32_e32 v7, 7, v1
	v_add_u32_e32 v17, v16, v7
	v_add_u32_e32 v18, 0x800, v7
	s_waitcnt lgkmcnt(0)
	s_add_u32 s4, s4, s2
	s_addc_u32 s5, s5, s3
	s_add_u32 s2, s16, s2
	s_addc_u32 s3, s17, s3
	s_load_dwordx2 s[16:17], s[2:3], 0x0
	v_mul_lo_u32 v8, s7, v14
	v_mul_lo_u32 v9, s6, v15
	v_mad_u64_u32 v[5:6], s[2:3], s6, v14, 0
	s_load_dwordx2 s[4:5], s[4:5], 0x0
	v_mul_lo_u32 v11, s19, v2
	v_add3_u32 v6, v6, v9, v8
	v_lshlrev_b64 v[5:6], 3, v[5:6]
	v_mul_lo_u32 v12, s18, v3
	v_add_co_u32_e64 v5, s[2:3], v5, v16
	v_addc_co_u32_e64 v7, s[2:3], 0, v6, s[2:3]
	v_mad_u64_u32 v[8:9], s[2:3], s18, v2, 0
	s_waitcnt lgkmcnt(0)
	v_mov_b32_e32 v10, s5
	v_add_co_u32_e64 v6, s[2:3], s4, v5
	v_add3_u32 v9, v9, v12, v11
	v_lshlrev_b64 v[8:9], 3, v[8:9]
	v_addc_co_u32_e64 v7, s[2:3], v10, v7, s[2:3]
	v_lshlrev_b32_e32 v5, 3, v1
	v_add_co_u32_e64 v5, s[2:3], v8, v5
	v_addc_co_u32_e64 v9, s[2:3], 0, v9, s[2:3]
	v_mov_b32_e32 v10, s17
	v_add_co_u32_e64 v8, s[2:3], s16, v5
	v_cmp_gt_i32_e32 vcc, s24, v14
	v_addc_co_u32_e64 v9, s[2:3], v10, v9, s[2:3]
	v_mov_b32_e32 v10, s12
	v_mov_b32_e32 v4, 0
	v_add_u32_e32 v19, v18, v16
	s_mov_b64 s[4:5], 0
	s_xor_b64 s[6:7], vcc, -1
	v_mov_b32_e32 v11, s13
	v_mov_b32_e32 v20, 0
	;; [unrolled: 1-line block ×3, first 2 shown]
	s_branch .LBB1597_3
.LBB1597_2:                             ;   in Loop: Header=BB1597_3 Depth=1
	s_or_b64 exec, exec, s[2:3]
	s_waitcnt lgkmcnt(0)
	s_barrier
	ds_read2_b64 v[22:25], v16 offset1:16
	ds_read_b128 v[26:29], v18
	ds_read_b128 v[30:33], v18 offset:16
	ds_read2_b64 v[34:37], v16 offset0:32 offset1:48
	s_add_u32 s4, s4, 16
	v_add_co_u32_e32 v6, vcc, 0x80, v6
	s_waitcnt lgkmcnt(2)
	v_mul_f32_e32 v5, v27, v23
	v_mul_f32_e32 v12, v26, v23
	v_fma_f32 v5, v26, v22, -v5
	v_fmac_f32_e32 v12, v27, v22
	v_mul_f32_e32 v13, v29, v25
	v_mul_f32_e32 v38, v28, v25
	s_waitcnt lgkmcnt(0)
	v_mul_f32_e32 v22, v31, v35
	v_fma_f32 v13, v28, v24, -v13
	v_fmac_f32_e32 v38, v29, v24
	v_fma_f32 v39, v30, v34, -v22
	ds_read2_b64 v[22:25], v16 offset0:64 offset1:80
	ds_read_b128 v[26:29], v18 offset:32
	v_mul_f32_e32 v40, v30, v35
	v_fmac_f32_e32 v40, v31, v34
	v_mul_f32_e32 v30, v33, v37
	v_mul_f32_e32 v42, v32, v37
	s_waitcnt lgkmcnt(0)
	v_mul_f32_e32 v34, v27, v23
	v_fma_f32 v41, v32, v36, -v30
	v_fmac_f32_e32 v42, v33, v36
	ds_read_b128 v[30:33], v18 offset:48
	v_fma_f32 v43, v26, v22, -v34
	ds_read2_b64 v[34:37], v16 offset0:96 offset1:112
	v_mul_f32_e32 v44, v26, v23
	v_fmac_f32_e32 v44, v27, v22
	v_mul_f32_e32 v22, v29, v25
	v_fma_f32 v45, v28, v24, -v22
	v_mul_f32_e32 v46, v28, v25
	s_waitcnt lgkmcnt(0)
	v_mul_f32_e32 v22, v31, v35
	v_fmac_f32_e32 v46, v29, v24
	v_fma_f32 v47, v30, v34, -v22
	ds_read2_b64 v[22:25], v16 offset0:128 offset1:144
	ds_read_b128 v[26:29], v18 offset:64
	v_mul_f32_e32 v48, v30, v35
	v_fmac_f32_e32 v48, v31, v34
	v_mul_f32_e32 v30, v33, v37
	v_mul_f32_e32 v50, v32, v37
	s_waitcnt lgkmcnt(0)
	v_mul_f32_e32 v34, v27, v23
	v_fma_f32 v49, v32, v36, -v30
	v_fmac_f32_e32 v50, v33, v36
	ds_read_b128 v[30:33], v18 offset:80
	v_fma_f32 v51, v26, v22, -v34
	ds_read2_b64 v[34:37], v16 offset0:160 offset1:176
	v_mul_f32_e32 v52, v26, v23
	v_fmac_f32_e32 v52, v27, v22
	v_mul_f32_e32 v22, v29, v25
	v_fma_f32 v53, v28, v24, -v22
	v_mul_f32_e32 v54, v28, v25
	s_waitcnt lgkmcnt(0)
	v_mul_f32_e32 v22, v31, v35
	v_fmac_f32_e32 v54, v29, v24
	v_fma_f32 v55, v30, v34, -v22
	ds_read2_b64 v[22:25], v16 offset0:192 offset1:208
	ds_read_b128 v[26:29], v18 offset:96
	v_add_f32_e32 v5, v21, v5
	v_add_f32_e32 v12, v20, v12
	;; [unrolled: 1-line block ×5, first 2 shown]
	v_mul_f32_e32 v35, v30, v35
	v_mul_f32_e32 v30, v33, v37
	;; [unrolled: 1-line block ×3, first 2 shown]
	v_add_f32_e32 v12, v12, v40
	v_add_f32_e32 v5, v5, v41
	v_fmac_f32_e32 v35, v31, v34
	v_fma_f32 v34, v32, v36, -v30
	v_fmac_f32_e32 v37, v33, v36
	s_waitcnt lgkmcnt(0)
	v_mul_f32_e32 v36, v27, v23
	v_add_f32_e32 v12, v12, v42
	v_add_f32_e32 v5, v5, v43
	v_fma_f32 v36, v26, v22, -v36
	v_mul_f32_e32 v26, v26, v23
	v_add_f32_e32 v12, v12, v44
	v_add_f32_e32 v5, v5, v45
	v_fmac_f32_e32 v26, v27, v22
	v_mul_f32_e32 v22, v29, v25
	v_add_f32_e32 v12, v12, v46
	v_add_f32_e32 v5, v5, v47
	ds_read_b128 v[30:33], v18 offset:112
	v_fma_f32 v27, v28, v24, -v22
	v_add_f32_e32 v12, v12, v48
	v_add_f32_e32 v5, v5, v49
	ds_read2_b64 v[20:23], v16 offset0:224 offset1:240
	v_add_f32_e32 v12, v12, v50
	v_add_f32_e32 v5, v5, v51
	;; [unrolled: 1-line block ×8, first 2 shown]
	v_mul_f32_e32 v25, v28, v25
	v_add_f32_e32 v12, v12, v37
	v_add_f32_e32 v5, v5, v36
	s_waitcnt lgkmcnt(0)
	v_mul_f32_e32 v13, v31, v21
	v_fmac_f32_e32 v25, v29, v24
	v_add_f32_e32 v12, v12, v26
	v_add_f32_e32 v5, v5, v27
	v_fma_f32 v13, v30, v20, -v13
	v_mul_f32_e32 v21, v30, v21
	s_addc_u32 s5, s5, 0
	v_addc_co_u32_e32 v7, vcc, 0, v7, vcc
	v_add_f32_e32 v12, v12, v25
	v_fmac_f32_e32 v21, v31, v20
	v_add_f32_e32 v5, v5, v13
	v_mul_f32_e32 v13, v33, v23
	v_mul_f32_e32 v20, v32, v23
	v_add_co_u32_e32 v8, vcc, 0x80, v8
	v_cmp_ge_i64_e64 s[2:3], s[4:5], v[10:11]
	v_add_f32_e32 v12, v12, v21
	v_fma_f32 v13, v32, v22, -v13
	v_fmac_f32_e32 v20, v33, v22
	v_addc_co_u32_e32 v9, vcc, 0, v9, vcc
	v_add_f32_e32 v21, v5, v13
	v_add_f32_e32 v20, v12, v20
	s_and_b64 vcc, exec, s[2:3]
	s_barrier
	s_cbranch_vccnz .LBB1597_10
.LBB1597_3:                             ; =>This Inner Loop Header: Depth=1
	v_mov_b32_e32 v5, s5
	v_add_co_u32_e32 v12, vcc, s4, v1
	v_addc_co_u32_e32 v13, vcc, 0, v5, vcc
	v_cmp_gt_i64_e32 vcc, s[12:13], v[12:13]
	v_mov_b32_e32 v12, 0
	s_and_b64 s[16:17], s[0:1], vcc
	v_mov_b32_e32 v13, 0
	s_and_saveexec_b64 s[2:3], s[16:17]
	s_cbranch_execz .LBB1597_5
; %bb.4:                                ;   in Loop: Header=BB1597_3 Depth=1
	flat_load_dwordx2 v[12:13], v[8:9]
.LBB1597_5:                             ;   in Loop: Header=BB1597_3 Depth=1
	s_or_b64 exec, exec, s[2:3]
	v_mov_b32_e32 v5, s5
	v_add_co_u32_e32 v22, vcc, s4, v0
	v_addc_co_u32_e32 v23, vcc, 0, v5, vcc
	v_cmp_le_i64_e32 vcc, s[12:13], v[22:23]
	s_waitcnt vmcnt(0) lgkmcnt(0)
	ds_write_b64 v17, v[12:13]
	s_or_b64 s[2:3], s[6:7], vcc
	s_and_saveexec_b64 s[16:17], s[2:3]
	s_xor_b64 s[2:3], exec, s[16:17]
; %bb.6:                                ;   in Loop: Header=BB1597_3 Depth=1
	v_mov_b32_e32 v5, v4
	ds_write_b64 v19, v[4:5]
; %bb.7:                                ;   in Loop: Header=BB1597_3 Depth=1
	s_andn2_saveexec_b64 s[2:3], s[2:3]
	s_cbranch_execz .LBB1597_2
; %bb.8:                                ;   in Loop: Header=BB1597_3 Depth=1
	flat_load_dwordx2 v[12:13], v[6:7]
	s_waitcnt vmcnt(0) lgkmcnt(0)
	ds_write_b64 v19, v[12:13]
	s_branch .LBB1597_2
.LBB1597_9:
	v_mov_b32_e32 v20, 0
	v_mov_b32_e32 v21, 0
.LBB1597_10:
	v_cmp_le_i32_e32 vcc, v14, v2
	v_cmp_gt_i32_e64 s[0:1], s24, v2
	s_and_b64 s[0:1], vcc, s[0:1]
	s_and_saveexec_b64 s[2:3], s[0:1]
	s_cbranch_execz .LBB1597_12
; %bb.11:
	v_mul_lo_u32 v4, s11, v14
	v_mul_lo_u32 v5, s10, v15
	v_mad_u64_u32 v[0:1], s[0:1], s10, v14, 0
	v_add3_u32 v1, v1, v5, v4
	v_lshlrev_b64 v[0:1], 3, v[0:1]
	s_waitcnt lgkmcnt(0)
	v_mov_b32_e32 v4, s9
	v_add_co_u32_e32 v5, vcc, s8, v0
	v_addc_co_u32_e32 v4, vcc, v4, v1, vcc
	v_lshlrev_b64 v[0:1], 3, v[2:3]
	v_add_co_u32_e32 v0, vcc, v5, v0
	v_addc_co_u32_e32 v1, vcc, v4, v1, vcc
	flat_load_dwordx2 v[2:3], v[0:1]
	v_mul_f32_e32 v4, s15, v20
	v_mul_f32_e32 v5, s14, v20
	v_fma_f32 v4, v21, s14, -v4
	v_fmac_f32_e32 v5, s15, v21
	s_waitcnt vmcnt(0) lgkmcnt(0)
	v_mul_f32_e32 v6, s21, v3
	v_mul_f32_e32 v3, s20, v3
	v_fma_f32 v6, v2, s20, -v6
	v_fmac_f32_e32 v3, s21, v2
	v_add_f32_e32 v2, v4, v6
	v_add_f32_e32 v3, v5, v3
	flat_store_dwordx2 v[0:1], v[2:3]
.LBB1597_12:
	s_endpgm
	.section	.rodata,"a",@progbits
	.p2align	6, 0x0
	.amdhsa_kernel _ZL32rocblas_syrkx_herkx_small_kernelIl19rocblas_complex_numIfELi16ELb0ELb0ELc67ELc76EKPKS1_KPS1_EviT_T0_PT6_S7_lSA_S7_lS8_PT7_S7_li
		.amdhsa_group_segment_fixed_size 4096
		.amdhsa_private_segment_fixed_size 0
		.amdhsa_kernarg_size 108
		.amdhsa_user_sgpr_count 6
		.amdhsa_user_sgpr_private_segment_buffer 1
		.amdhsa_user_sgpr_dispatch_ptr 0
		.amdhsa_user_sgpr_queue_ptr 0
		.amdhsa_user_sgpr_kernarg_segment_ptr 1
		.amdhsa_user_sgpr_dispatch_id 0
		.amdhsa_user_sgpr_flat_scratch_init 0
		.amdhsa_user_sgpr_private_segment_size 0
		.amdhsa_uses_dynamic_stack 0
		.amdhsa_system_sgpr_private_segment_wavefront_offset 0
		.amdhsa_system_sgpr_workgroup_id_x 1
		.amdhsa_system_sgpr_workgroup_id_y 1
		.amdhsa_system_sgpr_workgroup_id_z 1
		.amdhsa_system_sgpr_workgroup_info 0
		.amdhsa_system_vgpr_workitem_id 1
		.amdhsa_next_free_vgpr 56
		.amdhsa_next_free_sgpr 25
		.amdhsa_reserve_vcc 1
		.amdhsa_reserve_flat_scratch 0
		.amdhsa_float_round_mode_32 0
		.amdhsa_float_round_mode_16_64 0
		.amdhsa_float_denorm_mode_32 3
		.amdhsa_float_denorm_mode_16_64 3
		.amdhsa_dx10_clamp 1
		.amdhsa_ieee_mode 1
		.amdhsa_fp16_overflow 0
		.amdhsa_exception_fp_ieee_invalid_op 0
		.amdhsa_exception_fp_denorm_src 0
		.amdhsa_exception_fp_ieee_div_zero 0
		.amdhsa_exception_fp_ieee_overflow 0
		.amdhsa_exception_fp_ieee_underflow 0
		.amdhsa_exception_fp_ieee_inexact 0
		.amdhsa_exception_int_div_zero 0
	.end_amdhsa_kernel
	.section	.text._ZL32rocblas_syrkx_herkx_small_kernelIl19rocblas_complex_numIfELi16ELb0ELb0ELc67ELc76EKPKS1_KPS1_EviT_T0_PT6_S7_lSA_S7_lS8_PT7_S7_li,"axG",@progbits,_ZL32rocblas_syrkx_herkx_small_kernelIl19rocblas_complex_numIfELi16ELb0ELb0ELc67ELc76EKPKS1_KPS1_EviT_T0_PT6_S7_lSA_S7_lS8_PT7_S7_li,comdat
.Lfunc_end1597:
	.size	_ZL32rocblas_syrkx_herkx_small_kernelIl19rocblas_complex_numIfELi16ELb0ELb0ELc67ELc76EKPKS1_KPS1_EviT_T0_PT6_S7_lSA_S7_lS8_PT7_S7_li, .Lfunc_end1597-_ZL32rocblas_syrkx_herkx_small_kernelIl19rocblas_complex_numIfELi16ELb0ELb0ELc67ELc76EKPKS1_KPS1_EviT_T0_PT6_S7_lSA_S7_lS8_PT7_S7_li
                                        ; -- End function
	.set _ZL32rocblas_syrkx_herkx_small_kernelIl19rocblas_complex_numIfELi16ELb0ELb0ELc67ELc76EKPKS1_KPS1_EviT_T0_PT6_S7_lSA_S7_lS8_PT7_S7_li.num_vgpr, 56
	.set _ZL32rocblas_syrkx_herkx_small_kernelIl19rocblas_complex_numIfELi16ELb0ELb0ELc67ELc76EKPKS1_KPS1_EviT_T0_PT6_S7_lSA_S7_lS8_PT7_S7_li.num_agpr, 0
	.set _ZL32rocblas_syrkx_herkx_small_kernelIl19rocblas_complex_numIfELi16ELb0ELb0ELc67ELc76EKPKS1_KPS1_EviT_T0_PT6_S7_lSA_S7_lS8_PT7_S7_li.numbered_sgpr, 25
	.set _ZL32rocblas_syrkx_herkx_small_kernelIl19rocblas_complex_numIfELi16ELb0ELb0ELc67ELc76EKPKS1_KPS1_EviT_T0_PT6_S7_lSA_S7_lS8_PT7_S7_li.num_named_barrier, 0
	.set _ZL32rocblas_syrkx_herkx_small_kernelIl19rocblas_complex_numIfELi16ELb0ELb0ELc67ELc76EKPKS1_KPS1_EviT_T0_PT6_S7_lSA_S7_lS8_PT7_S7_li.private_seg_size, 0
	.set _ZL32rocblas_syrkx_herkx_small_kernelIl19rocblas_complex_numIfELi16ELb0ELb0ELc67ELc76EKPKS1_KPS1_EviT_T0_PT6_S7_lSA_S7_lS8_PT7_S7_li.uses_vcc, 1
	.set _ZL32rocblas_syrkx_herkx_small_kernelIl19rocblas_complex_numIfELi16ELb0ELb0ELc67ELc76EKPKS1_KPS1_EviT_T0_PT6_S7_lSA_S7_lS8_PT7_S7_li.uses_flat_scratch, 0
	.set _ZL32rocblas_syrkx_herkx_small_kernelIl19rocblas_complex_numIfELi16ELb0ELb0ELc67ELc76EKPKS1_KPS1_EviT_T0_PT6_S7_lSA_S7_lS8_PT7_S7_li.has_dyn_sized_stack, 0
	.set _ZL32rocblas_syrkx_herkx_small_kernelIl19rocblas_complex_numIfELi16ELb0ELb0ELc67ELc76EKPKS1_KPS1_EviT_T0_PT6_S7_lSA_S7_lS8_PT7_S7_li.has_recursion, 0
	.set _ZL32rocblas_syrkx_herkx_small_kernelIl19rocblas_complex_numIfELi16ELb0ELb0ELc67ELc76EKPKS1_KPS1_EviT_T0_PT6_S7_lSA_S7_lS8_PT7_S7_li.has_indirect_call, 0
	.section	.AMDGPU.csdata,"",@progbits
; Kernel info:
; codeLenInByte = 1352
; TotalNumSgprs: 29
; NumVgprs: 56
; ScratchSize: 0
; MemoryBound: 1
; FloatMode: 240
; IeeeMode: 1
; LDSByteSize: 4096 bytes/workgroup (compile time only)
; SGPRBlocks: 3
; VGPRBlocks: 13
; NumSGPRsForWavesPerEU: 29
; NumVGPRsForWavesPerEU: 56
; Occupancy: 4
; WaveLimiterHint : 1
; COMPUTE_PGM_RSRC2:SCRATCH_EN: 0
; COMPUTE_PGM_RSRC2:USER_SGPR: 6
; COMPUTE_PGM_RSRC2:TRAP_HANDLER: 0
; COMPUTE_PGM_RSRC2:TGID_X_EN: 1
; COMPUTE_PGM_RSRC2:TGID_Y_EN: 1
; COMPUTE_PGM_RSRC2:TGID_Z_EN: 1
; COMPUTE_PGM_RSRC2:TIDIG_COMP_CNT: 1
	.section	.text._ZL32rocblas_syrkx_herkx_small_kernelIl19rocblas_complex_numIfELi16ELb0ELb0ELc78ELc76EKPKS1_KPS1_EviT_T0_PT6_S7_lSA_S7_lS8_PT7_S7_li,"axG",@progbits,_ZL32rocblas_syrkx_herkx_small_kernelIl19rocblas_complex_numIfELi16ELb0ELb0ELc78ELc76EKPKS1_KPS1_EviT_T0_PT6_S7_lSA_S7_lS8_PT7_S7_li,comdat
	.globl	_ZL32rocblas_syrkx_herkx_small_kernelIl19rocblas_complex_numIfELi16ELb0ELb0ELc78ELc76EKPKS1_KPS1_EviT_T0_PT6_S7_lSA_S7_lS8_PT7_S7_li ; -- Begin function _ZL32rocblas_syrkx_herkx_small_kernelIl19rocblas_complex_numIfELi16ELb0ELb0ELc78ELc76EKPKS1_KPS1_EviT_T0_PT6_S7_lSA_S7_lS8_PT7_S7_li
	.p2align	8
	.type	_ZL32rocblas_syrkx_herkx_small_kernelIl19rocblas_complex_numIfELi16ELb0ELb0ELc78ELc76EKPKS1_KPS1_EviT_T0_PT6_S7_lSA_S7_lS8_PT7_S7_li,@function
_ZL32rocblas_syrkx_herkx_small_kernelIl19rocblas_complex_numIfELi16ELb0ELb0ELc78ELc76EKPKS1_KPS1_EviT_T0_PT6_S7_lSA_S7_lS8_PT7_S7_li: ; @_ZL32rocblas_syrkx_herkx_small_kernelIl19rocblas_complex_numIfELi16ELb0ELb0ELc78ELc76EKPKS1_KPS1_EviT_T0_PT6_S7_lSA_S7_lS8_PT7_S7_li
; %bb.0:
	s_load_dwordx2 s[10:11], s[4:5], 0x58
	s_load_dwordx4 s[20:23], s[4:5], 0x48
	s_load_dword s24, s[4:5], 0x0
	s_load_dwordx8 s[12:19], s[4:5], 0x8
	s_mov_b32 s9, 0
	s_lshl_b64 s[0:1], s[8:9], 3
	s_waitcnt lgkmcnt(0)
	s_add_u32 s2, s22, s0
	s_addc_u32 s3, s23, s1
	s_load_dwordx2 s[8:9], s[2:3], 0x0
	v_cmp_lt_i64_e64 s[2:3], s[12:13], 1
	v_lshl_add_u32 v2, s6, 4, v0
	v_lshl_add_u32 v4, s7, 4, v1
	s_and_b64 vcc, exec, s[2:3]
	v_cmp_gt_i32_e64 s[2:3], s24, v2
	v_ashrrev_i32_e32 v3, 31, v2
	v_ashrrev_i32_e32 v5, 31, v4
	s_cbranch_vccnz .LBB1598_9
; %bb.1:
	s_load_dwordx4 s[4:7], s[4:5], 0x30
	v_mad_u64_u32 v[11:12], s[22:23], s18, v1, 0
	v_lshlrev_b32_e32 v10, 7, v1
	v_lshlrev_b32_e32 v16, 3, v0
	s_waitcnt lgkmcnt(0)
	s_add_u32 s4, s4, s0
	v_mad_u64_u32 v[7:8], s[22:23], s6, v0, 0
	s_addc_u32 s5, s5, s1
	s_add_u32 s0, s16, s0
	s_addc_u32 s1, s17, s1
	s_load_dwordx2 s[16:17], s[0:1], 0x0
	v_mad_u64_u32 v[8:9], s[0:1], s7, v0, v[8:9]
	v_add_u32_e32 v17, v16, v10
	v_add_u32_e32 v18, 0x800, v10
	v_lshlrev_b64 v[7:8], 3, v[7:8]
	v_lshlrev_b64 v[9:10], 3, v[4:5]
	s_load_dwordx2 s[4:5], s[4:5], 0x0
	v_add_co_u32_e32 v9, vcc, v7, v9
	v_mov_b32_e32 v7, v12
	v_addc_co_u32_e32 v10, vcc, v8, v10, vcc
	v_mad_u64_u32 v[7:8], s[22:23], s19, v1, v[7:8]
	s_waitcnt lgkmcnt(0)
	v_mov_b32_e32 v13, s5
	v_add_co_u32_e32 v8, vcc, s4, v9
	v_mov_b32_e32 v12, v7
	v_addc_co_u32_e32 v9, vcc, v13, v10, vcc
	v_lshlrev_b64 v[10:11], 3, v[11:12]
	v_lshlrev_b64 v[12:13], 3, v[2:3]
	s_lshl_b64 s[4:5], s[6:7], 7
	v_add_co_u32_e32 v7, vcc, v10, v12
	v_addc_co_u32_e32 v11, vcc, v11, v13, vcc
	v_mov_b32_e32 v12, s17
	v_add_co_u32_e32 v10, vcc, s16, v7
	v_addc_co_u32_e32 v11, vcc, v12, v11, vcc
	s_lshl_b64 s[6:7], s[18:19], 7
	v_mov_b32_e32 v12, s12
	v_mov_b32_e32 v6, 0
	v_cmp_gt_i32_e64 s[0:1], s24, v4
	v_add_u32_e32 v19, v18, v16
	s_mov_b64 s[16:17], 0
	s_xor_b64 s[18:19], s[2:3], -1
	v_mov_b32_e32 v22, s5
	v_mov_b32_e32 v23, s7
	;; [unrolled: 1-line block ×5, first 2 shown]
	s_branch .LBB1598_3
.LBB1598_2:                             ;   in Loop: Header=BB1598_3 Depth=1
	s_or_b64 exec, exec, s[2:3]
	s_waitcnt vmcnt(0) lgkmcnt(0)
	ds_write_b64 v19, v[14:15]
	s_waitcnt lgkmcnt(0)
	s_barrier
	ds_read2_b64 v[24:27], v16 offset1:16
	ds_read_b128 v[28:31], v18
	ds_read_b128 v[32:35], v18 offset:16
	ds_read2_b64 v[36:39], v16 offset0:32 offset1:48
	s_add_u32 s16, s16, 16
	v_add_co_u32_e32 v8, vcc, s4, v8
	s_waitcnt lgkmcnt(2)
	v_mul_f32_e32 v7, v29, v25
	v_mul_f32_e32 v14, v28, v25
	v_fma_f32 v7, v28, v24, -v7
	v_fmac_f32_e32 v14, v29, v24
	v_mul_f32_e32 v15, v31, v27
	v_mul_f32_e32 v40, v30, v27
	s_waitcnt lgkmcnt(0)
	v_mul_f32_e32 v24, v33, v37
	v_fma_f32 v15, v30, v26, -v15
	v_fmac_f32_e32 v40, v31, v26
	v_fma_f32 v41, v32, v36, -v24
	ds_read2_b64 v[24:27], v16 offset0:64 offset1:80
	ds_read_b128 v[28:31], v18 offset:32
	v_mul_f32_e32 v42, v32, v37
	v_fmac_f32_e32 v42, v33, v36
	v_mul_f32_e32 v32, v35, v39
	v_mul_f32_e32 v44, v34, v39
	s_waitcnt lgkmcnt(0)
	v_mul_f32_e32 v36, v29, v25
	v_fma_f32 v43, v34, v38, -v32
	v_fmac_f32_e32 v44, v35, v38
	ds_read_b128 v[32:35], v18 offset:48
	v_fma_f32 v45, v28, v24, -v36
	ds_read2_b64 v[36:39], v16 offset0:96 offset1:112
	v_mul_f32_e32 v46, v28, v25
	v_fmac_f32_e32 v46, v29, v24
	v_mul_f32_e32 v24, v31, v27
	v_fma_f32 v47, v30, v26, -v24
	v_mul_f32_e32 v48, v30, v27
	s_waitcnt lgkmcnt(0)
	v_mul_f32_e32 v24, v33, v37
	v_fmac_f32_e32 v48, v31, v26
	v_fma_f32 v49, v32, v36, -v24
	ds_read2_b64 v[24:27], v16 offset0:128 offset1:144
	ds_read_b128 v[28:31], v18 offset:64
	v_mul_f32_e32 v50, v32, v37
	v_fmac_f32_e32 v50, v33, v36
	v_mul_f32_e32 v32, v35, v39
	v_mul_f32_e32 v52, v34, v39
	s_waitcnt lgkmcnt(0)
	v_mul_f32_e32 v36, v29, v25
	v_fma_f32 v51, v34, v38, -v32
	v_fmac_f32_e32 v52, v35, v38
	ds_read_b128 v[32:35], v18 offset:80
	v_fma_f32 v53, v28, v24, -v36
	ds_read2_b64 v[36:39], v16 offset0:160 offset1:176
	v_mul_f32_e32 v54, v28, v25
	v_fmac_f32_e32 v54, v29, v24
	v_mul_f32_e32 v24, v31, v27
	v_fma_f32 v55, v30, v26, -v24
	v_mul_f32_e32 v56, v30, v27
	s_waitcnt lgkmcnt(0)
	v_mul_f32_e32 v24, v33, v37
	v_add_f32_e32 v7, v21, v7
	v_add_f32_e32 v14, v20, v14
	v_fmac_f32_e32 v56, v31, v26
	v_fma_f32 v57, v32, v36, -v24
	ds_read2_b64 v[24:27], v16 offset0:192 offset1:208
	ds_read_b128 v[28:31], v18 offset:96
	v_add_f32_e32 v7, v7, v15
	v_add_f32_e32 v14, v14, v40
	;; [unrolled: 1-line block ×8, first 2 shown]
	v_mul_f32_e32 v58, v32, v37
	v_add_f32_e32 v7, v7, v47
	v_add_f32_e32 v14, v14, v48
	v_fmac_f32_e32 v58, v33, v36
	v_mul_f32_e32 v32, v35, v39
	v_mul_f32_e32 v60, v34, v39
	s_waitcnt lgkmcnt(0)
	v_mul_f32_e32 v36, v29, v25
	v_add_f32_e32 v7, v7, v49
	v_add_f32_e32 v14, v14, v50
	v_fma_f32 v59, v34, v38, -v32
	v_fmac_f32_e32 v60, v35, v38
	ds_read_b128 v[32:35], v18 offset:112
	v_fma_f32 v61, v28, v24, -v36
	ds_read2_b64 v[36:39], v16 offset0:224 offset1:240
	v_add_f32_e32 v7, v7, v51
	v_add_f32_e32 v14, v14, v52
	;; [unrolled: 1-line block ×6, first 2 shown]
	v_mul_f32_e32 v25, v28, v25
	v_add_f32_e32 v7, v7, v57
	v_add_f32_e32 v14, v14, v58
	v_fmac_f32_e32 v25, v29, v24
	v_mul_f32_e32 v24, v31, v27
	v_mul_f32_e32 v27, v30, v27
	v_add_f32_e32 v7, v7, v59
	v_add_f32_e32 v14, v14, v60
	v_fma_f32 v24, v30, v26, -v24
	v_fmac_f32_e32 v27, v31, v26
	s_waitcnt lgkmcnt(0)
	v_mul_f32_e32 v26, v33, v37
	v_mul_f32_e32 v28, v32, v37
	v_add_f32_e32 v7, v7, v61
	v_add_f32_e32 v14, v14, v25
	s_addc_u32 s17, s17, 0
	v_addc_co_u32_e32 v9, vcc, v9, v22, vcc
	v_fma_f32 v26, v32, v36, -v26
	v_fmac_f32_e32 v28, v33, v36
	v_mul_f32_e32 v29, v35, v39
	v_mul_f32_e32 v30, v34, v39
	v_add_f32_e32 v7, v7, v24
	v_add_f32_e32 v14, v14, v27
	v_cmp_ge_i64_e32 vcc, s[16:17], v[12:13]
	v_fma_f32 v29, v34, v38, -v29
	v_fmac_f32_e32 v30, v35, v38
	v_add_f32_e32 v7, v7, v26
	v_add_f32_e32 v14, v14, v28
	v_add_co_u32_e64 v10, s[2:3], s6, v10
	v_add_f32_e32 v21, v7, v29
	v_add_f32_e32 v20, v14, v30
	v_addc_co_u32_e64 v11, s[2:3], v11, v23, s[2:3]
	s_barrier
	s_cbranch_vccnz .LBB1598_10
.LBB1598_3:                             ; =>This Inner Loop Header: Depth=1
	v_mov_b32_e32 v7, s17
	v_add_co_u32_e32 v14, vcc, s16, v1
	v_addc_co_u32_e32 v15, vcc, 0, v7, vcc
	v_cmp_le_i64_e32 vcc, s[12:13], v[14:15]
	s_or_b64 s[2:3], s[18:19], vcc
	s_and_saveexec_b64 s[22:23], s[2:3]
	s_xor_b64 s[2:3], exec, s[22:23]
; %bb.4:                                ;   in Loop: Header=BB1598_3 Depth=1
	v_mov_b32_e32 v7, v6
	ds_write_b64 v17, v[6:7]
; %bb.5:                                ;   in Loop: Header=BB1598_3 Depth=1
	s_andn2_saveexec_b64 s[2:3], s[2:3]
	s_cbranch_execz .LBB1598_7
; %bb.6:                                ;   in Loop: Header=BB1598_3 Depth=1
	flat_load_dwordx2 v[14:15], v[10:11]
	s_waitcnt vmcnt(0) lgkmcnt(0)
	ds_write_b64 v17, v[14:15]
.LBB1598_7:                             ;   in Loop: Header=BB1598_3 Depth=1
	s_or_b64 exec, exec, s[2:3]
	v_mov_b32_e32 v7, s17
	v_add_co_u32_e32 v14, vcc, s16, v0
	v_addc_co_u32_e32 v15, vcc, 0, v7, vcc
	v_cmp_gt_i64_e32 vcc, s[12:13], v[14:15]
	v_mov_b32_e32 v14, 0
	s_and_b64 s[22:23], s[0:1], vcc
	v_mov_b32_e32 v15, 0
	s_and_saveexec_b64 s[2:3], s[22:23]
	s_cbranch_execz .LBB1598_2
; %bb.8:                                ;   in Loop: Header=BB1598_3 Depth=1
	flat_load_dwordx2 v[14:15], v[8:9]
	s_branch .LBB1598_2
.LBB1598_9:
	v_mov_b32_e32 v20, 0
	v_mov_b32_e32 v21, 0
.LBB1598_10:
	v_cmp_le_i32_e32 vcc, v4, v2
	v_cmp_gt_i32_e64 s[0:1], s24, v2
	s_and_b64 s[0:1], vcc, s[0:1]
	s_and_saveexec_b64 s[2:3], s[0:1]
	s_cbranch_execz .LBB1598_12
; %bb.11:
	v_mul_lo_u32 v6, s11, v4
	v_mul_lo_u32 v5, s10, v5
	v_mad_u64_u32 v[0:1], s[0:1], s10, v4, 0
	s_waitcnt lgkmcnt(0)
	v_mov_b32_e32 v4, s9
	v_add3_u32 v1, v1, v5, v6
	v_lshlrev_b64 v[0:1], 3, v[0:1]
	v_add_co_u32_e32 v5, vcc, s8, v0
	v_addc_co_u32_e32 v4, vcc, v4, v1, vcc
	v_lshlrev_b64 v[0:1], 3, v[2:3]
	v_add_co_u32_e32 v0, vcc, v5, v0
	v_addc_co_u32_e32 v1, vcc, v4, v1, vcc
	flat_load_dwordx2 v[2:3], v[0:1]
	v_mul_f32_e32 v4, s15, v20
	v_mul_f32_e32 v5, s14, v20
	v_fma_f32 v4, v21, s14, -v4
	v_fmac_f32_e32 v5, s15, v21
	s_waitcnt vmcnt(0) lgkmcnt(0)
	v_mul_f32_e32 v6, s21, v3
	v_mul_f32_e32 v3, s20, v3
	v_fma_f32 v6, v2, s20, -v6
	v_fmac_f32_e32 v3, s21, v2
	v_add_f32_e32 v2, v4, v6
	v_add_f32_e32 v3, v5, v3
	flat_store_dwordx2 v[0:1], v[2:3]
.LBB1598_12:
	s_endpgm
	.section	.rodata,"a",@progbits
	.p2align	6, 0x0
	.amdhsa_kernel _ZL32rocblas_syrkx_herkx_small_kernelIl19rocblas_complex_numIfELi16ELb0ELb0ELc78ELc76EKPKS1_KPS1_EviT_T0_PT6_S7_lSA_S7_lS8_PT7_S7_li
		.amdhsa_group_segment_fixed_size 4096
		.amdhsa_private_segment_fixed_size 0
		.amdhsa_kernarg_size 108
		.amdhsa_user_sgpr_count 6
		.amdhsa_user_sgpr_private_segment_buffer 1
		.amdhsa_user_sgpr_dispatch_ptr 0
		.amdhsa_user_sgpr_queue_ptr 0
		.amdhsa_user_sgpr_kernarg_segment_ptr 1
		.amdhsa_user_sgpr_dispatch_id 0
		.amdhsa_user_sgpr_flat_scratch_init 0
		.amdhsa_user_sgpr_private_segment_size 0
		.amdhsa_uses_dynamic_stack 0
		.amdhsa_system_sgpr_private_segment_wavefront_offset 0
		.amdhsa_system_sgpr_workgroup_id_x 1
		.amdhsa_system_sgpr_workgroup_id_y 1
		.amdhsa_system_sgpr_workgroup_id_z 1
		.amdhsa_system_sgpr_workgroup_info 0
		.amdhsa_system_vgpr_workitem_id 1
		.amdhsa_next_free_vgpr 62
		.amdhsa_next_free_sgpr 25
		.amdhsa_reserve_vcc 1
		.amdhsa_reserve_flat_scratch 0
		.amdhsa_float_round_mode_32 0
		.amdhsa_float_round_mode_16_64 0
		.amdhsa_float_denorm_mode_32 3
		.amdhsa_float_denorm_mode_16_64 3
		.amdhsa_dx10_clamp 1
		.amdhsa_ieee_mode 1
		.amdhsa_fp16_overflow 0
		.amdhsa_exception_fp_ieee_invalid_op 0
		.amdhsa_exception_fp_denorm_src 0
		.amdhsa_exception_fp_ieee_div_zero 0
		.amdhsa_exception_fp_ieee_overflow 0
		.amdhsa_exception_fp_ieee_underflow 0
		.amdhsa_exception_fp_ieee_inexact 0
		.amdhsa_exception_int_div_zero 0
	.end_amdhsa_kernel
	.section	.text._ZL32rocblas_syrkx_herkx_small_kernelIl19rocblas_complex_numIfELi16ELb0ELb0ELc78ELc76EKPKS1_KPS1_EviT_T0_PT6_S7_lSA_S7_lS8_PT7_S7_li,"axG",@progbits,_ZL32rocblas_syrkx_herkx_small_kernelIl19rocblas_complex_numIfELi16ELb0ELb0ELc78ELc76EKPKS1_KPS1_EviT_T0_PT6_S7_lSA_S7_lS8_PT7_S7_li,comdat
.Lfunc_end1598:
	.size	_ZL32rocblas_syrkx_herkx_small_kernelIl19rocblas_complex_numIfELi16ELb0ELb0ELc78ELc76EKPKS1_KPS1_EviT_T0_PT6_S7_lSA_S7_lS8_PT7_S7_li, .Lfunc_end1598-_ZL32rocblas_syrkx_herkx_small_kernelIl19rocblas_complex_numIfELi16ELb0ELb0ELc78ELc76EKPKS1_KPS1_EviT_T0_PT6_S7_lSA_S7_lS8_PT7_S7_li
                                        ; -- End function
	.set _ZL32rocblas_syrkx_herkx_small_kernelIl19rocblas_complex_numIfELi16ELb0ELb0ELc78ELc76EKPKS1_KPS1_EviT_T0_PT6_S7_lSA_S7_lS8_PT7_S7_li.num_vgpr, 62
	.set _ZL32rocblas_syrkx_herkx_small_kernelIl19rocblas_complex_numIfELi16ELb0ELb0ELc78ELc76EKPKS1_KPS1_EviT_T0_PT6_S7_lSA_S7_lS8_PT7_S7_li.num_agpr, 0
	.set _ZL32rocblas_syrkx_herkx_small_kernelIl19rocblas_complex_numIfELi16ELb0ELb0ELc78ELc76EKPKS1_KPS1_EviT_T0_PT6_S7_lSA_S7_lS8_PT7_S7_li.numbered_sgpr, 25
	.set _ZL32rocblas_syrkx_herkx_small_kernelIl19rocblas_complex_numIfELi16ELb0ELb0ELc78ELc76EKPKS1_KPS1_EviT_T0_PT6_S7_lSA_S7_lS8_PT7_S7_li.num_named_barrier, 0
	.set _ZL32rocblas_syrkx_herkx_small_kernelIl19rocblas_complex_numIfELi16ELb0ELb0ELc78ELc76EKPKS1_KPS1_EviT_T0_PT6_S7_lSA_S7_lS8_PT7_S7_li.private_seg_size, 0
	.set _ZL32rocblas_syrkx_herkx_small_kernelIl19rocblas_complex_numIfELi16ELb0ELb0ELc78ELc76EKPKS1_KPS1_EviT_T0_PT6_S7_lSA_S7_lS8_PT7_S7_li.uses_vcc, 1
	.set _ZL32rocblas_syrkx_herkx_small_kernelIl19rocblas_complex_numIfELi16ELb0ELb0ELc78ELc76EKPKS1_KPS1_EviT_T0_PT6_S7_lSA_S7_lS8_PT7_S7_li.uses_flat_scratch, 0
	.set _ZL32rocblas_syrkx_herkx_small_kernelIl19rocblas_complex_numIfELi16ELb0ELb0ELc78ELc76EKPKS1_KPS1_EviT_T0_PT6_S7_lSA_S7_lS8_PT7_S7_li.has_dyn_sized_stack, 0
	.set _ZL32rocblas_syrkx_herkx_small_kernelIl19rocblas_complex_numIfELi16ELb0ELb0ELc78ELc76EKPKS1_KPS1_EviT_T0_PT6_S7_lSA_S7_lS8_PT7_S7_li.has_recursion, 0
	.set _ZL32rocblas_syrkx_herkx_small_kernelIl19rocblas_complex_numIfELi16ELb0ELb0ELc78ELc76EKPKS1_KPS1_EviT_T0_PT6_S7_lSA_S7_lS8_PT7_S7_li.has_indirect_call, 0
	.section	.AMDGPU.csdata,"",@progbits
; Kernel info:
; codeLenInByte = 1320
; TotalNumSgprs: 29
; NumVgprs: 62
; ScratchSize: 0
; MemoryBound: 1
; FloatMode: 240
; IeeeMode: 1
; LDSByteSize: 4096 bytes/workgroup (compile time only)
; SGPRBlocks: 3
; VGPRBlocks: 15
; NumSGPRsForWavesPerEU: 29
; NumVGPRsForWavesPerEU: 62
; Occupancy: 4
; WaveLimiterHint : 1
; COMPUTE_PGM_RSRC2:SCRATCH_EN: 0
; COMPUTE_PGM_RSRC2:USER_SGPR: 6
; COMPUTE_PGM_RSRC2:TRAP_HANDLER: 0
; COMPUTE_PGM_RSRC2:TGID_X_EN: 1
; COMPUTE_PGM_RSRC2:TGID_Y_EN: 1
; COMPUTE_PGM_RSRC2:TGID_Z_EN: 1
; COMPUTE_PGM_RSRC2:TIDIG_COMP_CNT: 1
	.section	.text._ZL32rocblas_syrkx_herkx_small_kernelIl19rocblas_complex_numIfELi16ELb0ELb0ELc84ELc85EKPKS1_KPS1_EviT_T0_PT6_S7_lSA_S7_lS8_PT7_S7_li,"axG",@progbits,_ZL32rocblas_syrkx_herkx_small_kernelIl19rocblas_complex_numIfELi16ELb0ELb0ELc84ELc85EKPKS1_KPS1_EviT_T0_PT6_S7_lSA_S7_lS8_PT7_S7_li,comdat
	.globl	_ZL32rocblas_syrkx_herkx_small_kernelIl19rocblas_complex_numIfELi16ELb0ELb0ELc84ELc85EKPKS1_KPS1_EviT_T0_PT6_S7_lSA_S7_lS8_PT7_S7_li ; -- Begin function _ZL32rocblas_syrkx_herkx_small_kernelIl19rocblas_complex_numIfELi16ELb0ELb0ELc84ELc85EKPKS1_KPS1_EviT_T0_PT6_S7_lSA_S7_lS8_PT7_S7_li
	.p2align	8
	.type	_ZL32rocblas_syrkx_herkx_small_kernelIl19rocblas_complex_numIfELi16ELb0ELb0ELc84ELc85EKPKS1_KPS1_EviT_T0_PT6_S7_lSA_S7_lS8_PT7_S7_li,@function
_ZL32rocblas_syrkx_herkx_small_kernelIl19rocblas_complex_numIfELi16ELb0ELb0ELc84ELc85EKPKS1_KPS1_EviT_T0_PT6_S7_lSA_S7_lS8_PT7_S7_li: ; @_ZL32rocblas_syrkx_herkx_small_kernelIl19rocblas_complex_numIfELi16ELb0ELb0ELc84ELc85EKPKS1_KPS1_EviT_T0_PT6_S7_lSA_S7_lS8_PT7_S7_li
; %bb.0:
	s_load_dwordx2 s[10:11], s[4:5], 0x58
	s_load_dwordx4 s[20:23], s[4:5], 0x48
	s_load_dword s24, s[4:5], 0x0
	s_load_dwordx8 s[12:19], s[4:5], 0x8
	s_mov_b32 s9, 0
	s_lshl_b64 s[2:3], s[8:9], 3
	s_waitcnt lgkmcnt(0)
	s_add_u32 s0, s22, s2
	s_addc_u32 s1, s23, s3
	s_load_dwordx2 s[8:9], s[0:1], 0x0
	v_cmp_lt_i64_e64 s[0:1], s[12:13], 1
	v_lshl_add_u32 v2, s6, 4, v0
	v_lshl_add_u32 v12, s7, 4, v1
	s_and_b64 vcc, exec, s[0:1]
	v_ashrrev_i32_e32 v3, 31, v2
	v_cmp_gt_i32_e64 s[0:1], s24, v12
	v_ashrrev_i32_e32 v13, 31, v12
	s_cbranch_vccnz .LBB1599_11
; %bb.1:
	s_load_dwordx4 s[4:7], s[4:5], 0x30
	v_lshlrev_b32_e32 v14, 3, v0
	v_lshlrev_b32_e32 v7, 7, v1
	v_add_u32_e32 v15, v14, v7
	v_add_u32_e32 v16, 0x800, v7
	s_waitcnt lgkmcnt(0)
	s_add_u32 s4, s4, s2
	s_addc_u32 s5, s5, s3
	s_add_u32 s2, s16, s2
	s_addc_u32 s3, s17, s3
	s_load_dwordx2 s[16:17], s[2:3], 0x0
	v_mul_lo_u32 v8, s7, v12
	v_mul_lo_u32 v9, s6, v13
	v_mad_u64_u32 v[5:6], s[2:3], s6, v12, 0
	s_load_dwordx2 s[4:5], s[4:5], 0x0
	v_mul_lo_u32 v11, s19, v2
	v_add3_u32 v6, v6, v9, v8
	v_lshlrev_b64 v[5:6], 3, v[5:6]
	v_mul_lo_u32 v18, s18, v3
	v_add_co_u32_e64 v5, s[2:3], v5, v14
	v_addc_co_u32_e64 v7, s[2:3], 0, v6, s[2:3]
	v_mad_u64_u32 v[8:9], s[2:3], s18, v2, 0
	s_waitcnt lgkmcnt(0)
	v_mov_b32_e32 v10, s5
	v_add_co_u32_e64 v6, s[2:3], s4, v5
	v_add3_u32 v9, v9, v18, v11
	v_lshlrev_b64 v[8:9], 3, v[8:9]
	v_addc_co_u32_e64 v7, s[2:3], v10, v7, s[2:3]
	v_lshlrev_b32_e32 v5, 3, v1
	v_add_co_u32_e64 v5, s[2:3], v8, v5
	v_addc_co_u32_e64 v9, s[2:3], 0, v9, s[2:3]
	v_mov_b32_e32 v10, s17
	v_add_co_u32_e64 v8, s[2:3], s16, v5
	v_cmp_gt_i32_e32 vcc, s24, v2
	v_addc_co_u32_e64 v9, s[2:3], v10, v9, s[2:3]
	v_mov_b32_e32 v10, s12
	v_mov_b32_e32 v4, 0
	v_add_u32_e32 v17, v16, v14
	s_mov_b64 s[2:3], 0
	s_xor_b64 s[4:5], vcc, -1
	s_xor_b64 s[6:7], s[0:1], -1
	v_mov_b32_e32 v11, s13
	v_mov_b32_e32 v18, 0
	;; [unrolled: 1-line block ×3, first 2 shown]
	s_branch .LBB1599_3
.LBB1599_2:                             ;   in Loop: Header=BB1599_3 Depth=1
	s_or_b64 exec, exec, s[0:1]
	s_waitcnt lgkmcnt(0)
	s_barrier
	ds_read2_b64 v[20:23], v14 offset1:16
	ds_read_b128 v[24:27], v16
	ds_read_b128 v[28:31], v16 offset:16
	ds_read2_b64 v[32:35], v14 offset0:32 offset1:48
	s_add_u32 s2, s2, 16
	v_add_co_u32_e32 v6, vcc, 0x80, v6
	s_waitcnt lgkmcnt(2)
	v_mul_f32_e32 v5, v25, v21
	v_mul_f32_e32 v36, v24, v21
	v_fma_f32 v5, v24, v20, -v5
	v_fmac_f32_e32 v36, v25, v20
	v_mul_f32_e32 v20, v27, v23
	v_fma_f32 v37, v26, v22, -v20
	v_mul_f32_e32 v38, v26, v23
	s_waitcnt lgkmcnt(0)
	v_mul_f32_e32 v20, v29, v33
	v_fmac_f32_e32 v38, v27, v22
	v_fma_f32 v39, v28, v32, -v20
	ds_read2_b64 v[20:23], v14 offset0:64 offset1:80
	ds_read_b128 v[24:27], v16 offset:32
	v_mul_f32_e32 v40, v28, v33
	v_fmac_f32_e32 v40, v29, v32
	v_mul_f32_e32 v28, v31, v35
	v_mul_f32_e32 v42, v30, v35
	s_waitcnt lgkmcnt(0)
	v_mul_f32_e32 v32, v25, v21
	v_fma_f32 v41, v30, v34, -v28
	v_fmac_f32_e32 v42, v31, v34
	ds_read_b128 v[28:31], v16 offset:48
	v_fma_f32 v43, v24, v20, -v32
	ds_read2_b64 v[32:35], v14 offset0:96 offset1:112
	v_mul_f32_e32 v44, v24, v21
	v_fmac_f32_e32 v44, v25, v20
	v_mul_f32_e32 v20, v27, v23
	v_fma_f32 v45, v26, v22, -v20
	v_mul_f32_e32 v46, v26, v23
	s_waitcnt lgkmcnt(0)
	v_mul_f32_e32 v20, v29, v33
	v_fmac_f32_e32 v46, v27, v22
	v_fma_f32 v47, v28, v32, -v20
	ds_read2_b64 v[20:23], v14 offset0:128 offset1:144
	ds_read_b128 v[24:27], v16 offset:64
	v_mul_f32_e32 v48, v28, v33
	v_fmac_f32_e32 v48, v29, v32
	v_mul_f32_e32 v28, v31, v35
	v_mul_f32_e32 v50, v30, v35
	s_waitcnt lgkmcnt(0)
	v_mul_f32_e32 v32, v25, v21
	v_fma_f32 v49, v30, v34, -v28
	v_fmac_f32_e32 v50, v31, v34
	ds_read_b128 v[28:31], v16 offset:80
	v_fma_f32 v51, v24, v20, -v32
	ds_read2_b64 v[32:35], v14 offset0:160 offset1:176
	v_mul_f32_e32 v52, v24, v21
	v_add_f32_e32 v18, v18, v36
	v_fmac_f32_e32 v52, v25, v20
	v_mul_f32_e32 v20, v27, v23
	v_add_f32_e32 v18, v18, v38
	v_fma_f32 v53, v26, v22, -v20
	v_mul_f32_e32 v54, v26, v23
	s_waitcnt lgkmcnt(0)
	v_mul_f32_e32 v20, v29, v33
	v_add_f32_e32 v18, v18, v40
	v_fmac_f32_e32 v54, v27, v22
	v_fma_f32 v55, v28, v32, -v20
	ds_read2_b64 v[20:23], v14 offset0:192 offset1:208
	ds_read_b128 v[24:27], v16 offset:96
	v_add_f32_e32 v18, v18, v42
	v_add_f32_e32 v18, v18, v44
	;; [unrolled: 1-line block ×6, first 2 shown]
	v_mul_f32_e32 v33, v28, v33
	v_mul_f32_e32 v28, v31, v35
	;; [unrolled: 1-line block ×3, first 2 shown]
	v_add_f32_e32 v5, v5, v39
	v_add_f32_e32 v18, v18, v50
	v_fmac_f32_e32 v33, v29, v32
	v_fma_f32 v32, v30, v34, -v28
	v_fmac_f32_e32 v35, v31, v34
	s_waitcnt lgkmcnt(0)
	v_mul_f32_e32 v34, v25, v21
	v_add_f32_e32 v5, v5, v41
	v_add_f32_e32 v18, v18, v52
	v_fma_f32 v34, v24, v20, -v34
	v_mul_f32_e32 v24, v24, v21
	v_add_f32_e32 v5, v5, v43
	v_add_f32_e32 v18, v18, v54
	v_fmac_f32_e32 v24, v25, v20
	v_mul_f32_e32 v20, v27, v23
	v_mul_f32_e32 v23, v26, v23
	v_add_f32_e32 v5, v5, v45
	v_add_f32_e32 v18, v18, v33
	ds_read_b128 v[28:31], v16 offset:112
	v_fma_f32 v25, v26, v22, -v20
	v_fmac_f32_e32 v23, v27, v22
	v_add_f32_e32 v5, v5, v47
	v_add_f32_e32 v22, v18, v35
	ds_read2_b64 v[18:21], v14 offset0:224 offset1:240
	v_add_f32_e32 v5, v5, v49
	v_add_f32_e32 v5, v5, v51
	;; [unrolled: 1-line block ×7, first 2 shown]
	s_waitcnt lgkmcnt(0)
	v_mul_f32_e32 v23, v29, v19
	v_mul_f32_e32 v19, v28, v19
	v_add_f32_e32 v5, v5, v34
	v_fmac_f32_e32 v19, v29, v18
	s_addc_u32 s3, s3, 0
	v_addc_co_u32_e32 v7, vcc, 0, v7, vcc
	v_add_f32_e32 v5, v5, v25
	v_fma_f32 v23, v28, v18, -v23
	v_add_f32_e32 v18, v22, v19
	v_mul_f32_e32 v19, v31, v21
	v_mul_f32_e32 v21, v30, v21
	v_add_co_u32_e32 v8, vcc, 0x80, v8
	v_cmp_ge_i64_e64 s[0:1], s[2:3], v[10:11]
	v_add_f32_e32 v5, v5, v23
	v_fma_f32 v19, v30, v20, -v19
	v_fmac_f32_e32 v21, v31, v20
	v_addc_co_u32_e32 v9, vcc, 0, v9, vcc
	v_add_f32_e32 v19, v5, v19
	v_add_f32_e32 v18, v18, v21
	s_and_b64 vcc, exec, s[0:1]
	s_barrier
	s_cbranch_vccnz .LBB1599_12
.LBB1599_3:                             ; =>This Inner Loop Header: Depth=1
	v_mov_b32_e32 v5, s3
	v_add_co_u32_e32 v20, vcc, s2, v1
	v_addc_co_u32_e32 v21, vcc, 0, v5, vcc
	v_cmp_le_i64_e32 vcc, s[12:13], v[20:21]
	s_or_b64 s[0:1], s[4:5], vcc
	s_and_saveexec_b64 s[16:17], s[0:1]
	s_xor_b64 s[0:1], exec, s[16:17]
; %bb.4:                                ;   in Loop: Header=BB1599_3 Depth=1
	v_mov_b32_e32 v5, v4
	ds_write_b64 v15, v[4:5]
; %bb.5:                                ;   in Loop: Header=BB1599_3 Depth=1
	s_andn2_saveexec_b64 s[0:1], s[0:1]
	s_cbranch_execz .LBB1599_7
; %bb.6:                                ;   in Loop: Header=BB1599_3 Depth=1
	flat_load_dwordx2 v[20:21], v[8:9]
	s_waitcnt vmcnt(0) lgkmcnt(0)
	ds_write_b64 v15, v[20:21]
.LBB1599_7:                             ;   in Loop: Header=BB1599_3 Depth=1
	s_or_b64 exec, exec, s[0:1]
	v_mov_b32_e32 v5, s3
	v_add_co_u32_e32 v20, vcc, s2, v0
	v_addc_co_u32_e32 v21, vcc, 0, v5, vcc
	v_cmp_le_i64_e32 vcc, s[12:13], v[20:21]
	s_or_b64 s[0:1], s[6:7], vcc
	s_and_saveexec_b64 s[16:17], s[0:1]
	s_xor_b64 s[0:1], exec, s[16:17]
; %bb.8:                                ;   in Loop: Header=BB1599_3 Depth=1
	v_mov_b32_e32 v5, v4
	ds_write_b64 v17, v[4:5]
; %bb.9:                                ;   in Loop: Header=BB1599_3 Depth=1
	s_andn2_saveexec_b64 s[0:1], s[0:1]
	s_cbranch_execz .LBB1599_2
; %bb.10:                               ;   in Loop: Header=BB1599_3 Depth=1
	flat_load_dwordx2 v[20:21], v[6:7]
	s_waitcnt vmcnt(0) lgkmcnt(0)
	ds_write_b64 v17, v[20:21]
	s_branch .LBB1599_2
.LBB1599_11:
	v_mov_b32_e32 v18, 0
	v_mov_b32_e32 v19, 0
.LBB1599_12:
	v_cmp_le_i32_e32 vcc, v2, v12
	v_cmp_gt_i32_e64 s[0:1], s24, v12
	s_and_b64 s[0:1], vcc, s[0:1]
	s_and_saveexec_b64 s[2:3], s[0:1]
	s_cbranch_execz .LBB1599_14
; %bb.13:
	v_mul_lo_u32 v4, s11, v12
	v_mul_lo_u32 v5, s10, v13
	v_mad_u64_u32 v[0:1], s[0:1], s10, v12, 0
	v_add3_u32 v1, v1, v5, v4
	v_lshlrev_b64 v[0:1], 3, v[0:1]
	s_waitcnt lgkmcnt(0)
	v_mov_b32_e32 v4, s9
	v_add_co_u32_e32 v5, vcc, s8, v0
	v_addc_co_u32_e32 v4, vcc, v4, v1, vcc
	v_lshlrev_b64 v[0:1], 3, v[2:3]
	v_add_co_u32_e32 v0, vcc, v5, v0
	v_addc_co_u32_e32 v1, vcc, v4, v1, vcc
	flat_load_dwordx2 v[2:3], v[0:1]
	v_mul_f32_e32 v4, s15, v18
	v_mul_f32_e32 v5, s14, v18
	v_fma_f32 v4, v19, s14, -v4
	v_fmac_f32_e32 v5, s15, v19
	s_waitcnt vmcnt(0) lgkmcnt(0)
	v_mul_f32_e32 v6, s21, v3
	v_mul_f32_e32 v3, s20, v3
	v_fma_f32 v6, v2, s20, -v6
	v_fmac_f32_e32 v3, s21, v2
	v_add_f32_e32 v2, v4, v6
	v_add_f32_e32 v3, v5, v3
	flat_store_dwordx2 v[0:1], v[2:3]
.LBB1599_14:
	s_endpgm
	.section	.rodata,"a",@progbits
	.p2align	6, 0x0
	.amdhsa_kernel _ZL32rocblas_syrkx_herkx_small_kernelIl19rocblas_complex_numIfELi16ELb0ELb0ELc84ELc85EKPKS1_KPS1_EviT_T0_PT6_S7_lSA_S7_lS8_PT7_S7_li
		.amdhsa_group_segment_fixed_size 4096
		.amdhsa_private_segment_fixed_size 0
		.amdhsa_kernarg_size 108
		.amdhsa_user_sgpr_count 6
		.amdhsa_user_sgpr_private_segment_buffer 1
		.amdhsa_user_sgpr_dispatch_ptr 0
		.amdhsa_user_sgpr_queue_ptr 0
		.amdhsa_user_sgpr_kernarg_segment_ptr 1
		.amdhsa_user_sgpr_dispatch_id 0
		.amdhsa_user_sgpr_flat_scratch_init 0
		.amdhsa_user_sgpr_private_segment_size 0
		.amdhsa_uses_dynamic_stack 0
		.amdhsa_system_sgpr_private_segment_wavefront_offset 0
		.amdhsa_system_sgpr_workgroup_id_x 1
		.amdhsa_system_sgpr_workgroup_id_y 1
		.amdhsa_system_sgpr_workgroup_id_z 1
		.amdhsa_system_sgpr_workgroup_info 0
		.amdhsa_system_vgpr_workitem_id 1
		.amdhsa_next_free_vgpr 56
		.amdhsa_next_free_sgpr 25
		.amdhsa_reserve_vcc 1
		.amdhsa_reserve_flat_scratch 0
		.amdhsa_float_round_mode_32 0
		.amdhsa_float_round_mode_16_64 0
		.amdhsa_float_denorm_mode_32 3
		.amdhsa_float_denorm_mode_16_64 3
		.amdhsa_dx10_clamp 1
		.amdhsa_ieee_mode 1
		.amdhsa_fp16_overflow 0
		.amdhsa_exception_fp_ieee_invalid_op 0
		.amdhsa_exception_fp_denorm_src 0
		.amdhsa_exception_fp_ieee_div_zero 0
		.amdhsa_exception_fp_ieee_overflow 0
		.amdhsa_exception_fp_ieee_underflow 0
		.amdhsa_exception_fp_ieee_inexact 0
		.amdhsa_exception_int_div_zero 0
	.end_amdhsa_kernel
	.section	.text._ZL32rocblas_syrkx_herkx_small_kernelIl19rocblas_complex_numIfELi16ELb0ELb0ELc84ELc85EKPKS1_KPS1_EviT_T0_PT6_S7_lSA_S7_lS8_PT7_S7_li,"axG",@progbits,_ZL32rocblas_syrkx_herkx_small_kernelIl19rocblas_complex_numIfELi16ELb0ELb0ELc84ELc85EKPKS1_KPS1_EviT_T0_PT6_S7_lSA_S7_lS8_PT7_S7_li,comdat
.Lfunc_end1599:
	.size	_ZL32rocblas_syrkx_herkx_small_kernelIl19rocblas_complex_numIfELi16ELb0ELb0ELc84ELc85EKPKS1_KPS1_EviT_T0_PT6_S7_lSA_S7_lS8_PT7_S7_li, .Lfunc_end1599-_ZL32rocblas_syrkx_herkx_small_kernelIl19rocblas_complex_numIfELi16ELb0ELb0ELc84ELc85EKPKS1_KPS1_EviT_T0_PT6_S7_lSA_S7_lS8_PT7_S7_li
                                        ; -- End function
	.set _ZL32rocblas_syrkx_herkx_small_kernelIl19rocblas_complex_numIfELi16ELb0ELb0ELc84ELc85EKPKS1_KPS1_EviT_T0_PT6_S7_lSA_S7_lS8_PT7_S7_li.num_vgpr, 56
	.set _ZL32rocblas_syrkx_herkx_small_kernelIl19rocblas_complex_numIfELi16ELb0ELb0ELc84ELc85EKPKS1_KPS1_EviT_T0_PT6_S7_lSA_S7_lS8_PT7_S7_li.num_agpr, 0
	.set _ZL32rocblas_syrkx_herkx_small_kernelIl19rocblas_complex_numIfELi16ELb0ELb0ELc84ELc85EKPKS1_KPS1_EviT_T0_PT6_S7_lSA_S7_lS8_PT7_S7_li.numbered_sgpr, 25
	.set _ZL32rocblas_syrkx_herkx_small_kernelIl19rocblas_complex_numIfELi16ELb0ELb0ELc84ELc85EKPKS1_KPS1_EviT_T0_PT6_S7_lSA_S7_lS8_PT7_S7_li.num_named_barrier, 0
	.set _ZL32rocblas_syrkx_herkx_small_kernelIl19rocblas_complex_numIfELi16ELb0ELb0ELc84ELc85EKPKS1_KPS1_EviT_T0_PT6_S7_lSA_S7_lS8_PT7_S7_li.private_seg_size, 0
	.set _ZL32rocblas_syrkx_herkx_small_kernelIl19rocblas_complex_numIfELi16ELb0ELb0ELc84ELc85EKPKS1_KPS1_EviT_T0_PT6_S7_lSA_S7_lS8_PT7_S7_li.uses_vcc, 1
	.set _ZL32rocblas_syrkx_herkx_small_kernelIl19rocblas_complex_numIfELi16ELb0ELb0ELc84ELc85EKPKS1_KPS1_EviT_T0_PT6_S7_lSA_S7_lS8_PT7_S7_li.uses_flat_scratch, 0
	.set _ZL32rocblas_syrkx_herkx_small_kernelIl19rocblas_complex_numIfELi16ELb0ELb0ELc84ELc85EKPKS1_KPS1_EviT_T0_PT6_S7_lSA_S7_lS8_PT7_S7_li.has_dyn_sized_stack, 0
	.set _ZL32rocblas_syrkx_herkx_small_kernelIl19rocblas_complex_numIfELi16ELb0ELb0ELc84ELc85EKPKS1_KPS1_EviT_T0_PT6_S7_lSA_S7_lS8_PT7_S7_li.has_recursion, 0
	.set _ZL32rocblas_syrkx_herkx_small_kernelIl19rocblas_complex_numIfELi16ELb0ELb0ELc84ELc85EKPKS1_KPS1_EviT_T0_PT6_S7_lSA_S7_lS8_PT7_S7_li.has_indirect_call, 0
	.section	.AMDGPU.csdata,"",@progbits
; Kernel info:
; codeLenInByte = 1368
; TotalNumSgprs: 29
; NumVgprs: 56
; ScratchSize: 0
; MemoryBound: 1
; FloatMode: 240
; IeeeMode: 1
; LDSByteSize: 4096 bytes/workgroup (compile time only)
; SGPRBlocks: 3
; VGPRBlocks: 13
; NumSGPRsForWavesPerEU: 29
; NumVGPRsForWavesPerEU: 56
; Occupancy: 4
; WaveLimiterHint : 1
; COMPUTE_PGM_RSRC2:SCRATCH_EN: 0
; COMPUTE_PGM_RSRC2:USER_SGPR: 6
; COMPUTE_PGM_RSRC2:TRAP_HANDLER: 0
; COMPUTE_PGM_RSRC2:TGID_X_EN: 1
; COMPUTE_PGM_RSRC2:TGID_Y_EN: 1
; COMPUTE_PGM_RSRC2:TGID_Z_EN: 1
; COMPUTE_PGM_RSRC2:TIDIG_COMP_CNT: 1
	.section	.text._ZL32rocblas_syrkx_herkx_small_kernelIl19rocblas_complex_numIfELi16ELb0ELb0ELc67ELc85EKPKS1_KPS1_EviT_T0_PT6_S7_lSA_S7_lS8_PT7_S7_li,"axG",@progbits,_ZL32rocblas_syrkx_herkx_small_kernelIl19rocblas_complex_numIfELi16ELb0ELb0ELc67ELc85EKPKS1_KPS1_EviT_T0_PT6_S7_lSA_S7_lS8_PT7_S7_li,comdat
	.globl	_ZL32rocblas_syrkx_herkx_small_kernelIl19rocblas_complex_numIfELi16ELb0ELb0ELc67ELc85EKPKS1_KPS1_EviT_T0_PT6_S7_lSA_S7_lS8_PT7_S7_li ; -- Begin function _ZL32rocblas_syrkx_herkx_small_kernelIl19rocblas_complex_numIfELi16ELb0ELb0ELc67ELc85EKPKS1_KPS1_EviT_T0_PT6_S7_lSA_S7_lS8_PT7_S7_li
	.p2align	8
	.type	_ZL32rocblas_syrkx_herkx_small_kernelIl19rocblas_complex_numIfELi16ELb0ELb0ELc67ELc85EKPKS1_KPS1_EviT_T0_PT6_S7_lSA_S7_lS8_PT7_S7_li,@function
_ZL32rocblas_syrkx_herkx_small_kernelIl19rocblas_complex_numIfELi16ELb0ELb0ELc67ELc85EKPKS1_KPS1_EviT_T0_PT6_S7_lSA_S7_lS8_PT7_S7_li: ; @_ZL32rocblas_syrkx_herkx_small_kernelIl19rocblas_complex_numIfELi16ELb0ELb0ELc67ELc85EKPKS1_KPS1_EviT_T0_PT6_S7_lSA_S7_lS8_PT7_S7_li
; %bb.0:
	s_load_dwordx2 s[10:11], s[4:5], 0x58
	s_load_dwordx4 s[20:23], s[4:5], 0x48
	s_load_dword s26, s[4:5], 0x0
	s_load_dwordx8 s[12:19], s[4:5], 0x8
	s_mov_b32 s9, 0
	s_lshl_b64 s[24:25], s[8:9], 3
	s_waitcnt lgkmcnt(0)
	s_add_u32 s0, s22, s24
	s_addc_u32 s1, s23, s25
	s_load_dwordx2 s[8:9], s[0:1], 0x0
	v_cmp_lt_i64_e64 s[0:1], s[12:13], 1
	v_lshl_add_u32 v2, s6, 4, v0
	v_lshl_add_u32 v14, s7, 4, v1
	s_and_b64 vcc, exec, s[0:1]
	v_ashrrev_i32_e32 v3, 31, v2
	v_cmp_gt_i32_e64 s[2:3], s26, v14
	v_ashrrev_i32_e32 v15, 31, v14
	s_cbranch_vccnz .LBB1600_9
; %bb.1:
	s_load_dwordx4 s[4:7], s[4:5], 0x30
	v_mul_lo_u32 v11, s19, v2
	v_mul_lo_u32 v12, s18, v3
	v_lshlrev_b32_e32 v16, 3, v0
	v_lshlrev_b32_e32 v7, 7, v1
	s_waitcnt lgkmcnt(0)
	v_mul_lo_u32 v8, s7, v14
	v_mul_lo_u32 v9, s6, v15
	v_mad_u64_u32 v[5:6], s[6:7], s6, v14, 0
	s_add_u32 s4, s4, s24
	s_addc_u32 s5, s5, s25
	s_load_dwordx2 s[4:5], s[4:5], 0x0
	v_add3_u32 v6, v6, v9, v8
	v_mad_u64_u32 v[8:9], s[6:7], s18, v2, 0
	v_lshlrev_b64 v[5:6], 3, v[5:6]
	s_add_u32 s16, s16, s24
	s_addc_u32 s17, s17, s25
	v_add_co_u32_e32 v5, vcc, v5, v16
	s_load_dwordx2 s[16:17], s[16:17], 0x0
	v_add_u32_e32 v17, v16, v7
	v_add_u32_e32 v18, 0x800, v7
	v_addc_co_u32_e32 v7, vcc, 0, v6, vcc
	v_add3_u32 v9, v9, v12, v11
	s_waitcnt lgkmcnt(0)
	v_mov_b32_e32 v10, s5
	v_add_co_u32_e32 v6, vcc, s4, v5
	v_lshlrev_b64 v[8:9], 3, v[8:9]
	v_addc_co_u32_e32 v7, vcc, v10, v7, vcc
	v_lshlrev_b32_e32 v5, 3, v1
	v_add_co_u32_e32 v5, vcc, v8, v5
	v_addc_co_u32_e32 v9, vcc, 0, v9, vcc
	v_mov_b32_e32 v10, s17
	v_add_co_u32_e32 v8, vcc, s16, v5
	v_addc_co_u32_e32 v9, vcc, v10, v9, vcc
	v_mov_b32_e32 v10, s12
	v_mov_b32_e32 v4, 0
	v_cmp_gt_i32_e64 s[0:1], s26, v2
	v_add_u32_e32 v19, v18, v16
	s_mov_b64 s[4:5], 0
	s_xor_b64 s[6:7], s[2:3], -1
	v_mov_b32_e32 v11, s13
	v_mov_b32_e32 v20, 0
	;; [unrolled: 1-line block ×3, first 2 shown]
	s_branch .LBB1600_3
.LBB1600_2:                             ;   in Loop: Header=BB1600_3 Depth=1
	s_or_b64 exec, exec, s[2:3]
	s_waitcnt lgkmcnt(0)
	s_barrier
	ds_read2_b64 v[22:25], v16 offset1:16
	ds_read_b128 v[26:29], v18
	ds_read_b128 v[30:33], v18 offset:16
	ds_read2_b64 v[34:37], v16 offset0:32 offset1:48
	s_add_u32 s4, s4, 16
	v_add_co_u32_e32 v6, vcc, 0x80, v6
	s_waitcnt lgkmcnt(2)
	v_mul_f32_e32 v5, v27, v23
	v_mul_f32_e32 v12, v26, v23
	v_fma_f32 v5, v26, v22, -v5
	v_fmac_f32_e32 v12, v27, v22
	v_mul_f32_e32 v13, v29, v25
	v_mul_f32_e32 v38, v28, v25
	s_waitcnt lgkmcnt(0)
	v_mul_f32_e32 v22, v31, v35
	v_fma_f32 v13, v28, v24, -v13
	v_fmac_f32_e32 v38, v29, v24
	v_fma_f32 v39, v30, v34, -v22
	ds_read2_b64 v[22:25], v16 offset0:64 offset1:80
	ds_read_b128 v[26:29], v18 offset:32
	v_mul_f32_e32 v40, v30, v35
	v_fmac_f32_e32 v40, v31, v34
	v_mul_f32_e32 v30, v33, v37
	v_mul_f32_e32 v42, v32, v37
	s_waitcnt lgkmcnt(0)
	v_mul_f32_e32 v34, v27, v23
	v_fma_f32 v41, v32, v36, -v30
	v_fmac_f32_e32 v42, v33, v36
	ds_read_b128 v[30:33], v18 offset:48
	v_fma_f32 v43, v26, v22, -v34
	ds_read2_b64 v[34:37], v16 offset0:96 offset1:112
	v_mul_f32_e32 v44, v26, v23
	v_fmac_f32_e32 v44, v27, v22
	v_mul_f32_e32 v22, v29, v25
	v_fma_f32 v45, v28, v24, -v22
	v_mul_f32_e32 v46, v28, v25
	s_waitcnt lgkmcnt(0)
	v_mul_f32_e32 v22, v31, v35
	v_fmac_f32_e32 v46, v29, v24
	v_fma_f32 v47, v30, v34, -v22
	ds_read2_b64 v[22:25], v16 offset0:128 offset1:144
	ds_read_b128 v[26:29], v18 offset:64
	v_mul_f32_e32 v48, v30, v35
	v_fmac_f32_e32 v48, v31, v34
	v_mul_f32_e32 v30, v33, v37
	v_mul_f32_e32 v50, v32, v37
	s_waitcnt lgkmcnt(0)
	v_mul_f32_e32 v34, v27, v23
	v_fma_f32 v49, v32, v36, -v30
	v_fmac_f32_e32 v50, v33, v36
	ds_read_b128 v[30:33], v18 offset:80
	v_fma_f32 v51, v26, v22, -v34
	ds_read2_b64 v[34:37], v16 offset0:160 offset1:176
	v_mul_f32_e32 v52, v26, v23
	v_fmac_f32_e32 v52, v27, v22
	v_mul_f32_e32 v22, v29, v25
	v_fma_f32 v53, v28, v24, -v22
	v_mul_f32_e32 v54, v28, v25
	s_waitcnt lgkmcnt(0)
	v_mul_f32_e32 v22, v31, v35
	v_fmac_f32_e32 v54, v29, v24
	v_fma_f32 v55, v30, v34, -v22
	ds_read2_b64 v[22:25], v16 offset0:192 offset1:208
	ds_read_b128 v[26:29], v18 offset:96
	v_add_f32_e32 v5, v21, v5
	v_add_f32_e32 v12, v20, v12
	;; [unrolled: 1-line block ×5, first 2 shown]
	v_mul_f32_e32 v35, v30, v35
	v_mul_f32_e32 v30, v33, v37
	;; [unrolled: 1-line block ×3, first 2 shown]
	v_add_f32_e32 v12, v12, v40
	v_add_f32_e32 v5, v5, v41
	v_fmac_f32_e32 v35, v31, v34
	v_fma_f32 v34, v32, v36, -v30
	v_fmac_f32_e32 v37, v33, v36
	s_waitcnt lgkmcnt(0)
	v_mul_f32_e32 v36, v27, v23
	v_add_f32_e32 v12, v12, v42
	v_add_f32_e32 v5, v5, v43
	v_fma_f32 v36, v26, v22, -v36
	v_mul_f32_e32 v26, v26, v23
	v_add_f32_e32 v12, v12, v44
	v_add_f32_e32 v5, v5, v45
	v_fmac_f32_e32 v26, v27, v22
	v_mul_f32_e32 v22, v29, v25
	v_add_f32_e32 v12, v12, v46
	v_add_f32_e32 v5, v5, v47
	ds_read_b128 v[30:33], v18 offset:112
	v_fma_f32 v27, v28, v24, -v22
	v_add_f32_e32 v12, v12, v48
	v_add_f32_e32 v5, v5, v49
	ds_read2_b64 v[20:23], v16 offset0:224 offset1:240
	v_add_f32_e32 v12, v12, v50
	v_add_f32_e32 v5, v5, v51
	;; [unrolled: 1-line block ×8, first 2 shown]
	v_mul_f32_e32 v25, v28, v25
	v_add_f32_e32 v12, v12, v37
	v_add_f32_e32 v5, v5, v36
	s_waitcnt lgkmcnt(0)
	v_mul_f32_e32 v13, v31, v21
	v_fmac_f32_e32 v25, v29, v24
	v_add_f32_e32 v12, v12, v26
	v_add_f32_e32 v5, v5, v27
	v_fma_f32 v13, v30, v20, -v13
	v_mul_f32_e32 v21, v30, v21
	s_addc_u32 s5, s5, 0
	v_addc_co_u32_e32 v7, vcc, 0, v7, vcc
	v_add_f32_e32 v12, v12, v25
	v_fmac_f32_e32 v21, v31, v20
	v_add_f32_e32 v5, v5, v13
	v_mul_f32_e32 v13, v33, v23
	v_mul_f32_e32 v20, v32, v23
	v_add_co_u32_e32 v8, vcc, 0x80, v8
	v_cmp_ge_i64_e64 s[2:3], s[4:5], v[10:11]
	v_add_f32_e32 v12, v12, v21
	v_fma_f32 v13, v32, v22, -v13
	v_fmac_f32_e32 v20, v33, v22
	v_addc_co_u32_e32 v9, vcc, 0, v9, vcc
	v_add_f32_e32 v21, v5, v13
	v_add_f32_e32 v20, v12, v20
	s_and_b64 vcc, exec, s[2:3]
	s_barrier
	s_cbranch_vccnz .LBB1600_10
.LBB1600_3:                             ; =>This Inner Loop Header: Depth=1
	v_mov_b32_e32 v5, s5
	v_add_co_u32_e32 v12, vcc, s4, v1
	v_addc_co_u32_e32 v13, vcc, 0, v5, vcc
	v_cmp_gt_i64_e32 vcc, s[12:13], v[12:13]
	v_mov_b32_e32 v12, 0
	s_and_b64 s[16:17], s[0:1], vcc
	v_mov_b32_e32 v13, 0
	s_and_saveexec_b64 s[2:3], s[16:17]
	s_cbranch_execz .LBB1600_5
; %bb.4:                                ;   in Loop: Header=BB1600_3 Depth=1
	flat_load_dwordx2 v[12:13], v[8:9]
.LBB1600_5:                             ;   in Loop: Header=BB1600_3 Depth=1
	s_or_b64 exec, exec, s[2:3]
	v_mov_b32_e32 v5, s5
	v_add_co_u32_e32 v22, vcc, s4, v0
	v_addc_co_u32_e32 v23, vcc, 0, v5, vcc
	v_cmp_le_i64_e32 vcc, s[12:13], v[22:23]
	s_waitcnt vmcnt(0) lgkmcnt(0)
	ds_write_b64 v17, v[12:13]
	s_or_b64 s[2:3], s[6:7], vcc
	s_and_saveexec_b64 s[16:17], s[2:3]
	s_xor_b64 s[2:3], exec, s[16:17]
; %bb.6:                                ;   in Loop: Header=BB1600_3 Depth=1
	v_mov_b32_e32 v5, v4
	ds_write_b64 v19, v[4:5]
; %bb.7:                                ;   in Loop: Header=BB1600_3 Depth=1
	s_andn2_saveexec_b64 s[2:3], s[2:3]
	s_cbranch_execz .LBB1600_2
; %bb.8:                                ;   in Loop: Header=BB1600_3 Depth=1
	flat_load_dwordx2 v[12:13], v[6:7]
	s_waitcnt vmcnt(0) lgkmcnt(0)
	ds_write_b64 v19, v[12:13]
	s_branch .LBB1600_2
.LBB1600_9:
	v_mov_b32_e32 v20, 0
	v_mov_b32_e32 v21, 0
.LBB1600_10:
	v_cmp_le_i32_e32 vcc, v2, v14
	v_cmp_gt_i32_e64 s[0:1], s26, v14
	s_and_b64 s[0:1], vcc, s[0:1]
	s_and_saveexec_b64 s[2:3], s[0:1]
	s_cbranch_execz .LBB1600_12
; %bb.11:
	v_mul_lo_u32 v4, s11, v14
	v_mul_lo_u32 v5, s10, v15
	v_mad_u64_u32 v[0:1], s[0:1], s10, v14, 0
	v_add3_u32 v1, v1, v5, v4
	v_lshlrev_b64 v[0:1], 3, v[0:1]
	s_waitcnt lgkmcnt(0)
	v_mov_b32_e32 v4, s9
	v_add_co_u32_e32 v5, vcc, s8, v0
	v_addc_co_u32_e32 v4, vcc, v4, v1, vcc
	v_lshlrev_b64 v[0:1], 3, v[2:3]
	v_add_co_u32_e32 v0, vcc, v5, v0
	v_addc_co_u32_e32 v1, vcc, v4, v1, vcc
	flat_load_dwordx2 v[2:3], v[0:1]
	v_mul_f32_e32 v4, s15, v20
	v_mul_f32_e32 v5, s14, v20
	v_fma_f32 v4, v21, s14, -v4
	v_fmac_f32_e32 v5, s15, v21
	s_waitcnt vmcnt(0) lgkmcnt(0)
	v_mul_f32_e32 v6, s21, v3
	v_mul_f32_e32 v3, s20, v3
	v_fma_f32 v6, v2, s20, -v6
	v_fmac_f32_e32 v3, s21, v2
	v_add_f32_e32 v2, v4, v6
	v_add_f32_e32 v3, v5, v3
	flat_store_dwordx2 v[0:1], v[2:3]
.LBB1600_12:
	s_endpgm
	.section	.rodata,"a",@progbits
	.p2align	6, 0x0
	.amdhsa_kernel _ZL32rocblas_syrkx_herkx_small_kernelIl19rocblas_complex_numIfELi16ELb0ELb0ELc67ELc85EKPKS1_KPS1_EviT_T0_PT6_S7_lSA_S7_lS8_PT7_S7_li
		.amdhsa_group_segment_fixed_size 4096
		.amdhsa_private_segment_fixed_size 0
		.amdhsa_kernarg_size 108
		.amdhsa_user_sgpr_count 6
		.amdhsa_user_sgpr_private_segment_buffer 1
		.amdhsa_user_sgpr_dispatch_ptr 0
		.amdhsa_user_sgpr_queue_ptr 0
		.amdhsa_user_sgpr_kernarg_segment_ptr 1
		.amdhsa_user_sgpr_dispatch_id 0
		.amdhsa_user_sgpr_flat_scratch_init 0
		.amdhsa_user_sgpr_private_segment_size 0
		.amdhsa_uses_dynamic_stack 0
		.amdhsa_system_sgpr_private_segment_wavefront_offset 0
		.amdhsa_system_sgpr_workgroup_id_x 1
		.amdhsa_system_sgpr_workgroup_id_y 1
		.amdhsa_system_sgpr_workgroup_id_z 1
		.amdhsa_system_sgpr_workgroup_info 0
		.amdhsa_system_vgpr_workitem_id 1
		.amdhsa_next_free_vgpr 56
		.amdhsa_next_free_sgpr 27
		.amdhsa_reserve_vcc 1
		.amdhsa_reserve_flat_scratch 0
		.amdhsa_float_round_mode_32 0
		.amdhsa_float_round_mode_16_64 0
		.amdhsa_float_denorm_mode_32 3
		.amdhsa_float_denorm_mode_16_64 3
		.amdhsa_dx10_clamp 1
		.amdhsa_ieee_mode 1
		.amdhsa_fp16_overflow 0
		.amdhsa_exception_fp_ieee_invalid_op 0
		.amdhsa_exception_fp_denorm_src 0
		.amdhsa_exception_fp_ieee_div_zero 0
		.amdhsa_exception_fp_ieee_overflow 0
		.amdhsa_exception_fp_ieee_underflow 0
		.amdhsa_exception_fp_ieee_inexact 0
		.amdhsa_exception_int_div_zero 0
	.end_amdhsa_kernel
	.section	.text._ZL32rocblas_syrkx_herkx_small_kernelIl19rocblas_complex_numIfELi16ELb0ELb0ELc67ELc85EKPKS1_KPS1_EviT_T0_PT6_S7_lSA_S7_lS8_PT7_S7_li,"axG",@progbits,_ZL32rocblas_syrkx_herkx_small_kernelIl19rocblas_complex_numIfELi16ELb0ELb0ELc67ELc85EKPKS1_KPS1_EviT_T0_PT6_S7_lSA_S7_lS8_PT7_S7_li,comdat
.Lfunc_end1600:
	.size	_ZL32rocblas_syrkx_herkx_small_kernelIl19rocblas_complex_numIfELi16ELb0ELb0ELc67ELc85EKPKS1_KPS1_EviT_T0_PT6_S7_lSA_S7_lS8_PT7_S7_li, .Lfunc_end1600-_ZL32rocblas_syrkx_herkx_small_kernelIl19rocblas_complex_numIfELi16ELb0ELb0ELc67ELc85EKPKS1_KPS1_EviT_T0_PT6_S7_lSA_S7_lS8_PT7_S7_li
                                        ; -- End function
	.set _ZL32rocblas_syrkx_herkx_small_kernelIl19rocblas_complex_numIfELi16ELb0ELb0ELc67ELc85EKPKS1_KPS1_EviT_T0_PT6_S7_lSA_S7_lS8_PT7_S7_li.num_vgpr, 56
	.set _ZL32rocblas_syrkx_herkx_small_kernelIl19rocblas_complex_numIfELi16ELb0ELb0ELc67ELc85EKPKS1_KPS1_EviT_T0_PT6_S7_lSA_S7_lS8_PT7_S7_li.num_agpr, 0
	.set _ZL32rocblas_syrkx_herkx_small_kernelIl19rocblas_complex_numIfELi16ELb0ELb0ELc67ELc85EKPKS1_KPS1_EviT_T0_PT6_S7_lSA_S7_lS8_PT7_S7_li.numbered_sgpr, 27
	.set _ZL32rocblas_syrkx_herkx_small_kernelIl19rocblas_complex_numIfELi16ELb0ELb0ELc67ELc85EKPKS1_KPS1_EviT_T0_PT6_S7_lSA_S7_lS8_PT7_S7_li.num_named_barrier, 0
	.set _ZL32rocblas_syrkx_herkx_small_kernelIl19rocblas_complex_numIfELi16ELb0ELb0ELc67ELc85EKPKS1_KPS1_EviT_T0_PT6_S7_lSA_S7_lS8_PT7_S7_li.private_seg_size, 0
	.set _ZL32rocblas_syrkx_herkx_small_kernelIl19rocblas_complex_numIfELi16ELb0ELb0ELc67ELc85EKPKS1_KPS1_EviT_T0_PT6_S7_lSA_S7_lS8_PT7_S7_li.uses_vcc, 1
	.set _ZL32rocblas_syrkx_herkx_small_kernelIl19rocblas_complex_numIfELi16ELb0ELb0ELc67ELc85EKPKS1_KPS1_EviT_T0_PT6_S7_lSA_S7_lS8_PT7_S7_li.uses_flat_scratch, 0
	.set _ZL32rocblas_syrkx_herkx_small_kernelIl19rocblas_complex_numIfELi16ELb0ELb0ELc67ELc85EKPKS1_KPS1_EviT_T0_PT6_S7_lSA_S7_lS8_PT7_S7_li.has_dyn_sized_stack, 0
	.set _ZL32rocblas_syrkx_herkx_small_kernelIl19rocblas_complex_numIfELi16ELb0ELb0ELc67ELc85EKPKS1_KPS1_EviT_T0_PT6_S7_lSA_S7_lS8_PT7_S7_li.has_recursion, 0
	.set _ZL32rocblas_syrkx_herkx_small_kernelIl19rocblas_complex_numIfELi16ELb0ELb0ELc67ELc85EKPKS1_KPS1_EviT_T0_PT6_S7_lSA_S7_lS8_PT7_S7_li.has_indirect_call, 0
	.section	.AMDGPU.csdata,"",@progbits
; Kernel info:
; codeLenInByte = 1324
; TotalNumSgprs: 31
; NumVgprs: 56
; ScratchSize: 0
; MemoryBound: 1
; FloatMode: 240
; IeeeMode: 1
; LDSByteSize: 4096 bytes/workgroup (compile time only)
; SGPRBlocks: 3
; VGPRBlocks: 13
; NumSGPRsForWavesPerEU: 31
; NumVGPRsForWavesPerEU: 56
; Occupancy: 4
; WaveLimiterHint : 1
; COMPUTE_PGM_RSRC2:SCRATCH_EN: 0
; COMPUTE_PGM_RSRC2:USER_SGPR: 6
; COMPUTE_PGM_RSRC2:TRAP_HANDLER: 0
; COMPUTE_PGM_RSRC2:TGID_X_EN: 1
; COMPUTE_PGM_RSRC2:TGID_Y_EN: 1
; COMPUTE_PGM_RSRC2:TGID_Z_EN: 1
; COMPUTE_PGM_RSRC2:TIDIG_COMP_CNT: 1
	.section	.text._ZL32rocblas_syrkx_herkx_small_kernelIl19rocblas_complex_numIfELi16ELb0ELb0ELc78ELc85EKPKS1_KPS1_EviT_T0_PT6_S7_lSA_S7_lS8_PT7_S7_li,"axG",@progbits,_ZL32rocblas_syrkx_herkx_small_kernelIl19rocblas_complex_numIfELi16ELb0ELb0ELc78ELc85EKPKS1_KPS1_EviT_T0_PT6_S7_lSA_S7_lS8_PT7_S7_li,comdat
	.globl	_ZL32rocblas_syrkx_herkx_small_kernelIl19rocblas_complex_numIfELi16ELb0ELb0ELc78ELc85EKPKS1_KPS1_EviT_T0_PT6_S7_lSA_S7_lS8_PT7_S7_li ; -- Begin function _ZL32rocblas_syrkx_herkx_small_kernelIl19rocblas_complex_numIfELi16ELb0ELb0ELc78ELc85EKPKS1_KPS1_EviT_T0_PT6_S7_lSA_S7_lS8_PT7_S7_li
	.p2align	8
	.type	_ZL32rocblas_syrkx_herkx_small_kernelIl19rocblas_complex_numIfELi16ELb0ELb0ELc78ELc85EKPKS1_KPS1_EviT_T0_PT6_S7_lSA_S7_lS8_PT7_S7_li,@function
_ZL32rocblas_syrkx_herkx_small_kernelIl19rocblas_complex_numIfELi16ELb0ELb0ELc78ELc85EKPKS1_KPS1_EviT_T0_PT6_S7_lSA_S7_lS8_PT7_S7_li: ; @_ZL32rocblas_syrkx_herkx_small_kernelIl19rocblas_complex_numIfELi16ELb0ELb0ELc78ELc85EKPKS1_KPS1_EviT_T0_PT6_S7_lSA_S7_lS8_PT7_S7_li
; %bb.0:
	s_load_dwordx2 s[10:11], s[4:5], 0x58
	s_load_dwordx4 s[20:23], s[4:5], 0x48
	s_load_dword s24, s[4:5], 0x0
	s_load_dwordx8 s[12:19], s[4:5], 0x8
	s_mov_b32 s9, 0
	s_lshl_b64 s[2:3], s[8:9], 3
	s_waitcnt lgkmcnt(0)
	s_add_u32 s0, s22, s2
	s_addc_u32 s1, s23, s3
	s_load_dwordx2 s[8:9], s[0:1], 0x0
	v_cmp_lt_i64_e64 s[0:1], s[12:13], 1
	v_lshl_add_u32 v2, s6, 4, v0
	v_lshl_add_u32 v4, s7, 4, v1
	s_and_b64 vcc, exec, s[0:1]
	v_ashrrev_i32_e32 v3, 31, v2
	v_cmp_gt_i32_e64 s[0:1], s24, v4
	v_ashrrev_i32_e32 v5, 31, v4
	s_cbranch_vccnz .LBB1601_9
; %bb.1:
	s_load_dwordx4 s[4:7], s[4:5], 0x30
	v_lshlrev_b32_e32 v10, 7, v1
	v_lshlrev_b32_e32 v16, 3, v0
	v_add_u32_e32 v17, v16, v10
	v_add_u32_e32 v18, 0x800, v10
	s_waitcnt lgkmcnt(0)
	s_add_u32 s4, s4, s2
	v_mad_u64_u32 v[7:8], s[22:23], s6, v0, 0
	s_addc_u32 s5, s5, s3
	s_add_u32 s2, s16, s2
	s_addc_u32 s3, s17, s3
	s_load_dwordx2 s[16:17], s[2:3], 0x0
	v_mad_u64_u32 v[8:9], s[2:3], s7, v0, v[8:9]
	v_mad_u64_u32 v[11:12], s[2:3], s18, v1, 0
	v_lshlrev_b64 v[7:8], 3, v[7:8]
	v_lshlrev_b64 v[9:10], 3, v[4:5]
	s_load_dwordx2 s[4:5], s[4:5], 0x0
	v_add_co_u32_e64 v9, s[2:3], v7, v9
	v_mov_b32_e32 v7, v12
	v_addc_co_u32_e64 v10, s[2:3], v8, v10, s[2:3]
	v_mad_u64_u32 v[7:8], s[2:3], s19, v1, v[7:8]
	s_waitcnt lgkmcnt(0)
	v_mov_b32_e32 v13, s5
	v_add_co_u32_e64 v8, s[2:3], s4, v9
	v_mov_b32_e32 v12, v7
	v_addc_co_u32_e64 v9, s[2:3], v13, v10, s[2:3]
	v_lshlrev_b64 v[10:11], 3, v[11:12]
	v_lshlrev_b64 v[12:13], 3, v[2:3]
	v_cmp_gt_i32_e32 vcc, s24, v2
	v_add_co_u32_e64 v7, s[2:3], v10, v12
	v_addc_co_u32_e64 v11, s[2:3], v11, v13, s[2:3]
	v_mov_b32_e32 v12, s17
	v_add_co_u32_e64 v10, s[2:3], s16, v7
	s_lshl_b64 s[4:5], s[6:7], 7
	v_addc_co_u32_e64 v11, s[2:3], v12, v11, s[2:3]
	s_lshl_b64 s[6:7], s[18:19], 7
	v_mov_b32_e32 v12, s12
	v_mov_b32_e32 v6, 0
	v_add_u32_e32 v19, v18, v16
	s_mov_b64 s[16:17], 0
	s_xor_b64 s[18:19], vcc, -1
	v_mov_b32_e32 v22, s5
	v_mov_b32_e32 v23, s7
	v_mov_b32_e32 v20, 0
	v_mov_b32_e32 v21, 0
	v_mov_b32_e32 v13, s13
	s_branch .LBB1601_3
.LBB1601_2:                             ;   in Loop: Header=BB1601_3 Depth=1
	s_or_b64 exec, exec, s[2:3]
	s_waitcnt vmcnt(0) lgkmcnt(0)
	ds_write_b64 v19, v[14:15]
	s_waitcnt lgkmcnt(0)
	s_barrier
	ds_read2_b64 v[24:27], v16 offset1:16
	ds_read_b128 v[28:31], v18
	ds_read_b128 v[32:35], v18 offset:16
	ds_read2_b64 v[36:39], v16 offset0:32 offset1:48
	s_add_u32 s16, s16, 16
	v_add_co_u32_e32 v8, vcc, s4, v8
	s_waitcnt lgkmcnt(2)
	v_mul_f32_e32 v7, v29, v25
	v_mul_f32_e32 v14, v28, v25
	v_fma_f32 v7, v28, v24, -v7
	v_fmac_f32_e32 v14, v29, v24
	v_mul_f32_e32 v15, v31, v27
	v_mul_f32_e32 v40, v30, v27
	s_waitcnt lgkmcnt(0)
	v_mul_f32_e32 v24, v33, v37
	v_fma_f32 v15, v30, v26, -v15
	v_fmac_f32_e32 v40, v31, v26
	v_fma_f32 v41, v32, v36, -v24
	ds_read2_b64 v[24:27], v16 offset0:64 offset1:80
	ds_read_b128 v[28:31], v18 offset:32
	v_mul_f32_e32 v42, v32, v37
	v_fmac_f32_e32 v42, v33, v36
	v_mul_f32_e32 v32, v35, v39
	v_mul_f32_e32 v44, v34, v39
	s_waitcnt lgkmcnt(0)
	v_mul_f32_e32 v36, v29, v25
	v_fma_f32 v43, v34, v38, -v32
	v_fmac_f32_e32 v44, v35, v38
	ds_read_b128 v[32:35], v18 offset:48
	v_fma_f32 v45, v28, v24, -v36
	ds_read2_b64 v[36:39], v16 offset0:96 offset1:112
	v_mul_f32_e32 v46, v28, v25
	v_fmac_f32_e32 v46, v29, v24
	v_mul_f32_e32 v24, v31, v27
	v_fma_f32 v47, v30, v26, -v24
	v_mul_f32_e32 v48, v30, v27
	s_waitcnt lgkmcnt(0)
	v_mul_f32_e32 v24, v33, v37
	v_fmac_f32_e32 v48, v31, v26
	v_fma_f32 v49, v32, v36, -v24
	ds_read2_b64 v[24:27], v16 offset0:128 offset1:144
	ds_read_b128 v[28:31], v18 offset:64
	v_mul_f32_e32 v50, v32, v37
	v_fmac_f32_e32 v50, v33, v36
	v_mul_f32_e32 v32, v35, v39
	v_mul_f32_e32 v52, v34, v39
	s_waitcnt lgkmcnt(0)
	v_mul_f32_e32 v36, v29, v25
	v_fma_f32 v51, v34, v38, -v32
	v_fmac_f32_e32 v52, v35, v38
	ds_read_b128 v[32:35], v18 offset:80
	v_fma_f32 v53, v28, v24, -v36
	ds_read2_b64 v[36:39], v16 offset0:160 offset1:176
	v_mul_f32_e32 v54, v28, v25
	v_fmac_f32_e32 v54, v29, v24
	v_mul_f32_e32 v24, v31, v27
	v_fma_f32 v55, v30, v26, -v24
	v_mul_f32_e32 v56, v30, v27
	s_waitcnt lgkmcnt(0)
	v_mul_f32_e32 v24, v33, v37
	v_add_f32_e32 v7, v21, v7
	v_add_f32_e32 v14, v20, v14
	v_fmac_f32_e32 v56, v31, v26
	v_fma_f32 v57, v32, v36, -v24
	ds_read2_b64 v[24:27], v16 offset0:192 offset1:208
	ds_read_b128 v[28:31], v18 offset:96
	v_add_f32_e32 v7, v7, v15
	v_add_f32_e32 v14, v14, v40
	;; [unrolled: 1-line block ×8, first 2 shown]
	v_mul_f32_e32 v58, v32, v37
	v_add_f32_e32 v7, v7, v47
	v_add_f32_e32 v14, v14, v48
	v_fmac_f32_e32 v58, v33, v36
	v_mul_f32_e32 v32, v35, v39
	v_mul_f32_e32 v60, v34, v39
	s_waitcnt lgkmcnt(0)
	v_mul_f32_e32 v36, v29, v25
	v_add_f32_e32 v7, v7, v49
	v_add_f32_e32 v14, v14, v50
	v_fma_f32 v59, v34, v38, -v32
	v_fmac_f32_e32 v60, v35, v38
	ds_read_b128 v[32:35], v18 offset:112
	v_fma_f32 v61, v28, v24, -v36
	ds_read2_b64 v[36:39], v16 offset0:224 offset1:240
	v_add_f32_e32 v7, v7, v51
	v_add_f32_e32 v14, v14, v52
	;; [unrolled: 1-line block ×6, first 2 shown]
	v_mul_f32_e32 v25, v28, v25
	v_add_f32_e32 v7, v7, v57
	v_add_f32_e32 v14, v14, v58
	v_fmac_f32_e32 v25, v29, v24
	v_mul_f32_e32 v24, v31, v27
	v_mul_f32_e32 v27, v30, v27
	v_add_f32_e32 v7, v7, v59
	v_add_f32_e32 v14, v14, v60
	v_fma_f32 v24, v30, v26, -v24
	v_fmac_f32_e32 v27, v31, v26
	s_waitcnt lgkmcnt(0)
	v_mul_f32_e32 v26, v33, v37
	v_mul_f32_e32 v28, v32, v37
	v_add_f32_e32 v7, v7, v61
	v_add_f32_e32 v14, v14, v25
	s_addc_u32 s17, s17, 0
	v_addc_co_u32_e32 v9, vcc, v9, v22, vcc
	v_fma_f32 v26, v32, v36, -v26
	v_fmac_f32_e32 v28, v33, v36
	v_mul_f32_e32 v29, v35, v39
	v_mul_f32_e32 v30, v34, v39
	v_add_f32_e32 v7, v7, v24
	v_add_f32_e32 v14, v14, v27
	v_cmp_ge_i64_e32 vcc, s[16:17], v[12:13]
	v_fma_f32 v29, v34, v38, -v29
	v_fmac_f32_e32 v30, v35, v38
	v_add_f32_e32 v7, v7, v26
	v_add_f32_e32 v14, v14, v28
	v_add_co_u32_e64 v10, s[2:3], s6, v10
	v_add_f32_e32 v21, v7, v29
	v_add_f32_e32 v20, v14, v30
	v_addc_co_u32_e64 v11, s[2:3], v11, v23, s[2:3]
	s_barrier
	s_cbranch_vccnz .LBB1601_10
.LBB1601_3:                             ; =>This Inner Loop Header: Depth=1
	v_mov_b32_e32 v7, s17
	v_add_co_u32_e32 v14, vcc, s16, v1
	v_addc_co_u32_e32 v15, vcc, 0, v7, vcc
	v_cmp_le_i64_e32 vcc, s[12:13], v[14:15]
	s_or_b64 s[2:3], s[18:19], vcc
	s_and_saveexec_b64 s[22:23], s[2:3]
	s_xor_b64 s[2:3], exec, s[22:23]
; %bb.4:                                ;   in Loop: Header=BB1601_3 Depth=1
	v_mov_b32_e32 v7, v6
	ds_write_b64 v17, v[6:7]
; %bb.5:                                ;   in Loop: Header=BB1601_3 Depth=1
	s_andn2_saveexec_b64 s[2:3], s[2:3]
	s_cbranch_execz .LBB1601_7
; %bb.6:                                ;   in Loop: Header=BB1601_3 Depth=1
	flat_load_dwordx2 v[14:15], v[10:11]
	s_waitcnt vmcnt(0) lgkmcnt(0)
	ds_write_b64 v17, v[14:15]
.LBB1601_7:                             ;   in Loop: Header=BB1601_3 Depth=1
	s_or_b64 exec, exec, s[2:3]
	v_mov_b32_e32 v7, s17
	v_add_co_u32_e32 v14, vcc, s16, v0
	v_addc_co_u32_e32 v15, vcc, 0, v7, vcc
	v_cmp_gt_i64_e32 vcc, s[12:13], v[14:15]
	v_mov_b32_e32 v14, 0
	s_and_b64 s[22:23], s[0:1], vcc
	v_mov_b32_e32 v15, 0
	s_and_saveexec_b64 s[2:3], s[22:23]
	s_cbranch_execz .LBB1601_2
; %bb.8:                                ;   in Loop: Header=BB1601_3 Depth=1
	flat_load_dwordx2 v[14:15], v[8:9]
	s_branch .LBB1601_2
.LBB1601_9:
	v_mov_b32_e32 v20, 0
	v_mov_b32_e32 v21, 0
.LBB1601_10:
	v_cmp_le_i32_e32 vcc, v2, v4
	v_cmp_gt_i32_e64 s[0:1], s24, v4
	s_and_b64 s[0:1], vcc, s[0:1]
	s_and_saveexec_b64 s[2:3], s[0:1]
	s_cbranch_execz .LBB1601_12
; %bb.11:
	v_mul_lo_u32 v6, s11, v4
	v_mul_lo_u32 v5, s10, v5
	v_mad_u64_u32 v[0:1], s[0:1], s10, v4, 0
	s_waitcnt lgkmcnt(0)
	v_mov_b32_e32 v4, s9
	v_add3_u32 v1, v1, v5, v6
	v_lshlrev_b64 v[0:1], 3, v[0:1]
	v_add_co_u32_e32 v5, vcc, s8, v0
	v_addc_co_u32_e32 v4, vcc, v4, v1, vcc
	v_lshlrev_b64 v[0:1], 3, v[2:3]
	v_add_co_u32_e32 v0, vcc, v5, v0
	v_addc_co_u32_e32 v1, vcc, v4, v1, vcc
	flat_load_dwordx2 v[2:3], v[0:1]
	v_mul_f32_e32 v4, s15, v20
	v_mul_f32_e32 v5, s14, v20
	v_fma_f32 v4, v21, s14, -v4
	v_fmac_f32_e32 v5, s15, v21
	s_waitcnt vmcnt(0) lgkmcnt(0)
	v_mul_f32_e32 v6, s21, v3
	v_mul_f32_e32 v3, s20, v3
	v_fma_f32 v6, v2, s20, -v6
	v_fmac_f32_e32 v3, s21, v2
	v_add_f32_e32 v2, v4, v6
	v_add_f32_e32 v3, v5, v3
	flat_store_dwordx2 v[0:1], v[2:3]
.LBB1601_12:
	s_endpgm
	.section	.rodata,"a",@progbits
	.p2align	6, 0x0
	.amdhsa_kernel _ZL32rocblas_syrkx_herkx_small_kernelIl19rocblas_complex_numIfELi16ELb0ELb0ELc78ELc85EKPKS1_KPS1_EviT_T0_PT6_S7_lSA_S7_lS8_PT7_S7_li
		.amdhsa_group_segment_fixed_size 4096
		.amdhsa_private_segment_fixed_size 0
		.amdhsa_kernarg_size 108
		.amdhsa_user_sgpr_count 6
		.amdhsa_user_sgpr_private_segment_buffer 1
		.amdhsa_user_sgpr_dispatch_ptr 0
		.amdhsa_user_sgpr_queue_ptr 0
		.amdhsa_user_sgpr_kernarg_segment_ptr 1
		.amdhsa_user_sgpr_dispatch_id 0
		.amdhsa_user_sgpr_flat_scratch_init 0
		.amdhsa_user_sgpr_private_segment_size 0
		.amdhsa_uses_dynamic_stack 0
		.amdhsa_system_sgpr_private_segment_wavefront_offset 0
		.amdhsa_system_sgpr_workgroup_id_x 1
		.amdhsa_system_sgpr_workgroup_id_y 1
		.amdhsa_system_sgpr_workgroup_id_z 1
		.amdhsa_system_sgpr_workgroup_info 0
		.amdhsa_system_vgpr_workitem_id 1
		.amdhsa_next_free_vgpr 62
		.amdhsa_next_free_sgpr 25
		.amdhsa_reserve_vcc 1
		.amdhsa_reserve_flat_scratch 0
		.amdhsa_float_round_mode_32 0
		.amdhsa_float_round_mode_16_64 0
		.amdhsa_float_denorm_mode_32 3
		.amdhsa_float_denorm_mode_16_64 3
		.amdhsa_dx10_clamp 1
		.amdhsa_ieee_mode 1
		.amdhsa_fp16_overflow 0
		.amdhsa_exception_fp_ieee_invalid_op 0
		.amdhsa_exception_fp_denorm_src 0
		.amdhsa_exception_fp_ieee_div_zero 0
		.amdhsa_exception_fp_ieee_overflow 0
		.amdhsa_exception_fp_ieee_underflow 0
		.amdhsa_exception_fp_ieee_inexact 0
		.amdhsa_exception_int_div_zero 0
	.end_amdhsa_kernel
	.section	.text._ZL32rocblas_syrkx_herkx_small_kernelIl19rocblas_complex_numIfELi16ELb0ELb0ELc78ELc85EKPKS1_KPS1_EviT_T0_PT6_S7_lSA_S7_lS8_PT7_S7_li,"axG",@progbits,_ZL32rocblas_syrkx_herkx_small_kernelIl19rocblas_complex_numIfELi16ELb0ELb0ELc78ELc85EKPKS1_KPS1_EviT_T0_PT6_S7_lSA_S7_lS8_PT7_S7_li,comdat
.Lfunc_end1601:
	.size	_ZL32rocblas_syrkx_herkx_small_kernelIl19rocblas_complex_numIfELi16ELb0ELb0ELc78ELc85EKPKS1_KPS1_EviT_T0_PT6_S7_lSA_S7_lS8_PT7_S7_li, .Lfunc_end1601-_ZL32rocblas_syrkx_herkx_small_kernelIl19rocblas_complex_numIfELi16ELb0ELb0ELc78ELc85EKPKS1_KPS1_EviT_T0_PT6_S7_lSA_S7_lS8_PT7_S7_li
                                        ; -- End function
	.set _ZL32rocblas_syrkx_herkx_small_kernelIl19rocblas_complex_numIfELi16ELb0ELb0ELc78ELc85EKPKS1_KPS1_EviT_T0_PT6_S7_lSA_S7_lS8_PT7_S7_li.num_vgpr, 62
	.set _ZL32rocblas_syrkx_herkx_small_kernelIl19rocblas_complex_numIfELi16ELb0ELb0ELc78ELc85EKPKS1_KPS1_EviT_T0_PT6_S7_lSA_S7_lS8_PT7_S7_li.num_agpr, 0
	.set _ZL32rocblas_syrkx_herkx_small_kernelIl19rocblas_complex_numIfELi16ELb0ELb0ELc78ELc85EKPKS1_KPS1_EviT_T0_PT6_S7_lSA_S7_lS8_PT7_S7_li.numbered_sgpr, 25
	.set _ZL32rocblas_syrkx_herkx_small_kernelIl19rocblas_complex_numIfELi16ELb0ELb0ELc78ELc85EKPKS1_KPS1_EviT_T0_PT6_S7_lSA_S7_lS8_PT7_S7_li.num_named_barrier, 0
	.set _ZL32rocblas_syrkx_herkx_small_kernelIl19rocblas_complex_numIfELi16ELb0ELb0ELc78ELc85EKPKS1_KPS1_EviT_T0_PT6_S7_lSA_S7_lS8_PT7_S7_li.private_seg_size, 0
	.set _ZL32rocblas_syrkx_herkx_small_kernelIl19rocblas_complex_numIfELi16ELb0ELb0ELc78ELc85EKPKS1_KPS1_EviT_T0_PT6_S7_lSA_S7_lS8_PT7_S7_li.uses_vcc, 1
	.set _ZL32rocblas_syrkx_herkx_small_kernelIl19rocblas_complex_numIfELi16ELb0ELb0ELc78ELc85EKPKS1_KPS1_EviT_T0_PT6_S7_lSA_S7_lS8_PT7_S7_li.uses_flat_scratch, 0
	.set _ZL32rocblas_syrkx_herkx_small_kernelIl19rocblas_complex_numIfELi16ELb0ELb0ELc78ELc85EKPKS1_KPS1_EviT_T0_PT6_S7_lSA_S7_lS8_PT7_S7_li.has_dyn_sized_stack, 0
	.set _ZL32rocblas_syrkx_herkx_small_kernelIl19rocblas_complex_numIfELi16ELb0ELb0ELc78ELc85EKPKS1_KPS1_EviT_T0_PT6_S7_lSA_S7_lS8_PT7_S7_li.has_recursion, 0
	.set _ZL32rocblas_syrkx_herkx_small_kernelIl19rocblas_complex_numIfELi16ELb0ELb0ELc78ELc85EKPKS1_KPS1_EviT_T0_PT6_S7_lSA_S7_lS8_PT7_S7_li.has_indirect_call, 0
	.section	.AMDGPU.csdata,"",@progbits
; Kernel info:
; codeLenInByte = 1348
; TotalNumSgprs: 29
; NumVgprs: 62
; ScratchSize: 0
; MemoryBound: 1
; FloatMode: 240
; IeeeMode: 1
; LDSByteSize: 4096 bytes/workgroup (compile time only)
; SGPRBlocks: 3
; VGPRBlocks: 15
; NumSGPRsForWavesPerEU: 29
; NumVGPRsForWavesPerEU: 62
; Occupancy: 4
; WaveLimiterHint : 1
; COMPUTE_PGM_RSRC2:SCRATCH_EN: 0
; COMPUTE_PGM_RSRC2:USER_SGPR: 6
; COMPUTE_PGM_RSRC2:TRAP_HANDLER: 0
; COMPUTE_PGM_RSRC2:TGID_X_EN: 1
; COMPUTE_PGM_RSRC2:TGID_Y_EN: 1
; COMPUTE_PGM_RSRC2:TGID_Z_EN: 1
; COMPUTE_PGM_RSRC2:TIDIG_COMP_CNT: 1
	.section	.text._ZL34rocblas_syrkx_herkx_general_kernelIl19rocblas_complex_numIfELi16ELi32ELi8ELb1ELb0ELc84ELc76EKPKS1_KPS1_EviT_T0_PT8_S7_lSA_S7_lS8_PT9_S7_li,"axG",@progbits,_ZL34rocblas_syrkx_herkx_general_kernelIl19rocblas_complex_numIfELi16ELi32ELi8ELb1ELb0ELc84ELc76EKPKS1_KPS1_EviT_T0_PT8_S7_lSA_S7_lS8_PT9_S7_li,comdat
	.globl	_ZL34rocblas_syrkx_herkx_general_kernelIl19rocblas_complex_numIfELi16ELi32ELi8ELb1ELb0ELc84ELc76EKPKS1_KPS1_EviT_T0_PT8_S7_lSA_S7_lS8_PT9_S7_li ; -- Begin function _ZL34rocblas_syrkx_herkx_general_kernelIl19rocblas_complex_numIfELi16ELi32ELi8ELb1ELb0ELc84ELc76EKPKS1_KPS1_EviT_T0_PT8_S7_lSA_S7_lS8_PT9_S7_li
	.p2align	8
	.type	_ZL34rocblas_syrkx_herkx_general_kernelIl19rocblas_complex_numIfELi16ELi32ELi8ELb1ELb0ELc84ELc76EKPKS1_KPS1_EviT_T0_PT8_S7_lSA_S7_lS8_PT9_S7_li,@function
_ZL34rocblas_syrkx_herkx_general_kernelIl19rocblas_complex_numIfELi16ELi32ELi8ELb1ELb0ELc84ELc76EKPKS1_KPS1_EviT_T0_PT8_S7_lSA_S7_lS8_PT9_S7_li: ; @_ZL34rocblas_syrkx_herkx_general_kernelIl19rocblas_complex_numIfELi16ELi32ELi8ELb1ELb0ELc84ELc76EKPKS1_KPS1_EviT_T0_PT8_S7_lSA_S7_lS8_PT9_S7_li
; %bb.0:
	s_load_dwordx4 s[20:23], s[4:5], 0x50
	s_load_dword s10, s[4:5], 0x0
	s_load_dwordx8 s[12:19], s[4:5], 0x8
	s_mov_b32 s9, 0
	s_lshl_b64 s[0:1], s[8:9], 3
	s_waitcnt lgkmcnt(0)
	s_add_u32 s2, s20, s0
	s_addc_u32 s3, s21, s1
	s_load_dwordx2 s[8:9], s[2:3], 0x0
	v_cmp_lt_i64_e64 s[2:3], s[12:13], 1
	s_lshl_b32 s11, s6, 5
	s_lshl_b32 s20, s7, 5
	s_and_b64 vcc, exec, s[2:3]
	s_cbranch_vccnz .LBB1602_11
; %bb.1:
	s_load_dwordx4 s[4:7], s[4:5], 0x30
	v_lshl_add_u32 v2, v1, 4, v0
	v_and_b32_e32 v5, 31, v2
	v_or_b32_e32 v6, s11, v5
	v_and_b32_e32 v11, 7, v0
	v_lshrrev_b32_e32 v3, 3, v2
	v_lshrrev_b32_e32 v10, 5, v2
	v_cmp_gt_i32_e32 vcc, s10, v6
	v_lshlrev_b32_e32 v2, 3, v5
	v_lshlrev_b32_e32 v6, 3, v11
	v_lshl_or_b32 v12, v10, 8, v2
	v_lshl_or_b32 v2, v3, 6, v6
	s_waitcnt lgkmcnt(0)
	s_add_u32 s2, s4, s0
	v_add_u32_e32 v13, 0x800, v2
	v_add_u32_e32 v2, s11, v5
	;; [unrolled: 1-line block ×3, first 2 shown]
	s_addc_u32 s3, s5, s1
	v_ashrrev_i32_e32 v3, 31, v2
	s_load_dwordx2 s[4:5], s[2:3], 0x0
	v_mul_lo_u32 v5, s18, v3
	v_mul_lo_u32 v8, s19, v2
	v_mad_u64_u32 v[2:3], s[2:3], s18, v2, 0
	s_add_u32 s0, s16, s0
	s_addc_u32 s1, s17, s1
	v_add3_u32 v3, v3, v5, v8
	v_lshlrev_b64 v[2:3], 3, v[2:3]
	v_lshlrev_b32_e32 v5, 3, v10
	v_ashrrev_i32_e32 v7, 31, v4
	v_mov_b32_e32 v9, 0x800
	v_add_co_u32_e64 v2, s[2:3], v2, v5
	s_load_dwordx2 s[16:17], s[0:1], 0x0
	v_cmp_gt_i32_e64 s[0:1], s10, v4
	v_lshl_add_u32 v15, v1, 6, v9
	v_addc_co_u32_e64 v3, s[2:3], 0, v3, s[2:3]
	v_mul_lo_u32 v7, s6, v7
	v_mul_lo_u32 v9, s7, v4
	v_mad_u64_u32 v[4:5], s[2:3], s6, v4, 0
	s_waitcnt lgkmcnt(0)
	v_mov_b32_e32 v8, s17
	v_add_co_u32_e64 v2, s[2:3], s16, v2
	v_add3_u32 v5, v5, v7, v9
	v_lshlrev_b64 v[4:5], 3, v[4:5]
	v_addc_co_u32_e64 v3, s[2:3], v8, v3, s[2:3]
	v_add_co_u32_e64 v4, s[2:3], v4, v6
	v_addc_co_u32_e64 v5, s[2:3], 0, v5, s[2:3]
	v_mov_b32_e32 v6, s5
	v_add_co_u32_e64 v4, s[2:3], s4, v4
	v_addc_co_u32_e64 v5, s[2:3], v6, v5, s[2:3]
	v_mov_b32_e32 v8, s12
	v_lshlrev_b32_e32 v14, 3, v0
	s_mov_b64 s[2:3], 0
	s_xor_b64 s[4:5], vcc, -1
	s_xor_b64 s[6:7], s[0:1], -1
	v_mov_b32_e32 v19, 0
	v_mov_b32_e32 v18, 0
	;; [unrolled: 1-line block ×10, first 2 shown]
	s_branch .LBB1602_3
.LBB1602_2:                             ;   in Loop: Header=BB1602_3 Depth=1
	s_or_b64 exec, exec, s[0:1]
	s_waitcnt lgkmcnt(0)
	s_barrier
	ds_read2_b64 v[24:27], v14 offset1:16
	ds_read_b128 v[28:31], v15
	ds_read_b128 v[32:35], v15 offset:16
	s_add_u32 s2, s2, 8
	v_add_co_u32_e32 v2, vcc, 64, v2
	s_waitcnt lgkmcnt(1)
	v_mul_f32_e32 v36, v28, v25
	v_fmac_f32_e32 v36, v29, v24
	v_add_f32_e32 v44, v21, v36
	ds_read_b128 v[36:39], v15 offset:1024
	v_mul_f32_e32 v7, v29, v25
	v_fma_f32 v7, v28, v24, -v7
	v_add_f32_e32 v7, v20, v7
	v_mul_f32_e32 v20, v29, v27
	v_mul_f32_e32 v21, v28, v27
	v_fma_f32 v20, v28, v26, -v20
	v_fmac_f32_e32 v21, v29, v26
	v_add_f32_e32 v28, v22, v20
	v_add_f32_e32 v29, v23, v21
	ds_read_b128 v[20:23], v15 offset:1040
	s_waitcnt lgkmcnt(1)
	v_mul_f32_e32 v40, v37, v25
	v_fma_f32 v40, v36, v24, -v40
	v_add_f32_e32 v45, v16, v40
	ds_read2_b64 v[40:43], v14 offset0:32 offset1:48
	v_mul_f32_e32 v25, v36, v25
	v_mul_f32_e32 v16, v37, v27
	v_fmac_f32_e32 v25, v37, v24
	v_fma_f32 v16, v36, v26, -v16
	v_add_f32_e32 v46, v17, v25
	v_mul_f32_e32 v17, v36, v27
	v_add_f32_e32 v36, v18, v16
	s_waitcnt lgkmcnt(0)
	v_mul_f32_e32 v16, v31, v41
	v_fma_f32 v47, v30, v40, -v16
	v_mul_f32_e32 v16, v31, v43
	v_fma_f32 v49, v30, v42, -v16
	v_mul_f32_e32 v48, v30, v41
	v_mul_f32_e32 v30, v30, v43
	v_add_f32_e32 v7, v7, v47
	v_add_f32_e32 v47, v28, v49
	v_mul_f32_e32 v28, v39, v41
	v_fmac_f32_e32 v17, v37, v26
	v_fmac_f32_e32 v48, v31, v40
	;; [unrolled: 1-line block ×3, first 2 shown]
	v_fma_f32 v49, v38, v40, -v28
	v_mul_f32_e32 v41, v38, v41
	v_mul_f32_e32 v28, v39, v43
	v_add_f32_e32 v37, v19, v17
	ds_read_b128 v[16:19], v15 offset:32
	ds_read_b128 v[24:27], v15 offset:48
	v_add_f32_e32 v44, v44, v48
	v_add_f32_e32 v48, v29, v30
	v_fmac_f32_e32 v41, v39, v40
	v_fma_f32 v40, v38, v42, -v28
	ds_read2_b64 v[28:31], v14 offset0:64 offset1:80
	v_add_f32_e32 v40, v36, v40
	v_mul_f32_e32 v38, v38, v43
	v_fmac_f32_e32 v38, v39, v42
	v_add_f32_e32 v42, v37, v38
	s_waitcnt lgkmcnt(0)
	v_mul_f32_e32 v36, v33, v29
	v_fma_f32 v36, v32, v28, -v36
	v_add_f32_e32 v7, v7, v36
	v_mul_f32_e32 v36, v33, v31
	v_mul_f32_e32 v37, v32, v29
	v_fma_f32 v36, v32, v30, -v36
	v_mul_f32_e32 v32, v32, v31
	v_fmac_f32_e32 v37, v33, v28
	v_fmac_f32_e32 v32, v33, v30
	v_add_f32_e32 v33, v47, v36
	v_mul_f32_e32 v36, v21, v29
	v_add_f32_e32 v39, v45, v49
	v_fma_f32 v36, v20, v28, -v36
	v_mul_f32_e32 v29, v20, v29
	v_add_f32_e32 v41, v46, v41
	v_fmac_f32_e32 v29, v21, v28
	v_add_f32_e32 v28, v39, v36
	v_mul_f32_e32 v36, v21, v31
	v_add_f32_e32 v43, v44, v37
	v_add_f32_e32 v29, v41, v29
	v_fma_f32 v41, v20, v30, -v36
	ds_read2_b64 v[36:39], v14 offset0:96 offset1:112
	v_mul_f32_e32 v20, v20, v31
	v_fmac_f32_e32 v20, v21, v30
	v_add_f32_e32 v21, v40, v41
	v_add_f32_e32 v32, v48, v32
	s_waitcnt lgkmcnt(0)
	v_mul_f32_e32 v30, v35, v37
	v_fma_f32 v30, v34, v36, -v30
	v_mul_f32_e32 v31, v34, v37
	v_fmac_f32_e32 v31, v35, v36
	v_add_f32_e32 v7, v7, v30
	v_mul_f32_e32 v30, v35, v39
	v_add_f32_e32 v40, v43, v31
	v_fma_f32 v30, v34, v38, -v30
	v_mul_f32_e32 v31, v34, v39
	v_fmac_f32_e32 v31, v35, v38
	v_add_f32_e32 v33, v33, v30
	v_mul_f32_e32 v30, v23, v37
	v_add_f32_e32 v32, v32, v31
	;; [unrolled: 6-line block ×3, first 2 shown]
	v_fma_f32 v34, v22, v38, -v28
	ds_read2_b64 v[28:31], v14 offset0:128 offset1:144
	v_mul_f32_e32 v22, v22, v39
	v_add_f32_e32 v20, v42, v20
	v_fmac_f32_e32 v22, v23, v38
	v_add_f32_e32 v42, v20, v22
	s_waitcnt lgkmcnt(0)
	v_mul_f32_e32 v20, v17, v29
	v_add_f32_e32 v41, v21, v34
	v_fma_f32 v20, v16, v28, -v20
	v_mul_f32_e32 v21, v16, v29
	v_fmac_f32_e32 v21, v17, v28
	v_add_f32_e32 v7, v7, v20
	v_mul_f32_e32 v20, v17, v31
	v_add_f32_e32 v40, v40, v21
	v_fma_f32 v34, v16, v30, -v20
	ds_read_b128 v[20:23], v15 offset:1056
	v_mul_f32_e32 v16, v16, v31
	v_fmac_f32_e32 v16, v17, v30
	v_add_f32_e32 v17, v33, v34
	v_add_f32_e32 v16, v32, v16
	ds_read_b128 v[32:35], v15 offset:1072
	s_waitcnt lgkmcnt(1)
	v_mul_f32_e32 v38, v21, v29
	v_fma_f32 v38, v20, v28, -v38
	v_mul_f32_e32 v29, v20, v29
	v_fmac_f32_e32 v29, v21, v28
	v_add_f32_e32 v28, v36, v38
	v_mul_f32_e32 v36, v21, v31
	v_add_f32_e32 v29, v37, v29
	v_fma_f32 v43, v20, v30, -v36
	ds_read2_b64 v[36:39], v14 offset0:160 offset1:176
	v_mul_f32_e32 v20, v20, v31
	v_fmac_f32_e32 v20, v21, v30
	v_add_f32_e32 v20, v42, v20
	v_add_f32_e32 v21, v41, v43
	s_waitcnt lgkmcnt(0)
	v_mul_f32_e32 v30, v19, v37
	v_mul_f32_e32 v31, v18, v37
	v_fma_f32 v30, v18, v36, -v30
	v_fmac_f32_e32 v31, v19, v36
	v_add_f32_e32 v7, v7, v30
	v_add_f32_e32 v30, v40, v31
	v_mul_f32_e32 v31, v19, v39
	v_fma_f32 v31, v18, v38, -v31
	v_mul_f32_e32 v18, v18, v39
	v_fmac_f32_e32 v18, v19, v38
	v_add_f32_e32 v40, v16, v18
	v_mul_f32_e32 v16, v23, v37
	v_add_f32_e32 v31, v17, v31
	v_fma_f32 v16, v22, v36, -v16
	v_mul_f32_e32 v17, v22, v37
	v_fmac_f32_e32 v17, v23, v36
	v_add_f32_e32 v28, v28, v16
	v_mul_f32_e32 v16, v23, v39
	v_add_f32_e32 v29, v29, v17
	v_fma_f32 v36, v22, v38, -v16
	ds_read2_b64 v[16:19], v14 offset0:192 offset1:208
	v_mul_f32_e32 v22, v22, v39
	v_fmac_f32_e32 v22, v23, v38
	v_add_f32_e32 v20, v20, v22
	v_add_f32_e32 v21, v21, v36
	s_waitcnt lgkmcnt(0)
	v_mul_f32_e32 v22, v25, v17
	v_mul_f32_e32 v23, v24, v17
	v_fma_f32 v22, v24, v16, -v22
	v_fmac_f32_e32 v23, v25, v16
	v_add_f32_e32 v7, v7, v22
	v_add_f32_e32 v22, v30, v23
	v_mul_f32_e32 v23, v25, v19
	v_fma_f32 v23, v24, v18, -v23
	v_mul_f32_e32 v24, v24, v19
	v_fmac_f32_e32 v24, v25, v18
	v_mul_f32_e32 v25, v33, v17
	v_mul_f32_e32 v17, v32, v17
	v_fma_f32 v25, v32, v16, -v25
	v_fmac_f32_e32 v17, v33, v16
	v_add_f32_e32 v23, v31, v23
	v_add_f32_e32 v16, v28, v25
	;; [unrolled: 1-line block ×3, first 2 shown]
	ds_read2_b64 v[28:31], v14 offset0:224 offset1:240
	v_mul_f32_e32 v25, v33, v19
	v_mul_f32_e32 v19, v32, v19
	v_fmac_f32_e32 v19, v33, v18
	v_add_f32_e32 v19, v20, v19
	s_waitcnt lgkmcnt(0)
	v_mul_f32_e32 v20, v27, v29
	v_fma_f32 v25, v32, v18, -v25
	v_fma_f32 v20, v26, v28, -v20
	v_add_f32_e32 v18, v21, v25
	v_mul_f32_e32 v21, v26, v29
	v_add_f32_e32 v20, v7, v20
	v_mul_f32_e32 v7, v27, v31
	v_mul_f32_e32 v25, v26, v31
	v_add_f32_e32 v24, v40, v24
	v_fmac_f32_e32 v21, v27, v28
	v_fma_f32 v7, v26, v30, -v7
	v_fmac_f32_e32 v25, v27, v30
	v_add_f32_e32 v21, v22, v21
	v_add_f32_e32 v22, v23, v7
	;; [unrolled: 1-line block ×3, first 2 shown]
	v_mul_f32_e32 v7, v35, v29
	v_mul_f32_e32 v24, v34, v29
	v_fma_f32 v7, v34, v28, -v7
	v_fmac_f32_e32 v24, v35, v28
	s_addc_u32 s3, s3, 0
	v_addc_co_u32_e32 v3, vcc, 0, v3, vcc
	v_add_f32_e32 v16, v16, v7
	v_add_f32_e32 v17, v17, v24
	v_mul_f32_e32 v7, v35, v31
	v_mul_f32_e32 v24, v34, v31
	v_cmp_ge_i64_e32 vcc, s[2:3], v[8:9]
	v_fma_f32 v7, v34, v30, -v7
	v_fmac_f32_e32 v24, v35, v30
	v_add_co_u32_e64 v4, s[0:1], 64, v4
	v_add_f32_e32 v18, v18, v7
	v_add_f32_e32 v19, v19, v24
	v_addc_co_u32_e64 v5, s[0:1], 0, v5, s[0:1]
	s_barrier
	s_cbranch_vccnz .LBB1602_12
.LBB1602_3:                             ; =>This Inner Loop Header: Depth=1
	v_mov_b32_e32 v7, s3
	v_add_co_u32_e32 v24, vcc, s2, v10
	v_addc_co_u32_e32 v25, vcc, 0, v7, vcc
	v_cmp_le_i64_e32 vcc, s[12:13], v[24:25]
	s_or_b64 s[0:1], s[4:5], vcc
	s_and_saveexec_b64 s[16:17], s[0:1]
	s_xor_b64 s[0:1], exec, s[16:17]
; %bb.4:                                ;   in Loop: Header=BB1602_3 Depth=1
	v_mov_b32_e32 v7, v6
	ds_write_b64 v12, v[6:7]
; %bb.5:                                ;   in Loop: Header=BB1602_3 Depth=1
	s_andn2_saveexec_b64 s[0:1], s[0:1]
	s_cbranch_execz .LBB1602_7
; %bb.6:                                ;   in Loop: Header=BB1602_3 Depth=1
	flat_load_dwordx2 v[24:25], v[2:3]
	s_waitcnt vmcnt(0) lgkmcnt(0)
	ds_write_b64 v12, v[24:25]
.LBB1602_7:                             ;   in Loop: Header=BB1602_3 Depth=1
	s_or_b64 exec, exec, s[0:1]
	v_mov_b32_e32 v7, s3
	v_add_co_u32_e32 v24, vcc, s2, v11
	v_addc_co_u32_e32 v25, vcc, 0, v7, vcc
	v_cmp_le_i64_e32 vcc, s[12:13], v[24:25]
	s_or_b64 s[0:1], vcc, s[6:7]
	s_and_saveexec_b64 s[16:17], s[0:1]
	s_xor_b64 s[0:1], exec, s[16:17]
; %bb.8:                                ;   in Loop: Header=BB1602_3 Depth=1
	v_mov_b32_e32 v7, v6
	ds_write_b64 v13, v[6:7]
; %bb.9:                                ;   in Loop: Header=BB1602_3 Depth=1
	s_andn2_saveexec_b64 s[0:1], s[0:1]
	s_cbranch_execz .LBB1602_2
; %bb.10:                               ;   in Loop: Header=BB1602_3 Depth=1
	flat_load_dwordx2 v[24:25], v[4:5]
	s_waitcnt vmcnt(0) lgkmcnt(0)
	ds_write_b64 v13, v[24:25]
	s_branch .LBB1602_2
.LBB1602_11:
	v_mov_b32_e32 v20, 0
	v_mov_b32_e32 v21, 0
	;; [unrolled: 1-line block ×8, first 2 shown]
.LBB1602_12:
	v_add_u32_e32 v4, s20, v1
	v_ashrrev_i32_e32 v1, 31, v4
	v_mul_lo_u32 v3, s22, v1
	v_mul_lo_u32 v5, s23, v4
	v_mad_u64_u32 v[1:2], s[0:1], s22, v4, 0
	v_add_u32_e32 v0, s11, v0
	v_cmp_le_i32_e64 s[0:1], v4, v0
	v_add3_u32 v2, v2, v3, v5
	v_lshlrev_b64 v[1:2], 3, v[1:2]
	s_waitcnt lgkmcnt(0)
	v_mov_b32_e32 v3, s9
	v_add_co_u32_e32 v5, vcc, s8, v1
	v_addc_co_u32_e32 v6, vcc, v3, v2, vcc
	v_cmp_gt_i32_e32 vcc, s10, v0
	s_and_b64 s[0:1], s[0:1], vcc
	s_and_saveexec_b64 s[2:3], s[0:1]
	s_cbranch_execz .LBB1602_14
; %bb.13:
	v_mul_f32_e32 v1, s15, v21
	v_fma_f32 v2, v20, s14, -v1
	v_ashrrev_i32_e32 v1, 31, v0
	v_lshlrev_b64 v[7:8], 3, v[0:1]
	v_mul_f32_e32 v3, s14, v21
	v_add_co_u32_e64 v7, s[0:1], v5, v7
	v_fmac_f32_e32 v3, s15, v20
	v_addc_co_u32_e64 v8, s[0:1], v6, v8, s[0:1]
	flat_store_dwordx2 v[7:8], v[2:3]
.LBB1602_14:
	s_or_b64 exec, exec, s[2:3]
	v_add_u32_e32 v2, 16, v0
	v_cmp_le_i32_e64 s[2:3], v4, v2
	v_cmp_gt_i32_e64 s[0:1], s10, v2
	s_and_b64 s[2:3], s[2:3], s[0:1]
	s_and_saveexec_b64 s[4:5], s[2:3]
	s_cbranch_execz .LBB1602_16
; %bb.15:
	v_ashrrev_i32_e32 v3, 31, v2
	v_lshlrev_b64 v[9:10], 3, v[2:3]
	v_mul_f32_e32 v1, s15, v23
	v_mul_f32_e32 v8, s14, v23
	v_add_co_u32_e64 v5, s[2:3], v5, v9
	v_fma_f32 v7, v22, s14, -v1
	v_fmac_f32_e32 v8, s15, v22
	v_addc_co_u32_e64 v6, s[2:3], v6, v10, s[2:3]
	flat_store_dwordx2 v[5:6], v[7:8]
.LBB1602_16:
	s_or_b64 exec, exec, s[4:5]
	v_add_u32_e32 v3, 16, v4
	v_ashrrev_i32_e32 v1, 31, v3
	v_mul_lo_u32 v6, s23, v3
	v_mad_u64_u32 v[4:5], s[2:3], s22, v3, 0
	v_mul_lo_u32 v1, s22, v1
	v_add3_u32 v5, v5, v1, v6
	v_lshlrev_b64 v[4:5], 3, v[4:5]
	v_mov_b32_e32 v1, s9
	v_add_co_u32_e64 v4, s[2:3], s8, v4
	v_addc_co_u32_e64 v5, s[2:3], v1, v5, s[2:3]
	v_cmp_le_i32_e64 s[2:3], v3, v0
	s_and_b64 s[4:5], s[2:3], vcc
	s_and_saveexec_b64 s[2:3], s[4:5]
	s_cbranch_execz .LBB1602_18
; %bb.17:
	v_mul_f32_e32 v1, s15, v17
	v_fma_f32 v6, v16, s14, -v1
	v_ashrrev_i32_e32 v1, 31, v0
	v_lshlrev_b64 v[0:1], 3, v[0:1]
	v_mul_f32_e32 v7, s14, v17
	v_add_co_u32_e32 v0, vcc, v4, v0
	v_fmac_f32_e32 v7, s15, v16
	v_addc_co_u32_e32 v1, vcc, v5, v1, vcc
	flat_store_dwordx2 v[0:1], v[6:7]
.LBB1602_18:
	s_or_b64 exec, exec, s[2:3]
	v_cmp_le_i32_e32 vcc, v3, v2
	s_and_b64 s[0:1], vcc, s[0:1]
	s_and_saveexec_b64 s[2:3], s[0:1]
	s_cbranch_execz .LBB1602_20
; %bb.19:
	v_ashrrev_i32_e32 v3, 31, v2
	v_lshlrev_b64 v[2:3], 3, v[2:3]
	v_mul_f32_e32 v0, s15, v19
	v_mul_f32_e32 v1, s14, v19
	v_add_co_u32_e32 v2, vcc, v4, v2
	v_fma_f32 v0, v18, s14, -v0
	v_fmac_f32_e32 v1, s15, v18
	v_addc_co_u32_e32 v3, vcc, v5, v3, vcc
	flat_store_dwordx2 v[2:3], v[0:1]
.LBB1602_20:
	s_endpgm
	.section	.rodata,"a",@progbits
	.p2align	6, 0x0
	.amdhsa_kernel _ZL34rocblas_syrkx_herkx_general_kernelIl19rocblas_complex_numIfELi16ELi32ELi8ELb1ELb0ELc84ELc76EKPKS1_KPS1_EviT_T0_PT8_S7_lSA_S7_lS8_PT9_S7_li
		.amdhsa_group_segment_fixed_size 4096
		.amdhsa_private_segment_fixed_size 0
		.amdhsa_kernarg_size 108
		.amdhsa_user_sgpr_count 6
		.amdhsa_user_sgpr_private_segment_buffer 1
		.amdhsa_user_sgpr_dispatch_ptr 0
		.amdhsa_user_sgpr_queue_ptr 0
		.amdhsa_user_sgpr_kernarg_segment_ptr 1
		.amdhsa_user_sgpr_dispatch_id 0
		.amdhsa_user_sgpr_flat_scratch_init 0
		.amdhsa_user_sgpr_private_segment_size 0
		.amdhsa_uses_dynamic_stack 0
		.amdhsa_system_sgpr_private_segment_wavefront_offset 0
		.amdhsa_system_sgpr_workgroup_id_x 1
		.amdhsa_system_sgpr_workgroup_id_y 1
		.amdhsa_system_sgpr_workgroup_id_z 1
		.amdhsa_system_sgpr_workgroup_info 0
		.amdhsa_system_vgpr_workitem_id 1
		.amdhsa_next_free_vgpr 50
		.amdhsa_next_free_sgpr 24
		.amdhsa_reserve_vcc 1
		.amdhsa_reserve_flat_scratch 0
		.amdhsa_float_round_mode_32 0
		.amdhsa_float_round_mode_16_64 0
		.amdhsa_float_denorm_mode_32 3
		.amdhsa_float_denorm_mode_16_64 3
		.amdhsa_dx10_clamp 1
		.amdhsa_ieee_mode 1
		.amdhsa_fp16_overflow 0
		.amdhsa_exception_fp_ieee_invalid_op 0
		.amdhsa_exception_fp_denorm_src 0
		.amdhsa_exception_fp_ieee_div_zero 0
		.amdhsa_exception_fp_ieee_overflow 0
		.amdhsa_exception_fp_ieee_underflow 0
		.amdhsa_exception_fp_ieee_inexact 0
		.amdhsa_exception_int_div_zero 0
	.end_amdhsa_kernel
	.section	.text._ZL34rocblas_syrkx_herkx_general_kernelIl19rocblas_complex_numIfELi16ELi32ELi8ELb1ELb0ELc84ELc76EKPKS1_KPS1_EviT_T0_PT8_S7_lSA_S7_lS8_PT9_S7_li,"axG",@progbits,_ZL34rocblas_syrkx_herkx_general_kernelIl19rocblas_complex_numIfELi16ELi32ELi8ELb1ELb0ELc84ELc76EKPKS1_KPS1_EviT_T0_PT8_S7_lSA_S7_lS8_PT9_S7_li,comdat
.Lfunc_end1602:
	.size	_ZL34rocblas_syrkx_herkx_general_kernelIl19rocblas_complex_numIfELi16ELi32ELi8ELb1ELb0ELc84ELc76EKPKS1_KPS1_EviT_T0_PT8_S7_lSA_S7_lS8_PT9_S7_li, .Lfunc_end1602-_ZL34rocblas_syrkx_herkx_general_kernelIl19rocblas_complex_numIfELi16ELi32ELi8ELb1ELb0ELc84ELc76EKPKS1_KPS1_EviT_T0_PT8_S7_lSA_S7_lS8_PT9_S7_li
                                        ; -- End function
	.set _ZL34rocblas_syrkx_herkx_general_kernelIl19rocblas_complex_numIfELi16ELi32ELi8ELb1ELb0ELc84ELc76EKPKS1_KPS1_EviT_T0_PT8_S7_lSA_S7_lS8_PT9_S7_li.num_vgpr, 50
	.set _ZL34rocblas_syrkx_herkx_general_kernelIl19rocblas_complex_numIfELi16ELi32ELi8ELb1ELb0ELc84ELc76EKPKS1_KPS1_EviT_T0_PT8_S7_lSA_S7_lS8_PT9_S7_li.num_agpr, 0
	.set _ZL34rocblas_syrkx_herkx_general_kernelIl19rocblas_complex_numIfELi16ELi32ELi8ELb1ELb0ELc84ELc76EKPKS1_KPS1_EviT_T0_PT8_S7_lSA_S7_lS8_PT9_S7_li.numbered_sgpr, 24
	.set _ZL34rocblas_syrkx_herkx_general_kernelIl19rocblas_complex_numIfELi16ELi32ELi8ELb1ELb0ELc84ELc76EKPKS1_KPS1_EviT_T0_PT8_S7_lSA_S7_lS8_PT9_S7_li.num_named_barrier, 0
	.set _ZL34rocblas_syrkx_herkx_general_kernelIl19rocblas_complex_numIfELi16ELi32ELi8ELb1ELb0ELc84ELc76EKPKS1_KPS1_EviT_T0_PT8_S7_lSA_S7_lS8_PT9_S7_li.private_seg_size, 0
	.set _ZL34rocblas_syrkx_herkx_general_kernelIl19rocblas_complex_numIfELi16ELi32ELi8ELb1ELb0ELc84ELc76EKPKS1_KPS1_EviT_T0_PT8_S7_lSA_S7_lS8_PT9_S7_li.uses_vcc, 1
	.set _ZL34rocblas_syrkx_herkx_general_kernelIl19rocblas_complex_numIfELi16ELi32ELi8ELb1ELb0ELc84ELc76EKPKS1_KPS1_EviT_T0_PT8_S7_lSA_S7_lS8_PT9_S7_li.uses_flat_scratch, 0
	.set _ZL34rocblas_syrkx_herkx_general_kernelIl19rocblas_complex_numIfELi16ELi32ELi8ELb1ELb0ELc84ELc76EKPKS1_KPS1_EviT_T0_PT8_S7_lSA_S7_lS8_PT9_S7_li.has_dyn_sized_stack, 0
	.set _ZL34rocblas_syrkx_herkx_general_kernelIl19rocblas_complex_numIfELi16ELi32ELi8ELb1ELb0ELc84ELc76EKPKS1_KPS1_EviT_T0_PT8_S7_lSA_S7_lS8_PT9_S7_li.has_recursion, 0
	.set _ZL34rocblas_syrkx_herkx_general_kernelIl19rocblas_complex_numIfELi16ELi32ELi8ELb1ELb0ELc84ELc76EKPKS1_KPS1_EviT_T0_PT8_S7_lSA_S7_lS8_PT9_S7_li.has_indirect_call, 0
	.section	.AMDGPU.csdata,"",@progbits
; Kernel info:
; codeLenInByte = 2196
; TotalNumSgprs: 28
; NumVgprs: 50
; ScratchSize: 0
; MemoryBound: 1
; FloatMode: 240
; IeeeMode: 1
; LDSByteSize: 4096 bytes/workgroup (compile time only)
; SGPRBlocks: 3
; VGPRBlocks: 12
; NumSGPRsForWavesPerEU: 28
; NumVGPRsForWavesPerEU: 50
; Occupancy: 4
; WaveLimiterHint : 1
; COMPUTE_PGM_RSRC2:SCRATCH_EN: 0
; COMPUTE_PGM_RSRC2:USER_SGPR: 6
; COMPUTE_PGM_RSRC2:TRAP_HANDLER: 0
; COMPUTE_PGM_RSRC2:TGID_X_EN: 1
; COMPUTE_PGM_RSRC2:TGID_Y_EN: 1
; COMPUTE_PGM_RSRC2:TGID_Z_EN: 1
; COMPUTE_PGM_RSRC2:TIDIG_COMP_CNT: 1
	.section	.text._ZL34rocblas_syrkx_herkx_general_kernelIl19rocblas_complex_numIfELi16ELi32ELi8ELb1ELb0ELc67ELc76EKPKS1_KPS1_EviT_T0_PT8_S7_lSA_S7_lS8_PT9_S7_li,"axG",@progbits,_ZL34rocblas_syrkx_herkx_general_kernelIl19rocblas_complex_numIfELi16ELi32ELi8ELb1ELb0ELc67ELc76EKPKS1_KPS1_EviT_T0_PT8_S7_lSA_S7_lS8_PT9_S7_li,comdat
	.globl	_ZL34rocblas_syrkx_herkx_general_kernelIl19rocblas_complex_numIfELi16ELi32ELi8ELb1ELb0ELc67ELc76EKPKS1_KPS1_EviT_T0_PT8_S7_lSA_S7_lS8_PT9_S7_li ; -- Begin function _ZL34rocblas_syrkx_herkx_general_kernelIl19rocblas_complex_numIfELi16ELi32ELi8ELb1ELb0ELc67ELc76EKPKS1_KPS1_EviT_T0_PT8_S7_lSA_S7_lS8_PT9_S7_li
	.p2align	8
	.type	_ZL34rocblas_syrkx_herkx_general_kernelIl19rocblas_complex_numIfELi16ELi32ELi8ELb1ELb0ELc67ELc76EKPKS1_KPS1_EviT_T0_PT8_S7_lSA_S7_lS8_PT9_S7_li,@function
_ZL34rocblas_syrkx_herkx_general_kernelIl19rocblas_complex_numIfELi16ELi32ELi8ELb1ELb0ELc67ELc76EKPKS1_KPS1_EviT_T0_PT8_S7_lSA_S7_lS8_PT9_S7_li: ; @_ZL34rocblas_syrkx_herkx_general_kernelIl19rocblas_complex_numIfELi16ELi32ELi8ELb1ELb0ELc67ELc76EKPKS1_KPS1_EviT_T0_PT8_S7_lSA_S7_lS8_PT9_S7_li
; %bb.0:
	s_load_dwordx4 s[20:23], s[4:5], 0x50
	s_load_dword s10, s[4:5], 0x0
	s_load_dwordx8 s[12:19], s[4:5], 0x8
	s_mov_b32 s9, 0
	s_lshl_b64 s[0:1], s[8:9], 3
	s_waitcnt lgkmcnt(0)
	s_add_u32 s2, s20, s0
	s_addc_u32 s3, s21, s1
	s_load_dwordx2 s[8:9], s[2:3], 0x0
	v_cmp_lt_i64_e64 s[2:3], s[12:13], 1
	s_lshl_b32 s11, s6, 5
	s_lshl_b32 s20, s7, 5
	s_and_b64 vcc, exec, s[2:3]
	s_cbranch_vccnz .LBB1603_9
; %bb.1:
	s_load_dwordx4 s[4:7], s[4:5], 0x30
	v_lshl_add_u32 v2, v1, 4, v0
	v_and_b32_e32 v5, 31, v2
	v_or_b32_e32 v6, s11, v5
	v_and_b32_e32 v13, 7, v0
	s_waitcnt lgkmcnt(0)
	s_add_u32 s2, s4, s0
	s_addc_u32 s3, s5, s1
	s_add_u32 s0, s16, s0
	s_addc_u32 s1, s17, s1
	v_lshrrev_b32_e32 v3, 3, v2
	v_lshrrev_b32_e32 v12, 5, v2
	s_load_dwordx2 s[16:17], s[0:1], 0x0
	v_cmp_gt_i32_e64 s[0:1], s10, v6
	v_lshlrev_b32_e32 v2, 3, v5
	v_lshlrev_b32_e32 v6, 3, v13
	v_lshl_or_b32 v14, v12, 8, v2
	v_lshl_or_b32 v2, v3, 6, v6
	v_add_u32_e32 v15, 0x800, v2
	v_add_u32_e32 v2, s11, v5
	;; [unrolled: 1-line block ×3, first 2 shown]
	v_ashrrev_i32_e32 v3, 31, v2
	s_load_dwordx2 s[4:5], s[2:3], 0x0
	v_mul_lo_u32 v5, s18, v3
	v_mul_lo_u32 v8, s19, v2
	v_mad_u64_u32 v[2:3], s[2:3], s18, v2, 0
	v_ashrrev_i32_e32 v7, 31, v4
	v_mov_b32_e32 v9, 0x800
	v_add3_u32 v3, v3, v5, v8
	v_lshlrev_b64 v[2:3], 3, v[2:3]
	v_lshlrev_b32_e32 v5, 3, v12
	v_add_co_u32_e64 v2, s[2:3], v2, v5
	v_cmp_gt_i32_e32 vcc, s10, v4
	v_lshl_add_u32 v17, v1, 6, v9
	v_addc_co_u32_e64 v3, s[2:3], 0, v3, s[2:3]
	v_mul_lo_u32 v7, s6, v7
	v_mul_lo_u32 v9, s7, v4
	v_mad_u64_u32 v[4:5], s[2:3], s6, v4, 0
	s_waitcnt lgkmcnt(0)
	v_mov_b32_e32 v8, s17
	v_add_co_u32_e64 v2, s[2:3], s16, v2
	v_add3_u32 v5, v5, v7, v9
	v_lshlrev_b64 v[4:5], 3, v[4:5]
	v_addc_co_u32_e64 v3, s[2:3], v8, v3, s[2:3]
	v_add_co_u32_e64 v4, s[2:3], v4, v6
	v_addc_co_u32_e64 v5, s[2:3], 0, v5, s[2:3]
	v_mov_b32_e32 v6, s5
	v_add_co_u32_e64 v4, s[2:3], s4, v4
	v_mov_b32_e32 v8, s12
	v_lshlrev_b32_e32 v16, 3, v0
	v_addc_co_u32_e64 v5, s[2:3], v6, v5, s[2:3]
	s_mov_b64 s[4:5], 0
	s_xor_b64 s[6:7], vcc, -1
	v_mov_b32_e32 v21, 0
	v_mov_b32_e32 v20, 0
	;; [unrolled: 1-line block ×10, first 2 shown]
	s_branch .LBB1603_3
.LBB1603_2:                             ;   in Loop: Header=BB1603_3 Depth=1
	s_or_b64 exec, exec, s[2:3]
	s_waitcnt lgkmcnt(0)
	s_barrier
	ds_read2_b64 v[26:29], v16 offset1:16
	ds_read_b128 v[30:33], v17
	ds_read_b128 v[34:37], v17 offset:16
	ds_read_b128 v[38:41], v17 offset:1024
	ds_read2_b64 v[42:45], v16 offset0:32 offset1:48
	s_add_u32 s4, s4, 8
	s_waitcnt lgkmcnt(3)
	v_mul_f32_e32 v7, v31, v27
	v_fma_f32 v7, v30, v26, -v7
	v_mul_f32_e32 v10, v30, v27
	v_add_f32_e32 v7, v22, v7
	v_mul_f32_e32 v11, v31, v29
	v_mul_f32_e32 v22, v30, v29
	v_fmac_f32_e32 v10, v31, v26
	v_fma_f32 v11, v30, v28, -v11
	v_fmac_f32_e32 v22, v31, v28
	v_add_f32_e32 v10, v23, v10
	v_add_f32_e32 v11, v24, v11
	;; [unrolled: 1-line block ×3, first 2 shown]
	ds_read_b128 v[22:25], v17 offset:1040
	s_waitcnt lgkmcnt(2)
	v_mul_f32_e32 v31, v39, v27
	v_fma_f32 v31, v38, v26, -v31
	v_mul_f32_e32 v27, v38, v27
	v_add_f32_e32 v46, v18, v31
	v_mul_f32_e32 v18, v39, v29
	v_fmac_f32_e32 v27, v39, v26
	v_fma_f32 v18, v38, v28, -v18
	v_add_f32_e32 v47, v19, v27
	v_mul_f32_e32 v19, v38, v29
	v_add_f32_e32 v38, v20, v18
	s_waitcnt lgkmcnt(1)
	v_mul_f32_e32 v18, v33, v43
	v_fma_f32 v31, v32, v42, -v18
	v_mul_f32_e32 v18, v33, v45
	v_mul_f32_e32 v48, v32, v43
	v_fma_f32 v49, v32, v44, -v18
	v_mul_f32_e32 v32, v32, v45
	v_fmac_f32_e32 v48, v33, v42
	v_fmac_f32_e32 v32, v33, v44
	v_add_f32_e32 v10, v10, v48
	v_add_f32_e32 v48, v30, v32
	v_mul_f32_e32 v30, v41, v43
	v_fmac_f32_e32 v19, v39, v28
	v_add_f32_e32 v11, v11, v49
	v_fma_f32 v49, v40, v42, -v30
	v_mul_f32_e32 v43, v40, v43
	v_mul_f32_e32 v30, v41, v45
	v_add_f32_e32 v39, v21, v19
	ds_read_b128 v[18:21], v17 offset:32
	ds_read_b128 v[26:29], v17 offset:48
	v_add_f32_e32 v7, v7, v31
	v_fmac_f32_e32 v43, v41, v42
	v_fma_f32 v42, v40, v44, -v30
	ds_read2_b64 v[30:33], v16 offset0:64 offset1:80
	v_add_f32_e32 v42, v38, v42
	v_mul_f32_e32 v40, v40, v45
	v_fmac_f32_e32 v40, v41, v44
	v_add_f32_e32 v44, v39, v40
	s_waitcnt lgkmcnt(0)
	v_mul_f32_e32 v38, v35, v31
	v_fma_f32 v38, v34, v30, -v38
	v_add_f32_e32 v7, v7, v38
	v_mul_f32_e32 v38, v35, v33
	v_mul_f32_e32 v39, v34, v31
	v_fma_f32 v38, v34, v32, -v38
	v_mul_f32_e32 v34, v34, v33
	v_fmac_f32_e32 v39, v35, v30
	v_fmac_f32_e32 v34, v35, v32
	v_mul_f32_e32 v35, v23, v31
	v_add_f32_e32 v41, v46, v49
	v_fma_f32 v35, v22, v30, -v35
	v_mul_f32_e32 v31, v22, v31
	v_add_f32_e32 v10, v10, v39
	v_add_f32_e32 v11, v11, v38
	v_fmac_f32_e32 v31, v23, v30
	v_add_f32_e32 v30, v41, v35
	ds_read2_b64 v[38:41], v16 offset0:96 offset1:112
	v_mul_f32_e32 v35, v23, v33
	v_fma_f32 v35, v22, v32, -v35
	v_mul_f32_e32 v22, v22, v33
	v_fmac_f32_e32 v22, v23, v32
	s_waitcnt lgkmcnt(0)
	v_mul_f32_e32 v32, v37, v39
	v_fma_f32 v32, v36, v38, -v32
	v_mul_f32_e32 v33, v36, v39
	v_fmac_f32_e32 v33, v37, v38
	v_add_f32_e32 v7, v7, v32
	v_mul_f32_e32 v32, v37, v41
	v_add_f32_e32 v10, v10, v33
	v_fma_f32 v32, v36, v40, -v32
	v_mul_f32_e32 v33, v36, v41
	v_add_f32_e32 v34, v48, v34
	v_fmac_f32_e32 v33, v37, v40
	v_add_f32_e32 v11, v11, v32
	v_mul_f32_e32 v32, v25, v39
	v_add_f32_e32 v43, v47, v43
	v_add_f32_e32 v34, v34, v33
	v_fma_f32 v32, v24, v38, -v32
	v_mul_f32_e32 v33, v24, v39
	v_add_f32_e32 v31, v43, v31
	v_fmac_f32_e32 v33, v25, v38
	v_add_f32_e32 v38, v30, v32
	v_mul_f32_e32 v30, v25, v41
	v_add_f32_e32 v23, v42, v35
	v_add_f32_e32 v39, v31, v33
	v_fma_f32 v35, v24, v40, -v30
	ds_read2_b64 v[30:33], v16 offset0:128 offset1:144
	v_mul_f32_e32 v24, v24, v41
	v_add_f32_e32 v22, v44, v22
	v_fmac_f32_e32 v24, v25, v40
	v_add_f32_e32 v43, v22, v24
	s_waitcnt lgkmcnt(0)
	v_mul_f32_e32 v22, v19, v31
	v_add_f32_e32 v42, v23, v35
	v_fma_f32 v22, v18, v30, -v22
	v_mul_f32_e32 v23, v18, v31
	v_fmac_f32_e32 v23, v19, v30
	v_add_f32_e32 v7, v7, v22
	v_mul_f32_e32 v22, v19, v33
	v_add_f32_e32 v10, v10, v23
	v_fma_f32 v35, v18, v32, -v22
	ds_read_b128 v[22:25], v17 offset:1056
	v_mul_f32_e32 v18, v18, v33
	v_fmac_f32_e32 v18, v19, v32
	v_add_f32_e32 v11, v11, v35
	v_add_f32_e32 v18, v34, v18
	ds_read_b128 v[34:37], v17 offset:1072
	s_waitcnt lgkmcnt(1)
	v_mul_f32_e32 v19, v23, v31
	v_mul_f32_e32 v31, v22, v31
	v_fma_f32 v19, v22, v30, -v19
	v_fmac_f32_e32 v31, v23, v30
	v_add_f32_e32 v19, v38, v19
	v_add_f32_e32 v30, v39, v31
	ds_read2_b64 v[38:41], v16 offset0:160 offset1:176
	v_mul_f32_e32 v31, v23, v33
	v_fma_f32 v31, v22, v32, -v31
	v_mul_f32_e32 v22, v22, v33
	v_fmac_f32_e32 v22, v23, v32
	v_add_f32_e32 v23, v42, v31
	s_waitcnt lgkmcnt(0)
	v_mul_f32_e32 v31, v21, v39
	v_fma_f32 v31, v20, v38, -v31
	v_add_f32_e32 v7, v7, v31
	v_mul_f32_e32 v31, v21, v41
	v_mul_f32_e32 v32, v20, v39
	v_fma_f32 v31, v20, v40, -v31
	v_mul_f32_e32 v20, v20, v41
	v_fmac_f32_e32 v20, v21, v40
	v_add_f32_e32 v11, v11, v31
	v_add_f32_e32 v31, v18, v20
	v_mul_f32_e32 v18, v25, v39
	v_fmac_f32_e32 v32, v21, v38
	v_fma_f32 v18, v24, v38, -v18
	v_mul_f32_e32 v20, v24, v39
	v_add_f32_e32 v10, v10, v32
	v_fmac_f32_e32 v20, v25, v38
	v_add_f32_e32 v32, v19, v18
	v_mul_f32_e32 v18, v25, v41
	v_add_f32_e32 v30, v30, v20
	v_fma_f32 v33, v24, v40, -v18
	ds_read2_b64 v[18:21], v16 offset0:192 offset1:208
	v_mul_f32_e32 v24, v24, v41
	v_add_f32_e32 v22, v43, v22
	v_fmac_f32_e32 v24, v25, v40
	v_add_f32_e32 v22, v22, v24
	s_waitcnt lgkmcnt(0)
	v_mul_f32_e32 v24, v27, v19
	v_fma_f32 v24, v26, v18, -v24
	v_mul_f32_e32 v25, v26, v19
	v_add_f32_e32 v7, v7, v24
	v_mul_f32_e32 v24, v27, v21
	v_fmac_f32_e32 v25, v27, v18
	v_fma_f32 v24, v26, v20, -v24
	v_add_f32_e32 v10, v10, v25
	v_mul_f32_e32 v25, v26, v21
	v_add_f32_e32 v11, v11, v24
	v_mul_f32_e32 v24, v35, v19
	v_mul_f32_e32 v19, v34, v19
	v_fmac_f32_e32 v25, v27, v20
	v_fma_f32 v24, v34, v18, -v24
	v_fmac_f32_e32 v19, v35, v18
	v_add_f32_e32 v23, v23, v33
	v_add_f32_e32 v25, v31, v25
	;; [unrolled: 1-line block ×4, first 2 shown]
	ds_read2_b64 v[30:33], v16 offset0:224 offset1:240
	v_mul_f32_e32 v24, v35, v21
	v_mul_f32_e32 v21, v34, v21
	v_fma_f32 v24, v34, v20, -v24
	v_fmac_f32_e32 v21, v35, v20
	v_add_f32_e32 v20, v23, v24
	v_add_f32_e32 v21, v22, v21
	s_waitcnt lgkmcnt(0)
	v_mul_f32_e32 v22, v29, v31
	v_mul_f32_e32 v23, v28, v31
	v_fma_f32 v22, v28, v30, -v22
	v_fmac_f32_e32 v23, v29, v30
	v_add_f32_e32 v22, v7, v22
	v_add_f32_e32 v23, v10, v23
	v_mul_f32_e32 v7, v29, v33
	v_mul_f32_e32 v10, v28, v33
	v_fma_f32 v7, v28, v32, -v7
	v_fmac_f32_e32 v10, v29, v32
	v_add_f32_e32 v24, v11, v7
	v_add_f32_e32 v25, v25, v10
	v_mul_f32_e32 v7, v37, v31
	v_mul_f32_e32 v10, v36, v31
	v_add_co_u32_e32 v2, vcc, 64, v2
	v_fma_f32 v7, v36, v30, -v7
	v_fmac_f32_e32 v10, v37, v30
	s_addc_u32 s5, s5, 0
	v_addc_co_u32_e32 v3, vcc, 0, v3, vcc
	v_add_f32_e32 v18, v18, v7
	v_add_f32_e32 v19, v19, v10
	v_mul_f32_e32 v7, v37, v33
	v_mul_f32_e32 v10, v36, v33
	v_cmp_ge_i64_e32 vcc, s[4:5], v[8:9]
	v_fma_f32 v7, v36, v32, -v7
	v_fmac_f32_e32 v10, v37, v32
	v_add_co_u32_e64 v4, s[2:3], 64, v4
	v_add_f32_e32 v20, v20, v7
	v_add_f32_e32 v21, v21, v10
	v_addc_co_u32_e64 v5, s[2:3], 0, v5, s[2:3]
	s_barrier
	s_cbranch_vccnz .LBB1603_10
.LBB1603_3:                             ; =>This Inner Loop Header: Depth=1
	v_mov_b32_e32 v7, s5
	v_add_co_u32_e32 v10, vcc, s4, v12
	v_addc_co_u32_e32 v11, vcc, 0, v7, vcc
	v_cmp_gt_i64_e32 vcc, s[12:13], v[10:11]
	v_mov_b32_e32 v10, 0
	s_and_b64 s[16:17], s[0:1], vcc
	v_mov_b32_e32 v11, 0
	s_and_saveexec_b64 s[2:3], s[16:17]
	s_cbranch_execz .LBB1603_5
; %bb.4:                                ;   in Loop: Header=BB1603_3 Depth=1
	flat_load_dwordx2 v[10:11], v[2:3]
.LBB1603_5:                             ;   in Loop: Header=BB1603_3 Depth=1
	s_or_b64 exec, exec, s[2:3]
	v_mov_b32_e32 v7, s5
	v_add_co_u32_e32 v26, vcc, s4, v13
	v_addc_co_u32_e32 v27, vcc, 0, v7, vcc
	v_cmp_le_i64_e32 vcc, s[12:13], v[26:27]
	s_waitcnt vmcnt(0) lgkmcnt(0)
	ds_write_b64 v14, v[10:11]
	s_or_b64 s[2:3], vcc, s[6:7]
	s_and_saveexec_b64 s[16:17], s[2:3]
	s_xor_b64 s[2:3], exec, s[16:17]
; %bb.6:                                ;   in Loop: Header=BB1603_3 Depth=1
	v_mov_b32_e32 v7, v6
	ds_write_b64 v15, v[6:7]
; %bb.7:                                ;   in Loop: Header=BB1603_3 Depth=1
	s_andn2_saveexec_b64 s[2:3], s[2:3]
	s_cbranch_execz .LBB1603_2
; %bb.8:                                ;   in Loop: Header=BB1603_3 Depth=1
	flat_load_dwordx2 v[10:11], v[4:5]
	s_waitcnt vmcnt(0) lgkmcnt(0)
	ds_write_b64 v15, v[10:11]
	s_branch .LBB1603_2
.LBB1603_9:
	v_mov_b32_e32 v22, 0
	v_mov_b32_e32 v23, 0
	;; [unrolled: 1-line block ×8, first 2 shown]
.LBB1603_10:
	v_add_u32_e32 v4, s20, v1
	v_ashrrev_i32_e32 v1, 31, v4
	v_mul_lo_u32 v3, s22, v1
	v_mul_lo_u32 v5, s23, v4
	v_mad_u64_u32 v[1:2], s[0:1], s22, v4, 0
	v_add_u32_e32 v0, s11, v0
	v_cmp_le_i32_e64 s[0:1], v4, v0
	v_add3_u32 v2, v2, v3, v5
	v_lshlrev_b64 v[1:2], 3, v[1:2]
	s_waitcnt lgkmcnt(0)
	v_mov_b32_e32 v3, s9
	v_add_co_u32_e32 v5, vcc, s8, v1
	v_addc_co_u32_e32 v6, vcc, v3, v2, vcc
	v_cmp_gt_i32_e32 vcc, s10, v0
	s_and_b64 s[0:1], s[0:1], vcc
	s_and_saveexec_b64 s[2:3], s[0:1]
	s_cbranch_execz .LBB1603_12
; %bb.11:
	v_mul_f32_e32 v1, s15, v23
	v_fma_f32 v2, v22, s14, -v1
	v_ashrrev_i32_e32 v1, 31, v0
	v_lshlrev_b64 v[7:8], 3, v[0:1]
	v_mul_f32_e32 v3, s14, v23
	v_add_co_u32_e64 v7, s[0:1], v5, v7
	v_fmac_f32_e32 v3, s15, v22
	v_addc_co_u32_e64 v8, s[0:1], v6, v8, s[0:1]
	flat_store_dwordx2 v[7:8], v[2:3]
.LBB1603_12:
	s_or_b64 exec, exec, s[2:3]
	v_add_u32_e32 v2, 16, v0
	v_cmp_le_i32_e64 s[2:3], v4, v2
	v_cmp_gt_i32_e64 s[0:1], s10, v2
	s_and_b64 s[2:3], s[2:3], s[0:1]
	s_and_saveexec_b64 s[4:5], s[2:3]
	s_cbranch_execz .LBB1603_14
; %bb.13:
	v_ashrrev_i32_e32 v3, 31, v2
	v_lshlrev_b64 v[9:10], 3, v[2:3]
	v_mul_f32_e32 v1, s15, v25
	v_mul_f32_e32 v8, s14, v25
	v_add_co_u32_e64 v5, s[2:3], v5, v9
	v_fma_f32 v7, v24, s14, -v1
	v_fmac_f32_e32 v8, s15, v24
	v_addc_co_u32_e64 v6, s[2:3], v6, v10, s[2:3]
	flat_store_dwordx2 v[5:6], v[7:8]
.LBB1603_14:
	s_or_b64 exec, exec, s[4:5]
	v_add_u32_e32 v3, 16, v4
	v_ashrrev_i32_e32 v1, 31, v3
	v_mul_lo_u32 v6, s23, v3
	v_mad_u64_u32 v[4:5], s[2:3], s22, v3, 0
	v_mul_lo_u32 v1, s22, v1
	v_add3_u32 v5, v5, v1, v6
	v_lshlrev_b64 v[4:5], 3, v[4:5]
	v_mov_b32_e32 v1, s9
	v_add_co_u32_e64 v4, s[2:3], s8, v4
	v_addc_co_u32_e64 v5, s[2:3], v1, v5, s[2:3]
	v_cmp_le_i32_e64 s[2:3], v3, v0
	s_and_b64 s[4:5], s[2:3], vcc
	s_and_saveexec_b64 s[2:3], s[4:5]
	s_cbranch_execz .LBB1603_16
; %bb.15:
	v_mul_f32_e32 v1, s15, v19
	v_fma_f32 v6, v18, s14, -v1
	v_ashrrev_i32_e32 v1, 31, v0
	v_lshlrev_b64 v[0:1], 3, v[0:1]
	v_mul_f32_e32 v7, s14, v19
	v_add_co_u32_e32 v0, vcc, v4, v0
	v_fmac_f32_e32 v7, s15, v18
	v_addc_co_u32_e32 v1, vcc, v5, v1, vcc
	flat_store_dwordx2 v[0:1], v[6:7]
.LBB1603_16:
	s_or_b64 exec, exec, s[2:3]
	v_cmp_le_i32_e32 vcc, v3, v2
	s_and_b64 s[0:1], vcc, s[0:1]
	s_and_saveexec_b64 s[2:3], s[0:1]
	s_cbranch_execz .LBB1603_18
; %bb.17:
	v_ashrrev_i32_e32 v3, 31, v2
	v_lshlrev_b64 v[2:3], 3, v[2:3]
	v_mul_f32_e32 v0, s15, v21
	v_mul_f32_e32 v1, s14, v21
	v_add_co_u32_e32 v2, vcc, v4, v2
	v_fma_f32 v0, v20, s14, -v0
	v_fmac_f32_e32 v1, s15, v20
	v_addc_co_u32_e32 v3, vcc, v5, v3, vcc
	flat_store_dwordx2 v[2:3], v[0:1]
.LBB1603_18:
	s_endpgm
	.section	.rodata,"a",@progbits
	.p2align	6, 0x0
	.amdhsa_kernel _ZL34rocblas_syrkx_herkx_general_kernelIl19rocblas_complex_numIfELi16ELi32ELi8ELb1ELb0ELc67ELc76EKPKS1_KPS1_EviT_T0_PT8_S7_lSA_S7_lS8_PT9_S7_li
		.amdhsa_group_segment_fixed_size 4096
		.amdhsa_private_segment_fixed_size 0
		.amdhsa_kernarg_size 108
		.amdhsa_user_sgpr_count 6
		.amdhsa_user_sgpr_private_segment_buffer 1
		.amdhsa_user_sgpr_dispatch_ptr 0
		.amdhsa_user_sgpr_queue_ptr 0
		.amdhsa_user_sgpr_kernarg_segment_ptr 1
		.amdhsa_user_sgpr_dispatch_id 0
		.amdhsa_user_sgpr_flat_scratch_init 0
		.amdhsa_user_sgpr_private_segment_size 0
		.amdhsa_uses_dynamic_stack 0
		.amdhsa_system_sgpr_private_segment_wavefront_offset 0
		.amdhsa_system_sgpr_workgroup_id_x 1
		.amdhsa_system_sgpr_workgroup_id_y 1
		.amdhsa_system_sgpr_workgroup_id_z 1
		.amdhsa_system_sgpr_workgroup_info 0
		.amdhsa_system_vgpr_workitem_id 1
		.amdhsa_next_free_vgpr 50
		.amdhsa_next_free_sgpr 24
		.amdhsa_reserve_vcc 1
		.amdhsa_reserve_flat_scratch 0
		.amdhsa_float_round_mode_32 0
		.amdhsa_float_round_mode_16_64 0
		.amdhsa_float_denorm_mode_32 3
		.amdhsa_float_denorm_mode_16_64 3
		.amdhsa_dx10_clamp 1
		.amdhsa_ieee_mode 1
		.amdhsa_fp16_overflow 0
		.amdhsa_exception_fp_ieee_invalid_op 0
		.amdhsa_exception_fp_denorm_src 0
		.amdhsa_exception_fp_ieee_div_zero 0
		.amdhsa_exception_fp_ieee_overflow 0
		.amdhsa_exception_fp_ieee_underflow 0
		.amdhsa_exception_fp_ieee_inexact 0
		.amdhsa_exception_int_div_zero 0
	.end_amdhsa_kernel
	.section	.text._ZL34rocblas_syrkx_herkx_general_kernelIl19rocblas_complex_numIfELi16ELi32ELi8ELb1ELb0ELc67ELc76EKPKS1_KPS1_EviT_T0_PT8_S7_lSA_S7_lS8_PT9_S7_li,"axG",@progbits,_ZL34rocblas_syrkx_herkx_general_kernelIl19rocblas_complex_numIfELi16ELi32ELi8ELb1ELb0ELc67ELc76EKPKS1_KPS1_EviT_T0_PT8_S7_lSA_S7_lS8_PT9_S7_li,comdat
.Lfunc_end1603:
	.size	_ZL34rocblas_syrkx_herkx_general_kernelIl19rocblas_complex_numIfELi16ELi32ELi8ELb1ELb0ELc67ELc76EKPKS1_KPS1_EviT_T0_PT8_S7_lSA_S7_lS8_PT9_S7_li, .Lfunc_end1603-_ZL34rocblas_syrkx_herkx_general_kernelIl19rocblas_complex_numIfELi16ELi32ELi8ELb1ELb0ELc67ELc76EKPKS1_KPS1_EviT_T0_PT8_S7_lSA_S7_lS8_PT9_S7_li
                                        ; -- End function
	.set _ZL34rocblas_syrkx_herkx_general_kernelIl19rocblas_complex_numIfELi16ELi32ELi8ELb1ELb0ELc67ELc76EKPKS1_KPS1_EviT_T0_PT8_S7_lSA_S7_lS8_PT9_S7_li.num_vgpr, 50
	.set _ZL34rocblas_syrkx_herkx_general_kernelIl19rocblas_complex_numIfELi16ELi32ELi8ELb1ELb0ELc67ELc76EKPKS1_KPS1_EviT_T0_PT8_S7_lSA_S7_lS8_PT9_S7_li.num_agpr, 0
	.set _ZL34rocblas_syrkx_herkx_general_kernelIl19rocblas_complex_numIfELi16ELi32ELi8ELb1ELb0ELc67ELc76EKPKS1_KPS1_EviT_T0_PT8_S7_lSA_S7_lS8_PT9_S7_li.numbered_sgpr, 24
	.set _ZL34rocblas_syrkx_herkx_general_kernelIl19rocblas_complex_numIfELi16ELi32ELi8ELb1ELb0ELc67ELc76EKPKS1_KPS1_EviT_T0_PT8_S7_lSA_S7_lS8_PT9_S7_li.num_named_barrier, 0
	.set _ZL34rocblas_syrkx_herkx_general_kernelIl19rocblas_complex_numIfELi16ELi32ELi8ELb1ELb0ELc67ELc76EKPKS1_KPS1_EviT_T0_PT8_S7_lSA_S7_lS8_PT9_S7_li.private_seg_size, 0
	.set _ZL34rocblas_syrkx_herkx_general_kernelIl19rocblas_complex_numIfELi16ELi32ELi8ELb1ELb0ELc67ELc76EKPKS1_KPS1_EviT_T0_PT8_S7_lSA_S7_lS8_PT9_S7_li.uses_vcc, 1
	.set _ZL34rocblas_syrkx_herkx_general_kernelIl19rocblas_complex_numIfELi16ELi32ELi8ELb1ELb0ELc67ELc76EKPKS1_KPS1_EviT_T0_PT8_S7_lSA_S7_lS8_PT9_S7_li.uses_flat_scratch, 0
	.set _ZL34rocblas_syrkx_herkx_general_kernelIl19rocblas_complex_numIfELi16ELi32ELi8ELb1ELb0ELc67ELc76EKPKS1_KPS1_EviT_T0_PT8_S7_lSA_S7_lS8_PT9_S7_li.has_dyn_sized_stack, 0
	.set _ZL34rocblas_syrkx_herkx_general_kernelIl19rocblas_complex_numIfELi16ELi32ELi8ELb1ELb0ELc67ELc76EKPKS1_KPS1_EviT_T0_PT8_S7_lSA_S7_lS8_PT9_S7_li.has_recursion, 0
	.set _ZL34rocblas_syrkx_herkx_general_kernelIl19rocblas_complex_numIfELi16ELi32ELi8ELb1ELb0ELc67ELc76EKPKS1_KPS1_EviT_T0_PT8_S7_lSA_S7_lS8_PT9_S7_li.has_indirect_call, 0
	.section	.AMDGPU.csdata,"",@progbits
; Kernel info:
; codeLenInByte = 2180
; TotalNumSgprs: 28
; NumVgprs: 50
; ScratchSize: 0
; MemoryBound: 1
; FloatMode: 240
; IeeeMode: 1
; LDSByteSize: 4096 bytes/workgroup (compile time only)
; SGPRBlocks: 3
; VGPRBlocks: 12
; NumSGPRsForWavesPerEU: 28
; NumVGPRsForWavesPerEU: 50
; Occupancy: 4
; WaveLimiterHint : 1
; COMPUTE_PGM_RSRC2:SCRATCH_EN: 0
; COMPUTE_PGM_RSRC2:USER_SGPR: 6
; COMPUTE_PGM_RSRC2:TRAP_HANDLER: 0
; COMPUTE_PGM_RSRC2:TGID_X_EN: 1
; COMPUTE_PGM_RSRC2:TGID_Y_EN: 1
; COMPUTE_PGM_RSRC2:TGID_Z_EN: 1
; COMPUTE_PGM_RSRC2:TIDIG_COMP_CNT: 1
	.section	.text._ZL34rocblas_syrkx_herkx_general_kernelIl19rocblas_complex_numIfELi16ELi32ELi8ELb1ELb0ELc78ELc76EKPKS1_KPS1_EviT_T0_PT8_S7_lSA_S7_lS8_PT9_S7_li,"axG",@progbits,_ZL34rocblas_syrkx_herkx_general_kernelIl19rocblas_complex_numIfELi16ELi32ELi8ELb1ELb0ELc78ELc76EKPKS1_KPS1_EviT_T0_PT8_S7_lSA_S7_lS8_PT9_S7_li,comdat
	.globl	_ZL34rocblas_syrkx_herkx_general_kernelIl19rocblas_complex_numIfELi16ELi32ELi8ELb1ELb0ELc78ELc76EKPKS1_KPS1_EviT_T0_PT8_S7_lSA_S7_lS8_PT9_S7_li ; -- Begin function _ZL34rocblas_syrkx_herkx_general_kernelIl19rocblas_complex_numIfELi16ELi32ELi8ELb1ELb0ELc78ELc76EKPKS1_KPS1_EviT_T0_PT8_S7_lSA_S7_lS8_PT9_S7_li
	.p2align	8
	.type	_ZL34rocblas_syrkx_herkx_general_kernelIl19rocblas_complex_numIfELi16ELi32ELi8ELb1ELb0ELc78ELc76EKPKS1_KPS1_EviT_T0_PT8_S7_lSA_S7_lS8_PT9_S7_li,@function
_ZL34rocblas_syrkx_herkx_general_kernelIl19rocblas_complex_numIfELi16ELi32ELi8ELb1ELb0ELc78ELc76EKPKS1_KPS1_EviT_T0_PT8_S7_lSA_S7_lS8_PT9_S7_li: ; @_ZL34rocblas_syrkx_herkx_general_kernelIl19rocblas_complex_numIfELi16ELi32ELi8ELb1ELb0ELc78ELc76EKPKS1_KPS1_EviT_T0_PT8_S7_lSA_S7_lS8_PT9_S7_li
; %bb.0:
	s_load_dwordx4 s[20:23], s[4:5], 0x50
	s_load_dword s24, s[4:5], 0x0
	s_load_dwordx8 s[12:19], s[4:5], 0x8
	s_mov_b32 s9, 0
	s_lshl_b64 s[0:1], s[8:9], 3
	s_waitcnt lgkmcnt(0)
	s_add_u32 s2, s20, s0
	s_addc_u32 s3, s21, s1
	s_load_dwordx2 s[8:9], s[2:3], 0x0
	v_cmp_lt_i64_e64 s[2:3], s[12:13], 1
	s_lshl_b32 s20, s6, 5
	s_lshl_b32 s21, s7, 5
	s_and_b64 vcc, exec, s[2:3]
	s_cbranch_vccnz .LBB1604_9
; %bb.1:
	s_load_dwordx4 s[4:7], s[4:5], 0x30
	v_lshl_add_u32 v2, v1, 4, v0
	v_and_b32_e32 v8, 31, v2
	v_lshrrev_b32_e32 v5, 3, v2
	v_or_b32_e32 v3, s20, v8
	s_waitcnt lgkmcnt(0)
	s_add_u32 s2, s4, s0
	v_lshrrev_b32_e32 v12, 5, v2
	s_addc_u32 s3, s5, s1
	v_lshlrev_b32_e32 v2, 3, v8
	s_load_dwordx2 s[10:11], s[2:3], 0x0
	v_cmp_gt_i32_e32 vcc, s24, v3
	v_lshl_or_b32 v14, v12, 8, v2
	v_mad_u64_u32 v[2:3], s[2:3], s18, v12, 0
	v_and_b32_e32 v13, 7, v0
	v_add_u32_e32 v4, s21, v5
	v_lshlrev_b32_e32 v6, 3, v13
	v_lshl_or_b32 v5, v5, 6, v6
	v_mad_u64_u32 v[6:7], s[2:3], s19, v12, v[3:4]
	v_mov_b32_e32 v3, 0x800
	v_lshl_add_u32 v17, v1, 6, v3
	v_mov_b32_e32 v3, v6
	v_add_u32_e32 v6, s20, v8
	v_ashrrev_i32_e32 v7, 31, v6
	v_mad_u64_u32 v[8:9], s[2:3], s6, v13, 0
	v_lshlrev_b64 v[2:3], 3, v[2:3]
	v_lshlrev_b64 v[6:7], 3, v[6:7]
	s_add_u32 s0, s16, s0
	v_add_co_u32_e64 v10, s[2:3], v2, v6
	s_addc_u32 s1, s17, s1
	v_addc_co_u32_e64 v3, s[2:3], v3, v7, s[2:3]
	v_mov_b32_e32 v2, v9
	s_load_dwordx2 s[4:5], s[0:1], 0x0
	v_mad_u64_u32 v[6:7], s[2:3], s7, v13, v[2:3]
	v_add_u32_e32 v15, 0x800, v5
	v_ashrrev_i32_e32 v5, 31, v4
	v_mov_b32_e32 v9, v6
	v_cmp_gt_i32_e64 s[0:1], s24, v4
	s_waitcnt lgkmcnt(0)
	v_mov_b32_e32 v11, s5
	v_add_co_u32_e64 v2, s[2:3], s4, v10
	v_lshlrev_b64 v[6:7], 3, v[8:9]
	v_lshlrev_b64 v[4:5], 3, v[4:5]
	v_addc_co_u32_e64 v3, s[2:3], v11, v3, s[2:3]
	v_add_co_u32_e64 v4, s[2:3], v6, v4
	v_addc_co_u32_e64 v5, s[2:3], v7, v5, s[2:3]
	s_lshl_b64 s[4:5], s[18:19], 6
	v_mov_b32_e32 v6, s11
	v_add_co_u32_e64 v4, s[2:3], s10, v4
	s_lshl_b64 s[6:7], s[6:7], 6
	v_mov_b32_e32 v8, s12
	v_lshlrev_b32_e32 v16, 3, v0
	v_addc_co_u32_e64 v5, s[2:3], v6, v5, s[2:3]
	s_mov_b64 s[10:11], 0
	s_xor_b64 s[16:17], vcc, -1
	v_mov_b32_e32 v18, s5
	v_mov_b32_e32 v19, s7
	;; [unrolled: 1-line block ×12, first 2 shown]
	s_branch .LBB1604_3
.LBB1604_2:                             ;   in Loop: Header=BB1604_3 Depth=1
	s_or_b64 exec, exec, s[2:3]
	s_waitcnt vmcnt(0) lgkmcnt(0)
	ds_write_b64 v15, v[10:11]
	s_waitcnt lgkmcnt(0)
	s_barrier
	ds_read2_b64 v[28:31], v16 offset1:16
	ds_read_b128 v[32:35], v17
	ds_read_b128 v[36:39], v17 offset:16
	ds_read_b128 v[40:43], v17 offset:1024
	s_add_u32 s10, s10, 8
	v_add_co_u32_e32 v2, vcc, s4, v2
	s_waitcnt lgkmcnt(2)
	v_mul_f32_e32 v7, v33, v29
	v_fma_f32 v7, v32, v28, -v7
	v_mul_f32_e32 v10, v32, v29
	v_add_f32_e32 v7, v26, v7
	v_mul_f32_e32 v11, v33, v31
	v_mul_f32_e32 v26, v32, v31
	v_fmac_f32_e32 v10, v33, v28
	v_fma_f32 v11, v32, v30, -v11
	v_fmac_f32_e32 v26, v33, v30
	v_add_f32_e32 v10, v27, v10
	v_add_f32_e32 v11, v24, v11
	;; [unrolled: 1-line block ×3, first 2 shown]
	ds_read_b128 v[24:27], v17 offset:1040
	s_waitcnt lgkmcnt(1)
	v_mul_f32_e32 v33, v41, v29
	v_mul_f32_e32 v44, v40, v29
	v_fma_f32 v33, v40, v28, -v33
	v_fmac_f32_e32 v44, v41, v28
	v_mul_f32_e32 v28, v41, v31
	v_fma_f32 v45, v40, v30, -v28
	v_mul_f32_e32 v40, v40, v31
	v_fmac_f32_e32 v40, v41, v30
	ds_read2_b64 v[28:31], v16 offset0:32 offset1:48
	v_add_f32_e32 v20, v20, v33
	v_add_f32_e32 v33, v22, v45
	;; [unrolled: 1-line block ×4, first 2 shown]
	s_waitcnt lgkmcnt(0)
	v_mul_f32_e32 v22, v35, v29
	v_fma_f32 v22, v34, v28, -v22
	v_mul_f32_e32 v23, v34, v29
	v_fmac_f32_e32 v23, v35, v28
	v_add_f32_e32 v7, v7, v22
	v_mul_f32_e32 v22, v35, v31
	v_add_f32_e32 v10, v10, v23
	v_fma_f32 v22, v34, v30, -v22
	v_mul_f32_e32 v23, v34, v31
	v_fmac_f32_e32 v23, v35, v30
	v_add_f32_e32 v11, v11, v22
	v_mul_f32_e32 v22, v43, v29
	v_add_f32_e32 v32, v32, v23
	v_fma_f32 v22, v42, v28, -v22
	v_mul_f32_e32 v23, v42, v29
	v_fmac_f32_e32 v23, v43, v28
	v_add_f32_e32 v28, v20, v22
	v_mul_f32_e32 v20, v43, v31
	v_add_f32_e32 v29, v21, v23
	v_fma_f32 v34, v42, v30, -v20
	ds_read2_b64 v[20:23], v16 offset0:64 offset1:80
	v_mul_f32_e32 v31, v42, v31
	v_fmac_f32_e32 v31, v43, v30
	v_add_f32_e32 v33, v33, v34
	v_add_f32_e32 v34, v40, v31
	s_waitcnt lgkmcnt(0)
	v_mul_f32_e32 v30, v37, v21
	v_fma_f32 v30, v36, v20, -v30
	v_mul_f32_e32 v31, v36, v21
	v_add_f32_e32 v7, v7, v30
	v_mul_f32_e32 v30, v37, v23
	v_fmac_f32_e32 v31, v37, v20
	v_fma_f32 v30, v36, v22, -v30
	v_add_f32_e32 v10, v10, v31
	v_mul_f32_e32 v31, v36, v23
	v_add_f32_e32 v11, v11, v30
	v_mul_f32_e32 v30, v25, v21
	v_mul_f32_e32 v21, v24, v21
	v_fmac_f32_e32 v31, v37, v22
	v_fma_f32 v30, v24, v20, -v30
	v_fmac_f32_e32 v21, v25, v20
	v_add_f32_e32 v32, v32, v31
	v_add_f32_e32 v35, v28, v30
	;; [unrolled: 1-line block ×3, first 2 shown]
	ds_read2_b64 v[28:31], v16 offset0:96 offset1:112
	v_mul_f32_e32 v20, v25, v23
	v_fma_f32 v37, v24, v22, -v20
	v_mul_f32_e32 v24, v24, v23
	v_fmac_f32_e32 v24, v25, v22
	v_add_f32_e32 v24, v34, v24
	s_waitcnt lgkmcnt(0)
	v_mul_f32_e32 v34, v38, v29
	v_fmac_f32_e32 v34, v39, v28
	v_add_f32_e32 v25, v33, v37
	v_mul_f32_e32 v33, v39, v29
	v_add_f32_e32 v10, v10, v34
	v_mul_f32_e32 v34, v38, v31
	v_fma_f32 v33, v38, v28, -v33
	v_fmac_f32_e32 v34, v39, v30
	v_add_f32_e32 v7, v7, v33
	v_mul_f32_e32 v33, v39, v31
	v_add_f32_e32 v40, v32, v34
	v_mul_f32_e32 v32, v27, v29
	v_fma_f32 v33, v38, v30, -v33
	v_fma_f32 v32, v26, v28, -v32
	ds_read_b128 v[20:23], v17 offset:32
	v_add_f32_e32 v11, v11, v33
	v_add_f32_e32 v44, v35, v32
	ds_read2_b64 v[32:35], v16 offset0:128 offset1:144
	v_mul_f32_e32 v29, v26, v29
	v_fmac_f32_e32 v29, v27, v28
	v_mul_f32_e32 v28, v27, v31
	v_fma_f32 v28, v26, v30, -v28
	v_mul_f32_e32 v26, v26, v31
	v_fmac_f32_e32 v26, v27, v30
	v_add_f32_e32 v45, v36, v29
	v_add_f32_e32 v25, v25, v28
	;; [unrolled: 1-line block ×3, first 2 shown]
	ds_read_b128 v[26:29], v17 offset:48
	s_waitcnt lgkmcnt(1)
	v_mul_f32_e32 v30, v21, v33
	ds_read_b128 v[36:39], v17 offset:1056
	v_fma_f32 v30, v20, v32, -v30
	v_add_f32_e32 v7, v7, v30
	v_mul_f32_e32 v30, v21, v35
	v_mul_f32_e32 v31, v20, v33
	v_fma_f32 v30, v20, v34, -v30
	v_mul_f32_e32 v20, v20, v35
	v_fmac_f32_e32 v20, v21, v34
	v_fmac_f32_e32 v31, v21, v32
	v_add_f32_e32 v11, v11, v30
	v_add_f32_e32 v20, v40, v20
	ds_read_b128 v[40:43], v17 offset:1072
	s_waitcnt lgkmcnt(1)
	v_mul_f32_e32 v21, v37, v33
	v_mul_f32_e32 v46, v36, v33
	;; [unrolled: 1-line block ×3, first 2 shown]
	v_add_f32_e32 v10, v10, v31
	v_fma_f32 v21, v36, v32, -v21
	v_fmac_f32_e32 v46, v37, v32
	v_fma_f32 v47, v36, v34, -v30
	ds_read2_b64 v[30:33], v16 offset0:160 offset1:176
	v_mul_f32_e32 v35, v36, v35
	v_fmac_f32_e32 v35, v37, v34
	v_add_f32_e32 v24, v24, v35
	v_add_f32_e32 v21, v44, v21
	s_waitcnt lgkmcnt(0)
	v_mul_f32_e32 v35, v23, v31
	v_fma_f32 v35, v22, v30, -v35
	v_add_f32_e32 v7, v7, v35
	v_mul_f32_e32 v35, v23, v33
	v_mul_f32_e32 v36, v22, v31
	v_fma_f32 v35, v22, v32, -v35
	v_mul_f32_e32 v22, v22, v33
	v_fmac_f32_e32 v22, v23, v32
	v_add_f32_e32 v11, v11, v35
	v_add_f32_e32 v35, v20, v22
	v_mul_f32_e32 v20, v39, v31
	v_fma_f32 v20, v38, v30, -v20
	v_mul_f32_e32 v22, v38, v31
	v_add_f32_e32 v34, v45, v46
	v_fmac_f32_e32 v36, v23, v30
	v_fmac_f32_e32 v22, v39, v30
	v_add_f32_e32 v30, v21, v20
	v_mul_f32_e32 v20, v39, v33
	v_add_f32_e32 v31, v34, v22
	v_fma_f32 v34, v38, v32, -v20
	ds_read2_b64 v[20:23], v16 offset0:192 offset1:208
	v_mul_f32_e32 v33, v38, v33
	v_fmac_f32_e32 v33, v39, v32
	v_add_f32_e32 v24, v24, v33
	v_add_f32_e32 v25, v25, v47
	s_waitcnt lgkmcnt(0)
	v_mul_f32_e32 v32, v27, v21
	v_fma_f32 v32, v26, v20, -v32
	v_add_f32_e32 v7, v7, v32
	v_mul_f32_e32 v32, v27, v23
	v_mul_f32_e32 v33, v26, v21
	v_fma_f32 v32, v26, v22, -v32
	v_mul_f32_e32 v26, v26, v23
	v_fmac_f32_e32 v26, v27, v22
	v_add_f32_e32 v25, v25, v34
	v_add_f32_e32 v34, v35, v26
	v_mul_f32_e32 v26, v41, v21
	v_mul_f32_e32 v21, v40, v21
	v_add_f32_e32 v10, v10, v36
	v_fmac_f32_e32 v33, v27, v20
	v_fma_f32 v26, v40, v20, -v26
	v_fmac_f32_e32 v21, v41, v20
	v_add_f32_e32 v10, v10, v33
	v_add_f32_e32 v11, v11, v32
	;; [unrolled: 1-line block ×4, first 2 shown]
	ds_read2_b64 v[30:33], v16 offset0:224 offset1:240
	v_mul_f32_e32 v26, v41, v23
	v_mul_f32_e32 v23, v40, v23
	v_fma_f32 v26, v40, v22, -v26
	v_fmac_f32_e32 v23, v41, v22
	v_add_f32_e32 v22, v25, v26
	v_add_f32_e32 v23, v24, v23
	s_waitcnt lgkmcnt(0)
	v_mul_f32_e32 v24, v29, v31
	v_mul_f32_e32 v25, v28, v31
	v_fma_f32 v24, v28, v30, -v24
	v_fmac_f32_e32 v25, v29, v30
	v_add_f32_e32 v26, v7, v24
	v_add_f32_e32 v27, v10, v25
	v_mul_f32_e32 v7, v29, v33
	v_mul_f32_e32 v10, v28, v33
	v_fma_f32 v7, v28, v32, -v7
	v_fmac_f32_e32 v10, v29, v32
	v_add_f32_e32 v24, v11, v7
	v_add_f32_e32 v25, v34, v10
	v_mul_f32_e32 v7, v43, v31
	v_mul_f32_e32 v10, v42, v31
	v_fma_f32 v7, v42, v30, -v7
	v_fmac_f32_e32 v10, v43, v30
	s_addc_u32 s11, s11, 0
	v_addc_co_u32_e32 v3, vcc, v3, v18, vcc
	v_add_f32_e32 v20, v20, v7
	v_add_f32_e32 v21, v21, v10
	v_mul_f32_e32 v7, v43, v33
	v_mul_f32_e32 v10, v42, v33
	v_cmp_ge_i64_e32 vcc, s[10:11], v[8:9]
	v_fma_f32 v7, v42, v32, -v7
	v_fmac_f32_e32 v10, v43, v32
	v_add_co_u32_e64 v4, s[2:3], s6, v4
	v_add_f32_e32 v22, v22, v7
	v_add_f32_e32 v23, v23, v10
	v_addc_co_u32_e64 v5, s[2:3], v5, v19, s[2:3]
	s_barrier
	s_cbranch_vccnz .LBB1604_10
.LBB1604_3:                             ; =>This Inner Loop Header: Depth=1
	v_mov_b32_e32 v7, s11
	v_add_co_u32_e32 v10, vcc, s10, v12
	v_addc_co_u32_e32 v11, vcc, 0, v7, vcc
	v_cmp_le_i64_e32 vcc, s[12:13], v[10:11]
	s_or_b64 s[2:3], s[16:17], vcc
	s_and_saveexec_b64 s[18:19], s[2:3]
	s_xor_b64 s[2:3], exec, s[18:19]
; %bb.4:                                ;   in Loop: Header=BB1604_3 Depth=1
	v_mov_b32_e32 v7, v6
	ds_write_b64 v14, v[6:7]
; %bb.5:                                ;   in Loop: Header=BB1604_3 Depth=1
	s_andn2_saveexec_b64 s[2:3], s[2:3]
	s_cbranch_execz .LBB1604_7
; %bb.6:                                ;   in Loop: Header=BB1604_3 Depth=1
	flat_load_dwordx2 v[10:11], v[2:3]
	s_waitcnt vmcnt(0) lgkmcnt(0)
	ds_write_b64 v14, v[10:11]
.LBB1604_7:                             ;   in Loop: Header=BB1604_3 Depth=1
	s_or_b64 exec, exec, s[2:3]
	v_mov_b32_e32 v7, s11
	v_add_co_u32_e32 v10, vcc, s10, v13
	v_addc_co_u32_e32 v11, vcc, 0, v7, vcc
	v_cmp_gt_i64_e32 vcc, s[12:13], v[10:11]
	v_mov_b32_e32 v10, 0
	s_and_b64 s[18:19], vcc, s[0:1]
	v_mov_b32_e32 v11, 0
	s_and_saveexec_b64 s[2:3], s[18:19]
	s_cbranch_execz .LBB1604_2
; %bb.8:                                ;   in Loop: Header=BB1604_3 Depth=1
	flat_load_dwordx2 v[10:11], v[4:5]
	s_branch .LBB1604_2
.LBB1604_9:
	v_mov_b32_e32 v26, 0
	v_mov_b32_e32 v27, 0
	;; [unrolled: 1-line block ×8, first 2 shown]
.LBB1604_10:
	v_add_u32_e32 v4, s21, v1
	v_ashrrev_i32_e32 v1, 31, v4
	v_mul_lo_u32 v3, s22, v1
	v_mul_lo_u32 v5, s23, v4
	v_mad_u64_u32 v[1:2], s[0:1], s22, v4, 0
	v_add_u32_e32 v0, s20, v0
	v_cmp_le_i32_e64 s[0:1], v4, v0
	v_add3_u32 v2, v2, v3, v5
	v_lshlrev_b64 v[1:2], 3, v[1:2]
	s_waitcnt lgkmcnt(0)
	v_mov_b32_e32 v3, s9
	v_add_co_u32_e32 v5, vcc, s8, v1
	v_addc_co_u32_e32 v6, vcc, v3, v2, vcc
	v_cmp_gt_i32_e32 vcc, s24, v0
	s_and_b64 s[0:1], s[0:1], vcc
	s_and_saveexec_b64 s[2:3], s[0:1]
	s_cbranch_execz .LBB1604_12
; %bb.11:
	v_mul_f32_e32 v1, s15, v27
	v_fma_f32 v2, v26, s14, -v1
	v_ashrrev_i32_e32 v1, 31, v0
	v_lshlrev_b64 v[7:8], 3, v[0:1]
	v_mul_f32_e32 v3, s14, v27
	v_add_co_u32_e64 v7, s[0:1], v5, v7
	v_fmac_f32_e32 v3, s15, v26
	v_addc_co_u32_e64 v8, s[0:1], v6, v8, s[0:1]
	flat_store_dwordx2 v[7:8], v[2:3]
.LBB1604_12:
	s_or_b64 exec, exec, s[2:3]
	v_add_u32_e32 v2, 16, v0
	v_cmp_le_i32_e64 s[2:3], v4, v2
	v_cmp_gt_i32_e64 s[0:1], s24, v2
	s_and_b64 s[2:3], s[2:3], s[0:1]
	s_and_saveexec_b64 s[4:5], s[2:3]
	s_cbranch_execz .LBB1604_14
; %bb.13:
	v_ashrrev_i32_e32 v3, 31, v2
	v_lshlrev_b64 v[9:10], 3, v[2:3]
	v_mul_f32_e32 v1, s15, v25
	v_mul_f32_e32 v8, s14, v25
	v_add_co_u32_e64 v5, s[2:3], v5, v9
	v_fma_f32 v7, v24, s14, -v1
	v_fmac_f32_e32 v8, s15, v24
	v_addc_co_u32_e64 v6, s[2:3], v6, v10, s[2:3]
	flat_store_dwordx2 v[5:6], v[7:8]
.LBB1604_14:
	s_or_b64 exec, exec, s[4:5]
	v_add_u32_e32 v3, 16, v4
	v_ashrrev_i32_e32 v1, 31, v3
	v_mul_lo_u32 v6, s23, v3
	v_mad_u64_u32 v[4:5], s[2:3], s22, v3, 0
	v_mul_lo_u32 v1, s22, v1
	v_add3_u32 v5, v5, v1, v6
	v_lshlrev_b64 v[4:5], 3, v[4:5]
	v_mov_b32_e32 v1, s9
	v_add_co_u32_e64 v4, s[2:3], s8, v4
	v_addc_co_u32_e64 v5, s[2:3], v1, v5, s[2:3]
	v_cmp_le_i32_e64 s[2:3], v3, v0
	s_and_b64 s[4:5], s[2:3], vcc
	s_and_saveexec_b64 s[2:3], s[4:5]
	s_cbranch_execz .LBB1604_16
; %bb.15:
	v_mul_f32_e32 v1, s15, v21
	v_fma_f32 v6, v20, s14, -v1
	v_ashrrev_i32_e32 v1, 31, v0
	v_lshlrev_b64 v[0:1], 3, v[0:1]
	v_mul_f32_e32 v7, s14, v21
	v_add_co_u32_e32 v0, vcc, v4, v0
	v_fmac_f32_e32 v7, s15, v20
	v_addc_co_u32_e32 v1, vcc, v5, v1, vcc
	flat_store_dwordx2 v[0:1], v[6:7]
.LBB1604_16:
	s_or_b64 exec, exec, s[2:3]
	v_cmp_le_i32_e32 vcc, v3, v2
	s_and_b64 s[0:1], vcc, s[0:1]
	s_and_saveexec_b64 s[2:3], s[0:1]
	s_cbranch_execz .LBB1604_18
; %bb.17:
	v_ashrrev_i32_e32 v3, 31, v2
	v_lshlrev_b64 v[2:3], 3, v[2:3]
	v_mul_f32_e32 v0, s15, v23
	v_mul_f32_e32 v1, s14, v23
	v_add_co_u32_e32 v2, vcc, v4, v2
	v_fma_f32 v0, v22, s14, -v0
	v_fmac_f32_e32 v1, s15, v22
	v_addc_co_u32_e32 v3, vcc, v5, v3, vcc
	flat_store_dwordx2 v[2:3], v[0:1]
.LBB1604_18:
	s_endpgm
	.section	.rodata,"a",@progbits
	.p2align	6, 0x0
	.amdhsa_kernel _ZL34rocblas_syrkx_herkx_general_kernelIl19rocblas_complex_numIfELi16ELi32ELi8ELb1ELb0ELc78ELc76EKPKS1_KPS1_EviT_T0_PT8_S7_lSA_S7_lS8_PT9_S7_li
		.amdhsa_group_segment_fixed_size 4096
		.amdhsa_private_segment_fixed_size 0
		.amdhsa_kernarg_size 108
		.amdhsa_user_sgpr_count 6
		.amdhsa_user_sgpr_private_segment_buffer 1
		.amdhsa_user_sgpr_dispatch_ptr 0
		.amdhsa_user_sgpr_queue_ptr 0
		.amdhsa_user_sgpr_kernarg_segment_ptr 1
		.amdhsa_user_sgpr_dispatch_id 0
		.amdhsa_user_sgpr_flat_scratch_init 0
		.amdhsa_user_sgpr_private_segment_size 0
		.amdhsa_uses_dynamic_stack 0
		.amdhsa_system_sgpr_private_segment_wavefront_offset 0
		.amdhsa_system_sgpr_workgroup_id_x 1
		.amdhsa_system_sgpr_workgroup_id_y 1
		.amdhsa_system_sgpr_workgroup_id_z 1
		.amdhsa_system_sgpr_workgroup_info 0
		.amdhsa_system_vgpr_workitem_id 1
		.amdhsa_next_free_vgpr 48
		.amdhsa_next_free_sgpr 25
		.amdhsa_reserve_vcc 1
		.amdhsa_reserve_flat_scratch 0
		.amdhsa_float_round_mode_32 0
		.amdhsa_float_round_mode_16_64 0
		.amdhsa_float_denorm_mode_32 3
		.amdhsa_float_denorm_mode_16_64 3
		.amdhsa_dx10_clamp 1
		.amdhsa_ieee_mode 1
		.amdhsa_fp16_overflow 0
		.amdhsa_exception_fp_ieee_invalid_op 0
		.amdhsa_exception_fp_denorm_src 0
		.amdhsa_exception_fp_ieee_div_zero 0
		.amdhsa_exception_fp_ieee_overflow 0
		.amdhsa_exception_fp_ieee_underflow 0
		.amdhsa_exception_fp_ieee_inexact 0
		.amdhsa_exception_int_div_zero 0
	.end_amdhsa_kernel
	.section	.text._ZL34rocblas_syrkx_herkx_general_kernelIl19rocblas_complex_numIfELi16ELi32ELi8ELb1ELb0ELc78ELc76EKPKS1_KPS1_EviT_T0_PT8_S7_lSA_S7_lS8_PT9_S7_li,"axG",@progbits,_ZL34rocblas_syrkx_herkx_general_kernelIl19rocblas_complex_numIfELi16ELi32ELi8ELb1ELb0ELc78ELc76EKPKS1_KPS1_EviT_T0_PT8_S7_lSA_S7_lS8_PT9_S7_li,comdat
.Lfunc_end1604:
	.size	_ZL34rocblas_syrkx_herkx_general_kernelIl19rocblas_complex_numIfELi16ELi32ELi8ELb1ELb0ELc78ELc76EKPKS1_KPS1_EviT_T0_PT8_S7_lSA_S7_lS8_PT9_S7_li, .Lfunc_end1604-_ZL34rocblas_syrkx_herkx_general_kernelIl19rocblas_complex_numIfELi16ELi32ELi8ELb1ELb0ELc78ELc76EKPKS1_KPS1_EviT_T0_PT8_S7_lSA_S7_lS8_PT9_S7_li
                                        ; -- End function
	.set _ZL34rocblas_syrkx_herkx_general_kernelIl19rocblas_complex_numIfELi16ELi32ELi8ELb1ELb0ELc78ELc76EKPKS1_KPS1_EviT_T0_PT8_S7_lSA_S7_lS8_PT9_S7_li.num_vgpr, 48
	.set _ZL34rocblas_syrkx_herkx_general_kernelIl19rocblas_complex_numIfELi16ELi32ELi8ELb1ELb0ELc78ELc76EKPKS1_KPS1_EviT_T0_PT8_S7_lSA_S7_lS8_PT9_S7_li.num_agpr, 0
	.set _ZL34rocblas_syrkx_herkx_general_kernelIl19rocblas_complex_numIfELi16ELi32ELi8ELb1ELb0ELc78ELc76EKPKS1_KPS1_EviT_T0_PT8_S7_lSA_S7_lS8_PT9_S7_li.numbered_sgpr, 25
	.set _ZL34rocblas_syrkx_herkx_general_kernelIl19rocblas_complex_numIfELi16ELi32ELi8ELb1ELb0ELc78ELc76EKPKS1_KPS1_EviT_T0_PT8_S7_lSA_S7_lS8_PT9_S7_li.num_named_barrier, 0
	.set _ZL34rocblas_syrkx_herkx_general_kernelIl19rocblas_complex_numIfELi16ELi32ELi8ELb1ELb0ELc78ELc76EKPKS1_KPS1_EviT_T0_PT8_S7_lSA_S7_lS8_PT9_S7_li.private_seg_size, 0
	.set _ZL34rocblas_syrkx_herkx_general_kernelIl19rocblas_complex_numIfELi16ELi32ELi8ELb1ELb0ELc78ELc76EKPKS1_KPS1_EviT_T0_PT8_S7_lSA_S7_lS8_PT9_S7_li.uses_vcc, 1
	.set _ZL34rocblas_syrkx_herkx_general_kernelIl19rocblas_complex_numIfELi16ELi32ELi8ELb1ELb0ELc78ELc76EKPKS1_KPS1_EviT_T0_PT8_S7_lSA_S7_lS8_PT9_S7_li.uses_flat_scratch, 0
	.set _ZL34rocblas_syrkx_herkx_general_kernelIl19rocblas_complex_numIfELi16ELi32ELi8ELb1ELb0ELc78ELc76EKPKS1_KPS1_EviT_T0_PT8_S7_lSA_S7_lS8_PT9_S7_li.has_dyn_sized_stack, 0
	.set _ZL34rocblas_syrkx_herkx_general_kernelIl19rocblas_complex_numIfELi16ELi32ELi8ELb1ELb0ELc78ELc76EKPKS1_KPS1_EviT_T0_PT8_S7_lSA_S7_lS8_PT9_S7_li.has_recursion, 0
	.set _ZL34rocblas_syrkx_herkx_general_kernelIl19rocblas_complex_numIfELi16ELi32ELi8ELb1ELb0ELc78ELc76EKPKS1_KPS1_EviT_T0_PT8_S7_lSA_S7_lS8_PT9_S7_li.has_indirect_call, 0
	.section	.AMDGPU.csdata,"",@progbits
; Kernel info:
; codeLenInByte = 2188
; TotalNumSgprs: 29
; NumVgprs: 48
; ScratchSize: 0
; MemoryBound: 1
; FloatMode: 240
; IeeeMode: 1
; LDSByteSize: 4096 bytes/workgroup (compile time only)
; SGPRBlocks: 3
; VGPRBlocks: 11
; NumSGPRsForWavesPerEU: 29
; NumVGPRsForWavesPerEU: 48
; Occupancy: 5
; WaveLimiterHint : 1
; COMPUTE_PGM_RSRC2:SCRATCH_EN: 0
; COMPUTE_PGM_RSRC2:USER_SGPR: 6
; COMPUTE_PGM_RSRC2:TRAP_HANDLER: 0
; COMPUTE_PGM_RSRC2:TGID_X_EN: 1
; COMPUTE_PGM_RSRC2:TGID_Y_EN: 1
; COMPUTE_PGM_RSRC2:TGID_Z_EN: 1
; COMPUTE_PGM_RSRC2:TIDIG_COMP_CNT: 1
	.section	.text._ZL34rocblas_syrkx_herkx_general_kernelIl19rocblas_complex_numIfELi16ELi32ELi8ELb1ELb0ELc84ELc85EKPKS1_KPS1_EviT_T0_PT8_S7_lSA_S7_lS8_PT9_S7_li,"axG",@progbits,_ZL34rocblas_syrkx_herkx_general_kernelIl19rocblas_complex_numIfELi16ELi32ELi8ELb1ELb0ELc84ELc85EKPKS1_KPS1_EviT_T0_PT8_S7_lSA_S7_lS8_PT9_S7_li,comdat
	.globl	_ZL34rocblas_syrkx_herkx_general_kernelIl19rocblas_complex_numIfELi16ELi32ELi8ELb1ELb0ELc84ELc85EKPKS1_KPS1_EviT_T0_PT8_S7_lSA_S7_lS8_PT9_S7_li ; -- Begin function _ZL34rocblas_syrkx_herkx_general_kernelIl19rocblas_complex_numIfELi16ELi32ELi8ELb1ELb0ELc84ELc85EKPKS1_KPS1_EviT_T0_PT8_S7_lSA_S7_lS8_PT9_S7_li
	.p2align	8
	.type	_ZL34rocblas_syrkx_herkx_general_kernelIl19rocblas_complex_numIfELi16ELi32ELi8ELb1ELb0ELc84ELc85EKPKS1_KPS1_EviT_T0_PT8_S7_lSA_S7_lS8_PT9_S7_li,@function
_ZL34rocblas_syrkx_herkx_general_kernelIl19rocblas_complex_numIfELi16ELi32ELi8ELb1ELb0ELc84ELc85EKPKS1_KPS1_EviT_T0_PT8_S7_lSA_S7_lS8_PT9_S7_li: ; @_ZL34rocblas_syrkx_herkx_general_kernelIl19rocblas_complex_numIfELi16ELi32ELi8ELb1ELb0ELc84ELc85EKPKS1_KPS1_EviT_T0_PT8_S7_lSA_S7_lS8_PT9_S7_li
; %bb.0:
	s_load_dwordx4 s[20:23], s[4:5], 0x50
	s_load_dword s10, s[4:5], 0x0
	s_load_dwordx8 s[12:19], s[4:5], 0x8
	s_mov_b32 s9, 0
	s_lshl_b64 s[0:1], s[8:9], 3
	s_waitcnt lgkmcnt(0)
	s_add_u32 s2, s20, s0
	s_addc_u32 s3, s21, s1
	s_load_dwordx2 s[8:9], s[2:3], 0x0
	v_cmp_lt_i64_e64 s[2:3], s[12:13], 1
	s_lshl_b32 s11, s6, 5
	s_lshl_b32 s20, s7, 5
	s_and_b64 vcc, exec, s[2:3]
	s_cbranch_vccnz .LBB1605_11
; %bb.1:
	s_load_dwordx4 s[4:7], s[4:5], 0x30
	v_lshl_add_u32 v2, v1, 4, v0
	v_and_b32_e32 v5, 31, v2
	v_or_b32_e32 v6, s11, v5
	v_and_b32_e32 v11, 7, v0
	v_lshrrev_b32_e32 v3, 3, v2
	v_lshrrev_b32_e32 v10, 5, v2
	v_cmp_gt_i32_e32 vcc, s10, v6
	v_lshlrev_b32_e32 v2, 3, v5
	v_lshlrev_b32_e32 v6, 3, v11
	v_lshl_or_b32 v12, v10, 8, v2
	v_lshl_or_b32 v2, v3, 6, v6
	s_waitcnt lgkmcnt(0)
	s_add_u32 s2, s4, s0
	v_add_u32_e32 v13, 0x800, v2
	v_add_u32_e32 v2, s11, v5
	;; [unrolled: 1-line block ×3, first 2 shown]
	s_addc_u32 s3, s5, s1
	v_ashrrev_i32_e32 v3, 31, v2
	s_load_dwordx2 s[4:5], s[2:3], 0x0
	v_mul_lo_u32 v5, s18, v3
	v_mul_lo_u32 v8, s19, v2
	v_mad_u64_u32 v[2:3], s[2:3], s18, v2, 0
	s_add_u32 s0, s16, s0
	s_addc_u32 s1, s17, s1
	v_add3_u32 v3, v3, v5, v8
	v_lshlrev_b64 v[2:3], 3, v[2:3]
	v_lshlrev_b32_e32 v5, 3, v10
	v_ashrrev_i32_e32 v7, 31, v4
	v_mov_b32_e32 v9, 0x800
	v_add_co_u32_e64 v2, s[2:3], v2, v5
	s_load_dwordx2 s[16:17], s[0:1], 0x0
	v_cmp_gt_i32_e64 s[0:1], s10, v4
	v_lshl_add_u32 v15, v1, 6, v9
	v_addc_co_u32_e64 v3, s[2:3], 0, v3, s[2:3]
	v_mul_lo_u32 v7, s6, v7
	v_mul_lo_u32 v9, s7, v4
	v_mad_u64_u32 v[4:5], s[2:3], s6, v4, 0
	s_waitcnt lgkmcnt(0)
	v_mov_b32_e32 v8, s17
	v_add_co_u32_e64 v2, s[2:3], s16, v2
	v_add3_u32 v5, v5, v7, v9
	v_lshlrev_b64 v[4:5], 3, v[4:5]
	v_addc_co_u32_e64 v3, s[2:3], v8, v3, s[2:3]
	v_add_co_u32_e64 v4, s[2:3], v4, v6
	v_addc_co_u32_e64 v5, s[2:3], 0, v5, s[2:3]
	v_mov_b32_e32 v6, s5
	v_add_co_u32_e64 v4, s[2:3], s4, v4
	v_addc_co_u32_e64 v5, s[2:3], v6, v5, s[2:3]
	v_mov_b32_e32 v8, s12
	v_lshlrev_b32_e32 v14, 3, v0
	s_mov_b64 s[2:3], 0
	s_xor_b64 s[4:5], vcc, -1
	s_xor_b64 s[6:7], s[0:1], -1
	v_mov_b32_e32 v19, 0
	v_mov_b32_e32 v18, 0
	;; [unrolled: 1-line block ×10, first 2 shown]
	s_branch .LBB1605_3
.LBB1605_2:                             ;   in Loop: Header=BB1605_3 Depth=1
	s_or_b64 exec, exec, s[0:1]
	s_waitcnt lgkmcnt(0)
	s_barrier
	ds_read2_b64 v[24:27], v14 offset1:16
	ds_read_b128 v[28:31], v15
	ds_read_b128 v[32:35], v15 offset:16
	s_add_u32 s2, s2, 8
	v_add_co_u32_e32 v2, vcc, 64, v2
	s_waitcnt lgkmcnt(1)
	v_mul_f32_e32 v36, v28, v25
	v_fmac_f32_e32 v36, v29, v24
	v_add_f32_e32 v44, v21, v36
	ds_read_b128 v[36:39], v15 offset:1024
	v_mul_f32_e32 v7, v29, v25
	v_fma_f32 v7, v28, v24, -v7
	v_add_f32_e32 v7, v20, v7
	v_mul_f32_e32 v20, v29, v27
	v_mul_f32_e32 v21, v28, v27
	v_fma_f32 v20, v28, v26, -v20
	v_fmac_f32_e32 v21, v29, v26
	v_add_f32_e32 v28, v22, v20
	v_add_f32_e32 v29, v23, v21
	ds_read_b128 v[20:23], v15 offset:1040
	s_waitcnt lgkmcnt(1)
	v_mul_f32_e32 v40, v37, v25
	v_fma_f32 v40, v36, v24, -v40
	v_add_f32_e32 v45, v16, v40
	ds_read2_b64 v[40:43], v14 offset0:32 offset1:48
	v_mul_f32_e32 v25, v36, v25
	v_mul_f32_e32 v16, v37, v27
	v_fmac_f32_e32 v25, v37, v24
	v_fma_f32 v16, v36, v26, -v16
	v_add_f32_e32 v46, v17, v25
	v_mul_f32_e32 v17, v36, v27
	v_add_f32_e32 v36, v18, v16
	s_waitcnt lgkmcnt(0)
	v_mul_f32_e32 v16, v31, v41
	v_fma_f32 v47, v30, v40, -v16
	v_mul_f32_e32 v16, v31, v43
	v_fma_f32 v49, v30, v42, -v16
	v_mul_f32_e32 v48, v30, v41
	v_mul_f32_e32 v30, v30, v43
	v_add_f32_e32 v7, v7, v47
	v_add_f32_e32 v47, v28, v49
	v_mul_f32_e32 v28, v39, v41
	v_fmac_f32_e32 v17, v37, v26
	v_fmac_f32_e32 v48, v31, v40
	;; [unrolled: 1-line block ×3, first 2 shown]
	v_fma_f32 v49, v38, v40, -v28
	v_mul_f32_e32 v41, v38, v41
	v_mul_f32_e32 v28, v39, v43
	v_add_f32_e32 v37, v19, v17
	ds_read_b128 v[16:19], v15 offset:32
	ds_read_b128 v[24:27], v15 offset:48
	v_add_f32_e32 v44, v44, v48
	v_add_f32_e32 v48, v29, v30
	v_fmac_f32_e32 v41, v39, v40
	v_fma_f32 v40, v38, v42, -v28
	ds_read2_b64 v[28:31], v14 offset0:64 offset1:80
	v_add_f32_e32 v40, v36, v40
	v_mul_f32_e32 v38, v38, v43
	v_fmac_f32_e32 v38, v39, v42
	v_add_f32_e32 v42, v37, v38
	s_waitcnt lgkmcnt(0)
	v_mul_f32_e32 v36, v33, v29
	v_fma_f32 v36, v32, v28, -v36
	v_add_f32_e32 v7, v7, v36
	v_mul_f32_e32 v36, v33, v31
	v_mul_f32_e32 v37, v32, v29
	v_fma_f32 v36, v32, v30, -v36
	v_mul_f32_e32 v32, v32, v31
	v_fmac_f32_e32 v37, v33, v28
	v_fmac_f32_e32 v32, v33, v30
	v_add_f32_e32 v33, v47, v36
	v_mul_f32_e32 v36, v21, v29
	v_add_f32_e32 v39, v45, v49
	v_fma_f32 v36, v20, v28, -v36
	v_mul_f32_e32 v29, v20, v29
	v_add_f32_e32 v41, v46, v41
	v_fmac_f32_e32 v29, v21, v28
	v_add_f32_e32 v28, v39, v36
	v_mul_f32_e32 v36, v21, v31
	v_add_f32_e32 v43, v44, v37
	v_add_f32_e32 v29, v41, v29
	v_fma_f32 v41, v20, v30, -v36
	ds_read2_b64 v[36:39], v14 offset0:96 offset1:112
	v_mul_f32_e32 v20, v20, v31
	v_fmac_f32_e32 v20, v21, v30
	v_add_f32_e32 v21, v40, v41
	v_add_f32_e32 v32, v48, v32
	s_waitcnt lgkmcnt(0)
	v_mul_f32_e32 v30, v35, v37
	v_fma_f32 v30, v34, v36, -v30
	v_mul_f32_e32 v31, v34, v37
	v_fmac_f32_e32 v31, v35, v36
	v_add_f32_e32 v7, v7, v30
	v_mul_f32_e32 v30, v35, v39
	v_add_f32_e32 v40, v43, v31
	v_fma_f32 v30, v34, v38, -v30
	v_mul_f32_e32 v31, v34, v39
	v_fmac_f32_e32 v31, v35, v38
	v_add_f32_e32 v33, v33, v30
	v_mul_f32_e32 v30, v23, v37
	v_add_f32_e32 v32, v32, v31
	;; [unrolled: 6-line block ×3, first 2 shown]
	v_fma_f32 v34, v22, v38, -v28
	ds_read2_b64 v[28:31], v14 offset0:128 offset1:144
	v_mul_f32_e32 v22, v22, v39
	v_add_f32_e32 v20, v42, v20
	v_fmac_f32_e32 v22, v23, v38
	v_add_f32_e32 v42, v20, v22
	s_waitcnt lgkmcnt(0)
	v_mul_f32_e32 v20, v17, v29
	v_add_f32_e32 v41, v21, v34
	v_fma_f32 v20, v16, v28, -v20
	v_mul_f32_e32 v21, v16, v29
	v_fmac_f32_e32 v21, v17, v28
	v_add_f32_e32 v7, v7, v20
	v_mul_f32_e32 v20, v17, v31
	v_add_f32_e32 v40, v40, v21
	v_fma_f32 v34, v16, v30, -v20
	ds_read_b128 v[20:23], v15 offset:1056
	v_mul_f32_e32 v16, v16, v31
	v_fmac_f32_e32 v16, v17, v30
	v_add_f32_e32 v17, v33, v34
	v_add_f32_e32 v16, v32, v16
	ds_read_b128 v[32:35], v15 offset:1072
	s_waitcnt lgkmcnt(1)
	v_mul_f32_e32 v38, v21, v29
	v_fma_f32 v38, v20, v28, -v38
	v_mul_f32_e32 v29, v20, v29
	v_fmac_f32_e32 v29, v21, v28
	v_add_f32_e32 v28, v36, v38
	v_mul_f32_e32 v36, v21, v31
	v_add_f32_e32 v29, v37, v29
	v_fma_f32 v43, v20, v30, -v36
	ds_read2_b64 v[36:39], v14 offset0:160 offset1:176
	v_mul_f32_e32 v20, v20, v31
	v_fmac_f32_e32 v20, v21, v30
	v_add_f32_e32 v20, v42, v20
	v_add_f32_e32 v21, v41, v43
	s_waitcnt lgkmcnt(0)
	v_mul_f32_e32 v30, v19, v37
	v_mul_f32_e32 v31, v18, v37
	v_fma_f32 v30, v18, v36, -v30
	v_fmac_f32_e32 v31, v19, v36
	v_add_f32_e32 v7, v7, v30
	v_add_f32_e32 v30, v40, v31
	v_mul_f32_e32 v31, v19, v39
	v_fma_f32 v31, v18, v38, -v31
	v_mul_f32_e32 v18, v18, v39
	v_fmac_f32_e32 v18, v19, v38
	v_add_f32_e32 v40, v16, v18
	v_mul_f32_e32 v16, v23, v37
	v_add_f32_e32 v31, v17, v31
	v_fma_f32 v16, v22, v36, -v16
	v_mul_f32_e32 v17, v22, v37
	v_fmac_f32_e32 v17, v23, v36
	v_add_f32_e32 v28, v28, v16
	v_mul_f32_e32 v16, v23, v39
	v_add_f32_e32 v29, v29, v17
	v_fma_f32 v36, v22, v38, -v16
	ds_read2_b64 v[16:19], v14 offset0:192 offset1:208
	v_mul_f32_e32 v22, v22, v39
	v_fmac_f32_e32 v22, v23, v38
	v_add_f32_e32 v20, v20, v22
	v_add_f32_e32 v21, v21, v36
	s_waitcnt lgkmcnt(0)
	v_mul_f32_e32 v22, v25, v17
	v_mul_f32_e32 v23, v24, v17
	v_fma_f32 v22, v24, v16, -v22
	v_fmac_f32_e32 v23, v25, v16
	v_add_f32_e32 v7, v7, v22
	v_add_f32_e32 v22, v30, v23
	v_mul_f32_e32 v23, v25, v19
	v_fma_f32 v23, v24, v18, -v23
	v_mul_f32_e32 v24, v24, v19
	v_fmac_f32_e32 v24, v25, v18
	v_mul_f32_e32 v25, v33, v17
	v_mul_f32_e32 v17, v32, v17
	v_fma_f32 v25, v32, v16, -v25
	v_fmac_f32_e32 v17, v33, v16
	v_add_f32_e32 v23, v31, v23
	v_add_f32_e32 v16, v28, v25
	;; [unrolled: 1-line block ×3, first 2 shown]
	ds_read2_b64 v[28:31], v14 offset0:224 offset1:240
	v_mul_f32_e32 v25, v33, v19
	v_mul_f32_e32 v19, v32, v19
	v_fmac_f32_e32 v19, v33, v18
	v_add_f32_e32 v19, v20, v19
	s_waitcnt lgkmcnt(0)
	v_mul_f32_e32 v20, v27, v29
	v_fma_f32 v25, v32, v18, -v25
	v_fma_f32 v20, v26, v28, -v20
	v_add_f32_e32 v18, v21, v25
	v_mul_f32_e32 v21, v26, v29
	v_add_f32_e32 v20, v7, v20
	v_mul_f32_e32 v7, v27, v31
	v_mul_f32_e32 v25, v26, v31
	v_add_f32_e32 v24, v40, v24
	v_fmac_f32_e32 v21, v27, v28
	v_fma_f32 v7, v26, v30, -v7
	v_fmac_f32_e32 v25, v27, v30
	v_add_f32_e32 v21, v22, v21
	v_add_f32_e32 v22, v23, v7
	;; [unrolled: 1-line block ×3, first 2 shown]
	v_mul_f32_e32 v7, v35, v29
	v_mul_f32_e32 v24, v34, v29
	v_fma_f32 v7, v34, v28, -v7
	v_fmac_f32_e32 v24, v35, v28
	s_addc_u32 s3, s3, 0
	v_addc_co_u32_e32 v3, vcc, 0, v3, vcc
	v_add_f32_e32 v16, v16, v7
	v_add_f32_e32 v17, v17, v24
	v_mul_f32_e32 v7, v35, v31
	v_mul_f32_e32 v24, v34, v31
	v_cmp_ge_i64_e32 vcc, s[2:3], v[8:9]
	v_fma_f32 v7, v34, v30, -v7
	v_fmac_f32_e32 v24, v35, v30
	v_add_co_u32_e64 v4, s[0:1], 64, v4
	v_add_f32_e32 v18, v18, v7
	v_add_f32_e32 v19, v19, v24
	v_addc_co_u32_e64 v5, s[0:1], 0, v5, s[0:1]
	s_barrier
	s_cbranch_vccnz .LBB1605_12
.LBB1605_3:                             ; =>This Inner Loop Header: Depth=1
	v_mov_b32_e32 v7, s3
	v_add_co_u32_e32 v24, vcc, s2, v10
	v_addc_co_u32_e32 v25, vcc, 0, v7, vcc
	v_cmp_le_i64_e32 vcc, s[12:13], v[24:25]
	s_or_b64 s[0:1], s[4:5], vcc
	s_and_saveexec_b64 s[16:17], s[0:1]
	s_xor_b64 s[0:1], exec, s[16:17]
; %bb.4:                                ;   in Loop: Header=BB1605_3 Depth=1
	v_mov_b32_e32 v7, v6
	ds_write_b64 v12, v[6:7]
; %bb.5:                                ;   in Loop: Header=BB1605_3 Depth=1
	s_andn2_saveexec_b64 s[0:1], s[0:1]
	s_cbranch_execz .LBB1605_7
; %bb.6:                                ;   in Loop: Header=BB1605_3 Depth=1
	flat_load_dwordx2 v[24:25], v[2:3]
	s_waitcnt vmcnt(0) lgkmcnt(0)
	ds_write_b64 v12, v[24:25]
.LBB1605_7:                             ;   in Loop: Header=BB1605_3 Depth=1
	s_or_b64 exec, exec, s[0:1]
	v_mov_b32_e32 v7, s3
	v_add_co_u32_e32 v24, vcc, s2, v11
	v_addc_co_u32_e32 v25, vcc, 0, v7, vcc
	v_cmp_le_i64_e32 vcc, s[12:13], v[24:25]
	s_or_b64 s[0:1], vcc, s[6:7]
	s_and_saveexec_b64 s[16:17], s[0:1]
	s_xor_b64 s[0:1], exec, s[16:17]
; %bb.8:                                ;   in Loop: Header=BB1605_3 Depth=1
	v_mov_b32_e32 v7, v6
	ds_write_b64 v13, v[6:7]
; %bb.9:                                ;   in Loop: Header=BB1605_3 Depth=1
	s_andn2_saveexec_b64 s[0:1], s[0:1]
	s_cbranch_execz .LBB1605_2
; %bb.10:                               ;   in Loop: Header=BB1605_3 Depth=1
	flat_load_dwordx2 v[24:25], v[4:5]
	s_waitcnt vmcnt(0) lgkmcnt(0)
	ds_write_b64 v13, v[24:25]
	s_branch .LBB1605_2
.LBB1605_11:
	v_mov_b32_e32 v20, 0
	v_mov_b32_e32 v21, 0
	;; [unrolled: 1-line block ×8, first 2 shown]
.LBB1605_12:
	v_add_u32_e32 v4, s20, v1
	v_ashrrev_i32_e32 v1, 31, v4
	v_mul_lo_u32 v3, s22, v1
	v_mul_lo_u32 v5, s23, v4
	v_mad_u64_u32 v[1:2], s[0:1], s22, v4, 0
	v_add_u32_e32 v0, s11, v0
	v_cmp_gt_i32_e32 vcc, s10, v4
	v_add3_u32 v2, v2, v3, v5
	v_lshlrev_b64 v[1:2], 3, v[1:2]
	s_waitcnt lgkmcnt(0)
	v_mov_b32_e32 v3, s9
	v_add_co_u32_e64 v5, s[0:1], s8, v1
	v_addc_co_u32_e64 v6, s[0:1], v3, v2, s[0:1]
	v_cmp_le_i32_e64 s[0:1], v0, v4
	s_and_b64 s[0:1], vcc, s[0:1]
	s_and_saveexec_b64 s[2:3], s[0:1]
	s_cbranch_execz .LBB1605_14
; %bb.13:
	v_mul_f32_e32 v1, s15, v21
	v_fma_f32 v2, v20, s14, -v1
	v_ashrrev_i32_e32 v1, 31, v0
	v_lshlrev_b64 v[7:8], 3, v[0:1]
	v_mul_f32_e32 v3, s14, v21
	v_add_co_u32_e64 v7, s[0:1], v5, v7
	v_fmac_f32_e32 v3, s15, v20
	v_addc_co_u32_e64 v8, s[0:1], v6, v8, s[0:1]
	flat_store_dwordx2 v[7:8], v[2:3]
.LBB1605_14:
	s_or_b64 exec, exec, s[2:3]
	v_add_u32_e32 v2, 16, v0
	v_cmp_le_i32_e64 s[0:1], v2, v4
	s_and_b64 s[2:3], vcc, s[0:1]
	s_and_saveexec_b64 s[0:1], s[2:3]
	s_cbranch_execz .LBB1605_16
; %bb.15:
	v_ashrrev_i32_e32 v3, 31, v2
	v_lshlrev_b64 v[9:10], 3, v[2:3]
	v_mul_f32_e32 v1, s15, v23
	v_mul_f32_e32 v8, s14, v23
	v_add_co_u32_e32 v5, vcc, v5, v9
	v_fma_f32 v7, v22, s14, -v1
	v_fmac_f32_e32 v8, s15, v22
	v_addc_co_u32_e32 v6, vcc, v6, v10, vcc
	flat_store_dwordx2 v[5:6], v[7:8]
.LBB1605_16:
	s_or_b64 exec, exec, s[0:1]
	v_add_u32_e32 v3, 16, v4
	v_ashrrev_i32_e32 v1, 31, v3
	v_mul_lo_u32 v1, s22, v1
	v_mul_lo_u32 v6, s23, v3
	v_mad_u64_u32 v[4:5], s[0:1], s22, v3, 0
	v_cmp_gt_i32_e32 vcc, s10, v3
	v_add3_u32 v5, v5, v1, v6
	v_lshlrev_b64 v[4:5], 3, v[4:5]
	v_mov_b32_e32 v1, s9
	v_add_co_u32_e64 v4, s[0:1], s8, v4
	v_addc_co_u32_e64 v5, s[0:1], v1, v5, s[0:1]
	v_cmp_le_i32_e64 s[0:1], v0, v3
	s_and_b64 s[0:1], vcc, s[0:1]
	s_and_saveexec_b64 s[2:3], s[0:1]
	s_cbranch_execz .LBB1605_18
; %bb.17:
	v_mul_f32_e32 v1, s15, v17
	v_fma_f32 v6, v16, s14, -v1
	v_ashrrev_i32_e32 v1, 31, v0
	v_lshlrev_b64 v[0:1], 3, v[0:1]
	v_mul_f32_e32 v7, s14, v17
	v_add_co_u32_e64 v0, s[0:1], v4, v0
	v_fmac_f32_e32 v7, s15, v16
	v_addc_co_u32_e64 v1, s[0:1], v5, v1, s[0:1]
	flat_store_dwordx2 v[0:1], v[6:7]
.LBB1605_18:
	s_or_b64 exec, exec, s[2:3]
	v_cmp_le_i32_e64 s[0:1], v2, v3
	s_and_b64 s[0:1], vcc, s[0:1]
	s_and_saveexec_b64 s[2:3], s[0:1]
	s_cbranch_execz .LBB1605_20
; %bb.19:
	v_ashrrev_i32_e32 v3, 31, v2
	v_lshlrev_b64 v[2:3], 3, v[2:3]
	v_mul_f32_e32 v0, s15, v19
	v_mul_f32_e32 v1, s14, v19
	v_add_co_u32_e32 v2, vcc, v4, v2
	v_fma_f32 v0, v18, s14, -v0
	v_fmac_f32_e32 v1, s15, v18
	v_addc_co_u32_e32 v3, vcc, v5, v3, vcc
	flat_store_dwordx2 v[2:3], v[0:1]
.LBB1605_20:
	s_endpgm
	.section	.rodata,"a",@progbits
	.p2align	6, 0x0
	.amdhsa_kernel _ZL34rocblas_syrkx_herkx_general_kernelIl19rocblas_complex_numIfELi16ELi32ELi8ELb1ELb0ELc84ELc85EKPKS1_KPS1_EviT_T0_PT8_S7_lSA_S7_lS8_PT9_S7_li
		.amdhsa_group_segment_fixed_size 4096
		.amdhsa_private_segment_fixed_size 0
		.amdhsa_kernarg_size 108
		.amdhsa_user_sgpr_count 6
		.amdhsa_user_sgpr_private_segment_buffer 1
		.amdhsa_user_sgpr_dispatch_ptr 0
		.amdhsa_user_sgpr_queue_ptr 0
		.amdhsa_user_sgpr_kernarg_segment_ptr 1
		.amdhsa_user_sgpr_dispatch_id 0
		.amdhsa_user_sgpr_flat_scratch_init 0
		.amdhsa_user_sgpr_private_segment_size 0
		.amdhsa_uses_dynamic_stack 0
		.amdhsa_system_sgpr_private_segment_wavefront_offset 0
		.amdhsa_system_sgpr_workgroup_id_x 1
		.amdhsa_system_sgpr_workgroup_id_y 1
		.amdhsa_system_sgpr_workgroup_id_z 1
		.amdhsa_system_sgpr_workgroup_info 0
		.amdhsa_system_vgpr_workitem_id 1
		.amdhsa_next_free_vgpr 50
		.amdhsa_next_free_sgpr 24
		.amdhsa_reserve_vcc 1
		.amdhsa_reserve_flat_scratch 0
		.amdhsa_float_round_mode_32 0
		.amdhsa_float_round_mode_16_64 0
		.amdhsa_float_denorm_mode_32 3
		.amdhsa_float_denorm_mode_16_64 3
		.amdhsa_dx10_clamp 1
		.amdhsa_ieee_mode 1
		.amdhsa_fp16_overflow 0
		.amdhsa_exception_fp_ieee_invalid_op 0
		.amdhsa_exception_fp_denorm_src 0
		.amdhsa_exception_fp_ieee_div_zero 0
		.amdhsa_exception_fp_ieee_overflow 0
		.amdhsa_exception_fp_ieee_underflow 0
		.amdhsa_exception_fp_ieee_inexact 0
		.amdhsa_exception_int_div_zero 0
	.end_amdhsa_kernel
	.section	.text._ZL34rocblas_syrkx_herkx_general_kernelIl19rocblas_complex_numIfELi16ELi32ELi8ELb1ELb0ELc84ELc85EKPKS1_KPS1_EviT_T0_PT8_S7_lSA_S7_lS8_PT9_S7_li,"axG",@progbits,_ZL34rocblas_syrkx_herkx_general_kernelIl19rocblas_complex_numIfELi16ELi32ELi8ELb1ELb0ELc84ELc85EKPKS1_KPS1_EviT_T0_PT8_S7_lSA_S7_lS8_PT9_S7_li,comdat
.Lfunc_end1605:
	.size	_ZL34rocblas_syrkx_herkx_general_kernelIl19rocblas_complex_numIfELi16ELi32ELi8ELb1ELb0ELc84ELc85EKPKS1_KPS1_EviT_T0_PT8_S7_lSA_S7_lS8_PT9_S7_li, .Lfunc_end1605-_ZL34rocblas_syrkx_herkx_general_kernelIl19rocblas_complex_numIfELi16ELi32ELi8ELb1ELb0ELc84ELc85EKPKS1_KPS1_EviT_T0_PT8_S7_lSA_S7_lS8_PT9_S7_li
                                        ; -- End function
	.set _ZL34rocblas_syrkx_herkx_general_kernelIl19rocblas_complex_numIfELi16ELi32ELi8ELb1ELb0ELc84ELc85EKPKS1_KPS1_EviT_T0_PT8_S7_lSA_S7_lS8_PT9_S7_li.num_vgpr, 50
	.set _ZL34rocblas_syrkx_herkx_general_kernelIl19rocblas_complex_numIfELi16ELi32ELi8ELb1ELb0ELc84ELc85EKPKS1_KPS1_EviT_T0_PT8_S7_lSA_S7_lS8_PT9_S7_li.num_agpr, 0
	.set _ZL34rocblas_syrkx_herkx_general_kernelIl19rocblas_complex_numIfELi16ELi32ELi8ELb1ELb0ELc84ELc85EKPKS1_KPS1_EviT_T0_PT8_S7_lSA_S7_lS8_PT9_S7_li.numbered_sgpr, 24
	.set _ZL34rocblas_syrkx_herkx_general_kernelIl19rocblas_complex_numIfELi16ELi32ELi8ELb1ELb0ELc84ELc85EKPKS1_KPS1_EviT_T0_PT8_S7_lSA_S7_lS8_PT9_S7_li.num_named_barrier, 0
	.set _ZL34rocblas_syrkx_herkx_general_kernelIl19rocblas_complex_numIfELi16ELi32ELi8ELb1ELb0ELc84ELc85EKPKS1_KPS1_EviT_T0_PT8_S7_lSA_S7_lS8_PT9_S7_li.private_seg_size, 0
	.set _ZL34rocblas_syrkx_herkx_general_kernelIl19rocblas_complex_numIfELi16ELi32ELi8ELb1ELb0ELc84ELc85EKPKS1_KPS1_EviT_T0_PT8_S7_lSA_S7_lS8_PT9_S7_li.uses_vcc, 1
	.set _ZL34rocblas_syrkx_herkx_general_kernelIl19rocblas_complex_numIfELi16ELi32ELi8ELb1ELb0ELc84ELc85EKPKS1_KPS1_EviT_T0_PT8_S7_lSA_S7_lS8_PT9_S7_li.uses_flat_scratch, 0
	.set _ZL34rocblas_syrkx_herkx_general_kernelIl19rocblas_complex_numIfELi16ELi32ELi8ELb1ELb0ELc84ELc85EKPKS1_KPS1_EviT_T0_PT8_S7_lSA_S7_lS8_PT9_S7_li.has_dyn_sized_stack, 0
	.set _ZL34rocblas_syrkx_herkx_general_kernelIl19rocblas_complex_numIfELi16ELi32ELi8ELb1ELb0ELc84ELc85EKPKS1_KPS1_EviT_T0_PT8_S7_lSA_S7_lS8_PT9_S7_li.has_recursion, 0
	.set _ZL34rocblas_syrkx_herkx_general_kernelIl19rocblas_complex_numIfELi16ELi32ELi8ELb1ELb0ELc84ELc85EKPKS1_KPS1_EviT_T0_PT8_S7_lSA_S7_lS8_PT9_S7_li.has_indirect_call, 0
	.section	.AMDGPU.csdata,"",@progbits
; Kernel info:
; codeLenInByte = 2204
; TotalNumSgprs: 28
; NumVgprs: 50
; ScratchSize: 0
; MemoryBound: 1
; FloatMode: 240
; IeeeMode: 1
; LDSByteSize: 4096 bytes/workgroup (compile time only)
; SGPRBlocks: 3
; VGPRBlocks: 12
; NumSGPRsForWavesPerEU: 28
; NumVGPRsForWavesPerEU: 50
; Occupancy: 4
; WaveLimiterHint : 1
; COMPUTE_PGM_RSRC2:SCRATCH_EN: 0
; COMPUTE_PGM_RSRC2:USER_SGPR: 6
; COMPUTE_PGM_RSRC2:TRAP_HANDLER: 0
; COMPUTE_PGM_RSRC2:TGID_X_EN: 1
; COMPUTE_PGM_RSRC2:TGID_Y_EN: 1
; COMPUTE_PGM_RSRC2:TGID_Z_EN: 1
; COMPUTE_PGM_RSRC2:TIDIG_COMP_CNT: 1
	.section	.text._ZL34rocblas_syrkx_herkx_general_kernelIl19rocblas_complex_numIfELi16ELi32ELi8ELb1ELb0ELc67ELc85EKPKS1_KPS1_EviT_T0_PT8_S7_lSA_S7_lS8_PT9_S7_li,"axG",@progbits,_ZL34rocblas_syrkx_herkx_general_kernelIl19rocblas_complex_numIfELi16ELi32ELi8ELb1ELb0ELc67ELc85EKPKS1_KPS1_EviT_T0_PT8_S7_lSA_S7_lS8_PT9_S7_li,comdat
	.globl	_ZL34rocblas_syrkx_herkx_general_kernelIl19rocblas_complex_numIfELi16ELi32ELi8ELb1ELb0ELc67ELc85EKPKS1_KPS1_EviT_T0_PT8_S7_lSA_S7_lS8_PT9_S7_li ; -- Begin function _ZL34rocblas_syrkx_herkx_general_kernelIl19rocblas_complex_numIfELi16ELi32ELi8ELb1ELb0ELc67ELc85EKPKS1_KPS1_EviT_T0_PT8_S7_lSA_S7_lS8_PT9_S7_li
	.p2align	8
	.type	_ZL34rocblas_syrkx_herkx_general_kernelIl19rocblas_complex_numIfELi16ELi32ELi8ELb1ELb0ELc67ELc85EKPKS1_KPS1_EviT_T0_PT8_S7_lSA_S7_lS8_PT9_S7_li,@function
_ZL34rocblas_syrkx_herkx_general_kernelIl19rocblas_complex_numIfELi16ELi32ELi8ELb1ELb0ELc67ELc85EKPKS1_KPS1_EviT_T0_PT8_S7_lSA_S7_lS8_PT9_S7_li: ; @_ZL34rocblas_syrkx_herkx_general_kernelIl19rocblas_complex_numIfELi16ELi32ELi8ELb1ELb0ELc67ELc85EKPKS1_KPS1_EviT_T0_PT8_S7_lSA_S7_lS8_PT9_S7_li
; %bb.0:
	s_load_dwordx4 s[20:23], s[4:5], 0x50
	s_load_dword s10, s[4:5], 0x0
	s_load_dwordx8 s[12:19], s[4:5], 0x8
	s_mov_b32 s9, 0
	s_lshl_b64 s[0:1], s[8:9], 3
	s_waitcnt lgkmcnt(0)
	s_add_u32 s2, s20, s0
	s_addc_u32 s3, s21, s1
	s_load_dwordx2 s[8:9], s[2:3], 0x0
	v_cmp_lt_i64_e64 s[2:3], s[12:13], 1
	s_lshl_b32 s11, s6, 5
	s_lshl_b32 s20, s7, 5
	s_and_b64 vcc, exec, s[2:3]
	s_cbranch_vccnz .LBB1606_9
; %bb.1:
	s_load_dwordx4 s[4:7], s[4:5], 0x30
	v_lshl_add_u32 v2, v1, 4, v0
	v_and_b32_e32 v5, 31, v2
	v_or_b32_e32 v6, s11, v5
	v_and_b32_e32 v13, 7, v0
	s_waitcnt lgkmcnt(0)
	s_add_u32 s2, s4, s0
	s_addc_u32 s3, s5, s1
	s_add_u32 s0, s16, s0
	s_addc_u32 s1, s17, s1
	v_lshrrev_b32_e32 v3, 3, v2
	v_lshrrev_b32_e32 v12, 5, v2
	s_load_dwordx2 s[16:17], s[0:1], 0x0
	v_cmp_gt_i32_e64 s[0:1], s10, v6
	v_lshlrev_b32_e32 v2, 3, v5
	v_lshlrev_b32_e32 v6, 3, v13
	v_lshl_or_b32 v14, v12, 8, v2
	v_lshl_or_b32 v2, v3, 6, v6
	v_add_u32_e32 v15, 0x800, v2
	v_add_u32_e32 v2, s11, v5
	;; [unrolled: 1-line block ×3, first 2 shown]
	v_ashrrev_i32_e32 v3, 31, v2
	s_load_dwordx2 s[4:5], s[2:3], 0x0
	v_mul_lo_u32 v5, s18, v3
	v_mul_lo_u32 v8, s19, v2
	v_mad_u64_u32 v[2:3], s[2:3], s18, v2, 0
	v_ashrrev_i32_e32 v7, 31, v4
	v_mov_b32_e32 v9, 0x800
	v_add3_u32 v3, v3, v5, v8
	v_lshlrev_b64 v[2:3], 3, v[2:3]
	v_lshlrev_b32_e32 v5, 3, v12
	v_add_co_u32_e64 v2, s[2:3], v2, v5
	v_cmp_gt_i32_e32 vcc, s10, v4
	v_lshl_add_u32 v17, v1, 6, v9
	v_addc_co_u32_e64 v3, s[2:3], 0, v3, s[2:3]
	v_mul_lo_u32 v7, s6, v7
	v_mul_lo_u32 v9, s7, v4
	v_mad_u64_u32 v[4:5], s[2:3], s6, v4, 0
	s_waitcnt lgkmcnt(0)
	v_mov_b32_e32 v8, s17
	v_add_co_u32_e64 v2, s[2:3], s16, v2
	v_add3_u32 v5, v5, v7, v9
	v_lshlrev_b64 v[4:5], 3, v[4:5]
	v_addc_co_u32_e64 v3, s[2:3], v8, v3, s[2:3]
	v_add_co_u32_e64 v4, s[2:3], v4, v6
	v_addc_co_u32_e64 v5, s[2:3], 0, v5, s[2:3]
	v_mov_b32_e32 v6, s5
	v_add_co_u32_e64 v4, s[2:3], s4, v4
	v_mov_b32_e32 v8, s12
	v_lshlrev_b32_e32 v16, 3, v0
	v_addc_co_u32_e64 v5, s[2:3], v6, v5, s[2:3]
	s_mov_b64 s[4:5], 0
	s_xor_b64 s[6:7], vcc, -1
	v_mov_b32_e32 v21, 0
	v_mov_b32_e32 v20, 0
	;; [unrolled: 1-line block ×10, first 2 shown]
	s_branch .LBB1606_3
.LBB1606_2:                             ;   in Loop: Header=BB1606_3 Depth=1
	s_or_b64 exec, exec, s[2:3]
	s_waitcnt lgkmcnt(0)
	s_barrier
	ds_read2_b64 v[26:29], v16 offset1:16
	ds_read_b128 v[30:33], v17
	ds_read_b128 v[34:37], v17 offset:16
	ds_read_b128 v[38:41], v17 offset:1024
	ds_read2_b64 v[42:45], v16 offset0:32 offset1:48
	s_add_u32 s4, s4, 8
	s_waitcnt lgkmcnt(3)
	v_mul_f32_e32 v7, v31, v27
	v_fma_f32 v7, v30, v26, -v7
	v_mul_f32_e32 v10, v30, v27
	v_add_f32_e32 v7, v22, v7
	v_mul_f32_e32 v11, v31, v29
	v_mul_f32_e32 v22, v30, v29
	v_fmac_f32_e32 v10, v31, v26
	v_fma_f32 v11, v30, v28, -v11
	v_fmac_f32_e32 v22, v31, v28
	v_add_f32_e32 v10, v23, v10
	v_add_f32_e32 v11, v24, v11
	;; [unrolled: 1-line block ×3, first 2 shown]
	ds_read_b128 v[22:25], v17 offset:1040
	s_waitcnt lgkmcnt(2)
	v_mul_f32_e32 v31, v39, v27
	v_fma_f32 v31, v38, v26, -v31
	v_mul_f32_e32 v27, v38, v27
	v_add_f32_e32 v46, v18, v31
	v_mul_f32_e32 v18, v39, v29
	v_fmac_f32_e32 v27, v39, v26
	v_fma_f32 v18, v38, v28, -v18
	v_add_f32_e32 v47, v19, v27
	v_mul_f32_e32 v19, v38, v29
	v_add_f32_e32 v38, v20, v18
	s_waitcnt lgkmcnt(1)
	v_mul_f32_e32 v18, v33, v43
	v_fma_f32 v31, v32, v42, -v18
	v_mul_f32_e32 v18, v33, v45
	v_mul_f32_e32 v48, v32, v43
	v_fma_f32 v49, v32, v44, -v18
	v_mul_f32_e32 v32, v32, v45
	v_fmac_f32_e32 v48, v33, v42
	v_fmac_f32_e32 v32, v33, v44
	v_add_f32_e32 v10, v10, v48
	v_add_f32_e32 v48, v30, v32
	v_mul_f32_e32 v30, v41, v43
	v_fmac_f32_e32 v19, v39, v28
	v_add_f32_e32 v11, v11, v49
	v_fma_f32 v49, v40, v42, -v30
	v_mul_f32_e32 v43, v40, v43
	v_mul_f32_e32 v30, v41, v45
	v_add_f32_e32 v39, v21, v19
	ds_read_b128 v[18:21], v17 offset:32
	ds_read_b128 v[26:29], v17 offset:48
	v_add_f32_e32 v7, v7, v31
	v_fmac_f32_e32 v43, v41, v42
	v_fma_f32 v42, v40, v44, -v30
	ds_read2_b64 v[30:33], v16 offset0:64 offset1:80
	v_add_f32_e32 v42, v38, v42
	v_mul_f32_e32 v40, v40, v45
	v_fmac_f32_e32 v40, v41, v44
	v_add_f32_e32 v44, v39, v40
	s_waitcnt lgkmcnt(0)
	v_mul_f32_e32 v38, v35, v31
	v_fma_f32 v38, v34, v30, -v38
	v_add_f32_e32 v7, v7, v38
	v_mul_f32_e32 v38, v35, v33
	v_mul_f32_e32 v39, v34, v31
	v_fma_f32 v38, v34, v32, -v38
	v_mul_f32_e32 v34, v34, v33
	v_fmac_f32_e32 v39, v35, v30
	v_fmac_f32_e32 v34, v35, v32
	v_mul_f32_e32 v35, v23, v31
	v_add_f32_e32 v41, v46, v49
	v_fma_f32 v35, v22, v30, -v35
	v_mul_f32_e32 v31, v22, v31
	v_add_f32_e32 v10, v10, v39
	v_add_f32_e32 v11, v11, v38
	v_fmac_f32_e32 v31, v23, v30
	v_add_f32_e32 v30, v41, v35
	ds_read2_b64 v[38:41], v16 offset0:96 offset1:112
	v_mul_f32_e32 v35, v23, v33
	v_fma_f32 v35, v22, v32, -v35
	v_mul_f32_e32 v22, v22, v33
	v_fmac_f32_e32 v22, v23, v32
	s_waitcnt lgkmcnt(0)
	v_mul_f32_e32 v32, v37, v39
	v_fma_f32 v32, v36, v38, -v32
	v_mul_f32_e32 v33, v36, v39
	v_fmac_f32_e32 v33, v37, v38
	v_add_f32_e32 v7, v7, v32
	v_mul_f32_e32 v32, v37, v41
	v_add_f32_e32 v10, v10, v33
	v_fma_f32 v32, v36, v40, -v32
	v_mul_f32_e32 v33, v36, v41
	v_add_f32_e32 v34, v48, v34
	v_fmac_f32_e32 v33, v37, v40
	v_add_f32_e32 v11, v11, v32
	v_mul_f32_e32 v32, v25, v39
	v_add_f32_e32 v43, v47, v43
	v_add_f32_e32 v34, v34, v33
	v_fma_f32 v32, v24, v38, -v32
	v_mul_f32_e32 v33, v24, v39
	v_add_f32_e32 v31, v43, v31
	v_fmac_f32_e32 v33, v25, v38
	v_add_f32_e32 v38, v30, v32
	v_mul_f32_e32 v30, v25, v41
	v_add_f32_e32 v23, v42, v35
	v_add_f32_e32 v39, v31, v33
	v_fma_f32 v35, v24, v40, -v30
	ds_read2_b64 v[30:33], v16 offset0:128 offset1:144
	v_mul_f32_e32 v24, v24, v41
	v_add_f32_e32 v22, v44, v22
	v_fmac_f32_e32 v24, v25, v40
	v_add_f32_e32 v43, v22, v24
	s_waitcnt lgkmcnt(0)
	v_mul_f32_e32 v22, v19, v31
	v_add_f32_e32 v42, v23, v35
	v_fma_f32 v22, v18, v30, -v22
	v_mul_f32_e32 v23, v18, v31
	v_fmac_f32_e32 v23, v19, v30
	v_add_f32_e32 v7, v7, v22
	v_mul_f32_e32 v22, v19, v33
	v_add_f32_e32 v10, v10, v23
	v_fma_f32 v35, v18, v32, -v22
	ds_read_b128 v[22:25], v17 offset:1056
	v_mul_f32_e32 v18, v18, v33
	v_fmac_f32_e32 v18, v19, v32
	v_add_f32_e32 v11, v11, v35
	v_add_f32_e32 v18, v34, v18
	ds_read_b128 v[34:37], v17 offset:1072
	s_waitcnt lgkmcnt(1)
	v_mul_f32_e32 v19, v23, v31
	v_mul_f32_e32 v31, v22, v31
	v_fma_f32 v19, v22, v30, -v19
	v_fmac_f32_e32 v31, v23, v30
	v_add_f32_e32 v19, v38, v19
	v_add_f32_e32 v30, v39, v31
	ds_read2_b64 v[38:41], v16 offset0:160 offset1:176
	v_mul_f32_e32 v31, v23, v33
	v_fma_f32 v31, v22, v32, -v31
	v_mul_f32_e32 v22, v22, v33
	v_fmac_f32_e32 v22, v23, v32
	v_add_f32_e32 v23, v42, v31
	s_waitcnt lgkmcnt(0)
	v_mul_f32_e32 v31, v21, v39
	v_fma_f32 v31, v20, v38, -v31
	v_add_f32_e32 v7, v7, v31
	v_mul_f32_e32 v31, v21, v41
	v_mul_f32_e32 v32, v20, v39
	v_fma_f32 v31, v20, v40, -v31
	v_mul_f32_e32 v20, v20, v41
	v_fmac_f32_e32 v20, v21, v40
	v_add_f32_e32 v11, v11, v31
	v_add_f32_e32 v31, v18, v20
	v_mul_f32_e32 v18, v25, v39
	v_fmac_f32_e32 v32, v21, v38
	v_fma_f32 v18, v24, v38, -v18
	v_mul_f32_e32 v20, v24, v39
	v_add_f32_e32 v10, v10, v32
	v_fmac_f32_e32 v20, v25, v38
	v_add_f32_e32 v32, v19, v18
	v_mul_f32_e32 v18, v25, v41
	v_add_f32_e32 v30, v30, v20
	v_fma_f32 v33, v24, v40, -v18
	ds_read2_b64 v[18:21], v16 offset0:192 offset1:208
	v_mul_f32_e32 v24, v24, v41
	v_add_f32_e32 v22, v43, v22
	v_fmac_f32_e32 v24, v25, v40
	v_add_f32_e32 v22, v22, v24
	s_waitcnt lgkmcnt(0)
	v_mul_f32_e32 v24, v27, v19
	v_fma_f32 v24, v26, v18, -v24
	v_mul_f32_e32 v25, v26, v19
	v_add_f32_e32 v7, v7, v24
	v_mul_f32_e32 v24, v27, v21
	v_fmac_f32_e32 v25, v27, v18
	v_fma_f32 v24, v26, v20, -v24
	v_add_f32_e32 v10, v10, v25
	v_mul_f32_e32 v25, v26, v21
	v_add_f32_e32 v11, v11, v24
	v_mul_f32_e32 v24, v35, v19
	v_mul_f32_e32 v19, v34, v19
	v_fmac_f32_e32 v25, v27, v20
	v_fma_f32 v24, v34, v18, -v24
	v_fmac_f32_e32 v19, v35, v18
	v_add_f32_e32 v23, v23, v33
	v_add_f32_e32 v25, v31, v25
	;; [unrolled: 1-line block ×4, first 2 shown]
	ds_read2_b64 v[30:33], v16 offset0:224 offset1:240
	v_mul_f32_e32 v24, v35, v21
	v_mul_f32_e32 v21, v34, v21
	v_fma_f32 v24, v34, v20, -v24
	v_fmac_f32_e32 v21, v35, v20
	v_add_f32_e32 v20, v23, v24
	v_add_f32_e32 v21, v22, v21
	s_waitcnt lgkmcnt(0)
	v_mul_f32_e32 v22, v29, v31
	v_mul_f32_e32 v23, v28, v31
	v_fma_f32 v22, v28, v30, -v22
	v_fmac_f32_e32 v23, v29, v30
	v_add_f32_e32 v22, v7, v22
	v_add_f32_e32 v23, v10, v23
	v_mul_f32_e32 v7, v29, v33
	v_mul_f32_e32 v10, v28, v33
	v_fma_f32 v7, v28, v32, -v7
	v_fmac_f32_e32 v10, v29, v32
	v_add_f32_e32 v24, v11, v7
	v_add_f32_e32 v25, v25, v10
	v_mul_f32_e32 v7, v37, v31
	v_mul_f32_e32 v10, v36, v31
	v_add_co_u32_e32 v2, vcc, 64, v2
	v_fma_f32 v7, v36, v30, -v7
	v_fmac_f32_e32 v10, v37, v30
	s_addc_u32 s5, s5, 0
	v_addc_co_u32_e32 v3, vcc, 0, v3, vcc
	v_add_f32_e32 v18, v18, v7
	v_add_f32_e32 v19, v19, v10
	v_mul_f32_e32 v7, v37, v33
	v_mul_f32_e32 v10, v36, v33
	v_cmp_ge_i64_e32 vcc, s[4:5], v[8:9]
	v_fma_f32 v7, v36, v32, -v7
	v_fmac_f32_e32 v10, v37, v32
	v_add_co_u32_e64 v4, s[2:3], 64, v4
	v_add_f32_e32 v20, v20, v7
	v_add_f32_e32 v21, v21, v10
	v_addc_co_u32_e64 v5, s[2:3], 0, v5, s[2:3]
	s_barrier
	s_cbranch_vccnz .LBB1606_10
.LBB1606_3:                             ; =>This Inner Loop Header: Depth=1
	v_mov_b32_e32 v7, s5
	v_add_co_u32_e32 v10, vcc, s4, v12
	v_addc_co_u32_e32 v11, vcc, 0, v7, vcc
	v_cmp_gt_i64_e32 vcc, s[12:13], v[10:11]
	v_mov_b32_e32 v10, 0
	s_and_b64 s[16:17], s[0:1], vcc
	v_mov_b32_e32 v11, 0
	s_and_saveexec_b64 s[2:3], s[16:17]
	s_cbranch_execz .LBB1606_5
; %bb.4:                                ;   in Loop: Header=BB1606_3 Depth=1
	flat_load_dwordx2 v[10:11], v[2:3]
.LBB1606_5:                             ;   in Loop: Header=BB1606_3 Depth=1
	s_or_b64 exec, exec, s[2:3]
	v_mov_b32_e32 v7, s5
	v_add_co_u32_e32 v26, vcc, s4, v13
	v_addc_co_u32_e32 v27, vcc, 0, v7, vcc
	v_cmp_le_i64_e32 vcc, s[12:13], v[26:27]
	s_waitcnt vmcnt(0) lgkmcnt(0)
	ds_write_b64 v14, v[10:11]
	s_or_b64 s[2:3], vcc, s[6:7]
	s_and_saveexec_b64 s[16:17], s[2:3]
	s_xor_b64 s[2:3], exec, s[16:17]
; %bb.6:                                ;   in Loop: Header=BB1606_3 Depth=1
	v_mov_b32_e32 v7, v6
	ds_write_b64 v15, v[6:7]
; %bb.7:                                ;   in Loop: Header=BB1606_3 Depth=1
	s_andn2_saveexec_b64 s[2:3], s[2:3]
	s_cbranch_execz .LBB1606_2
; %bb.8:                                ;   in Loop: Header=BB1606_3 Depth=1
	flat_load_dwordx2 v[10:11], v[4:5]
	s_waitcnt vmcnt(0) lgkmcnt(0)
	ds_write_b64 v15, v[10:11]
	s_branch .LBB1606_2
.LBB1606_9:
	v_mov_b32_e32 v22, 0
	v_mov_b32_e32 v23, 0
	;; [unrolled: 1-line block ×8, first 2 shown]
.LBB1606_10:
	v_add_u32_e32 v4, s20, v1
	v_ashrrev_i32_e32 v1, 31, v4
	v_mul_lo_u32 v3, s22, v1
	v_mul_lo_u32 v5, s23, v4
	v_mad_u64_u32 v[1:2], s[0:1], s22, v4, 0
	v_add_u32_e32 v0, s11, v0
	v_cmp_gt_i32_e32 vcc, s10, v4
	v_add3_u32 v2, v2, v3, v5
	v_lshlrev_b64 v[1:2], 3, v[1:2]
	s_waitcnt lgkmcnt(0)
	v_mov_b32_e32 v3, s9
	v_add_co_u32_e64 v5, s[0:1], s8, v1
	v_addc_co_u32_e64 v6, s[0:1], v3, v2, s[0:1]
	v_cmp_le_i32_e64 s[0:1], v0, v4
	s_and_b64 s[0:1], vcc, s[0:1]
	s_and_saveexec_b64 s[2:3], s[0:1]
	s_cbranch_execz .LBB1606_12
; %bb.11:
	v_mul_f32_e32 v1, s15, v23
	v_fma_f32 v2, v22, s14, -v1
	v_ashrrev_i32_e32 v1, 31, v0
	v_lshlrev_b64 v[7:8], 3, v[0:1]
	v_mul_f32_e32 v3, s14, v23
	v_add_co_u32_e64 v7, s[0:1], v5, v7
	v_fmac_f32_e32 v3, s15, v22
	v_addc_co_u32_e64 v8, s[0:1], v6, v8, s[0:1]
	flat_store_dwordx2 v[7:8], v[2:3]
.LBB1606_12:
	s_or_b64 exec, exec, s[2:3]
	v_add_u32_e32 v2, 16, v0
	v_cmp_le_i32_e64 s[0:1], v2, v4
	s_and_b64 s[2:3], vcc, s[0:1]
	s_and_saveexec_b64 s[0:1], s[2:3]
	s_cbranch_execz .LBB1606_14
; %bb.13:
	v_ashrrev_i32_e32 v3, 31, v2
	v_lshlrev_b64 v[9:10], 3, v[2:3]
	v_mul_f32_e32 v1, s15, v25
	v_mul_f32_e32 v8, s14, v25
	v_add_co_u32_e32 v5, vcc, v5, v9
	v_fma_f32 v7, v24, s14, -v1
	v_fmac_f32_e32 v8, s15, v24
	v_addc_co_u32_e32 v6, vcc, v6, v10, vcc
	flat_store_dwordx2 v[5:6], v[7:8]
.LBB1606_14:
	s_or_b64 exec, exec, s[0:1]
	v_add_u32_e32 v3, 16, v4
	v_ashrrev_i32_e32 v1, 31, v3
	v_mul_lo_u32 v1, s22, v1
	v_mul_lo_u32 v6, s23, v3
	v_mad_u64_u32 v[4:5], s[0:1], s22, v3, 0
	v_cmp_gt_i32_e32 vcc, s10, v3
	v_add3_u32 v5, v5, v1, v6
	v_lshlrev_b64 v[4:5], 3, v[4:5]
	v_mov_b32_e32 v1, s9
	v_add_co_u32_e64 v4, s[0:1], s8, v4
	v_addc_co_u32_e64 v5, s[0:1], v1, v5, s[0:1]
	v_cmp_le_i32_e64 s[0:1], v0, v3
	s_and_b64 s[0:1], vcc, s[0:1]
	s_and_saveexec_b64 s[2:3], s[0:1]
	s_cbranch_execz .LBB1606_16
; %bb.15:
	v_mul_f32_e32 v1, s15, v19
	v_fma_f32 v6, v18, s14, -v1
	v_ashrrev_i32_e32 v1, 31, v0
	v_lshlrev_b64 v[0:1], 3, v[0:1]
	v_mul_f32_e32 v7, s14, v19
	v_add_co_u32_e64 v0, s[0:1], v4, v0
	v_fmac_f32_e32 v7, s15, v18
	v_addc_co_u32_e64 v1, s[0:1], v5, v1, s[0:1]
	flat_store_dwordx2 v[0:1], v[6:7]
.LBB1606_16:
	s_or_b64 exec, exec, s[2:3]
	v_cmp_le_i32_e64 s[0:1], v2, v3
	s_and_b64 s[0:1], vcc, s[0:1]
	s_and_saveexec_b64 s[2:3], s[0:1]
	s_cbranch_execz .LBB1606_18
; %bb.17:
	v_ashrrev_i32_e32 v3, 31, v2
	v_lshlrev_b64 v[2:3], 3, v[2:3]
	v_mul_f32_e32 v0, s15, v21
	v_mul_f32_e32 v1, s14, v21
	v_add_co_u32_e32 v2, vcc, v4, v2
	v_fma_f32 v0, v20, s14, -v0
	v_fmac_f32_e32 v1, s15, v20
	v_addc_co_u32_e32 v3, vcc, v5, v3, vcc
	flat_store_dwordx2 v[2:3], v[0:1]
.LBB1606_18:
	s_endpgm
	.section	.rodata,"a",@progbits
	.p2align	6, 0x0
	.amdhsa_kernel _ZL34rocblas_syrkx_herkx_general_kernelIl19rocblas_complex_numIfELi16ELi32ELi8ELb1ELb0ELc67ELc85EKPKS1_KPS1_EviT_T0_PT8_S7_lSA_S7_lS8_PT9_S7_li
		.amdhsa_group_segment_fixed_size 4096
		.amdhsa_private_segment_fixed_size 0
		.amdhsa_kernarg_size 108
		.amdhsa_user_sgpr_count 6
		.amdhsa_user_sgpr_private_segment_buffer 1
		.amdhsa_user_sgpr_dispatch_ptr 0
		.amdhsa_user_sgpr_queue_ptr 0
		.amdhsa_user_sgpr_kernarg_segment_ptr 1
		.amdhsa_user_sgpr_dispatch_id 0
		.amdhsa_user_sgpr_flat_scratch_init 0
		.amdhsa_user_sgpr_private_segment_size 0
		.amdhsa_uses_dynamic_stack 0
		.amdhsa_system_sgpr_private_segment_wavefront_offset 0
		.amdhsa_system_sgpr_workgroup_id_x 1
		.amdhsa_system_sgpr_workgroup_id_y 1
		.amdhsa_system_sgpr_workgroup_id_z 1
		.amdhsa_system_sgpr_workgroup_info 0
		.amdhsa_system_vgpr_workitem_id 1
		.amdhsa_next_free_vgpr 50
		.amdhsa_next_free_sgpr 24
		.amdhsa_reserve_vcc 1
		.amdhsa_reserve_flat_scratch 0
		.amdhsa_float_round_mode_32 0
		.amdhsa_float_round_mode_16_64 0
		.amdhsa_float_denorm_mode_32 3
		.amdhsa_float_denorm_mode_16_64 3
		.amdhsa_dx10_clamp 1
		.amdhsa_ieee_mode 1
		.amdhsa_fp16_overflow 0
		.amdhsa_exception_fp_ieee_invalid_op 0
		.amdhsa_exception_fp_denorm_src 0
		.amdhsa_exception_fp_ieee_div_zero 0
		.amdhsa_exception_fp_ieee_overflow 0
		.amdhsa_exception_fp_ieee_underflow 0
		.amdhsa_exception_fp_ieee_inexact 0
		.amdhsa_exception_int_div_zero 0
	.end_amdhsa_kernel
	.section	.text._ZL34rocblas_syrkx_herkx_general_kernelIl19rocblas_complex_numIfELi16ELi32ELi8ELb1ELb0ELc67ELc85EKPKS1_KPS1_EviT_T0_PT8_S7_lSA_S7_lS8_PT9_S7_li,"axG",@progbits,_ZL34rocblas_syrkx_herkx_general_kernelIl19rocblas_complex_numIfELi16ELi32ELi8ELb1ELb0ELc67ELc85EKPKS1_KPS1_EviT_T0_PT8_S7_lSA_S7_lS8_PT9_S7_li,comdat
.Lfunc_end1606:
	.size	_ZL34rocblas_syrkx_herkx_general_kernelIl19rocblas_complex_numIfELi16ELi32ELi8ELb1ELb0ELc67ELc85EKPKS1_KPS1_EviT_T0_PT8_S7_lSA_S7_lS8_PT9_S7_li, .Lfunc_end1606-_ZL34rocblas_syrkx_herkx_general_kernelIl19rocblas_complex_numIfELi16ELi32ELi8ELb1ELb0ELc67ELc85EKPKS1_KPS1_EviT_T0_PT8_S7_lSA_S7_lS8_PT9_S7_li
                                        ; -- End function
	.set _ZL34rocblas_syrkx_herkx_general_kernelIl19rocblas_complex_numIfELi16ELi32ELi8ELb1ELb0ELc67ELc85EKPKS1_KPS1_EviT_T0_PT8_S7_lSA_S7_lS8_PT9_S7_li.num_vgpr, 50
	.set _ZL34rocblas_syrkx_herkx_general_kernelIl19rocblas_complex_numIfELi16ELi32ELi8ELb1ELb0ELc67ELc85EKPKS1_KPS1_EviT_T0_PT8_S7_lSA_S7_lS8_PT9_S7_li.num_agpr, 0
	.set _ZL34rocblas_syrkx_herkx_general_kernelIl19rocblas_complex_numIfELi16ELi32ELi8ELb1ELb0ELc67ELc85EKPKS1_KPS1_EviT_T0_PT8_S7_lSA_S7_lS8_PT9_S7_li.numbered_sgpr, 24
	.set _ZL34rocblas_syrkx_herkx_general_kernelIl19rocblas_complex_numIfELi16ELi32ELi8ELb1ELb0ELc67ELc85EKPKS1_KPS1_EviT_T0_PT8_S7_lSA_S7_lS8_PT9_S7_li.num_named_barrier, 0
	.set _ZL34rocblas_syrkx_herkx_general_kernelIl19rocblas_complex_numIfELi16ELi32ELi8ELb1ELb0ELc67ELc85EKPKS1_KPS1_EviT_T0_PT8_S7_lSA_S7_lS8_PT9_S7_li.private_seg_size, 0
	.set _ZL34rocblas_syrkx_herkx_general_kernelIl19rocblas_complex_numIfELi16ELi32ELi8ELb1ELb0ELc67ELc85EKPKS1_KPS1_EviT_T0_PT8_S7_lSA_S7_lS8_PT9_S7_li.uses_vcc, 1
	.set _ZL34rocblas_syrkx_herkx_general_kernelIl19rocblas_complex_numIfELi16ELi32ELi8ELb1ELb0ELc67ELc85EKPKS1_KPS1_EviT_T0_PT8_S7_lSA_S7_lS8_PT9_S7_li.uses_flat_scratch, 0
	.set _ZL34rocblas_syrkx_herkx_general_kernelIl19rocblas_complex_numIfELi16ELi32ELi8ELb1ELb0ELc67ELc85EKPKS1_KPS1_EviT_T0_PT8_S7_lSA_S7_lS8_PT9_S7_li.has_dyn_sized_stack, 0
	.set _ZL34rocblas_syrkx_herkx_general_kernelIl19rocblas_complex_numIfELi16ELi32ELi8ELb1ELb0ELc67ELc85EKPKS1_KPS1_EviT_T0_PT8_S7_lSA_S7_lS8_PT9_S7_li.has_recursion, 0
	.set _ZL34rocblas_syrkx_herkx_general_kernelIl19rocblas_complex_numIfELi16ELi32ELi8ELb1ELb0ELc67ELc85EKPKS1_KPS1_EviT_T0_PT8_S7_lSA_S7_lS8_PT9_S7_li.has_indirect_call, 0
	.section	.AMDGPU.csdata,"",@progbits
; Kernel info:
; codeLenInByte = 2188
; TotalNumSgprs: 28
; NumVgprs: 50
; ScratchSize: 0
; MemoryBound: 1
; FloatMode: 240
; IeeeMode: 1
; LDSByteSize: 4096 bytes/workgroup (compile time only)
; SGPRBlocks: 3
; VGPRBlocks: 12
; NumSGPRsForWavesPerEU: 28
; NumVGPRsForWavesPerEU: 50
; Occupancy: 4
; WaveLimiterHint : 1
; COMPUTE_PGM_RSRC2:SCRATCH_EN: 0
; COMPUTE_PGM_RSRC2:USER_SGPR: 6
; COMPUTE_PGM_RSRC2:TRAP_HANDLER: 0
; COMPUTE_PGM_RSRC2:TGID_X_EN: 1
; COMPUTE_PGM_RSRC2:TGID_Y_EN: 1
; COMPUTE_PGM_RSRC2:TGID_Z_EN: 1
; COMPUTE_PGM_RSRC2:TIDIG_COMP_CNT: 1
	.section	.text._ZL34rocblas_syrkx_herkx_general_kernelIl19rocblas_complex_numIfELi16ELi32ELi8ELb1ELb0ELc78ELc85EKPKS1_KPS1_EviT_T0_PT8_S7_lSA_S7_lS8_PT9_S7_li,"axG",@progbits,_ZL34rocblas_syrkx_herkx_general_kernelIl19rocblas_complex_numIfELi16ELi32ELi8ELb1ELb0ELc78ELc85EKPKS1_KPS1_EviT_T0_PT8_S7_lSA_S7_lS8_PT9_S7_li,comdat
	.globl	_ZL34rocblas_syrkx_herkx_general_kernelIl19rocblas_complex_numIfELi16ELi32ELi8ELb1ELb0ELc78ELc85EKPKS1_KPS1_EviT_T0_PT8_S7_lSA_S7_lS8_PT9_S7_li ; -- Begin function _ZL34rocblas_syrkx_herkx_general_kernelIl19rocblas_complex_numIfELi16ELi32ELi8ELb1ELb0ELc78ELc85EKPKS1_KPS1_EviT_T0_PT8_S7_lSA_S7_lS8_PT9_S7_li
	.p2align	8
	.type	_ZL34rocblas_syrkx_herkx_general_kernelIl19rocblas_complex_numIfELi16ELi32ELi8ELb1ELb0ELc78ELc85EKPKS1_KPS1_EviT_T0_PT8_S7_lSA_S7_lS8_PT9_S7_li,@function
_ZL34rocblas_syrkx_herkx_general_kernelIl19rocblas_complex_numIfELi16ELi32ELi8ELb1ELb0ELc78ELc85EKPKS1_KPS1_EviT_T0_PT8_S7_lSA_S7_lS8_PT9_S7_li: ; @_ZL34rocblas_syrkx_herkx_general_kernelIl19rocblas_complex_numIfELi16ELi32ELi8ELb1ELb0ELc78ELc85EKPKS1_KPS1_EviT_T0_PT8_S7_lSA_S7_lS8_PT9_S7_li
; %bb.0:
	s_load_dwordx4 s[20:23], s[4:5], 0x50
	s_load_dword s24, s[4:5], 0x0
	s_load_dwordx8 s[12:19], s[4:5], 0x8
	s_mov_b32 s9, 0
	s_lshl_b64 s[0:1], s[8:9], 3
	s_waitcnt lgkmcnt(0)
	s_add_u32 s2, s20, s0
	s_addc_u32 s3, s21, s1
	s_load_dwordx2 s[8:9], s[2:3], 0x0
	v_cmp_lt_i64_e64 s[2:3], s[12:13], 1
	s_lshl_b32 s20, s6, 5
	s_lshl_b32 s21, s7, 5
	s_and_b64 vcc, exec, s[2:3]
	s_cbranch_vccnz .LBB1607_9
; %bb.1:
	s_load_dwordx4 s[4:7], s[4:5], 0x30
	v_lshl_add_u32 v2, v1, 4, v0
	v_and_b32_e32 v8, 31, v2
	v_lshrrev_b32_e32 v5, 3, v2
	v_or_b32_e32 v3, s20, v8
	s_waitcnt lgkmcnt(0)
	s_add_u32 s2, s4, s0
	v_lshrrev_b32_e32 v12, 5, v2
	s_addc_u32 s3, s5, s1
	v_lshlrev_b32_e32 v2, 3, v8
	s_load_dwordx2 s[10:11], s[2:3], 0x0
	v_cmp_gt_i32_e32 vcc, s24, v3
	v_lshl_or_b32 v14, v12, 8, v2
	v_mad_u64_u32 v[2:3], s[2:3], s18, v12, 0
	v_and_b32_e32 v13, 7, v0
	v_add_u32_e32 v4, s21, v5
	v_lshlrev_b32_e32 v6, 3, v13
	v_lshl_or_b32 v5, v5, 6, v6
	v_mad_u64_u32 v[6:7], s[2:3], s19, v12, v[3:4]
	v_mov_b32_e32 v3, 0x800
	v_lshl_add_u32 v17, v1, 6, v3
	v_mov_b32_e32 v3, v6
	v_add_u32_e32 v6, s20, v8
	v_ashrrev_i32_e32 v7, 31, v6
	v_mad_u64_u32 v[8:9], s[2:3], s6, v13, 0
	v_lshlrev_b64 v[2:3], 3, v[2:3]
	v_lshlrev_b64 v[6:7], 3, v[6:7]
	s_add_u32 s0, s16, s0
	v_add_co_u32_e64 v10, s[2:3], v2, v6
	s_addc_u32 s1, s17, s1
	v_addc_co_u32_e64 v3, s[2:3], v3, v7, s[2:3]
	v_mov_b32_e32 v2, v9
	s_load_dwordx2 s[4:5], s[0:1], 0x0
	v_mad_u64_u32 v[6:7], s[2:3], s7, v13, v[2:3]
	v_add_u32_e32 v15, 0x800, v5
	v_ashrrev_i32_e32 v5, 31, v4
	v_mov_b32_e32 v9, v6
	v_cmp_gt_i32_e64 s[0:1], s24, v4
	s_waitcnt lgkmcnt(0)
	v_mov_b32_e32 v11, s5
	v_add_co_u32_e64 v2, s[2:3], s4, v10
	v_lshlrev_b64 v[6:7], 3, v[8:9]
	v_lshlrev_b64 v[4:5], 3, v[4:5]
	v_addc_co_u32_e64 v3, s[2:3], v11, v3, s[2:3]
	v_add_co_u32_e64 v4, s[2:3], v6, v4
	v_addc_co_u32_e64 v5, s[2:3], v7, v5, s[2:3]
	s_lshl_b64 s[4:5], s[18:19], 6
	v_mov_b32_e32 v6, s11
	v_add_co_u32_e64 v4, s[2:3], s10, v4
	s_lshl_b64 s[6:7], s[6:7], 6
	v_mov_b32_e32 v8, s12
	v_lshlrev_b32_e32 v16, 3, v0
	v_addc_co_u32_e64 v5, s[2:3], v6, v5, s[2:3]
	s_mov_b64 s[10:11], 0
	s_xor_b64 s[16:17], vcc, -1
	v_mov_b32_e32 v18, s5
	v_mov_b32_e32 v19, s7
	;; [unrolled: 1-line block ×12, first 2 shown]
	s_branch .LBB1607_3
.LBB1607_2:                             ;   in Loop: Header=BB1607_3 Depth=1
	s_or_b64 exec, exec, s[2:3]
	s_waitcnt vmcnt(0) lgkmcnt(0)
	ds_write_b64 v15, v[10:11]
	s_waitcnt lgkmcnt(0)
	s_barrier
	ds_read2_b64 v[28:31], v16 offset1:16
	ds_read_b128 v[32:35], v17
	ds_read_b128 v[36:39], v17 offset:16
	ds_read_b128 v[40:43], v17 offset:1024
	s_add_u32 s10, s10, 8
	v_add_co_u32_e32 v2, vcc, s4, v2
	s_waitcnt lgkmcnt(2)
	v_mul_f32_e32 v7, v33, v29
	v_fma_f32 v7, v32, v28, -v7
	v_mul_f32_e32 v10, v32, v29
	v_add_f32_e32 v7, v26, v7
	v_mul_f32_e32 v11, v33, v31
	v_mul_f32_e32 v26, v32, v31
	v_fmac_f32_e32 v10, v33, v28
	v_fma_f32 v11, v32, v30, -v11
	v_fmac_f32_e32 v26, v33, v30
	v_add_f32_e32 v10, v27, v10
	v_add_f32_e32 v11, v24, v11
	;; [unrolled: 1-line block ×3, first 2 shown]
	ds_read_b128 v[24:27], v17 offset:1040
	s_waitcnt lgkmcnt(1)
	v_mul_f32_e32 v33, v41, v29
	v_mul_f32_e32 v44, v40, v29
	v_fma_f32 v33, v40, v28, -v33
	v_fmac_f32_e32 v44, v41, v28
	v_mul_f32_e32 v28, v41, v31
	v_fma_f32 v45, v40, v30, -v28
	v_mul_f32_e32 v40, v40, v31
	v_fmac_f32_e32 v40, v41, v30
	ds_read2_b64 v[28:31], v16 offset0:32 offset1:48
	v_add_f32_e32 v20, v20, v33
	v_add_f32_e32 v33, v22, v45
	;; [unrolled: 1-line block ×4, first 2 shown]
	s_waitcnt lgkmcnt(0)
	v_mul_f32_e32 v22, v35, v29
	v_fma_f32 v22, v34, v28, -v22
	v_mul_f32_e32 v23, v34, v29
	v_fmac_f32_e32 v23, v35, v28
	v_add_f32_e32 v7, v7, v22
	v_mul_f32_e32 v22, v35, v31
	v_add_f32_e32 v10, v10, v23
	v_fma_f32 v22, v34, v30, -v22
	v_mul_f32_e32 v23, v34, v31
	v_fmac_f32_e32 v23, v35, v30
	v_add_f32_e32 v11, v11, v22
	v_mul_f32_e32 v22, v43, v29
	v_add_f32_e32 v32, v32, v23
	;; [unrolled: 6-line block ×3, first 2 shown]
	v_fma_f32 v34, v42, v30, -v20
	ds_read2_b64 v[20:23], v16 offset0:64 offset1:80
	v_mul_f32_e32 v31, v42, v31
	v_fmac_f32_e32 v31, v43, v30
	v_add_f32_e32 v33, v33, v34
	v_add_f32_e32 v34, v40, v31
	s_waitcnt lgkmcnt(0)
	v_mul_f32_e32 v30, v37, v21
	v_fma_f32 v30, v36, v20, -v30
	v_mul_f32_e32 v31, v36, v21
	v_add_f32_e32 v7, v7, v30
	v_mul_f32_e32 v30, v37, v23
	v_fmac_f32_e32 v31, v37, v20
	v_fma_f32 v30, v36, v22, -v30
	v_add_f32_e32 v10, v10, v31
	v_mul_f32_e32 v31, v36, v23
	v_add_f32_e32 v11, v11, v30
	v_mul_f32_e32 v30, v25, v21
	v_mul_f32_e32 v21, v24, v21
	v_fmac_f32_e32 v31, v37, v22
	v_fma_f32 v30, v24, v20, -v30
	v_fmac_f32_e32 v21, v25, v20
	v_add_f32_e32 v32, v32, v31
	v_add_f32_e32 v35, v28, v30
	;; [unrolled: 1-line block ×3, first 2 shown]
	ds_read2_b64 v[28:31], v16 offset0:96 offset1:112
	v_mul_f32_e32 v20, v25, v23
	v_fma_f32 v37, v24, v22, -v20
	v_mul_f32_e32 v24, v24, v23
	v_fmac_f32_e32 v24, v25, v22
	v_add_f32_e32 v24, v34, v24
	s_waitcnt lgkmcnt(0)
	v_mul_f32_e32 v34, v38, v29
	v_fmac_f32_e32 v34, v39, v28
	v_add_f32_e32 v25, v33, v37
	v_mul_f32_e32 v33, v39, v29
	v_add_f32_e32 v10, v10, v34
	v_mul_f32_e32 v34, v38, v31
	v_fma_f32 v33, v38, v28, -v33
	v_fmac_f32_e32 v34, v39, v30
	v_add_f32_e32 v7, v7, v33
	v_mul_f32_e32 v33, v39, v31
	v_add_f32_e32 v40, v32, v34
	v_mul_f32_e32 v32, v27, v29
	v_fma_f32 v33, v38, v30, -v33
	v_fma_f32 v32, v26, v28, -v32
	ds_read_b128 v[20:23], v17 offset:32
	v_add_f32_e32 v11, v11, v33
	v_add_f32_e32 v44, v35, v32
	ds_read2_b64 v[32:35], v16 offset0:128 offset1:144
	v_mul_f32_e32 v29, v26, v29
	v_fmac_f32_e32 v29, v27, v28
	v_mul_f32_e32 v28, v27, v31
	v_fma_f32 v28, v26, v30, -v28
	v_mul_f32_e32 v26, v26, v31
	v_fmac_f32_e32 v26, v27, v30
	v_add_f32_e32 v45, v36, v29
	v_add_f32_e32 v25, v25, v28
	;; [unrolled: 1-line block ×3, first 2 shown]
	ds_read_b128 v[26:29], v17 offset:48
	s_waitcnt lgkmcnt(1)
	v_mul_f32_e32 v30, v21, v33
	ds_read_b128 v[36:39], v17 offset:1056
	v_fma_f32 v30, v20, v32, -v30
	v_add_f32_e32 v7, v7, v30
	v_mul_f32_e32 v30, v21, v35
	v_mul_f32_e32 v31, v20, v33
	v_fma_f32 v30, v20, v34, -v30
	v_mul_f32_e32 v20, v20, v35
	v_fmac_f32_e32 v20, v21, v34
	v_fmac_f32_e32 v31, v21, v32
	v_add_f32_e32 v11, v11, v30
	v_add_f32_e32 v20, v40, v20
	ds_read_b128 v[40:43], v17 offset:1072
	s_waitcnt lgkmcnt(1)
	v_mul_f32_e32 v21, v37, v33
	v_mul_f32_e32 v46, v36, v33
	;; [unrolled: 1-line block ×3, first 2 shown]
	v_add_f32_e32 v10, v10, v31
	v_fma_f32 v21, v36, v32, -v21
	v_fmac_f32_e32 v46, v37, v32
	v_fma_f32 v47, v36, v34, -v30
	ds_read2_b64 v[30:33], v16 offset0:160 offset1:176
	v_mul_f32_e32 v35, v36, v35
	v_fmac_f32_e32 v35, v37, v34
	v_add_f32_e32 v24, v24, v35
	v_add_f32_e32 v21, v44, v21
	s_waitcnt lgkmcnt(0)
	v_mul_f32_e32 v35, v23, v31
	v_fma_f32 v35, v22, v30, -v35
	v_add_f32_e32 v7, v7, v35
	v_mul_f32_e32 v35, v23, v33
	v_mul_f32_e32 v36, v22, v31
	v_fma_f32 v35, v22, v32, -v35
	v_mul_f32_e32 v22, v22, v33
	v_fmac_f32_e32 v22, v23, v32
	v_add_f32_e32 v11, v11, v35
	v_add_f32_e32 v35, v20, v22
	v_mul_f32_e32 v20, v39, v31
	v_fma_f32 v20, v38, v30, -v20
	v_mul_f32_e32 v22, v38, v31
	v_add_f32_e32 v34, v45, v46
	v_fmac_f32_e32 v36, v23, v30
	v_fmac_f32_e32 v22, v39, v30
	v_add_f32_e32 v30, v21, v20
	v_mul_f32_e32 v20, v39, v33
	v_add_f32_e32 v31, v34, v22
	v_fma_f32 v34, v38, v32, -v20
	ds_read2_b64 v[20:23], v16 offset0:192 offset1:208
	v_mul_f32_e32 v33, v38, v33
	v_fmac_f32_e32 v33, v39, v32
	v_add_f32_e32 v24, v24, v33
	v_add_f32_e32 v25, v25, v47
	s_waitcnt lgkmcnt(0)
	v_mul_f32_e32 v32, v27, v21
	v_fma_f32 v32, v26, v20, -v32
	v_add_f32_e32 v7, v7, v32
	v_mul_f32_e32 v32, v27, v23
	v_mul_f32_e32 v33, v26, v21
	v_fma_f32 v32, v26, v22, -v32
	v_mul_f32_e32 v26, v26, v23
	v_fmac_f32_e32 v26, v27, v22
	v_add_f32_e32 v25, v25, v34
	v_add_f32_e32 v34, v35, v26
	v_mul_f32_e32 v26, v41, v21
	v_mul_f32_e32 v21, v40, v21
	v_add_f32_e32 v10, v10, v36
	v_fmac_f32_e32 v33, v27, v20
	v_fma_f32 v26, v40, v20, -v26
	v_fmac_f32_e32 v21, v41, v20
	v_add_f32_e32 v10, v10, v33
	v_add_f32_e32 v11, v11, v32
	;; [unrolled: 1-line block ×4, first 2 shown]
	ds_read2_b64 v[30:33], v16 offset0:224 offset1:240
	v_mul_f32_e32 v26, v41, v23
	v_mul_f32_e32 v23, v40, v23
	v_fma_f32 v26, v40, v22, -v26
	v_fmac_f32_e32 v23, v41, v22
	v_add_f32_e32 v22, v25, v26
	v_add_f32_e32 v23, v24, v23
	s_waitcnt lgkmcnt(0)
	v_mul_f32_e32 v24, v29, v31
	v_mul_f32_e32 v25, v28, v31
	v_fma_f32 v24, v28, v30, -v24
	v_fmac_f32_e32 v25, v29, v30
	v_add_f32_e32 v26, v7, v24
	v_add_f32_e32 v27, v10, v25
	v_mul_f32_e32 v7, v29, v33
	v_mul_f32_e32 v10, v28, v33
	v_fma_f32 v7, v28, v32, -v7
	v_fmac_f32_e32 v10, v29, v32
	v_add_f32_e32 v24, v11, v7
	v_add_f32_e32 v25, v34, v10
	v_mul_f32_e32 v7, v43, v31
	v_mul_f32_e32 v10, v42, v31
	v_fma_f32 v7, v42, v30, -v7
	v_fmac_f32_e32 v10, v43, v30
	s_addc_u32 s11, s11, 0
	v_addc_co_u32_e32 v3, vcc, v3, v18, vcc
	v_add_f32_e32 v20, v20, v7
	v_add_f32_e32 v21, v21, v10
	v_mul_f32_e32 v7, v43, v33
	v_mul_f32_e32 v10, v42, v33
	v_cmp_ge_i64_e32 vcc, s[10:11], v[8:9]
	v_fma_f32 v7, v42, v32, -v7
	v_fmac_f32_e32 v10, v43, v32
	v_add_co_u32_e64 v4, s[2:3], s6, v4
	v_add_f32_e32 v22, v22, v7
	v_add_f32_e32 v23, v23, v10
	v_addc_co_u32_e64 v5, s[2:3], v5, v19, s[2:3]
	s_barrier
	s_cbranch_vccnz .LBB1607_10
.LBB1607_3:                             ; =>This Inner Loop Header: Depth=1
	v_mov_b32_e32 v7, s11
	v_add_co_u32_e32 v10, vcc, s10, v12
	v_addc_co_u32_e32 v11, vcc, 0, v7, vcc
	v_cmp_le_i64_e32 vcc, s[12:13], v[10:11]
	s_or_b64 s[2:3], s[16:17], vcc
	s_and_saveexec_b64 s[18:19], s[2:3]
	s_xor_b64 s[2:3], exec, s[18:19]
; %bb.4:                                ;   in Loop: Header=BB1607_3 Depth=1
	v_mov_b32_e32 v7, v6
	ds_write_b64 v14, v[6:7]
; %bb.5:                                ;   in Loop: Header=BB1607_3 Depth=1
	s_andn2_saveexec_b64 s[2:3], s[2:3]
	s_cbranch_execz .LBB1607_7
; %bb.6:                                ;   in Loop: Header=BB1607_3 Depth=1
	flat_load_dwordx2 v[10:11], v[2:3]
	s_waitcnt vmcnt(0) lgkmcnt(0)
	ds_write_b64 v14, v[10:11]
.LBB1607_7:                             ;   in Loop: Header=BB1607_3 Depth=1
	s_or_b64 exec, exec, s[2:3]
	v_mov_b32_e32 v7, s11
	v_add_co_u32_e32 v10, vcc, s10, v13
	v_addc_co_u32_e32 v11, vcc, 0, v7, vcc
	v_cmp_gt_i64_e32 vcc, s[12:13], v[10:11]
	v_mov_b32_e32 v10, 0
	s_and_b64 s[18:19], vcc, s[0:1]
	v_mov_b32_e32 v11, 0
	s_and_saveexec_b64 s[2:3], s[18:19]
	s_cbranch_execz .LBB1607_2
; %bb.8:                                ;   in Loop: Header=BB1607_3 Depth=1
	flat_load_dwordx2 v[10:11], v[4:5]
	s_branch .LBB1607_2
.LBB1607_9:
	v_mov_b32_e32 v26, 0
	v_mov_b32_e32 v27, 0
	;; [unrolled: 1-line block ×8, first 2 shown]
.LBB1607_10:
	v_add_u32_e32 v4, s21, v1
	v_ashrrev_i32_e32 v1, 31, v4
	v_mul_lo_u32 v3, s22, v1
	v_mul_lo_u32 v5, s23, v4
	v_mad_u64_u32 v[1:2], s[0:1], s22, v4, 0
	v_add_u32_e32 v0, s20, v0
	v_cmp_gt_i32_e32 vcc, s24, v4
	v_add3_u32 v2, v2, v3, v5
	v_lshlrev_b64 v[1:2], 3, v[1:2]
	s_waitcnt lgkmcnt(0)
	v_mov_b32_e32 v3, s9
	v_add_co_u32_e64 v5, s[0:1], s8, v1
	v_addc_co_u32_e64 v6, s[0:1], v3, v2, s[0:1]
	v_cmp_le_i32_e64 s[0:1], v0, v4
	s_and_b64 s[0:1], vcc, s[0:1]
	s_and_saveexec_b64 s[2:3], s[0:1]
	s_cbranch_execz .LBB1607_12
; %bb.11:
	v_mul_f32_e32 v1, s15, v27
	v_fma_f32 v2, v26, s14, -v1
	v_ashrrev_i32_e32 v1, 31, v0
	v_lshlrev_b64 v[7:8], 3, v[0:1]
	v_mul_f32_e32 v3, s14, v27
	v_add_co_u32_e64 v7, s[0:1], v5, v7
	v_fmac_f32_e32 v3, s15, v26
	v_addc_co_u32_e64 v8, s[0:1], v6, v8, s[0:1]
	flat_store_dwordx2 v[7:8], v[2:3]
.LBB1607_12:
	s_or_b64 exec, exec, s[2:3]
	v_add_u32_e32 v2, 16, v0
	v_cmp_le_i32_e64 s[0:1], v2, v4
	s_and_b64 s[2:3], vcc, s[0:1]
	s_and_saveexec_b64 s[0:1], s[2:3]
	s_cbranch_execz .LBB1607_14
; %bb.13:
	v_ashrrev_i32_e32 v3, 31, v2
	v_lshlrev_b64 v[9:10], 3, v[2:3]
	v_mul_f32_e32 v1, s15, v25
	v_mul_f32_e32 v8, s14, v25
	v_add_co_u32_e32 v5, vcc, v5, v9
	v_fma_f32 v7, v24, s14, -v1
	v_fmac_f32_e32 v8, s15, v24
	v_addc_co_u32_e32 v6, vcc, v6, v10, vcc
	flat_store_dwordx2 v[5:6], v[7:8]
.LBB1607_14:
	s_or_b64 exec, exec, s[0:1]
	v_add_u32_e32 v3, 16, v4
	v_ashrrev_i32_e32 v1, 31, v3
	v_mul_lo_u32 v1, s22, v1
	v_mul_lo_u32 v6, s23, v3
	v_mad_u64_u32 v[4:5], s[0:1], s22, v3, 0
	v_cmp_gt_i32_e32 vcc, s24, v3
	v_add3_u32 v5, v5, v1, v6
	v_lshlrev_b64 v[4:5], 3, v[4:5]
	v_mov_b32_e32 v1, s9
	v_add_co_u32_e64 v4, s[0:1], s8, v4
	v_addc_co_u32_e64 v5, s[0:1], v1, v5, s[0:1]
	v_cmp_le_i32_e64 s[0:1], v0, v3
	s_and_b64 s[0:1], vcc, s[0:1]
	s_and_saveexec_b64 s[2:3], s[0:1]
	s_cbranch_execz .LBB1607_16
; %bb.15:
	v_mul_f32_e32 v1, s15, v21
	v_fma_f32 v6, v20, s14, -v1
	v_ashrrev_i32_e32 v1, 31, v0
	v_lshlrev_b64 v[0:1], 3, v[0:1]
	v_mul_f32_e32 v7, s14, v21
	v_add_co_u32_e64 v0, s[0:1], v4, v0
	v_fmac_f32_e32 v7, s15, v20
	v_addc_co_u32_e64 v1, s[0:1], v5, v1, s[0:1]
	flat_store_dwordx2 v[0:1], v[6:7]
.LBB1607_16:
	s_or_b64 exec, exec, s[2:3]
	v_cmp_le_i32_e64 s[0:1], v2, v3
	s_and_b64 s[0:1], vcc, s[0:1]
	s_and_saveexec_b64 s[2:3], s[0:1]
	s_cbranch_execz .LBB1607_18
; %bb.17:
	v_ashrrev_i32_e32 v3, 31, v2
	v_lshlrev_b64 v[2:3], 3, v[2:3]
	v_mul_f32_e32 v0, s15, v23
	v_mul_f32_e32 v1, s14, v23
	v_add_co_u32_e32 v2, vcc, v4, v2
	v_fma_f32 v0, v22, s14, -v0
	v_fmac_f32_e32 v1, s15, v22
	v_addc_co_u32_e32 v3, vcc, v5, v3, vcc
	flat_store_dwordx2 v[2:3], v[0:1]
.LBB1607_18:
	s_endpgm
	.section	.rodata,"a",@progbits
	.p2align	6, 0x0
	.amdhsa_kernel _ZL34rocblas_syrkx_herkx_general_kernelIl19rocblas_complex_numIfELi16ELi32ELi8ELb1ELb0ELc78ELc85EKPKS1_KPS1_EviT_T0_PT8_S7_lSA_S7_lS8_PT9_S7_li
		.amdhsa_group_segment_fixed_size 4096
		.amdhsa_private_segment_fixed_size 0
		.amdhsa_kernarg_size 108
		.amdhsa_user_sgpr_count 6
		.amdhsa_user_sgpr_private_segment_buffer 1
		.amdhsa_user_sgpr_dispatch_ptr 0
		.amdhsa_user_sgpr_queue_ptr 0
		.amdhsa_user_sgpr_kernarg_segment_ptr 1
		.amdhsa_user_sgpr_dispatch_id 0
		.amdhsa_user_sgpr_flat_scratch_init 0
		.amdhsa_user_sgpr_private_segment_size 0
		.amdhsa_uses_dynamic_stack 0
		.amdhsa_system_sgpr_private_segment_wavefront_offset 0
		.amdhsa_system_sgpr_workgroup_id_x 1
		.amdhsa_system_sgpr_workgroup_id_y 1
		.amdhsa_system_sgpr_workgroup_id_z 1
		.amdhsa_system_sgpr_workgroup_info 0
		.amdhsa_system_vgpr_workitem_id 1
		.amdhsa_next_free_vgpr 48
		.amdhsa_next_free_sgpr 25
		.amdhsa_reserve_vcc 1
		.amdhsa_reserve_flat_scratch 0
		.amdhsa_float_round_mode_32 0
		.amdhsa_float_round_mode_16_64 0
		.amdhsa_float_denorm_mode_32 3
		.amdhsa_float_denorm_mode_16_64 3
		.amdhsa_dx10_clamp 1
		.amdhsa_ieee_mode 1
		.amdhsa_fp16_overflow 0
		.amdhsa_exception_fp_ieee_invalid_op 0
		.amdhsa_exception_fp_denorm_src 0
		.amdhsa_exception_fp_ieee_div_zero 0
		.amdhsa_exception_fp_ieee_overflow 0
		.amdhsa_exception_fp_ieee_underflow 0
		.amdhsa_exception_fp_ieee_inexact 0
		.amdhsa_exception_int_div_zero 0
	.end_amdhsa_kernel
	.section	.text._ZL34rocblas_syrkx_herkx_general_kernelIl19rocblas_complex_numIfELi16ELi32ELi8ELb1ELb0ELc78ELc85EKPKS1_KPS1_EviT_T0_PT8_S7_lSA_S7_lS8_PT9_S7_li,"axG",@progbits,_ZL34rocblas_syrkx_herkx_general_kernelIl19rocblas_complex_numIfELi16ELi32ELi8ELb1ELb0ELc78ELc85EKPKS1_KPS1_EviT_T0_PT8_S7_lSA_S7_lS8_PT9_S7_li,comdat
.Lfunc_end1607:
	.size	_ZL34rocblas_syrkx_herkx_general_kernelIl19rocblas_complex_numIfELi16ELi32ELi8ELb1ELb0ELc78ELc85EKPKS1_KPS1_EviT_T0_PT8_S7_lSA_S7_lS8_PT9_S7_li, .Lfunc_end1607-_ZL34rocblas_syrkx_herkx_general_kernelIl19rocblas_complex_numIfELi16ELi32ELi8ELb1ELb0ELc78ELc85EKPKS1_KPS1_EviT_T0_PT8_S7_lSA_S7_lS8_PT9_S7_li
                                        ; -- End function
	.set _ZL34rocblas_syrkx_herkx_general_kernelIl19rocblas_complex_numIfELi16ELi32ELi8ELb1ELb0ELc78ELc85EKPKS1_KPS1_EviT_T0_PT8_S7_lSA_S7_lS8_PT9_S7_li.num_vgpr, 48
	.set _ZL34rocblas_syrkx_herkx_general_kernelIl19rocblas_complex_numIfELi16ELi32ELi8ELb1ELb0ELc78ELc85EKPKS1_KPS1_EviT_T0_PT8_S7_lSA_S7_lS8_PT9_S7_li.num_agpr, 0
	.set _ZL34rocblas_syrkx_herkx_general_kernelIl19rocblas_complex_numIfELi16ELi32ELi8ELb1ELb0ELc78ELc85EKPKS1_KPS1_EviT_T0_PT8_S7_lSA_S7_lS8_PT9_S7_li.numbered_sgpr, 25
	.set _ZL34rocblas_syrkx_herkx_general_kernelIl19rocblas_complex_numIfELi16ELi32ELi8ELb1ELb0ELc78ELc85EKPKS1_KPS1_EviT_T0_PT8_S7_lSA_S7_lS8_PT9_S7_li.num_named_barrier, 0
	.set _ZL34rocblas_syrkx_herkx_general_kernelIl19rocblas_complex_numIfELi16ELi32ELi8ELb1ELb0ELc78ELc85EKPKS1_KPS1_EviT_T0_PT8_S7_lSA_S7_lS8_PT9_S7_li.private_seg_size, 0
	.set _ZL34rocblas_syrkx_herkx_general_kernelIl19rocblas_complex_numIfELi16ELi32ELi8ELb1ELb0ELc78ELc85EKPKS1_KPS1_EviT_T0_PT8_S7_lSA_S7_lS8_PT9_S7_li.uses_vcc, 1
	.set _ZL34rocblas_syrkx_herkx_general_kernelIl19rocblas_complex_numIfELi16ELi32ELi8ELb1ELb0ELc78ELc85EKPKS1_KPS1_EviT_T0_PT8_S7_lSA_S7_lS8_PT9_S7_li.uses_flat_scratch, 0
	.set _ZL34rocblas_syrkx_herkx_general_kernelIl19rocblas_complex_numIfELi16ELi32ELi8ELb1ELb0ELc78ELc85EKPKS1_KPS1_EviT_T0_PT8_S7_lSA_S7_lS8_PT9_S7_li.has_dyn_sized_stack, 0
	.set _ZL34rocblas_syrkx_herkx_general_kernelIl19rocblas_complex_numIfELi16ELi32ELi8ELb1ELb0ELc78ELc85EKPKS1_KPS1_EviT_T0_PT8_S7_lSA_S7_lS8_PT9_S7_li.has_recursion, 0
	.set _ZL34rocblas_syrkx_herkx_general_kernelIl19rocblas_complex_numIfELi16ELi32ELi8ELb1ELb0ELc78ELc85EKPKS1_KPS1_EviT_T0_PT8_S7_lSA_S7_lS8_PT9_S7_li.has_indirect_call, 0
	.section	.AMDGPU.csdata,"",@progbits
; Kernel info:
; codeLenInByte = 2196
; TotalNumSgprs: 29
; NumVgprs: 48
; ScratchSize: 0
; MemoryBound: 1
; FloatMode: 240
; IeeeMode: 1
; LDSByteSize: 4096 bytes/workgroup (compile time only)
; SGPRBlocks: 3
; VGPRBlocks: 11
; NumSGPRsForWavesPerEU: 29
; NumVGPRsForWavesPerEU: 48
; Occupancy: 5
; WaveLimiterHint : 1
; COMPUTE_PGM_RSRC2:SCRATCH_EN: 0
; COMPUTE_PGM_RSRC2:USER_SGPR: 6
; COMPUTE_PGM_RSRC2:TRAP_HANDLER: 0
; COMPUTE_PGM_RSRC2:TGID_X_EN: 1
; COMPUTE_PGM_RSRC2:TGID_Y_EN: 1
; COMPUTE_PGM_RSRC2:TGID_Z_EN: 1
; COMPUTE_PGM_RSRC2:TIDIG_COMP_CNT: 1
	.section	.text._ZL34rocblas_syrkx_herkx_general_kernelIl19rocblas_complex_numIfELi16ELi32ELi8ELb0ELb0ELc84ELc76EKPKS1_KPS1_EviT_T0_PT8_S7_lSA_S7_lS8_PT9_S7_li,"axG",@progbits,_ZL34rocblas_syrkx_herkx_general_kernelIl19rocblas_complex_numIfELi16ELi32ELi8ELb0ELb0ELc84ELc76EKPKS1_KPS1_EviT_T0_PT8_S7_lSA_S7_lS8_PT9_S7_li,comdat
	.globl	_ZL34rocblas_syrkx_herkx_general_kernelIl19rocblas_complex_numIfELi16ELi32ELi8ELb0ELb0ELc84ELc76EKPKS1_KPS1_EviT_T0_PT8_S7_lSA_S7_lS8_PT9_S7_li ; -- Begin function _ZL34rocblas_syrkx_herkx_general_kernelIl19rocblas_complex_numIfELi16ELi32ELi8ELb0ELb0ELc84ELc76EKPKS1_KPS1_EviT_T0_PT8_S7_lSA_S7_lS8_PT9_S7_li
	.p2align	8
	.type	_ZL34rocblas_syrkx_herkx_general_kernelIl19rocblas_complex_numIfELi16ELi32ELi8ELb0ELb0ELc84ELc76EKPKS1_KPS1_EviT_T0_PT8_S7_lSA_S7_lS8_PT9_S7_li,@function
_ZL34rocblas_syrkx_herkx_general_kernelIl19rocblas_complex_numIfELi16ELi32ELi8ELb0ELb0ELc84ELc76EKPKS1_KPS1_EviT_T0_PT8_S7_lSA_S7_lS8_PT9_S7_li: ; @_ZL34rocblas_syrkx_herkx_general_kernelIl19rocblas_complex_numIfELi16ELi32ELi8ELb0ELb0ELc84ELc76EKPKS1_KPS1_EviT_T0_PT8_S7_lSA_S7_lS8_PT9_S7_li
; %bb.0:
	s_load_dwordx2 s[10:11], s[4:5], 0x58
	s_load_dwordx4 s[20:23], s[4:5], 0x48
	s_load_dword s24, s[4:5], 0x0
	s_load_dwordx8 s[12:19], s[4:5], 0x8
	s_mov_b32 s9, 0
	s_lshl_b64 s[0:1], s[8:9], 3
	s_waitcnt lgkmcnt(0)
	s_add_u32 s2, s22, s0
	s_addc_u32 s3, s23, s1
	s_load_dwordx2 s[8:9], s[2:3], 0x0
	v_cmp_lt_i64_e64 s[2:3], s[12:13], 1
	s_lshl_b32 s22, s6, 5
	s_lshl_b32 s23, s7, 5
	s_and_b64 vcc, exec, s[2:3]
	s_cbranch_vccnz .LBB1608_11
; %bb.1:
	s_load_dwordx4 s[4:7], s[4:5], 0x30
	v_lshl_add_u32 v2, v1, 4, v0
	v_and_b32_e32 v5, 31, v2
	v_or_b32_e32 v6, s22, v5
	v_and_b32_e32 v11, 7, v0
	v_lshrrev_b32_e32 v3, 3, v2
	v_lshrrev_b32_e32 v10, 5, v2
	v_cmp_gt_i32_e32 vcc, s24, v6
	v_lshlrev_b32_e32 v2, 3, v5
	v_lshlrev_b32_e32 v6, 3, v11
	v_lshl_or_b32 v12, v10, 8, v2
	v_lshl_or_b32 v2, v3, 6, v6
	s_waitcnt lgkmcnt(0)
	s_add_u32 s2, s4, s0
	v_add_u32_e32 v13, 0x800, v2
	v_add_u32_e32 v2, s22, v5
	;; [unrolled: 1-line block ×3, first 2 shown]
	s_addc_u32 s3, s5, s1
	v_ashrrev_i32_e32 v3, 31, v2
	s_load_dwordx2 s[4:5], s[2:3], 0x0
	v_mul_lo_u32 v5, s18, v3
	v_mul_lo_u32 v8, s19, v2
	v_mad_u64_u32 v[2:3], s[2:3], s18, v2, 0
	s_add_u32 s0, s16, s0
	s_addc_u32 s1, s17, s1
	v_add3_u32 v3, v3, v5, v8
	v_lshlrev_b64 v[2:3], 3, v[2:3]
	v_lshlrev_b32_e32 v5, 3, v10
	v_ashrrev_i32_e32 v7, 31, v4
	v_mov_b32_e32 v9, 0x800
	v_add_co_u32_e64 v2, s[2:3], v2, v5
	s_load_dwordx2 s[16:17], s[0:1], 0x0
	v_cmp_gt_i32_e64 s[0:1], s24, v4
	v_lshl_add_u32 v15, v1, 6, v9
	v_addc_co_u32_e64 v3, s[2:3], 0, v3, s[2:3]
	v_mul_lo_u32 v7, s6, v7
	v_mul_lo_u32 v9, s7, v4
	v_mad_u64_u32 v[4:5], s[2:3], s6, v4, 0
	s_waitcnt lgkmcnt(0)
	v_mov_b32_e32 v8, s17
	v_add_co_u32_e64 v2, s[2:3], s16, v2
	v_add3_u32 v5, v5, v7, v9
	v_lshlrev_b64 v[4:5], 3, v[4:5]
	v_addc_co_u32_e64 v3, s[2:3], v8, v3, s[2:3]
	v_add_co_u32_e64 v4, s[2:3], v4, v6
	v_addc_co_u32_e64 v5, s[2:3], 0, v5, s[2:3]
	v_mov_b32_e32 v6, s5
	v_add_co_u32_e64 v4, s[2:3], s4, v4
	v_addc_co_u32_e64 v5, s[2:3], v6, v5, s[2:3]
	v_mov_b32_e32 v8, s12
	v_lshlrev_b32_e32 v14, 3, v0
	s_mov_b64 s[2:3], 0
	s_xor_b64 s[4:5], vcc, -1
	s_xor_b64 s[6:7], s[0:1], -1
	v_mov_b32_e32 v19, 0
	v_mov_b32_e32 v18, 0
	;; [unrolled: 1-line block ×10, first 2 shown]
	s_branch .LBB1608_3
.LBB1608_2:                             ;   in Loop: Header=BB1608_3 Depth=1
	s_or_b64 exec, exec, s[0:1]
	s_waitcnt lgkmcnt(0)
	s_barrier
	ds_read2_b64 v[24:27], v14 offset1:16
	ds_read_b128 v[28:31], v15
	ds_read_b128 v[32:35], v15 offset:16
	s_add_u32 s2, s2, 8
	v_add_co_u32_e32 v2, vcc, 64, v2
	s_waitcnt lgkmcnt(1)
	v_mul_f32_e32 v36, v28, v25
	v_fmac_f32_e32 v36, v29, v24
	v_add_f32_e32 v44, v21, v36
	ds_read_b128 v[36:39], v15 offset:1024
	v_mul_f32_e32 v7, v29, v25
	v_fma_f32 v7, v28, v24, -v7
	v_add_f32_e32 v7, v20, v7
	v_mul_f32_e32 v20, v29, v27
	v_mul_f32_e32 v21, v28, v27
	v_fma_f32 v20, v28, v26, -v20
	v_fmac_f32_e32 v21, v29, v26
	v_add_f32_e32 v28, v22, v20
	v_add_f32_e32 v29, v23, v21
	ds_read_b128 v[20:23], v15 offset:1040
	s_waitcnt lgkmcnt(1)
	v_mul_f32_e32 v40, v37, v25
	v_fma_f32 v40, v36, v24, -v40
	v_add_f32_e32 v45, v16, v40
	ds_read2_b64 v[40:43], v14 offset0:32 offset1:48
	v_mul_f32_e32 v25, v36, v25
	v_mul_f32_e32 v16, v37, v27
	v_fmac_f32_e32 v25, v37, v24
	v_fma_f32 v16, v36, v26, -v16
	v_add_f32_e32 v46, v17, v25
	v_mul_f32_e32 v17, v36, v27
	v_add_f32_e32 v36, v18, v16
	s_waitcnt lgkmcnt(0)
	v_mul_f32_e32 v16, v31, v41
	v_fma_f32 v47, v30, v40, -v16
	v_mul_f32_e32 v16, v31, v43
	v_fma_f32 v49, v30, v42, -v16
	v_mul_f32_e32 v48, v30, v41
	v_mul_f32_e32 v30, v30, v43
	v_add_f32_e32 v7, v7, v47
	v_add_f32_e32 v47, v28, v49
	v_mul_f32_e32 v28, v39, v41
	v_fmac_f32_e32 v17, v37, v26
	v_fmac_f32_e32 v48, v31, v40
	;; [unrolled: 1-line block ×3, first 2 shown]
	v_fma_f32 v49, v38, v40, -v28
	v_mul_f32_e32 v41, v38, v41
	v_mul_f32_e32 v28, v39, v43
	v_add_f32_e32 v37, v19, v17
	ds_read_b128 v[16:19], v15 offset:32
	ds_read_b128 v[24:27], v15 offset:48
	v_add_f32_e32 v44, v44, v48
	v_add_f32_e32 v48, v29, v30
	v_fmac_f32_e32 v41, v39, v40
	v_fma_f32 v40, v38, v42, -v28
	ds_read2_b64 v[28:31], v14 offset0:64 offset1:80
	v_add_f32_e32 v40, v36, v40
	v_mul_f32_e32 v38, v38, v43
	v_fmac_f32_e32 v38, v39, v42
	v_add_f32_e32 v42, v37, v38
	s_waitcnt lgkmcnt(0)
	v_mul_f32_e32 v36, v33, v29
	v_fma_f32 v36, v32, v28, -v36
	v_add_f32_e32 v7, v7, v36
	v_mul_f32_e32 v36, v33, v31
	v_mul_f32_e32 v37, v32, v29
	v_fma_f32 v36, v32, v30, -v36
	v_mul_f32_e32 v32, v32, v31
	v_fmac_f32_e32 v37, v33, v28
	v_fmac_f32_e32 v32, v33, v30
	v_add_f32_e32 v33, v47, v36
	v_mul_f32_e32 v36, v21, v29
	v_add_f32_e32 v39, v45, v49
	v_fma_f32 v36, v20, v28, -v36
	v_mul_f32_e32 v29, v20, v29
	v_add_f32_e32 v41, v46, v41
	v_fmac_f32_e32 v29, v21, v28
	v_add_f32_e32 v28, v39, v36
	v_mul_f32_e32 v36, v21, v31
	v_add_f32_e32 v43, v44, v37
	v_add_f32_e32 v29, v41, v29
	v_fma_f32 v41, v20, v30, -v36
	ds_read2_b64 v[36:39], v14 offset0:96 offset1:112
	v_mul_f32_e32 v20, v20, v31
	v_fmac_f32_e32 v20, v21, v30
	v_add_f32_e32 v21, v40, v41
	v_add_f32_e32 v32, v48, v32
	s_waitcnt lgkmcnt(0)
	v_mul_f32_e32 v30, v35, v37
	v_fma_f32 v30, v34, v36, -v30
	v_mul_f32_e32 v31, v34, v37
	v_fmac_f32_e32 v31, v35, v36
	v_add_f32_e32 v7, v7, v30
	v_mul_f32_e32 v30, v35, v39
	v_add_f32_e32 v40, v43, v31
	v_fma_f32 v30, v34, v38, -v30
	v_mul_f32_e32 v31, v34, v39
	v_fmac_f32_e32 v31, v35, v38
	v_add_f32_e32 v33, v33, v30
	v_mul_f32_e32 v30, v23, v37
	v_add_f32_e32 v32, v32, v31
	;; [unrolled: 6-line block ×3, first 2 shown]
	v_fma_f32 v34, v22, v38, -v28
	ds_read2_b64 v[28:31], v14 offset0:128 offset1:144
	v_mul_f32_e32 v22, v22, v39
	v_add_f32_e32 v20, v42, v20
	v_fmac_f32_e32 v22, v23, v38
	v_add_f32_e32 v42, v20, v22
	s_waitcnt lgkmcnt(0)
	v_mul_f32_e32 v20, v17, v29
	v_add_f32_e32 v41, v21, v34
	v_fma_f32 v20, v16, v28, -v20
	v_mul_f32_e32 v21, v16, v29
	v_fmac_f32_e32 v21, v17, v28
	v_add_f32_e32 v7, v7, v20
	v_mul_f32_e32 v20, v17, v31
	v_add_f32_e32 v40, v40, v21
	v_fma_f32 v34, v16, v30, -v20
	ds_read_b128 v[20:23], v15 offset:1056
	v_mul_f32_e32 v16, v16, v31
	v_fmac_f32_e32 v16, v17, v30
	v_add_f32_e32 v17, v33, v34
	v_add_f32_e32 v16, v32, v16
	ds_read_b128 v[32:35], v15 offset:1072
	s_waitcnt lgkmcnt(1)
	v_mul_f32_e32 v38, v21, v29
	v_fma_f32 v38, v20, v28, -v38
	v_mul_f32_e32 v29, v20, v29
	v_fmac_f32_e32 v29, v21, v28
	v_add_f32_e32 v28, v36, v38
	v_mul_f32_e32 v36, v21, v31
	v_add_f32_e32 v29, v37, v29
	v_fma_f32 v43, v20, v30, -v36
	ds_read2_b64 v[36:39], v14 offset0:160 offset1:176
	v_mul_f32_e32 v20, v20, v31
	v_fmac_f32_e32 v20, v21, v30
	v_add_f32_e32 v20, v42, v20
	v_add_f32_e32 v21, v41, v43
	s_waitcnt lgkmcnt(0)
	v_mul_f32_e32 v30, v19, v37
	v_mul_f32_e32 v31, v18, v37
	v_fma_f32 v30, v18, v36, -v30
	v_fmac_f32_e32 v31, v19, v36
	v_add_f32_e32 v7, v7, v30
	v_add_f32_e32 v30, v40, v31
	v_mul_f32_e32 v31, v19, v39
	v_fma_f32 v31, v18, v38, -v31
	v_mul_f32_e32 v18, v18, v39
	v_fmac_f32_e32 v18, v19, v38
	v_add_f32_e32 v40, v16, v18
	v_mul_f32_e32 v16, v23, v37
	v_add_f32_e32 v31, v17, v31
	v_fma_f32 v16, v22, v36, -v16
	v_mul_f32_e32 v17, v22, v37
	v_fmac_f32_e32 v17, v23, v36
	v_add_f32_e32 v28, v28, v16
	v_mul_f32_e32 v16, v23, v39
	v_add_f32_e32 v29, v29, v17
	v_fma_f32 v36, v22, v38, -v16
	ds_read2_b64 v[16:19], v14 offset0:192 offset1:208
	v_mul_f32_e32 v22, v22, v39
	v_fmac_f32_e32 v22, v23, v38
	v_add_f32_e32 v20, v20, v22
	v_add_f32_e32 v21, v21, v36
	s_waitcnt lgkmcnt(0)
	v_mul_f32_e32 v22, v25, v17
	v_mul_f32_e32 v23, v24, v17
	v_fma_f32 v22, v24, v16, -v22
	v_fmac_f32_e32 v23, v25, v16
	v_add_f32_e32 v7, v7, v22
	v_add_f32_e32 v22, v30, v23
	v_mul_f32_e32 v23, v25, v19
	v_fma_f32 v23, v24, v18, -v23
	v_mul_f32_e32 v24, v24, v19
	v_fmac_f32_e32 v24, v25, v18
	v_mul_f32_e32 v25, v33, v17
	v_mul_f32_e32 v17, v32, v17
	v_fma_f32 v25, v32, v16, -v25
	v_fmac_f32_e32 v17, v33, v16
	v_add_f32_e32 v23, v31, v23
	v_add_f32_e32 v16, v28, v25
	;; [unrolled: 1-line block ×3, first 2 shown]
	ds_read2_b64 v[28:31], v14 offset0:224 offset1:240
	v_mul_f32_e32 v25, v33, v19
	v_mul_f32_e32 v19, v32, v19
	v_fmac_f32_e32 v19, v33, v18
	v_add_f32_e32 v19, v20, v19
	s_waitcnt lgkmcnt(0)
	v_mul_f32_e32 v20, v27, v29
	v_fma_f32 v25, v32, v18, -v25
	v_fma_f32 v20, v26, v28, -v20
	v_add_f32_e32 v18, v21, v25
	v_mul_f32_e32 v21, v26, v29
	v_add_f32_e32 v20, v7, v20
	v_mul_f32_e32 v7, v27, v31
	v_mul_f32_e32 v25, v26, v31
	v_add_f32_e32 v24, v40, v24
	v_fmac_f32_e32 v21, v27, v28
	v_fma_f32 v7, v26, v30, -v7
	v_fmac_f32_e32 v25, v27, v30
	v_add_f32_e32 v21, v22, v21
	v_add_f32_e32 v22, v23, v7
	;; [unrolled: 1-line block ×3, first 2 shown]
	v_mul_f32_e32 v7, v35, v29
	v_mul_f32_e32 v24, v34, v29
	v_fma_f32 v7, v34, v28, -v7
	v_fmac_f32_e32 v24, v35, v28
	s_addc_u32 s3, s3, 0
	v_addc_co_u32_e32 v3, vcc, 0, v3, vcc
	v_add_f32_e32 v16, v16, v7
	v_add_f32_e32 v17, v17, v24
	v_mul_f32_e32 v7, v35, v31
	v_mul_f32_e32 v24, v34, v31
	v_cmp_ge_i64_e32 vcc, s[2:3], v[8:9]
	v_fma_f32 v7, v34, v30, -v7
	v_fmac_f32_e32 v24, v35, v30
	v_add_co_u32_e64 v4, s[0:1], 64, v4
	v_add_f32_e32 v18, v18, v7
	v_add_f32_e32 v19, v19, v24
	v_addc_co_u32_e64 v5, s[0:1], 0, v5, s[0:1]
	s_barrier
	s_cbranch_vccnz .LBB1608_12
.LBB1608_3:                             ; =>This Inner Loop Header: Depth=1
	v_mov_b32_e32 v7, s3
	v_add_co_u32_e32 v24, vcc, s2, v10
	v_addc_co_u32_e32 v25, vcc, 0, v7, vcc
	v_cmp_le_i64_e32 vcc, s[12:13], v[24:25]
	s_or_b64 s[0:1], s[4:5], vcc
	s_and_saveexec_b64 s[16:17], s[0:1]
	s_xor_b64 s[0:1], exec, s[16:17]
; %bb.4:                                ;   in Loop: Header=BB1608_3 Depth=1
	v_mov_b32_e32 v7, v6
	ds_write_b64 v12, v[6:7]
; %bb.5:                                ;   in Loop: Header=BB1608_3 Depth=1
	s_andn2_saveexec_b64 s[0:1], s[0:1]
	s_cbranch_execz .LBB1608_7
; %bb.6:                                ;   in Loop: Header=BB1608_3 Depth=1
	flat_load_dwordx2 v[24:25], v[2:3]
	s_waitcnt vmcnt(0) lgkmcnt(0)
	ds_write_b64 v12, v[24:25]
.LBB1608_7:                             ;   in Loop: Header=BB1608_3 Depth=1
	s_or_b64 exec, exec, s[0:1]
	v_mov_b32_e32 v7, s3
	v_add_co_u32_e32 v24, vcc, s2, v11
	v_addc_co_u32_e32 v25, vcc, 0, v7, vcc
	v_cmp_le_i64_e32 vcc, s[12:13], v[24:25]
	s_or_b64 s[0:1], vcc, s[6:7]
	s_and_saveexec_b64 s[16:17], s[0:1]
	s_xor_b64 s[0:1], exec, s[16:17]
; %bb.8:                                ;   in Loop: Header=BB1608_3 Depth=1
	v_mov_b32_e32 v7, v6
	ds_write_b64 v13, v[6:7]
; %bb.9:                                ;   in Loop: Header=BB1608_3 Depth=1
	s_andn2_saveexec_b64 s[0:1], s[0:1]
	s_cbranch_execz .LBB1608_2
; %bb.10:                               ;   in Loop: Header=BB1608_3 Depth=1
	flat_load_dwordx2 v[24:25], v[4:5]
	s_waitcnt vmcnt(0) lgkmcnt(0)
	ds_write_b64 v13, v[24:25]
	s_branch .LBB1608_2
.LBB1608_11:
	v_mov_b32_e32 v20, 0
	v_mov_b32_e32 v21, 0
	v_mov_b32_e32 v22, 0
	v_mov_b32_e32 v23, 0
	v_mov_b32_e32 v16, 0
	v_mov_b32_e32 v17, 0
	v_mov_b32_e32 v18, 0
	v_mov_b32_e32 v19, 0
.LBB1608_12:
	v_add_u32_e32 v4, s23, v1
	v_ashrrev_i32_e32 v1, 31, v4
	v_mul_lo_u32 v3, s10, v1
	v_mul_lo_u32 v5, s11, v4
	v_mad_u64_u32 v[1:2], s[0:1], s10, v4, 0
	v_add_u32_e32 v0, s22, v0
	v_cmp_le_i32_e64 s[0:1], v4, v0
	v_add3_u32 v2, v2, v3, v5
	v_lshlrev_b64 v[1:2], 3, v[1:2]
	s_waitcnt lgkmcnt(0)
	v_mov_b32_e32 v3, s9
	v_add_co_u32_e32 v5, vcc, s8, v1
	v_addc_co_u32_e32 v6, vcc, v3, v2, vcc
	v_cmp_gt_i32_e32 vcc, s24, v0
	s_and_b64 s[0:1], s[0:1], vcc
	s_and_saveexec_b64 s[2:3], s[0:1]
	s_cbranch_execz .LBB1608_14
; %bb.13:
	v_ashrrev_i32_e32 v1, 31, v0
	v_lshlrev_b64 v[1:2], 3, v[0:1]
	v_mul_f32_e32 v3, s15, v21
	v_add_co_u32_e64 v1, s[0:1], v5, v1
	v_addc_co_u32_e64 v2, s[0:1], v6, v2, s[0:1]
	flat_load_dwordx2 v[7:8], v[1:2]
	v_mul_f32_e32 v9, s14, v21
	v_fma_f32 v3, v20, s14, -v3
	v_fmac_f32_e32 v9, s15, v20
	s_waitcnt vmcnt(0) lgkmcnt(0)
	v_mul_f32_e32 v10, s21, v8
	v_mul_f32_e32 v8, s20, v8
	v_fma_f32 v10, v7, s20, -v10
	v_fmac_f32_e32 v8, s21, v7
	v_add_f32_e32 v7, v3, v10
	v_add_f32_e32 v8, v9, v8
	flat_store_dwordx2 v[1:2], v[7:8]
.LBB1608_14:
	s_or_b64 exec, exec, s[2:3]
	v_add_u32_e32 v2, 16, v0
	v_cmp_le_i32_e64 s[2:3], v4, v2
	v_cmp_gt_i32_e64 s[0:1], s24, v2
	s_and_b64 s[2:3], s[2:3], s[0:1]
	s_and_saveexec_b64 s[4:5], s[2:3]
	s_cbranch_execz .LBB1608_16
; %bb.15:
	v_ashrrev_i32_e32 v3, 31, v2
	v_lshlrev_b64 v[7:8], 3, v[2:3]
	v_mul_f32_e32 v1, s15, v23
	v_add_co_u32_e64 v5, s[2:3], v5, v7
	v_addc_co_u32_e64 v6, s[2:3], v6, v8, s[2:3]
	flat_load_dwordx2 v[7:8], v[5:6]
	v_mul_f32_e32 v3, s14, v23
	v_fma_f32 v1, v22, s14, -v1
	v_fmac_f32_e32 v3, s15, v22
	s_waitcnt vmcnt(0) lgkmcnt(0)
	v_mul_f32_e32 v9, s21, v8
	v_mul_f32_e32 v8, s20, v8
	v_fma_f32 v9, v7, s20, -v9
	v_fmac_f32_e32 v8, s21, v7
	v_add_f32_e32 v7, v1, v9
	v_add_f32_e32 v8, v3, v8
	flat_store_dwordx2 v[5:6], v[7:8]
.LBB1608_16:
	s_or_b64 exec, exec, s[4:5]
	v_add_u32_e32 v3, 16, v4
	v_ashrrev_i32_e32 v1, 31, v3
	v_mul_lo_u32 v6, s11, v3
	v_mad_u64_u32 v[4:5], s[2:3], s10, v3, 0
	v_mul_lo_u32 v1, s10, v1
	v_add3_u32 v5, v5, v1, v6
	v_lshlrev_b64 v[4:5], 3, v[4:5]
	v_mov_b32_e32 v1, s9
	v_add_co_u32_e64 v4, s[2:3], s8, v4
	v_addc_co_u32_e64 v5, s[2:3], v1, v5, s[2:3]
	v_cmp_le_i32_e64 s[2:3], v3, v0
	s_and_b64 s[4:5], s[2:3], vcc
	s_and_saveexec_b64 s[2:3], s[4:5]
	s_cbranch_execz .LBB1608_18
; %bb.17:
	v_ashrrev_i32_e32 v1, 31, v0
	v_lshlrev_b64 v[0:1], 3, v[0:1]
	v_mul_f32_e32 v8, s15, v17
	v_add_co_u32_e32 v0, vcc, v4, v0
	v_addc_co_u32_e32 v1, vcc, v5, v1, vcc
	flat_load_dwordx2 v[6:7], v[0:1]
	v_mul_f32_e32 v9, s14, v17
	v_fma_f32 v8, v16, s14, -v8
	v_fmac_f32_e32 v9, s15, v16
	s_waitcnt vmcnt(0) lgkmcnt(0)
	v_mul_f32_e32 v10, s21, v7
	v_mul_f32_e32 v7, s20, v7
	v_fma_f32 v10, v6, s20, -v10
	v_fmac_f32_e32 v7, s21, v6
	v_add_f32_e32 v6, v8, v10
	v_add_f32_e32 v7, v9, v7
	flat_store_dwordx2 v[0:1], v[6:7]
.LBB1608_18:
	s_or_b64 exec, exec, s[2:3]
	v_cmp_le_i32_e32 vcc, v3, v2
	s_and_b64 s[0:1], vcc, s[0:1]
	s_and_saveexec_b64 s[2:3], s[0:1]
	s_cbranch_execz .LBB1608_20
; %bb.19:
	v_ashrrev_i32_e32 v3, 31, v2
	v_lshlrev_b64 v[0:1], 3, v[2:3]
	v_add_co_u32_e32 v0, vcc, v4, v0
	v_addc_co_u32_e32 v1, vcc, v5, v1, vcc
	flat_load_dwordx2 v[2:3], v[0:1]
	v_mul_f32_e32 v4, s15, v19
	v_mul_f32_e32 v5, s14, v19
	v_fma_f32 v4, v18, s14, -v4
	v_fmac_f32_e32 v5, s15, v18
	s_waitcnt vmcnt(0) lgkmcnt(0)
	v_mul_f32_e32 v6, s21, v3
	v_mul_f32_e32 v3, s20, v3
	v_fma_f32 v6, v2, s20, -v6
	v_fmac_f32_e32 v3, s21, v2
	v_add_f32_e32 v2, v4, v6
	v_add_f32_e32 v3, v5, v3
	flat_store_dwordx2 v[0:1], v[2:3]
.LBB1608_20:
	s_endpgm
	.section	.rodata,"a",@progbits
	.p2align	6, 0x0
	.amdhsa_kernel _ZL34rocblas_syrkx_herkx_general_kernelIl19rocblas_complex_numIfELi16ELi32ELi8ELb0ELb0ELc84ELc76EKPKS1_KPS1_EviT_T0_PT8_S7_lSA_S7_lS8_PT9_S7_li
		.amdhsa_group_segment_fixed_size 4096
		.amdhsa_private_segment_fixed_size 0
		.amdhsa_kernarg_size 108
		.amdhsa_user_sgpr_count 6
		.amdhsa_user_sgpr_private_segment_buffer 1
		.amdhsa_user_sgpr_dispatch_ptr 0
		.amdhsa_user_sgpr_queue_ptr 0
		.amdhsa_user_sgpr_kernarg_segment_ptr 1
		.amdhsa_user_sgpr_dispatch_id 0
		.amdhsa_user_sgpr_flat_scratch_init 0
		.amdhsa_user_sgpr_private_segment_size 0
		.amdhsa_uses_dynamic_stack 0
		.amdhsa_system_sgpr_private_segment_wavefront_offset 0
		.amdhsa_system_sgpr_workgroup_id_x 1
		.amdhsa_system_sgpr_workgroup_id_y 1
		.amdhsa_system_sgpr_workgroup_id_z 1
		.amdhsa_system_sgpr_workgroup_info 0
		.amdhsa_system_vgpr_workitem_id 1
		.amdhsa_next_free_vgpr 50
		.amdhsa_next_free_sgpr 25
		.amdhsa_reserve_vcc 1
		.amdhsa_reserve_flat_scratch 0
		.amdhsa_float_round_mode_32 0
		.amdhsa_float_round_mode_16_64 0
		.amdhsa_float_denorm_mode_32 3
		.amdhsa_float_denorm_mode_16_64 3
		.amdhsa_dx10_clamp 1
		.amdhsa_ieee_mode 1
		.amdhsa_fp16_overflow 0
		.amdhsa_exception_fp_ieee_invalid_op 0
		.amdhsa_exception_fp_denorm_src 0
		.amdhsa_exception_fp_ieee_div_zero 0
		.amdhsa_exception_fp_ieee_overflow 0
		.amdhsa_exception_fp_ieee_underflow 0
		.amdhsa_exception_fp_ieee_inexact 0
		.amdhsa_exception_int_div_zero 0
	.end_amdhsa_kernel
	.section	.text._ZL34rocblas_syrkx_herkx_general_kernelIl19rocblas_complex_numIfELi16ELi32ELi8ELb0ELb0ELc84ELc76EKPKS1_KPS1_EviT_T0_PT8_S7_lSA_S7_lS8_PT9_S7_li,"axG",@progbits,_ZL34rocblas_syrkx_herkx_general_kernelIl19rocblas_complex_numIfELi16ELi32ELi8ELb0ELb0ELc84ELc76EKPKS1_KPS1_EviT_T0_PT8_S7_lSA_S7_lS8_PT9_S7_li,comdat
.Lfunc_end1608:
	.size	_ZL34rocblas_syrkx_herkx_general_kernelIl19rocblas_complex_numIfELi16ELi32ELi8ELb0ELb0ELc84ELc76EKPKS1_KPS1_EviT_T0_PT8_S7_lSA_S7_lS8_PT9_S7_li, .Lfunc_end1608-_ZL34rocblas_syrkx_herkx_general_kernelIl19rocblas_complex_numIfELi16ELi32ELi8ELb0ELb0ELc84ELc76EKPKS1_KPS1_EviT_T0_PT8_S7_lSA_S7_lS8_PT9_S7_li
                                        ; -- End function
	.set _ZL34rocblas_syrkx_herkx_general_kernelIl19rocblas_complex_numIfELi16ELi32ELi8ELb0ELb0ELc84ELc76EKPKS1_KPS1_EviT_T0_PT8_S7_lSA_S7_lS8_PT9_S7_li.num_vgpr, 50
	.set _ZL34rocblas_syrkx_herkx_general_kernelIl19rocblas_complex_numIfELi16ELi32ELi8ELb0ELb0ELc84ELc76EKPKS1_KPS1_EviT_T0_PT8_S7_lSA_S7_lS8_PT9_S7_li.num_agpr, 0
	.set _ZL34rocblas_syrkx_herkx_general_kernelIl19rocblas_complex_numIfELi16ELi32ELi8ELb0ELb0ELc84ELc76EKPKS1_KPS1_EviT_T0_PT8_S7_lSA_S7_lS8_PT9_S7_li.numbered_sgpr, 25
	.set _ZL34rocblas_syrkx_herkx_general_kernelIl19rocblas_complex_numIfELi16ELi32ELi8ELb0ELb0ELc84ELc76EKPKS1_KPS1_EviT_T0_PT8_S7_lSA_S7_lS8_PT9_S7_li.num_named_barrier, 0
	.set _ZL34rocblas_syrkx_herkx_general_kernelIl19rocblas_complex_numIfELi16ELi32ELi8ELb0ELb0ELc84ELc76EKPKS1_KPS1_EviT_T0_PT8_S7_lSA_S7_lS8_PT9_S7_li.private_seg_size, 0
	.set _ZL34rocblas_syrkx_herkx_general_kernelIl19rocblas_complex_numIfELi16ELi32ELi8ELb0ELb0ELc84ELc76EKPKS1_KPS1_EviT_T0_PT8_S7_lSA_S7_lS8_PT9_S7_li.uses_vcc, 1
	.set _ZL34rocblas_syrkx_herkx_general_kernelIl19rocblas_complex_numIfELi16ELi32ELi8ELb0ELb0ELc84ELc76EKPKS1_KPS1_EviT_T0_PT8_S7_lSA_S7_lS8_PT9_S7_li.uses_flat_scratch, 0
	.set _ZL34rocblas_syrkx_herkx_general_kernelIl19rocblas_complex_numIfELi16ELi32ELi8ELb0ELb0ELc84ELc76EKPKS1_KPS1_EviT_T0_PT8_S7_lSA_S7_lS8_PT9_S7_li.has_dyn_sized_stack, 0
	.set _ZL34rocblas_syrkx_herkx_general_kernelIl19rocblas_complex_numIfELi16ELi32ELi8ELb0ELb0ELc84ELc76EKPKS1_KPS1_EviT_T0_PT8_S7_lSA_S7_lS8_PT9_S7_li.has_recursion, 0
	.set _ZL34rocblas_syrkx_herkx_general_kernelIl19rocblas_complex_numIfELi16ELi32ELi8ELb0ELb0ELc84ELc76EKPKS1_KPS1_EviT_T0_PT8_S7_lSA_S7_lS8_PT9_S7_li.has_indirect_call, 0
	.section	.AMDGPU.csdata,"",@progbits
; Kernel info:
; codeLenInByte = 2364
; TotalNumSgprs: 29
; NumVgprs: 50
; ScratchSize: 0
; MemoryBound: 1
; FloatMode: 240
; IeeeMode: 1
; LDSByteSize: 4096 bytes/workgroup (compile time only)
; SGPRBlocks: 3
; VGPRBlocks: 12
; NumSGPRsForWavesPerEU: 29
; NumVGPRsForWavesPerEU: 50
; Occupancy: 4
; WaveLimiterHint : 1
; COMPUTE_PGM_RSRC2:SCRATCH_EN: 0
; COMPUTE_PGM_RSRC2:USER_SGPR: 6
; COMPUTE_PGM_RSRC2:TRAP_HANDLER: 0
; COMPUTE_PGM_RSRC2:TGID_X_EN: 1
; COMPUTE_PGM_RSRC2:TGID_Y_EN: 1
; COMPUTE_PGM_RSRC2:TGID_Z_EN: 1
; COMPUTE_PGM_RSRC2:TIDIG_COMP_CNT: 1
	.section	.text._ZL34rocblas_syrkx_herkx_general_kernelIl19rocblas_complex_numIfELi16ELi32ELi8ELb0ELb0ELc67ELc76EKPKS1_KPS1_EviT_T0_PT8_S7_lSA_S7_lS8_PT9_S7_li,"axG",@progbits,_ZL34rocblas_syrkx_herkx_general_kernelIl19rocblas_complex_numIfELi16ELi32ELi8ELb0ELb0ELc67ELc76EKPKS1_KPS1_EviT_T0_PT8_S7_lSA_S7_lS8_PT9_S7_li,comdat
	.globl	_ZL34rocblas_syrkx_herkx_general_kernelIl19rocblas_complex_numIfELi16ELi32ELi8ELb0ELb0ELc67ELc76EKPKS1_KPS1_EviT_T0_PT8_S7_lSA_S7_lS8_PT9_S7_li ; -- Begin function _ZL34rocblas_syrkx_herkx_general_kernelIl19rocblas_complex_numIfELi16ELi32ELi8ELb0ELb0ELc67ELc76EKPKS1_KPS1_EviT_T0_PT8_S7_lSA_S7_lS8_PT9_S7_li
	.p2align	8
	.type	_ZL34rocblas_syrkx_herkx_general_kernelIl19rocblas_complex_numIfELi16ELi32ELi8ELb0ELb0ELc67ELc76EKPKS1_KPS1_EviT_T0_PT8_S7_lSA_S7_lS8_PT9_S7_li,@function
_ZL34rocblas_syrkx_herkx_general_kernelIl19rocblas_complex_numIfELi16ELi32ELi8ELb0ELb0ELc67ELc76EKPKS1_KPS1_EviT_T0_PT8_S7_lSA_S7_lS8_PT9_S7_li: ; @_ZL34rocblas_syrkx_herkx_general_kernelIl19rocblas_complex_numIfELi16ELi32ELi8ELb0ELb0ELc67ELc76EKPKS1_KPS1_EviT_T0_PT8_S7_lSA_S7_lS8_PT9_S7_li
; %bb.0:
	s_load_dwordx2 s[10:11], s[4:5], 0x58
	s_load_dwordx4 s[20:23], s[4:5], 0x48
	s_load_dword s24, s[4:5], 0x0
	s_load_dwordx8 s[12:19], s[4:5], 0x8
	s_mov_b32 s9, 0
	s_lshl_b64 s[0:1], s[8:9], 3
	s_waitcnt lgkmcnt(0)
	s_add_u32 s2, s22, s0
	s_addc_u32 s3, s23, s1
	s_load_dwordx2 s[8:9], s[2:3], 0x0
	v_cmp_lt_i64_e64 s[2:3], s[12:13], 1
	s_lshl_b32 s22, s6, 5
	s_lshl_b32 s23, s7, 5
	s_and_b64 vcc, exec, s[2:3]
	s_cbranch_vccnz .LBB1609_9
; %bb.1:
	s_load_dwordx4 s[4:7], s[4:5], 0x30
	v_lshl_add_u32 v2, v1, 4, v0
	v_and_b32_e32 v5, 31, v2
	v_or_b32_e32 v6, s22, v5
	v_and_b32_e32 v13, 7, v0
	s_waitcnt lgkmcnt(0)
	s_add_u32 s2, s4, s0
	s_addc_u32 s3, s5, s1
	s_add_u32 s0, s16, s0
	s_addc_u32 s1, s17, s1
	v_lshrrev_b32_e32 v3, 3, v2
	v_lshrrev_b32_e32 v12, 5, v2
	s_load_dwordx2 s[16:17], s[0:1], 0x0
	v_cmp_gt_i32_e64 s[0:1], s24, v6
	v_lshlrev_b32_e32 v2, 3, v5
	v_lshlrev_b32_e32 v6, 3, v13
	v_lshl_or_b32 v14, v12, 8, v2
	v_lshl_or_b32 v2, v3, 6, v6
	v_add_u32_e32 v15, 0x800, v2
	v_add_u32_e32 v2, s22, v5
	;; [unrolled: 1-line block ×3, first 2 shown]
	v_ashrrev_i32_e32 v3, 31, v2
	s_load_dwordx2 s[4:5], s[2:3], 0x0
	v_mul_lo_u32 v5, s18, v3
	v_mul_lo_u32 v8, s19, v2
	v_mad_u64_u32 v[2:3], s[2:3], s18, v2, 0
	v_ashrrev_i32_e32 v7, 31, v4
	v_mov_b32_e32 v9, 0x800
	v_add3_u32 v3, v3, v5, v8
	v_lshlrev_b64 v[2:3], 3, v[2:3]
	v_lshlrev_b32_e32 v5, 3, v12
	v_add_co_u32_e64 v2, s[2:3], v2, v5
	v_cmp_gt_i32_e32 vcc, s24, v4
	v_lshl_add_u32 v17, v1, 6, v9
	v_addc_co_u32_e64 v3, s[2:3], 0, v3, s[2:3]
	v_mul_lo_u32 v7, s6, v7
	v_mul_lo_u32 v9, s7, v4
	v_mad_u64_u32 v[4:5], s[2:3], s6, v4, 0
	s_waitcnt lgkmcnt(0)
	v_mov_b32_e32 v8, s17
	v_add_co_u32_e64 v2, s[2:3], s16, v2
	v_add3_u32 v5, v5, v7, v9
	v_lshlrev_b64 v[4:5], 3, v[4:5]
	v_addc_co_u32_e64 v3, s[2:3], v8, v3, s[2:3]
	v_add_co_u32_e64 v4, s[2:3], v4, v6
	v_addc_co_u32_e64 v5, s[2:3], 0, v5, s[2:3]
	v_mov_b32_e32 v6, s5
	v_add_co_u32_e64 v4, s[2:3], s4, v4
	v_mov_b32_e32 v8, s12
	v_lshlrev_b32_e32 v16, 3, v0
	v_addc_co_u32_e64 v5, s[2:3], v6, v5, s[2:3]
	s_mov_b64 s[4:5], 0
	s_xor_b64 s[6:7], vcc, -1
	v_mov_b32_e32 v21, 0
	v_mov_b32_e32 v20, 0
	;; [unrolled: 1-line block ×10, first 2 shown]
	s_branch .LBB1609_3
.LBB1609_2:                             ;   in Loop: Header=BB1609_3 Depth=1
	s_or_b64 exec, exec, s[2:3]
	s_waitcnt lgkmcnt(0)
	s_barrier
	ds_read2_b64 v[26:29], v16 offset1:16
	ds_read_b128 v[30:33], v17
	ds_read_b128 v[34:37], v17 offset:16
	ds_read_b128 v[38:41], v17 offset:1024
	ds_read2_b64 v[42:45], v16 offset0:32 offset1:48
	s_add_u32 s4, s4, 8
	s_waitcnt lgkmcnt(3)
	v_mul_f32_e32 v7, v31, v27
	v_fma_f32 v7, v30, v26, -v7
	v_mul_f32_e32 v10, v30, v27
	v_add_f32_e32 v7, v22, v7
	v_mul_f32_e32 v11, v31, v29
	v_mul_f32_e32 v22, v30, v29
	v_fmac_f32_e32 v10, v31, v26
	v_fma_f32 v11, v30, v28, -v11
	v_fmac_f32_e32 v22, v31, v28
	v_add_f32_e32 v10, v23, v10
	v_add_f32_e32 v11, v24, v11
	;; [unrolled: 1-line block ×3, first 2 shown]
	ds_read_b128 v[22:25], v17 offset:1040
	s_waitcnt lgkmcnt(2)
	v_mul_f32_e32 v31, v39, v27
	v_fma_f32 v31, v38, v26, -v31
	v_mul_f32_e32 v27, v38, v27
	v_add_f32_e32 v46, v18, v31
	v_mul_f32_e32 v18, v39, v29
	v_fmac_f32_e32 v27, v39, v26
	v_fma_f32 v18, v38, v28, -v18
	v_add_f32_e32 v47, v19, v27
	v_mul_f32_e32 v19, v38, v29
	v_add_f32_e32 v38, v20, v18
	s_waitcnt lgkmcnt(1)
	v_mul_f32_e32 v18, v33, v43
	v_fma_f32 v31, v32, v42, -v18
	v_mul_f32_e32 v18, v33, v45
	v_mul_f32_e32 v48, v32, v43
	v_fma_f32 v49, v32, v44, -v18
	v_mul_f32_e32 v32, v32, v45
	v_fmac_f32_e32 v48, v33, v42
	v_fmac_f32_e32 v32, v33, v44
	v_add_f32_e32 v10, v10, v48
	v_add_f32_e32 v48, v30, v32
	v_mul_f32_e32 v30, v41, v43
	v_fmac_f32_e32 v19, v39, v28
	v_add_f32_e32 v11, v11, v49
	v_fma_f32 v49, v40, v42, -v30
	v_mul_f32_e32 v43, v40, v43
	v_mul_f32_e32 v30, v41, v45
	v_add_f32_e32 v39, v21, v19
	ds_read_b128 v[18:21], v17 offset:32
	ds_read_b128 v[26:29], v17 offset:48
	v_add_f32_e32 v7, v7, v31
	v_fmac_f32_e32 v43, v41, v42
	v_fma_f32 v42, v40, v44, -v30
	ds_read2_b64 v[30:33], v16 offset0:64 offset1:80
	v_add_f32_e32 v42, v38, v42
	v_mul_f32_e32 v40, v40, v45
	v_fmac_f32_e32 v40, v41, v44
	v_add_f32_e32 v44, v39, v40
	s_waitcnt lgkmcnt(0)
	v_mul_f32_e32 v38, v35, v31
	v_fma_f32 v38, v34, v30, -v38
	v_add_f32_e32 v7, v7, v38
	v_mul_f32_e32 v38, v35, v33
	v_mul_f32_e32 v39, v34, v31
	v_fma_f32 v38, v34, v32, -v38
	v_mul_f32_e32 v34, v34, v33
	v_fmac_f32_e32 v39, v35, v30
	v_fmac_f32_e32 v34, v35, v32
	v_mul_f32_e32 v35, v23, v31
	v_add_f32_e32 v41, v46, v49
	v_fma_f32 v35, v22, v30, -v35
	v_mul_f32_e32 v31, v22, v31
	v_add_f32_e32 v10, v10, v39
	v_add_f32_e32 v11, v11, v38
	v_fmac_f32_e32 v31, v23, v30
	v_add_f32_e32 v30, v41, v35
	ds_read2_b64 v[38:41], v16 offset0:96 offset1:112
	v_mul_f32_e32 v35, v23, v33
	v_fma_f32 v35, v22, v32, -v35
	v_mul_f32_e32 v22, v22, v33
	v_fmac_f32_e32 v22, v23, v32
	s_waitcnt lgkmcnt(0)
	v_mul_f32_e32 v32, v37, v39
	v_fma_f32 v32, v36, v38, -v32
	v_mul_f32_e32 v33, v36, v39
	v_fmac_f32_e32 v33, v37, v38
	v_add_f32_e32 v7, v7, v32
	v_mul_f32_e32 v32, v37, v41
	v_add_f32_e32 v10, v10, v33
	v_fma_f32 v32, v36, v40, -v32
	v_mul_f32_e32 v33, v36, v41
	v_add_f32_e32 v34, v48, v34
	v_fmac_f32_e32 v33, v37, v40
	v_add_f32_e32 v11, v11, v32
	v_mul_f32_e32 v32, v25, v39
	v_add_f32_e32 v43, v47, v43
	v_add_f32_e32 v34, v34, v33
	v_fma_f32 v32, v24, v38, -v32
	v_mul_f32_e32 v33, v24, v39
	v_add_f32_e32 v31, v43, v31
	v_fmac_f32_e32 v33, v25, v38
	v_add_f32_e32 v38, v30, v32
	v_mul_f32_e32 v30, v25, v41
	v_add_f32_e32 v23, v42, v35
	v_add_f32_e32 v39, v31, v33
	v_fma_f32 v35, v24, v40, -v30
	ds_read2_b64 v[30:33], v16 offset0:128 offset1:144
	v_mul_f32_e32 v24, v24, v41
	v_add_f32_e32 v22, v44, v22
	v_fmac_f32_e32 v24, v25, v40
	v_add_f32_e32 v43, v22, v24
	s_waitcnt lgkmcnt(0)
	v_mul_f32_e32 v22, v19, v31
	v_add_f32_e32 v42, v23, v35
	v_fma_f32 v22, v18, v30, -v22
	v_mul_f32_e32 v23, v18, v31
	v_fmac_f32_e32 v23, v19, v30
	v_add_f32_e32 v7, v7, v22
	v_mul_f32_e32 v22, v19, v33
	v_add_f32_e32 v10, v10, v23
	v_fma_f32 v35, v18, v32, -v22
	ds_read_b128 v[22:25], v17 offset:1056
	v_mul_f32_e32 v18, v18, v33
	v_fmac_f32_e32 v18, v19, v32
	v_add_f32_e32 v11, v11, v35
	v_add_f32_e32 v18, v34, v18
	ds_read_b128 v[34:37], v17 offset:1072
	s_waitcnt lgkmcnt(1)
	v_mul_f32_e32 v19, v23, v31
	v_mul_f32_e32 v31, v22, v31
	v_fma_f32 v19, v22, v30, -v19
	v_fmac_f32_e32 v31, v23, v30
	v_add_f32_e32 v19, v38, v19
	v_add_f32_e32 v30, v39, v31
	ds_read2_b64 v[38:41], v16 offset0:160 offset1:176
	v_mul_f32_e32 v31, v23, v33
	v_fma_f32 v31, v22, v32, -v31
	v_mul_f32_e32 v22, v22, v33
	v_fmac_f32_e32 v22, v23, v32
	v_add_f32_e32 v23, v42, v31
	s_waitcnt lgkmcnt(0)
	v_mul_f32_e32 v31, v21, v39
	v_fma_f32 v31, v20, v38, -v31
	v_add_f32_e32 v7, v7, v31
	v_mul_f32_e32 v31, v21, v41
	v_mul_f32_e32 v32, v20, v39
	v_fma_f32 v31, v20, v40, -v31
	v_mul_f32_e32 v20, v20, v41
	v_fmac_f32_e32 v20, v21, v40
	v_add_f32_e32 v11, v11, v31
	v_add_f32_e32 v31, v18, v20
	v_mul_f32_e32 v18, v25, v39
	v_fmac_f32_e32 v32, v21, v38
	v_fma_f32 v18, v24, v38, -v18
	v_mul_f32_e32 v20, v24, v39
	v_add_f32_e32 v10, v10, v32
	v_fmac_f32_e32 v20, v25, v38
	v_add_f32_e32 v32, v19, v18
	v_mul_f32_e32 v18, v25, v41
	v_add_f32_e32 v30, v30, v20
	v_fma_f32 v33, v24, v40, -v18
	ds_read2_b64 v[18:21], v16 offset0:192 offset1:208
	v_mul_f32_e32 v24, v24, v41
	v_add_f32_e32 v22, v43, v22
	v_fmac_f32_e32 v24, v25, v40
	v_add_f32_e32 v22, v22, v24
	s_waitcnt lgkmcnt(0)
	v_mul_f32_e32 v24, v27, v19
	v_fma_f32 v24, v26, v18, -v24
	v_mul_f32_e32 v25, v26, v19
	v_add_f32_e32 v7, v7, v24
	v_mul_f32_e32 v24, v27, v21
	v_fmac_f32_e32 v25, v27, v18
	v_fma_f32 v24, v26, v20, -v24
	v_add_f32_e32 v10, v10, v25
	v_mul_f32_e32 v25, v26, v21
	v_add_f32_e32 v11, v11, v24
	v_mul_f32_e32 v24, v35, v19
	v_mul_f32_e32 v19, v34, v19
	v_fmac_f32_e32 v25, v27, v20
	v_fma_f32 v24, v34, v18, -v24
	v_fmac_f32_e32 v19, v35, v18
	v_add_f32_e32 v23, v23, v33
	v_add_f32_e32 v25, v31, v25
	v_add_f32_e32 v18, v32, v24
	v_add_f32_e32 v19, v30, v19
	ds_read2_b64 v[30:33], v16 offset0:224 offset1:240
	v_mul_f32_e32 v24, v35, v21
	v_mul_f32_e32 v21, v34, v21
	v_fma_f32 v24, v34, v20, -v24
	v_fmac_f32_e32 v21, v35, v20
	v_add_f32_e32 v20, v23, v24
	v_add_f32_e32 v21, v22, v21
	s_waitcnt lgkmcnt(0)
	v_mul_f32_e32 v22, v29, v31
	v_mul_f32_e32 v23, v28, v31
	v_fma_f32 v22, v28, v30, -v22
	v_fmac_f32_e32 v23, v29, v30
	v_add_f32_e32 v22, v7, v22
	v_add_f32_e32 v23, v10, v23
	v_mul_f32_e32 v7, v29, v33
	v_mul_f32_e32 v10, v28, v33
	v_fma_f32 v7, v28, v32, -v7
	v_fmac_f32_e32 v10, v29, v32
	v_add_f32_e32 v24, v11, v7
	v_add_f32_e32 v25, v25, v10
	v_mul_f32_e32 v7, v37, v31
	v_mul_f32_e32 v10, v36, v31
	v_add_co_u32_e32 v2, vcc, 64, v2
	v_fma_f32 v7, v36, v30, -v7
	v_fmac_f32_e32 v10, v37, v30
	s_addc_u32 s5, s5, 0
	v_addc_co_u32_e32 v3, vcc, 0, v3, vcc
	v_add_f32_e32 v18, v18, v7
	v_add_f32_e32 v19, v19, v10
	v_mul_f32_e32 v7, v37, v33
	v_mul_f32_e32 v10, v36, v33
	v_cmp_ge_i64_e32 vcc, s[4:5], v[8:9]
	v_fma_f32 v7, v36, v32, -v7
	v_fmac_f32_e32 v10, v37, v32
	v_add_co_u32_e64 v4, s[2:3], 64, v4
	v_add_f32_e32 v20, v20, v7
	v_add_f32_e32 v21, v21, v10
	v_addc_co_u32_e64 v5, s[2:3], 0, v5, s[2:3]
	s_barrier
	s_cbranch_vccnz .LBB1609_10
.LBB1609_3:                             ; =>This Inner Loop Header: Depth=1
	v_mov_b32_e32 v7, s5
	v_add_co_u32_e32 v10, vcc, s4, v12
	v_addc_co_u32_e32 v11, vcc, 0, v7, vcc
	v_cmp_gt_i64_e32 vcc, s[12:13], v[10:11]
	v_mov_b32_e32 v10, 0
	s_and_b64 s[16:17], s[0:1], vcc
	v_mov_b32_e32 v11, 0
	s_and_saveexec_b64 s[2:3], s[16:17]
	s_cbranch_execz .LBB1609_5
; %bb.4:                                ;   in Loop: Header=BB1609_3 Depth=1
	flat_load_dwordx2 v[10:11], v[2:3]
.LBB1609_5:                             ;   in Loop: Header=BB1609_3 Depth=1
	s_or_b64 exec, exec, s[2:3]
	v_mov_b32_e32 v7, s5
	v_add_co_u32_e32 v26, vcc, s4, v13
	v_addc_co_u32_e32 v27, vcc, 0, v7, vcc
	v_cmp_le_i64_e32 vcc, s[12:13], v[26:27]
	s_waitcnt vmcnt(0) lgkmcnt(0)
	ds_write_b64 v14, v[10:11]
	s_or_b64 s[2:3], vcc, s[6:7]
	s_and_saveexec_b64 s[16:17], s[2:3]
	s_xor_b64 s[2:3], exec, s[16:17]
; %bb.6:                                ;   in Loop: Header=BB1609_3 Depth=1
	v_mov_b32_e32 v7, v6
	ds_write_b64 v15, v[6:7]
; %bb.7:                                ;   in Loop: Header=BB1609_3 Depth=1
	s_andn2_saveexec_b64 s[2:3], s[2:3]
	s_cbranch_execz .LBB1609_2
; %bb.8:                                ;   in Loop: Header=BB1609_3 Depth=1
	flat_load_dwordx2 v[10:11], v[4:5]
	s_waitcnt vmcnt(0) lgkmcnt(0)
	ds_write_b64 v15, v[10:11]
	s_branch .LBB1609_2
.LBB1609_9:
	v_mov_b32_e32 v22, 0
	v_mov_b32_e32 v23, 0
	;; [unrolled: 1-line block ×8, first 2 shown]
.LBB1609_10:
	v_add_u32_e32 v4, s23, v1
	v_ashrrev_i32_e32 v1, 31, v4
	v_mul_lo_u32 v3, s10, v1
	v_mul_lo_u32 v5, s11, v4
	v_mad_u64_u32 v[1:2], s[0:1], s10, v4, 0
	v_add_u32_e32 v0, s22, v0
	v_cmp_le_i32_e64 s[0:1], v4, v0
	v_add3_u32 v2, v2, v3, v5
	v_lshlrev_b64 v[1:2], 3, v[1:2]
	s_waitcnt lgkmcnt(0)
	v_mov_b32_e32 v3, s9
	v_add_co_u32_e32 v5, vcc, s8, v1
	v_addc_co_u32_e32 v6, vcc, v3, v2, vcc
	v_cmp_gt_i32_e32 vcc, s24, v0
	s_and_b64 s[0:1], s[0:1], vcc
	s_and_saveexec_b64 s[2:3], s[0:1]
	s_cbranch_execz .LBB1609_12
; %bb.11:
	v_ashrrev_i32_e32 v1, 31, v0
	v_lshlrev_b64 v[1:2], 3, v[0:1]
	v_mul_f32_e32 v3, s15, v23
	v_add_co_u32_e64 v1, s[0:1], v5, v1
	v_addc_co_u32_e64 v2, s[0:1], v6, v2, s[0:1]
	flat_load_dwordx2 v[7:8], v[1:2]
	v_mul_f32_e32 v9, s14, v23
	v_fma_f32 v3, v22, s14, -v3
	v_fmac_f32_e32 v9, s15, v22
	s_waitcnt vmcnt(0) lgkmcnt(0)
	v_mul_f32_e32 v10, s21, v8
	v_mul_f32_e32 v8, s20, v8
	v_fma_f32 v10, v7, s20, -v10
	v_fmac_f32_e32 v8, s21, v7
	v_add_f32_e32 v7, v3, v10
	v_add_f32_e32 v8, v9, v8
	flat_store_dwordx2 v[1:2], v[7:8]
.LBB1609_12:
	s_or_b64 exec, exec, s[2:3]
	v_add_u32_e32 v2, 16, v0
	v_cmp_le_i32_e64 s[2:3], v4, v2
	v_cmp_gt_i32_e64 s[0:1], s24, v2
	s_and_b64 s[2:3], s[2:3], s[0:1]
	s_and_saveexec_b64 s[4:5], s[2:3]
	s_cbranch_execz .LBB1609_14
; %bb.13:
	v_ashrrev_i32_e32 v3, 31, v2
	v_lshlrev_b64 v[7:8], 3, v[2:3]
	v_mul_f32_e32 v1, s15, v25
	v_add_co_u32_e64 v5, s[2:3], v5, v7
	v_addc_co_u32_e64 v6, s[2:3], v6, v8, s[2:3]
	flat_load_dwordx2 v[7:8], v[5:6]
	v_mul_f32_e32 v3, s14, v25
	v_fma_f32 v1, v24, s14, -v1
	v_fmac_f32_e32 v3, s15, v24
	s_waitcnt vmcnt(0) lgkmcnt(0)
	v_mul_f32_e32 v9, s21, v8
	v_mul_f32_e32 v8, s20, v8
	v_fma_f32 v9, v7, s20, -v9
	v_fmac_f32_e32 v8, s21, v7
	v_add_f32_e32 v7, v1, v9
	v_add_f32_e32 v8, v3, v8
	flat_store_dwordx2 v[5:6], v[7:8]
.LBB1609_14:
	s_or_b64 exec, exec, s[4:5]
	v_add_u32_e32 v3, 16, v4
	v_ashrrev_i32_e32 v1, 31, v3
	v_mul_lo_u32 v6, s11, v3
	v_mad_u64_u32 v[4:5], s[2:3], s10, v3, 0
	v_mul_lo_u32 v1, s10, v1
	v_add3_u32 v5, v5, v1, v6
	v_lshlrev_b64 v[4:5], 3, v[4:5]
	v_mov_b32_e32 v1, s9
	v_add_co_u32_e64 v4, s[2:3], s8, v4
	v_addc_co_u32_e64 v5, s[2:3], v1, v5, s[2:3]
	v_cmp_le_i32_e64 s[2:3], v3, v0
	s_and_b64 s[4:5], s[2:3], vcc
	s_and_saveexec_b64 s[2:3], s[4:5]
	s_cbranch_execz .LBB1609_16
; %bb.15:
	v_ashrrev_i32_e32 v1, 31, v0
	v_lshlrev_b64 v[0:1], 3, v[0:1]
	v_mul_f32_e32 v8, s15, v19
	v_add_co_u32_e32 v0, vcc, v4, v0
	v_addc_co_u32_e32 v1, vcc, v5, v1, vcc
	flat_load_dwordx2 v[6:7], v[0:1]
	v_mul_f32_e32 v9, s14, v19
	v_fma_f32 v8, v18, s14, -v8
	v_fmac_f32_e32 v9, s15, v18
	s_waitcnt vmcnt(0) lgkmcnt(0)
	v_mul_f32_e32 v10, s21, v7
	v_mul_f32_e32 v7, s20, v7
	v_fma_f32 v10, v6, s20, -v10
	v_fmac_f32_e32 v7, s21, v6
	v_add_f32_e32 v6, v8, v10
	v_add_f32_e32 v7, v9, v7
	flat_store_dwordx2 v[0:1], v[6:7]
.LBB1609_16:
	s_or_b64 exec, exec, s[2:3]
	v_cmp_le_i32_e32 vcc, v3, v2
	s_and_b64 s[0:1], vcc, s[0:1]
	s_and_saveexec_b64 s[2:3], s[0:1]
	s_cbranch_execz .LBB1609_18
; %bb.17:
	v_ashrrev_i32_e32 v3, 31, v2
	v_lshlrev_b64 v[0:1], 3, v[2:3]
	v_add_co_u32_e32 v0, vcc, v4, v0
	v_addc_co_u32_e32 v1, vcc, v5, v1, vcc
	flat_load_dwordx2 v[2:3], v[0:1]
	v_mul_f32_e32 v4, s15, v21
	v_mul_f32_e32 v5, s14, v21
	v_fma_f32 v4, v20, s14, -v4
	v_fmac_f32_e32 v5, s15, v20
	s_waitcnt vmcnt(0) lgkmcnt(0)
	v_mul_f32_e32 v6, s21, v3
	v_mul_f32_e32 v3, s20, v3
	v_fma_f32 v6, v2, s20, -v6
	v_fmac_f32_e32 v3, s21, v2
	v_add_f32_e32 v2, v4, v6
	v_add_f32_e32 v3, v5, v3
	flat_store_dwordx2 v[0:1], v[2:3]
.LBB1609_18:
	s_endpgm
	.section	.rodata,"a",@progbits
	.p2align	6, 0x0
	.amdhsa_kernel _ZL34rocblas_syrkx_herkx_general_kernelIl19rocblas_complex_numIfELi16ELi32ELi8ELb0ELb0ELc67ELc76EKPKS1_KPS1_EviT_T0_PT8_S7_lSA_S7_lS8_PT9_S7_li
		.amdhsa_group_segment_fixed_size 4096
		.amdhsa_private_segment_fixed_size 0
		.amdhsa_kernarg_size 108
		.amdhsa_user_sgpr_count 6
		.amdhsa_user_sgpr_private_segment_buffer 1
		.amdhsa_user_sgpr_dispatch_ptr 0
		.amdhsa_user_sgpr_queue_ptr 0
		.amdhsa_user_sgpr_kernarg_segment_ptr 1
		.amdhsa_user_sgpr_dispatch_id 0
		.amdhsa_user_sgpr_flat_scratch_init 0
		.amdhsa_user_sgpr_private_segment_size 0
		.amdhsa_uses_dynamic_stack 0
		.amdhsa_system_sgpr_private_segment_wavefront_offset 0
		.amdhsa_system_sgpr_workgroup_id_x 1
		.amdhsa_system_sgpr_workgroup_id_y 1
		.amdhsa_system_sgpr_workgroup_id_z 1
		.amdhsa_system_sgpr_workgroup_info 0
		.amdhsa_system_vgpr_workitem_id 1
		.amdhsa_next_free_vgpr 50
		.amdhsa_next_free_sgpr 25
		.amdhsa_reserve_vcc 1
		.amdhsa_reserve_flat_scratch 0
		.amdhsa_float_round_mode_32 0
		.amdhsa_float_round_mode_16_64 0
		.amdhsa_float_denorm_mode_32 3
		.amdhsa_float_denorm_mode_16_64 3
		.amdhsa_dx10_clamp 1
		.amdhsa_ieee_mode 1
		.amdhsa_fp16_overflow 0
		.amdhsa_exception_fp_ieee_invalid_op 0
		.amdhsa_exception_fp_denorm_src 0
		.amdhsa_exception_fp_ieee_div_zero 0
		.amdhsa_exception_fp_ieee_overflow 0
		.amdhsa_exception_fp_ieee_underflow 0
		.amdhsa_exception_fp_ieee_inexact 0
		.amdhsa_exception_int_div_zero 0
	.end_amdhsa_kernel
	.section	.text._ZL34rocblas_syrkx_herkx_general_kernelIl19rocblas_complex_numIfELi16ELi32ELi8ELb0ELb0ELc67ELc76EKPKS1_KPS1_EviT_T0_PT8_S7_lSA_S7_lS8_PT9_S7_li,"axG",@progbits,_ZL34rocblas_syrkx_herkx_general_kernelIl19rocblas_complex_numIfELi16ELi32ELi8ELb0ELb0ELc67ELc76EKPKS1_KPS1_EviT_T0_PT8_S7_lSA_S7_lS8_PT9_S7_li,comdat
.Lfunc_end1609:
	.size	_ZL34rocblas_syrkx_herkx_general_kernelIl19rocblas_complex_numIfELi16ELi32ELi8ELb0ELb0ELc67ELc76EKPKS1_KPS1_EviT_T0_PT8_S7_lSA_S7_lS8_PT9_S7_li, .Lfunc_end1609-_ZL34rocblas_syrkx_herkx_general_kernelIl19rocblas_complex_numIfELi16ELi32ELi8ELb0ELb0ELc67ELc76EKPKS1_KPS1_EviT_T0_PT8_S7_lSA_S7_lS8_PT9_S7_li
                                        ; -- End function
	.set _ZL34rocblas_syrkx_herkx_general_kernelIl19rocblas_complex_numIfELi16ELi32ELi8ELb0ELb0ELc67ELc76EKPKS1_KPS1_EviT_T0_PT8_S7_lSA_S7_lS8_PT9_S7_li.num_vgpr, 50
	.set _ZL34rocblas_syrkx_herkx_general_kernelIl19rocblas_complex_numIfELi16ELi32ELi8ELb0ELb0ELc67ELc76EKPKS1_KPS1_EviT_T0_PT8_S7_lSA_S7_lS8_PT9_S7_li.num_agpr, 0
	.set _ZL34rocblas_syrkx_herkx_general_kernelIl19rocblas_complex_numIfELi16ELi32ELi8ELb0ELb0ELc67ELc76EKPKS1_KPS1_EviT_T0_PT8_S7_lSA_S7_lS8_PT9_S7_li.numbered_sgpr, 25
	.set _ZL34rocblas_syrkx_herkx_general_kernelIl19rocblas_complex_numIfELi16ELi32ELi8ELb0ELb0ELc67ELc76EKPKS1_KPS1_EviT_T0_PT8_S7_lSA_S7_lS8_PT9_S7_li.num_named_barrier, 0
	.set _ZL34rocblas_syrkx_herkx_general_kernelIl19rocblas_complex_numIfELi16ELi32ELi8ELb0ELb0ELc67ELc76EKPKS1_KPS1_EviT_T0_PT8_S7_lSA_S7_lS8_PT9_S7_li.private_seg_size, 0
	.set _ZL34rocblas_syrkx_herkx_general_kernelIl19rocblas_complex_numIfELi16ELi32ELi8ELb0ELb0ELc67ELc76EKPKS1_KPS1_EviT_T0_PT8_S7_lSA_S7_lS8_PT9_S7_li.uses_vcc, 1
	.set _ZL34rocblas_syrkx_herkx_general_kernelIl19rocblas_complex_numIfELi16ELi32ELi8ELb0ELb0ELc67ELc76EKPKS1_KPS1_EviT_T0_PT8_S7_lSA_S7_lS8_PT9_S7_li.uses_flat_scratch, 0
	.set _ZL34rocblas_syrkx_herkx_general_kernelIl19rocblas_complex_numIfELi16ELi32ELi8ELb0ELb0ELc67ELc76EKPKS1_KPS1_EviT_T0_PT8_S7_lSA_S7_lS8_PT9_S7_li.has_dyn_sized_stack, 0
	.set _ZL34rocblas_syrkx_herkx_general_kernelIl19rocblas_complex_numIfELi16ELi32ELi8ELb0ELb0ELc67ELc76EKPKS1_KPS1_EviT_T0_PT8_S7_lSA_S7_lS8_PT9_S7_li.has_recursion, 0
	.set _ZL34rocblas_syrkx_herkx_general_kernelIl19rocblas_complex_numIfELi16ELi32ELi8ELb0ELb0ELc67ELc76EKPKS1_KPS1_EviT_T0_PT8_S7_lSA_S7_lS8_PT9_S7_li.has_indirect_call, 0
	.section	.AMDGPU.csdata,"",@progbits
; Kernel info:
; codeLenInByte = 2348
; TotalNumSgprs: 29
; NumVgprs: 50
; ScratchSize: 0
; MemoryBound: 1
; FloatMode: 240
; IeeeMode: 1
; LDSByteSize: 4096 bytes/workgroup (compile time only)
; SGPRBlocks: 3
; VGPRBlocks: 12
; NumSGPRsForWavesPerEU: 29
; NumVGPRsForWavesPerEU: 50
; Occupancy: 4
; WaveLimiterHint : 1
; COMPUTE_PGM_RSRC2:SCRATCH_EN: 0
; COMPUTE_PGM_RSRC2:USER_SGPR: 6
; COMPUTE_PGM_RSRC2:TRAP_HANDLER: 0
; COMPUTE_PGM_RSRC2:TGID_X_EN: 1
; COMPUTE_PGM_RSRC2:TGID_Y_EN: 1
; COMPUTE_PGM_RSRC2:TGID_Z_EN: 1
; COMPUTE_PGM_RSRC2:TIDIG_COMP_CNT: 1
	.section	.text._ZL34rocblas_syrkx_herkx_general_kernelIl19rocblas_complex_numIfELi16ELi32ELi8ELb0ELb0ELc78ELc76EKPKS1_KPS1_EviT_T0_PT8_S7_lSA_S7_lS8_PT9_S7_li,"axG",@progbits,_ZL34rocblas_syrkx_herkx_general_kernelIl19rocblas_complex_numIfELi16ELi32ELi8ELb0ELb0ELc78ELc76EKPKS1_KPS1_EviT_T0_PT8_S7_lSA_S7_lS8_PT9_S7_li,comdat
	.globl	_ZL34rocblas_syrkx_herkx_general_kernelIl19rocblas_complex_numIfELi16ELi32ELi8ELb0ELb0ELc78ELc76EKPKS1_KPS1_EviT_T0_PT8_S7_lSA_S7_lS8_PT9_S7_li ; -- Begin function _ZL34rocblas_syrkx_herkx_general_kernelIl19rocblas_complex_numIfELi16ELi32ELi8ELb0ELb0ELc78ELc76EKPKS1_KPS1_EviT_T0_PT8_S7_lSA_S7_lS8_PT9_S7_li
	.p2align	8
	.type	_ZL34rocblas_syrkx_herkx_general_kernelIl19rocblas_complex_numIfELi16ELi32ELi8ELb0ELb0ELc78ELc76EKPKS1_KPS1_EviT_T0_PT8_S7_lSA_S7_lS8_PT9_S7_li,@function
_ZL34rocblas_syrkx_herkx_general_kernelIl19rocblas_complex_numIfELi16ELi32ELi8ELb0ELb0ELc78ELc76EKPKS1_KPS1_EviT_T0_PT8_S7_lSA_S7_lS8_PT9_S7_li: ; @_ZL34rocblas_syrkx_herkx_general_kernelIl19rocblas_complex_numIfELi16ELi32ELi8ELb0ELb0ELc78ELc76EKPKS1_KPS1_EviT_T0_PT8_S7_lSA_S7_lS8_PT9_S7_li
; %bb.0:
	s_load_dwordx2 s[10:11], s[4:5], 0x58
	s_load_dwordx4 s[20:23], s[4:5], 0x48
	s_load_dword s24, s[4:5], 0x0
	s_load_dwordx8 s[12:19], s[4:5], 0x8
	s_mov_b32 s9, 0
	s_lshl_b64 s[0:1], s[8:9], 3
	s_waitcnt lgkmcnt(0)
	s_add_u32 s2, s22, s0
	s_addc_u32 s3, s23, s1
	s_load_dwordx2 s[8:9], s[2:3], 0x0
	v_cmp_lt_i64_e64 s[2:3], s[12:13], 1
	s_lshl_b32 s22, s6, 5
	s_lshl_b32 s23, s7, 5
	s_and_b64 vcc, exec, s[2:3]
	s_cbranch_vccnz .LBB1610_9
; %bb.1:
	s_load_dwordx4 s[4:7], s[4:5], 0x30
	v_lshl_add_u32 v2, v1, 4, v0
	v_and_b32_e32 v8, 31, v2
	v_lshrrev_b32_e32 v5, 3, v2
	v_or_b32_e32 v3, s22, v8
	s_waitcnt lgkmcnt(0)
	s_add_u32 s2, s4, s0
	v_lshrrev_b32_e32 v12, 5, v2
	s_addc_u32 s3, s5, s1
	v_lshlrev_b32_e32 v2, 3, v8
	s_load_dwordx2 s[26:27], s[2:3], 0x0
	v_cmp_gt_i32_e32 vcc, s24, v3
	v_lshl_or_b32 v14, v12, 8, v2
	v_mad_u64_u32 v[2:3], s[2:3], s18, v12, 0
	v_and_b32_e32 v13, 7, v0
	v_add_u32_e32 v4, s23, v5
	v_lshlrev_b32_e32 v6, 3, v13
	v_lshl_or_b32 v5, v5, 6, v6
	v_mad_u64_u32 v[6:7], s[2:3], s19, v12, v[3:4]
	v_mov_b32_e32 v3, 0x800
	v_lshl_add_u32 v17, v1, 6, v3
	v_mov_b32_e32 v3, v6
	v_add_u32_e32 v6, s22, v8
	v_ashrrev_i32_e32 v7, 31, v6
	v_mad_u64_u32 v[8:9], s[2:3], s6, v13, 0
	v_lshlrev_b64 v[2:3], 3, v[2:3]
	v_lshlrev_b64 v[6:7], 3, v[6:7]
	s_add_u32 s0, s16, s0
	v_add_co_u32_e64 v10, s[2:3], v2, v6
	s_addc_u32 s1, s17, s1
	v_addc_co_u32_e64 v3, s[2:3], v3, v7, s[2:3]
	v_mov_b32_e32 v2, v9
	s_load_dwordx2 s[4:5], s[0:1], 0x0
	v_mad_u64_u32 v[6:7], s[2:3], s7, v13, v[2:3]
	v_add_u32_e32 v15, 0x800, v5
	v_ashrrev_i32_e32 v5, 31, v4
	v_mov_b32_e32 v9, v6
	v_cmp_gt_i32_e64 s[0:1], s24, v4
	s_waitcnt lgkmcnt(0)
	v_mov_b32_e32 v11, s5
	v_add_co_u32_e64 v2, s[2:3], s4, v10
	v_lshlrev_b64 v[6:7], 3, v[8:9]
	v_lshlrev_b64 v[4:5], 3, v[4:5]
	v_addc_co_u32_e64 v3, s[2:3], v11, v3, s[2:3]
	v_add_co_u32_e64 v4, s[2:3], v6, v4
	v_addc_co_u32_e64 v5, s[2:3], v7, v5, s[2:3]
	s_lshl_b64 s[4:5], s[18:19], 6
	v_mov_b32_e32 v6, s27
	v_add_co_u32_e64 v4, s[2:3], s26, v4
	s_lshl_b64 s[6:7], s[6:7], 6
	v_mov_b32_e32 v8, s12
	v_lshlrev_b32_e32 v16, 3, v0
	v_addc_co_u32_e64 v5, s[2:3], v6, v5, s[2:3]
	s_mov_b64 s[16:17], 0
	s_xor_b64 s[18:19], vcc, -1
	v_mov_b32_e32 v18, s5
	v_mov_b32_e32 v19, s7
	;; [unrolled: 1-line block ×12, first 2 shown]
	s_branch .LBB1610_3
.LBB1610_2:                             ;   in Loop: Header=BB1610_3 Depth=1
	s_or_b64 exec, exec, s[2:3]
	s_waitcnt vmcnt(0) lgkmcnt(0)
	ds_write_b64 v15, v[10:11]
	s_waitcnt lgkmcnt(0)
	s_barrier
	ds_read2_b64 v[28:31], v16 offset1:16
	ds_read_b128 v[32:35], v17
	ds_read_b128 v[36:39], v17 offset:16
	ds_read_b128 v[40:43], v17 offset:1024
	s_add_u32 s16, s16, 8
	v_add_co_u32_e32 v2, vcc, s4, v2
	s_waitcnt lgkmcnt(2)
	v_mul_f32_e32 v7, v33, v29
	v_fma_f32 v7, v32, v28, -v7
	v_mul_f32_e32 v10, v32, v29
	v_add_f32_e32 v7, v26, v7
	v_mul_f32_e32 v11, v33, v31
	v_mul_f32_e32 v26, v32, v31
	v_fmac_f32_e32 v10, v33, v28
	v_fma_f32 v11, v32, v30, -v11
	v_fmac_f32_e32 v26, v33, v30
	v_add_f32_e32 v10, v27, v10
	v_add_f32_e32 v11, v24, v11
	;; [unrolled: 1-line block ×3, first 2 shown]
	ds_read_b128 v[24:27], v17 offset:1040
	s_waitcnt lgkmcnt(1)
	v_mul_f32_e32 v33, v41, v29
	v_mul_f32_e32 v44, v40, v29
	v_fma_f32 v33, v40, v28, -v33
	v_fmac_f32_e32 v44, v41, v28
	v_mul_f32_e32 v28, v41, v31
	v_fma_f32 v45, v40, v30, -v28
	v_mul_f32_e32 v40, v40, v31
	v_fmac_f32_e32 v40, v41, v30
	ds_read2_b64 v[28:31], v16 offset0:32 offset1:48
	v_add_f32_e32 v20, v20, v33
	v_add_f32_e32 v33, v22, v45
	v_add_f32_e32 v40, v23, v40
	v_add_f32_e32 v21, v21, v44
	s_waitcnt lgkmcnt(0)
	v_mul_f32_e32 v22, v35, v29
	v_fma_f32 v22, v34, v28, -v22
	v_mul_f32_e32 v23, v34, v29
	v_fmac_f32_e32 v23, v35, v28
	v_add_f32_e32 v7, v7, v22
	v_mul_f32_e32 v22, v35, v31
	v_add_f32_e32 v10, v10, v23
	v_fma_f32 v22, v34, v30, -v22
	v_mul_f32_e32 v23, v34, v31
	v_fmac_f32_e32 v23, v35, v30
	v_add_f32_e32 v11, v11, v22
	v_mul_f32_e32 v22, v43, v29
	v_add_f32_e32 v32, v32, v23
	;; [unrolled: 6-line block ×3, first 2 shown]
	v_fma_f32 v34, v42, v30, -v20
	ds_read2_b64 v[20:23], v16 offset0:64 offset1:80
	v_mul_f32_e32 v31, v42, v31
	v_fmac_f32_e32 v31, v43, v30
	v_add_f32_e32 v33, v33, v34
	v_add_f32_e32 v34, v40, v31
	s_waitcnt lgkmcnt(0)
	v_mul_f32_e32 v30, v37, v21
	v_fma_f32 v30, v36, v20, -v30
	v_mul_f32_e32 v31, v36, v21
	v_add_f32_e32 v7, v7, v30
	v_mul_f32_e32 v30, v37, v23
	v_fmac_f32_e32 v31, v37, v20
	v_fma_f32 v30, v36, v22, -v30
	v_add_f32_e32 v10, v10, v31
	v_mul_f32_e32 v31, v36, v23
	v_add_f32_e32 v11, v11, v30
	v_mul_f32_e32 v30, v25, v21
	v_mul_f32_e32 v21, v24, v21
	v_fmac_f32_e32 v31, v37, v22
	v_fma_f32 v30, v24, v20, -v30
	v_fmac_f32_e32 v21, v25, v20
	v_add_f32_e32 v32, v32, v31
	v_add_f32_e32 v35, v28, v30
	;; [unrolled: 1-line block ×3, first 2 shown]
	ds_read2_b64 v[28:31], v16 offset0:96 offset1:112
	v_mul_f32_e32 v20, v25, v23
	v_fma_f32 v37, v24, v22, -v20
	v_mul_f32_e32 v24, v24, v23
	v_fmac_f32_e32 v24, v25, v22
	v_add_f32_e32 v24, v34, v24
	s_waitcnt lgkmcnt(0)
	v_mul_f32_e32 v34, v38, v29
	v_fmac_f32_e32 v34, v39, v28
	v_add_f32_e32 v25, v33, v37
	v_mul_f32_e32 v33, v39, v29
	v_add_f32_e32 v10, v10, v34
	v_mul_f32_e32 v34, v38, v31
	v_fma_f32 v33, v38, v28, -v33
	v_fmac_f32_e32 v34, v39, v30
	v_add_f32_e32 v7, v7, v33
	v_mul_f32_e32 v33, v39, v31
	v_add_f32_e32 v40, v32, v34
	v_mul_f32_e32 v32, v27, v29
	v_fma_f32 v33, v38, v30, -v33
	v_fma_f32 v32, v26, v28, -v32
	ds_read_b128 v[20:23], v17 offset:32
	v_add_f32_e32 v11, v11, v33
	v_add_f32_e32 v44, v35, v32
	ds_read2_b64 v[32:35], v16 offset0:128 offset1:144
	v_mul_f32_e32 v29, v26, v29
	v_fmac_f32_e32 v29, v27, v28
	v_mul_f32_e32 v28, v27, v31
	v_fma_f32 v28, v26, v30, -v28
	v_mul_f32_e32 v26, v26, v31
	v_fmac_f32_e32 v26, v27, v30
	v_add_f32_e32 v45, v36, v29
	v_add_f32_e32 v25, v25, v28
	;; [unrolled: 1-line block ×3, first 2 shown]
	ds_read_b128 v[26:29], v17 offset:48
	s_waitcnt lgkmcnt(1)
	v_mul_f32_e32 v30, v21, v33
	ds_read_b128 v[36:39], v17 offset:1056
	v_fma_f32 v30, v20, v32, -v30
	v_add_f32_e32 v7, v7, v30
	v_mul_f32_e32 v30, v21, v35
	v_mul_f32_e32 v31, v20, v33
	v_fma_f32 v30, v20, v34, -v30
	v_mul_f32_e32 v20, v20, v35
	v_fmac_f32_e32 v20, v21, v34
	v_fmac_f32_e32 v31, v21, v32
	v_add_f32_e32 v11, v11, v30
	v_add_f32_e32 v20, v40, v20
	ds_read_b128 v[40:43], v17 offset:1072
	s_waitcnt lgkmcnt(1)
	v_mul_f32_e32 v21, v37, v33
	v_mul_f32_e32 v46, v36, v33
	;; [unrolled: 1-line block ×3, first 2 shown]
	v_add_f32_e32 v10, v10, v31
	v_fma_f32 v21, v36, v32, -v21
	v_fmac_f32_e32 v46, v37, v32
	v_fma_f32 v47, v36, v34, -v30
	ds_read2_b64 v[30:33], v16 offset0:160 offset1:176
	v_mul_f32_e32 v35, v36, v35
	v_fmac_f32_e32 v35, v37, v34
	v_add_f32_e32 v24, v24, v35
	v_add_f32_e32 v21, v44, v21
	s_waitcnt lgkmcnt(0)
	v_mul_f32_e32 v35, v23, v31
	v_fma_f32 v35, v22, v30, -v35
	v_add_f32_e32 v7, v7, v35
	v_mul_f32_e32 v35, v23, v33
	v_mul_f32_e32 v36, v22, v31
	v_fma_f32 v35, v22, v32, -v35
	v_mul_f32_e32 v22, v22, v33
	v_fmac_f32_e32 v22, v23, v32
	v_add_f32_e32 v11, v11, v35
	v_add_f32_e32 v35, v20, v22
	v_mul_f32_e32 v20, v39, v31
	v_fma_f32 v20, v38, v30, -v20
	v_mul_f32_e32 v22, v38, v31
	v_add_f32_e32 v34, v45, v46
	v_fmac_f32_e32 v36, v23, v30
	v_fmac_f32_e32 v22, v39, v30
	v_add_f32_e32 v30, v21, v20
	v_mul_f32_e32 v20, v39, v33
	v_add_f32_e32 v31, v34, v22
	v_fma_f32 v34, v38, v32, -v20
	ds_read2_b64 v[20:23], v16 offset0:192 offset1:208
	v_mul_f32_e32 v33, v38, v33
	v_fmac_f32_e32 v33, v39, v32
	v_add_f32_e32 v24, v24, v33
	v_add_f32_e32 v25, v25, v47
	s_waitcnt lgkmcnt(0)
	v_mul_f32_e32 v32, v27, v21
	v_fma_f32 v32, v26, v20, -v32
	v_add_f32_e32 v7, v7, v32
	v_mul_f32_e32 v32, v27, v23
	v_mul_f32_e32 v33, v26, v21
	v_fma_f32 v32, v26, v22, -v32
	v_mul_f32_e32 v26, v26, v23
	v_fmac_f32_e32 v26, v27, v22
	v_add_f32_e32 v25, v25, v34
	v_add_f32_e32 v34, v35, v26
	v_mul_f32_e32 v26, v41, v21
	v_mul_f32_e32 v21, v40, v21
	v_add_f32_e32 v10, v10, v36
	v_fmac_f32_e32 v33, v27, v20
	v_fma_f32 v26, v40, v20, -v26
	v_fmac_f32_e32 v21, v41, v20
	v_add_f32_e32 v10, v10, v33
	v_add_f32_e32 v11, v11, v32
	;; [unrolled: 1-line block ×4, first 2 shown]
	ds_read2_b64 v[30:33], v16 offset0:224 offset1:240
	v_mul_f32_e32 v26, v41, v23
	v_mul_f32_e32 v23, v40, v23
	v_fma_f32 v26, v40, v22, -v26
	v_fmac_f32_e32 v23, v41, v22
	v_add_f32_e32 v22, v25, v26
	v_add_f32_e32 v23, v24, v23
	s_waitcnt lgkmcnt(0)
	v_mul_f32_e32 v24, v29, v31
	v_mul_f32_e32 v25, v28, v31
	v_fma_f32 v24, v28, v30, -v24
	v_fmac_f32_e32 v25, v29, v30
	v_add_f32_e32 v26, v7, v24
	v_add_f32_e32 v27, v10, v25
	v_mul_f32_e32 v7, v29, v33
	v_mul_f32_e32 v10, v28, v33
	v_fma_f32 v7, v28, v32, -v7
	v_fmac_f32_e32 v10, v29, v32
	v_add_f32_e32 v24, v11, v7
	v_add_f32_e32 v25, v34, v10
	v_mul_f32_e32 v7, v43, v31
	v_mul_f32_e32 v10, v42, v31
	v_fma_f32 v7, v42, v30, -v7
	v_fmac_f32_e32 v10, v43, v30
	s_addc_u32 s17, s17, 0
	v_addc_co_u32_e32 v3, vcc, v3, v18, vcc
	v_add_f32_e32 v20, v20, v7
	v_add_f32_e32 v21, v21, v10
	v_mul_f32_e32 v7, v43, v33
	v_mul_f32_e32 v10, v42, v33
	v_cmp_ge_i64_e32 vcc, s[16:17], v[8:9]
	v_fma_f32 v7, v42, v32, -v7
	v_fmac_f32_e32 v10, v43, v32
	v_add_co_u32_e64 v4, s[2:3], s6, v4
	v_add_f32_e32 v22, v22, v7
	v_add_f32_e32 v23, v23, v10
	v_addc_co_u32_e64 v5, s[2:3], v5, v19, s[2:3]
	s_barrier
	s_cbranch_vccnz .LBB1610_10
.LBB1610_3:                             ; =>This Inner Loop Header: Depth=1
	v_mov_b32_e32 v7, s17
	v_add_co_u32_e32 v10, vcc, s16, v12
	v_addc_co_u32_e32 v11, vcc, 0, v7, vcc
	v_cmp_le_i64_e32 vcc, s[12:13], v[10:11]
	s_or_b64 s[2:3], s[18:19], vcc
	s_and_saveexec_b64 s[26:27], s[2:3]
	s_xor_b64 s[2:3], exec, s[26:27]
; %bb.4:                                ;   in Loop: Header=BB1610_3 Depth=1
	v_mov_b32_e32 v7, v6
	ds_write_b64 v14, v[6:7]
; %bb.5:                                ;   in Loop: Header=BB1610_3 Depth=1
	s_andn2_saveexec_b64 s[2:3], s[2:3]
	s_cbranch_execz .LBB1610_7
; %bb.6:                                ;   in Loop: Header=BB1610_3 Depth=1
	flat_load_dwordx2 v[10:11], v[2:3]
	s_waitcnt vmcnt(0) lgkmcnt(0)
	ds_write_b64 v14, v[10:11]
.LBB1610_7:                             ;   in Loop: Header=BB1610_3 Depth=1
	s_or_b64 exec, exec, s[2:3]
	v_mov_b32_e32 v7, s17
	v_add_co_u32_e32 v10, vcc, s16, v13
	v_addc_co_u32_e32 v11, vcc, 0, v7, vcc
	v_cmp_gt_i64_e32 vcc, s[12:13], v[10:11]
	v_mov_b32_e32 v10, 0
	s_and_b64 s[26:27], vcc, s[0:1]
	v_mov_b32_e32 v11, 0
	s_and_saveexec_b64 s[2:3], s[26:27]
	s_cbranch_execz .LBB1610_2
; %bb.8:                                ;   in Loop: Header=BB1610_3 Depth=1
	flat_load_dwordx2 v[10:11], v[4:5]
	s_branch .LBB1610_2
.LBB1610_9:
	v_mov_b32_e32 v26, 0
	v_mov_b32_e32 v27, 0
	;; [unrolled: 1-line block ×8, first 2 shown]
.LBB1610_10:
	v_add_u32_e32 v4, s23, v1
	v_ashrrev_i32_e32 v1, 31, v4
	v_mul_lo_u32 v3, s10, v1
	v_mul_lo_u32 v5, s11, v4
	v_mad_u64_u32 v[1:2], s[0:1], s10, v4, 0
	v_add_u32_e32 v0, s22, v0
	v_cmp_le_i32_e64 s[0:1], v4, v0
	v_add3_u32 v2, v2, v3, v5
	v_lshlrev_b64 v[1:2], 3, v[1:2]
	s_waitcnt lgkmcnt(0)
	v_mov_b32_e32 v3, s9
	v_add_co_u32_e32 v5, vcc, s8, v1
	v_addc_co_u32_e32 v6, vcc, v3, v2, vcc
	v_cmp_gt_i32_e32 vcc, s24, v0
	s_and_b64 s[0:1], s[0:1], vcc
	s_and_saveexec_b64 s[2:3], s[0:1]
	s_cbranch_execz .LBB1610_12
; %bb.11:
	v_ashrrev_i32_e32 v1, 31, v0
	v_lshlrev_b64 v[1:2], 3, v[0:1]
	v_mul_f32_e32 v3, s15, v27
	v_add_co_u32_e64 v1, s[0:1], v5, v1
	v_addc_co_u32_e64 v2, s[0:1], v6, v2, s[0:1]
	flat_load_dwordx2 v[7:8], v[1:2]
	v_mul_f32_e32 v9, s14, v27
	v_fma_f32 v3, v26, s14, -v3
	v_fmac_f32_e32 v9, s15, v26
	s_waitcnt vmcnt(0) lgkmcnt(0)
	v_mul_f32_e32 v10, s21, v8
	v_mul_f32_e32 v8, s20, v8
	v_fma_f32 v10, v7, s20, -v10
	v_fmac_f32_e32 v8, s21, v7
	v_add_f32_e32 v7, v3, v10
	v_add_f32_e32 v8, v9, v8
	flat_store_dwordx2 v[1:2], v[7:8]
.LBB1610_12:
	s_or_b64 exec, exec, s[2:3]
	v_add_u32_e32 v2, 16, v0
	v_cmp_le_i32_e64 s[2:3], v4, v2
	v_cmp_gt_i32_e64 s[0:1], s24, v2
	s_and_b64 s[2:3], s[2:3], s[0:1]
	s_and_saveexec_b64 s[4:5], s[2:3]
	s_cbranch_execz .LBB1610_14
; %bb.13:
	v_ashrrev_i32_e32 v3, 31, v2
	v_lshlrev_b64 v[7:8], 3, v[2:3]
	v_mul_f32_e32 v1, s15, v25
	v_add_co_u32_e64 v5, s[2:3], v5, v7
	v_addc_co_u32_e64 v6, s[2:3], v6, v8, s[2:3]
	flat_load_dwordx2 v[7:8], v[5:6]
	v_mul_f32_e32 v3, s14, v25
	v_fma_f32 v1, v24, s14, -v1
	v_fmac_f32_e32 v3, s15, v24
	s_waitcnt vmcnt(0) lgkmcnt(0)
	v_mul_f32_e32 v9, s21, v8
	v_mul_f32_e32 v8, s20, v8
	v_fma_f32 v9, v7, s20, -v9
	v_fmac_f32_e32 v8, s21, v7
	v_add_f32_e32 v7, v1, v9
	v_add_f32_e32 v8, v3, v8
	flat_store_dwordx2 v[5:6], v[7:8]
.LBB1610_14:
	s_or_b64 exec, exec, s[4:5]
	v_add_u32_e32 v3, 16, v4
	v_ashrrev_i32_e32 v1, 31, v3
	v_mul_lo_u32 v6, s11, v3
	v_mad_u64_u32 v[4:5], s[2:3], s10, v3, 0
	v_mul_lo_u32 v1, s10, v1
	v_add3_u32 v5, v5, v1, v6
	v_lshlrev_b64 v[4:5], 3, v[4:5]
	v_mov_b32_e32 v1, s9
	v_add_co_u32_e64 v4, s[2:3], s8, v4
	v_addc_co_u32_e64 v5, s[2:3], v1, v5, s[2:3]
	v_cmp_le_i32_e64 s[2:3], v3, v0
	s_and_b64 s[4:5], s[2:3], vcc
	s_and_saveexec_b64 s[2:3], s[4:5]
	s_cbranch_execz .LBB1610_16
; %bb.15:
	v_ashrrev_i32_e32 v1, 31, v0
	v_lshlrev_b64 v[0:1], 3, v[0:1]
	v_mul_f32_e32 v8, s15, v21
	v_add_co_u32_e32 v0, vcc, v4, v0
	v_addc_co_u32_e32 v1, vcc, v5, v1, vcc
	flat_load_dwordx2 v[6:7], v[0:1]
	v_mul_f32_e32 v9, s14, v21
	v_fma_f32 v8, v20, s14, -v8
	v_fmac_f32_e32 v9, s15, v20
	s_waitcnt vmcnt(0) lgkmcnt(0)
	v_mul_f32_e32 v10, s21, v7
	v_mul_f32_e32 v7, s20, v7
	v_fma_f32 v10, v6, s20, -v10
	v_fmac_f32_e32 v7, s21, v6
	v_add_f32_e32 v6, v8, v10
	v_add_f32_e32 v7, v9, v7
	flat_store_dwordx2 v[0:1], v[6:7]
.LBB1610_16:
	s_or_b64 exec, exec, s[2:3]
	v_cmp_le_i32_e32 vcc, v3, v2
	s_and_b64 s[0:1], vcc, s[0:1]
	s_and_saveexec_b64 s[2:3], s[0:1]
	s_cbranch_execz .LBB1610_18
; %bb.17:
	v_ashrrev_i32_e32 v3, 31, v2
	v_lshlrev_b64 v[0:1], 3, v[2:3]
	v_add_co_u32_e32 v0, vcc, v4, v0
	v_addc_co_u32_e32 v1, vcc, v5, v1, vcc
	flat_load_dwordx2 v[2:3], v[0:1]
	v_mul_f32_e32 v4, s15, v23
	v_mul_f32_e32 v5, s14, v23
	v_fma_f32 v4, v22, s14, -v4
	v_fmac_f32_e32 v5, s15, v22
	s_waitcnt vmcnt(0) lgkmcnt(0)
	v_mul_f32_e32 v6, s21, v3
	v_mul_f32_e32 v3, s20, v3
	v_fma_f32 v6, v2, s20, -v6
	v_fmac_f32_e32 v3, s21, v2
	v_add_f32_e32 v2, v4, v6
	v_add_f32_e32 v3, v5, v3
	flat_store_dwordx2 v[0:1], v[2:3]
.LBB1610_18:
	s_endpgm
	.section	.rodata,"a",@progbits
	.p2align	6, 0x0
	.amdhsa_kernel _ZL34rocblas_syrkx_herkx_general_kernelIl19rocblas_complex_numIfELi16ELi32ELi8ELb0ELb0ELc78ELc76EKPKS1_KPS1_EviT_T0_PT8_S7_lSA_S7_lS8_PT9_S7_li
		.amdhsa_group_segment_fixed_size 4096
		.amdhsa_private_segment_fixed_size 0
		.amdhsa_kernarg_size 108
		.amdhsa_user_sgpr_count 6
		.amdhsa_user_sgpr_private_segment_buffer 1
		.amdhsa_user_sgpr_dispatch_ptr 0
		.amdhsa_user_sgpr_queue_ptr 0
		.amdhsa_user_sgpr_kernarg_segment_ptr 1
		.amdhsa_user_sgpr_dispatch_id 0
		.amdhsa_user_sgpr_flat_scratch_init 0
		.amdhsa_user_sgpr_private_segment_size 0
		.amdhsa_uses_dynamic_stack 0
		.amdhsa_system_sgpr_private_segment_wavefront_offset 0
		.amdhsa_system_sgpr_workgroup_id_x 1
		.amdhsa_system_sgpr_workgroup_id_y 1
		.amdhsa_system_sgpr_workgroup_id_z 1
		.amdhsa_system_sgpr_workgroup_info 0
		.amdhsa_system_vgpr_workitem_id 1
		.amdhsa_next_free_vgpr 48
		.amdhsa_next_free_sgpr 28
		.amdhsa_reserve_vcc 1
		.amdhsa_reserve_flat_scratch 0
		.amdhsa_float_round_mode_32 0
		.amdhsa_float_round_mode_16_64 0
		.amdhsa_float_denorm_mode_32 3
		.amdhsa_float_denorm_mode_16_64 3
		.amdhsa_dx10_clamp 1
		.amdhsa_ieee_mode 1
		.amdhsa_fp16_overflow 0
		.amdhsa_exception_fp_ieee_invalid_op 0
		.amdhsa_exception_fp_denorm_src 0
		.amdhsa_exception_fp_ieee_div_zero 0
		.amdhsa_exception_fp_ieee_overflow 0
		.amdhsa_exception_fp_ieee_underflow 0
		.amdhsa_exception_fp_ieee_inexact 0
		.amdhsa_exception_int_div_zero 0
	.end_amdhsa_kernel
	.section	.text._ZL34rocblas_syrkx_herkx_general_kernelIl19rocblas_complex_numIfELi16ELi32ELi8ELb0ELb0ELc78ELc76EKPKS1_KPS1_EviT_T0_PT8_S7_lSA_S7_lS8_PT9_S7_li,"axG",@progbits,_ZL34rocblas_syrkx_herkx_general_kernelIl19rocblas_complex_numIfELi16ELi32ELi8ELb0ELb0ELc78ELc76EKPKS1_KPS1_EviT_T0_PT8_S7_lSA_S7_lS8_PT9_S7_li,comdat
.Lfunc_end1610:
	.size	_ZL34rocblas_syrkx_herkx_general_kernelIl19rocblas_complex_numIfELi16ELi32ELi8ELb0ELb0ELc78ELc76EKPKS1_KPS1_EviT_T0_PT8_S7_lSA_S7_lS8_PT9_S7_li, .Lfunc_end1610-_ZL34rocblas_syrkx_herkx_general_kernelIl19rocblas_complex_numIfELi16ELi32ELi8ELb0ELb0ELc78ELc76EKPKS1_KPS1_EviT_T0_PT8_S7_lSA_S7_lS8_PT9_S7_li
                                        ; -- End function
	.set _ZL34rocblas_syrkx_herkx_general_kernelIl19rocblas_complex_numIfELi16ELi32ELi8ELb0ELb0ELc78ELc76EKPKS1_KPS1_EviT_T0_PT8_S7_lSA_S7_lS8_PT9_S7_li.num_vgpr, 48
	.set _ZL34rocblas_syrkx_herkx_general_kernelIl19rocblas_complex_numIfELi16ELi32ELi8ELb0ELb0ELc78ELc76EKPKS1_KPS1_EviT_T0_PT8_S7_lSA_S7_lS8_PT9_S7_li.num_agpr, 0
	.set _ZL34rocblas_syrkx_herkx_general_kernelIl19rocblas_complex_numIfELi16ELi32ELi8ELb0ELb0ELc78ELc76EKPKS1_KPS1_EviT_T0_PT8_S7_lSA_S7_lS8_PT9_S7_li.numbered_sgpr, 28
	.set _ZL34rocblas_syrkx_herkx_general_kernelIl19rocblas_complex_numIfELi16ELi32ELi8ELb0ELb0ELc78ELc76EKPKS1_KPS1_EviT_T0_PT8_S7_lSA_S7_lS8_PT9_S7_li.num_named_barrier, 0
	.set _ZL34rocblas_syrkx_herkx_general_kernelIl19rocblas_complex_numIfELi16ELi32ELi8ELb0ELb0ELc78ELc76EKPKS1_KPS1_EviT_T0_PT8_S7_lSA_S7_lS8_PT9_S7_li.private_seg_size, 0
	.set _ZL34rocblas_syrkx_herkx_general_kernelIl19rocblas_complex_numIfELi16ELi32ELi8ELb0ELb0ELc78ELc76EKPKS1_KPS1_EviT_T0_PT8_S7_lSA_S7_lS8_PT9_S7_li.uses_vcc, 1
	.set _ZL34rocblas_syrkx_herkx_general_kernelIl19rocblas_complex_numIfELi16ELi32ELi8ELb0ELb0ELc78ELc76EKPKS1_KPS1_EviT_T0_PT8_S7_lSA_S7_lS8_PT9_S7_li.uses_flat_scratch, 0
	.set _ZL34rocblas_syrkx_herkx_general_kernelIl19rocblas_complex_numIfELi16ELi32ELi8ELb0ELb0ELc78ELc76EKPKS1_KPS1_EviT_T0_PT8_S7_lSA_S7_lS8_PT9_S7_li.has_dyn_sized_stack, 0
	.set _ZL34rocblas_syrkx_herkx_general_kernelIl19rocblas_complex_numIfELi16ELi32ELi8ELb0ELb0ELc78ELc76EKPKS1_KPS1_EviT_T0_PT8_S7_lSA_S7_lS8_PT9_S7_li.has_recursion, 0
	.set _ZL34rocblas_syrkx_herkx_general_kernelIl19rocblas_complex_numIfELi16ELi32ELi8ELb0ELb0ELc78ELc76EKPKS1_KPS1_EviT_T0_PT8_S7_lSA_S7_lS8_PT9_S7_li.has_indirect_call, 0
	.section	.AMDGPU.csdata,"",@progbits
; Kernel info:
; codeLenInByte = 2356
; TotalNumSgprs: 32
; NumVgprs: 48
; ScratchSize: 0
; MemoryBound: 1
; FloatMode: 240
; IeeeMode: 1
; LDSByteSize: 4096 bytes/workgroup (compile time only)
; SGPRBlocks: 3
; VGPRBlocks: 11
; NumSGPRsForWavesPerEU: 32
; NumVGPRsForWavesPerEU: 48
; Occupancy: 5
; WaveLimiterHint : 1
; COMPUTE_PGM_RSRC2:SCRATCH_EN: 0
; COMPUTE_PGM_RSRC2:USER_SGPR: 6
; COMPUTE_PGM_RSRC2:TRAP_HANDLER: 0
; COMPUTE_PGM_RSRC2:TGID_X_EN: 1
; COMPUTE_PGM_RSRC2:TGID_Y_EN: 1
; COMPUTE_PGM_RSRC2:TGID_Z_EN: 1
; COMPUTE_PGM_RSRC2:TIDIG_COMP_CNT: 1
	.section	.text._ZL34rocblas_syrkx_herkx_general_kernelIl19rocblas_complex_numIfELi16ELi32ELi8ELb0ELb0ELc84ELc85EKPKS1_KPS1_EviT_T0_PT8_S7_lSA_S7_lS8_PT9_S7_li,"axG",@progbits,_ZL34rocblas_syrkx_herkx_general_kernelIl19rocblas_complex_numIfELi16ELi32ELi8ELb0ELb0ELc84ELc85EKPKS1_KPS1_EviT_T0_PT8_S7_lSA_S7_lS8_PT9_S7_li,comdat
	.globl	_ZL34rocblas_syrkx_herkx_general_kernelIl19rocblas_complex_numIfELi16ELi32ELi8ELb0ELb0ELc84ELc85EKPKS1_KPS1_EviT_T0_PT8_S7_lSA_S7_lS8_PT9_S7_li ; -- Begin function _ZL34rocblas_syrkx_herkx_general_kernelIl19rocblas_complex_numIfELi16ELi32ELi8ELb0ELb0ELc84ELc85EKPKS1_KPS1_EviT_T0_PT8_S7_lSA_S7_lS8_PT9_S7_li
	.p2align	8
	.type	_ZL34rocblas_syrkx_herkx_general_kernelIl19rocblas_complex_numIfELi16ELi32ELi8ELb0ELb0ELc84ELc85EKPKS1_KPS1_EviT_T0_PT8_S7_lSA_S7_lS8_PT9_S7_li,@function
_ZL34rocblas_syrkx_herkx_general_kernelIl19rocblas_complex_numIfELi16ELi32ELi8ELb0ELb0ELc84ELc85EKPKS1_KPS1_EviT_T0_PT8_S7_lSA_S7_lS8_PT9_S7_li: ; @_ZL34rocblas_syrkx_herkx_general_kernelIl19rocblas_complex_numIfELi16ELi32ELi8ELb0ELb0ELc84ELc85EKPKS1_KPS1_EviT_T0_PT8_S7_lSA_S7_lS8_PT9_S7_li
; %bb.0:
	s_load_dwordx2 s[10:11], s[4:5], 0x58
	s_load_dwordx4 s[20:23], s[4:5], 0x48
	s_load_dword s24, s[4:5], 0x0
	s_load_dwordx8 s[12:19], s[4:5], 0x8
	s_mov_b32 s9, 0
	s_lshl_b64 s[0:1], s[8:9], 3
	s_waitcnt lgkmcnt(0)
	s_add_u32 s2, s22, s0
	s_addc_u32 s3, s23, s1
	s_load_dwordx2 s[8:9], s[2:3], 0x0
	v_cmp_lt_i64_e64 s[2:3], s[12:13], 1
	s_lshl_b32 s22, s6, 5
	s_lshl_b32 s23, s7, 5
	s_and_b64 vcc, exec, s[2:3]
	s_cbranch_vccnz .LBB1611_11
; %bb.1:
	s_load_dwordx4 s[4:7], s[4:5], 0x30
	v_lshl_add_u32 v2, v1, 4, v0
	v_and_b32_e32 v5, 31, v2
	v_or_b32_e32 v6, s22, v5
	v_and_b32_e32 v11, 7, v0
	v_lshrrev_b32_e32 v3, 3, v2
	v_lshrrev_b32_e32 v10, 5, v2
	v_cmp_gt_i32_e32 vcc, s24, v6
	v_lshlrev_b32_e32 v2, 3, v5
	v_lshlrev_b32_e32 v6, 3, v11
	v_lshl_or_b32 v12, v10, 8, v2
	v_lshl_or_b32 v2, v3, 6, v6
	s_waitcnt lgkmcnt(0)
	s_add_u32 s2, s4, s0
	v_add_u32_e32 v13, 0x800, v2
	v_add_u32_e32 v2, s22, v5
	;; [unrolled: 1-line block ×3, first 2 shown]
	s_addc_u32 s3, s5, s1
	v_ashrrev_i32_e32 v3, 31, v2
	s_load_dwordx2 s[4:5], s[2:3], 0x0
	v_mul_lo_u32 v5, s18, v3
	v_mul_lo_u32 v8, s19, v2
	v_mad_u64_u32 v[2:3], s[2:3], s18, v2, 0
	s_add_u32 s0, s16, s0
	s_addc_u32 s1, s17, s1
	v_add3_u32 v3, v3, v5, v8
	v_lshlrev_b64 v[2:3], 3, v[2:3]
	v_lshlrev_b32_e32 v5, 3, v10
	v_ashrrev_i32_e32 v7, 31, v4
	v_mov_b32_e32 v9, 0x800
	v_add_co_u32_e64 v2, s[2:3], v2, v5
	s_load_dwordx2 s[16:17], s[0:1], 0x0
	v_cmp_gt_i32_e64 s[0:1], s24, v4
	v_lshl_add_u32 v15, v1, 6, v9
	v_addc_co_u32_e64 v3, s[2:3], 0, v3, s[2:3]
	v_mul_lo_u32 v7, s6, v7
	v_mul_lo_u32 v9, s7, v4
	v_mad_u64_u32 v[4:5], s[2:3], s6, v4, 0
	s_waitcnt lgkmcnt(0)
	v_mov_b32_e32 v8, s17
	v_add_co_u32_e64 v2, s[2:3], s16, v2
	v_add3_u32 v5, v5, v7, v9
	v_lshlrev_b64 v[4:5], 3, v[4:5]
	v_addc_co_u32_e64 v3, s[2:3], v8, v3, s[2:3]
	v_add_co_u32_e64 v4, s[2:3], v4, v6
	v_addc_co_u32_e64 v5, s[2:3], 0, v5, s[2:3]
	v_mov_b32_e32 v6, s5
	v_add_co_u32_e64 v4, s[2:3], s4, v4
	v_addc_co_u32_e64 v5, s[2:3], v6, v5, s[2:3]
	v_mov_b32_e32 v8, s12
	v_lshlrev_b32_e32 v14, 3, v0
	s_mov_b64 s[2:3], 0
	s_xor_b64 s[4:5], vcc, -1
	s_xor_b64 s[6:7], s[0:1], -1
	v_mov_b32_e32 v19, 0
	v_mov_b32_e32 v18, 0
	;; [unrolled: 1-line block ×10, first 2 shown]
	s_branch .LBB1611_3
.LBB1611_2:                             ;   in Loop: Header=BB1611_3 Depth=1
	s_or_b64 exec, exec, s[0:1]
	s_waitcnt lgkmcnt(0)
	s_barrier
	ds_read2_b64 v[24:27], v14 offset1:16
	ds_read_b128 v[28:31], v15
	ds_read_b128 v[32:35], v15 offset:16
	s_add_u32 s2, s2, 8
	v_add_co_u32_e32 v2, vcc, 64, v2
	s_waitcnt lgkmcnt(1)
	v_mul_f32_e32 v36, v28, v25
	v_fmac_f32_e32 v36, v29, v24
	v_add_f32_e32 v44, v21, v36
	ds_read_b128 v[36:39], v15 offset:1024
	v_mul_f32_e32 v7, v29, v25
	v_fma_f32 v7, v28, v24, -v7
	v_add_f32_e32 v7, v20, v7
	v_mul_f32_e32 v20, v29, v27
	v_mul_f32_e32 v21, v28, v27
	v_fma_f32 v20, v28, v26, -v20
	v_fmac_f32_e32 v21, v29, v26
	v_add_f32_e32 v28, v22, v20
	v_add_f32_e32 v29, v23, v21
	ds_read_b128 v[20:23], v15 offset:1040
	s_waitcnt lgkmcnt(1)
	v_mul_f32_e32 v40, v37, v25
	v_fma_f32 v40, v36, v24, -v40
	v_add_f32_e32 v45, v16, v40
	ds_read2_b64 v[40:43], v14 offset0:32 offset1:48
	v_mul_f32_e32 v25, v36, v25
	v_mul_f32_e32 v16, v37, v27
	v_fmac_f32_e32 v25, v37, v24
	v_fma_f32 v16, v36, v26, -v16
	v_add_f32_e32 v46, v17, v25
	v_mul_f32_e32 v17, v36, v27
	v_add_f32_e32 v36, v18, v16
	s_waitcnt lgkmcnt(0)
	v_mul_f32_e32 v16, v31, v41
	v_fma_f32 v47, v30, v40, -v16
	v_mul_f32_e32 v16, v31, v43
	v_fma_f32 v49, v30, v42, -v16
	v_mul_f32_e32 v48, v30, v41
	v_mul_f32_e32 v30, v30, v43
	v_add_f32_e32 v7, v7, v47
	v_add_f32_e32 v47, v28, v49
	v_mul_f32_e32 v28, v39, v41
	v_fmac_f32_e32 v17, v37, v26
	v_fmac_f32_e32 v48, v31, v40
	v_fmac_f32_e32 v30, v31, v42
	v_fma_f32 v49, v38, v40, -v28
	v_mul_f32_e32 v41, v38, v41
	v_mul_f32_e32 v28, v39, v43
	v_add_f32_e32 v37, v19, v17
	ds_read_b128 v[16:19], v15 offset:32
	ds_read_b128 v[24:27], v15 offset:48
	v_add_f32_e32 v44, v44, v48
	v_add_f32_e32 v48, v29, v30
	v_fmac_f32_e32 v41, v39, v40
	v_fma_f32 v40, v38, v42, -v28
	ds_read2_b64 v[28:31], v14 offset0:64 offset1:80
	v_add_f32_e32 v40, v36, v40
	v_mul_f32_e32 v38, v38, v43
	v_fmac_f32_e32 v38, v39, v42
	v_add_f32_e32 v42, v37, v38
	s_waitcnt lgkmcnt(0)
	v_mul_f32_e32 v36, v33, v29
	v_fma_f32 v36, v32, v28, -v36
	v_add_f32_e32 v7, v7, v36
	v_mul_f32_e32 v36, v33, v31
	v_mul_f32_e32 v37, v32, v29
	v_fma_f32 v36, v32, v30, -v36
	v_mul_f32_e32 v32, v32, v31
	v_fmac_f32_e32 v37, v33, v28
	v_fmac_f32_e32 v32, v33, v30
	v_add_f32_e32 v33, v47, v36
	v_mul_f32_e32 v36, v21, v29
	v_add_f32_e32 v39, v45, v49
	v_fma_f32 v36, v20, v28, -v36
	v_mul_f32_e32 v29, v20, v29
	v_add_f32_e32 v41, v46, v41
	v_fmac_f32_e32 v29, v21, v28
	v_add_f32_e32 v28, v39, v36
	v_mul_f32_e32 v36, v21, v31
	v_add_f32_e32 v43, v44, v37
	v_add_f32_e32 v29, v41, v29
	v_fma_f32 v41, v20, v30, -v36
	ds_read2_b64 v[36:39], v14 offset0:96 offset1:112
	v_mul_f32_e32 v20, v20, v31
	v_fmac_f32_e32 v20, v21, v30
	v_add_f32_e32 v21, v40, v41
	v_add_f32_e32 v32, v48, v32
	s_waitcnt lgkmcnt(0)
	v_mul_f32_e32 v30, v35, v37
	v_fma_f32 v30, v34, v36, -v30
	v_mul_f32_e32 v31, v34, v37
	v_fmac_f32_e32 v31, v35, v36
	v_add_f32_e32 v7, v7, v30
	v_mul_f32_e32 v30, v35, v39
	v_add_f32_e32 v40, v43, v31
	v_fma_f32 v30, v34, v38, -v30
	v_mul_f32_e32 v31, v34, v39
	v_fmac_f32_e32 v31, v35, v38
	v_add_f32_e32 v33, v33, v30
	v_mul_f32_e32 v30, v23, v37
	v_add_f32_e32 v32, v32, v31
	;; [unrolled: 6-line block ×3, first 2 shown]
	v_fma_f32 v34, v22, v38, -v28
	ds_read2_b64 v[28:31], v14 offset0:128 offset1:144
	v_mul_f32_e32 v22, v22, v39
	v_add_f32_e32 v20, v42, v20
	v_fmac_f32_e32 v22, v23, v38
	v_add_f32_e32 v42, v20, v22
	s_waitcnt lgkmcnt(0)
	v_mul_f32_e32 v20, v17, v29
	v_add_f32_e32 v41, v21, v34
	v_fma_f32 v20, v16, v28, -v20
	v_mul_f32_e32 v21, v16, v29
	v_fmac_f32_e32 v21, v17, v28
	v_add_f32_e32 v7, v7, v20
	v_mul_f32_e32 v20, v17, v31
	v_add_f32_e32 v40, v40, v21
	v_fma_f32 v34, v16, v30, -v20
	ds_read_b128 v[20:23], v15 offset:1056
	v_mul_f32_e32 v16, v16, v31
	v_fmac_f32_e32 v16, v17, v30
	v_add_f32_e32 v17, v33, v34
	v_add_f32_e32 v16, v32, v16
	ds_read_b128 v[32:35], v15 offset:1072
	s_waitcnt lgkmcnt(1)
	v_mul_f32_e32 v38, v21, v29
	v_fma_f32 v38, v20, v28, -v38
	v_mul_f32_e32 v29, v20, v29
	v_fmac_f32_e32 v29, v21, v28
	v_add_f32_e32 v28, v36, v38
	v_mul_f32_e32 v36, v21, v31
	v_add_f32_e32 v29, v37, v29
	v_fma_f32 v43, v20, v30, -v36
	ds_read2_b64 v[36:39], v14 offset0:160 offset1:176
	v_mul_f32_e32 v20, v20, v31
	v_fmac_f32_e32 v20, v21, v30
	v_add_f32_e32 v20, v42, v20
	v_add_f32_e32 v21, v41, v43
	s_waitcnt lgkmcnt(0)
	v_mul_f32_e32 v30, v19, v37
	v_mul_f32_e32 v31, v18, v37
	v_fma_f32 v30, v18, v36, -v30
	v_fmac_f32_e32 v31, v19, v36
	v_add_f32_e32 v7, v7, v30
	v_add_f32_e32 v30, v40, v31
	v_mul_f32_e32 v31, v19, v39
	v_fma_f32 v31, v18, v38, -v31
	v_mul_f32_e32 v18, v18, v39
	v_fmac_f32_e32 v18, v19, v38
	v_add_f32_e32 v40, v16, v18
	v_mul_f32_e32 v16, v23, v37
	v_add_f32_e32 v31, v17, v31
	v_fma_f32 v16, v22, v36, -v16
	v_mul_f32_e32 v17, v22, v37
	v_fmac_f32_e32 v17, v23, v36
	v_add_f32_e32 v28, v28, v16
	v_mul_f32_e32 v16, v23, v39
	v_add_f32_e32 v29, v29, v17
	v_fma_f32 v36, v22, v38, -v16
	ds_read2_b64 v[16:19], v14 offset0:192 offset1:208
	v_mul_f32_e32 v22, v22, v39
	v_fmac_f32_e32 v22, v23, v38
	v_add_f32_e32 v20, v20, v22
	v_add_f32_e32 v21, v21, v36
	s_waitcnt lgkmcnt(0)
	v_mul_f32_e32 v22, v25, v17
	v_mul_f32_e32 v23, v24, v17
	v_fma_f32 v22, v24, v16, -v22
	v_fmac_f32_e32 v23, v25, v16
	v_add_f32_e32 v7, v7, v22
	v_add_f32_e32 v22, v30, v23
	v_mul_f32_e32 v23, v25, v19
	v_fma_f32 v23, v24, v18, -v23
	v_mul_f32_e32 v24, v24, v19
	v_fmac_f32_e32 v24, v25, v18
	v_mul_f32_e32 v25, v33, v17
	v_mul_f32_e32 v17, v32, v17
	v_fma_f32 v25, v32, v16, -v25
	v_fmac_f32_e32 v17, v33, v16
	v_add_f32_e32 v23, v31, v23
	v_add_f32_e32 v16, v28, v25
	;; [unrolled: 1-line block ×3, first 2 shown]
	ds_read2_b64 v[28:31], v14 offset0:224 offset1:240
	v_mul_f32_e32 v25, v33, v19
	v_mul_f32_e32 v19, v32, v19
	v_fmac_f32_e32 v19, v33, v18
	v_add_f32_e32 v19, v20, v19
	s_waitcnt lgkmcnt(0)
	v_mul_f32_e32 v20, v27, v29
	v_fma_f32 v25, v32, v18, -v25
	v_fma_f32 v20, v26, v28, -v20
	v_add_f32_e32 v18, v21, v25
	v_mul_f32_e32 v21, v26, v29
	v_add_f32_e32 v20, v7, v20
	v_mul_f32_e32 v7, v27, v31
	v_mul_f32_e32 v25, v26, v31
	v_add_f32_e32 v24, v40, v24
	v_fmac_f32_e32 v21, v27, v28
	v_fma_f32 v7, v26, v30, -v7
	v_fmac_f32_e32 v25, v27, v30
	v_add_f32_e32 v21, v22, v21
	v_add_f32_e32 v22, v23, v7
	;; [unrolled: 1-line block ×3, first 2 shown]
	v_mul_f32_e32 v7, v35, v29
	v_mul_f32_e32 v24, v34, v29
	v_fma_f32 v7, v34, v28, -v7
	v_fmac_f32_e32 v24, v35, v28
	s_addc_u32 s3, s3, 0
	v_addc_co_u32_e32 v3, vcc, 0, v3, vcc
	v_add_f32_e32 v16, v16, v7
	v_add_f32_e32 v17, v17, v24
	v_mul_f32_e32 v7, v35, v31
	v_mul_f32_e32 v24, v34, v31
	v_cmp_ge_i64_e32 vcc, s[2:3], v[8:9]
	v_fma_f32 v7, v34, v30, -v7
	v_fmac_f32_e32 v24, v35, v30
	v_add_co_u32_e64 v4, s[0:1], 64, v4
	v_add_f32_e32 v18, v18, v7
	v_add_f32_e32 v19, v19, v24
	v_addc_co_u32_e64 v5, s[0:1], 0, v5, s[0:1]
	s_barrier
	s_cbranch_vccnz .LBB1611_12
.LBB1611_3:                             ; =>This Inner Loop Header: Depth=1
	v_mov_b32_e32 v7, s3
	v_add_co_u32_e32 v24, vcc, s2, v10
	v_addc_co_u32_e32 v25, vcc, 0, v7, vcc
	v_cmp_le_i64_e32 vcc, s[12:13], v[24:25]
	s_or_b64 s[0:1], s[4:5], vcc
	s_and_saveexec_b64 s[16:17], s[0:1]
	s_xor_b64 s[0:1], exec, s[16:17]
; %bb.4:                                ;   in Loop: Header=BB1611_3 Depth=1
	v_mov_b32_e32 v7, v6
	ds_write_b64 v12, v[6:7]
; %bb.5:                                ;   in Loop: Header=BB1611_3 Depth=1
	s_andn2_saveexec_b64 s[0:1], s[0:1]
	s_cbranch_execz .LBB1611_7
; %bb.6:                                ;   in Loop: Header=BB1611_3 Depth=1
	flat_load_dwordx2 v[24:25], v[2:3]
	s_waitcnt vmcnt(0) lgkmcnt(0)
	ds_write_b64 v12, v[24:25]
.LBB1611_7:                             ;   in Loop: Header=BB1611_3 Depth=1
	s_or_b64 exec, exec, s[0:1]
	v_mov_b32_e32 v7, s3
	v_add_co_u32_e32 v24, vcc, s2, v11
	v_addc_co_u32_e32 v25, vcc, 0, v7, vcc
	v_cmp_le_i64_e32 vcc, s[12:13], v[24:25]
	s_or_b64 s[0:1], vcc, s[6:7]
	s_and_saveexec_b64 s[16:17], s[0:1]
	s_xor_b64 s[0:1], exec, s[16:17]
; %bb.8:                                ;   in Loop: Header=BB1611_3 Depth=1
	v_mov_b32_e32 v7, v6
	ds_write_b64 v13, v[6:7]
; %bb.9:                                ;   in Loop: Header=BB1611_3 Depth=1
	s_andn2_saveexec_b64 s[0:1], s[0:1]
	s_cbranch_execz .LBB1611_2
; %bb.10:                               ;   in Loop: Header=BB1611_3 Depth=1
	flat_load_dwordx2 v[24:25], v[4:5]
	s_waitcnt vmcnt(0) lgkmcnt(0)
	ds_write_b64 v13, v[24:25]
	s_branch .LBB1611_2
.LBB1611_11:
	v_mov_b32_e32 v20, 0
	v_mov_b32_e32 v21, 0
	;; [unrolled: 1-line block ×8, first 2 shown]
.LBB1611_12:
	v_add_u32_e32 v4, s23, v1
	v_ashrrev_i32_e32 v1, 31, v4
	v_mul_lo_u32 v3, s10, v1
	v_mul_lo_u32 v5, s11, v4
	v_mad_u64_u32 v[1:2], s[0:1], s10, v4, 0
	v_add_u32_e32 v0, s22, v0
	v_cmp_gt_i32_e32 vcc, s24, v4
	v_add3_u32 v2, v2, v3, v5
	v_lshlrev_b64 v[1:2], 3, v[1:2]
	s_waitcnt lgkmcnt(0)
	v_mov_b32_e32 v3, s9
	v_add_co_u32_e64 v5, s[0:1], s8, v1
	v_addc_co_u32_e64 v6, s[0:1], v3, v2, s[0:1]
	v_cmp_le_i32_e64 s[0:1], v0, v4
	s_and_b64 s[0:1], vcc, s[0:1]
	s_and_saveexec_b64 s[2:3], s[0:1]
	s_cbranch_execz .LBB1611_14
; %bb.13:
	v_ashrrev_i32_e32 v1, 31, v0
	v_lshlrev_b64 v[1:2], 3, v[0:1]
	v_mul_f32_e32 v3, s15, v21
	v_add_co_u32_e64 v1, s[0:1], v5, v1
	v_addc_co_u32_e64 v2, s[0:1], v6, v2, s[0:1]
	flat_load_dwordx2 v[7:8], v[1:2]
	v_mul_f32_e32 v9, s14, v21
	v_fma_f32 v3, v20, s14, -v3
	v_fmac_f32_e32 v9, s15, v20
	s_waitcnt vmcnt(0) lgkmcnt(0)
	v_mul_f32_e32 v10, s21, v8
	v_mul_f32_e32 v8, s20, v8
	v_fma_f32 v10, v7, s20, -v10
	v_fmac_f32_e32 v8, s21, v7
	v_add_f32_e32 v7, v3, v10
	v_add_f32_e32 v8, v9, v8
	flat_store_dwordx2 v[1:2], v[7:8]
.LBB1611_14:
	s_or_b64 exec, exec, s[2:3]
	v_add_u32_e32 v2, 16, v0
	v_cmp_le_i32_e64 s[0:1], v2, v4
	s_and_b64 s[2:3], vcc, s[0:1]
	s_and_saveexec_b64 s[0:1], s[2:3]
	s_cbranch_execz .LBB1611_16
; %bb.15:
	v_ashrrev_i32_e32 v3, 31, v2
	v_lshlrev_b64 v[7:8], 3, v[2:3]
	v_mul_f32_e32 v1, s15, v23
	v_add_co_u32_e32 v5, vcc, v5, v7
	v_addc_co_u32_e32 v6, vcc, v6, v8, vcc
	flat_load_dwordx2 v[7:8], v[5:6]
	v_mul_f32_e32 v3, s14, v23
	v_fma_f32 v1, v22, s14, -v1
	v_fmac_f32_e32 v3, s15, v22
	s_waitcnt vmcnt(0) lgkmcnt(0)
	v_mul_f32_e32 v9, s21, v8
	v_mul_f32_e32 v8, s20, v8
	v_fma_f32 v9, v7, s20, -v9
	v_fmac_f32_e32 v8, s21, v7
	v_add_f32_e32 v7, v1, v9
	v_add_f32_e32 v8, v3, v8
	flat_store_dwordx2 v[5:6], v[7:8]
.LBB1611_16:
	s_or_b64 exec, exec, s[0:1]
	v_add_u32_e32 v3, 16, v4
	v_ashrrev_i32_e32 v1, 31, v3
	v_mul_lo_u32 v1, s10, v1
	v_mul_lo_u32 v6, s11, v3
	v_mad_u64_u32 v[4:5], s[0:1], s10, v3, 0
	v_cmp_gt_i32_e32 vcc, s24, v3
	v_add3_u32 v5, v5, v1, v6
	v_lshlrev_b64 v[4:5], 3, v[4:5]
	v_mov_b32_e32 v1, s9
	v_add_co_u32_e64 v4, s[0:1], s8, v4
	v_addc_co_u32_e64 v5, s[0:1], v1, v5, s[0:1]
	v_cmp_le_i32_e64 s[0:1], v0, v3
	s_and_b64 s[0:1], vcc, s[0:1]
	s_and_saveexec_b64 s[2:3], s[0:1]
	s_cbranch_execz .LBB1611_18
; %bb.17:
	v_ashrrev_i32_e32 v1, 31, v0
	v_lshlrev_b64 v[0:1], 3, v[0:1]
	v_mul_f32_e32 v8, s15, v17
	v_add_co_u32_e64 v0, s[0:1], v4, v0
	v_addc_co_u32_e64 v1, s[0:1], v5, v1, s[0:1]
	flat_load_dwordx2 v[6:7], v[0:1]
	v_mul_f32_e32 v9, s14, v17
	v_fma_f32 v8, v16, s14, -v8
	v_fmac_f32_e32 v9, s15, v16
	s_waitcnt vmcnt(0) lgkmcnt(0)
	v_mul_f32_e32 v10, s21, v7
	v_mul_f32_e32 v7, s20, v7
	v_fma_f32 v10, v6, s20, -v10
	v_fmac_f32_e32 v7, s21, v6
	v_add_f32_e32 v6, v8, v10
	v_add_f32_e32 v7, v9, v7
	flat_store_dwordx2 v[0:1], v[6:7]
.LBB1611_18:
	s_or_b64 exec, exec, s[2:3]
	v_cmp_le_i32_e64 s[0:1], v2, v3
	s_and_b64 s[0:1], vcc, s[0:1]
	s_and_saveexec_b64 s[2:3], s[0:1]
	s_cbranch_execz .LBB1611_20
; %bb.19:
	v_ashrrev_i32_e32 v3, 31, v2
	v_lshlrev_b64 v[0:1], 3, v[2:3]
	v_add_co_u32_e32 v0, vcc, v4, v0
	v_addc_co_u32_e32 v1, vcc, v5, v1, vcc
	flat_load_dwordx2 v[2:3], v[0:1]
	v_mul_f32_e32 v4, s15, v19
	v_mul_f32_e32 v5, s14, v19
	v_fma_f32 v4, v18, s14, -v4
	v_fmac_f32_e32 v5, s15, v18
	s_waitcnt vmcnt(0) lgkmcnt(0)
	v_mul_f32_e32 v6, s21, v3
	v_mul_f32_e32 v3, s20, v3
	v_fma_f32 v6, v2, s20, -v6
	v_fmac_f32_e32 v3, s21, v2
	v_add_f32_e32 v2, v4, v6
	v_add_f32_e32 v3, v5, v3
	flat_store_dwordx2 v[0:1], v[2:3]
.LBB1611_20:
	s_endpgm
	.section	.rodata,"a",@progbits
	.p2align	6, 0x0
	.amdhsa_kernel _ZL34rocblas_syrkx_herkx_general_kernelIl19rocblas_complex_numIfELi16ELi32ELi8ELb0ELb0ELc84ELc85EKPKS1_KPS1_EviT_T0_PT8_S7_lSA_S7_lS8_PT9_S7_li
		.amdhsa_group_segment_fixed_size 4096
		.amdhsa_private_segment_fixed_size 0
		.amdhsa_kernarg_size 108
		.amdhsa_user_sgpr_count 6
		.amdhsa_user_sgpr_private_segment_buffer 1
		.amdhsa_user_sgpr_dispatch_ptr 0
		.amdhsa_user_sgpr_queue_ptr 0
		.amdhsa_user_sgpr_kernarg_segment_ptr 1
		.amdhsa_user_sgpr_dispatch_id 0
		.amdhsa_user_sgpr_flat_scratch_init 0
		.amdhsa_user_sgpr_private_segment_size 0
		.amdhsa_uses_dynamic_stack 0
		.amdhsa_system_sgpr_private_segment_wavefront_offset 0
		.amdhsa_system_sgpr_workgroup_id_x 1
		.amdhsa_system_sgpr_workgroup_id_y 1
		.amdhsa_system_sgpr_workgroup_id_z 1
		.amdhsa_system_sgpr_workgroup_info 0
		.amdhsa_system_vgpr_workitem_id 1
		.amdhsa_next_free_vgpr 50
		.amdhsa_next_free_sgpr 25
		.amdhsa_reserve_vcc 1
		.amdhsa_reserve_flat_scratch 0
		.amdhsa_float_round_mode_32 0
		.amdhsa_float_round_mode_16_64 0
		.amdhsa_float_denorm_mode_32 3
		.amdhsa_float_denorm_mode_16_64 3
		.amdhsa_dx10_clamp 1
		.amdhsa_ieee_mode 1
		.amdhsa_fp16_overflow 0
		.amdhsa_exception_fp_ieee_invalid_op 0
		.amdhsa_exception_fp_denorm_src 0
		.amdhsa_exception_fp_ieee_div_zero 0
		.amdhsa_exception_fp_ieee_overflow 0
		.amdhsa_exception_fp_ieee_underflow 0
		.amdhsa_exception_fp_ieee_inexact 0
		.amdhsa_exception_int_div_zero 0
	.end_amdhsa_kernel
	.section	.text._ZL34rocblas_syrkx_herkx_general_kernelIl19rocblas_complex_numIfELi16ELi32ELi8ELb0ELb0ELc84ELc85EKPKS1_KPS1_EviT_T0_PT8_S7_lSA_S7_lS8_PT9_S7_li,"axG",@progbits,_ZL34rocblas_syrkx_herkx_general_kernelIl19rocblas_complex_numIfELi16ELi32ELi8ELb0ELb0ELc84ELc85EKPKS1_KPS1_EviT_T0_PT8_S7_lSA_S7_lS8_PT9_S7_li,comdat
.Lfunc_end1611:
	.size	_ZL34rocblas_syrkx_herkx_general_kernelIl19rocblas_complex_numIfELi16ELi32ELi8ELb0ELb0ELc84ELc85EKPKS1_KPS1_EviT_T0_PT8_S7_lSA_S7_lS8_PT9_S7_li, .Lfunc_end1611-_ZL34rocblas_syrkx_herkx_general_kernelIl19rocblas_complex_numIfELi16ELi32ELi8ELb0ELb0ELc84ELc85EKPKS1_KPS1_EviT_T0_PT8_S7_lSA_S7_lS8_PT9_S7_li
                                        ; -- End function
	.set _ZL34rocblas_syrkx_herkx_general_kernelIl19rocblas_complex_numIfELi16ELi32ELi8ELb0ELb0ELc84ELc85EKPKS1_KPS1_EviT_T0_PT8_S7_lSA_S7_lS8_PT9_S7_li.num_vgpr, 50
	.set _ZL34rocblas_syrkx_herkx_general_kernelIl19rocblas_complex_numIfELi16ELi32ELi8ELb0ELb0ELc84ELc85EKPKS1_KPS1_EviT_T0_PT8_S7_lSA_S7_lS8_PT9_S7_li.num_agpr, 0
	.set _ZL34rocblas_syrkx_herkx_general_kernelIl19rocblas_complex_numIfELi16ELi32ELi8ELb0ELb0ELc84ELc85EKPKS1_KPS1_EviT_T0_PT8_S7_lSA_S7_lS8_PT9_S7_li.numbered_sgpr, 25
	.set _ZL34rocblas_syrkx_herkx_general_kernelIl19rocblas_complex_numIfELi16ELi32ELi8ELb0ELb0ELc84ELc85EKPKS1_KPS1_EviT_T0_PT8_S7_lSA_S7_lS8_PT9_S7_li.num_named_barrier, 0
	.set _ZL34rocblas_syrkx_herkx_general_kernelIl19rocblas_complex_numIfELi16ELi32ELi8ELb0ELb0ELc84ELc85EKPKS1_KPS1_EviT_T0_PT8_S7_lSA_S7_lS8_PT9_S7_li.private_seg_size, 0
	.set _ZL34rocblas_syrkx_herkx_general_kernelIl19rocblas_complex_numIfELi16ELi32ELi8ELb0ELb0ELc84ELc85EKPKS1_KPS1_EviT_T0_PT8_S7_lSA_S7_lS8_PT9_S7_li.uses_vcc, 1
	.set _ZL34rocblas_syrkx_herkx_general_kernelIl19rocblas_complex_numIfELi16ELi32ELi8ELb0ELb0ELc84ELc85EKPKS1_KPS1_EviT_T0_PT8_S7_lSA_S7_lS8_PT9_S7_li.uses_flat_scratch, 0
	.set _ZL34rocblas_syrkx_herkx_general_kernelIl19rocblas_complex_numIfELi16ELi32ELi8ELb0ELb0ELc84ELc85EKPKS1_KPS1_EviT_T0_PT8_S7_lSA_S7_lS8_PT9_S7_li.has_dyn_sized_stack, 0
	.set _ZL34rocblas_syrkx_herkx_general_kernelIl19rocblas_complex_numIfELi16ELi32ELi8ELb0ELb0ELc84ELc85EKPKS1_KPS1_EviT_T0_PT8_S7_lSA_S7_lS8_PT9_S7_li.has_recursion, 0
	.set _ZL34rocblas_syrkx_herkx_general_kernelIl19rocblas_complex_numIfELi16ELi32ELi8ELb0ELb0ELc84ELc85EKPKS1_KPS1_EviT_T0_PT8_S7_lSA_S7_lS8_PT9_S7_li.has_indirect_call, 0
	.section	.AMDGPU.csdata,"",@progbits
; Kernel info:
; codeLenInByte = 2372
; TotalNumSgprs: 29
; NumVgprs: 50
; ScratchSize: 0
; MemoryBound: 1
; FloatMode: 240
; IeeeMode: 1
; LDSByteSize: 4096 bytes/workgroup (compile time only)
; SGPRBlocks: 3
; VGPRBlocks: 12
; NumSGPRsForWavesPerEU: 29
; NumVGPRsForWavesPerEU: 50
; Occupancy: 4
; WaveLimiterHint : 1
; COMPUTE_PGM_RSRC2:SCRATCH_EN: 0
; COMPUTE_PGM_RSRC2:USER_SGPR: 6
; COMPUTE_PGM_RSRC2:TRAP_HANDLER: 0
; COMPUTE_PGM_RSRC2:TGID_X_EN: 1
; COMPUTE_PGM_RSRC2:TGID_Y_EN: 1
; COMPUTE_PGM_RSRC2:TGID_Z_EN: 1
; COMPUTE_PGM_RSRC2:TIDIG_COMP_CNT: 1
	.section	.text._ZL34rocblas_syrkx_herkx_general_kernelIl19rocblas_complex_numIfELi16ELi32ELi8ELb0ELb0ELc67ELc85EKPKS1_KPS1_EviT_T0_PT8_S7_lSA_S7_lS8_PT9_S7_li,"axG",@progbits,_ZL34rocblas_syrkx_herkx_general_kernelIl19rocblas_complex_numIfELi16ELi32ELi8ELb0ELb0ELc67ELc85EKPKS1_KPS1_EviT_T0_PT8_S7_lSA_S7_lS8_PT9_S7_li,comdat
	.globl	_ZL34rocblas_syrkx_herkx_general_kernelIl19rocblas_complex_numIfELi16ELi32ELi8ELb0ELb0ELc67ELc85EKPKS1_KPS1_EviT_T0_PT8_S7_lSA_S7_lS8_PT9_S7_li ; -- Begin function _ZL34rocblas_syrkx_herkx_general_kernelIl19rocblas_complex_numIfELi16ELi32ELi8ELb0ELb0ELc67ELc85EKPKS1_KPS1_EviT_T0_PT8_S7_lSA_S7_lS8_PT9_S7_li
	.p2align	8
	.type	_ZL34rocblas_syrkx_herkx_general_kernelIl19rocblas_complex_numIfELi16ELi32ELi8ELb0ELb0ELc67ELc85EKPKS1_KPS1_EviT_T0_PT8_S7_lSA_S7_lS8_PT9_S7_li,@function
_ZL34rocblas_syrkx_herkx_general_kernelIl19rocblas_complex_numIfELi16ELi32ELi8ELb0ELb0ELc67ELc85EKPKS1_KPS1_EviT_T0_PT8_S7_lSA_S7_lS8_PT9_S7_li: ; @_ZL34rocblas_syrkx_herkx_general_kernelIl19rocblas_complex_numIfELi16ELi32ELi8ELb0ELb0ELc67ELc85EKPKS1_KPS1_EviT_T0_PT8_S7_lSA_S7_lS8_PT9_S7_li
; %bb.0:
	s_load_dwordx2 s[10:11], s[4:5], 0x58
	s_load_dwordx4 s[20:23], s[4:5], 0x48
	s_load_dword s24, s[4:5], 0x0
	s_load_dwordx8 s[12:19], s[4:5], 0x8
	s_mov_b32 s9, 0
	s_lshl_b64 s[0:1], s[8:9], 3
	s_waitcnt lgkmcnt(0)
	s_add_u32 s2, s22, s0
	s_addc_u32 s3, s23, s1
	s_load_dwordx2 s[8:9], s[2:3], 0x0
	v_cmp_lt_i64_e64 s[2:3], s[12:13], 1
	s_lshl_b32 s22, s6, 5
	s_lshl_b32 s23, s7, 5
	s_and_b64 vcc, exec, s[2:3]
	s_cbranch_vccnz .LBB1612_9
; %bb.1:
	s_load_dwordx4 s[4:7], s[4:5], 0x30
	v_lshl_add_u32 v2, v1, 4, v0
	v_and_b32_e32 v5, 31, v2
	v_or_b32_e32 v6, s22, v5
	v_and_b32_e32 v13, 7, v0
	s_waitcnt lgkmcnt(0)
	s_add_u32 s2, s4, s0
	s_addc_u32 s3, s5, s1
	s_add_u32 s0, s16, s0
	s_addc_u32 s1, s17, s1
	v_lshrrev_b32_e32 v3, 3, v2
	v_lshrrev_b32_e32 v12, 5, v2
	s_load_dwordx2 s[16:17], s[0:1], 0x0
	v_cmp_gt_i32_e64 s[0:1], s24, v6
	v_lshlrev_b32_e32 v2, 3, v5
	v_lshlrev_b32_e32 v6, 3, v13
	v_lshl_or_b32 v14, v12, 8, v2
	v_lshl_or_b32 v2, v3, 6, v6
	v_add_u32_e32 v15, 0x800, v2
	v_add_u32_e32 v2, s22, v5
	v_add_u32_e32 v4, s23, v3
	v_ashrrev_i32_e32 v3, 31, v2
	s_load_dwordx2 s[4:5], s[2:3], 0x0
	v_mul_lo_u32 v5, s18, v3
	v_mul_lo_u32 v8, s19, v2
	v_mad_u64_u32 v[2:3], s[2:3], s18, v2, 0
	v_ashrrev_i32_e32 v7, 31, v4
	v_mov_b32_e32 v9, 0x800
	v_add3_u32 v3, v3, v5, v8
	v_lshlrev_b64 v[2:3], 3, v[2:3]
	v_lshlrev_b32_e32 v5, 3, v12
	v_add_co_u32_e64 v2, s[2:3], v2, v5
	v_cmp_gt_i32_e32 vcc, s24, v4
	v_lshl_add_u32 v17, v1, 6, v9
	v_addc_co_u32_e64 v3, s[2:3], 0, v3, s[2:3]
	v_mul_lo_u32 v7, s6, v7
	v_mul_lo_u32 v9, s7, v4
	v_mad_u64_u32 v[4:5], s[2:3], s6, v4, 0
	s_waitcnt lgkmcnt(0)
	v_mov_b32_e32 v8, s17
	v_add_co_u32_e64 v2, s[2:3], s16, v2
	v_add3_u32 v5, v5, v7, v9
	v_lshlrev_b64 v[4:5], 3, v[4:5]
	v_addc_co_u32_e64 v3, s[2:3], v8, v3, s[2:3]
	v_add_co_u32_e64 v4, s[2:3], v4, v6
	v_addc_co_u32_e64 v5, s[2:3], 0, v5, s[2:3]
	v_mov_b32_e32 v6, s5
	v_add_co_u32_e64 v4, s[2:3], s4, v4
	v_mov_b32_e32 v8, s12
	v_lshlrev_b32_e32 v16, 3, v0
	v_addc_co_u32_e64 v5, s[2:3], v6, v5, s[2:3]
	s_mov_b64 s[4:5], 0
	s_xor_b64 s[6:7], vcc, -1
	v_mov_b32_e32 v21, 0
	v_mov_b32_e32 v20, 0
	;; [unrolled: 1-line block ×10, first 2 shown]
	s_branch .LBB1612_3
.LBB1612_2:                             ;   in Loop: Header=BB1612_3 Depth=1
	s_or_b64 exec, exec, s[2:3]
	s_waitcnt lgkmcnt(0)
	s_barrier
	ds_read2_b64 v[26:29], v16 offset1:16
	ds_read_b128 v[30:33], v17
	ds_read_b128 v[34:37], v17 offset:16
	ds_read_b128 v[38:41], v17 offset:1024
	ds_read2_b64 v[42:45], v16 offset0:32 offset1:48
	s_add_u32 s4, s4, 8
	s_waitcnt lgkmcnt(3)
	v_mul_f32_e32 v7, v31, v27
	v_fma_f32 v7, v30, v26, -v7
	v_mul_f32_e32 v10, v30, v27
	v_add_f32_e32 v7, v22, v7
	v_mul_f32_e32 v11, v31, v29
	v_mul_f32_e32 v22, v30, v29
	v_fmac_f32_e32 v10, v31, v26
	v_fma_f32 v11, v30, v28, -v11
	v_fmac_f32_e32 v22, v31, v28
	v_add_f32_e32 v10, v23, v10
	v_add_f32_e32 v11, v24, v11
	;; [unrolled: 1-line block ×3, first 2 shown]
	ds_read_b128 v[22:25], v17 offset:1040
	s_waitcnt lgkmcnt(2)
	v_mul_f32_e32 v31, v39, v27
	v_fma_f32 v31, v38, v26, -v31
	v_mul_f32_e32 v27, v38, v27
	v_add_f32_e32 v46, v18, v31
	v_mul_f32_e32 v18, v39, v29
	v_fmac_f32_e32 v27, v39, v26
	v_fma_f32 v18, v38, v28, -v18
	v_add_f32_e32 v47, v19, v27
	v_mul_f32_e32 v19, v38, v29
	v_add_f32_e32 v38, v20, v18
	s_waitcnt lgkmcnt(1)
	v_mul_f32_e32 v18, v33, v43
	v_fma_f32 v31, v32, v42, -v18
	v_mul_f32_e32 v18, v33, v45
	v_mul_f32_e32 v48, v32, v43
	v_fma_f32 v49, v32, v44, -v18
	v_mul_f32_e32 v32, v32, v45
	v_fmac_f32_e32 v48, v33, v42
	v_fmac_f32_e32 v32, v33, v44
	v_add_f32_e32 v10, v10, v48
	v_add_f32_e32 v48, v30, v32
	v_mul_f32_e32 v30, v41, v43
	v_fmac_f32_e32 v19, v39, v28
	v_add_f32_e32 v11, v11, v49
	v_fma_f32 v49, v40, v42, -v30
	v_mul_f32_e32 v43, v40, v43
	v_mul_f32_e32 v30, v41, v45
	v_add_f32_e32 v39, v21, v19
	ds_read_b128 v[18:21], v17 offset:32
	ds_read_b128 v[26:29], v17 offset:48
	v_add_f32_e32 v7, v7, v31
	v_fmac_f32_e32 v43, v41, v42
	v_fma_f32 v42, v40, v44, -v30
	ds_read2_b64 v[30:33], v16 offset0:64 offset1:80
	v_add_f32_e32 v42, v38, v42
	v_mul_f32_e32 v40, v40, v45
	v_fmac_f32_e32 v40, v41, v44
	v_add_f32_e32 v44, v39, v40
	s_waitcnt lgkmcnt(0)
	v_mul_f32_e32 v38, v35, v31
	v_fma_f32 v38, v34, v30, -v38
	v_add_f32_e32 v7, v7, v38
	v_mul_f32_e32 v38, v35, v33
	v_mul_f32_e32 v39, v34, v31
	v_fma_f32 v38, v34, v32, -v38
	v_mul_f32_e32 v34, v34, v33
	v_fmac_f32_e32 v39, v35, v30
	v_fmac_f32_e32 v34, v35, v32
	v_mul_f32_e32 v35, v23, v31
	v_add_f32_e32 v41, v46, v49
	v_fma_f32 v35, v22, v30, -v35
	v_mul_f32_e32 v31, v22, v31
	v_add_f32_e32 v10, v10, v39
	v_add_f32_e32 v11, v11, v38
	v_fmac_f32_e32 v31, v23, v30
	v_add_f32_e32 v30, v41, v35
	ds_read2_b64 v[38:41], v16 offset0:96 offset1:112
	v_mul_f32_e32 v35, v23, v33
	v_fma_f32 v35, v22, v32, -v35
	v_mul_f32_e32 v22, v22, v33
	v_fmac_f32_e32 v22, v23, v32
	s_waitcnt lgkmcnt(0)
	v_mul_f32_e32 v32, v37, v39
	v_fma_f32 v32, v36, v38, -v32
	v_mul_f32_e32 v33, v36, v39
	v_fmac_f32_e32 v33, v37, v38
	v_add_f32_e32 v7, v7, v32
	v_mul_f32_e32 v32, v37, v41
	v_add_f32_e32 v10, v10, v33
	v_fma_f32 v32, v36, v40, -v32
	v_mul_f32_e32 v33, v36, v41
	v_add_f32_e32 v34, v48, v34
	v_fmac_f32_e32 v33, v37, v40
	v_add_f32_e32 v11, v11, v32
	v_mul_f32_e32 v32, v25, v39
	v_add_f32_e32 v43, v47, v43
	v_add_f32_e32 v34, v34, v33
	v_fma_f32 v32, v24, v38, -v32
	v_mul_f32_e32 v33, v24, v39
	v_add_f32_e32 v31, v43, v31
	v_fmac_f32_e32 v33, v25, v38
	v_add_f32_e32 v38, v30, v32
	v_mul_f32_e32 v30, v25, v41
	v_add_f32_e32 v23, v42, v35
	v_add_f32_e32 v39, v31, v33
	v_fma_f32 v35, v24, v40, -v30
	ds_read2_b64 v[30:33], v16 offset0:128 offset1:144
	v_mul_f32_e32 v24, v24, v41
	v_add_f32_e32 v22, v44, v22
	v_fmac_f32_e32 v24, v25, v40
	v_add_f32_e32 v43, v22, v24
	s_waitcnt lgkmcnt(0)
	v_mul_f32_e32 v22, v19, v31
	v_add_f32_e32 v42, v23, v35
	v_fma_f32 v22, v18, v30, -v22
	v_mul_f32_e32 v23, v18, v31
	v_fmac_f32_e32 v23, v19, v30
	v_add_f32_e32 v7, v7, v22
	v_mul_f32_e32 v22, v19, v33
	v_add_f32_e32 v10, v10, v23
	v_fma_f32 v35, v18, v32, -v22
	ds_read_b128 v[22:25], v17 offset:1056
	v_mul_f32_e32 v18, v18, v33
	v_fmac_f32_e32 v18, v19, v32
	v_add_f32_e32 v11, v11, v35
	v_add_f32_e32 v18, v34, v18
	ds_read_b128 v[34:37], v17 offset:1072
	s_waitcnt lgkmcnt(1)
	v_mul_f32_e32 v19, v23, v31
	v_mul_f32_e32 v31, v22, v31
	v_fma_f32 v19, v22, v30, -v19
	v_fmac_f32_e32 v31, v23, v30
	v_add_f32_e32 v19, v38, v19
	v_add_f32_e32 v30, v39, v31
	ds_read2_b64 v[38:41], v16 offset0:160 offset1:176
	v_mul_f32_e32 v31, v23, v33
	v_fma_f32 v31, v22, v32, -v31
	v_mul_f32_e32 v22, v22, v33
	v_fmac_f32_e32 v22, v23, v32
	v_add_f32_e32 v23, v42, v31
	s_waitcnt lgkmcnt(0)
	v_mul_f32_e32 v31, v21, v39
	v_fma_f32 v31, v20, v38, -v31
	v_add_f32_e32 v7, v7, v31
	v_mul_f32_e32 v31, v21, v41
	v_mul_f32_e32 v32, v20, v39
	v_fma_f32 v31, v20, v40, -v31
	v_mul_f32_e32 v20, v20, v41
	v_fmac_f32_e32 v20, v21, v40
	v_add_f32_e32 v11, v11, v31
	v_add_f32_e32 v31, v18, v20
	v_mul_f32_e32 v18, v25, v39
	v_fmac_f32_e32 v32, v21, v38
	v_fma_f32 v18, v24, v38, -v18
	v_mul_f32_e32 v20, v24, v39
	v_add_f32_e32 v10, v10, v32
	v_fmac_f32_e32 v20, v25, v38
	v_add_f32_e32 v32, v19, v18
	v_mul_f32_e32 v18, v25, v41
	v_add_f32_e32 v30, v30, v20
	v_fma_f32 v33, v24, v40, -v18
	ds_read2_b64 v[18:21], v16 offset0:192 offset1:208
	v_mul_f32_e32 v24, v24, v41
	v_add_f32_e32 v22, v43, v22
	v_fmac_f32_e32 v24, v25, v40
	v_add_f32_e32 v22, v22, v24
	s_waitcnt lgkmcnt(0)
	v_mul_f32_e32 v24, v27, v19
	v_fma_f32 v24, v26, v18, -v24
	v_mul_f32_e32 v25, v26, v19
	v_add_f32_e32 v7, v7, v24
	v_mul_f32_e32 v24, v27, v21
	v_fmac_f32_e32 v25, v27, v18
	v_fma_f32 v24, v26, v20, -v24
	v_add_f32_e32 v10, v10, v25
	v_mul_f32_e32 v25, v26, v21
	v_add_f32_e32 v11, v11, v24
	v_mul_f32_e32 v24, v35, v19
	v_mul_f32_e32 v19, v34, v19
	v_fmac_f32_e32 v25, v27, v20
	v_fma_f32 v24, v34, v18, -v24
	v_fmac_f32_e32 v19, v35, v18
	v_add_f32_e32 v23, v23, v33
	v_add_f32_e32 v25, v31, v25
	;; [unrolled: 1-line block ×4, first 2 shown]
	ds_read2_b64 v[30:33], v16 offset0:224 offset1:240
	v_mul_f32_e32 v24, v35, v21
	v_mul_f32_e32 v21, v34, v21
	v_fma_f32 v24, v34, v20, -v24
	v_fmac_f32_e32 v21, v35, v20
	v_add_f32_e32 v20, v23, v24
	v_add_f32_e32 v21, v22, v21
	s_waitcnt lgkmcnt(0)
	v_mul_f32_e32 v22, v29, v31
	v_mul_f32_e32 v23, v28, v31
	v_fma_f32 v22, v28, v30, -v22
	v_fmac_f32_e32 v23, v29, v30
	v_add_f32_e32 v22, v7, v22
	v_add_f32_e32 v23, v10, v23
	v_mul_f32_e32 v7, v29, v33
	v_mul_f32_e32 v10, v28, v33
	v_fma_f32 v7, v28, v32, -v7
	v_fmac_f32_e32 v10, v29, v32
	v_add_f32_e32 v24, v11, v7
	v_add_f32_e32 v25, v25, v10
	v_mul_f32_e32 v7, v37, v31
	v_mul_f32_e32 v10, v36, v31
	v_add_co_u32_e32 v2, vcc, 64, v2
	v_fma_f32 v7, v36, v30, -v7
	v_fmac_f32_e32 v10, v37, v30
	s_addc_u32 s5, s5, 0
	v_addc_co_u32_e32 v3, vcc, 0, v3, vcc
	v_add_f32_e32 v18, v18, v7
	v_add_f32_e32 v19, v19, v10
	v_mul_f32_e32 v7, v37, v33
	v_mul_f32_e32 v10, v36, v33
	v_cmp_ge_i64_e32 vcc, s[4:5], v[8:9]
	v_fma_f32 v7, v36, v32, -v7
	v_fmac_f32_e32 v10, v37, v32
	v_add_co_u32_e64 v4, s[2:3], 64, v4
	v_add_f32_e32 v20, v20, v7
	v_add_f32_e32 v21, v21, v10
	v_addc_co_u32_e64 v5, s[2:3], 0, v5, s[2:3]
	s_barrier
	s_cbranch_vccnz .LBB1612_10
.LBB1612_3:                             ; =>This Inner Loop Header: Depth=1
	v_mov_b32_e32 v7, s5
	v_add_co_u32_e32 v10, vcc, s4, v12
	v_addc_co_u32_e32 v11, vcc, 0, v7, vcc
	v_cmp_gt_i64_e32 vcc, s[12:13], v[10:11]
	v_mov_b32_e32 v10, 0
	s_and_b64 s[16:17], s[0:1], vcc
	v_mov_b32_e32 v11, 0
	s_and_saveexec_b64 s[2:3], s[16:17]
	s_cbranch_execz .LBB1612_5
; %bb.4:                                ;   in Loop: Header=BB1612_3 Depth=1
	flat_load_dwordx2 v[10:11], v[2:3]
.LBB1612_5:                             ;   in Loop: Header=BB1612_3 Depth=1
	s_or_b64 exec, exec, s[2:3]
	v_mov_b32_e32 v7, s5
	v_add_co_u32_e32 v26, vcc, s4, v13
	v_addc_co_u32_e32 v27, vcc, 0, v7, vcc
	v_cmp_le_i64_e32 vcc, s[12:13], v[26:27]
	s_waitcnt vmcnt(0) lgkmcnt(0)
	ds_write_b64 v14, v[10:11]
	s_or_b64 s[2:3], vcc, s[6:7]
	s_and_saveexec_b64 s[16:17], s[2:3]
	s_xor_b64 s[2:3], exec, s[16:17]
; %bb.6:                                ;   in Loop: Header=BB1612_3 Depth=1
	v_mov_b32_e32 v7, v6
	ds_write_b64 v15, v[6:7]
; %bb.7:                                ;   in Loop: Header=BB1612_3 Depth=1
	s_andn2_saveexec_b64 s[2:3], s[2:3]
	s_cbranch_execz .LBB1612_2
; %bb.8:                                ;   in Loop: Header=BB1612_3 Depth=1
	flat_load_dwordx2 v[10:11], v[4:5]
	s_waitcnt vmcnt(0) lgkmcnt(0)
	ds_write_b64 v15, v[10:11]
	s_branch .LBB1612_2
.LBB1612_9:
	v_mov_b32_e32 v22, 0
	v_mov_b32_e32 v23, 0
	;; [unrolled: 1-line block ×8, first 2 shown]
.LBB1612_10:
	v_add_u32_e32 v4, s23, v1
	v_ashrrev_i32_e32 v1, 31, v4
	v_mul_lo_u32 v3, s10, v1
	v_mul_lo_u32 v5, s11, v4
	v_mad_u64_u32 v[1:2], s[0:1], s10, v4, 0
	v_add_u32_e32 v0, s22, v0
	v_cmp_gt_i32_e32 vcc, s24, v4
	v_add3_u32 v2, v2, v3, v5
	v_lshlrev_b64 v[1:2], 3, v[1:2]
	s_waitcnt lgkmcnt(0)
	v_mov_b32_e32 v3, s9
	v_add_co_u32_e64 v5, s[0:1], s8, v1
	v_addc_co_u32_e64 v6, s[0:1], v3, v2, s[0:1]
	v_cmp_le_i32_e64 s[0:1], v0, v4
	s_and_b64 s[0:1], vcc, s[0:1]
	s_and_saveexec_b64 s[2:3], s[0:1]
	s_cbranch_execz .LBB1612_12
; %bb.11:
	v_ashrrev_i32_e32 v1, 31, v0
	v_lshlrev_b64 v[1:2], 3, v[0:1]
	v_mul_f32_e32 v3, s15, v23
	v_add_co_u32_e64 v1, s[0:1], v5, v1
	v_addc_co_u32_e64 v2, s[0:1], v6, v2, s[0:1]
	flat_load_dwordx2 v[7:8], v[1:2]
	v_mul_f32_e32 v9, s14, v23
	v_fma_f32 v3, v22, s14, -v3
	v_fmac_f32_e32 v9, s15, v22
	s_waitcnt vmcnt(0) lgkmcnt(0)
	v_mul_f32_e32 v10, s21, v8
	v_mul_f32_e32 v8, s20, v8
	v_fma_f32 v10, v7, s20, -v10
	v_fmac_f32_e32 v8, s21, v7
	v_add_f32_e32 v7, v3, v10
	v_add_f32_e32 v8, v9, v8
	flat_store_dwordx2 v[1:2], v[7:8]
.LBB1612_12:
	s_or_b64 exec, exec, s[2:3]
	v_add_u32_e32 v2, 16, v0
	v_cmp_le_i32_e64 s[0:1], v2, v4
	s_and_b64 s[2:3], vcc, s[0:1]
	s_and_saveexec_b64 s[0:1], s[2:3]
	s_cbranch_execz .LBB1612_14
; %bb.13:
	v_ashrrev_i32_e32 v3, 31, v2
	v_lshlrev_b64 v[7:8], 3, v[2:3]
	v_mul_f32_e32 v1, s15, v25
	v_add_co_u32_e32 v5, vcc, v5, v7
	v_addc_co_u32_e32 v6, vcc, v6, v8, vcc
	flat_load_dwordx2 v[7:8], v[5:6]
	v_mul_f32_e32 v3, s14, v25
	v_fma_f32 v1, v24, s14, -v1
	v_fmac_f32_e32 v3, s15, v24
	s_waitcnt vmcnt(0) lgkmcnt(0)
	v_mul_f32_e32 v9, s21, v8
	v_mul_f32_e32 v8, s20, v8
	v_fma_f32 v9, v7, s20, -v9
	v_fmac_f32_e32 v8, s21, v7
	v_add_f32_e32 v7, v1, v9
	v_add_f32_e32 v8, v3, v8
	flat_store_dwordx2 v[5:6], v[7:8]
.LBB1612_14:
	s_or_b64 exec, exec, s[0:1]
	v_add_u32_e32 v3, 16, v4
	v_ashrrev_i32_e32 v1, 31, v3
	v_mul_lo_u32 v1, s10, v1
	v_mul_lo_u32 v6, s11, v3
	v_mad_u64_u32 v[4:5], s[0:1], s10, v3, 0
	v_cmp_gt_i32_e32 vcc, s24, v3
	v_add3_u32 v5, v5, v1, v6
	v_lshlrev_b64 v[4:5], 3, v[4:5]
	v_mov_b32_e32 v1, s9
	v_add_co_u32_e64 v4, s[0:1], s8, v4
	v_addc_co_u32_e64 v5, s[0:1], v1, v5, s[0:1]
	v_cmp_le_i32_e64 s[0:1], v0, v3
	s_and_b64 s[0:1], vcc, s[0:1]
	s_and_saveexec_b64 s[2:3], s[0:1]
	s_cbranch_execz .LBB1612_16
; %bb.15:
	v_ashrrev_i32_e32 v1, 31, v0
	v_lshlrev_b64 v[0:1], 3, v[0:1]
	v_mul_f32_e32 v8, s15, v19
	v_add_co_u32_e64 v0, s[0:1], v4, v0
	v_addc_co_u32_e64 v1, s[0:1], v5, v1, s[0:1]
	flat_load_dwordx2 v[6:7], v[0:1]
	v_mul_f32_e32 v9, s14, v19
	v_fma_f32 v8, v18, s14, -v8
	v_fmac_f32_e32 v9, s15, v18
	s_waitcnt vmcnt(0) lgkmcnt(0)
	v_mul_f32_e32 v10, s21, v7
	v_mul_f32_e32 v7, s20, v7
	v_fma_f32 v10, v6, s20, -v10
	v_fmac_f32_e32 v7, s21, v6
	v_add_f32_e32 v6, v8, v10
	v_add_f32_e32 v7, v9, v7
	flat_store_dwordx2 v[0:1], v[6:7]
.LBB1612_16:
	s_or_b64 exec, exec, s[2:3]
	v_cmp_le_i32_e64 s[0:1], v2, v3
	s_and_b64 s[0:1], vcc, s[0:1]
	s_and_saveexec_b64 s[2:3], s[0:1]
	s_cbranch_execz .LBB1612_18
; %bb.17:
	v_ashrrev_i32_e32 v3, 31, v2
	v_lshlrev_b64 v[0:1], 3, v[2:3]
	v_add_co_u32_e32 v0, vcc, v4, v0
	v_addc_co_u32_e32 v1, vcc, v5, v1, vcc
	flat_load_dwordx2 v[2:3], v[0:1]
	v_mul_f32_e32 v4, s15, v21
	v_mul_f32_e32 v5, s14, v21
	v_fma_f32 v4, v20, s14, -v4
	v_fmac_f32_e32 v5, s15, v20
	s_waitcnt vmcnt(0) lgkmcnt(0)
	v_mul_f32_e32 v6, s21, v3
	v_mul_f32_e32 v3, s20, v3
	v_fma_f32 v6, v2, s20, -v6
	v_fmac_f32_e32 v3, s21, v2
	v_add_f32_e32 v2, v4, v6
	v_add_f32_e32 v3, v5, v3
	flat_store_dwordx2 v[0:1], v[2:3]
.LBB1612_18:
	s_endpgm
	.section	.rodata,"a",@progbits
	.p2align	6, 0x0
	.amdhsa_kernel _ZL34rocblas_syrkx_herkx_general_kernelIl19rocblas_complex_numIfELi16ELi32ELi8ELb0ELb0ELc67ELc85EKPKS1_KPS1_EviT_T0_PT8_S7_lSA_S7_lS8_PT9_S7_li
		.amdhsa_group_segment_fixed_size 4096
		.amdhsa_private_segment_fixed_size 0
		.amdhsa_kernarg_size 108
		.amdhsa_user_sgpr_count 6
		.amdhsa_user_sgpr_private_segment_buffer 1
		.amdhsa_user_sgpr_dispatch_ptr 0
		.amdhsa_user_sgpr_queue_ptr 0
		.amdhsa_user_sgpr_kernarg_segment_ptr 1
		.amdhsa_user_sgpr_dispatch_id 0
		.amdhsa_user_sgpr_flat_scratch_init 0
		.amdhsa_user_sgpr_private_segment_size 0
		.amdhsa_uses_dynamic_stack 0
		.amdhsa_system_sgpr_private_segment_wavefront_offset 0
		.amdhsa_system_sgpr_workgroup_id_x 1
		.amdhsa_system_sgpr_workgroup_id_y 1
		.amdhsa_system_sgpr_workgroup_id_z 1
		.amdhsa_system_sgpr_workgroup_info 0
		.amdhsa_system_vgpr_workitem_id 1
		.amdhsa_next_free_vgpr 50
		.amdhsa_next_free_sgpr 25
		.amdhsa_reserve_vcc 1
		.amdhsa_reserve_flat_scratch 0
		.amdhsa_float_round_mode_32 0
		.amdhsa_float_round_mode_16_64 0
		.amdhsa_float_denorm_mode_32 3
		.amdhsa_float_denorm_mode_16_64 3
		.amdhsa_dx10_clamp 1
		.amdhsa_ieee_mode 1
		.amdhsa_fp16_overflow 0
		.amdhsa_exception_fp_ieee_invalid_op 0
		.amdhsa_exception_fp_denorm_src 0
		.amdhsa_exception_fp_ieee_div_zero 0
		.amdhsa_exception_fp_ieee_overflow 0
		.amdhsa_exception_fp_ieee_underflow 0
		.amdhsa_exception_fp_ieee_inexact 0
		.amdhsa_exception_int_div_zero 0
	.end_amdhsa_kernel
	.section	.text._ZL34rocblas_syrkx_herkx_general_kernelIl19rocblas_complex_numIfELi16ELi32ELi8ELb0ELb0ELc67ELc85EKPKS1_KPS1_EviT_T0_PT8_S7_lSA_S7_lS8_PT9_S7_li,"axG",@progbits,_ZL34rocblas_syrkx_herkx_general_kernelIl19rocblas_complex_numIfELi16ELi32ELi8ELb0ELb0ELc67ELc85EKPKS1_KPS1_EviT_T0_PT8_S7_lSA_S7_lS8_PT9_S7_li,comdat
.Lfunc_end1612:
	.size	_ZL34rocblas_syrkx_herkx_general_kernelIl19rocblas_complex_numIfELi16ELi32ELi8ELb0ELb0ELc67ELc85EKPKS1_KPS1_EviT_T0_PT8_S7_lSA_S7_lS8_PT9_S7_li, .Lfunc_end1612-_ZL34rocblas_syrkx_herkx_general_kernelIl19rocblas_complex_numIfELi16ELi32ELi8ELb0ELb0ELc67ELc85EKPKS1_KPS1_EviT_T0_PT8_S7_lSA_S7_lS8_PT9_S7_li
                                        ; -- End function
	.set _ZL34rocblas_syrkx_herkx_general_kernelIl19rocblas_complex_numIfELi16ELi32ELi8ELb0ELb0ELc67ELc85EKPKS1_KPS1_EviT_T0_PT8_S7_lSA_S7_lS8_PT9_S7_li.num_vgpr, 50
	.set _ZL34rocblas_syrkx_herkx_general_kernelIl19rocblas_complex_numIfELi16ELi32ELi8ELb0ELb0ELc67ELc85EKPKS1_KPS1_EviT_T0_PT8_S7_lSA_S7_lS8_PT9_S7_li.num_agpr, 0
	.set _ZL34rocblas_syrkx_herkx_general_kernelIl19rocblas_complex_numIfELi16ELi32ELi8ELb0ELb0ELc67ELc85EKPKS1_KPS1_EviT_T0_PT8_S7_lSA_S7_lS8_PT9_S7_li.numbered_sgpr, 25
	.set _ZL34rocblas_syrkx_herkx_general_kernelIl19rocblas_complex_numIfELi16ELi32ELi8ELb0ELb0ELc67ELc85EKPKS1_KPS1_EviT_T0_PT8_S7_lSA_S7_lS8_PT9_S7_li.num_named_barrier, 0
	.set _ZL34rocblas_syrkx_herkx_general_kernelIl19rocblas_complex_numIfELi16ELi32ELi8ELb0ELb0ELc67ELc85EKPKS1_KPS1_EviT_T0_PT8_S7_lSA_S7_lS8_PT9_S7_li.private_seg_size, 0
	.set _ZL34rocblas_syrkx_herkx_general_kernelIl19rocblas_complex_numIfELi16ELi32ELi8ELb0ELb0ELc67ELc85EKPKS1_KPS1_EviT_T0_PT8_S7_lSA_S7_lS8_PT9_S7_li.uses_vcc, 1
	.set _ZL34rocblas_syrkx_herkx_general_kernelIl19rocblas_complex_numIfELi16ELi32ELi8ELb0ELb0ELc67ELc85EKPKS1_KPS1_EviT_T0_PT8_S7_lSA_S7_lS8_PT9_S7_li.uses_flat_scratch, 0
	.set _ZL34rocblas_syrkx_herkx_general_kernelIl19rocblas_complex_numIfELi16ELi32ELi8ELb0ELb0ELc67ELc85EKPKS1_KPS1_EviT_T0_PT8_S7_lSA_S7_lS8_PT9_S7_li.has_dyn_sized_stack, 0
	.set _ZL34rocblas_syrkx_herkx_general_kernelIl19rocblas_complex_numIfELi16ELi32ELi8ELb0ELb0ELc67ELc85EKPKS1_KPS1_EviT_T0_PT8_S7_lSA_S7_lS8_PT9_S7_li.has_recursion, 0
	.set _ZL34rocblas_syrkx_herkx_general_kernelIl19rocblas_complex_numIfELi16ELi32ELi8ELb0ELb0ELc67ELc85EKPKS1_KPS1_EviT_T0_PT8_S7_lSA_S7_lS8_PT9_S7_li.has_indirect_call, 0
	.section	.AMDGPU.csdata,"",@progbits
; Kernel info:
; codeLenInByte = 2356
; TotalNumSgprs: 29
; NumVgprs: 50
; ScratchSize: 0
; MemoryBound: 1
; FloatMode: 240
; IeeeMode: 1
; LDSByteSize: 4096 bytes/workgroup (compile time only)
; SGPRBlocks: 3
; VGPRBlocks: 12
; NumSGPRsForWavesPerEU: 29
; NumVGPRsForWavesPerEU: 50
; Occupancy: 4
; WaveLimiterHint : 1
; COMPUTE_PGM_RSRC2:SCRATCH_EN: 0
; COMPUTE_PGM_RSRC2:USER_SGPR: 6
; COMPUTE_PGM_RSRC2:TRAP_HANDLER: 0
; COMPUTE_PGM_RSRC2:TGID_X_EN: 1
; COMPUTE_PGM_RSRC2:TGID_Y_EN: 1
; COMPUTE_PGM_RSRC2:TGID_Z_EN: 1
; COMPUTE_PGM_RSRC2:TIDIG_COMP_CNT: 1
	.section	.text._ZL34rocblas_syrkx_herkx_general_kernelIl19rocblas_complex_numIfELi16ELi32ELi8ELb0ELb0ELc78ELc85EKPKS1_KPS1_EviT_T0_PT8_S7_lSA_S7_lS8_PT9_S7_li,"axG",@progbits,_ZL34rocblas_syrkx_herkx_general_kernelIl19rocblas_complex_numIfELi16ELi32ELi8ELb0ELb0ELc78ELc85EKPKS1_KPS1_EviT_T0_PT8_S7_lSA_S7_lS8_PT9_S7_li,comdat
	.globl	_ZL34rocblas_syrkx_herkx_general_kernelIl19rocblas_complex_numIfELi16ELi32ELi8ELb0ELb0ELc78ELc85EKPKS1_KPS1_EviT_T0_PT8_S7_lSA_S7_lS8_PT9_S7_li ; -- Begin function _ZL34rocblas_syrkx_herkx_general_kernelIl19rocblas_complex_numIfELi16ELi32ELi8ELb0ELb0ELc78ELc85EKPKS1_KPS1_EviT_T0_PT8_S7_lSA_S7_lS8_PT9_S7_li
	.p2align	8
	.type	_ZL34rocblas_syrkx_herkx_general_kernelIl19rocblas_complex_numIfELi16ELi32ELi8ELb0ELb0ELc78ELc85EKPKS1_KPS1_EviT_T0_PT8_S7_lSA_S7_lS8_PT9_S7_li,@function
_ZL34rocblas_syrkx_herkx_general_kernelIl19rocblas_complex_numIfELi16ELi32ELi8ELb0ELb0ELc78ELc85EKPKS1_KPS1_EviT_T0_PT8_S7_lSA_S7_lS8_PT9_S7_li: ; @_ZL34rocblas_syrkx_herkx_general_kernelIl19rocblas_complex_numIfELi16ELi32ELi8ELb0ELb0ELc78ELc85EKPKS1_KPS1_EviT_T0_PT8_S7_lSA_S7_lS8_PT9_S7_li
; %bb.0:
	s_load_dwordx2 s[10:11], s[4:5], 0x58
	s_load_dwordx4 s[20:23], s[4:5], 0x48
	s_load_dword s24, s[4:5], 0x0
	s_load_dwordx8 s[12:19], s[4:5], 0x8
	s_mov_b32 s9, 0
	s_lshl_b64 s[0:1], s[8:9], 3
	s_waitcnt lgkmcnt(0)
	s_add_u32 s2, s22, s0
	s_addc_u32 s3, s23, s1
	s_load_dwordx2 s[8:9], s[2:3], 0x0
	v_cmp_lt_i64_e64 s[2:3], s[12:13], 1
	s_lshl_b32 s22, s6, 5
	s_lshl_b32 s23, s7, 5
	s_and_b64 vcc, exec, s[2:3]
	s_cbranch_vccnz .LBB1613_9
; %bb.1:
	s_load_dwordx4 s[4:7], s[4:5], 0x30
	v_lshl_add_u32 v2, v1, 4, v0
	v_and_b32_e32 v8, 31, v2
	v_lshrrev_b32_e32 v5, 3, v2
	v_or_b32_e32 v3, s22, v8
	s_waitcnt lgkmcnt(0)
	s_add_u32 s2, s4, s0
	v_lshrrev_b32_e32 v12, 5, v2
	s_addc_u32 s3, s5, s1
	v_lshlrev_b32_e32 v2, 3, v8
	s_load_dwordx2 s[26:27], s[2:3], 0x0
	v_cmp_gt_i32_e32 vcc, s24, v3
	v_lshl_or_b32 v14, v12, 8, v2
	v_mad_u64_u32 v[2:3], s[2:3], s18, v12, 0
	v_and_b32_e32 v13, 7, v0
	v_add_u32_e32 v4, s23, v5
	v_lshlrev_b32_e32 v6, 3, v13
	v_lshl_or_b32 v5, v5, 6, v6
	v_mad_u64_u32 v[6:7], s[2:3], s19, v12, v[3:4]
	v_mov_b32_e32 v3, 0x800
	v_lshl_add_u32 v17, v1, 6, v3
	v_mov_b32_e32 v3, v6
	v_add_u32_e32 v6, s22, v8
	v_ashrrev_i32_e32 v7, 31, v6
	v_mad_u64_u32 v[8:9], s[2:3], s6, v13, 0
	v_lshlrev_b64 v[2:3], 3, v[2:3]
	v_lshlrev_b64 v[6:7], 3, v[6:7]
	s_add_u32 s0, s16, s0
	v_add_co_u32_e64 v10, s[2:3], v2, v6
	s_addc_u32 s1, s17, s1
	v_addc_co_u32_e64 v3, s[2:3], v3, v7, s[2:3]
	v_mov_b32_e32 v2, v9
	s_load_dwordx2 s[4:5], s[0:1], 0x0
	v_mad_u64_u32 v[6:7], s[2:3], s7, v13, v[2:3]
	v_add_u32_e32 v15, 0x800, v5
	v_ashrrev_i32_e32 v5, 31, v4
	v_mov_b32_e32 v9, v6
	v_cmp_gt_i32_e64 s[0:1], s24, v4
	s_waitcnt lgkmcnt(0)
	v_mov_b32_e32 v11, s5
	v_add_co_u32_e64 v2, s[2:3], s4, v10
	v_lshlrev_b64 v[6:7], 3, v[8:9]
	v_lshlrev_b64 v[4:5], 3, v[4:5]
	v_addc_co_u32_e64 v3, s[2:3], v11, v3, s[2:3]
	v_add_co_u32_e64 v4, s[2:3], v6, v4
	v_addc_co_u32_e64 v5, s[2:3], v7, v5, s[2:3]
	s_lshl_b64 s[4:5], s[18:19], 6
	v_mov_b32_e32 v6, s27
	v_add_co_u32_e64 v4, s[2:3], s26, v4
	s_lshl_b64 s[6:7], s[6:7], 6
	v_mov_b32_e32 v8, s12
	v_lshlrev_b32_e32 v16, 3, v0
	v_addc_co_u32_e64 v5, s[2:3], v6, v5, s[2:3]
	s_mov_b64 s[16:17], 0
	s_xor_b64 s[18:19], vcc, -1
	v_mov_b32_e32 v18, s5
	v_mov_b32_e32 v19, s7
	;; [unrolled: 1-line block ×12, first 2 shown]
	s_branch .LBB1613_3
.LBB1613_2:                             ;   in Loop: Header=BB1613_3 Depth=1
	s_or_b64 exec, exec, s[2:3]
	s_waitcnt vmcnt(0) lgkmcnt(0)
	ds_write_b64 v15, v[10:11]
	s_waitcnt lgkmcnt(0)
	s_barrier
	ds_read2_b64 v[28:31], v16 offset1:16
	ds_read_b128 v[32:35], v17
	ds_read_b128 v[36:39], v17 offset:16
	ds_read_b128 v[40:43], v17 offset:1024
	s_add_u32 s16, s16, 8
	v_add_co_u32_e32 v2, vcc, s4, v2
	s_waitcnt lgkmcnt(2)
	v_mul_f32_e32 v7, v33, v29
	v_fma_f32 v7, v32, v28, -v7
	v_mul_f32_e32 v10, v32, v29
	v_add_f32_e32 v7, v26, v7
	v_mul_f32_e32 v11, v33, v31
	v_mul_f32_e32 v26, v32, v31
	v_fmac_f32_e32 v10, v33, v28
	v_fma_f32 v11, v32, v30, -v11
	v_fmac_f32_e32 v26, v33, v30
	v_add_f32_e32 v10, v27, v10
	v_add_f32_e32 v11, v24, v11
	;; [unrolled: 1-line block ×3, first 2 shown]
	ds_read_b128 v[24:27], v17 offset:1040
	s_waitcnt lgkmcnt(1)
	v_mul_f32_e32 v33, v41, v29
	v_mul_f32_e32 v44, v40, v29
	v_fma_f32 v33, v40, v28, -v33
	v_fmac_f32_e32 v44, v41, v28
	v_mul_f32_e32 v28, v41, v31
	v_fma_f32 v45, v40, v30, -v28
	v_mul_f32_e32 v40, v40, v31
	v_fmac_f32_e32 v40, v41, v30
	ds_read2_b64 v[28:31], v16 offset0:32 offset1:48
	v_add_f32_e32 v20, v20, v33
	v_add_f32_e32 v33, v22, v45
	;; [unrolled: 1-line block ×4, first 2 shown]
	s_waitcnt lgkmcnt(0)
	v_mul_f32_e32 v22, v35, v29
	v_fma_f32 v22, v34, v28, -v22
	v_mul_f32_e32 v23, v34, v29
	v_fmac_f32_e32 v23, v35, v28
	v_add_f32_e32 v7, v7, v22
	v_mul_f32_e32 v22, v35, v31
	v_add_f32_e32 v10, v10, v23
	v_fma_f32 v22, v34, v30, -v22
	v_mul_f32_e32 v23, v34, v31
	v_fmac_f32_e32 v23, v35, v30
	v_add_f32_e32 v11, v11, v22
	v_mul_f32_e32 v22, v43, v29
	v_add_f32_e32 v32, v32, v23
	;; [unrolled: 6-line block ×3, first 2 shown]
	v_fma_f32 v34, v42, v30, -v20
	ds_read2_b64 v[20:23], v16 offset0:64 offset1:80
	v_mul_f32_e32 v31, v42, v31
	v_fmac_f32_e32 v31, v43, v30
	v_add_f32_e32 v33, v33, v34
	v_add_f32_e32 v34, v40, v31
	s_waitcnt lgkmcnt(0)
	v_mul_f32_e32 v30, v37, v21
	v_fma_f32 v30, v36, v20, -v30
	v_mul_f32_e32 v31, v36, v21
	v_add_f32_e32 v7, v7, v30
	v_mul_f32_e32 v30, v37, v23
	v_fmac_f32_e32 v31, v37, v20
	v_fma_f32 v30, v36, v22, -v30
	v_add_f32_e32 v10, v10, v31
	v_mul_f32_e32 v31, v36, v23
	v_add_f32_e32 v11, v11, v30
	v_mul_f32_e32 v30, v25, v21
	v_mul_f32_e32 v21, v24, v21
	v_fmac_f32_e32 v31, v37, v22
	v_fma_f32 v30, v24, v20, -v30
	v_fmac_f32_e32 v21, v25, v20
	v_add_f32_e32 v32, v32, v31
	v_add_f32_e32 v35, v28, v30
	;; [unrolled: 1-line block ×3, first 2 shown]
	ds_read2_b64 v[28:31], v16 offset0:96 offset1:112
	v_mul_f32_e32 v20, v25, v23
	v_fma_f32 v37, v24, v22, -v20
	v_mul_f32_e32 v24, v24, v23
	v_fmac_f32_e32 v24, v25, v22
	v_add_f32_e32 v24, v34, v24
	s_waitcnt lgkmcnt(0)
	v_mul_f32_e32 v34, v38, v29
	v_fmac_f32_e32 v34, v39, v28
	v_add_f32_e32 v25, v33, v37
	v_mul_f32_e32 v33, v39, v29
	v_add_f32_e32 v10, v10, v34
	v_mul_f32_e32 v34, v38, v31
	v_fma_f32 v33, v38, v28, -v33
	v_fmac_f32_e32 v34, v39, v30
	v_add_f32_e32 v7, v7, v33
	v_mul_f32_e32 v33, v39, v31
	v_add_f32_e32 v40, v32, v34
	v_mul_f32_e32 v32, v27, v29
	v_fma_f32 v33, v38, v30, -v33
	v_fma_f32 v32, v26, v28, -v32
	ds_read_b128 v[20:23], v17 offset:32
	v_add_f32_e32 v11, v11, v33
	v_add_f32_e32 v44, v35, v32
	ds_read2_b64 v[32:35], v16 offset0:128 offset1:144
	v_mul_f32_e32 v29, v26, v29
	v_fmac_f32_e32 v29, v27, v28
	v_mul_f32_e32 v28, v27, v31
	v_fma_f32 v28, v26, v30, -v28
	v_mul_f32_e32 v26, v26, v31
	v_fmac_f32_e32 v26, v27, v30
	v_add_f32_e32 v45, v36, v29
	v_add_f32_e32 v25, v25, v28
	;; [unrolled: 1-line block ×3, first 2 shown]
	ds_read_b128 v[26:29], v17 offset:48
	s_waitcnt lgkmcnt(1)
	v_mul_f32_e32 v30, v21, v33
	ds_read_b128 v[36:39], v17 offset:1056
	v_fma_f32 v30, v20, v32, -v30
	v_add_f32_e32 v7, v7, v30
	v_mul_f32_e32 v30, v21, v35
	v_mul_f32_e32 v31, v20, v33
	v_fma_f32 v30, v20, v34, -v30
	v_mul_f32_e32 v20, v20, v35
	v_fmac_f32_e32 v20, v21, v34
	v_fmac_f32_e32 v31, v21, v32
	v_add_f32_e32 v11, v11, v30
	v_add_f32_e32 v20, v40, v20
	ds_read_b128 v[40:43], v17 offset:1072
	s_waitcnt lgkmcnt(1)
	v_mul_f32_e32 v21, v37, v33
	v_mul_f32_e32 v46, v36, v33
	;; [unrolled: 1-line block ×3, first 2 shown]
	v_add_f32_e32 v10, v10, v31
	v_fma_f32 v21, v36, v32, -v21
	v_fmac_f32_e32 v46, v37, v32
	v_fma_f32 v47, v36, v34, -v30
	ds_read2_b64 v[30:33], v16 offset0:160 offset1:176
	v_mul_f32_e32 v35, v36, v35
	v_fmac_f32_e32 v35, v37, v34
	v_add_f32_e32 v24, v24, v35
	v_add_f32_e32 v21, v44, v21
	s_waitcnt lgkmcnt(0)
	v_mul_f32_e32 v35, v23, v31
	v_fma_f32 v35, v22, v30, -v35
	v_add_f32_e32 v7, v7, v35
	v_mul_f32_e32 v35, v23, v33
	v_mul_f32_e32 v36, v22, v31
	v_fma_f32 v35, v22, v32, -v35
	v_mul_f32_e32 v22, v22, v33
	v_fmac_f32_e32 v22, v23, v32
	v_add_f32_e32 v11, v11, v35
	v_add_f32_e32 v35, v20, v22
	v_mul_f32_e32 v20, v39, v31
	v_fma_f32 v20, v38, v30, -v20
	v_mul_f32_e32 v22, v38, v31
	v_add_f32_e32 v34, v45, v46
	v_fmac_f32_e32 v36, v23, v30
	v_fmac_f32_e32 v22, v39, v30
	v_add_f32_e32 v30, v21, v20
	v_mul_f32_e32 v20, v39, v33
	v_add_f32_e32 v31, v34, v22
	v_fma_f32 v34, v38, v32, -v20
	ds_read2_b64 v[20:23], v16 offset0:192 offset1:208
	v_mul_f32_e32 v33, v38, v33
	v_fmac_f32_e32 v33, v39, v32
	v_add_f32_e32 v24, v24, v33
	v_add_f32_e32 v25, v25, v47
	s_waitcnt lgkmcnt(0)
	v_mul_f32_e32 v32, v27, v21
	v_fma_f32 v32, v26, v20, -v32
	v_add_f32_e32 v7, v7, v32
	v_mul_f32_e32 v32, v27, v23
	v_mul_f32_e32 v33, v26, v21
	v_fma_f32 v32, v26, v22, -v32
	v_mul_f32_e32 v26, v26, v23
	v_fmac_f32_e32 v26, v27, v22
	v_add_f32_e32 v25, v25, v34
	v_add_f32_e32 v34, v35, v26
	v_mul_f32_e32 v26, v41, v21
	v_mul_f32_e32 v21, v40, v21
	v_add_f32_e32 v10, v10, v36
	v_fmac_f32_e32 v33, v27, v20
	v_fma_f32 v26, v40, v20, -v26
	v_fmac_f32_e32 v21, v41, v20
	v_add_f32_e32 v10, v10, v33
	v_add_f32_e32 v11, v11, v32
	v_add_f32_e32 v20, v30, v26
	v_add_f32_e32 v21, v31, v21
	ds_read2_b64 v[30:33], v16 offset0:224 offset1:240
	v_mul_f32_e32 v26, v41, v23
	v_mul_f32_e32 v23, v40, v23
	v_fma_f32 v26, v40, v22, -v26
	v_fmac_f32_e32 v23, v41, v22
	v_add_f32_e32 v22, v25, v26
	v_add_f32_e32 v23, v24, v23
	s_waitcnt lgkmcnt(0)
	v_mul_f32_e32 v24, v29, v31
	v_mul_f32_e32 v25, v28, v31
	v_fma_f32 v24, v28, v30, -v24
	v_fmac_f32_e32 v25, v29, v30
	v_add_f32_e32 v26, v7, v24
	v_add_f32_e32 v27, v10, v25
	v_mul_f32_e32 v7, v29, v33
	v_mul_f32_e32 v10, v28, v33
	v_fma_f32 v7, v28, v32, -v7
	v_fmac_f32_e32 v10, v29, v32
	v_add_f32_e32 v24, v11, v7
	v_add_f32_e32 v25, v34, v10
	v_mul_f32_e32 v7, v43, v31
	v_mul_f32_e32 v10, v42, v31
	v_fma_f32 v7, v42, v30, -v7
	v_fmac_f32_e32 v10, v43, v30
	s_addc_u32 s17, s17, 0
	v_addc_co_u32_e32 v3, vcc, v3, v18, vcc
	v_add_f32_e32 v20, v20, v7
	v_add_f32_e32 v21, v21, v10
	v_mul_f32_e32 v7, v43, v33
	v_mul_f32_e32 v10, v42, v33
	v_cmp_ge_i64_e32 vcc, s[16:17], v[8:9]
	v_fma_f32 v7, v42, v32, -v7
	v_fmac_f32_e32 v10, v43, v32
	v_add_co_u32_e64 v4, s[2:3], s6, v4
	v_add_f32_e32 v22, v22, v7
	v_add_f32_e32 v23, v23, v10
	v_addc_co_u32_e64 v5, s[2:3], v5, v19, s[2:3]
	s_barrier
	s_cbranch_vccnz .LBB1613_10
.LBB1613_3:                             ; =>This Inner Loop Header: Depth=1
	v_mov_b32_e32 v7, s17
	v_add_co_u32_e32 v10, vcc, s16, v12
	v_addc_co_u32_e32 v11, vcc, 0, v7, vcc
	v_cmp_le_i64_e32 vcc, s[12:13], v[10:11]
	s_or_b64 s[2:3], s[18:19], vcc
	s_and_saveexec_b64 s[26:27], s[2:3]
	s_xor_b64 s[2:3], exec, s[26:27]
; %bb.4:                                ;   in Loop: Header=BB1613_3 Depth=1
	v_mov_b32_e32 v7, v6
	ds_write_b64 v14, v[6:7]
; %bb.5:                                ;   in Loop: Header=BB1613_3 Depth=1
	s_andn2_saveexec_b64 s[2:3], s[2:3]
	s_cbranch_execz .LBB1613_7
; %bb.6:                                ;   in Loop: Header=BB1613_3 Depth=1
	flat_load_dwordx2 v[10:11], v[2:3]
	s_waitcnt vmcnt(0) lgkmcnt(0)
	ds_write_b64 v14, v[10:11]
.LBB1613_7:                             ;   in Loop: Header=BB1613_3 Depth=1
	s_or_b64 exec, exec, s[2:3]
	v_mov_b32_e32 v7, s17
	v_add_co_u32_e32 v10, vcc, s16, v13
	v_addc_co_u32_e32 v11, vcc, 0, v7, vcc
	v_cmp_gt_i64_e32 vcc, s[12:13], v[10:11]
	v_mov_b32_e32 v10, 0
	s_and_b64 s[26:27], vcc, s[0:1]
	v_mov_b32_e32 v11, 0
	s_and_saveexec_b64 s[2:3], s[26:27]
	s_cbranch_execz .LBB1613_2
; %bb.8:                                ;   in Loop: Header=BB1613_3 Depth=1
	flat_load_dwordx2 v[10:11], v[4:5]
	s_branch .LBB1613_2
.LBB1613_9:
	v_mov_b32_e32 v26, 0
	v_mov_b32_e32 v27, 0
	;; [unrolled: 1-line block ×8, first 2 shown]
.LBB1613_10:
	v_add_u32_e32 v4, s23, v1
	v_ashrrev_i32_e32 v1, 31, v4
	v_mul_lo_u32 v3, s10, v1
	v_mul_lo_u32 v5, s11, v4
	v_mad_u64_u32 v[1:2], s[0:1], s10, v4, 0
	v_add_u32_e32 v0, s22, v0
	v_cmp_gt_i32_e32 vcc, s24, v4
	v_add3_u32 v2, v2, v3, v5
	v_lshlrev_b64 v[1:2], 3, v[1:2]
	s_waitcnt lgkmcnt(0)
	v_mov_b32_e32 v3, s9
	v_add_co_u32_e64 v5, s[0:1], s8, v1
	v_addc_co_u32_e64 v6, s[0:1], v3, v2, s[0:1]
	v_cmp_le_i32_e64 s[0:1], v0, v4
	s_and_b64 s[0:1], vcc, s[0:1]
	s_and_saveexec_b64 s[2:3], s[0:1]
	s_cbranch_execz .LBB1613_12
; %bb.11:
	v_ashrrev_i32_e32 v1, 31, v0
	v_lshlrev_b64 v[1:2], 3, v[0:1]
	v_mul_f32_e32 v3, s15, v27
	v_add_co_u32_e64 v1, s[0:1], v5, v1
	v_addc_co_u32_e64 v2, s[0:1], v6, v2, s[0:1]
	flat_load_dwordx2 v[7:8], v[1:2]
	v_mul_f32_e32 v9, s14, v27
	v_fma_f32 v3, v26, s14, -v3
	v_fmac_f32_e32 v9, s15, v26
	s_waitcnt vmcnt(0) lgkmcnt(0)
	v_mul_f32_e32 v10, s21, v8
	v_mul_f32_e32 v8, s20, v8
	v_fma_f32 v10, v7, s20, -v10
	v_fmac_f32_e32 v8, s21, v7
	v_add_f32_e32 v7, v3, v10
	v_add_f32_e32 v8, v9, v8
	flat_store_dwordx2 v[1:2], v[7:8]
.LBB1613_12:
	s_or_b64 exec, exec, s[2:3]
	v_add_u32_e32 v2, 16, v0
	v_cmp_le_i32_e64 s[0:1], v2, v4
	s_and_b64 s[2:3], vcc, s[0:1]
	s_and_saveexec_b64 s[0:1], s[2:3]
	s_cbranch_execz .LBB1613_14
; %bb.13:
	v_ashrrev_i32_e32 v3, 31, v2
	v_lshlrev_b64 v[7:8], 3, v[2:3]
	v_mul_f32_e32 v1, s15, v25
	v_add_co_u32_e32 v5, vcc, v5, v7
	v_addc_co_u32_e32 v6, vcc, v6, v8, vcc
	flat_load_dwordx2 v[7:8], v[5:6]
	v_mul_f32_e32 v3, s14, v25
	v_fma_f32 v1, v24, s14, -v1
	v_fmac_f32_e32 v3, s15, v24
	s_waitcnt vmcnt(0) lgkmcnt(0)
	v_mul_f32_e32 v9, s21, v8
	v_mul_f32_e32 v8, s20, v8
	v_fma_f32 v9, v7, s20, -v9
	v_fmac_f32_e32 v8, s21, v7
	v_add_f32_e32 v7, v1, v9
	v_add_f32_e32 v8, v3, v8
	flat_store_dwordx2 v[5:6], v[7:8]
.LBB1613_14:
	s_or_b64 exec, exec, s[0:1]
	v_add_u32_e32 v3, 16, v4
	v_ashrrev_i32_e32 v1, 31, v3
	v_mul_lo_u32 v1, s10, v1
	v_mul_lo_u32 v6, s11, v3
	v_mad_u64_u32 v[4:5], s[0:1], s10, v3, 0
	v_cmp_gt_i32_e32 vcc, s24, v3
	v_add3_u32 v5, v5, v1, v6
	v_lshlrev_b64 v[4:5], 3, v[4:5]
	v_mov_b32_e32 v1, s9
	v_add_co_u32_e64 v4, s[0:1], s8, v4
	v_addc_co_u32_e64 v5, s[0:1], v1, v5, s[0:1]
	v_cmp_le_i32_e64 s[0:1], v0, v3
	s_and_b64 s[0:1], vcc, s[0:1]
	s_and_saveexec_b64 s[2:3], s[0:1]
	s_cbranch_execz .LBB1613_16
; %bb.15:
	v_ashrrev_i32_e32 v1, 31, v0
	v_lshlrev_b64 v[0:1], 3, v[0:1]
	v_mul_f32_e32 v8, s15, v21
	v_add_co_u32_e64 v0, s[0:1], v4, v0
	v_addc_co_u32_e64 v1, s[0:1], v5, v1, s[0:1]
	flat_load_dwordx2 v[6:7], v[0:1]
	v_mul_f32_e32 v9, s14, v21
	v_fma_f32 v8, v20, s14, -v8
	v_fmac_f32_e32 v9, s15, v20
	s_waitcnt vmcnt(0) lgkmcnt(0)
	v_mul_f32_e32 v10, s21, v7
	v_mul_f32_e32 v7, s20, v7
	v_fma_f32 v10, v6, s20, -v10
	v_fmac_f32_e32 v7, s21, v6
	v_add_f32_e32 v6, v8, v10
	v_add_f32_e32 v7, v9, v7
	flat_store_dwordx2 v[0:1], v[6:7]
.LBB1613_16:
	s_or_b64 exec, exec, s[2:3]
	v_cmp_le_i32_e64 s[0:1], v2, v3
	s_and_b64 s[0:1], vcc, s[0:1]
	s_and_saveexec_b64 s[2:3], s[0:1]
	s_cbranch_execz .LBB1613_18
; %bb.17:
	v_ashrrev_i32_e32 v3, 31, v2
	v_lshlrev_b64 v[0:1], 3, v[2:3]
	v_add_co_u32_e32 v0, vcc, v4, v0
	v_addc_co_u32_e32 v1, vcc, v5, v1, vcc
	flat_load_dwordx2 v[2:3], v[0:1]
	v_mul_f32_e32 v4, s15, v23
	v_mul_f32_e32 v5, s14, v23
	v_fma_f32 v4, v22, s14, -v4
	v_fmac_f32_e32 v5, s15, v22
	s_waitcnt vmcnt(0) lgkmcnt(0)
	v_mul_f32_e32 v6, s21, v3
	v_mul_f32_e32 v3, s20, v3
	v_fma_f32 v6, v2, s20, -v6
	v_fmac_f32_e32 v3, s21, v2
	v_add_f32_e32 v2, v4, v6
	v_add_f32_e32 v3, v5, v3
	flat_store_dwordx2 v[0:1], v[2:3]
.LBB1613_18:
	s_endpgm
	.section	.rodata,"a",@progbits
	.p2align	6, 0x0
	.amdhsa_kernel _ZL34rocblas_syrkx_herkx_general_kernelIl19rocblas_complex_numIfELi16ELi32ELi8ELb0ELb0ELc78ELc85EKPKS1_KPS1_EviT_T0_PT8_S7_lSA_S7_lS8_PT9_S7_li
		.amdhsa_group_segment_fixed_size 4096
		.amdhsa_private_segment_fixed_size 0
		.amdhsa_kernarg_size 108
		.amdhsa_user_sgpr_count 6
		.amdhsa_user_sgpr_private_segment_buffer 1
		.amdhsa_user_sgpr_dispatch_ptr 0
		.amdhsa_user_sgpr_queue_ptr 0
		.amdhsa_user_sgpr_kernarg_segment_ptr 1
		.amdhsa_user_sgpr_dispatch_id 0
		.amdhsa_user_sgpr_flat_scratch_init 0
		.amdhsa_user_sgpr_private_segment_size 0
		.amdhsa_uses_dynamic_stack 0
		.amdhsa_system_sgpr_private_segment_wavefront_offset 0
		.amdhsa_system_sgpr_workgroup_id_x 1
		.amdhsa_system_sgpr_workgroup_id_y 1
		.amdhsa_system_sgpr_workgroup_id_z 1
		.amdhsa_system_sgpr_workgroup_info 0
		.amdhsa_system_vgpr_workitem_id 1
		.amdhsa_next_free_vgpr 48
		.amdhsa_next_free_sgpr 28
		.amdhsa_reserve_vcc 1
		.amdhsa_reserve_flat_scratch 0
		.amdhsa_float_round_mode_32 0
		.amdhsa_float_round_mode_16_64 0
		.amdhsa_float_denorm_mode_32 3
		.amdhsa_float_denorm_mode_16_64 3
		.amdhsa_dx10_clamp 1
		.amdhsa_ieee_mode 1
		.amdhsa_fp16_overflow 0
		.amdhsa_exception_fp_ieee_invalid_op 0
		.amdhsa_exception_fp_denorm_src 0
		.amdhsa_exception_fp_ieee_div_zero 0
		.amdhsa_exception_fp_ieee_overflow 0
		.amdhsa_exception_fp_ieee_underflow 0
		.amdhsa_exception_fp_ieee_inexact 0
		.amdhsa_exception_int_div_zero 0
	.end_amdhsa_kernel
	.section	.text._ZL34rocblas_syrkx_herkx_general_kernelIl19rocblas_complex_numIfELi16ELi32ELi8ELb0ELb0ELc78ELc85EKPKS1_KPS1_EviT_T0_PT8_S7_lSA_S7_lS8_PT9_S7_li,"axG",@progbits,_ZL34rocblas_syrkx_herkx_general_kernelIl19rocblas_complex_numIfELi16ELi32ELi8ELb0ELb0ELc78ELc85EKPKS1_KPS1_EviT_T0_PT8_S7_lSA_S7_lS8_PT9_S7_li,comdat
.Lfunc_end1613:
	.size	_ZL34rocblas_syrkx_herkx_general_kernelIl19rocblas_complex_numIfELi16ELi32ELi8ELb0ELb0ELc78ELc85EKPKS1_KPS1_EviT_T0_PT8_S7_lSA_S7_lS8_PT9_S7_li, .Lfunc_end1613-_ZL34rocblas_syrkx_herkx_general_kernelIl19rocblas_complex_numIfELi16ELi32ELi8ELb0ELb0ELc78ELc85EKPKS1_KPS1_EviT_T0_PT8_S7_lSA_S7_lS8_PT9_S7_li
                                        ; -- End function
	.set _ZL34rocblas_syrkx_herkx_general_kernelIl19rocblas_complex_numIfELi16ELi32ELi8ELb0ELb0ELc78ELc85EKPKS1_KPS1_EviT_T0_PT8_S7_lSA_S7_lS8_PT9_S7_li.num_vgpr, 48
	.set _ZL34rocblas_syrkx_herkx_general_kernelIl19rocblas_complex_numIfELi16ELi32ELi8ELb0ELb0ELc78ELc85EKPKS1_KPS1_EviT_T0_PT8_S7_lSA_S7_lS8_PT9_S7_li.num_agpr, 0
	.set _ZL34rocblas_syrkx_herkx_general_kernelIl19rocblas_complex_numIfELi16ELi32ELi8ELb0ELb0ELc78ELc85EKPKS1_KPS1_EviT_T0_PT8_S7_lSA_S7_lS8_PT9_S7_li.numbered_sgpr, 28
	.set _ZL34rocblas_syrkx_herkx_general_kernelIl19rocblas_complex_numIfELi16ELi32ELi8ELb0ELb0ELc78ELc85EKPKS1_KPS1_EviT_T0_PT8_S7_lSA_S7_lS8_PT9_S7_li.num_named_barrier, 0
	.set _ZL34rocblas_syrkx_herkx_general_kernelIl19rocblas_complex_numIfELi16ELi32ELi8ELb0ELb0ELc78ELc85EKPKS1_KPS1_EviT_T0_PT8_S7_lSA_S7_lS8_PT9_S7_li.private_seg_size, 0
	.set _ZL34rocblas_syrkx_herkx_general_kernelIl19rocblas_complex_numIfELi16ELi32ELi8ELb0ELb0ELc78ELc85EKPKS1_KPS1_EviT_T0_PT8_S7_lSA_S7_lS8_PT9_S7_li.uses_vcc, 1
	.set _ZL34rocblas_syrkx_herkx_general_kernelIl19rocblas_complex_numIfELi16ELi32ELi8ELb0ELb0ELc78ELc85EKPKS1_KPS1_EviT_T0_PT8_S7_lSA_S7_lS8_PT9_S7_li.uses_flat_scratch, 0
	.set _ZL34rocblas_syrkx_herkx_general_kernelIl19rocblas_complex_numIfELi16ELi32ELi8ELb0ELb0ELc78ELc85EKPKS1_KPS1_EviT_T0_PT8_S7_lSA_S7_lS8_PT9_S7_li.has_dyn_sized_stack, 0
	.set _ZL34rocblas_syrkx_herkx_general_kernelIl19rocblas_complex_numIfELi16ELi32ELi8ELb0ELb0ELc78ELc85EKPKS1_KPS1_EviT_T0_PT8_S7_lSA_S7_lS8_PT9_S7_li.has_recursion, 0
	.set _ZL34rocblas_syrkx_herkx_general_kernelIl19rocblas_complex_numIfELi16ELi32ELi8ELb0ELb0ELc78ELc85EKPKS1_KPS1_EviT_T0_PT8_S7_lSA_S7_lS8_PT9_S7_li.has_indirect_call, 0
	.section	.AMDGPU.csdata,"",@progbits
; Kernel info:
; codeLenInByte = 2364
; TotalNumSgprs: 32
; NumVgprs: 48
; ScratchSize: 0
; MemoryBound: 1
; FloatMode: 240
; IeeeMode: 1
; LDSByteSize: 4096 bytes/workgroup (compile time only)
; SGPRBlocks: 3
; VGPRBlocks: 11
; NumSGPRsForWavesPerEU: 32
; NumVGPRsForWavesPerEU: 48
; Occupancy: 5
; WaveLimiterHint : 1
; COMPUTE_PGM_RSRC2:SCRATCH_EN: 0
; COMPUTE_PGM_RSRC2:USER_SGPR: 6
; COMPUTE_PGM_RSRC2:TRAP_HANDLER: 0
; COMPUTE_PGM_RSRC2:TGID_X_EN: 1
; COMPUTE_PGM_RSRC2:TGID_Y_EN: 1
; COMPUTE_PGM_RSRC2:TGID_Z_EN: 1
; COMPUTE_PGM_RSRC2:TIDIG_COMP_CNT: 1
	.section	.text._ZL26rocblas_syr2k_scale_kernelIlLi128ELi8ELb0E19rocblas_complex_numIfES1_PKPS1_EvbiT_T3_T4_T5_S5_li,"axG",@progbits,_ZL26rocblas_syr2k_scale_kernelIlLi128ELi8ELb0E19rocblas_complex_numIfES1_PKPS1_EvbiT_T3_T4_T5_S5_li,comdat
	.globl	_ZL26rocblas_syr2k_scale_kernelIlLi128ELi8ELb0E19rocblas_complex_numIfES1_PKPS1_EvbiT_T3_T4_T5_S5_li ; -- Begin function _ZL26rocblas_syr2k_scale_kernelIlLi128ELi8ELb0E19rocblas_complex_numIfES1_PKPS1_EvbiT_T3_T4_T5_S5_li
	.p2align	8
	.type	_ZL26rocblas_syr2k_scale_kernelIlLi128ELi8ELb0E19rocblas_complex_numIfES1_PKPS1_EvbiT_T3_T4_T5_S5_li,@function
_ZL26rocblas_syr2k_scale_kernelIlLi128ELi8ELb0E19rocblas_complex_numIfES1_PKPS1_EvbiT_T3_T4_T5_S5_li: ; @_ZL26rocblas_syr2k_scale_kernelIlLi128ELi8ELb0E19rocblas_complex_numIfES1_PKPS1_EvbiT_T3_T4_T5_S5_li
; %bb.0:
	s_load_dwordx2 s[2:3], s[4:5], 0x18
	s_waitcnt lgkmcnt(0)
	v_cmp_eq_f32_e64 s[0:1], s2, 1.0
	v_cmp_eq_f32_e64 s[10:11], s3, 0
	s_and_b64 s[0:1], s[0:1], s[10:11]
	s_and_b64 vcc, exec, s[0:1]
	s_cbranch_vccnz .LBB1614_5
; %bb.1:
	s_load_dwordx2 s[0:1], s[4:5], 0x0
	s_load_dword s9, s[4:5], 0x4c
	s_waitcnt lgkmcnt(0)
	s_bitcmp1_b32 s0, 0
	s_cselect_b64 vcc, -1, 0
	s_lshr_b32 s0, s9, 16
	s_and_b32 s9, s9, 0xffff
	s_mul_i32 s6, s6, s9
	s_mul_i32 s7, s7, s0
	v_add_u32_e32 v0, s6, v0
	v_add_u32_e32 v1, s7, v1
	v_cndmask_b32_e32 v2, v1, v0, vcc
	v_cndmask_b32_e32 v3, v0, v1, vcc
	v_max_u32_e32 v4, v0, v1
	v_cmp_gt_u32_e32 vcc, s1, v4
	v_cmp_le_i32_e64 s[0:1], v2, v3
	s_and_b64 s[0:1], vcc, s[0:1]
	s_and_saveexec_b64 s[6:7], s[0:1]
	s_cbranch_execz .LBB1614_5
; %bb.2:
	s_load_dwordx4 s[12:15], s[4:5], 0x20
	s_load_dwordx2 s[0:1], s[4:5], 0x30
	s_mov_b32 s9, 0
	s_lshl_b64 s[4:5], s[8:9], 3
	s_waitcnt lgkmcnt(0)
	v_mad_u64_u32 v[2:3], s[6:7], s14, v1, 0
	s_add_u32 s4, s12, s4
	s_addc_u32 s5, s13, s5
	s_load_dwordx2 s[4:5], s[4:5], 0x0
	v_mad_u64_u32 v[3:4], s[6:7], s15, v1, v[3:4]
	s_lshl_b64 s[0:1], s[0:1], 3
	v_mov_b32_e32 v1, 0
	s_waitcnt lgkmcnt(0)
	s_add_u32 s0, s4, s0
	v_lshlrev_b64 v[2:3], 3, v[2:3]
	s_addc_u32 s1, s5, s1
	v_mov_b32_e32 v4, s1
	v_add_co_u32_e32 v5, vcc, s0, v2
	v_addc_co_u32_e32 v4, vcc, v4, v3, vcc
	v_lshlrev_b64 v[2:3], 3, v[0:1]
	s_or_b32 s0, s2, s3
	v_add_co_u32_e32 v2, vcc, v5, v2
	s_bitset0_b32 s0, 31
	v_addc_co_u32_e32 v3, vcc, v4, v3, vcc
	s_cmp_eq_u32 s0, 0
	v_mov_b32_e32 v0, v1
	s_cbranch_scc1 .LBB1614_4
; %bb.3:
	flat_load_dwordx2 v[4:5], v[2:3]
	s_waitcnt vmcnt(0) lgkmcnt(0)
	v_mul_f32_e32 v0, s3, v5
	v_mul_f32_e32 v1, s2, v5
	v_fma_f32 v0, v4, s2, -v0
	v_fmac_f32_e32 v1, s3, v4
.LBB1614_4:
	flat_store_dwordx2 v[2:3], v[0:1]
.LBB1614_5:
	s_endpgm
	.section	.rodata,"a",@progbits
	.p2align	6, 0x0
	.amdhsa_kernel _ZL26rocblas_syr2k_scale_kernelIlLi128ELi8ELb0E19rocblas_complex_numIfES1_PKPS1_EvbiT_T3_T4_T5_S5_li
		.amdhsa_group_segment_fixed_size 0
		.amdhsa_private_segment_fixed_size 0
		.amdhsa_kernarg_size 320
		.amdhsa_user_sgpr_count 6
		.amdhsa_user_sgpr_private_segment_buffer 1
		.amdhsa_user_sgpr_dispatch_ptr 0
		.amdhsa_user_sgpr_queue_ptr 0
		.amdhsa_user_sgpr_kernarg_segment_ptr 1
		.amdhsa_user_sgpr_dispatch_id 0
		.amdhsa_user_sgpr_flat_scratch_init 0
		.amdhsa_user_sgpr_private_segment_size 0
		.amdhsa_uses_dynamic_stack 0
		.amdhsa_system_sgpr_private_segment_wavefront_offset 0
		.amdhsa_system_sgpr_workgroup_id_x 1
		.amdhsa_system_sgpr_workgroup_id_y 1
		.amdhsa_system_sgpr_workgroup_id_z 1
		.amdhsa_system_sgpr_workgroup_info 0
		.amdhsa_system_vgpr_workitem_id 1
		.amdhsa_next_free_vgpr 6
		.amdhsa_next_free_sgpr 16
		.amdhsa_reserve_vcc 1
		.amdhsa_reserve_flat_scratch 0
		.amdhsa_float_round_mode_32 0
		.amdhsa_float_round_mode_16_64 0
		.amdhsa_float_denorm_mode_32 3
		.amdhsa_float_denorm_mode_16_64 3
		.amdhsa_dx10_clamp 1
		.amdhsa_ieee_mode 1
		.amdhsa_fp16_overflow 0
		.amdhsa_exception_fp_ieee_invalid_op 0
		.amdhsa_exception_fp_denorm_src 0
		.amdhsa_exception_fp_ieee_div_zero 0
		.amdhsa_exception_fp_ieee_overflow 0
		.amdhsa_exception_fp_ieee_underflow 0
		.amdhsa_exception_fp_ieee_inexact 0
		.amdhsa_exception_int_div_zero 0
	.end_amdhsa_kernel
	.section	.text._ZL26rocblas_syr2k_scale_kernelIlLi128ELi8ELb0E19rocblas_complex_numIfES1_PKPS1_EvbiT_T3_T4_T5_S5_li,"axG",@progbits,_ZL26rocblas_syr2k_scale_kernelIlLi128ELi8ELb0E19rocblas_complex_numIfES1_PKPS1_EvbiT_T3_T4_T5_S5_li,comdat
.Lfunc_end1614:
	.size	_ZL26rocblas_syr2k_scale_kernelIlLi128ELi8ELb0E19rocblas_complex_numIfES1_PKPS1_EvbiT_T3_T4_T5_S5_li, .Lfunc_end1614-_ZL26rocblas_syr2k_scale_kernelIlLi128ELi8ELb0E19rocblas_complex_numIfES1_PKPS1_EvbiT_T3_T4_T5_S5_li
                                        ; -- End function
	.set _ZL26rocblas_syr2k_scale_kernelIlLi128ELi8ELb0E19rocblas_complex_numIfES1_PKPS1_EvbiT_T3_T4_T5_S5_li.num_vgpr, 6
	.set _ZL26rocblas_syr2k_scale_kernelIlLi128ELi8ELb0E19rocblas_complex_numIfES1_PKPS1_EvbiT_T3_T4_T5_S5_li.num_agpr, 0
	.set _ZL26rocblas_syr2k_scale_kernelIlLi128ELi8ELb0E19rocblas_complex_numIfES1_PKPS1_EvbiT_T3_T4_T5_S5_li.numbered_sgpr, 16
	.set _ZL26rocblas_syr2k_scale_kernelIlLi128ELi8ELb0E19rocblas_complex_numIfES1_PKPS1_EvbiT_T3_T4_T5_S5_li.num_named_barrier, 0
	.set _ZL26rocblas_syr2k_scale_kernelIlLi128ELi8ELb0E19rocblas_complex_numIfES1_PKPS1_EvbiT_T3_T4_T5_S5_li.private_seg_size, 0
	.set _ZL26rocblas_syr2k_scale_kernelIlLi128ELi8ELb0E19rocblas_complex_numIfES1_PKPS1_EvbiT_T3_T4_T5_S5_li.uses_vcc, 1
	.set _ZL26rocblas_syr2k_scale_kernelIlLi128ELi8ELb0E19rocblas_complex_numIfES1_PKPS1_EvbiT_T3_T4_T5_S5_li.uses_flat_scratch, 0
	.set _ZL26rocblas_syr2k_scale_kernelIlLi128ELi8ELb0E19rocblas_complex_numIfES1_PKPS1_EvbiT_T3_T4_T5_S5_li.has_dyn_sized_stack, 0
	.set _ZL26rocblas_syr2k_scale_kernelIlLi128ELi8ELb0E19rocblas_complex_numIfES1_PKPS1_EvbiT_T3_T4_T5_S5_li.has_recursion, 0
	.set _ZL26rocblas_syr2k_scale_kernelIlLi128ELi8ELb0E19rocblas_complex_numIfES1_PKPS1_EvbiT_T3_T4_T5_S5_li.has_indirect_call, 0
	.section	.AMDGPU.csdata,"",@progbits
; Kernel info:
; codeLenInByte = 312
; TotalNumSgprs: 20
; NumVgprs: 6
; ScratchSize: 0
; MemoryBound: 0
; FloatMode: 240
; IeeeMode: 1
; LDSByteSize: 0 bytes/workgroup (compile time only)
; SGPRBlocks: 2
; VGPRBlocks: 1
; NumSGPRsForWavesPerEU: 20
; NumVGPRsForWavesPerEU: 6
; Occupancy: 10
; WaveLimiterHint : 1
; COMPUTE_PGM_RSRC2:SCRATCH_EN: 0
; COMPUTE_PGM_RSRC2:USER_SGPR: 6
; COMPUTE_PGM_RSRC2:TRAP_HANDLER: 0
; COMPUTE_PGM_RSRC2:TGID_X_EN: 1
; COMPUTE_PGM_RSRC2:TGID_Y_EN: 1
; COMPUTE_PGM_RSRC2:TGID_Z_EN: 1
; COMPUTE_PGM_RSRC2:TIDIG_COMP_CNT: 1
	.section	.text._ZL26rocblas_syr2k_her2k_kernelIlLb0ELb0ELb0ELi32EPK19rocblas_complex_numIfEPKS3_PKPS1_EvbiT_T4_T5_S9_lSB_S9_lT6_S9_li,"axG",@progbits,_ZL26rocblas_syr2k_her2k_kernelIlLb0ELb0ELb0ELi32EPK19rocblas_complex_numIfEPKS3_PKPS1_EvbiT_T4_T5_S9_lSB_S9_lT6_S9_li,comdat
	.globl	_ZL26rocblas_syr2k_her2k_kernelIlLb0ELb0ELb0ELi32EPK19rocblas_complex_numIfEPKS3_PKPS1_EvbiT_T4_T5_S9_lSB_S9_lT6_S9_li ; -- Begin function _ZL26rocblas_syr2k_her2k_kernelIlLb0ELb0ELb0ELi32EPK19rocblas_complex_numIfEPKS3_PKPS1_EvbiT_T4_T5_S9_lSB_S9_lT6_S9_li
	.p2align	8
	.type	_ZL26rocblas_syr2k_her2k_kernelIlLb0ELb0ELb0ELi32EPK19rocblas_complex_numIfEPKS3_PKPS1_EvbiT_T4_T5_S9_lSB_S9_lT6_S9_li,@function
_ZL26rocblas_syr2k_her2k_kernelIlLb0ELb0ELb0ELi32EPK19rocblas_complex_numIfEPKS3_PKPS1_EvbiT_T4_T5_S9_lSB_S9_lT6_S9_li: ; @_ZL26rocblas_syr2k_her2k_kernelIlLb0ELb0ELb0ELi32EPK19rocblas_complex_numIfEPKS3_PKPS1_EvbiT_T4_T5_S9_lSB_S9_lT6_S9_li
; %bb.0:
	s_load_dwordx16 s[12:27], s[4:5], 0x8
	s_waitcnt lgkmcnt(0)
	s_load_dwordx2 s[10:11], s[14:15], 0x0
	s_waitcnt lgkmcnt(0)
	v_cmp_eq_f32_e64 s[0:1], s10, 0
	v_cmp_eq_f32_e64 s[2:3], s11, 0
	s_and_b64 s[0:1], s[0:1], s[2:3]
	s_and_b64 vcc, exec, s[0:1]
	s_cbranch_vccnz .LBB1615_10
; %bb.1:
	s_load_dwordx2 s[34:35], s[4:5], 0x0
	s_lshl_b32 s2, s7, 5
	s_lshl_b32 s3, s6, 5
	s_waitcnt lgkmcnt(0)
	s_and_b32 s0, 1, s34
	s_cmp_eq_u32 s0, 1
	s_cselect_b64 s[0:1], -1, 0
	s_and_b64 s[6:7], s[0:1], exec
	s_cselect_b32 s6, s3, s2
	s_cselect_b32 s7, s2, s3
	s_cmp_gt_i32 s6, s7
	v_cmp_lt_i64_e64 s[6:7], s[12:13], 1
	s_cselect_b64 s[14:15], -1, 0
	s_or_b64 s[6:7], s[14:15], s[6:7]
	s_and_b64 vcc, exec, s[6:7]
	s_cbranch_vccnz .LBB1615_10
; %bb.2:
	s_mov_b32 s9, 0
	s_load_dwordx4 s[28:31], s[4:5], 0x48
	s_load_dwordx2 s[6:7], s[4:5], 0x58
	s_lshl_b64 s[4:5], s[8:9], 3
	s_add_u32 s8, s16, s4
	s_addc_u32 s9, s17, s5
	s_add_u32 s16, s22, s4
	s_addc_u32 s17, s23, s5
	s_waitcnt lgkmcnt(0)
	s_add_u32 s4, s28, s4
	s_addc_u32 s5, s29, s5
	s_load_dwordx2 s[22:23], s[4:5], 0x0
	s_load_dwordx2 s[14:15], s[8:9], 0x0
	;; [unrolled: 1-line block ×3, first 2 shown]
	s_lshl_b64 s[4:5], s[6:7], 3
	v_add_u32_e32 v2, s2, v1
	v_lshlrev_b32_e32 v16, 8, v0
	v_lshlrev_b32_e32 v6, 3, v1
	s_waitcnt lgkmcnt(0)
	s_add_u32 s8, s22, s4
	v_add_u32_e32 v17, v16, v6
	v_or_b32_e32 v18, 0x2000, v6
	v_ashrrev_i32_e32 v6, 31, v2
	s_addc_u32 s9, s23, s5
	v_mul_lo_u32 v11, s30, v6
	v_mul_lo_u32 v12, s31, v2
	v_mad_u64_u32 v[6:7], s[4:5], s30, v2, 0
	v_add_u32_e32 v4, s3, v0
	v_cndmask_b32_e64 v8, v4, v2, s[0:1]
	v_cndmask_b32_e64 v9, v2, v4, s[0:1]
	v_max_i32_e32 v10, v4, v2
	v_cmp_gt_i32_e32 vcc, s35, v10
	v_cmp_le_i32_e64 s[4:5], v9, v8
	s_and_b64 s[6:7], s[4:5], vcc
	v_add3_u32 v7, v7, v11, v12
	v_mad_u64_u32 v[12:13], s[4:5], s24, v0, 0
	v_lshlrev_b64 v[6:7], 3, v[6:7]
	v_ashrrev_i32_e32 v9, 31, v4
	v_mov_b32_e32 v8, v4
	v_mov_b32_e32 v10, s9
	v_add_co_u32_e32 v11, vcc, s8, v6
	v_addc_co_u32_e32 v14, vcc, v10, v7, vcc
	v_lshlrev_b64 v[6:7], 3, v[8:9]
	v_mov_b32_e32 v8, v13
	v_mad_u64_u32 v[8:9], s[4:5], s25, v0, v[8:9]
	v_add_co_u32_e32 v10, vcc, v11, v6
	v_mov_b32_e32 v13, v8
	v_addc_co_u32_e32 v11, vcc, v14, v7, vcc
	v_lshlrev_b64 v[6:7], 3, v[12:13]
	s_lshl_b64 s[4:5], s[26:27], 3
	v_mov_b32_e32 v8, s5
	v_add_co_u32_e32 v9, vcc, s4, v6
	v_mov_b32_e32 v5, 0
	v_addc_co_u32_e32 v8, vcc, v7, v8, vcc
	v_mad_u64_u32 v[6:7], s[4:5], s18, v1, 0
	s_ashr_i32 s3, s35, 31
	s_mov_b32 s2, s35
	v_mov_b32_e32 v3, v5
	v_cmp_gt_i64_e64 s[0:1], s[2:3], v[4:5]
	v_cmp_gt_i64_e64 s[2:3], s[2:3], v[2:3]
	v_lshlrev_b64 v[2:3], 3, v[2:3]
	v_mov_b32_e32 v13, s29
	v_add_co_u32_e32 v9, vcc, v9, v2
	v_mov_b32_e32 v2, v7
	v_addc_co_u32_e32 v8, vcc, v8, v3, vcc
	v_mad_u64_u32 v[2:3], s[4:5], s19, v1, v[2:3]
	v_add_co_u32_e32 v12, vcc, s28, v9
	v_mov_b32_e32 v7, v2
	v_lshlrev_b64 v[2:3], 3, v[6:7]
	v_addc_co_u32_e32 v13, vcc, v13, v8, vcc
	s_lshl_b64 s[4:5], s[20:21], 3
	v_mov_b32_e32 v6, s5
	v_add_co_u32_e32 v7, vcc, s4, v2
	v_addc_co_u32_e32 v6, vcc, v3, v6, vcc
	v_lshlrev_b64 v[2:3], 3, v[4:5]
	v_mov_b32_e32 v4, s15
	v_add_co_u32_e32 v2, vcc, v7, v2
	v_addc_co_u32_e32 v3, vcc, v6, v3, vcc
	v_add_co_u32_e32 v14, vcc, s14, v2
	v_add_u32_e32 v19, v18, v16
	s_lshl_b64 s[8:9], s[24:25], 8
	v_addc_co_u32_e32 v15, vcc, v4, v3, vcc
	s_lshl_b64 s[14:15], s[18:19], 8
	s_mov_b64 s[16:17], 0
	s_branch .LBB1615_4
.LBB1615_3:                             ;   in Loop: Header=BB1615_4 Depth=1
	s_or_b64 exec, exec, s[4:5]
	v_mov_b32_e32 v2, s9
	v_add_co_u32_e32 v12, vcc, s8, v12
	s_add_u32 s16, s16, 32
	v_addc_co_u32_e32 v13, vcc, v13, v2, vcc
	v_mov_b32_e32 v2, s12
	s_addc_u32 s17, s17, 0
	v_mov_b32_e32 v3, s13
	v_cmp_lt_i64_e32 vcc, s[16:17], v[2:3]
	v_mov_b32_e32 v4, s15
	v_add_co_u32_e64 v14, s[4:5], s14, v14
	v_addc_co_u32_e64 v15, s[4:5], v15, v4, s[4:5]
	s_waitcnt vmcnt(0) lgkmcnt(0)
	s_barrier
	s_cbranch_vccz .LBB1615_10
.LBB1615_4:                             ; =>This Inner Loop Header: Depth=1
	v_mov_b32_e32 v3, s17
	v_add_co_u32_e32 v2, vcc, s16, v1
	v_addc_co_u32_e32 v3, vcc, 0, v3, vcc
	v_cmp_gt_i64_e32 vcc, s[12:13], v[2:3]
	v_mov_b32_e32 v2, 0
	s_and_b64 s[18:19], s[0:1], vcc
	v_mov_b32_e32 v3, 0
	s_and_saveexec_b64 s[4:5], s[18:19]
	s_cbranch_execz .LBB1615_6
; %bb.5:                                ;   in Loop: Header=BB1615_4 Depth=1
	flat_load_dwordx2 v[2:3], v[14:15]
.LBB1615_6:                             ;   in Loop: Header=BB1615_4 Depth=1
	s_or_b64 exec, exec, s[4:5]
	v_mov_b32_e32 v5, s17
	v_add_co_u32_e32 v4, vcc, s16, v0
	v_addc_co_u32_e32 v5, vcc, 0, v5, vcc
	v_cmp_gt_i64_e32 vcc, s[12:13], v[4:5]
	s_waitcnt vmcnt(0) lgkmcnt(0)
	ds_write_b64 v17, v[2:3]
	s_and_b64 s[18:19], s[2:3], vcc
	v_mov_b32_e32 v2, 0
	v_mov_b32_e32 v3, 0
	s_and_saveexec_b64 s[4:5], s[18:19]
	s_cbranch_execz .LBB1615_8
; %bb.7:                                ;   in Loop: Header=BB1615_4 Depth=1
	flat_load_dwordx2 v[2:3], v[12:13]
.LBB1615_8:                             ;   in Loop: Header=BB1615_4 Depth=1
	s_or_b64 exec, exec, s[4:5]
	s_waitcnt vmcnt(0) lgkmcnt(0)
	ds_write_b64 v19, v[2:3]
	s_waitcnt lgkmcnt(0)
	s_barrier
	s_and_saveexec_b64 s[4:5], s[6:7]
	s_cbranch_execz .LBB1615_3
; %bb.9:                                ;   in Loop: Header=BB1615_4 Depth=1
	ds_read2_b64 v[2:5], v18 offset1:32
	ds_read_b128 v[6:9], v16
	ds_read_b128 v[20:23], v16 offset:16
	s_waitcnt lgkmcnt(1)
	v_mul_f32_e32 v24, v3, v7
	v_mul_f32_e32 v25, v2, v7
	v_fma_f32 v24, v2, v6, -v24
	v_mul_f32_e32 v2, v5, v9
	v_mul_f32_e32 v27, v4, v9
	v_fmac_f32_e32 v25, v3, v6
	v_fma_f32 v26, v4, v8, -v2
	v_fmac_f32_e32 v27, v5, v8
	ds_read2_b64 v[2:5], v18 offset0:64 offset1:96
	s_waitcnt lgkmcnt(0)
	v_mul_f32_e32 v6, v3, v21
	v_fma_f32 v28, v2, v20, -v6
	v_mul_f32_e32 v21, v2, v21
	v_mul_f32_e32 v2, v5, v23
	;; [unrolled: 1-line block ×3, first 2 shown]
	v_fmac_f32_e32 v21, v3, v20
	v_fma_f32 v20, v4, v22, -v2
	v_fmac_f32_e32 v23, v5, v22
	ds_read_b128 v[2:5], v16 offset:32
	ds_read2_b64 v[6:9], v18 offset0:128 offset1:160
	s_waitcnt lgkmcnt(0)
	v_mul_f32_e32 v22, v7, v3
	v_mul_f32_e32 v29, v6, v3
	v_fma_f32 v22, v6, v2, -v22
	v_fmac_f32_e32 v29, v7, v2
	v_add_f32_e32 v6, 0, v24
	v_add_f32_e32 v7, 0, v25
	;; [unrolled: 1-line block ×4, first 2 shown]
	v_mul_f32_e32 v2, v9, v5
	v_mul_f32_e32 v31, v8, v5
	v_add_f32_e32 v6, v6, v28
	v_add_f32_e32 v7, v7, v21
	v_fma_f32 v30, v8, v4, -v2
	v_fmac_f32_e32 v31, v9, v4
	ds_read_b128 v[2:5], v16 offset:48
	v_add_f32_e32 v20, v6, v20
	v_add_f32_e32 v21, v7, v23
	ds_read2_b64 v[6:9], v18 offset0:192 offset1:224
	v_add_f32_e32 v20, v20, v22
	v_add_u32_e32 v26, 0x800, v18
	v_add_f32_e32 v21, v21, v29
	v_add_f32_e32 v20, v20, v30
	s_waitcnt lgkmcnt(0)
	v_mul_f32_e32 v22, v7, v3
	v_mul_f32_e32 v23, v6, v3
	v_fma_f32 v22, v6, v2, -v22
	v_fmac_f32_e32 v23, v7, v2
	v_mul_f32_e32 v2, v9, v5
	v_mul_f32_e32 v25, v8, v5
	v_fma_f32 v24, v8, v4, -v2
	v_fmac_f32_e32 v25, v9, v4
	ds_read_b128 v[2:5], v16 offset:64
	ds_read2_b64 v[6:9], v26 offset1:32
	v_add_f32_e32 v21, v21, v31
	v_add_f32_e32 v20, v20, v22
	;; [unrolled: 1-line block ×4, first 2 shown]
	s_waitcnt lgkmcnt(0)
	v_mul_f32_e32 v22, v7, v3
	v_mul_f32_e32 v23, v6, v3
	v_fma_f32 v22, v6, v2, -v22
	v_fmac_f32_e32 v23, v7, v2
	v_mul_f32_e32 v2, v9, v5
	v_mul_f32_e32 v25, v8, v5
	v_add_f32_e32 v20, v20, v24
	v_fma_f32 v24, v8, v4, -v2
	v_fmac_f32_e32 v25, v9, v4
	ds_read_b128 v[2:5], v16 offset:80
	ds_read2_b64 v[6:9], v26 offset0:64 offset1:96
	v_add_f32_e32 v20, v20, v22
	v_add_f32_e32 v21, v21, v23
	v_add_f32_e32 v21, v21, v25
	v_add_f32_e32 v20, v20, v24
	s_waitcnt lgkmcnt(0)
	v_mul_f32_e32 v22, v7, v3
	v_mul_f32_e32 v23, v6, v3
	v_fma_f32 v22, v6, v2, -v22
	v_fmac_f32_e32 v23, v7, v2
	v_mul_f32_e32 v2, v9, v5
	v_mul_f32_e32 v25, v8, v5
	v_fma_f32 v24, v8, v4, -v2
	v_fmac_f32_e32 v25, v9, v4
	ds_read_b128 v[2:5], v16 offset:96
	ds_read2_b64 v[6:9], v26 offset0:128 offset1:160
	v_add_f32_e32 v20, v20, v22
	v_add_f32_e32 v21, v21, v23
	v_add_f32_e32 v21, v21, v25
	v_add_f32_e32 v20, v20, v24
	s_waitcnt lgkmcnt(0)
	v_mul_f32_e32 v22, v7, v3
	v_mul_f32_e32 v23, v6, v3
	v_fma_f32 v22, v6, v2, -v22
	v_fmac_f32_e32 v23, v7, v2
	v_mul_f32_e32 v2, v9, v5
	v_mul_f32_e32 v25, v8, v5
	;; [unrolled: 15-line block ×3, first 2 shown]
	v_add_u32_e32 v20, 0x1000, v18
	v_fma_f32 v25, v8, v4, -v2
	v_fmac_f32_e32 v26, v9, v4
	ds_read_b128 v[2:5], v16 offset:128
	ds_read2_b64 v[6:9], v20 offset1:32
	v_add_f32_e32 v22, v22, v23
	v_add_f32_e32 v21, v21, v24
	;; [unrolled: 1-line block ×4, first 2 shown]
	s_waitcnt lgkmcnt(0)
	v_mul_f32_e32 v23, v7, v3
	v_mul_f32_e32 v24, v6, v3
	v_fma_f32 v23, v6, v2, -v23
	v_fmac_f32_e32 v24, v7, v2
	v_mul_f32_e32 v2, v9, v5
	v_mul_f32_e32 v26, v8, v5
	v_fma_f32 v25, v8, v4, -v2
	v_fmac_f32_e32 v26, v9, v4
	ds_read_b128 v[2:5], v16 offset:144
	ds_read2_b64 v[6:9], v20 offset0:64 offset1:96
	v_add_f32_e32 v22, v22, v23
	v_add_f32_e32 v21, v21, v24
	v_add_f32_e32 v21, v21, v26
	v_add_f32_e32 v22, v22, v25
	s_waitcnt lgkmcnt(0)
	v_mul_f32_e32 v23, v7, v3
	v_mul_f32_e32 v24, v6, v3
	v_fma_f32 v23, v6, v2, -v23
	v_fmac_f32_e32 v24, v7, v2
	v_mul_f32_e32 v2, v9, v5
	v_mul_f32_e32 v26, v8, v5
	v_fma_f32 v25, v8, v4, -v2
	v_fmac_f32_e32 v26, v9, v4
	ds_read_b128 v[2:5], v16 offset:160
	ds_read2_b64 v[6:9], v20 offset0:128 offset1:160
	v_add_f32_e32 v21, v21, v24
	v_add_f32_e32 v22, v22, v23
	;; [unrolled: 1-line block ×4, first 2 shown]
	s_waitcnt lgkmcnt(0)
	v_mul_f32_e32 v21, v7, v3
	v_fma_f32 v25, v6, v2, -v21
	flat_load_dwordx2 v[21:22], v[10:11]
	v_mul_f32_e32 v26, v6, v3
	v_fmac_f32_e32 v26, v7, v2
	v_mul_f32_e32 v2, v9, v5
	v_mul_f32_e32 v28, v8, v5
	v_fma_f32 v27, v8, v4, -v2
	v_fmac_f32_e32 v28, v9, v4
	ds_read_b128 v[2:5], v16 offset:176
	ds_read2_b64 v[6:9], v20 offset0:192 offset1:224
	v_add_f32_e32 v20, v23, v25
	v_add_f32_e32 v23, v24, v26
	;; [unrolled: 1-line block ×4, first 2 shown]
	s_waitcnt lgkmcnt(0)
	v_mul_f32_e32 v24, v7, v3
	v_mul_f32_e32 v25, v6, v3
	v_fma_f32 v24, v6, v2, -v24
	v_fmac_f32_e32 v25, v7, v2
	v_mul_f32_e32 v2, v9, v5
	v_mul_f32_e32 v27, v8, v5
	v_add_u32_e32 v28, 0x1800, v18
	v_fma_f32 v26, v8, v4, -v2
	v_fmac_f32_e32 v27, v9, v4
	ds_read_b128 v[2:5], v16 offset:192
	ds_read2_b64 v[6:9], v28 offset1:32
	v_add_f32_e32 v20, v20, v24
	v_add_f32_e32 v23, v23, v25
	v_add_f32_e32 v23, v23, v27
	v_add_f32_e32 v20, v20, v26
	s_waitcnt lgkmcnt(0)
	v_mul_f32_e32 v24, v7, v3
	v_mul_f32_e32 v25, v6, v3
	v_fma_f32 v24, v6, v2, -v24
	v_fmac_f32_e32 v25, v7, v2
	v_mul_f32_e32 v2, v9, v5
	v_mul_f32_e32 v27, v8, v5
	v_fma_f32 v26, v8, v4, -v2
	v_fmac_f32_e32 v27, v9, v4
	ds_read_b128 v[2:5], v16 offset:208
	ds_read2_b64 v[6:9], v28 offset0:64 offset1:96
	v_add_f32_e32 v20, v20, v24
	v_add_f32_e32 v23, v23, v25
	v_add_f32_e32 v23, v23, v27
	v_add_f32_e32 v20, v20, v26
	s_waitcnt lgkmcnt(0)
	v_mul_f32_e32 v24, v7, v3
	v_mul_f32_e32 v25, v6, v3
	v_fma_f32 v24, v6, v2, -v24
	v_fmac_f32_e32 v25, v7, v2
	v_mul_f32_e32 v2, v9, v5
	v_mul_f32_e32 v27, v8, v5
	v_fma_f32 v26, v8, v4, -v2
	v_fmac_f32_e32 v27, v9, v4
	ds_read_b128 v[2:5], v16 offset:224
	ds_read2_b64 v[6:9], v28 offset0:128 offset1:160
	;; [unrolled: 15-line block ×3, first 2 shown]
	v_add_f32_e32 v20, v20, v24
	v_add_f32_e32 v23, v23, v25
	;; [unrolled: 1-line block ×4, first 2 shown]
	s_waitcnt lgkmcnt(0)
	v_mul_f32_e32 v24, v7, v3
	v_mul_f32_e32 v3, v6, v3
	v_fma_f32 v24, v6, v2, -v24
	v_fmac_f32_e32 v3, v7, v2
	v_mul_f32_e32 v6, v9, v5
	v_mul_f32_e32 v5, v8, v5
	v_add_f32_e32 v2, v20, v24
	v_add_f32_e32 v3, v23, v3
	v_fma_f32 v6, v8, v4, -v6
	v_fmac_f32_e32 v5, v9, v4
	v_add_f32_e32 v2, v2, v6
	v_add_f32_e32 v3, v3, v5
	v_mul_f32_e32 v4, s11, v3
	v_mul_f32_e32 v5, s11, v2
	v_fma_f32 v4, s10, v2, -v4
	v_fmac_f32_e32 v5, s10, v3
	s_waitcnt vmcnt(0)
	v_add_f32_e32 v2, v21, v4
	v_add_f32_e32 v3, v22, v5
	flat_store_dwordx2 v[10:11], v[2:3]
	s_branch .LBB1615_3
.LBB1615_10:
	s_endpgm
	.section	.rodata,"a",@progbits
	.p2align	6, 0x0
	.amdhsa_kernel _ZL26rocblas_syr2k_her2k_kernelIlLb0ELb0ELb0ELi32EPK19rocblas_complex_numIfEPKS3_PKPS1_EvbiT_T4_T5_S9_lSB_S9_lT6_S9_li
		.amdhsa_group_segment_fixed_size 16384
		.amdhsa_private_segment_fixed_size 0
		.amdhsa_kernarg_size 100
		.amdhsa_user_sgpr_count 6
		.amdhsa_user_sgpr_private_segment_buffer 1
		.amdhsa_user_sgpr_dispatch_ptr 0
		.amdhsa_user_sgpr_queue_ptr 0
		.amdhsa_user_sgpr_kernarg_segment_ptr 1
		.amdhsa_user_sgpr_dispatch_id 0
		.amdhsa_user_sgpr_flat_scratch_init 0
		.amdhsa_user_sgpr_private_segment_size 0
		.amdhsa_uses_dynamic_stack 0
		.amdhsa_system_sgpr_private_segment_wavefront_offset 0
		.amdhsa_system_sgpr_workgroup_id_x 1
		.amdhsa_system_sgpr_workgroup_id_y 1
		.amdhsa_system_sgpr_workgroup_id_z 1
		.amdhsa_system_sgpr_workgroup_info 0
		.amdhsa_system_vgpr_workitem_id 1
		.amdhsa_next_free_vgpr 32
		.amdhsa_next_free_sgpr 61
		.amdhsa_reserve_vcc 1
		.amdhsa_reserve_flat_scratch 0
		.amdhsa_float_round_mode_32 0
		.amdhsa_float_round_mode_16_64 0
		.amdhsa_float_denorm_mode_32 3
		.amdhsa_float_denorm_mode_16_64 3
		.amdhsa_dx10_clamp 1
		.amdhsa_ieee_mode 1
		.amdhsa_fp16_overflow 0
		.amdhsa_exception_fp_ieee_invalid_op 0
		.amdhsa_exception_fp_denorm_src 0
		.amdhsa_exception_fp_ieee_div_zero 0
		.amdhsa_exception_fp_ieee_overflow 0
		.amdhsa_exception_fp_ieee_underflow 0
		.amdhsa_exception_fp_ieee_inexact 0
		.amdhsa_exception_int_div_zero 0
	.end_amdhsa_kernel
	.section	.text._ZL26rocblas_syr2k_her2k_kernelIlLb0ELb0ELb0ELi32EPK19rocblas_complex_numIfEPKS3_PKPS1_EvbiT_T4_T5_S9_lSB_S9_lT6_S9_li,"axG",@progbits,_ZL26rocblas_syr2k_her2k_kernelIlLb0ELb0ELb0ELi32EPK19rocblas_complex_numIfEPKS3_PKPS1_EvbiT_T4_T5_S9_lSB_S9_lT6_S9_li,comdat
.Lfunc_end1615:
	.size	_ZL26rocblas_syr2k_her2k_kernelIlLb0ELb0ELb0ELi32EPK19rocblas_complex_numIfEPKS3_PKPS1_EvbiT_T4_T5_S9_lSB_S9_lT6_S9_li, .Lfunc_end1615-_ZL26rocblas_syr2k_her2k_kernelIlLb0ELb0ELb0ELi32EPK19rocblas_complex_numIfEPKS3_PKPS1_EvbiT_T4_T5_S9_lSB_S9_lT6_S9_li
                                        ; -- End function
	.set _ZL26rocblas_syr2k_her2k_kernelIlLb0ELb0ELb0ELi32EPK19rocblas_complex_numIfEPKS3_PKPS1_EvbiT_T4_T5_S9_lSB_S9_lT6_S9_li.num_vgpr, 32
	.set _ZL26rocblas_syr2k_her2k_kernelIlLb0ELb0ELb0ELi32EPK19rocblas_complex_numIfEPKS3_PKPS1_EvbiT_T4_T5_S9_lSB_S9_lT6_S9_li.num_agpr, 0
	.set _ZL26rocblas_syr2k_her2k_kernelIlLb0ELb0ELb0ELi32EPK19rocblas_complex_numIfEPKS3_PKPS1_EvbiT_T4_T5_S9_lSB_S9_lT6_S9_li.numbered_sgpr, 36
	.set _ZL26rocblas_syr2k_her2k_kernelIlLb0ELb0ELb0ELi32EPK19rocblas_complex_numIfEPKS3_PKPS1_EvbiT_T4_T5_S9_lSB_S9_lT6_S9_li.num_named_barrier, 0
	.set _ZL26rocblas_syr2k_her2k_kernelIlLb0ELb0ELb0ELi32EPK19rocblas_complex_numIfEPKS3_PKPS1_EvbiT_T4_T5_S9_lSB_S9_lT6_S9_li.private_seg_size, 0
	.set _ZL26rocblas_syr2k_her2k_kernelIlLb0ELb0ELb0ELi32EPK19rocblas_complex_numIfEPKS3_PKPS1_EvbiT_T4_T5_S9_lSB_S9_lT6_S9_li.uses_vcc, 1
	.set _ZL26rocblas_syr2k_her2k_kernelIlLb0ELb0ELb0ELi32EPK19rocblas_complex_numIfEPKS3_PKPS1_EvbiT_T4_T5_S9_lSB_S9_lT6_S9_li.uses_flat_scratch, 0
	.set _ZL26rocblas_syr2k_her2k_kernelIlLb0ELb0ELb0ELi32EPK19rocblas_complex_numIfEPKS3_PKPS1_EvbiT_T4_T5_S9_lSB_S9_lT6_S9_li.has_dyn_sized_stack, 0
	.set _ZL26rocblas_syr2k_her2k_kernelIlLb0ELb0ELb0ELi32EPK19rocblas_complex_numIfEPKS3_PKPS1_EvbiT_T4_T5_S9_lSB_S9_lT6_S9_li.has_recursion, 0
	.set _ZL26rocblas_syr2k_her2k_kernelIlLb0ELb0ELb0ELi32EPK19rocblas_complex_numIfEPKS3_PKPS1_EvbiT_T4_T5_S9_lSB_S9_lT6_S9_li.has_indirect_call, 0
	.section	.AMDGPU.csdata,"",@progbits
; Kernel info:
; codeLenInByte = 2064
; TotalNumSgprs: 40
; NumVgprs: 32
; ScratchSize: 0
; MemoryBound: 0
; FloatMode: 240
; IeeeMode: 1
; LDSByteSize: 16384 bytes/workgroup (compile time only)
; SGPRBlocks: 8
; VGPRBlocks: 7
; NumSGPRsForWavesPerEU: 65
; NumVGPRsForWavesPerEU: 32
; Occupancy: 8
; WaveLimiterHint : 1
; COMPUTE_PGM_RSRC2:SCRATCH_EN: 0
; COMPUTE_PGM_RSRC2:USER_SGPR: 6
; COMPUTE_PGM_RSRC2:TRAP_HANDLER: 0
; COMPUTE_PGM_RSRC2:TGID_X_EN: 1
; COMPUTE_PGM_RSRC2:TGID_Y_EN: 1
; COMPUTE_PGM_RSRC2:TGID_Z_EN: 1
; COMPUTE_PGM_RSRC2:TIDIG_COMP_CNT: 1
	.section	.text._ZL26rocblas_syr2k_her2k_kernelIlLb0ELb0ELb1ELi32EPK19rocblas_complex_numIfEPKS3_PKPS1_EvbiT_T4_T5_S9_lSB_S9_lT6_S9_li,"axG",@progbits,_ZL26rocblas_syr2k_her2k_kernelIlLb0ELb0ELb1ELi32EPK19rocblas_complex_numIfEPKS3_PKPS1_EvbiT_T4_T5_S9_lSB_S9_lT6_S9_li,comdat
	.globl	_ZL26rocblas_syr2k_her2k_kernelIlLb0ELb0ELb1ELi32EPK19rocblas_complex_numIfEPKS3_PKPS1_EvbiT_T4_T5_S9_lSB_S9_lT6_S9_li ; -- Begin function _ZL26rocblas_syr2k_her2k_kernelIlLb0ELb0ELb1ELi32EPK19rocblas_complex_numIfEPKS3_PKPS1_EvbiT_T4_T5_S9_lSB_S9_lT6_S9_li
	.p2align	8
	.type	_ZL26rocblas_syr2k_her2k_kernelIlLb0ELb0ELb1ELi32EPK19rocblas_complex_numIfEPKS3_PKPS1_EvbiT_T4_T5_S9_lSB_S9_lT6_S9_li,@function
_ZL26rocblas_syr2k_her2k_kernelIlLb0ELb0ELb1ELi32EPK19rocblas_complex_numIfEPKS3_PKPS1_EvbiT_T4_T5_S9_lSB_S9_lT6_S9_li: ; @_ZL26rocblas_syr2k_her2k_kernelIlLb0ELb0ELb1ELi32EPK19rocblas_complex_numIfEPKS3_PKPS1_EvbiT_T4_T5_S9_lSB_S9_lT6_S9_li
; %bb.0:
	s_load_dwordx16 s[12:27], s[4:5], 0x8
	s_waitcnt lgkmcnt(0)
	s_load_dwordx2 s[10:11], s[14:15], 0x0
	s_waitcnt lgkmcnt(0)
	v_cmp_eq_f32_e64 s[0:1], s10, 0
	v_cmp_eq_f32_e64 s[2:3], s11, 0
	s_and_b64 s[0:1], s[0:1], s[2:3]
	s_and_b64 vcc, exec, s[0:1]
	s_cbranch_vccnz .LBB1616_10
; %bb.1:
	s_load_dwordx2 s[14:15], s[4:5], 0x0
	s_lshl_b32 s2, s7, 5
	s_lshl_b32 s3, s6, 5
	s_waitcnt lgkmcnt(0)
	s_and_b32 s0, 1, s14
	s_cmp_eq_u32 s0, 1
	s_cselect_b64 s[0:1], -1, 0
	s_and_b64 s[6:7], s[0:1], exec
	s_cselect_b32 s6, s3, s2
	s_cselect_b32 s7, s2, s3
	s_cmp_gt_i32 s6, s7
	v_cmp_lt_i64_e64 s[6:7], s[12:13], 1
	s_cselect_b64 s[28:29], -1, 0
	s_or_b64 s[6:7], s[28:29], s[6:7]
	s_and_b64 vcc, exec, s[6:7]
	s_cbranch_vccnz .LBB1616_10
; %bb.2:
	s_mov_b32 s9, 0
	s_load_dwordx4 s[28:31], s[4:5], 0x48
	s_load_dwordx2 s[6:7], s[4:5], 0x58
	s_lshl_b64 s[4:5], s[8:9], 3
	s_add_u32 s16, s16, s4
	s_addc_u32 s17, s17, s5
	s_add_u32 s22, s22, s4
	s_addc_u32 s23, s23, s5
	s_waitcnt lgkmcnt(0)
	s_add_u32 s4, s28, s4
	s_addc_u32 s5, s29, s5
	s_load_dwordx2 s[28:29], s[4:5], 0x0
	s_load_dwordx2 s[8:9], s[16:17], 0x0
	s_load_dwordx2 s[34:35], s[22:23], 0x0
	s_lshl_b64 s[4:5], s[6:7], 3
	v_add_u32_e32 v2, s2, v1
	s_waitcnt lgkmcnt(0)
	s_add_u32 s14, s28, s4
	s_addc_u32 s16, s29, s5
	v_add_u32_e32 v4, s3, v0
	s_ashr_i32 s3, s15, 31
	s_mov_b32 s2, s15
	v_mov_b32_e32 v5, 0
	v_cndmask_b32_e64 v8, v4, v2, s[0:1]
	v_cndmask_b32_e64 v9, v2, v4, s[0:1]
	v_cmp_gt_i64_e64 s[0:1], s[2:3], v[4:5]
	v_mov_b32_e32 v3, v5
	v_ashrrev_i32_e32 v5, 31, v2
	v_mul_lo_u32 v5, s30, v5
	v_mul_lo_u32 v11, s31, v2
	v_mad_u64_u32 v[6:7], s[4:5], s30, v2, 0
	v_cmp_gt_i64_e64 s[2:3], s[2:3], v[2:3]
	v_max_i32_e32 v3, v4, v2
	v_cmp_gt_i32_e32 vcc, s15, v3
	v_cmp_le_i32_e64 s[4:5], v9, v8
	s_and_b64 s[6:7], s[4:5], vcc
	v_add3_u32 v7, v7, v5, v11
	v_mad_u64_u32 v[8:9], s[4:5], s24, v2, 0
	v_lshlrev_b64 v[6:7], 3, v[6:7]
	v_mov_b32_e32 v3, s16
	v_add_co_u32_e32 v11, vcc, s14, v6
	v_addc_co_u32_e32 v7, vcc, v3, v7, vcc
	v_mov_b32_e32 v3, v9
	v_mad_u64_u32 v[2:3], s[4:5], s25, v2, v[3:4]
	v_ashrrev_i32_e32 v5, 31, v4
	v_lshlrev_b64 v[5:6], 3, v[4:5]
	v_mov_b32_e32 v9, v2
	v_add_co_u32_e32 v14, vcc, v11, v5
	v_lshlrev_b64 v[2:3], 3, v[8:9]
	v_addc_co_u32_e32 v15, vcc, v7, v6, vcc
	s_lshl_b64 s[4:5], s[26:27], 3
	v_mov_b32_e32 v5, s5
	v_add_co_u32_e32 v6, vcc, s4, v2
	v_addc_co_u32_e32 v5, vcc, v3, v5, vcc
	v_mad_u64_u32 v[2:3], s[4:5], s18, v4, 0
	v_lshlrev_b32_e32 v7, 3, v0
	v_add_co_u32_e32 v6, vcc, v6, v7
	v_mad_u64_u32 v[3:4], s[4:5], s19, v4, v[3:4]
	v_addc_co_u32_e32 v5, vcc, 0, v5, vcc
	v_mov_b32_e32 v7, s35
	v_add_co_u32_e32 v16, vcc, s34, v6
	v_lshlrev_b64 v[2:3], 3, v[2:3]
	v_addc_co_u32_e32 v17, vcc, v7, v5, vcc
	s_lshl_b64 s[4:5], s[20:21], 3
	v_mov_b32_e32 v4, s5
	v_add_co_u32_e32 v2, vcc, s4, v2
	v_lshlrev_b32_e32 v10, 3, v1
	v_addc_co_u32_e32 v3, vcc, v3, v4, vcc
	v_add_co_u32_e32 v2, vcc, v2, v10
	v_addc_co_u32_e32 v3, vcc, 0, v3, vcc
	v_lshlrev_b32_e32 v20, 8, v0
	v_or_b32_e32 v22, 0x2000, v10
	v_mov_b32_e32 v4, s9
	v_add_co_u32_e32 v18, vcc, s8, v2
	v_add_u32_e32 v21, v20, v10
	v_add_u32_e32 v23, v22, v20
	v_addc_co_u32_e32 v19, vcc, v4, v3, vcc
	s_mov_b64 s[8:9], 0
	v_add_u32_e32 v24, 0x800, v22
	v_add_u32_e32 v25, 0x1000, v22
	;; [unrolled: 1-line block ×3, first 2 shown]
	s_branch .LBB1616_4
.LBB1616_3:                             ;   in Loop: Header=BB1616_4 Depth=1
	s_or_b64 exec, exec, s[4:5]
	s_add_u32 s8, s8, 32
	v_add_co_u32_e32 v16, vcc, 0x100, v16
	v_mov_b32_e32 v2, s12
	s_addc_u32 s9, s9, 0
	v_addc_co_u32_e32 v17, vcc, 0, v17, vcc
	v_mov_b32_e32 v3, s13
	v_add_co_u32_e32 v18, vcc, 0x100, v18
	v_cmp_lt_i64_e64 s[4:5], s[8:9], v[2:3]
	v_addc_co_u32_e32 v19, vcc, 0, v19, vcc
	s_and_b64 vcc, exec, s[4:5]
	s_waitcnt vmcnt(0) lgkmcnt(0)
	s_barrier
	s_cbranch_vccz .LBB1616_10
.LBB1616_4:                             ; =>This Inner Loop Header: Depth=1
	v_mov_b32_e32 v3, s9
	v_add_co_u32_e32 v2, vcc, s8, v1
	v_addc_co_u32_e32 v3, vcc, 0, v3, vcc
	v_cmp_gt_i64_e32 vcc, s[12:13], v[2:3]
	v_mov_b32_e32 v2, 0
	s_and_b64 s[14:15], s[0:1], vcc
	v_mov_b32_e32 v3, 0
	s_and_saveexec_b64 s[4:5], s[14:15]
	s_cbranch_execz .LBB1616_6
; %bb.5:                                ;   in Loop: Header=BB1616_4 Depth=1
	flat_load_dwordx2 v[2:3], v[18:19]
.LBB1616_6:                             ;   in Loop: Header=BB1616_4 Depth=1
	s_or_b64 exec, exec, s[4:5]
	v_mov_b32_e32 v5, s9
	v_add_co_u32_e32 v4, vcc, s8, v0
	v_addc_co_u32_e32 v5, vcc, 0, v5, vcc
	v_cmp_gt_i64_e32 vcc, s[12:13], v[4:5]
	s_waitcnt vmcnt(0) lgkmcnt(0)
	ds_write_b64 v21, v[2:3]
	s_and_b64 s[14:15], s[2:3], vcc
	v_mov_b32_e32 v2, 0
	v_mov_b32_e32 v3, 0
	s_and_saveexec_b64 s[4:5], s[14:15]
	s_cbranch_execz .LBB1616_8
; %bb.7:                                ;   in Loop: Header=BB1616_4 Depth=1
	flat_load_dwordx2 v[2:3], v[16:17]
.LBB1616_8:                             ;   in Loop: Header=BB1616_4 Depth=1
	s_or_b64 exec, exec, s[4:5]
	s_waitcnt vmcnt(0) lgkmcnt(0)
	ds_write_b64 v23, v[2:3]
	s_waitcnt lgkmcnt(0)
	s_barrier
	s_and_saveexec_b64 s[4:5], s[6:7]
	s_cbranch_execz .LBB1616_3
; %bb.9:                                ;   in Loop: Header=BB1616_4 Depth=1
	ds_read2_b64 v[2:5], v22 offset1:32
	ds_read_b128 v[6:9], v20
	ds_read_b128 v[10:13], v20 offset:16
	s_waitcnt lgkmcnt(1)
	v_mul_f32_e32 v27, v3, v7
	v_fma_f32 v32, v2, v6, -v27
	ds_read2_b64 v[27:30], v22 offset0:64 offset1:96
	v_mul_f32_e32 v31, v2, v7
	v_mul_f32_e32 v2, v5, v9
	v_fma_f32 v33, v4, v8, -v2
	v_fmac_f32_e32 v31, v3, v6
	s_waitcnt lgkmcnt(0)
	v_mul_f32_e32 v2, v28, v11
	v_mul_f32_e32 v34, v4, v9
	v_fma_f32 v35, v27, v10, -v2
	v_mul_f32_e32 v27, v27, v11
	v_mul_f32_e32 v2, v30, v13
	v_fmac_f32_e32 v34, v5, v8
	v_fmac_f32_e32 v27, v28, v10
	v_fma_f32 v28, v29, v12, -v2
	v_mul_f32_e32 v29, v29, v13
	v_add_f32_e32 v10, 0, v32
	v_add_f32_e32 v11, 0, v31
	v_fmac_f32_e32 v29, v30, v12
	ds_read_b128 v[2:5], v20 offset:32
	ds_read_b128 v[6:9], v20 offset:48
	v_add_f32_e32 v30, v10, v33
	v_add_f32_e32 v31, v11, v34
	ds_read2_b64 v[10:13], v22 offset0:128 offset1:160
	v_add_f32_e32 v27, v31, v27
	v_add_f32_e32 v30, v30, v35
	;; [unrolled: 1-line block ×4, first 2 shown]
	s_waitcnt lgkmcnt(0)
	v_mul_f32_e32 v29, v11, v3
	v_mul_f32_e32 v3, v10, v3
	v_fma_f32 v29, v10, v2, -v29
	v_fmac_f32_e32 v3, v11, v2
	v_add_f32_e32 v2, v28, v29
	v_add_f32_e32 v3, v27, v3
	ds_read2_b64 v[27:30], v22 offset0:192 offset1:224
	v_mul_f32_e32 v10, v13, v5
	v_mul_f32_e32 v5, v12, v5
	v_fma_f32 v10, v12, v4, -v10
	v_fmac_f32_e32 v5, v13, v4
	s_waitcnt lgkmcnt(0)
	v_mul_f32_e32 v4, v28, v7
	v_add_f32_e32 v2, v2, v10
	v_add_f32_e32 v3, v3, v5
	v_fma_f32 v4, v27, v6, -v4
	v_mul_f32_e32 v5, v27, v7
	v_fmac_f32_e32 v5, v28, v6
	v_add_f32_e32 v6, v2, v4
	v_mul_f32_e32 v2, v30, v9
	v_add_f32_e32 v7, v3, v5
	v_fma_f32 v13, v29, v8, -v2
	v_mul_f32_e32 v27, v29, v9
	ds_read_b128 v[2:5], v20 offset:64
	ds_read2_b64 v[9:12], v24 offset1:32
	v_fmac_f32_e32 v27, v30, v8
	v_add_f32_e32 v6, v6, v13
	v_add_f32_e32 v7, v7, v27
	ds_read_b128 v[27:30], v20 offset:80
	s_waitcnt lgkmcnt(1)
	v_mul_f32_e32 v8, v10, v3
	v_fma_f32 v8, v9, v2, -v8
	v_mul_f32_e32 v3, v9, v3
	v_fmac_f32_e32 v3, v10, v2
	v_add_f32_e32 v2, v6, v8
	v_mul_f32_e32 v6, v12, v5
	v_add_f32_e32 v3, v7, v3
	v_fma_f32 v10, v11, v4, -v6
	ds_read2_b64 v[6:9], v24 offset0:64 offset1:96
	v_mul_f32_e32 v5, v11, v5
	v_fmac_f32_e32 v5, v12, v4
	v_add_f32_e32 v2, v2, v10
	v_add_f32_e32 v3, v3, v5
	s_waitcnt lgkmcnt(0)
	v_mul_f32_e32 v4, v7, v28
	v_fma_f32 v4, v6, v27, -v4
	v_mul_f32_e32 v5, v6, v28
	v_fmac_f32_e32 v5, v7, v27
	v_add_f32_e32 v6, v2, v4
	v_mul_f32_e32 v2, v9, v30
	v_add_f32_e32 v7, v3, v5
	v_fma_f32 v27, v8, v29, -v2
	ds_read_b128 v[2:5], v20 offset:96
	ds_read2_b64 v[10:13], v24 offset0:128 offset1:160
	v_mul_f32_e32 v8, v8, v30
	v_fmac_f32_e32 v8, v9, v29
	v_add_f32_e32 v27, v6, v27
	v_add_f32_e32 v28, v7, v8
	s_waitcnt lgkmcnt(0)
	v_mul_f32_e32 v29, v11, v3
	v_mul_f32_e32 v3, v10, v3
	v_fma_f32 v29, v10, v2, -v29
	v_fmac_f32_e32 v3, v11, v2
	ds_read_b128 v[6:9], v20 offset:112
	v_add_f32_e32 v2, v27, v29
	v_add_f32_e32 v3, v28, v3
	ds_read2_b64 v[27:30], v24 offset0:192 offset1:224
	v_mul_f32_e32 v10, v13, v5
	v_mul_f32_e32 v5, v12, v5
	v_fma_f32 v10, v12, v4, -v10
	v_fmac_f32_e32 v5, v13, v4
	s_waitcnt lgkmcnt(0)
	v_mul_f32_e32 v4, v28, v7
	v_add_f32_e32 v2, v2, v10
	v_add_f32_e32 v3, v3, v5
	v_fma_f32 v4, v27, v6, -v4
	v_mul_f32_e32 v5, v27, v7
	v_fmac_f32_e32 v5, v28, v6
	v_add_f32_e32 v6, v2, v4
	v_mul_f32_e32 v2, v30, v9
	v_add_f32_e32 v7, v3, v5
	v_fma_f32 v13, v29, v8, -v2
	v_mul_f32_e32 v27, v29, v9
	ds_read_b128 v[2:5], v20 offset:128
	ds_read2_b64 v[9:12], v25 offset1:32
	v_fmac_f32_e32 v27, v30, v8
	v_add_f32_e32 v6, v6, v13
	v_add_f32_e32 v7, v7, v27
	ds_read_b128 v[27:30], v20 offset:144
	s_waitcnt lgkmcnt(1)
	v_mul_f32_e32 v8, v10, v3
	v_fma_f32 v8, v9, v2, -v8
	v_mul_f32_e32 v3, v9, v3
	ds_read2_b64 v[31:34], v25 offset0:64 offset1:96
	v_fmac_f32_e32 v3, v10, v2
	v_add_f32_e32 v2, v6, v8
	v_mul_f32_e32 v6, v12, v5
	v_fma_f32 v6, v11, v4, -v6
	v_mul_f32_e32 v5, v11, v5
	v_add_f32_e32 v3, v7, v3
	v_fmac_f32_e32 v5, v12, v4
	v_add_f32_e32 v2, v2, v6
	ds_read_b128 v[6:9], v20 offset:160
	ds_read2_b64 v[10:13], v25 offset0:128 offset1:160
	v_add_f32_e32 v3, v3, v5
	s_waitcnt lgkmcnt(2)
	v_mul_f32_e32 v4, v32, v28
	v_mul_f32_e32 v5, v31, v28
	v_fma_f32 v4, v31, v27, -v4
	v_fmac_f32_e32 v5, v32, v27
	v_add_f32_e32 v2, v2, v4
	v_add_f32_e32 v3, v3, v5
	v_mul_f32_e32 v4, v34, v30
	v_mul_f32_e32 v5, v33, v30
	v_fma_f32 v4, v33, v29, -v4
	v_fmac_f32_e32 v5, v34, v29
	s_waitcnt lgkmcnt(0)
	v_mul_f32_e32 v29, v11, v7
	v_mul_f32_e32 v30, v10, v7
	v_fma_f32 v29, v10, v6, -v29
	v_fmac_f32_e32 v30, v11, v6
	v_mul_f32_e32 v6, v13, v9
	v_fma_f32 v31, v12, v8, -v6
	flat_load_dwordx2 v[6:7], v[14:15]
	v_mul_f32_e32 v12, v12, v9
	v_add_f32_e32 v27, v2, v4
	v_add_f32_e32 v28, v3, v5
	ds_read_b128 v[2:5], v20 offset:176
	v_fmac_f32_e32 v12, v13, v8
	ds_read2_b64 v[8:11], v25 offset0:192 offset1:224
	v_add_f32_e32 v13, v27, v29
	v_add_f32_e32 v27, v28, v30
	;; [unrolled: 1-line block ×4, first 2 shown]
	s_waitcnt lgkmcnt(0)
	v_mul_f32_e32 v27, v9, v3
	v_mul_f32_e32 v28, v8, v3
	v_fma_f32 v27, v8, v2, -v27
	v_fmac_f32_e32 v28, v9, v2
	v_mul_f32_e32 v2, v11, v5
	v_mul_f32_e32 v29, v10, v5
	v_add_f32_e32 v13, v13, v27
	v_fma_f32 v27, v10, v4, -v2
	v_fmac_f32_e32 v29, v11, v4
	ds_read_b128 v[2:5], v20 offset:192
	ds_read2_b64 v[8:11], v26 offset1:32
	v_add_f32_e32 v12, v12, v28
	v_add_f32_e32 v13, v13, v27
	;; [unrolled: 1-line block ×3, first 2 shown]
	ds_read_b128 v[27:30], v20 offset:208
	s_waitcnt lgkmcnt(0)
	v_mul_f32_e32 v31, v9, v3
	v_fma_f32 v31, v8, v2, -v31
	v_mul_f32_e32 v8, v8, v3
	v_fmac_f32_e32 v8, v9, v2
	v_mul_f32_e32 v2, v11, v5
	v_fma_f32 v9, v10, v4, -v2
	v_mul_f32_e32 v10, v10, v5
	v_fmac_f32_e32 v10, v11, v4
	ds_read2_b64 v[2:5], v26 offset0:64 offset1:96
	v_add_f32_e32 v8, v12, v8
	v_add_f32_e32 v11, v13, v31
	;; [unrolled: 1-line block ×4, first 2 shown]
	s_waitcnt lgkmcnt(0)
	v_mul_f32_e32 v8, v3, v28
	v_fma_f32 v8, v2, v27, -v8
	v_mul_f32_e32 v13, v2, v28
	v_mul_f32_e32 v2, v5, v30
	v_mul_f32_e32 v30, v4, v30
	v_fmac_f32_e32 v13, v3, v27
	v_add_f32_e32 v27, v9, v8
	v_fma_f32 v28, v4, v29, -v2
	v_fmac_f32_e32 v30, v5, v29
	ds_read_b128 v[2:5], v20 offset:224
	ds_read2_b64 v[8:11], v26 offset0:128 offset1:160
	v_add_f32_e32 v12, v12, v13
	v_add_f32_e32 v13, v27, v28
	;; [unrolled: 1-line block ×3, first 2 shown]
	ds_read_b128 v[27:30], v20 offset:240
	s_waitcnt lgkmcnt(0)
	v_mul_f32_e32 v31, v9, v3
	v_fma_f32 v31, v8, v2, -v31
	v_mul_f32_e32 v8, v8, v3
	v_fmac_f32_e32 v8, v9, v2
	v_mul_f32_e32 v2, v11, v5
	v_fma_f32 v9, v10, v4, -v2
	v_mul_f32_e32 v10, v10, v5
	v_fmac_f32_e32 v10, v11, v4
	ds_read2_b64 v[2:5], v26 offset0:192 offset1:224
	v_add_f32_e32 v8, v12, v8
	v_add_f32_e32 v8, v8, v10
	;; [unrolled: 1-line block ×4, first 2 shown]
	s_waitcnt lgkmcnt(0)
	v_mul_f32_e32 v10, v3, v28
	v_fma_f32 v10, v2, v27, -v10
	v_mul_f32_e32 v2, v2, v28
	v_fmac_f32_e32 v2, v3, v27
	v_add_f32_e32 v2, v8, v2
	v_mul_f32_e32 v8, v5, v30
	v_fma_f32 v8, v4, v29, -v8
	v_mul_f32_e32 v4, v4, v30
	v_fmac_f32_e32 v4, v5, v29
	v_add_f32_e32 v3, v9, v10
	v_add_f32_e32 v2, v2, v4
	;; [unrolled: 1-line block ×3, first 2 shown]
	v_mul_f32_e32 v4, s11, v2
	v_fma_f32 v4, s10, v3, -v4
	v_mul_f32_e32 v3, s11, v3
	v_fmac_f32_e32 v3, s10, v2
	s_waitcnt vmcnt(0)
	v_add_f32_e32 v2, v6, v4
	v_add_f32_e32 v3, v7, v3
	flat_store_dwordx2 v[14:15], v[2:3]
	s_branch .LBB1616_3
.LBB1616_10:
	s_endpgm
	.section	.rodata,"a",@progbits
	.p2align	6, 0x0
	.amdhsa_kernel _ZL26rocblas_syr2k_her2k_kernelIlLb0ELb0ELb1ELi32EPK19rocblas_complex_numIfEPKS3_PKPS1_EvbiT_T4_T5_S9_lSB_S9_lT6_S9_li
		.amdhsa_group_segment_fixed_size 16384
		.amdhsa_private_segment_fixed_size 0
		.amdhsa_kernarg_size 100
		.amdhsa_user_sgpr_count 6
		.amdhsa_user_sgpr_private_segment_buffer 1
		.amdhsa_user_sgpr_dispatch_ptr 0
		.amdhsa_user_sgpr_queue_ptr 0
		.amdhsa_user_sgpr_kernarg_segment_ptr 1
		.amdhsa_user_sgpr_dispatch_id 0
		.amdhsa_user_sgpr_flat_scratch_init 0
		.amdhsa_user_sgpr_private_segment_size 0
		.amdhsa_uses_dynamic_stack 0
		.amdhsa_system_sgpr_private_segment_wavefront_offset 0
		.amdhsa_system_sgpr_workgroup_id_x 1
		.amdhsa_system_sgpr_workgroup_id_y 1
		.amdhsa_system_sgpr_workgroup_id_z 1
		.amdhsa_system_sgpr_workgroup_info 0
		.amdhsa_system_vgpr_workitem_id 1
		.amdhsa_next_free_vgpr 36
		.amdhsa_next_free_sgpr 61
		.amdhsa_reserve_vcc 1
		.amdhsa_reserve_flat_scratch 0
		.amdhsa_float_round_mode_32 0
		.amdhsa_float_round_mode_16_64 0
		.amdhsa_float_denorm_mode_32 3
		.amdhsa_float_denorm_mode_16_64 3
		.amdhsa_dx10_clamp 1
		.amdhsa_ieee_mode 1
		.amdhsa_fp16_overflow 0
		.amdhsa_exception_fp_ieee_invalid_op 0
		.amdhsa_exception_fp_denorm_src 0
		.amdhsa_exception_fp_ieee_div_zero 0
		.amdhsa_exception_fp_ieee_overflow 0
		.amdhsa_exception_fp_ieee_underflow 0
		.amdhsa_exception_fp_ieee_inexact 0
		.amdhsa_exception_int_div_zero 0
	.end_amdhsa_kernel
	.section	.text._ZL26rocblas_syr2k_her2k_kernelIlLb0ELb0ELb1ELi32EPK19rocblas_complex_numIfEPKS3_PKPS1_EvbiT_T4_T5_S9_lSB_S9_lT6_S9_li,"axG",@progbits,_ZL26rocblas_syr2k_her2k_kernelIlLb0ELb0ELb1ELi32EPK19rocblas_complex_numIfEPKS3_PKPS1_EvbiT_T4_T5_S9_lSB_S9_lT6_S9_li,comdat
.Lfunc_end1616:
	.size	_ZL26rocblas_syr2k_her2k_kernelIlLb0ELb0ELb1ELi32EPK19rocblas_complex_numIfEPKS3_PKPS1_EvbiT_T4_T5_S9_lSB_S9_lT6_S9_li, .Lfunc_end1616-_ZL26rocblas_syr2k_her2k_kernelIlLb0ELb0ELb1ELi32EPK19rocblas_complex_numIfEPKS3_PKPS1_EvbiT_T4_T5_S9_lSB_S9_lT6_S9_li
                                        ; -- End function
	.set _ZL26rocblas_syr2k_her2k_kernelIlLb0ELb0ELb1ELi32EPK19rocblas_complex_numIfEPKS3_PKPS1_EvbiT_T4_T5_S9_lSB_S9_lT6_S9_li.num_vgpr, 36
	.set _ZL26rocblas_syr2k_her2k_kernelIlLb0ELb0ELb1ELi32EPK19rocblas_complex_numIfEPKS3_PKPS1_EvbiT_T4_T5_S9_lSB_S9_lT6_S9_li.num_agpr, 0
	.set _ZL26rocblas_syr2k_her2k_kernelIlLb0ELb0ELb1ELi32EPK19rocblas_complex_numIfEPKS3_PKPS1_EvbiT_T4_T5_S9_lSB_S9_lT6_S9_li.numbered_sgpr, 36
	.set _ZL26rocblas_syr2k_her2k_kernelIlLb0ELb0ELb1ELi32EPK19rocblas_complex_numIfEPKS3_PKPS1_EvbiT_T4_T5_S9_lSB_S9_lT6_S9_li.num_named_barrier, 0
	.set _ZL26rocblas_syr2k_her2k_kernelIlLb0ELb0ELb1ELi32EPK19rocblas_complex_numIfEPKS3_PKPS1_EvbiT_T4_T5_S9_lSB_S9_lT6_S9_li.private_seg_size, 0
	.set _ZL26rocblas_syr2k_her2k_kernelIlLb0ELb0ELb1ELi32EPK19rocblas_complex_numIfEPKS3_PKPS1_EvbiT_T4_T5_S9_lSB_S9_lT6_S9_li.uses_vcc, 1
	.set _ZL26rocblas_syr2k_her2k_kernelIlLb0ELb0ELb1ELi32EPK19rocblas_complex_numIfEPKS3_PKPS1_EvbiT_T4_T5_S9_lSB_S9_lT6_S9_li.uses_flat_scratch, 0
	.set _ZL26rocblas_syr2k_her2k_kernelIlLb0ELb0ELb1ELi32EPK19rocblas_complex_numIfEPKS3_PKPS1_EvbiT_T4_T5_S9_lSB_S9_lT6_S9_li.has_dyn_sized_stack, 0
	.set _ZL26rocblas_syr2k_her2k_kernelIlLb0ELb0ELb1ELi32EPK19rocblas_complex_numIfEPKS3_PKPS1_EvbiT_T4_T5_S9_lSB_S9_lT6_S9_li.has_recursion, 0
	.set _ZL26rocblas_syr2k_her2k_kernelIlLb0ELb0ELb1ELi32EPK19rocblas_complex_numIfEPKS3_PKPS1_EvbiT_T4_T5_S9_lSB_S9_lT6_S9_li.has_indirect_call, 0
	.section	.AMDGPU.csdata,"",@progbits
; Kernel info:
; codeLenInByte = 2032
; TotalNumSgprs: 40
; NumVgprs: 36
; ScratchSize: 0
; MemoryBound: 0
; FloatMode: 240
; IeeeMode: 1
; LDSByteSize: 16384 bytes/workgroup (compile time only)
; SGPRBlocks: 8
; VGPRBlocks: 8
; NumSGPRsForWavesPerEU: 65
; NumVGPRsForWavesPerEU: 36
; Occupancy: 7
; WaveLimiterHint : 1
; COMPUTE_PGM_RSRC2:SCRATCH_EN: 0
; COMPUTE_PGM_RSRC2:USER_SGPR: 6
; COMPUTE_PGM_RSRC2:TRAP_HANDLER: 0
; COMPUTE_PGM_RSRC2:TGID_X_EN: 1
; COMPUTE_PGM_RSRC2:TGID_Y_EN: 1
; COMPUTE_PGM_RSRC2:TGID_Z_EN: 1
; COMPUTE_PGM_RSRC2:TIDIG_COMP_CNT: 1
	.section	.text._ZL26rocblas_syr2k_her2k_kernelIlLb0ELb0ELb0ELi32E19rocblas_complex_numIdEPKPKS1_PKPS1_EvbiT_T4_T5_S9_lSB_S9_lT6_S9_li,"axG",@progbits,_ZL26rocblas_syr2k_her2k_kernelIlLb0ELb0ELb0ELi32E19rocblas_complex_numIdEPKPKS1_PKPS1_EvbiT_T4_T5_S9_lSB_S9_lT6_S9_li,comdat
	.globl	_ZL26rocblas_syr2k_her2k_kernelIlLb0ELb0ELb0ELi32E19rocblas_complex_numIdEPKPKS1_PKPS1_EvbiT_T4_T5_S9_lSB_S9_lT6_S9_li ; -- Begin function _ZL26rocblas_syr2k_her2k_kernelIlLb0ELb0ELb0ELi32E19rocblas_complex_numIdEPKPKS1_PKPS1_EvbiT_T4_T5_S9_lSB_S9_lT6_S9_li
	.p2align	8
	.type	_ZL26rocblas_syr2k_her2k_kernelIlLb0ELb0ELb0ELi32E19rocblas_complex_numIdEPKPKS1_PKPS1_EvbiT_T4_T5_S9_lSB_S9_lT6_S9_li,@function
_ZL26rocblas_syr2k_her2k_kernelIlLb0ELb0ELb0ELi32E19rocblas_complex_numIdEPKPKS1_PKPS1_EvbiT_T4_T5_S9_lSB_S9_lT6_S9_li: ; @_ZL26rocblas_syr2k_her2k_kernelIlLb0ELb0ELb0ELi32E19rocblas_complex_numIdEPKPKS1_PKPS1_EvbiT_T4_T5_S9_lSB_S9_lT6_S9_li
; %bb.0:
	s_load_dwordx16 s[12:27], s[4:5], 0x8
	s_waitcnt lgkmcnt(0)
	v_cmp_eq_f64_e64 s[0:1], s[14:15], 0
	v_cmp_eq_f64_e64 s[2:3], s[16:17], 0
	s_and_b64 s[0:1], s[0:1], s[2:3]
	s_and_b64 vcc, exec, s[0:1]
	s_cbranch_vccnz .LBB1617_10
; %bb.1:
	s_load_dwordx2 s[28:29], s[4:5], 0x0
	s_lshl_b32 s2, s7, 5
	s_lshl_b32 s3, s6, 5
	s_waitcnt lgkmcnt(0)
	s_and_b32 s0, 1, s28
	s_cmp_eq_u32 s0, 1
	s_cselect_b64 s[0:1], -1, 0
	s_and_b64 s[6:7], s[0:1], exec
	s_cselect_b32 s6, s3, s2
	s_cselect_b32 s7, s2, s3
	s_cmp_gt_i32 s6, s7
	v_cmp_lt_i64_e64 s[6:7], s[12:13], 1
	s_cselect_b64 s[10:11], -1, 0
	s_or_b64 s[6:7], s[10:11], s[6:7]
	s_and_b64 vcc, exec, s[6:7]
	s_cbranch_vccnz .LBB1617_10
; %bb.2:
	s_mov_b32 s9, 0
	s_load_dwordx8 s[36:43], s[4:5], 0x48
	s_lshl_b64 s[4:5], s[8:9], 3
	s_add_u32 s6, s18, s4
	s_addc_u32 s7, s19, s5
	s_add_u32 s8, s24, s4
	s_addc_u32 s9, s25, s5
	s_waitcnt lgkmcnt(0)
	s_add_u32 s4, s38, s4
	s_addc_u32 s5, s39, s5
	s_load_dwordx2 s[18:19], s[4:5], 0x0
	s_load_dwordx2 s[10:11], s[6:7], 0x0
	s_load_dwordx2 s[24:25], s[8:9], 0x0
	s_lshl_b64 s[4:5], s[42:43], 4
	v_add_u32_e32 v2, s2, v1
	v_lshlrev_b32_e32 v14, 9, v0
	v_lshlrev_b32_e32 v6, 4, v1
	s_waitcnt lgkmcnt(0)
	s_add_u32 s8, s18, s4
	v_add_u32_e32 v15, v14, v6
	v_or_b32_e32 v16, 0x4000, v6
	v_ashrrev_i32_e32 v6, 31, v2
	s_addc_u32 s9, s19, s5
	v_mul_lo_u32 v11, s40, v6
	v_mul_lo_u32 v12, s41, v2
	v_mad_u64_u32 v[6:7], s[4:5], s40, v2, 0
	v_add_u32_e32 v4, s3, v0
	v_cndmask_b32_e64 v8, v4, v2, s[0:1]
	v_cndmask_b32_e64 v9, v2, v4, s[0:1]
	v_max_i32_e32 v10, v4, v2
	v_cmp_gt_i32_e32 vcc, s29, v10
	v_cmp_le_i32_e64 s[4:5], v9, v8
	s_and_b64 s[6:7], s[4:5], vcc
	v_add3_u32 v7, v7, v11, v12
	v_mad_u64_u32 v[10:11], s[4:5], s26, v0, 0
	v_lshlrev_b64 v[6:7], 4, v[6:7]
	v_ashrrev_i32_e32 v9, 31, v4
	v_mov_b32_e32 v8, v4
	v_mov_b32_e32 v12, s9
	v_add_co_u32_e32 v13, vcc, s8, v6
	v_addc_co_u32_e32 v18, vcc, v12, v7, vcc
	v_lshlrev_b64 v[6:7], 4, v[8:9]
	v_mov_b32_e32 v8, v11
	v_mad_u64_u32 v[11:12], s[4:5], s27, v0, v[8:9]
	v_add_co_u32_e32 v8, vcc, v13, v6
	v_addc_co_u32_e32 v9, vcc, v18, v7, vcc
	v_lshlrev_b64 v[6:7], 4, v[10:11]
	s_lshl_b64 s[4:5], s[36:37], 4
	v_mov_b32_e32 v10, s5
	v_add_co_u32_e32 v11, vcc, s4, v6
	v_mov_b32_e32 v5, 0
	v_addc_co_u32_e32 v10, vcc, v7, v10, vcc
	v_mad_u64_u32 v[6:7], s[4:5], s20, v1, 0
	s_ashr_i32 s3, s29, 31
	s_mov_b32 s2, s29
	v_mov_b32_e32 v3, v5
	v_cmp_gt_i64_e64 s[0:1], s[2:3], v[4:5]
	v_cmp_gt_i64_e64 s[2:3], s[2:3], v[2:3]
	v_lshlrev_b64 v[2:3], 4, v[2:3]
	v_mov_b32_e32 v13, s25
	v_add_co_u32_e32 v11, vcc, v11, v2
	v_mov_b32_e32 v2, v7
	v_addc_co_u32_e32 v12, vcc, v10, v3, vcc
	v_mad_u64_u32 v[2:3], s[4:5], s21, v1, v[2:3]
	v_add_co_u32_e32 v10, vcc, s24, v11
	v_mov_b32_e32 v7, v2
	v_lshlrev_b64 v[2:3], 4, v[6:7]
	v_addc_co_u32_e32 v11, vcc, v13, v12, vcc
	s_lshl_b64 s[4:5], s[22:23], 4
	v_mov_b32_e32 v6, s5
	v_add_co_u32_e32 v7, vcc, s4, v2
	v_addc_co_u32_e32 v6, vcc, v3, v6, vcc
	v_lshlrev_b64 v[2:3], 4, v[4:5]
	v_mov_b32_e32 v4, s11
	v_add_co_u32_e32 v2, vcc, v7, v2
	v_addc_co_u32_e32 v3, vcc, v6, v3, vcc
	v_add_co_u32_e32 v12, vcc, s10, v2
	v_add_u32_e32 v17, v16, v14
	s_lshl_b64 s[8:9], s[26:27], 9
	v_addc_co_u32_e32 v13, vcc, v4, v3, vcc
	s_lshl_b64 s[10:11], s[20:21], 9
	s_mov_b64 s[18:19], 0
	s_branch .LBB1617_4
.LBB1617_3:                             ;   in Loop: Header=BB1617_4 Depth=1
	s_or_b64 exec, exec, s[4:5]
	v_mov_b32_e32 v2, s9
	v_add_co_u32_e32 v10, vcc, s8, v10
	s_add_u32 s18, s18, 32
	v_addc_co_u32_e32 v11, vcc, v11, v2, vcc
	v_mov_b32_e32 v2, s12
	s_addc_u32 s19, s19, 0
	v_mov_b32_e32 v3, s13
	v_cmp_lt_i64_e32 vcc, s[18:19], v[2:3]
	v_mov_b32_e32 v4, s11
	v_add_co_u32_e64 v12, s[4:5], s10, v12
	v_addc_co_u32_e64 v13, s[4:5], v13, v4, s[4:5]
	s_waitcnt vmcnt(0) lgkmcnt(0)
	s_barrier
	s_cbranch_vccz .LBB1617_10
.LBB1617_4:                             ; =>This Inner Loop Header: Depth=1
	v_mov_b32_e32 v3, s19
	v_add_co_u32_e32 v2, vcc, s18, v1
	v_addc_co_u32_e32 v3, vcc, 0, v3, vcc
	v_cmp_gt_i64_e32 vcc, s[12:13], v[2:3]
	v_mov_b32_e32 v2, 0
	v_mov_b32_e32 v4, 0
	;; [unrolled: 1-line block ×6, first 2 shown]
	s_and_b64 s[20:21], s[0:1], vcc
	s_and_saveexec_b64 s[4:5], s[20:21]
	s_cbranch_execz .LBB1617_6
; %bb.5:                                ;   in Loop: Header=BB1617_4 Depth=1
	flat_load_dwordx4 v[4:7], v[12:13]
.LBB1617_6:                             ;   in Loop: Header=BB1617_4 Depth=1
	s_or_b64 exec, exec, s[4:5]
	s_waitcnt vmcnt(0) lgkmcnt(0)
	ds_write_b128 v15, v[4:7]
	v_mov_b32_e32 v5, s19
	v_add_co_u32_e32 v4, vcc, s18, v0
	v_addc_co_u32_e32 v5, vcc, 0, v5, vcc
	v_cmp_gt_i64_e32 vcc, s[12:13], v[4:5]
	v_mov_b32_e32 v4, 0
	v_mov_b32_e32 v5, 0
	s_and_b64 s[20:21], s[2:3], vcc
	s_and_saveexec_b64 s[4:5], s[20:21]
	s_cbranch_execz .LBB1617_8
; %bb.7:                                ;   in Loop: Header=BB1617_4 Depth=1
	flat_load_dwordx4 v[2:5], v[10:11]
.LBB1617_8:                             ;   in Loop: Header=BB1617_4 Depth=1
	s_or_b64 exec, exec, s[4:5]
	s_waitcnt vmcnt(0) lgkmcnt(0)
	ds_write_b128 v17, v[2:5]
	s_waitcnt lgkmcnt(0)
	s_barrier
	s_and_saveexec_b64 s[4:5], s[6:7]
	s_cbranch_execz .LBB1617_3
; %bb.9:                                ;   in Loop: Header=BB1617_4 Depth=1
	ds_read_b128 v[18:21], v16
	ds_read_b128 v[22:25], v14
	ds_read_b128 v[26:29], v14 offset:16
	ds_read_b128 v[30:33], v14 offset:32
	;; [unrolled: 1-line block ×3, first 2 shown]
	s_waitcnt lgkmcnt(3)
	v_mul_f64 v[6:7], v[20:21], v[24:25]
	v_fma_f64 v[6:7], v[18:19], v[22:23], -v[6:7]
	v_mul_f64 v[18:19], v[18:19], v[24:25]
	v_add_f64 v[6:7], v[6:7], 0
	v_fma_f64 v[18:19], v[20:21], v[22:23], v[18:19]
	v_add_f64 v[22:23], v[18:19], 0
	ds_read_b128 v[18:21], v16 offset:512
	s_waitcnt lgkmcnt(0)
	v_mul_f64 v[24:25], v[20:21], v[28:29]
	v_fma_f64 v[24:25], v[18:19], v[26:27], -v[24:25]
	v_mul_f64 v[18:19], v[18:19], v[28:29]
	v_add_f64 v[6:7], v[6:7], v[24:25]
	v_fma_f64 v[18:19], v[20:21], v[26:27], v[18:19]
	v_add_f64 v[22:23], v[22:23], v[18:19]
	ds_read_b128 v[18:21], v16 offset:1024
	;; [unrolled: 8-line block ×3, first 2 shown]
	s_waitcnt lgkmcnt(0)
	v_mul_f64 v[24:25], v[20:21], v[4:5]
	v_mul_f64 v[4:5], v[18:19], v[4:5]
	v_fma_f64 v[24:25], v[18:19], v[2:3], -v[24:25]
	v_fma_f64 v[2:3], v[20:21], v[2:3], v[4:5]
	v_add_f64 v[6:7], v[6:7], v[24:25]
	v_add_f64 v[22:23], v[22:23], v[2:3]
	ds_read_b128 v[2:5], v16 offset:2048
	ds_read_b128 v[18:21], v14 offset:64
	s_waitcnt lgkmcnt(0)
	v_mul_f64 v[24:25], v[4:5], v[20:21]
	v_fma_f64 v[24:25], v[2:3], v[18:19], -v[24:25]
	v_mul_f64 v[2:3], v[2:3], v[20:21]
	v_add_f64 v[6:7], v[6:7], v[24:25]
	v_fma_f64 v[2:3], v[4:5], v[18:19], v[2:3]
	v_add_f64 v[22:23], v[22:23], v[2:3]
	ds_read_b128 v[2:5], v16 offset:2560
	ds_read_b128 v[18:21], v14 offset:80
	s_waitcnt lgkmcnt(0)
	v_mul_f64 v[24:25], v[4:5], v[20:21]
	v_fma_f64 v[24:25], v[2:3], v[18:19], -v[24:25]
	v_mul_f64 v[2:3], v[2:3], v[20:21]
	v_add_f64 v[6:7], v[6:7], v[24:25]
	v_fma_f64 v[2:3], v[4:5], v[18:19], v[2:3]
	;; [unrolled: 9-line block ×27, first 2 shown]
	v_add_f64 v[22:23], v[22:23], v[2:3]
	ds_read_b128 v[2:5], v16 offset:15872
	ds_read_b128 v[18:21], v14 offset:496
	s_waitcnt lgkmcnt(0)
	v_mul_f64 v[24:25], v[4:5], v[20:21]
	v_fma_f64 v[24:25], v[2:3], v[18:19], -v[24:25]
	v_mul_f64 v[2:3], v[2:3], v[20:21]
	v_fma_f64 v[2:3], v[4:5], v[18:19], v[2:3]
	flat_load_dwordx4 v[18:21], v[8:9]
	v_add_f64 v[4:5], v[6:7], v[24:25]
	v_add_f64 v[6:7], v[22:23], v[2:3]
	v_mul_f64 v[2:3], s[16:17], v[6:7]
	v_fma_f64 v[2:3], s[14:15], v[4:5], -v[2:3]
	v_mul_f64 v[4:5], s[16:17], v[4:5]
	v_fma_f64 v[4:5], s[14:15], v[6:7], v[4:5]
	s_waitcnt vmcnt(0) lgkmcnt(0)
	v_add_f64 v[2:3], v[18:19], v[2:3]
	v_add_f64 v[4:5], v[20:21], v[4:5]
	flat_store_dwordx4 v[8:9], v[2:5]
	s_branch .LBB1617_3
.LBB1617_10:
	s_endpgm
	.section	.rodata,"a",@progbits
	.p2align	6, 0x0
	.amdhsa_kernel _ZL26rocblas_syr2k_her2k_kernelIlLb0ELb0ELb0ELi32E19rocblas_complex_numIdEPKPKS1_PKPS1_EvbiT_T4_T5_S9_lSB_S9_lT6_S9_li
		.amdhsa_group_segment_fixed_size 32768
		.amdhsa_private_segment_fixed_size 0
		.amdhsa_kernarg_size 108
		.amdhsa_user_sgpr_count 6
		.amdhsa_user_sgpr_private_segment_buffer 1
		.amdhsa_user_sgpr_dispatch_ptr 0
		.amdhsa_user_sgpr_queue_ptr 0
		.amdhsa_user_sgpr_kernarg_segment_ptr 1
		.amdhsa_user_sgpr_dispatch_id 0
		.amdhsa_user_sgpr_flat_scratch_init 0
		.amdhsa_user_sgpr_private_segment_size 0
		.amdhsa_uses_dynamic_stack 0
		.amdhsa_system_sgpr_private_segment_wavefront_offset 0
		.amdhsa_system_sgpr_workgroup_id_x 1
		.amdhsa_system_sgpr_workgroup_id_y 1
		.amdhsa_system_sgpr_workgroup_id_z 1
		.amdhsa_system_sgpr_workgroup_info 0
		.amdhsa_system_vgpr_workitem_id 1
		.amdhsa_next_free_vgpr 34
		.amdhsa_next_free_sgpr 61
		.amdhsa_reserve_vcc 1
		.amdhsa_reserve_flat_scratch 0
		.amdhsa_float_round_mode_32 0
		.amdhsa_float_round_mode_16_64 0
		.amdhsa_float_denorm_mode_32 3
		.amdhsa_float_denorm_mode_16_64 3
		.amdhsa_dx10_clamp 1
		.amdhsa_ieee_mode 1
		.amdhsa_fp16_overflow 0
		.amdhsa_exception_fp_ieee_invalid_op 0
		.amdhsa_exception_fp_denorm_src 0
		.amdhsa_exception_fp_ieee_div_zero 0
		.amdhsa_exception_fp_ieee_overflow 0
		.amdhsa_exception_fp_ieee_underflow 0
		.amdhsa_exception_fp_ieee_inexact 0
		.amdhsa_exception_int_div_zero 0
	.end_amdhsa_kernel
	.section	.text._ZL26rocblas_syr2k_her2k_kernelIlLb0ELb0ELb0ELi32E19rocblas_complex_numIdEPKPKS1_PKPS1_EvbiT_T4_T5_S9_lSB_S9_lT6_S9_li,"axG",@progbits,_ZL26rocblas_syr2k_her2k_kernelIlLb0ELb0ELb0ELi32E19rocblas_complex_numIdEPKPKS1_PKPS1_EvbiT_T4_T5_S9_lSB_S9_lT6_S9_li,comdat
.Lfunc_end1617:
	.size	_ZL26rocblas_syr2k_her2k_kernelIlLb0ELb0ELb0ELi32E19rocblas_complex_numIdEPKPKS1_PKPS1_EvbiT_T4_T5_S9_lSB_S9_lT6_S9_li, .Lfunc_end1617-_ZL26rocblas_syr2k_her2k_kernelIlLb0ELb0ELb0ELi32E19rocblas_complex_numIdEPKPKS1_PKPS1_EvbiT_T4_T5_S9_lSB_S9_lT6_S9_li
                                        ; -- End function
	.set _ZL26rocblas_syr2k_her2k_kernelIlLb0ELb0ELb0ELi32E19rocblas_complex_numIdEPKPKS1_PKPS1_EvbiT_T4_T5_S9_lSB_S9_lT6_S9_li.num_vgpr, 34
	.set _ZL26rocblas_syr2k_her2k_kernelIlLb0ELb0ELb0ELi32E19rocblas_complex_numIdEPKPKS1_PKPS1_EvbiT_T4_T5_S9_lSB_S9_lT6_S9_li.num_agpr, 0
	.set _ZL26rocblas_syr2k_her2k_kernelIlLb0ELb0ELb0ELi32E19rocblas_complex_numIdEPKPKS1_PKPS1_EvbiT_T4_T5_S9_lSB_S9_lT6_S9_li.numbered_sgpr, 44
	.set _ZL26rocblas_syr2k_her2k_kernelIlLb0ELb0ELb0ELi32E19rocblas_complex_numIdEPKPKS1_PKPS1_EvbiT_T4_T5_S9_lSB_S9_lT6_S9_li.num_named_barrier, 0
	.set _ZL26rocblas_syr2k_her2k_kernelIlLb0ELb0ELb0ELi32E19rocblas_complex_numIdEPKPKS1_PKPS1_EvbiT_T4_T5_S9_lSB_S9_lT6_S9_li.private_seg_size, 0
	.set _ZL26rocblas_syr2k_her2k_kernelIlLb0ELb0ELb0ELi32E19rocblas_complex_numIdEPKPKS1_PKPS1_EvbiT_T4_T5_S9_lSB_S9_lT6_S9_li.uses_vcc, 1
	.set _ZL26rocblas_syr2k_her2k_kernelIlLb0ELb0ELb0ELi32E19rocblas_complex_numIdEPKPKS1_PKPS1_EvbiT_T4_T5_S9_lSB_S9_lT6_S9_li.uses_flat_scratch, 0
	.set _ZL26rocblas_syr2k_her2k_kernelIlLb0ELb0ELb0ELi32E19rocblas_complex_numIdEPKPKS1_PKPS1_EvbiT_T4_T5_S9_lSB_S9_lT6_S9_li.has_dyn_sized_stack, 0
	.set _ZL26rocblas_syr2k_her2k_kernelIlLb0ELb0ELb0ELi32E19rocblas_complex_numIdEPKPKS1_PKPS1_EvbiT_T4_T5_S9_lSB_S9_lT6_S9_li.has_recursion, 0
	.set _ZL26rocblas_syr2k_her2k_kernelIlLb0ELb0ELb0ELi32E19rocblas_complex_numIdEPKPKS1_PKPS1_EvbiT_T4_T5_S9_lSB_S9_lT6_S9_li.has_indirect_call, 0
	.section	.AMDGPU.csdata,"",@progbits
; Kernel info:
; codeLenInByte = 3012
; TotalNumSgprs: 48
; NumVgprs: 34
; ScratchSize: 0
; MemoryBound: 1
; FloatMode: 240
; IeeeMode: 1
; LDSByteSize: 32768 bytes/workgroup (compile time only)
; SGPRBlocks: 8
; VGPRBlocks: 8
; NumSGPRsForWavesPerEU: 65
; NumVGPRsForWavesPerEU: 34
; Occupancy: 7
; WaveLimiterHint : 1
; COMPUTE_PGM_RSRC2:SCRATCH_EN: 0
; COMPUTE_PGM_RSRC2:USER_SGPR: 6
; COMPUTE_PGM_RSRC2:TRAP_HANDLER: 0
; COMPUTE_PGM_RSRC2:TGID_X_EN: 1
; COMPUTE_PGM_RSRC2:TGID_Y_EN: 1
; COMPUTE_PGM_RSRC2:TGID_Z_EN: 1
; COMPUTE_PGM_RSRC2:TIDIG_COMP_CNT: 1
	.section	.text._ZL26rocblas_syr2k_her2k_kernelIlLb0ELb0ELb1ELi32E19rocblas_complex_numIdEPKPKS1_PKPS1_EvbiT_T4_T5_S9_lSB_S9_lT6_S9_li,"axG",@progbits,_ZL26rocblas_syr2k_her2k_kernelIlLb0ELb0ELb1ELi32E19rocblas_complex_numIdEPKPKS1_PKPS1_EvbiT_T4_T5_S9_lSB_S9_lT6_S9_li,comdat
	.globl	_ZL26rocblas_syr2k_her2k_kernelIlLb0ELb0ELb1ELi32E19rocblas_complex_numIdEPKPKS1_PKPS1_EvbiT_T4_T5_S9_lSB_S9_lT6_S9_li ; -- Begin function _ZL26rocblas_syr2k_her2k_kernelIlLb0ELb0ELb1ELi32E19rocblas_complex_numIdEPKPKS1_PKPS1_EvbiT_T4_T5_S9_lSB_S9_lT6_S9_li
	.p2align	8
	.type	_ZL26rocblas_syr2k_her2k_kernelIlLb0ELb0ELb1ELi32E19rocblas_complex_numIdEPKPKS1_PKPS1_EvbiT_T4_T5_S9_lSB_S9_lT6_S9_li,@function
_ZL26rocblas_syr2k_her2k_kernelIlLb0ELb0ELb1ELi32E19rocblas_complex_numIdEPKPKS1_PKPS1_EvbiT_T4_T5_S9_lSB_S9_lT6_S9_li: ; @_ZL26rocblas_syr2k_her2k_kernelIlLb0ELb0ELb1ELi32E19rocblas_complex_numIdEPKPKS1_PKPS1_EvbiT_T4_T5_S9_lSB_S9_lT6_S9_li
; %bb.0:
	s_load_dwordx16 s[12:27], s[4:5], 0x8
	s_waitcnt lgkmcnt(0)
	v_cmp_eq_f64_e64 s[0:1], s[14:15], 0
	v_cmp_eq_f64_e64 s[2:3], s[16:17], 0
	s_and_b64 s[0:1], s[0:1], s[2:3]
	s_and_b64 vcc, exec, s[0:1]
	s_cbranch_vccnz .LBB1618_10
; %bb.1:
	s_load_dwordx2 s[10:11], s[4:5], 0x0
	s_lshl_b32 s2, s7, 5
	s_lshl_b32 s3, s6, 5
	s_waitcnt lgkmcnt(0)
	s_and_b32 s0, 1, s10
	s_cmp_eq_u32 s0, 1
	s_cselect_b64 s[0:1], -1, 0
	s_and_b64 s[6:7], s[0:1], exec
	s_cselect_b32 s6, s3, s2
	s_cselect_b32 s7, s2, s3
	s_cmp_gt_i32 s6, s7
	v_cmp_lt_i64_e64 s[6:7], s[12:13], 1
	s_cselect_b64 s[28:29], -1, 0
	s_or_b64 s[6:7], s[28:29], s[6:7]
	s_and_b64 vcc, exec, s[6:7]
	s_cbranch_vccnz .LBB1618_10
; %bb.2:
	s_mov_b32 s9, 0
	s_load_dwordx8 s[36:43], s[4:5], 0x48
	s_lshl_b64 s[4:5], s[8:9], 3
	s_add_u32 s6, s18, s4
	s_addc_u32 s7, s19, s5
	s_add_u32 s18, s24, s4
	s_addc_u32 s19, s25, s5
	s_waitcnt lgkmcnt(0)
	s_add_u32 s4, s38, s4
	s_addc_u32 s5, s39, s5
	s_load_dwordx2 s[24:25], s[4:5], 0x0
	s_load_dwordx2 s[8:9], s[6:7], 0x0
	;; [unrolled: 1-line block ×3, first 2 shown]
	s_lshl_b64 s[4:5], s[42:43], 4
	v_add_u32_e32 v2, s2, v1
	s_waitcnt lgkmcnt(0)
	s_add_u32 s10, s24, s4
	s_addc_u32 s18, s25, s5
	v_add_u32_e32 v4, s3, v0
	s_ashr_i32 s3, s11, 31
	s_mov_b32 s2, s11
	v_mov_b32_e32 v5, 0
	v_cndmask_b32_e64 v8, v4, v2, s[0:1]
	v_cndmask_b32_e64 v9, v2, v4, s[0:1]
	v_cmp_gt_i64_e64 s[0:1], s[2:3], v[4:5]
	v_mov_b32_e32 v3, v5
	v_ashrrev_i32_e32 v5, 31, v2
	v_mul_lo_u32 v5, s40, v5
	v_mul_lo_u32 v10, s41, v2
	v_mad_u64_u32 v[6:7], s[4:5], s40, v2, 0
	v_cmp_gt_i64_e64 s[2:3], s[2:3], v[2:3]
	v_max_i32_e32 v3, v4, v2
	v_cmp_gt_i32_e32 vcc, s11, v3
	v_cmp_le_i32_e64 s[4:5], v9, v8
	s_and_b64 s[6:7], s[4:5], vcc
	v_add3_u32 v7, v7, v5, v10
	v_mad_u64_u32 v[10:11], s[4:5], s26, v2, 0
	v_lshlrev_b64 v[6:7], 4, v[6:7]
	v_mov_b32_e32 v3, s18
	v_add_co_u32_e32 v8, vcc, s10, v6
	v_addc_co_u32_e32 v7, vcc, v3, v7, vcc
	v_mov_b32_e32 v3, v11
	v_mad_u64_u32 v[2:3], s[4:5], s27, v2, v[3:4]
	v_ashrrev_i32_e32 v5, 31, v4
	v_lshlrev_b64 v[5:6], 4, v[4:5]
	v_mov_b32_e32 v11, v2
	v_add_co_u32_e32 v8, vcc, v8, v5
	v_lshlrev_b64 v[2:3], 4, v[10:11]
	v_addc_co_u32_e32 v9, vcc, v7, v6, vcc
	s_lshl_b64 s[4:5], s[36:37], 4
	v_mov_b32_e32 v5, s5
	v_add_co_u32_e32 v6, vcc, s4, v2
	v_addc_co_u32_e32 v5, vcc, v3, v5, vcc
	v_mad_u64_u32 v[2:3], s[4:5], s20, v4, 0
	v_lshlrev_b32_e32 v7, 4, v0
	v_add_co_u32_e32 v6, vcc, v6, v7
	v_mad_u64_u32 v[3:4], s[4:5], s21, v4, v[3:4]
	v_addc_co_u32_e32 v5, vcc, 0, v5, vcc
	v_mov_b32_e32 v7, s29
	v_add_co_u32_e32 v10, vcc, s28, v6
	v_lshlrev_b64 v[2:3], 4, v[2:3]
	v_addc_co_u32_e32 v11, vcc, v7, v5, vcc
	s_lshl_b64 s[4:5], s[22:23], 4
	v_mov_b32_e32 v4, s5
	v_add_co_u32_e32 v2, vcc, s4, v2
	v_lshlrev_b32_e32 v12, 4, v1
	v_addc_co_u32_e32 v3, vcc, v3, v4, vcc
	v_add_co_u32_e32 v2, vcc, v2, v12
	v_lshlrev_b32_e32 v14, 9, v0
	v_addc_co_u32_e32 v3, vcc, 0, v3, vcc
	v_add_u32_e32 v15, v14, v12
	v_or_b32_e32 v16, 0x4000, v12
	v_mov_b32_e32 v4, s9
	v_add_co_u32_e32 v12, vcc, s8, v2
	v_add_u32_e32 v17, v16, v14
	v_addc_co_u32_e32 v13, vcc, v4, v3, vcc
	s_mov_b64 s[8:9], 0
	s_branch .LBB1618_4
.LBB1618_3:                             ;   in Loop: Header=BB1618_4 Depth=1
	s_or_b64 exec, exec, s[4:5]
	s_add_u32 s8, s8, 32
	v_add_co_u32_e32 v10, vcc, 0x200, v10
	v_mov_b32_e32 v2, s12
	s_addc_u32 s9, s9, 0
	v_addc_co_u32_e32 v11, vcc, 0, v11, vcc
	v_mov_b32_e32 v3, s13
	v_add_co_u32_e32 v12, vcc, 0x200, v12
	v_cmp_lt_i64_e64 s[4:5], s[8:9], v[2:3]
	v_addc_co_u32_e32 v13, vcc, 0, v13, vcc
	s_and_b64 vcc, exec, s[4:5]
	s_waitcnt vmcnt(0) lgkmcnt(0)
	s_barrier
	s_cbranch_vccz .LBB1618_10
.LBB1618_4:                             ; =>This Inner Loop Header: Depth=1
	v_mov_b32_e32 v3, s9
	v_add_co_u32_e32 v2, vcc, s8, v1
	v_addc_co_u32_e32 v3, vcc, 0, v3, vcc
	v_cmp_gt_i64_e32 vcc, s[12:13], v[2:3]
	v_mov_b32_e32 v2, 0
	v_mov_b32_e32 v4, 0
	v_mov_b32_e32 v6, 0
	v_mov_b32_e32 v3, 0
	v_mov_b32_e32 v5, 0
	v_mov_b32_e32 v7, 0
	s_and_b64 s[10:11], s[0:1], vcc
	s_and_saveexec_b64 s[4:5], s[10:11]
	s_cbranch_execz .LBB1618_6
; %bb.5:                                ;   in Loop: Header=BB1618_4 Depth=1
	flat_load_dwordx4 v[4:7], v[12:13]
.LBB1618_6:                             ;   in Loop: Header=BB1618_4 Depth=1
	s_or_b64 exec, exec, s[4:5]
	s_waitcnt vmcnt(0) lgkmcnt(0)
	ds_write_b128 v15, v[4:7]
	v_mov_b32_e32 v5, s9
	v_add_co_u32_e32 v4, vcc, s8, v0
	v_addc_co_u32_e32 v5, vcc, 0, v5, vcc
	v_cmp_gt_i64_e32 vcc, s[12:13], v[4:5]
	v_mov_b32_e32 v4, 0
	v_mov_b32_e32 v5, 0
	s_and_b64 s[10:11], s[2:3], vcc
	s_and_saveexec_b64 s[4:5], s[10:11]
	s_cbranch_execz .LBB1618_8
; %bb.7:                                ;   in Loop: Header=BB1618_4 Depth=1
	flat_load_dwordx4 v[2:5], v[10:11]
.LBB1618_8:                             ;   in Loop: Header=BB1618_4 Depth=1
	s_or_b64 exec, exec, s[4:5]
	s_waitcnt vmcnt(0) lgkmcnt(0)
	ds_write_b128 v17, v[2:5]
	s_waitcnt lgkmcnt(0)
	s_barrier
	s_and_saveexec_b64 s[4:5], s[6:7]
	s_cbranch_execz .LBB1618_3
; %bb.9:                                ;   in Loop: Header=BB1618_4 Depth=1
	ds_read_b128 v[18:21], v16
	ds_read_b128 v[22:25], v14
	ds_read_b128 v[26:29], v14 offset:16
	ds_read_b128 v[30:33], v14 offset:32
	;; [unrolled: 1-line block ×3, first 2 shown]
	s_waitcnt lgkmcnt(3)
	v_mul_f64 v[6:7], v[20:21], v[24:25]
	v_fma_f64 v[6:7], v[18:19], v[22:23], -v[6:7]
	v_mul_f64 v[18:19], v[18:19], v[24:25]
	v_add_f64 v[6:7], v[6:7], 0
	v_fma_f64 v[18:19], v[20:21], v[22:23], v[18:19]
	v_add_f64 v[22:23], v[18:19], 0
	ds_read_b128 v[18:21], v16 offset:512
	s_waitcnt lgkmcnt(0)
	v_mul_f64 v[24:25], v[20:21], v[28:29]
	v_fma_f64 v[24:25], v[18:19], v[26:27], -v[24:25]
	v_mul_f64 v[18:19], v[18:19], v[28:29]
	v_add_f64 v[6:7], v[6:7], v[24:25]
	v_fma_f64 v[18:19], v[20:21], v[26:27], v[18:19]
	v_add_f64 v[22:23], v[22:23], v[18:19]
	ds_read_b128 v[18:21], v16 offset:1024
	s_waitcnt lgkmcnt(0)
	v_mul_f64 v[24:25], v[20:21], v[32:33]
	v_fma_f64 v[24:25], v[18:19], v[30:31], -v[24:25]
	v_mul_f64 v[18:19], v[18:19], v[32:33]
	v_add_f64 v[6:7], v[6:7], v[24:25]
	v_fma_f64 v[18:19], v[20:21], v[30:31], v[18:19]
	v_add_f64 v[22:23], v[22:23], v[18:19]
	ds_read_b128 v[18:21], v16 offset:1536
	s_waitcnt lgkmcnt(0)
	v_mul_f64 v[24:25], v[20:21], v[4:5]
	v_mul_f64 v[4:5], v[18:19], v[4:5]
	v_fma_f64 v[24:25], v[18:19], v[2:3], -v[24:25]
	v_fma_f64 v[2:3], v[20:21], v[2:3], v[4:5]
	v_add_f64 v[6:7], v[6:7], v[24:25]
	v_add_f64 v[22:23], v[22:23], v[2:3]
	ds_read_b128 v[2:5], v16 offset:2048
	ds_read_b128 v[18:21], v14 offset:64
	s_waitcnt lgkmcnt(0)
	v_mul_f64 v[24:25], v[4:5], v[20:21]
	v_fma_f64 v[24:25], v[2:3], v[18:19], -v[24:25]
	v_mul_f64 v[2:3], v[2:3], v[20:21]
	v_add_f64 v[6:7], v[6:7], v[24:25]
	v_fma_f64 v[2:3], v[4:5], v[18:19], v[2:3]
	v_add_f64 v[22:23], v[22:23], v[2:3]
	ds_read_b128 v[2:5], v16 offset:2560
	ds_read_b128 v[18:21], v14 offset:80
	s_waitcnt lgkmcnt(0)
	v_mul_f64 v[24:25], v[4:5], v[20:21]
	v_fma_f64 v[24:25], v[2:3], v[18:19], -v[24:25]
	v_mul_f64 v[2:3], v[2:3], v[20:21]
	v_add_f64 v[6:7], v[6:7], v[24:25]
	v_fma_f64 v[2:3], v[4:5], v[18:19], v[2:3]
	;; [unrolled: 9-line block ×27, first 2 shown]
	v_add_f64 v[22:23], v[22:23], v[2:3]
	ds_read_b128 v[2:5], v16 offset:15872
	ds_read_b128 v[18:21], v14 offset:496
	s_waitcnt lgkmcnt(0)
	v_mul_f64 v[24:25], v[4:5], v[20:21]
	v_fma_f64 v[24:25], v[2:3], v[18:19], -v[24:25]
	v_mul_f64 v[2:3], v[2:3], v[20:21]
	v_fma_f64 v[2:3], v[4:5], v[18:19], v[2:3]
	flat_load_dwordx4 v[18:21], v[8:9]
	v_add_f64 v[4:5], v[6:7], v[24:25]
	v_add_f64 v[6:7], v[22:23], v[2:3]
	v_mul_f64 v[2:3], s[16:17], v[6:7]
	v_fma_f64 v[2:3], s[14:15], v[4:5], -v[2:3]
	v_mul_f64 v[4:5], s[16:17], v[4:5]
	v_fma_f64 v[4:5], s[14:15], v[6:7], v[4:5]
	s_waitcnt vmcnt(0) lgkmcnt(0)
	v_add_f64 v[2:3], v[18:19], v[2:3]
	v_add_f64 v[4:5], v[20:21], v[4:5]
	flat_store_dwordx4 v[8:9], v[2:5]
	s_branch .LBB1618_3
.LBB1618_10:
	s_endpgm
	.section	.rodata,"a",@progbits
	.p2align	6, 0x0
	.amdhsa_kernel _ZL26rocblas_syr2k_her2k_kernelIlLb0ELb0ELb1ELi32E19rocblas_complex_numIdEPKPKS1_PKPS1_EvbiT_T4_T5_S9_lSB_S9_lT6_S9_li
		.amdhsa_group_segment_fixed_size 32768
		.amdhsa_private_segment_fixed_size 0
		.amdhsa_kernarg_size 108
		.amdhsa_user_sgpr_count 6
		.amdhsa_user_sgpr_private_segment_buffer 1
		.amdhsa_user_sgpr_dispatch_ptr 0
		.amdhsa_user_sgpr_queue_ptr 0
		.amdhsa_user_sgpr_kernarg_segment_ptr 1
		.amdhsa_user_sgpr_dispatch_id 0
		.amdhsa_user_sgpr_flat_scratch_init 0
		.amdhsa_user_sgpr_private_segment_size 0
		.amdhsa_uses_dynamic_stack 0
		.amdhsa_system_sgpr_private_segment_wavefront_offset 0
		.amdhsa_system_sgpr_workgroup_id_x 1
		.amdhsa_system_sgpr_workgroup_id_y 1
		.amdhsa_system_sgpr_workgroup_id_z 1
		.amdhsa_system_sgpr_workgroup_info 0
		.amdhsa_system_vgpr_workitem_id 1
		.amdhsa_next_free_vgpr 34
		.amdhsa_next_free_sgpr 61
		.amdhsa_reserve_vcc 1
		.amdhsa_reserve_flat_scratch 0
		.amdhsa_float_round_mode_32 0
		.amdhsa_float_round_mode_16_64 0
		.amdhsa_float_denorm_mode_32 3
		.amdhsa_float_denorm_mode_16_64 3
		.amdhsa_dx10_clamp 1
		.amdhsa_ieee_mode 1
		.amdhsa_fp16_overflow 0
		.amdhsa_exception_fp_ieee_invalid_op 0
		.amdhsa_exception_fp_denorm_src 0
		.amdhsa_exception_fp_ieee_div_zero 0
		.amdhsa_exception_fp_ieee_overflow 0
		.amdhsa_exception_fp_ieee_underflow 0
		.amdhsa_exception_fp_ieee_inexact 0
		.amdhsa_exception_int_div_zero 0
	.end_amdhsa_kernel
	.section	.text._ZL26rocblas_syr2k_her2k_kernelIlLb0ELb0ELb1ELi32E19rocblas_complex_numIdEPKPKS1_PKPS1_EvbiT_T4_T5_S9_lSB_S9_lT6_S9_li,"axG",@progbits,_ZL26rocblas_syr2k_her2k_kernelIlLb0ELb0ELb1ELi32E19rocblas_complex_numIdEPKPKS1_PKPS1_EvbiT_T4_T5_S9_lSB_S9_lT6_S9_li,comdat
.Lfunc_end1618:
	.size	_ZL26rocblas_syr2k_her2k_kernelIlLb0ELb0ELb1ELi32E19rocblas_complex_numIdEPKPKS1_PKPS1_EvbiT_T4_T5_S9_lSB_S9_lT6_S9_li, .Lfunc_end1618-_ZL26rocblas_syr2k_her2k_kernelIlLb0ELb0ELb1ELi32E19rocblas_complex_numIdEPKPKS1_PKPS1_EvbiT_T4_T5_S9_lSB_S9_lT6_S9_li
                                        ; -- End function
	.set _ZL26rocblas_syr2k_her2k_kernelIlLb0ELb0ELb1ELi32E19rocblas_complex_numIdEPKPKS1_PKPS1_EvbiT_T4_T5_S9_lSB_S9_lT6_S9_li.num_vgpr, 34
	.set _ZL26rocblas_syr2k_her2k_kernelIlLb0ELb0ELb1ELi32E19rocblas_complex_numIdEPKPKS1_PKPS1_EvbiT_T4_T5_S9_lSB_S9_lT6_S9_li.num_agpr, 0
	.set _ZL26rocblas_syr2k_her2k_kernelIlLb0ELb0ELb1ELi32E19rocblas_complex_numIdEPKPKS1_PKPS1_EvbiT_T4_T5_S9_lSB_S9_lT6_S9_li.numbered_sgpr, 44
	.set _ZL26rocblas_syr2k_her2k_kernelIlLb0ELb0ELb1ELi32E19rocblas_complex_numIdEPKPKS1_PKPS1_EvbiT_T4_T5_S9_lSB_S9_lT6_S9_li.num_named_barrier, 0
	.set _ZL26rocblas_syr2k_her2k_kernelIlLb0ELb0ELb1ELi32E19rocblas_complex_numIdEPKPKS1_PKPS1_EvbiT_T4_T5_S9_lSB_S9_lT6_S9_li.private_seg_size, 0
	.set _ZL26rocblas_syr2k_her2k_kernelIlLb0ELb0ELb1ELi32E19rocblas_complex_numIdEPKPKS1_PKPS1_EvbiT_T4_T5_S9_lSB_S9_lT6_S9_li.uses_vcc, 1
	.set _ZL26rocblas_syr2k_her2k_kernelIlLb0ELb0ELb1ELi32E19rocblas_complex_numIdEPKPKS1_PKPS1_EvbiT_T4_T5_S9_lSB_S9_lT6_S9_li.uses_flat_scratch, 0
	.set _ZL26rocblas_syr2k_her2k_kernelIlLb0ELb0ELb1ELi32E19rocblas_complex_numIdEPKPKS1_PKPS1_EvbiT_T4_T5_S9_lSB_S9_lT6_S9_li.has_dyn_sized_stack, 0
	.set _ZL26rocblas_syr2k_her2k_kernelIlLb0ELb0ELb1ELi32E19rocblas_complex_numIdEPKPKS1_PKPS1_EvbiT_T4_T5_S9_lSB_S9_lT6_S9_li.has_recursion, 0
	.set _ZL26rocblas_syr2k_her2k_kernelIlLb0ELb0ELb1ELi32E19rocblas_complex_numIdEPKPKS1_PKPS1_EvbiT_T4_T5_S9_lSB_S9_lT6_S9_li.has_indirect_call, 0
	.section	.AMDGPU.csdata,"",@progbits
; Kernel info:
; codeLenInByte = 2984
; TotalNumSgprs: 48
; NumVgprs: 34
; ScratchSize: 0
; MemoryBound: 1
; FloatMode: 240
; IeeeMode: 1
; LDSByteSize: 32768 bytes/workgroup (compile time only)
; SGPRBlocks: 8
; VGPRBlocks: 8
; NumSGPRsForWavesPerEU: 65
; NumVGPRsForWavesPerEU: 34
; Occupancy: 7
; WaveLimiterHint : 1
; COMPUTE_PGM_RSRC2:SCRATCH_EN: 0
; COMPUTE_PGM_RSRC2:USER_SGPR: 6
; COMPUTE_PGM_RSRC2:TRAP_HANDLER: 0
; COMPUTE_PGM_RSRC2:TGID_X_EN: 1
; COMPUTE_PGM_RSRC2:TGID_Y_EN: 1
; COMPUTE_PGM_RSRC2:TGID_Z_EN: 1
; COMPUTE_PGM_RSRC2:TIDIG_COMP_CNT: 1
	.section	.text._ZL37rocblas_syrkx_herkx_restricted_kernelIl19rocblas_complex_numIdELi16ELi32ELi8ELi1ELi1ELb0ELc84ELc76EKPKS1_KPS1_EviT_PT9_S7_lS9_S7_lPT10_S7_li,"axG",@progbits,_ZL37rocblas_syrkx_herkx_restricted_kernelIl19rocblas_complex_numIdELi16ELi32ELi8ELi1ELi1ELb0ELc84ELc76EKPKS1_KPS1_EviT_PT9_S7_lS9_S7_lPT10_S7_li,comdat
	.globl	_ZL37rocblas_syrkx_herkx_restricted_kernelIl19rocblas_complex_numIdELi16ELi32ELi8ELi1ELi1ELb0ELc84ELc76EKPKS1_KPS1_EviT_PT9_S7_lS9_S7_lPT10_S7_li ; -- Begin function _ZL37rocblas_syrkx_herkx_restricted_kernelIl19rocblas_complex_numIdELi16ELi32ELi8ELi1ELi1ELb0ELc84ELc76EKPKS1_KPS1_EviT_PT9_S7_lS9_S7_lPT10_S7_li
	.p2align	8
	.type	_ZL37rocblas_syrkx_herkx_restricted_kernelIl19rocblas_complex_numIdELi16ELi32ELi8ELi1ELi1ELb0ELc84ELc76EKPKS1_KPS1_EviT_PT9_S7_lS9_S7_lPT10_S7_li,@function
_ZL37rocblas_syrkx_herkx_restricted_kernelIl19rocblas_complex_numIdELi16ELi32ELi8ELi1ELi1ELb0ELc84ELc76EKPKS1_KPS1_EviT_PT9_S7_lS9_S7_lPT10_S7_li: ; @_ZL37rocblas_syrkx_herkx_restricted_kernelIl19rocblas_complex_numIdELi16ELi32ELi8ELi1ELi1ELb0ELc84ELc76EKPKS1_KPS1_EviT_PT9_S7_lS9_S7_lPT10_S7_li
; %bb.0:
	s_load_dwordx4 s[12:15], s[4:5], 0x40
	s_load_dwordx4 s[0:3], s[4:5], 0x8
	s_mov_b32 s9, 0
	s_lshl_b64 s[10:11], s[8:9], 3
	s_waitcnt lgkmcnt(0)
	s_add_u32 s8, s12, s10
	s_addc_u32 s9, s13, s11
	s_load_dwordx2 s[8:9], s[8:9], 0x0
	v_cmp_lt_i64_e64 s[12:13], s[0:1], 1
	s_lshl_b32 s6, s6, 5
	s_lshl_b32 s7, s7, 5
	s_and_b64 vcc, exec, s[12:13]
	s_cbranch_vccnz .LBB1619_3
; %bb.1:
	s_load_dwordx2 s[12:13], s[4:5], 0x18
	s_load_dwordx4 s[16:19], s[4:5], 0x28
	v_lshl_add_u32 v6, v1, 4, v0
	v_lshrrev_b32_e32 v8, 3, v6
	v_add_u32_e32 v4, s7, v8
	v_ashrrev_i32_e32 v5, 31, v4
	v_and_b32_e32 v2, 7, v0
	v_mov_b32_e32 v3, 0
	s_waitcnt lgkmcnt(0)
	v_mul_lo_u32 v7, s18, v5
	v_mul_lo_u32 v9, s19, v4
	v_mad_u64_u32 v[4:5], s[18:19], s18, v4, v[2:3]
	s_add_u32 s2, s2, s10
	v_lshlrev_b32_e32 v2, 4, v2
	v_add3_u32 v5, v9, v5, v7
	v_and_b32_e32 v9, 31, v6
	s_addc_u32 s3, s3, s11
	v_lshl_or_b32 v2, v8, 7, v2
	v_add_u32_e32 v8, s6, v9
	s_add_u32 s10, s16, s10
	v_lshrrev_b32_e32 v6, 5, v6
	v_mov_b32_e32 v7, v3
	v_lshlrev_b32_e32 v3, 4, v9
	v_add_u32_e32 v23, 0x1000, v2
	v_ashrrev_i32_e32 v2, 31, v8
	s_addc_u32 s11, s17, s11
	v_lshl_or_b32 v22, v6, 9, v3
	v_mul_lo_u32 v9, s12, v2
	v_mad_u64_u32 v[2:3], s[16:17], s12, v8, v[6:7]
	v_mul_lo_u32 v6, s13, v8
	s_load_dwordx2 s[2:3], s[2:3], 0x0
	v_lshlrev_b64 v[4:5], 4, v[4:5]
	s_load_dwordx2 s[10:11], s[10:11], 0x0
	v_add3_u32 v3, v6, v3, v9
	v_lshlrev_b64 v[2:3], 4, v[2:3]
	s_waitcnt lgkmcnt(0)
	v_mov_b32_e32 v6, s3
	v_add_co_u32_e32 v2, vcc, s2, v2
	v_addc_co_u32_e32 v3, vcc, v6, v3, vcc
	v_mov_b32_e32 v7, 0x1000
	v_mov_b32_e32 v6, s11
	v_add_co_u32_e32 v4, vcc, s10, v4
	v_lshl_add_u32 v25, v1, 7, v7
	v_addc_co_u32_e32 v5, vcc, v6, v5, vcc
	v_mov_b32_e32 v10, 0
	v_mov_b32_e32 v12, 0
	;; [unrolled: 1-line block ×8, first 2 shown]
	v_lshlrev_b32_e32 v24, 4, v0
	v_mov_b32_e32 v11, 0
	v_mov_b32_e32 v13, 0
	v_mov_b32_e32 v19, 0
	v_mov_b32_e32 v21, 0
	v_mov_b32_e32 v7, 0
	v_mov_b32_e32 v9, 0
	v_mov_b32_e32 v17, 0
	v_mov_b32_e32 v15, 0
	s_mov_b64 s[2:3], 0
.LBB1619_2:                             ; =>This Inner Loop Header: Depth=1
	flat_load_dwordx4 v[26:29], v[2:3]
	s_add_u32 s2, s2, 8
	v_add_co_u32_e32 v2, vcc, 0x80, v2
	s_addc_u32 s3, s3, 0
	v_addc_co_u32_e32 v3, vcc, 0, v3, vcc
	s_waitcnt vmcnt(0) lgkmcnt(0)
	ds_write_b128 v22, v[26:29]
	flat_load_dwordx4 v[26:29], v[4:5]
	v_add_co_u32_e32 v4, vcc, 0x80, v4
	v_addc_co_u32_e32 v5, vcc, 0, v5, vcc
	s_waitcnt vmcnt(0) lgkmcnt(0)
	ds_write_b128 v23, v[26:29]
	s_waitcnt lgkmcnt(0)
	s_barrier
	ds_read_b128 v[26:29], v25
	ds_read_b128 v[30:33], v25 offset:16
	ds_read_b128 v[34:37], v25 offset:32
	;; [unrolled: 1-line block ×3, first 2 shown]
	ds_read_b128 v[42:45], v24
	s_waitcnt lgkmcnt(0)
	v_mul_f64 v[46:47], v[28:29], v[44:45]
	v_mul_f64 v[48:49], v[26:27], v[44:45]
	v_fma_f64 v[46:47], v[26:27], v[42:43], -v[46:47]
	v_fma_f64 v[48:49], v[28:29], v[42:43], v[48:49]
	v_add_f64 v[46:47], v[14:15], v[46:47]
	v_add_f64 v[48:49], v[48:49], v[16:17]
	ds_read_b128 v[14:17], v24 offset:256
	s_waitcnt lgkmcnt(0)
	v_mul_f64 v[50:51], v[28:29], v[16:17]
	v_fma_f64 v[50:51], v[26:27], v[14:15], -v[50:51]
	v_mul_f64 v[26:27], v[26:27], v[16:17]
	v_fma_f64 v[26:27], v[28:29], v[14:15], v[26:27]
	v_add_f64 v[28:29], v[8:9], v[50:51]
	v_add_f64 v[26:27], v[26:27], v[6:7]
	ds_read_b128 v[6:9], v25 offset:2048
	s_waitcnt lgkmcnt(0)
	v_mul_f64 v[50:51], v[8:9], v[44:45]
	v_mul_f64 v[44:45], v[6:7], v[44:45]
	v_fma_f64 v[50:51], v[6:7], v[42:43], -v[50:51]
	v_fma_f64 v[42:43], v[8:9], v[42:43], v[44:45]
	v_add_f64 v[20:21], v[20:21], v[50:51]
	v_add_f64 v[18:19], v[42:43], v[18:19]
	v_mul_f64 v[42:43], v[8:9], v[16:17]
	v_fma_f64 v[42:43], v[6:7], v[14:15], -v[42:43]
	v_mul_f64 v[6:7], v[6:7], v[16:17]
	v_add_f64 v[42:43], v[12:13], v[42:43]
	v_fma_f64 v[6:7], v[8:9], v[14:15], v[6:7]
	v_add_f64 v[44:45], v[6:7], v[10:11]
	ds_read_b128 v[6:9], v24 offset:512
	s_waitcnt lgkmcnt(0)
	v_mul_f64 v[10:11], v[32:33], v[8:9]
	v_mul_f64 v[12:13], v[30:31], v[8:9]
	v_fma_f64 v[10:11], v[30:31], v[6:7], -v[10:11]
	v_fma_f64 v[12:13], v[32:33], v[6:7], v[12:13]
	v_add_f64 v[46:47], v[46:47], v[10:11]
	v_add_f64 v[48:49], v[12:13], v[48:49]
	ds_read_b128 v[10:13], v24 offset:768
	s_waitcnt lgkmcnt(0)
	v_mul_f64 v[14:15], v[32:33], v[12:13]
	v_mul_f64 v[16:17], v[30:31], v[12:13]
	v_fma_f64 v[14:15], v[30:31], v[10:11], -v[14:15]
	v_fma_f64 v[16:17], v[32:33], v[10:11], v[16:17]
	v_add_f64 v[28:29], v[28:29], v[14:15]
	v_add_f64 v[26:27], v[16:17], v[26:27]
	ds_read_b128 v[14:17], v25 offset:2064
	s_waitcnt lgkmcnt(0)
	v_mul_f64 v[30:31], v[16:17], v[8:9]
	v_mul_f64 v[8:9], v[14:15], v[8:9]
	v_fma_f64 v[30:31], v[14:15], v[6:7], -v[30:31]
	v_fma_f64 v[6:7], v[16:17], v[6:7], v[8:9]
	v_mul_f64 v[8:9], v[14:15], v[12:13]
	v_add_f64 v[20:21], v[20:21], v[30:31]
	v_add_f64 v[18:19], v[6:7], v[18:19]
	v_mul_f64 v[6:7], v[16:17], v[12:13]
	v_fma_f64 v[8:9], v[16:17], v[10:11], v[8:9]
	v_fma_f64 v[6:7], v[14:15], v[10:11], -v[6:7]
	v_add_f64 v[32:33], v[8:9], v[44:45]
	v_add_f64 v[30:31], v[42:43], v[6:7]
	ds_read_b128 v[6:9], v24 offset:1024
	s_waitcnt lgkmcnt(0)
	v_mul_f64 v[10:11], v[36:37], v[8:9]
	v_mul_f64 v[12:13], v[34:35], v[8:9]
	v_fma_f64 v[10:11], v[34:35], v[6:7], -v[10:11]
	v_fma_f64 v[12:13], v[36:37], v[6:7], v[12:13]
	v_add_f64 v[42:43], v[46:47], v[10:11]
	v_add_f64 v[44:45], v[12:13], v[48:49]
	ds_read_b128 v[10:13], v24 offset:1280
	s_waitcnt lgkmcnt(0)
	v_mul_f64 v[14:15], v[36:37], v[12:13]
	v_mul_f64 v[16:17], v[34:35], v[12:13]
	v_fma_f64 v[14:15], v[34:35], v[10:11], -v[14:15]
	v_fma_f64 v[16:17], v[36:37], v[10:11], v[16:17]
	v_add_f64 v[28:29], v[28:29], v[14:15]
	v_add_f64 v[26:27], v[16:17], v[26:27]
	ds_read_b128 v[14:17], v25 offset:2080
	s_waitcnt lgkmcnt(0)
	v_mul_f64 v[34:35], v[16:17], v[8:9]
	v_mul_f64 v[8:9], v[14:15], v[8:9]
	v_fma_f64 v[34:35], v[14:15], v[6:7], -v[34:35]
	v_fma_f64 v[6:7], v[16:17], v[6:7], v[8:9]
	v_mul_f64 v[8:9], v[14:15], v[12:13]
	v_add_f64 v[20:21], v[20:21], v[34:35]
	v_add_f64 v[18:19], v[6:7], v[18:19]
	v_mul_f64 v[6:7], v[16:17], v[12:13]
	v_fma_f64 v[8:9], v[16:17], v[10:11], v[8:9]
	v_fma_f64 v[6:7], v[14:15], v[10:11], -v[6:7]
	v_add_f64 v[32:33], v[8:9], v[32:33]
	;; [unrolled: 30-line block ×3, first 2 shown]
	v_add_f64 v[30:31], v[30:31], v[6:7]
	ds_read_b128 v[6:9], v25 offset:64
	ds_read_b128 v[10:13], v24 offset:2048
	s_waitcnt lgkmcnt(0)
	v_mul_f64 v[14:15], v[8:9], v[12:13]
	v_mul_f64 v[16:17], v[6:7], v[12:13]
	v_fma_f64 v[14:15], v[6:7], v[10:11], -v[14:15]
	v_fma_f64 v[16:17], v[8:9], v[10:11], v[16:17]
	v_add_f64 v[34:35], v[34:35], v[14:15]
	v_add_f64 v[36:37], v[16:17], v[36:37]
	ds_read_b128 v[14:17], v24 offset:2304
	s_waitcnt lgkmcnt(0)
	v_mul_f64 v[38:39], v[8:9], v[16:17]
	v_fma_f64 v[38:39], v[6:7], v[14:15], -v[38:39]
	v_mul_f64 v[6:7], v[6:7], v[16:17]
	v_add_f64 v[28:29], v[28:29], v[38:39]
	v_fma_f64 v[6:7], v[8:9], v[14:15], v[6:7]
	v_add_f64 v[26:27], v[6:7], v[26:27]
	ds_read_b128 v[6:9], v25 offset:2112
	s_waitcnt lgkmcnt(0)
	v_mul_f64 v[38:39], v[8:9], v[12:13]
	v_mul_f64 v[12:13], v[6:7], v[12:13]
	v_fma_f64 v[38:39], v[6:7], v[10:11], -v[38:39]
	v_fma_f64 v[10:11], v[8:9], v[10:11], v[12:13]
	v_add_f64 v[20:21], v[20:21], v[38:39]
	v_add_f64 v[18:19], v[10:11], v[18:19]
	v_mul_f64 v[10:11], v[8:9], v[16:17]
	v_fma_f64 v[10:11], v[6:7], v[14:15], -v[10:11]
	v_mul_f64 v[6:7], v[6:7], v[16:17]
	v_add_f64 v[30:31], v[30:31], v[10:11]
	v_fma_f64 v[6:7], v[8:9], v[14:15], v[6:7]
	v_add_f64 v[32:33], v[6:7], v[32:33]
	ds_read_b128 v[6:9], v25 offset:80
	ds_read_b128 v[10:13], v24 offset:2560
	s_waitcnt lgkmcnt(0)
	v_mul_f64 v[14:15], v[8:9], v[12:13]
	v_mul_f64 v[16:17], v[6:7], v[12:13]
	v_fma_f64 v[14:15], v[6:7], v[10:11], -v[14:15]
	v_fma_f64 v[16:17], v[8:9], v[10:11], v[16:17]
	v_add_f64 v[34:35], v[34:35], v[14:15]
	v_add_f64 v[36:37], v[16:17], v[36:37]
	ds_read_b128 v[14:17], v24 offset:2816
	s_waitcnt lgkmcnt(0)
	v_mul_f64 v[38:39], v[8:9], v[16:17]
	v_fma_f64 v[38:39], v[6:7], v[14:15], -v[38:39]
	v_mul_f64 v[6:7], v[6:7], v[16:17]
	v_add_f64 v[28:29], v[28:29], v[38:39]
	v_fma_f64 v[6:7], v[8:9], v[14:15], v[6:7]
	v_add_f64 v[26:27], v[6:7], v[26:27]
	ds_read_b128 v[6:9], v25 offset:2128
	s_waitcnt lgkmcnt(0)
	v_mul_f64 v[38:39], v[8:9], v[12:13]
	v_mul_f64 v[12:13], v[6:7], v[12:13]
	v_fma_f64 v[38:39], v[6:7], v[10:11], -v[38:39]
	v_fma_f64 v[10:11], v[8:9], v[10:11], v[12:13]
	v_add_f64 v[20:21], v[20:21], v[38:39]
	v_add_f64 v[18:19], v[10:11], v[18:19]
	v_mul_f64 v[10:11], v[8:9], v[16:17]
	v_fma_f64 v[10:11], v[6:7], v[14:15], -v[10:11]
	v_mul_f64 v[6:7], v[6:7], v[16:17]
	v_add_f64 v[30:31], v[30:31], v[10:11]
	v_fma_f64 v[6:7], v[8:9], v[14:15], v[6:7]
	;; [unrolled: 31-line block ×3, first 2 shown]
	v_add_f64 v[44:45], v[6:7], v[32:33]
	ds_read_b128 v[6:9], v25 offset:112
	ds_read_b128 v[10:13], v24 offset:3584
	;; [unrolled: 1-line block ×3, first 2 shown]
	s_waitcnt lgkmcnt(1)
	v_mul_f64 v[14:15], v[8:9], v[12:13]
	s_waitcnt lgkmcnt(0)
	v_mul_f64 v[30:31], v[8:9], v[28:29]
	v_mul_f64 v[16:17], v[6:7], v[12:13]
	v_fma_f64 v[14:15], v[6:7], v[10:11], -v[14:15]
	v_fma_f64 v[30:31], v[6:7], v[26:27], -v[30:31]
	v_mul_f64 v[6:7], v[6:7], v[28:29]
	v_fma_f64 v[16:17], v[8:9], v[10:11], v[16:17]
	v_add_f64 v[14:15], v[34:35], v[14:15]
	v_fma_f64 v[6:7], v[8:9], v[26:27], v[6:7]
	v_add_f64 v[8:9], v[38:39], v[30:31]
	ds_read_b128 v[30:33], v25 offset:2160
	v_add_f64 v[16:17], v[16:17], v[36:37]
	s_waitcnt lgkmcnt(0)
	s_barrier
	v_mul_f64 v[34:35], v[32:33], v[12:13]
	v_mul_f64 v[12:13], v[30:31], v[12:13]
	v_add_f64 v[6:7], v[6:7], v[40:41]
	v_fma_f64 v[34:35], v[30:31], v[10:11], -v[34:35]
	v_fma_f64 v[10:11], v[32:33], v[10:11], v[12:13]
	v_mul_f64 v[12:13], v[30:31], v[28:29]
	v_add_f64 v[20:21], v[20:21], v[34:35]
	v_add_f64 v[18:19], v[10:11], v[18:19]
	v_mul_f64 v[10:11], v[32:33], v[28:29]
	v_fma_f64 v[10:11], v[30:31], v[26:27], -v[10:11]
	v_fma_f64 v[26:27], v[32:33], v[26:27], v[12:13]
	v_add_f64 v[12:13], v[42:43], v[10:11]
	v_add_f64 v[10:11], v[26:27], v[44:45]
	v_mov_b32_e32 v27, s3
	v_mov_b32_e32 v26, s2
	v_cmp_le_u64_e32 vcc, s[0:1], v[26:27]
	s_cbranch_vccz .LBB1619_2
	s_branch .LBB1619_4
.LBB1619_3:
	v_mov_b32_e32 v14, 0
	v_mov_b32_e32 v16, 0
	;; [unrolled: 1-line block ×16, first 2 shown]
.LBB1619_4:
	v_add_u32_e32 v4, s7, v1
	v_ashrrev_i32_e32 v1, 31, v4
	v_mul_lo_u32 v3, s14, v1
	v_mul_lo_u32 v5, s15, v4
	v_mad_u64_u32 v[1:2], s[0:1], s14, v4, 0
	s_load_dword s4, s[4:5], 0x0
	v_add_u32_e32 v0, s6, v0
	v_add3_u32 v2, v2, v3, v5
	v_lshlrev_b64 v[1:2], 4, v[1:2]
	s_waitcnt lgkmcnt(0)
	v_mov_b32_e32 v3, s9
	v_add_co_u32_e32 v5, vcc, s8, v1
	v_addc_co_u32_e32 v22, vcc, v3, v2, vcc
	v_cmp_le_i32_e64 s[0:1], v4, v0
	v_cmp_gt_i32_e32 vcc, s4, v0
	s_and_b64 s[0:1], s[0:1], vcc
	s_and_saveexec_b64 s[2:3], s[0:1]
	s_cbranch_execz .LBB1619_6
; %bb.5:
	v_ashrrev_i32_e32 v1, 31, v0
	v_lshlrev_b64 v[1:2], 4, v[0:1]
	v_add_co_u32_e64 v1, s[0:1], v5, v1
	v_addc_co_u32_e64 v2, s[0:1], v22, v2, s[0:1]
	flat_load_dwordx4 v[23:26], v[1:2]
	s_waitcnt vmcnt(0) lgkmcnt(0)
	v_add_f64 v[14:15], v[14:15], v[23:24]
	v_add_f64 v[16:17], v[16:17], v[25:26]
	flat_store_dwordx4 v[1:2], v[14:17]
.LBB1619_6:
	s_or_b64 exec, exec, s[2:3]
	v_add_u32_e32 v2, 16, v0
	v_cmp_le_i32_e64 s[2:3], v4, v2
	v_cmp_gt_i32_e64 s[0:1], s4, v2
	s_and_b64 s[2:3], s[2:3], s[0:1]
	s_and_saveexec_b64 s[4:5], s[2:3]
	s_cbranch_execz .LBB1619_8
; %bb.7:
	v_ashrrev_i32_e32 v3, 31, v2
	v_lshlrev_b64 v[14:15], 4, v[2:3]
	v_add_co_u32_e64 v23, s[2:3], v5, v14
	v_addc_co_u32_e64 v24, s[2:3], v22, v15, s[2:3]
	flat_load_dwordx4 v[14:17], v[23:24]
	s_waitcnt vmcnt(0) lgkmcnt(0)
	v_add_f64 v[14:15], v[8:9], v[14:15]
	v_add_f64 v[16:17], v[6:7], v[16:17]
	flat_store_dwordx4 v[23:24], v[14:17]
.LBB1619_8:
	s_or_b64 exec, exec, s[4:5]
	v_add_u32_e32 v3, 16, v4
	v_ashrrev_i32_e32 v1, 31, v3
	v_mul_lo_u32 v6, s15, v3
	v_mad_u64_u32 v[4:5], s[2:3], s14, v3, 0
	v_mul_lo_u32 v1, s14, v1
	v_add3_u32 v5, v5, v1, v6
	v_lshlrev_b64 v[4:5], 4, v[4:5]
	v_mov_b32_e32 v1, s9
	v_add_co_u32_e64 v4, s[2:3], s8, v4
	v_addc_co_u32_e64 v5, s[2:3], v1, v5, s[2:3]
	v_cmp_le_i32_e64 s[2:3], v3, v0
	s_and_b64 s[4:5], s[2:3], vcc
	s_and_saveexec_b64 s[2:3], s[4:5]
	s_cbranch_execz .LBB1619_10
; %bb.9:
	v_ashrrev_i32_e32 v1, 31, v0
	v_lshlrev_b64 v[0:1], 4, v[0:1]
	v_add_co_u32_e32 v0, vcc, v4, v0
	v_addc_co_u32_e32 v1, vcc, v5, v1, vcc
	flat_load_dwordx4 v[6:9], v[0:1]
	s_waitcnt vmcnt(0) lgkmcnt(0)
	v_add_f64 v[6:7], v[20:21], v[6:7]
	v_add_f64 v[8:9], v[18:19], v[8:9]
	flat_store_dwordx4 v[0:1], v[6:9]
.LBB1619_10:
	s_or_b64 exec, exec, s[2:3]
	v_cmp_le_i32_e32 vcc, v3, v2
	s_and_b64 s[0:1], vcc, s[0:1]
	s_and_saveexec_b64 s[2:3], s[0:1]
	s_cbranch_execz .LBB1619_12
; %bb.11:
	v_ashrrev_i32_e32 v3, 31, v2
	v_lshlrev_b64 v[0:1], 4, v[2:3]
	v_add_co_u32_e32 v4, vcc, v4, v0
	v_addc_co_u32_e32 v5, vcc, v5, v1, vcc
	flat_load_dwordx4 v[0:3], v[4:5]
	s_waitcnt vmcnt(0) lgkmcnt(0)
	v_add_f64 v[0:1], v[12:13], v[0:1]
	v_add_f64 v[2:3], v[10:11], v[2:3]
	flat_store_dwordx4 v[4:5], v[0:3]
.LBB1619_12:
	s_endpgm
	.section	.rodata,"a",@progbits
	.p2align	6, 0x0
	.amdhsa_kernel _ZL37rocblas_syrkx_herkx_restricted_kernelIl19rocblas_complex_numIdELi16ELi32ELi8ELi1ELi1ELb0ELc84ELc76EKPKS1_KPS1_EviT_PT9_S7_lS9_S7_lPT10_S7_li
		.amdhsa_group_segment_fixed_size 8192
		.amdhsa_private_segment_fixed_size 0
		.amdhsa_kernarg_size 92
		.amdhsa_user_sgpr_count 6
		.amdhsa_user_sgpr_private_segment_buffer 1
		.amdhsa_user_sgpr_dispatch_ptr 0
		.amdhsa_user_sgpr_queue_ptr 0
		.amdhsa_user_sgpr_kernarg_segment_ptr 1
		.amdhsa_user_sgpr_dispatch_id 0
		.amdhsa_user_sgpr_flat_scratch_init 0
		.amdhsa_user_sgpr_private_segment_size 0
		.amdhsa_uses_dynamic_stack 0
		.amdhsa_system_sgpr_private_segment_wavefront_offset 0
		.amdhsa_system_sgpr_workgroup_id_x 1
		.amdhsa_system_sgpr_workgroup_id_y 1
		.amdhsa_system_sgpr_workgroup_id_z 1
		.amdhsa_system_sgpr_workgroup_info 0
		.amdhsa_system_vgpr_workitem_id 1
		.amdhsa_next_free_vgpr 52
		.amdhsa_next_free_sgpr 61
		.amdhsa_reserve_vcc 1
		.amdhsa_reserve_flat_scratch 0
		.amdhsa_float_round_mode_32 0
		.amdhsa_float_round_mode_16_64 0
		.amdhsa_float_denorm_mode_32 3
		.amdhsa_float_denorm_mode_16_64 3
		.amdhsa_dx10_clamp 1
		.amdhsa_ieee_mode 1
		.amdhsa_fp16_overflow 0
		.amdhsa_exception_fp_ieee_invalid_op 0
		.amdhsa_exception_fp_denorm_src 0
		.amdhsa_exception_fp_ieee_div_zero 0
		.amdhsa_exception_fp_ieee_overflow 0
		.amdhsa_exception_fp_ieee_underflow 0
		.amdhsa_exception_fp_ieee_inexact 0
		.amdhsa_exception_int_div_zero 0
	.end_amdhsa_kernel
	.section	.text._ZL37rocblas_syrkx_herkx_restricted_kernelIl19rocblas_complex_numIdELi16ELi32ELi8ELi1ELi1ELb0ELc84ELc76EKPKS1_KPS1_EviT_PT9_S7_lS9_S7_lPT10_S7_li,"axG",@progbits,_ZL37rocblas_syrkx_herkx_restricted_kernelIl19rocblas_complex_numIdELi16ELi32ELi8ELi1ELi1ELb0ELc84ELc76EKPKS1_KPS1_EviT_PT9_S7_lS9_S7_lPT10_S7_li,comdat
.Lfunc_end1619:
	.size	_ZL37rocblas_syrkx_herkx_restricted_kernelIl19rocblas_complex_numIdELi16ELi32ELi8ELi1ELi1ELb0ELc84ELc76EKPKS1_KPS1_EviT_PT9_S7_lS9_S7_lPT10_S7_li, .Lfunc_end1619-_ZL37rocblas_syrkx_herkx_restricted_kernelIl19rocblas_complex_numIdELi16ELi32ELi8ELi1ELi1ELb0ELc84ELc76EKPKS1_KPS1_EviT_PT9_S7_lS9_S7_lPT10_S7_li
                                        ; -- End function
	.set _ZL37rocblas_syrkx_herkx_restricted_kernelIl19rocblas_complex_numIdELi16ELi32ELi8ELi1ELi1ELb0ELc84ELc76EKPKS1_KPS1_EviT_PT9_S7_lS9_S7_lPT10_S7_li.num_vgpr, 52
	.set _ZL37rocblas_syrkx_herkx_restricted_kernelIl19rocblas_complex_numIdELi16ELi32ELi8ELi1ELi1ELb0ELc84ELc76EKPKS1_KPS1_EviT_PT9_S7_lS9_S7_lPT10_S7_li.num_agpr, 0
	.set _ZL37rocblas_syrkx_herkx_restricted_kernelIl19rocblas_complex_numIdELi16ELi32ELi8ELi1ELi1ELb0ELc84ELc76EKPKS1_KPS1_EviT_PT9_S7_lS9_S7_lPT10_S7_li.numbered_sgpr, 20
	.set _ZL37rocblas_syrkx_herkx_restricted_kernelIl19rocblas_complex_numIdELi16ELi32ELi8ELi1ELi1ELb0ELc84ELc76EKPKS1_KPS1_EviT_PT9_S7_lS9_S7_lPT10_S7_li.num_named_barrier, 0
	.set _ZL37rocblas_syrkx_herkx_restricted_kernelIl19rocblas_complex_numIdELi16ELi32ELi8ELi1ELi1ELb0ELc84ELc76EKPKS1_KPS1_EviT_PT9_S7_lS9_S7_lPT10_S7_li.private_seg_size, 0
	.set _ZL37rocblas_syrkx_herkx_restricted_kernelIl19rocblas_complex_numIdELi16ELi32ELi8ELi1ELi1ELb0ELc84ELc76EKPKS1_KPS1_EviT_PT9_S7_lS9_S7_lPT10_S7_li.uses_vcc, 1
	.set _ZL37rocblas_syrkx_herkx_restricted_kernelIl19rocblas_complex_numIdELi16ELi32ELi8ELi1ELi1ELb0ELc84ELc76EKPKS1_KPS1_EviT_PT9_S7_lS9_S7_lPT10_S7_li.uses_flat_scratch, 0
	.set _ZL37rocblas_syrkx_herkx_restricted_kernelIl19rocblas_complex_numIdELi16ELi32ELi8ELi1ELi1ELb0ELc84ELc76EKPKS1_KPS1_EviT_PT9_S7_lS9_S7_lPT10_S7_li.has_dyn_sized_stack, 0
	.set _ZL37rocblas_syrkx_herkx_restricted_kernelIl19rocblas_complex_numIdELi16ELi32ELi8ELi1ELi1ELb0ELc84ELc76EKPKS1_KPS1_EviT_PT9_S7_lS9_S7_lPT10_S7_li.has_recursion, 0
	.set _ZL37rocblas_syrkx_herkx_restricted_kernelIl19rocblas_complex_numIdELi16ELi32ELi8ELi1ELi1ELb0ELc84ELc76EKPKS1_KPS1_EviT_PT9_S7_lS9_S7_lPT10_S7_li.has_indirect_call, 0
	.section	.AMDGPU.csdata,"",@progbits
; Kernel info:
; codeLenInByte = 2944
; TotalNumSgprs: 24
; NumVgprs: 52
; ScratchSize: 0
; MemoryBound: 0
; FloatMode: 240
; IeeeMode: 1
; LDSByteSize: 8192 bytes/workgroup (compile time only)
; SGPRBlocks: 8
; VGPRBlocks: 12
; NumSGPRsForWavesPerEU: 65
; NumVGPRsForWavesPerEU: 52
; Occupancy: 4
; WaveLimiterHint : 1
; COMPUTE_PGM_RSRC2:SCRATCH_EN: 0
; COMPUTE_PGM_RSRC2:USER_SGPR: 6
; COMPUTE_PGM_RSRC2:TRAP_HANDLER: 0
; COMPUTE_PGM_RSRC2:TGID_X_EN: 1
; COMPUTE_PGM_RSRC2:TGID_Y_EN: 1
; COMPUTE_PGM_RSRC2:TGID_Z_EN: 1
; COMPUTE_PGM_RSRC2:TIDIG_COMP_CNT: 1
	.section	.text._ZL37rocblas_syrkx_herkx_restricted_kernelIl19rocblas_complex_numIdELi16ELi32ELi8ELi1ELi1ELb0ELc67ELc76EKPKS1_KPS1_EviT_PT9_S7_lS9_S7_lPT10_S7_li,"axG",@progbits,_ZL37rocblas_syrkx_herkx_restricted_kernelIl19rocblas_complex_numIdELi16ELi32ELi8ELi1ELi1ELb0ELc67ELc76EKPKS1_KPS1_EviT_PT9_S7_lS9_S7_lPT10_S7_li,comdat
	.globl	_ZL37rocblas_syrkx_herkx_restricted_kernelIl19rocblas_complex_numIdELi16ELi32ELi8ELi1ELi1ELb0ELc67ELc76EKPKS1_KPS1_EviT_PT9_S7_lS9_S7_lPT10_S7_li ; -- Begin function _ZL37rocblas_syrkx_herkx_restricted_kernelIl19rocblas_complex_numIdELi16ELi32ELi8ELi1ELi1ELb0ELc67ELc76EKPKS1_KPS1_EviT_PT9_S7_lS9_S7_lPT10_S7_li
	.p2align	8
	.type	_ZL37rocblas_syrkx_herkx_restricted_kernelIl19rocblas_complex_numIdELi16ELi32ELi8ELi1ELi1ELb0ELc67ELc76EKPKS1_KPS1_EviT_PT9_S7_lS9_S7_lPT10_S7_li,@function
_ZL37rocblas_syrkx_herkx_restricted_kernelIl19rocblas_complex_numIdELi16ELi32ELi8ELi1ELi1ELb0ELc67ELc76EKPKS1_KPS1_EviT_PT9_S7_lS9_S7_lPT10_S7_li: ; @_ZL37rocblas_syrkx_herkx_restricted_kernelIl19rocblas_complex_numIdELi16ELi32ELi8ELi1ELi1ELb0ELc67ELc76EKPKS1_KPS1_EviT_PT9_S7_lS9_S7_lPT10_S7_li
; %bb.0:
	s_load_dwordx4 s[12:15], s[4:5], 0x40
	s_load_dwordx4 s[0:3], s[4:5], 0x8
	s_mov_b32 s9, 0
	s_lshl_b64 s[10:11], s[8:9], 3
	s_waitcnt lgkmcnt(0)
	s_add_u32 s8, s12, s10
	s_addc_u32 s9, s13, s11
	s_load_dwordx2 s[8:9], s[8:9], 0x0
	v_cmp_lt_i64_e64 s[12:13], s[0:1], 1
	s_lshl_b32 s6, s6, 5
	s_lshl_b32 s7, s7, 5
	s_and_b64 vcc, exec, s[12:13]
	s_cbranch_vccnz .LBB1620_3
; %bb.1:
	s_load_dwordx2 s[12:13], s[4:5], 0x18
	s_load_dwordx4 s[16:19], s[4:5], 0x28
	v_lshl_add_u32 v6, v1, 4, v0
	v_lshrrev_b32_e32 v8, 3, v6
	v_add_u32_e32 v4, s7, v8
	v_ashrrev_i32_e32 v5, 31, v4
	v_and_b32_e32 v2, 7, v0
	v_mov_b32_e32 v3, 0
	s_waitcnt lgkmcnt(0)
	v_mul_lo_u32 v7, s18, v5
	v_mul_lo_u32 v9, s19, v4
	v_mad_u64_u32 v[4:5], s[18:19], s18, v4, v[2:3]
	s_add_u32 s2, s2, s10
	v_lshlrev_b32_e32 v2, 4, v2
	v_add3_u32 v5, v9, v5, v7
	v_and_b32_e32 v9, 31, v6
	s_addc_u32 s3, s3, s11
	v_lshl_or_b32 v2, v8, 7, v2
	v_add_u32_e32 v8, s6, v9
	s_add_u32 s10, s16, s10
	v_lshrrev_b32_e32 v6, 5, v6
	v_mov_b32_e32 v7, v3
	v_lshlrev_b32_e32 v3, 4, v9
	v_add_u32_e32 v23, 0x1000, v2
	v_ashrrev_i32_e32 v2, 31, v8
	s_addc_u32 s11, s17, s11
	v_lshl_or_b32 v22, v6, 9, v3
	v_mul_lo_u32 v9, s12, v2
	v_mad_u64_u32 v[2:3], s[16:17], s12, v8, v[6:7]
	v_mul_lo_u32 v6, s13, v8
	s_load_dwordx2 s[2:3], s[2:3], 0x0
	v_lshlrev_b64 v[4:5], 4, v[4:5]
	s_load_dwordx2 s[10:11], s[10:11], 0x0
	v_add3_u32 v3, v6, v3, v9
	v_lshlrev_b64 v[2:3], 4, v[2:3]
	s_waitcnt lgkmcnt(0)
	v_mov_b32_e32 v6, s3
	v_add_co_u32_e32 v2, vcc, s2, v2
	v_addc_co_u32_e32 v3, vcc, v6, v3, vcc
	v_mov_b32_e32 v7, 0x1000
	v_mov_b32_e32 v6, s11
	v_add_co_u32_e32 v4, vcc, s10, v4
	v_lshl_add_u32 v25, v1, 7, v7
	v_addc_co_u32_e32 v5, vcc, v6, v5, vcc
	v_mov_b32_e32 v10, 0
	v_mov_b32_e32 v12, 0
	;; [unrolled: 1-line block ×8, first 2 shown]
	v_lshlrev_b32_e32 v24, 4, v0
	v_mov_b32_e32 v11, 0
	v_mov_b32_e32 v13, 0
	;; [unrolled: 1-line block ×8, first 2 shown]
	s_mov_b64 s[2:3], 0
.LBB1620_2:                             ; =>This Inner Loop Header: Depth=1
	flat_load_dwordx4 v[26:29], v[2:3]
	s_add_u32 s2, s2, 8
	v_add_co_u32_e32 v2, vcc, 0x80, v2
	s_addc_u32 s3, s3, 0
	v_addc_co_u32_e32 v3, vcc, 0, v3, vcc
	s_waitcnt vmcnt(0) lgkmcnt(0)
	ds_write_b128 v22, v[26:29]
	flat_load_dwordx4 v[26:29], v[4:5]
	v_add_co_u32_e32 v4, vcc, 0x80, v4
	v_addc_co_u32_e32 v5, vcc, 0, v5, vcc
	s_waitcnt vmcnt(0) lgkmcnt(0)
	ds_write_b128 v23, v[26:29]
	s_waitcnt lgkmcnt(0)
	s_barrier
	ds_read_b128 v[26:29], v25
	ds_read_b128 v[30:33], v25 offset:16
	ds_read_b128 v[34:37], v25 offset:32
	;; [unrolled: 1-line block ×3, first 2 shown]
	ds_read_b128 v[42:45], v24
	s_waitcnt lgkmcnt(0)
	v_mul_f64 v[46:47], v[28:29], v[44:45]
	v_mul_f64 v[48:49], v[26:27], v[44:45]
	v_fma_f64 v[46:47], v[26:27], v[42:43], -v[46:47]
	v_fma_f64 v[48:49], v[28:29], v[42:43], v[48:49]
	v_add_f64 v[46:47], v[14:15], v[46:47]
	v_add_f64 v[48:49], v[48:49], v[16:17]
	ds_read_b128 v[14:17], v24 offset:256
	s_waitcnt lgkmcnt(0)
	v_mul_f64 v[50:51], v[28:29], v[16:17]
	v_fma_f64 v[50:51], v[26:27], v[14:15], -v[50:51]
	v_mul_f64 v[26:27], v[26:27], v[16:17]
	v_fma_f64 v[26:27], v[28:29], v[14:15], v[26:27]
	v_add_f64 v[28:29], v[8:9], v[50:51]
	v_add_f64 v[26:27], v[26:27], v[6:7]
	ds_read_b128 v[6:9], v25 offset:2048
	s_waitcnt lgkmcnt(0)
	v_mul_f64 v[50:51], v[8:9], v[44:45]
	v_mul_f64 v[44:45], v[6:7], v[44:45]
	v_fma_f64 v[50:51], v[6:7], v[42:43], -v[50:51]
	v_fma_f64 v[42:43], v[8:9], v[42:43], v[44:45]
	v_add_f64 v[20:21], v[20:21], v[50:51]
	v_add_f64 v[18:19], v[42:43], v[18:19]
	v_mul_f64 v[42:43], v[8:9], v[16:17]
	v_fma_f64 v[42:43], v[6:7], v[14:15], -v[42:43]
	v_mul_f64 v[6:7], v[6:7], v[16:17]
	v_add_f64 v[42:43], v[12:13], v[42:43]
	v_fma_f64 v[6:7], v[8:9], v[14:15], v[6:7]
	v_add_f64 v[44:45], v[6:7], v[10:11]
	ds_read_b128 v[6:9], v24 offset:512
	s_waitcnt lgkmcnt(0)
	v_mul_f64 v[10:11], v[32:33], v[8:9]
	v_mul_f64 v[12:13], v[30:31], v[8:9]
	v_fma_f64 v[10:11], v[30:31], v[6:7], -v[10:11]
	v_fma_f64 v[12:13], v[32:33], v[6:7], v[12:13]
	v_add_f64 v[46:47], v[46:47], v[10:11]
	v_add_f64 v[48:49], v[12:13], v[48:49]
	ds_read_b128 v[10:13], v24 offset:768
	s_waitcnt lgkmcnt(0)
	v_mul_f64 v[14:15], v[32:33], v[12:13]
	v_mul_f64 v[16:17], v[30:31], v[12:13]
	v_fma_f64 v[14:15], v[30:31], v[10:11], -v[14:15]
	v_fma_f64 v[16:17], v[32:33], v[10:11], v[16:17]
	v_add_f64 v[28:29], v[28:29], v[14:15]
	v_add_f64 v[26:27], v[16:17], v[26:27]
	ds_read_b128 v[14:17], v25 offset:2064
	s_waitcnt lgkmcnt(0)
	v_mul_f64 v[30:31], v[16:17], v[8:9]
	v_mul_f64 v[8:9], v[14:15], v[8:9]
	v_fma_f64 v[30:31], v[14:15], v[6:7], -v[30:31]
	v_fma_f64 v[6:7], v[16:17], v[6:7], v[8:9]
	v_mul_f64 v[8:9], v[14:15], v[12:13]
	v_add_f64 v[20:21], v[20:21], v[30:31]
	v_add_f64 v[18:19], v[6:7], v[18:19]
	v_mul_f64 v[6:7], v[16:17], v[12:13]
	v_fma_f64 v[8:9], v[16:17], v[10:11], v[8:9]
	v_fma_f64 v[6:7], v[14:15], v[10:11], -v[6:7]
	v_add_f64 v[32:33], v[8:9], v[44:45]
	v_add_f64 v[30:31], v[42:43], v[6:7]
	ds_read_b128 v[6:9], v24 offset:1024
	s_waitcnt lgkmcnt(0)
	v_mul_f64 v[10:11], v[36:37], v[8:9]
	v_mul_f64 v[12:13], v[34:35], v[8:9]
	v_fma_f64 v[10:11], v[34:35], v[6:7], -v[10:11]
	v_fma_f64 v[12:13], v[36:37], v[6:7], v[12:13]
	v_add_f64 v[42:43], v[46:47], v[10:11]
	v_add_f64 v[44:45], v[12:13], v[48:49]
	ds_read_b128 v[10:13], v24 offset:1280
	s_waitcnt lgkmcnt(0)
	v_mul_f64 v[14:15], v[36:37], v[12:13]
	v_mul_f64 v[16:17], v[34:35], v[12:13]
	v_fma_f64 v[14:15], v[34:35], v[10:11], -v[14:15]
	v_fma_f64 v[16:17], v[36:37], v[10:11], v[16:17]
	v_add_f64 v[28:29], v[28:29], v[14:15]
	v_add_f64 v[26:27], v[16:17], v[26:27]
	ds_read_b128 v[14:17], v25 offset:2080
	s_waitcnt lgkmcnt(0)
	v_mul_f64 v[34:35], v[16:17], v[8:9]
	v_mul_f64 v[8:9], v[14:15], v[8:9]
	v_fma_f64 v[34:35], v[14:15], v[6:7], -v[34:35]
	v_fma_f64 v[6:7], v[16:17], v[6:7], v[8:9]
	v_mul_f64 v[8:9], v[14:15], v[12:13]
	v_add_f64 v[20:21], v[20:21], v[34:35]
	v_add_f64 v[18:19], v[6:7], v[18:19]
	v_mul_f64 v[6:7], v[16:17], v[12:13]
	v_fma_f64 v[8:9], v[16:17], v[10:11], v[8:9]
	v_fma_f64 v[6:7], v[14:15], v[10:11], -v[6:7]
	v_add_f64 v[32:33], v[8:9], v[32:33]
	v_add_f64 v[30:31], v[30:31], v[6:7]
	ds_read_b128 v[6:9], v24 offset:1536
	s_waitcnt lgkmcnt(0)
	v_mul_f64 v[10:11], v[40:41], v[8:9]
	v_mul_f64 v[12:13], v[38:39], v[8:9]
	v_fma_f64 v[10:11], v[38:39], v[6:7], -v[10:11]
	v_fma_f64 v[12:13], v[40:41], v[6:7], v[12:13]
	v_add_f64 v[34:35], v[42:43], v[10:11]
	v_add_f64 v[36:37], v[12:13], v[44:45]
	ds_read_b128 v[10:13], v24 offset:1792
	s_waitcnt lgkmcnt(0)
	v_mul_f64 v[14:15], v[40:41], v[12:13]
	v_mul_f64 v[16:17], v[38:39], v[12:13]
	v_fma_f64 v[14:15], v[38:39], v[10:11], -v[14:15]
	v_fma_f64 v[16:17], v[40:41], v[10:11], v[16:17]
	v_add_f64 v[28:29], v[28:29], v[14:15]
	v_add_f64 v[26:27], v[16:17], v[26:27]
	ds_read_b128 v[14:17], v25 offset:2096
	s_waitcnt lgkmcnt(0)
	v_mul_f64 v[38:39], v[16:17], v[8:9]
	v_mul_f64 v[8:9], v[14:15], v[8:9]
	v_fma_f64 v[38:39], v[14:15], v[6:7], -v[38:39]
	v_fma_f64 v[6:7], v[16:17], v[6:7], v[8:9]
	v_mul_f64 v[8:9], v[14:15], v[12:13]
	v_add_f64 v[20:21], v[20:21], v[38:39]
	v_add_f64 v[18:19], v[6:7], v[18:19]
	v_mul_f64 v[6:7], v[16:17], v[12:13]
	v_fma_f64 v[8:9], v[16:17], v[10:11], v[8:9]
	v_fma_f64 v[6:7], v[14:15], v[10:11], -v[6:7]
	v_add_f64 v[32:33], v[8:9], v[32:33]
	v_add_f64 v[30:31], v[30:31], v[6:7]
	ds_read_b128 v[6:9], v25 offset:64
	ds_read_b128 v[10:13], v24 offset:2048
	s_waitcnt lgkmcnt(0)
	v_mul_f64 v[14:15], v[8:9], v[12:13]
	v_mul_f64 v[16:17], v[6:7], v[12:13]
	v_fma_f64 v[14:15], v[6:7], v[10:11], -v[14:15]
	v_fma_f64 v[16:17], v[8:9], v[10:11], v[16:17]
	v_add_f64 v[34:35], v[34:35], v[14:15]
	v_add_f64 v[36:37], v[16:17], v[36:37]
	ds_read_b128 v[14:17], v24 offset:2304
	s_waitcnt lgkmcnt(0)
	v_mul_f64 v[38:39], v[8:9], v[16:17]
	v_fma_f64 v[38:39], v[6:7], v[14:15], -v[38:39]
	v_mul_f64 v[6:7], v[6:7], v[16:17]
	v_add_f64 v[28:29], v[28:29], v[38:39]
	v_fma_f64 v[6:7], v[8:9], v[14:15], v[6:7]
	v_add_f64 v[26:27], v[6:7], v[26:27]
	ds_read_b128 v[6:9], v25 offset:2112
	s_waitcnt lgkmcnt(0)
	v_mul_f64 v[38:39], v[8:9], v[12:13]
	v_mul_f64 v[12:13], v[6:7], v[12:13]
	v_fma_f64 v[38:39], v[6:7], v[10:11], -v[38:39]
	v_fma_f64 v[10:11], v[8:9], v[10:11], v[12:13]
	v_add_f64 v[20:21], v[20:21], v[38:39]
	v_add_f64 v[18:19], v[10:11], v[18:19]
	v_mul_f64 v[10:11], v[8:9], v[16:17]
	v_fma_f64 v[10:11], v[6:7], v[14:15], -v[10:11]
	v_mul_f64 v[6:7], v[6:7], v[16:17]
	v_add_f64 v[30:31], v[30:31], v[10:11]
	v_fma_f64 v[6:7], v[8:9], v[14:15], v[6:7]
	v_add_f64 v[32:33], v[6:7], v[32:33]
	ds_read_b128 v[6:9], v25 offset:80
	ds_read_b128 v[10:13], v24 offset:2560
	s_waitcnt lgkmcnt(0)
	v_mul_f64 v[14:15], v[8:9], v[12:13]
	v_mul_f64 v[16:17], v[6:7], v[12:13]
	v_fma_f64 v[14:15], v[6:7], v[10:11], -v[14:15]
	v_fma_f64 v[16:17], v[8:9], v[10:11], v[16:17]
	v_add_f64 v[34:35], v[34:35], v[14:15]
	v_add_f64 v[36:37], v[16:17], v[36:37]
	ds_read_b128 v[14:17], v24 offset:2816
	s_waitcnt lgkmcnt(0)
	v_mul_f64 v[38:39], v[8:9], v[16:17]
	v_fma_f64 v[38:39], v[6:7], v[14:15], -v[38:39]
	v_mul_f64 v[6:7], v[6:7], v[16:17]
	v_add_f64 v[28:29], v[28:29], v[38:39]
	v_fma_f64 v[6:7], v[8:9], v[14:15], v[6:7]
	v_add_f64 v[26:27], v[6:7], v[26:27]
	ds_read_b128 v[6:9], v25 offset:2128
	s_waitcnt lgkmcnt(0)
	v_mul_f64 v[38:39], v[8:9], v[12:13]
	v_mul_f64 v[12:13], v[6:7], v[12:13]
	v_fma_f64 v[38:39], v[6:7], v[10:11], -v[38:39]
	v_fma_f64 v[10:11], v[8:9], v[10:11], v[12:13]
	v_add_f64 v[20:21], v[20:21], v[38:39]
	v_add_f64 v[18:19], v[10:11], v[18:19]
	v_mul_f64 v[10:11], v[8:9], v[16:17]
	v_fma_f64 v[10:11], v[6:7], v[14:15], -v[10:11]
	v_mul_f64 v[6:7], v[6:7], v[16:17]
	v_add_f64 v[30:31], v[30:31], v[10:11]
	v_fma_f64 v[6:7], v[8:9], v[14:15], v[6:7]
	;; [unrolled: 31-line block ×3, first 2 shown]
	v_add_f64 v[44:45], v[6:7], v[32:33]
	ds_read_b128 v[6:9], v25 offset:112
	ds_read_b128 v[10:13], v24 offset:3584
	;; [unrolled: 1-line block ×3, first 2 shown]
	s_waitcnt lgkmcnt(1)
	v_mul_f64 v[14:15], v[8:9], v[12:13]
	s_waitcnt lgkmcnt(0)
	v_mul_f64 v[30:31], v[8:9], v[28:29]
	v_mul_f64 v[16:17], v[6:7], v[12:13]
	v_fma_f64 v[14:15], v[6:7], v[10:11], -v[14:15]
	v_fma_f64 v[30:31], v[6:7], v[26:27], -v[30:31]
	v_mul_f64 v[6:7], v[6:7], v[28:29]
	v_fma_f64 v[16:17], v[8:9], v[10:11], v[16:17]
	v_add_f64 v[14:15], v[34:35], v[14:15]
	v_fma_f64 v[6:7], v[8:9], v[26:27], v[6:7]
	v_add_f64 v[8:9], v[38:39], v[30:31]
	ds_read_b128 v[30:33], v25 offset:2160
	v_add_f64 v[16:17], v[16:17], v[36:37]
	s_waitcnt lgkmcnt(0)
	s_barrier
	v_mul_f64 v[34:35], v[32:33], v[12:13]
	v_mul_f64 v[12:13], v[30:31], v[12:13]
	v_add_f64 v[6:7], v[6:7], v[40:41]
	v_fma_f64 v[34:35], v[30:31], v[10:11], -v[34:35]
	v_fma_f64 v[10:11], v[32:33], v[10:11], v[12:13]
	v_mul_f64 v[12:13], v[30:31], v[28:29]
	v_add_f64 v[20:21], v[20:21], v[34:35]
	v_add_f64 v[18:19], v[10:11], v[18:19]
	v_mul_f64 v[10:11], v[32:33], v[28:29]
	v_fma_f64 v[10:11], v[30:31], v[26:27], -v[10:11]
	v_fma_f64 v[26:27], v[32:33], v[26:27], v[12:13]
	v_add_f64 v[12:13], v[42:43], v[10:11]
	v_add_f64 v[10:11], v[26:27], v[44:45]
	v_mov_b32_e32 v27, s3
	v_mov_b32_e32 v26, s2
	v_cmp_le_u64_e32 vcc, s[0:1], v[26:27]
	s_cbranch_vccz .LBB1620_2
	s_branch .LBB1620_4
.LBB1620_3:
	v_mov_b32_e32 v14, 0
	v_mov_b32_e32 v16, 0
	;; [unrolled: 1-line block ×16, first 2 shown]
.LBB1620_4:
	v_add_u32_e32 v4, s7, v1
	v_ashrrev_i32_e32 v1, 31, v4
	v_mul_lo_u32 v3, s14, v1
	v_mul_lo_u32 v5, s15, v4
	v_mad_u64_u32 v[1:2], s[0:1], s14, v4, 0
	s_load_dword s4, s[4:5], 0x0
	v_add_u32_e32 v0, s6, v0
	v_add3_u32 v2, v2, v3, v5
	v_lshlrev_b64 v[1:2], 4, v[1:2]
	s_waitcnt lgkmcnt(0)
	v_mov_b32_e32 v3, s9
	v_add_co_u32_e32 v5, vcc, s8, v1
	v_addc_co_u32_e32 v22, vcc, v3, v2, vcc
	v_cmp_le_i32_e64 s[0:1], v4, v0
	v_cmp_gt_i32_e32 vcc, s4, v0
	s_and_b64 s[0:1], s[0:1], vcc
	s_and_saveexec_b64 s[2:3], s[0:1]
	s_cbranch_execz .LBB1620_6
; %bb.5:
	v_ashrrev_i32_e32 v1, 31, v0
	v_lshlrev_b64 v[1:2], 4, v[0:1]
	v_add_co_u32_e64 v1, s[0:1], v5, v1
	v_addc_co_u32_e64 v2, s[0:1], v22, v2, s[0:1]
	flat_load_dwordx4 v[23:26], v[1:2]
	s_waitcnt vmcnt(0) lgkmcnt(0)
	v_add_f64 v[14:15], v[14:15], v[23:24]
	v_add_f64 v[16:17], v[16:17], v[25:26]
	flat_store_dwordx4 v[1:2], v[14:17]
.LBB1620_6:
	s_or_b64 exec, exec, s[2:3]
	v_add_u32_e32 v2, 16, v0
	v_cmp_le_i32_e64 s[2:3], v4, v2
	v_cmp_gt_i32_e64 s[0:1], s4, v2
	s_and_b64 s[2:3], s[2:3], s[0:1]
	s_and_saveexec_b64 s[4:5], s[2:3]
	s_cbranch_execz .LBB1620_8
; %bb.7:
	v_ashrrev_i32_e32 v3, 31, v2
	v_lshlrev_b64 v[14:15], 4, v[2:3]
	v_add_co_u32_e64 v23, s[2:3], v5, v14
	v_addc_co_u32_e64 v24, s[2:3], v22, v15, s[2:3]
	flat_load_dwordx4 v[14:17], v[23:24]
	s_waitcnt vmcnt(0) lgkmcnt(0)
	v_add_f64 v[14:15], v[8:9], v[14:15]
	v_add_f64 v[16:17], v[6:7], v[16:17]
	flat_store_dwordx4 v[23:24], v[14:17]
.LBB1620_8:
	s_or_b64 exec, exec, s[4:5]
	v_add_u32_e32 v3, 16, v4
	v_ashrrev_i32_e32 v1, 31, v3
	v_mul_lo_u32 v6, s15, v3
	v_mad_u64_u32 v[4:5], s[2:3], s14, v3, 0
	v_mul_lo_u32 v1, s14, v1
	v_add3_u32 v5, v5, v1, v6
	v_lshlrev_b64 v[4:5], 4, v[4:5]
	v_mov_b32_e32 v1, s9
	v_add_co_u32_e64 v4, s[2:3], s8, v4
	v_addc_co_u32_e64 v5, s[2:3], v1, v5, s[2:3]
	v_cmp_le_i32_e64 s[2:3], v3, v0
	s_and_b64 s[4:5], s[2:3], vcc
	s_and_saveexec_b64 s[2:3], s[4:5]
	s_cbranch_execz .LBB1620_10
; %bb.9:
	v_ashrrev_i32_e32 v1, 31, v0
	v_lshlrev_b64 v[0:1], 4, v[0:1]
	v_add_co_u32_e32 v0, vcc, v4, v0
	v_addc_co_u32_e32 v1, vcc, v5, v1, vcc
	flat_load_dwordx4 v[6:9], v[0:1]
	s_waitcnt vmcnt(0) lgkmcnt(0)
	v_add_f64 v[6:7], v[20:21], v[6:7]
	v_add_f64 v[8:9], v[18:19], v[8:9]
	flat_store_dwordx4 v[0:1], v[6:9]
.LBB1620_10:
	s_or_b64 exec, exec, s[2:3]
	v_cmp_le_i32_e32 vcc, v3, v2
	s_and_b64 s[0:1], vcc, s[0:1]
	s_and_saveexec_b64 s[2:3], s[0:1]
	s_cbranch_execz .LBB1620_12
; %bb.11:
	v_ashrrev_i32_e32 v3, 31, v2
	v_lshlrev_b64 v[0:1], 4, v[2:3]
	v_add_co_u32_e32 v4, vcc, v4, v0
	v_addc_co_u32_e32 v5, vcc, v5, v1, vcc
	flat_load_dwordx4 v[0:3], v[4:5]
	s_waitcnt vmcnt(0) lgkmcnt(0)
	v_add_f64 v[0:1], v[12:13], v[0:1]
	v_add_f64 v[2:3], v[10:11], v[2:3]
	flat_store_dwordx4 v[4:5], v[0:3]
.LBB1620_12:
	s_endpgm
	.section	.rodata,"a",@progbits
	.p2align	6, 0x0
	.amdhsa_kernel _ZL37rocblas_syrkx_herkx_restricted_kernelIl19rocblas_complex_numIdELi16ELi32ELi8ELi1ELi1ELb0ELc67ELc76EKPKS1_KPS1_EviT_PT9_S7_lS9_S7_lPT10_S7_li
		.amdhsa_group_segment_fixed_size 8192
		.amdhsa_private_segment_fixed_size 0
		.amdhsa_kernarg_size 92
		.amdhsa_user_sgpr_count 6
		.amdhsa_user_sgpr_private_segment_buffer 1
		.amdhsa_user_sgpr_dispatch_ptr 0
		.amdhsa_user_sgpr_queue_ptr 0
		.amdhsa_user_sgpr_kernarg_segment_ptr 1
		.amdhsa_user_sgpr_dispatch_id 0
		.amdhsa_user_sgpr_flat_scratch_init 0
		.amdhsa_user_sgpr_private_segment_size 0
		.amdhsa_uses_dynamic_stack 0
		.amdhsa_system_sgpr_private_segment_wavefront_offset 0
		.amdhsa_system_sgpr_workgroup_id_x 1
		.amdhsa_system_sgpr_workgroup_id_y 1
		.amdhsa_system_sgpr_workgroup_id_z 1
		.amdhsa_system_sgpr_workgroup_info 0
		.amdhsa_system_vgpr_workitem_id 1
		.amdhsa_next_free_vgpr 52
		.amdhsa_next_free_sgpr 61
		.amdhsa_reserve_vcc 1
		.amdhsa_reserve_flat_scratch 0
		.amdhsa_float_round_mode_32 0
		.amdhsa_float_round_mode_16_64 0
		.amdhsa_float_denorm_mode_32 3
		.amdhsa_float_denorm_mode_16_64 3
		.amdhsa_dx10_clamp 1
		.amdhsa_ieee_mode 1
		.amdhsa_fp16_overflow 0
		.amdhsa_exception_fp_ieee_invalid_op 0
		.amdhsa_exception_fp_denorm_src 0
		.amdhsa_exception_fp_ieee_div_zero 0
		.amdhsa_exception_fp_ieee_overflow 0
		.amdhsa_exception_fp_ieee_underflow 0
		.amdhsa_exception_fp_ieee_inexact 0
		.amdhsa_exception_int_div_zero 0
	.end_amdhsa_kernel
	.section	.text._ZL37rocblas_syrkx_herkx_restricted_kernelIl19rocblas_complex_numIdELi16ELi32ELi8ELi1ELi1ELb0ELc67ELc76EKPKS1_KPS1_EviT_PT9_S7_lS9_S7_lPT10_S7_li,"axG",@progbits,_ZL37rocblas_syrkx_herkx_restricted_kernelIl19rocblas_complex_numIdELi16ELi32ELi8ELi1ELi1ELb0ELc67ELc76EKPKS1_KPS1_EviT_PT9_S7_lS9_S7_lPT10_S7_li,comdat
.Lfunc_end1620:
	.size	_ZL37rocblas_syrkx_herkx_restricted_kernelIl19rocblas_complex_numIdELi16ELi32ELi8ELi1ELi1ELb0ELc67ELc76EKPKS1_KPS1_EviT_PT9_S7_lS9_S7_lPT10_S7_li, .Lfunc_end1620-_ZL37rocblas_syrkx_herkx_restricted_kernelIl19rocblas_complex_numIdELi16ELi32ELi8ELi1ELi1ELb0ELc67ELc76EKPKS1_KPS1_EviT_PT9_S7_lS9_S7_lPT10_S7_li
                                        ; -- End function
	.set _ZL37rocblas_syrkx_herkx_restricted_kernelIl19rocblas_complex_numIdELi16ELi32ELi8ELi1ELi1ELb0ELc67ELc76EKPKS1_KPS1_EviT_PT9_S7_lS9_S7_lPT10_S7_li.num_vgpr, 52
	.set _ZL37rocblas_syrkx_herkx_restricted_kernelIl19rocblas_complex_numIdELi16ELi32ELi8ELi1ELi1ELb0ELc67ELc76EKPKS1_KPS1_EviT_PT9_S7_lS9_S7_lPT10_S7_li.num_agpr, 0
	.set _ZL37rocblas_syrkx_herkx_restricted_kernelIl19rocblas_complex_numIdELi16ELi32ELi8ELi1ELi1ELb0ELc67ELc76EKPKS1_KPS1_EviT_PT9_S7_lS9_S7_lPT10_S7_li.numbered_sgpr, 20
	.set _ZL37rocblas_syrkx_herkx_restricted_kernelIl19rocblas_complex_numIdELi16ELi32ELi8ELi1ELi1ELb0ELc67ELc76EKPKS1_KPS1_EviT_PT9_S7_lS9_S7_lPT10_S7_li.num_named_barrier, 0
	.set _ZL37rocblas_syrkx_herkx_restricted_kernelIl19rocblas_complex_numIdELi16ELi32ELi8ELi1ELi1ELb0ELc67ELc76EKPKS1_KPS1_EviT_PT9_S7_lS9_S7_lPT10_S7_li.private_seg_size, 0
	.set _ZL37rocblas_syrkx_herkx_restricted_kernelIl19rocblas_complex_numIdELi16ELi32ELi8ELi1ELi1ELb0ELc67ELc76EKPKS1_KPS1_EviT_PT9_S7_lS9_S7_lPT10_S7_li.uses_vcc, 1
	.set _ZL37rocblas_syrkx_herkx_restricted_kernelIl19rocblas_complex_numIdELi16ELi32ELi8ELi1ELi1ELb0ELc67ELc76EKPKS1_KPS1_EviT_PT9_S7_lS9_S7_lPT10_S7_li.uses_flat_scratch, 0
	.set _ZL37rocblas_syrkx_herkx_restricted_kernelIl19rocblas_complex_numIdELi16ELi32ELi8ELi1ELi1ELb0ELc67ELc76EKPKS1_KPS1_EviT_PT9_S7_lS9_S7_lPT10_S7_li.has_dyn_sized_stack, 0
	.set _ZL37rocblas_syrkx_herkx_restricted_kernelIl19rocblas_complex_numIdELi16ELi32ELi8ELi1ELi1ELb0ELc67ELc76EKPKS1_KPS1_EviT_PT9_S7_lS9_S7_lPT10_S7_li.has_recursion, 0
	.set _ZL37rocblas_syrkx_herkx_restricted_kernelIl19rocblas_complex_numIdELi16ELi32ELi8ELi1ELi1ELb0ELc67ELc76EKPKS1_KPS1_EviT_PT9_S7_lS9_S7_lPT10_S7_li.has_indirect_call, 0
	.section	.AMDGPU.csdata,"",@progbits
; Kernel info:
; codeLenInByte = 2944
; TotalNumSgprs: 24
; NumVgprs: 52
; ScratchSize: 0
; MemoryBound: 0
; FloatMode: 240
; IeeeMode: 1
; LDSByteSize: 8192 bytes/workgroup (compile time only)
; SGPRBlocks: 8
; VGPRBlocks: 12
; NumSGPRsForWavesPerEU: 65
; NumVGPRsForWavesPerEU: 52
; Occupancy: 4
; WaveLimiterHint : 1
; COMPUTE_PGM_RSRC2:SCRATCH_EN: 0
; COMPUTE_PGM_RSRC2:USER_SGPR: 6
; COMPUTE_PGM_RSRC2:TRAP_HANDLER: 0
; COMPUTE_PGM_RSRC2:TGID_X_EN: 1
; COMPUTE_PGM_RSRC2:TGID_Y_EN: 1
; COMPUTE_PGM_RSRC2:TGID_Z_EN: 1
; COMPUTE_PGM_RSRC2:TIDIG_COMP_CNT: 1
	.section	.text._ZL37rocblas_syrkx_herkx_restricted_kernelIl19rocblas_complex_numIdELi16ELi32ELi8ELi1ELi1ELb0ELc78ELc76EKPKS1_KPS1_EviT_PT9_S7_lS9_S7_lPT10_S7_li,"axG",@progbits,_ZL37rocblas_syrkx_herkx_restricted_kernelIl19rocblas_complex_numIdELi16ELi32ELi8ELi1ELi1ELb0ELc78ELc76EKPKS1_KPS1_EviT_PT9_S7_lS9_S7_lPT10_S7_li,comdat
	.globl	_ZL37rocblas_syrkx_herkx_restricted_kernelIl19rocblas_complex_numIdELi16ELi32ELi8ELi1ELi1ELb0ELc78ELc76EKPKS1_KPS1_EviT_PT9_S7_lS9_S7_lPT10_S7_li ; -- Begin function _ZL37rocblas_syrkx_herkx_restricted_kernelIl19rocblas_complex_numIdELi16ELi32ELi8ELi1ELi1ELb0ELc78ELc76EKPKS1_KPS1_EviT_PT9_S7_lS9_S7_lPT10_S7_li
	.p2align	8
	.type	_ZL37rocblas_syrkx_herkx_restricted_kernelIl19rocblas_complex_numIdELi16ELi32ELi8ELi1ELi1ELb0ELc78ELc76EKPKS1_KPS1_EviT_PT9_S7_lS9_S7_lPT10_S7_li,@function
_ZL37rocblas_syrkx_herkx_restricted_kernelIl19rocblas_complex_numIdELi16ELi32ELi8ELi1ELi1ELb0ELc78ELc76EKPKS1_KPS1_EviT_PT9_S7_lS9_S7_lPT10_S7_li: ; @_ZL37rocblas_syrkx_herkx_restricted_kernelIl19rocblas_complex_numIdELi16ELi32ELi8ELi1ELi1ELb0ELc78ELc76EKPKS1_KPS1_EviT_PT9_S7_lS9_S7_lPT10_S7_li
; %bb.0:
	s_load_dwordx4 s[12:15], s[4:5], 0x40
	s_load_dwordx4 s[0:3], s[4:5], 0x8
	s_mov_b32 s9, 0
	s_lshl_b64 s[16:17], s[8:9], 3
	s_waitcnt lgkmcnt(0)
	s_add_u32 s8, s12, s16
	s_addc_u32 s9, s13, s17
	s_load_dwordx2 s[12:13], s[8:9], 0x0
	v_cmp_lt_i64_e64 s[8:9], s[0:1], 1
	s_lshl_b32 s18, s6, 5
	s_lshl_b32 s19, s7, 5
	s_and_b64 vcc, exec, s[8:9]
	s_cbranch_vccnz .LBB1621_3
; %bb.1:
	s_load_dwordx2 s[6:7], s[4:5], 0x18
	s_load_dwordx4 s[8:11], s[4:5], 0x28
	v_lshl_add_u32 v7, v1, 4, v0
	v_lshrrev_b32_e32 v8, 3, v7
	v_add_u32_e32 v2, s19, v8
	v_and_b32_e32 v6, 7, v0
	v_ashrrev_i32_e32 v3, 31, v2
	s_waitcnt lgkmcnt(0)
	v_mad_u64_u32 v[4:5], s[20:21], s10, v6, v[2:3]
	s_add_u32 s2, s2, s16
	s_addc_u32 s3, s3, s17
	v_mov_b32_e32 v2, v5
	v_mad_u64_u32 v[2:3], s[20:21], s11, v6, v[2:3]
	v_lshrrev_b32_e32 v9, 5, v7
	s_add_u32 s8, s8, s16
	v_mov_b32_e32 v5, v2
	v_and_b32_e32 v2, 31, v7
	v_lshlrev_b32_e32 v3, 4, v2
	v_add_u32_e32 v2, s18, v2
	v_lshl_or_b32 v22, v9, 9, v3
	v_ashrrev_i32_e32 v3, 31, v2
	s_addc_u32 s9, s9, s17
	v_mad_u64_u32 v[2:3], s[16:17], s6, v9, v[2:3]
	v_lshlrev_b32_e32 v6, 4, v6
	v_lshl_or_b32 v6, v8, 7, v6
	v_add_u32_e32 v23, 0x1000, v6
	v_mad_u64_u32 v[6:7], s[16:17], s7, v9, v[3:4]
	s_load_dwordx2 s[2:3], s[2:3], 0x0
	v_mov_b32_e32 v3, 0x1000
	s_load_dwordx2 s[8:9], s[8:9], 0x0
	v_lshl_add_u32 v25, v1, 7, v3
	v_mov_b32_e32 v3, v6
	v_lshlrev_b64 v[2:3], 4, v[2:3]
	s_waitcnt lgkmcnt(0)
	v_mov_b32_e32 v6, s3
	v_add_co_u32_e32 v2, vcc, s2, v2
	v_lshlrev_b64 v[4:5], 4, v[4:5]
	v_addc_co_u32_e32 v3, vcc, v6, v3, vcc
	v_mov_b32_e32 v6, s9
	v_add_co_u32_e32 v4, vcc, s8, v4
	s_lshl_b64 s[2:3], s[6:7], 7
	v_addc_co_u32_e32 v5, vcc, v6, v5, vcc
	s_lshl_b64 s[6:7], s[10:11], 7
	v_mov_b32_e32 v10, 0
	v_mov_b32_e32 v12, 0
	;; [unrolled: 1-line block ×8, first 2 shown]
	v_lshlrev_b32_e32 v24, 4, v0
	v_mov_b32_e32 v11, 0
	s_mov_b64 s[8:9], 0
	v_mov_b32_e32 v26, s3
	v_mov_b32_e32 v13, 0
	;; [unrolled: 1-line block ×9, first 2 shown]
.LBB1621_2:                             ; =>This Inner Loop Header: Depth=1
	flat_load_dwordx4 v[28:31], v[2:3]
	s_add_u32 s8, s8, 8
	v_add_co_u32_e32 v2, vcc, s2, v2
	s_addc_u32 s9, s9, 0
	v_addc_co_u32_e32 v3, vcc, v3, v26, vcc
	s_waitcnt vmcnt(0) lgkmcnt(0)
	ds_write_b128 v22, v[28:31]
	flat_load_dwordx4 v[28:31], v[4:5]
	v_add_co_u32_e32 v4, vcc, s6, v4
	v_addc_co_u32_e32 v5, vcc, v5, v27, vcc
	s_waitcnt vmcnt(0) lgkmcnt(0)
	ds_write_b128 v23, v[28:31]
	s_waitcnt lgkmcnt(0)
	s_barrier
	ds_read_b128 v[28:31], v25
	ds_read_b128 v[32:35], v25 offset:16
	ds_read_b128 v[36:39], v25 offset:32
	;; [unrolled: 1-line block ×3, first 2 shown]
	ds_read_b128 v[44:47], v24
	s_waitcnt lgkmcnt(0)
	v_mul_f64 v[48:49], v[30:31], v[46:47]
	v_mul_f64 v[50:51], v[28:29], v[46:47]
	v_fma_f64 v[48:49], v[28:29], v[44:45], -v[48:49]
	v_fma_f64 v[50:51], v[30:31], v[44:45], v[50:51]
	v_add_f64 v[48:49], v[18:19], v[48:49]
	v_add_f64 v[50:51], v[50:51], v[20:21]
	ds_read_b128 v[18:21], v24 offset:256
	s_waitcnt lgkmcnt(0)
	v_mul_f64 v[52:53], v[30:31], v[20:21]
	v_fma_f64 v[52:53], v[28:29], v[18:19], -v[52:53]
	v_mul_f64 v[28:29], v[28:29], v[20:21]
	v_fma_f64 v[28:29], v[30:31], v[18:19], v[28:29]
	v_add_f64 v[30:31], v[8:9], v[52:53]
	v_add_f64 v[28:29], v[28:29], v[6:7]
	ds_read_b128 v[6:9], v25 offset:2048
	s_waitcnt lgkmcnt(0)
	v_mul_f64 v[52:53], v[8:9], v[46:47]
	v_mul_f64 v[46:47], v[6:7], v[46:47]
	v_fma_f64 v[52:53], v[6:7], v[44:45], -v[52:53]
	v_fma_f64 v[44:45], v[8:9], v[44:45], v[46:47]
	v_add_f64 v[46:47], v[16:17], v[52:53]
	v_add_f64 v[44:45], v[44:45], v[14:15]
	v_mul_f64 v[14:15], v[8:9], v[20:21]
	v_fma_f64 v[14:15], v[6:7], v[18:19], -v[14:15]
	v_mul_f64 v[6:7], v[6:7], v[20:21]
	v_fma_f64 v[6:7], v[8:9], v[18:19], v[6:7]
	v_add_f64 v[18:19], v[12:13], v[14:15]
	v_add_f64 v[20:21], v[6:7], v[10:11]
	ds_read_b128 v[6:9], v24 offset:512
	s_waitcnt lgkmcnt(0)
	v_mul_f64 v[10:11], v[34:35], v[8:9]
	v_mul_f64 v[12:13], v[32:33], v[8:9]
	v_fma_f64 v[10:11], v[32:33], v[6:7], -v[10:11]
	v_fma_f64 v[12:13], v[34:35], v[6:7], v[12:13]
	v_add_f64 v[48:49], v[48:49], v[10:11]
	v_add_f64 v[50:51], v[12:13], v[50:51]
	ds_read_b128 v[10:13], v24 offset:768
	s_waitcnt lgkmcnt(0)
	v_mul_f64 v[14:15], v[34:35], v[12:13]
	v_mul_f64 v[16:17], v[32:33], v[12:13]
	v_fma_f64 v[14:15], v[32:33], v[10:11], -v[14:15]
	;; [unrolled: 8-line block ×3, first 2 shown]
	v_fma_f64 v[6:7], v[16:17], v[6:7], v[8:9]
	v_mul_f64 v[8:9], v[14:15], v[12:13]
	v_add_f64 v[32:33], v[46:47], v[32:33]
	v_add_f64 v[34:35], v[6:7], v[44:45]
	v_mul_f64 v[6:7], v[16:17], v[12:13]
	v_fma_f64 v[8:9], v[16:17], v[10:11], v[8:9]
	v_fma_f64 v[6:7], v[14:15], v[10:11], -v[6:7]
	v_add_f64 v[20:21], v[8:9], v[20:21]
	v_add_f64 v[18:19], v[18:19], v[6:7]
	ds_read_b128 v[6:9], v24 offset:1024
	s_waitcnt lgkmcnt(0)
	v_mul_f64 v[10:11], v[38:39], v[8:9]
	v_mul_f64 v[12:13], v[36:37], v[8:9]
	v_fma_f64 v[10:11], v[36:37], v[6:7], -v[10:11]
	v_fma_f64 v[12:13], v[38:39], v[6:7], v[12:13]
	v_add_f64 v[44:45], v[48:49], v[10:11]
	v_add_f64 v[46:47], v[12:13], v[50:51]
	ds_read_b128 v[10:13], v24 offset:1280
	s_waitcnt lgkmcnt(0)
	v_mul_f64 v[14:15], v[38:39], v[12:13]
	v_mul_f64 v[16:17], v[36:37], v[12:13]
	v_fma_f64 v[14:15], v[36:37], v[10:11], -v[14:15]
	v_fma_f64 v[16:17], v[38:39], v[10:11], v[16:17]
	;; [unrolled: 8-line block ×3, first 2 shown]
	v_mul_f64 v[8:9], v[14:15], v[12:13]
	v_add_f64 v[32:33], v[32:33], v[36:37]
	v_add_f64 v[34:35], v[6:7], v[34:35]
	v_mul_f64 v[6:7], v[16:17], v[12:13]
	v_fma_f64 v[8:9], v[16:17], v[10:11], v[8:9]
	v_fma_f64 v[6:7], v[14:15], v[10:11], -v[6:7]
	v_add_f64 v[20:21], v[8:9], v[20:21]
	v_add_f64 v[18:19], v[18:19], v[6:7]
	ds_read_b128 v[6:9], v24 offset:1536
	s_waitcnt lgkmcnt(0)
	v_mul_f64 v[10:11], v[42:43], v[8:9]
	v_mul_f64 v[12:13], v[40:41], v[8:9]
	v_fma_f64 v[10:11], v[40:41], v[6:7], -v[10:11]
	v_fma_f64 v[12:13], v[42:43], v[6:7], v[12:13]
	v_add_f64 v[36:37], v[44:45], v[10:11]
	v_add_f64 v[38:39], v[12:13], v[46:47]
	ds_read_b128 v[10:13], v24 offset:1792
	s_waitcnt lgkmcnt(0)
	v_mul_f64 v[14:15], v[42:43], v[12:13]
	v_mul_f64 v[16:17], v[40:41], v[12:13]
	v_fma_f64 v[14:15], v[40:41], v[10:11], -v[14:15]
	v_fma_f64 v[16:17], v[42:43], v[10:11], v[16:17]
	;; [unrolled: 8-line block ×3, first 2 shown]
	v_mul_f64 v[8:9], v[14:15], v[12:13]
	v_add_f64 v[32:33], v[32:33], v[40:41]
	v_add_f64 v[34:35], v[6:7], v[34:35]
	v_mul_f64 v[6:7], v[16:17], v[12:13]
	v_fma_f64 v[8:9], v[16:17], v[10:11], v[8:9]
	v_fma_f64 v[6:7], v[14:15], v[10:11], -v[6:7]
	v_add_f64 v[20:21], v[8:9], v[20:21]
	v_add_f64 v[18:19], v[18:19], v[6:7]
	ds_read_b128 v[6:9], v25 offset:64
	ds_read_b128 v[10:13], v24 offset:2048
	s_waitcnt lgkmcnt(0)
	v_mul_f64 v[14:15], v[8:9], v[12:13]
	v_mul_f64 v[16:17], v[6:7], v[12:13]
	v_fma_f64 v[14:15], v[6:7], v[10:11], -v[14:15]
	v_fma_f64 v[16:17], v[8:9], v[10:11], v[16:17]
	v_add_f64 v[36:37], v[36:37], v[14:15]
	v_add_f64 v[38:39], v[16:17], v[38:39]
	ds_read_b128 v[14:17], v24 offset:2304
	s_waitcnt lgkmcnt(0)
	v_mul_f64 v[40:41], v[8:9], v[16:17]
	v_fma_f64 v[40:41], v[6:7], v[14:15], -v[40:41]
	v_mul_f64 v[6:7], v[6:7], v[16:17]
	v_add_f64 v[30:31], v[30:31], v[40:41]
	v_fma_f64 v[6:7], v[8:9], v[14:15], v[6:7]
	v_add_f64 v[28:29], v[6:7], v[28:29]
	ds_read_b128 v[6:9], v25 offset:2112
	s_waitcnt lgkmcnt(0)
	v_mul_f64 v[40:41], v[8:9], v[12:13]
	v_mul_f64 v[12:13], v[6:7], v[12:13]
	v_fma_f64 v[40:41], v[6:7], v[10:11], -v[40:41]
	v_fma_f64 v[10:11], v[8:9], v[10:11], v[12:13]
	v_add_f64 v[32:33], v[32:33], v[40:41]
	v_add_f64 v[34:35], v[10:11], v[34:35]
	v_mul_f64 v[10:11], v[8:9], v[16:17]
	v_fma_f64 v[10:11], v[6:7], v[14:15], -v[10:11]
	v_mul_f64 v[6:7], v[6:7], v[16:17]
	v_add_f64 v[18:19], v[18:19], v[10:11]
	v_fma_f64 v[6:7], v[8:9], v[14:15], v[6:7]
	v_add_f64 v[20:21], v[6:7], v[20:21]
	ds_read_b128 v[6:9], v25 offset:80
	ds_read_b128 v[10:13], v24 offset:2560
	s_waitcnt lgkmcnt(0)
	v_mul_f64 v[14:15], v[8:9], v[12:13]
	v_mul_f64 v[16:17], v[6:7], v[12:13]
	v_fma_f64 v[14:15], v[6:7], v[10:11], -v[14:15]
	v_fma_f64 v[16:17], v[8:9], v[10:11], v[16:17]
	v_add_f64 v[36:37], v[36:37], v[14:15]
	v_add_f64 v[38:39], v[16:17], v[38:39]
	ds_read_b128 v[14:17], v24 offset:2816
	s_waitcnt lgkmcnt(0)
	v_mul_f64 v[40:41], v[8:9], v[16:17]
	v_fma_f64 v[40:41], v[6:7], v[14:15], -v[40:41]
	v_mul_f64 v[6:7], v[6:7], v[16:17]
	v_add_f64 v[30:31], v[30:31], v[40:41]
	v_fma_f64 v[6:7], v[8:9], v[14:15], v[6:7]
	v_add_f64 v[28:29], v[6:7], v[28:29]
	ds_read_b128 v[6:9], v25 offset:2128
	s_waitcnt lgkmcnt(0)
	v_mul_f64 v[40:41], v[8:9], v[12:13]
	v_mul_f64 v[12:13], v[6:7], v[12:13]
	v_fma_f64 v[40:41], v[6:7], v[10:11], -v[40:41]
	v_fma_f64 v[10:11], v[8:9], v[10:11], v[12:13]
	v_add_f64 v[32:33], v[32:33], v[40:41]
	v_add_f64 v[34:35], v[10:11], v[34:35]
	v_mul_f64 v[10:11], v[8:9], v[16:17]
	v_fma_f64 v[10:11], v[6:7], v[14:15], -v[10:11]
	v_mul_f64 v[6:7], v[6:7], v[16:17]
	v_add_f64 v[18:19], v[18:19], v[10:11]
	v_fma_f64 v[6:7], v[8:9], v[14:15], v[6:7]
	;; [unrolled: 31-line block ×3, first 2 shown]
	v_add_f64 v[50:51], v[6:7], v[20:21]
	ds_read_b128 v[6:9], v25 offset:112
	ds_read_b128 v[10:13], v24 offset:3584
	;; [unrolled: 1-line block ×4, first 2 shown]
	s_waitcnt lgkmcnt(0)
	s_barrier
	v_mul_f64 v[14:15], v[8:9], v[12:13]
	v_mul_f64 v[16:17], v[6:7], v[12:13]
	v_fma_f64 v[14:15], v[6:7], v[10:11], -v[14:15]
	v_fma_f64 v[16:17], v[8:9], v[10:11], v[16:17]
	v_add_f64 v[18:19], v[36:37], v[14:15]
	v_mul_f64 v[14:15], v[8:9], v[30:31]
	v_add_f64 v[20:21], v[16:17], v[38:39]
	v_fma_f64 v[14:15], v[6:7], v[28:29], -v[14:15]
	v_mul_f64 v[6:7], v[6:7], v[30:31]
	v_fma_f64 v[6:7], v[8:9], v[28:29], v[6:7]
	v_add_f64 v[8:9], v[40:41], v[14:15]
	v_mul_f64 v[14:15], v[34:35], v[12:13]
	v_mul_f64 v[12:13], v[32:33], v[12:13]
	v_add_f64 v[6:7], v[6:7], v[42:43]
	v_fma_f64 v[14:15], v[32:33], v[10:11], -v[14:15]
	v_fma_f64 v[10:11], v[34:35], v[10:11], v[12:13]
	v_mul_f64 v[12:13], v[32:33], v[30:31]
	v_add_f64 v[16:17], v[44:45], v[14:15]
	v_add_f64 v[14:15], v[10:11], v[46:47]
	v_mul_f64 v[10:11], v[34:35], v[30:31]
	v_fma_f64 v[10:11], v[32:33], v[28:29], -v[10:11]
	v_fma_f64 v[28:29], v[34:35], v[28:29], v[12:13]
	v_add_f64 v[12:13], v[48:49], v[10:11]
	v_add_f64 v[10:11], v[28:29], v[50:51]
	v_mov_b32_e32 v29, s9
	v_mov_b32_e32 v28, s8
	v_cmp_le_u64_e32 vcc, s[0:1], v[28:29]
	s_cbranch_vccz .LBB1621_2
	s_branch .LBB1621_4
.LBB1621_3:
	v_mov_b32_e32 v18, 0
	v_mov_b32_e32 v20, 0
	;; [unrolled: 1-line block ×16, first 2 shown]
.LBB1621_4:
	v_add_u32_e32 v4, s19, v1
	v_ashrrev_i32_e32 v1, 31, v4
	v_mul_lo_u32 v3, s14, v1
	v_mul_lo_u32 v5, s15, v4
	v_mad_u64_u32 v[1:2], s[0:1], s14, v4, 0
	s_load_dword s4, s[4:5], 0x0
	v_add_u32_e32 v0, s18, v0
	v_add3_u32 v2, v2, v3, v5
	v_lshlrev_b64 v[1:2], 4, v[1:2]
	s_waitcnt lgkmcnt(0)
	v_mov_b32_e32 v3, s13
	v_add_co_u32_e32 v5, vcc, s12, v1
	v_addc_co_u32_e32 v22, vcc, v3, v2, vcc
	v_cmp_le_i32_e64 s[0:1], v4, v0
	v_cmp_gt_i32_e32 vcc, s4, v0
	s_and_b64 s[0:1], s[0:1], vcc
	s_and_saveexec_b64 s[2:3], s[0:1]
	s_cbranch_execz .LBB1621_6
; %bb.5:
	v_ashrrev_i32_e32 v1, 31, v0
	v_lshlrev_b64 v[1:2], 4, v[0:1]
	v_add_co_u32_e64 v1, s[0:1], v5, v1
	v_addc_co_u32_e64 v2, s[0:1], v22, v2, s[0:1]
	flat_load_dwordx4 v[23:26], v[1:2]
	s_waitcnt vmcnt(0) lgkmcnt(0)
	v_add_f64 v[18:19], v[18:19], v[23:24]
	v_add_f64 v[20:21], v[20:21], v[25:26]
	flat_store_dwordx4 v[1:2], v[18:21]
.LBB1621_6:
	s_or_b64 exec, exec, s[2:3]
	v_add_u32_e32 v2, 16, v0
	v_cmp_le_i32_e64 s[2:3], v4, v2
	v_cmp_gt_i32_e64 s[0:1], s4, v2
	s_and_b64 s[2:3], s[2:3], s[0:1]
	s_and_saveexec_b64 s[4:5], s[2:3]
	s_cbranch_execz .LBB1621_8
; %bb.7:
	v_ashrrev_i32_e32 v3, 31, v2
	v_lshlrev_b64 v[18:19], 4, v[2:3]
	v_add_co_u32_e64 v23, s[2:3], v5, v18
	v_addc_co_u32_e64 v24, s[2:3], v22, v19, s[2:3]
	flat_load_dwordx4 v[18:21], v[23:24]
	s_waitcnt vmcnt(0) lgkmcnt(0)
	v_add_f64 v[18:19], v[8:9], v[18:19]
	v_add_f64 v[20:21], v[6:7], v[20:21]
	flat_store_dwordx4 v[23:24], v[18:21]
.LBB1621_8:
	s_or_b64 exec, exec, s[4:5]
	v_add_u32_e32 v3, 16, v4
	v_ashrrev_i32_e32 v1, 31, v3
	v_mul_lo_u32 v6, s15, v3
	v_mad_u64_u32 v[4:5], s[2:3], s14, v3, 0
	v_mul_lo_u32 v1, s14, v1
	v_add3_u32 v5, v5, v1, v6
	v_lshlrev_b64 v[4:5], 4, v[4:5]
	v_mov_b32_e32 v1, s13
	v_add_co_u32_e64 v4, s[2:3], s12, v4
	v_addc_co_u32_e64 v5, s[2:3], v1, v5, s[2:3]
	v_cmp_le_i32_e64 s[2:3], v3, v0
	s_and_b64 s[4:5], s[2:3], vcc
	s_and_saveexec_b64 s[2:3], s[4:5]
	s_cbranch_execz .LBB1621_10
; %bb.9:
	v_ashrrev_i32_e32 v1, 31, v0
	v_lshlrev_b64 v[0:1], 4, v[0:1]
	v_add_co_u32_e32 v0, vcc, v4, v0
	v_addc_co_u32_e32 v1, vcc, v5, v1, vcc
	flat_load_dwordx4 v[6:9], v[0:1]
	s_waitcnt vmcnt(0) lgkmcnt(0)
	v_add_f64 v[6:7], v[16:17], v[6:7]
	v_add_f64 v[8:9], v[14:15], v[8:9]
	flat_store_dwordx4 v[0:1], v[6:9]
.LBB1621_10:
	s_or_b64 exec, exec, s[2:3]
	v_cmp_le_i32_e32 vcc, v3, v2
	s_and_b64 s[0:1], vcc, s[0:1]
	s_and_saveexec_b64 s[2:3], s[0:1]
	s_cbranch_execz .LBB1621_12
; %bb.11:
	v_ashrrev_i32_e32 v3, 31, v2
	v_lshlrev_b64 v[0:1], 4, v[2:3]
	v_add_co_u32_e32 v4, vcc, v4, v0
	v_addc_co_u32_e32 v5, vcc, v5, v1, vcc
	flat_load_dwordx4 v[0:3], v[4:5]
	s_waitcnt vmcnt(0) lgkmcnt(0)
	v_add_f64 v[0:1], v[12:13], v[0:1]
	v_add_f64 v[2:3], v[10:11], v[2:3]
	flat_store_dwordx4 v[4:5], v[0:3]
.LBB1621_12:
	s_endpgm
	.section	.rodata,"a",@progbits
	.p2align	6, 0x0
	.amdhsa_kernel _ZL37rocblas_syrkx_herkx_restricted_kernelIl19rocblas_complex_numIdELi16ELi32ELi8ELi1ELi1ELb0ELc78ELc76EKPKS1_KPS1_EviT_PT9_S7_lS9_S7_lPT10_S7_li
		.amdhsa_group_segment_fixed_size 8192
		.amdhsa_private_segment_fixed_size 0
		.amdhsa_kernarg_size 92
		.amdhsa_user_sgpr_count 6
		.amdhsa_user_sgpr_private_segment_buffer 1
		.amdhsa_user_sgpr_dispatch_ptr 0
		.amdhsa_user_sgpr_queue_ptr 0
		.amdhsa_user_sgpr_kernarg_segment_ptr 1
		.amdhsa_user_sgpr_dispatch_id 0
		.amdhsa_user_sgpr_flat_scratch_init 0
		.amdhsa_user_sgpr_private_segment_size 0
		.amdhsa_uses_dynamic_stack 0
		.amdhsa_system_sgpr_private_segment_wavefront_offset 0
		.amdhsa_system_sgpr_workgroup_id_x 1
		.amdhsa_system_sgpr_workgroup_id_y 1
		.amdhsa_system_sgpr_workgroup_id_z 1
		.amdhsa_system_sgpr_workgroup_info 0
		.amdhsa_system_vgpr_workitem_id 1
		.amdhsa_next_free_vgpr 54
		.amdhsa_next_free_sgpr 61
		.amdhsa_reserve_vcc 1
		.amdhsa_reserve_flat_scratch 0
		.amdhsa_float_round_mode_32 0
		.amdhsa_float_round_mode_16_64 0
		.amdhsa_float_denorm_mode_32 3
		.amdhsa_float_denorm_mode_16_64 3
		.amdhsa_dx10_clamp 1
		.amdhsa_ieee_mode 1
		.amdhsa_fp16_overflow 0
		.amdhsa_exception_fp_ieee_invalid_op 0
		.amdhsa_exception_fp_denorm_src 0
		.amdhsa_exception_fp_ieee_div_zero 0
		.amdhsa_exception_fp_ieee_overflow 0
		.amdhsa_exception_fp_ieee_underflow 0
		.amdhsa_exception_fp_ieee_inexact 0
		.amdhsa_exception_int_div_zero 0
	.end_amdhsa_kernel
	.section	.text._ZL37rocblas_syrkx_herkx_restricted_kernelIl19rocblas_complex_numIdELi16ELi32ELi8ELi1ELi1ELb0ELc78ELc76EKPKS1_KPS1_EviT_PT9_S7_lS9_S7_lPT10_S7_li,"axG",@progbits,_ZL37rocblas_syrkx_herkx_restricted_kernelIl19rocblas_complex_numIdELi16ELi32ELi8ELi1ELi1ELb0ELc78ELc76EKPKS1_KPS1_EviT_PT9_S7_lS9_S7_lPT10_S7_li,comdat
.Lfunc_end1621:
	.size	_ZL37rocblas_syrkx_herkx_restricted_kernelIl19rocblas_complex_numIdELi16ELi32ELi8ELi1ELi1ELb0ELc78ELc76EKPKS1_KPS1_EviT_PT9_S7_lS9_S7_lPT10_S7_li, .Lfunc_end1621-_ZL37rocblas_syrkx_herkx_restricted_kernelIl19rocblas_complex_numIdELi16ELi32ELi8ELi1ELi1ELb0ELc78ELc76EKPKS1_KPS1_EviT_PT9_S7_lS9_S7_lPT10_S7_li
                                        ; -- End function
	.set _ZL37rocblas_syrkx_herkx_restricted_kernelIl19rocblas_complex_numIdELi16ELi32ELi8ELi1ELi1ELb0ELc78ELc76EKPKS1_KPS1_EviT_PT9_S7_lS9_S7_lPT10_S7_li.num_vgpr, 54
	.set _ZL37rocblas_syrkx_herkx_restricted_kernelIl19rocblas_complex_numIdELi16ELi32ELi8ELi1ELi1ELb0ELc78ELc76EKPKS1_KPS1_EviT_PT9_S7_lS9_S7_lPT10_S7_li.num_agpr, 0
	.set _ZL37rocblas_syrkx_herkx_restricted_kernelIl19rocblas_complex_numIdELi16ELi32ELi8ELi1ELi1ELb0ELc78ELc76EKPKS1_KPS1_EviT_PT9_S7_lS9_S7_lPT10_S7_li.numbered_sgpr, 22
	.set _ZL37rocblas_syrkx_herkx_restricted_kernelIl19rocblas_complex_numIdELi16ELi32ELi8ELi1ELi1ELb0ELc78ELc76EKPKS1_KPS1_EviT_PT9_S7_lS9_S7_lPT10_S7_li.num_named_barrier, 0
	.set _ZL37rocblas_syrkx_herkx_restricted_kernelIl19rocblas_complex_numIdELi16ELi32ELi8ELi1ELi1ELb0ELc78ELc76EKPKS1_KPS1_EviT_PT9_S7_lS9_S7_lPT10_S7_li.private_seg_size, 0
	.set _ZL37rocblas_syrkx_herkx_restricted_kernelIl19rocblas_complex_numIdELi16ELi32ELi8ELi1ELi1ELb0ELc78ELc76EKPKS1_KPS1_EviT_PT9_S7_lS9_S7_lPT10_S7_li.uses_vcc, 1
	.set _ZL37rocblas_syrkx_herkx_restricted_kernelIl19rocblas_complex_numIdELi16ELi32ELi8ELi1ELi1ELb0ELc78ELc76EKPKS1_KPS1_EviT_PT9_S7_lS9_S7_lPT10_S7_li.uses_flat_scratch, 0
	.set _ZL37rocblas_syrkx_herkx_restricted_kernelIl19rocblas_complex_numIdELi16ELi32ELi8ELi1ELi1ELb0ELc78ELc76EKPKS1_KPS1_EviT_PT9_S7_lS9_S7_lPT10_S7_li.has_dyn_sized_stack, 0
	.set _ZL37rocblas_syrkx_herkx_restricted_kernelIl19rocblas_complex_numIdELi16ELi32ELi8ELi1ELi1ELb0ELc78ELc76EKPKS1_KPS1_EviT_PT9_S7_lS9_S7_lPT10_S7_li.has_recursion, 0
	.set _ZL37rocblas_syrkx_herkx_restricted_kernelIl19rocblas_complex_numIdELi16ELi32ELi8ELi1ELi1ELb0ELc78ELc76EKPKS1_KPS1_EviT_PT9_S7_lS9_S7_lPT10_S7_li.has_indirect_call, 0
	.section	.AMDGPU.csdata,"",@progbits
; Kernel info:
; codeLenInByte = 2916
; TotalNumSgprs: 26
; NumVgprs: 54
; ScratchSize: 0
; MemoryBound: 0
; FloatMode: 240
; IeeeMode: 1
; LDSByteSize: 8192 bytes/workgroup (compile time only)
; SGPRBlocks: 8
; VGPRBlocks: 13
; NumSGPRsForWavesPerEU: 65
; NumVGPRsForWavesPerEU: 54
; Occupancy: 4
; WaveLimiterHint : 1
; COMPUTE_PGM_RSRC2:SCRATCH_EN: 0
; COMPUTE_PGM_RSRC2:USER_SGPR: 6
; COMPUTE_PGM_RSRC2:TRAP_HANDLER: 0
; COMPUTE_PGM_RSRC2:TGID_X_EN: 1
; COMPUTE_PGM_RSRC2:TGID_Y_EN: 1
; COMPUTE_PGM_RSRC2:TGID_Z_EN: 1
; COMPUTE_PGM_RSRC2:TIDIG_COMP_CNT: 1
	.section	.text._ZL37rocblas_syrkx_herkx_restricted_kernelIl19rocblas_complex_numIdELi16ELi32ELi8ELi1ELi1ELb0ELc84ELc85EKPKS1_KPS1_EviT_PT9_S7_lS9_S7_lPT10_S7_li,"axG",@progbits,_ZL37rocblas_syrkx_herkx_restricted_kernelIl19rocblas_complex_numIdELi16ELi32ELi8ELi1ELi1ELb0ELc84ELc85EKPKS1_KPS1_EviT_PT9_S7_lS9_S7_lPT10_S7_li,comdat
	.globl	_ZL37rocblas_syrkx_herkx_restricted_kernelIl19rocblas_complex_numIdELi16ELi32ELi8ELi1ELi1ELb0ELc84ELc85EKPKS1_KPS1_EviT_PT9_S7_lS9_S7_lPT10_S7_li ; -- Begin function _ZL37rocblas_syrkx_herkx_restricted_kernelIl19rocblas_complex_numIdELi16ELi32ELi8ELi1ELi1ELb0ELc84ELc85EKPKS1_KPS1_EviT_PT9_S7_lS9_S7_lPT10_S7_li
	.p2align	8
	.type	_ZL37rocblas_syrkx_herkx_restricted_kernelIl19rocblas_complex_numIdELi16ELi32ELi8ELi1ELi1ELb0ELc84ELc85EKPKS1_KPS1_EviT_PT9_S7_lS9_S7_lPT10_S7_li,@function
_ZL37rocblas_syrkx_herkx_restricted_kernelIl19rocblas_complex_numIdELi16ELi32ELi8ELi1ELi1ELb0ELc84ELc85EKPKS1_KPS1_EviT_PT9_S7_lS9_S7_lPT10_S7_li: ; @_ZL37rocblas_syrkx_herkx_restricted_kernelIl19rocblas_complex_numIdELi16ELi32ELi8ELi1ELi1ELb0ELc84ELc85EKPKS1_KPS1_EviT_PT9_S7_lS9_S7_lPT10_S7_li
; %bb.0:
	s_load_dwordx4 s[0:3], s[4:5], 0x40
	s_load_dwordx4 s[12:15], s[4:5], 0x8
	s_mov_b32 s9, 0
	s_lshl_b64 s[10:11], s[8:9], 3
	s_waitcnt lgkmcnt(0)
	s_add_u32 s0, s0, s10
	s_addc_u32 s1, s1, s11
	s_load_dwordx2 s[8:9], s[0:1], 0x0
	v_cmp_lt_i64_e64 s[0:1], s[12:13], 1
	s_lshl_b32 s6, s6, 5
	s_lshl_b32 s7, s7, 5
	s_and_b64 vcc, exec, s[0:1]
	s_cbranch_vccnz .LBB1622_3
; %bb.1:
	s_load_dwordx2 s[0:1], s[4:5], 0x18
	s_load_dwordx4 s[16:19], s[4:5], 0x28
	v_lshl_add_u32 v6, v1, 4, v0
	v_lshrrev_b32_e32 v8, 3, v6
	v_add_u32_e32 v4, s7, v8
	v_ashrrev_i32_e32 v5, 31, v4
	v_and_b32_e32 v2, 7, v0
	v_mov_b32_e32 v3, 0
	s_waitcnt lgkmcnt(0)
	v_mul_lo_u32 v7, s18, v5
	v_mul_lo_u32 v9, s19, v4
	v_mad_u64_u32 v[4:5], s[18:19], s18, v4, v[2:3]
	s_add_u32 s14, s14, s10
	v_lshlrev_b32_e32 v2, 4, v2
	v_add3_u32 v5, v9, v5, v7
	v_and_b32_e32 v9, 31, v6
	s_addc_u32 s15, s15, s11
	v_lshl_or_b32 v2, v8, 7, v2
	v_add_u32_e32 v8, s6, v9
	s_add_u32 s10, s16, s10
	v_lshrrev_b32_e32 v6, 5, v6
	v_mov_b32_e32 v7, v3
	v_lshlrev_b32_e32 v3, 4, v9
	v_add_u32_e32 v23, 0x1000, v2
	v_ashrrev_i32_e32 v2, 31, v8
	s_addc_u32 s11, s17, s11
	v_lshl_or_b32 v22, v6, 9, v3
	v_mul_lo_u32 v9, s0, v2
	v_mad_u64_u32 v[2:3], s[16:17], s0, v8, v[6:7]
	v_mul_lo_u32 v6, s1, v8
	s_load_dwordx2 s[14:15], s[14:15], 0x0
	v_lshlrev_b64 v[4:5], 4, v[4:5]
	s_load_dwordx2 s[10:11], s[10:11], 0x0
	v_add3_u32 v3, v6, v3, v9
	v_lshlrev_b64 v[2:3], 4, v[2:3]
	s_waitcnt lgkmcnt(0)
	v_mov_b32_e32 v6, s15
	v_add_co_u32_e32 v2, vcc, s14, v2
	v_addc_co_u32_e32 v3, vcc, v6, v3, vcc
	v_mov_b32_e32 v7, 0x1000
	v_mov_b32_e32 v6, s11
	v_add_co_u32_e32 v4, vcc, s10, v4
	v_lshl_add_u32 v25, v1, 7, v7
	v_addc_co_u32_e32 v5, vcc, v6, v5, vcc
	v_mov_b32_e32 v10, 0
	v_mov_b32_e32 v12, 0
	;; [unrolled: 1-line block ×8, first 2 shown]
	v_lshlrev_b32_e32 v24, 4, v0
	v_mov_b32_e32 v11, 0
	v_mov_b32_e32 v13, 0
	;; [unrolled: 1-line block ×8, first 2 shown]
	s_mov_b64 s[0:1], 0
.LBB1622_2:                             ; =>This Inner Loop Header: Depth=1
	flat_load_dwordx4 v[26:29], v[2:3]
	s_add_u32 s0, s0, 8
	v_add_co_u32_e32 v2, vcc, 0x80, v2
	s_addc_u32 s1, s1, 0
	v_addc_co_u32_e32 v3, vcc, 0, v3, vcc
	s_waitcnt vmcnt(0) lgkmcnt(0)
	ds_write_b128 v22, v[26:29]
	flat_load_dwordx4 v[26:29], v[4:5]
	v_add_co_u32_e32 v4, vcc, 0x80, v4
	v_addc_co_u32_e32 v5, vcc, 0, v5, vcc
	s_waitcnt vmcnt(0) lgkmcnt(0)
	ds_write_b128 v23, v[26:29]
	s_waitcnt lgkmcnt(0)
	s_barrier
	ds_read_b128 v[26:29], v25
	ds_read_b128 v[30:33], v25 offset:16
	ds_read_b128 v[34:37], v25 offset:32
	;; [unrolled: 1-line block ×3, first 2 shown]
	ds_read_b128 v[42:45], v24
	s_waitcnt lgkmcnt(0)
	v_mul_f64 v[46:47], v[28:29], v[44:45]
	v_mul_f64 v[48:49], v[26:27], v[44:45]
	v_fma_f64 v[46:47], v[26:27], v[42:43], -v[46:47]
	v_fma_f64 v[48:49], v[28:29], v[42:43], v[48:49]
	v_add_f64 v[46:47], v[14:15], v[46:47]
	v_add_f64 v[48:49], v[48:49], v[16:17]
	ds_read_b128 v[14:17], v24 offset:256
	s_waitcnt lgkmcnt(0)
	v_mul_f64 v[50:51], v[28:29], v[16:17]
	v_fma_f64 v[50:51], v[26:27], v[14:15], -v[50:51]
	v_mul_f64 v[26:27], v[26:27], v[16:17]
	v_fma_f64 v[26:27], v[28:29], v[14:15], v[26:27]
	v_add_f64 v[28:29], v[8:9], v[50:51]
	v_add_f64 v[26:27], v[26:27], v[6:7]
	ds_read_b128 v[6:9], v25 offset:2048
	s_waitcnt lgkmcnt(0)
	v_mul_f64 v[50:51], v[8:9], v[44:45]
	v_mul_f64 v[44:45], v[6:7], v[44:45]
	v_fma_f64 v[50:51], v[6:7], v[42:43], -v[50:51]
	v_fma_f64 v[42:43], v[8:9], v[42:43], v[44:45]
	v_add_f64 v[20:21], v[20:21], v[50:51]
	v_add_f64 v[18:19], v[42:43], v[18:19]
	v_mul_f64 v[42:43], v[8:9], v[16:17]
	v_fma_f64 v[42:43], v[6:7], v[14:15], -v[42:43]
	v_mul_f64 v[6:7], v[6:7], v[16:17]
	v_add_f64 v[42:43], v[12:13], v[42:43]
	v_fma_f64 v[6:7], v[8:9], v[14:15], v[6:7]
	v_add_f64 v[44:45], v[6:7], v[10:11]
	ds_read_b128 v[6:9], v24 offset:512
	s_waitcnt lgkmcnt(0)
	v_mul_f64 v[10:11], v[32:33], v[8:9]
	v_mul_f64 v[12:13], v[30:31], v[8:9]
	v_fma_f64 v[10:11], v[30:31], v[6:7], -v[10:11]
	v_fma_f64 v[12:13], v[32:33], v[6:7], v[12:13]
	v_add_f64 v[46:47], v[46:47], v[10:11]
	v_add_f64 v[48:49], v[12:13], v[48:49]
	ds_read_b128 v[10:13], v24 offset:768
	s_waitcnt lgkmcnt(0)
	v_mul_f64 v[14:15], v[32:33], v[12:13]
	v_mul_f64 v[16:17], v[30:31], v[12:13]
	v_fma_f64 v[14:15], v[30:31], v[10:11], -v[14:15]
	v_fma_f64 v[16:17], v[32:33], v[10:11], v[16:17]
	v_add_f64 v[28:29], v[28:29], v[14:15]
	v_add_f64 v[26:27], v[16:17], v[26:27]
	ds_read_b128 v[14:17], v25 offset:2064
	s_waitcnt lgkmcnt(0)
	v_mul_f64 v[30:31], v[16:17], v[8:9]
	v_mul_f64 v[8:9], v[14:15], v[8:9]
	v_fma_f64 v[30:31], v[14:15], v[6:7], -v[30:31]
	v_fma_f64 v[6:7], v[16:17], v[6:7], v[8:9]
	v_mul_f64 v[8:9], v[14:15], v[12:13]
	v_add_f64 v[20:21], v[20:21], v[30:31]
	v_add_f64 v[18:19], v[6:7], v[18:19]
	v_mul_f64 v[6:7], v[16:17], v[12:13]
	v_fma_f64 v[8:9], v[16:17], v[10:11], v[8:9]
	v_fma_f64 v[6:7], v[14:15], v[10:11], -v[6:7]
	v_add_f64 v[32:33], v[8:9], v[44:45]
	v_add_f64 v[30:31], v[42:43], v[6:7]
	ds_read_b128 v[6:9], v24 offset:1024
	s_waitcnt lgkmcnt(0)
	v_mul_f64 v[10:11], v[36:37], v[8:9]
	v_mul_f64 v[12:13], v[34:35], v[8:9]
	v_fma_f64 v[10:11], v[34:35], v[6:7], -v[10:11]
	v_fma_f64 v[12:13], v[36:37], v[6:7], v[12:13]
	v_add_f64 v[42:43], v[46:47], v[10:11]
	v_add_f64 v[44:45], v[12:13], v[48:49]
	ds_read_b128 v[10:13], v24 offset:1280
	s_waitcnt lgkmcnt(0)
	v_mul_f64 v[14:15], v[36:37], v[12:13]
	v_mul_f64 v[16:17], v[34:35], v[12:13]
	v_fma_f64 v[14:15], v[34:35], v[10:11], -v[14:15]
	v_fma_f64 v[16:17], v[36:37], v[10:11], v[16:17]
	v_add_f64 v[28:29], v[28:29], v[14:15]
	v_add_f64 v[26:27], v[16:17], v[26:27]
	ds_read_b128 v[14:17], v25 offset:2080
	s_waitcnt lgkmcnt(0)
	v_mul_f64 v[34:35], v[16:17], v[8:9]
	v_mul_f64 v[8:9], v[14:15], v[8:9]
	v_fma_f64 v[34:35], v[14:15], v[6:7], -v[34:35]
	v_fma_f64 v[6:7], v[16:17], v[6:7], v[8:9]
	v_mul_f64 v[8:9], v[14:15], v[12:13]
	v_add_f64 v[20:21], v[20:21], v[34:35]
	v_add_f64 v[18:19], v[6:7], v[18:19]
	v_mul_f64 v[6:7], v[16:17], v[12:13]
	v_fma_f64 v[8:9], v[16:17], v[10:11], v[8:9]
	v_fma_f64 v[6:7], v[14:15], v[10:11], -v[6:7]
	v_add_f64 v[32:33], v[8:9], v[32:33]
	;; [unrolled: 30-line block ×3, first 2 shown]
	v_add_f64 v[30:31], v[30:31], v[6:7]
	ds_read_b128 v[6:9], v25 offset:64
	ds_read_b128 v[10:13], v24 offset:2048
	s_waitcnt lgkmcnt(0)
	v_mul_f64 v[14:15], v[8:9], v[12:13]
	v_mul_f64 v[16:17], v[6:7], v[12:13]
	v_fma_f64 v[14:15], v[6:7], v[10:11], -v[14:15]
	v_fma_f64 v[16:17], v[8:9], v[10:11], v[16:17]
	v_add_f64 v[34:35], v[34:35], v[14:15]
	v_add_f64 v[36:37], v[16:17], v[36:37]
	ds_read_b128 v[14:17], v24 offset:2304
	s_waitcnt lgkmcnt(0)
	v_mul_f64 v[38:39], v[8:9], v[16:17]
	v_fma_f64 v[38:39], v[6:7], v[14:15], -v[38:39]
	v_mul_f64 v[6:7], v[6:7], v[16:17]
	v_add_f64 v[28:29], v[28:29], v[38:39]
	v_fma_f64 v[6:7], v[8:9], v[14:15], v[6:7]
	v_add_f64 v[26:27], v[6:7], v[26:27]
	ds_read_b128 v[6:9], v25 offset:2112
	s_waitcnt lgkmcnt(0)
	v_mul_f64 v[38:39], v[8:9], v[12:13]
	v_mul_f64 v[12:13], v[6:7], v[12:13]
	v_fma_f64 v[38:39], v[6:7], v[10:11], -v[38:39]
	v_fma_f64 v[10:11], v[8:9], v[10:11], v[12:13]
	v_add_f64 v[20:21], v[20:21], v[38:39]
	v_add_f64 v[18:19], v[10:11], v[18:19]
	v_mul_f64 v[10:11], v[8:9], v[16:17]
	v_fma_f64 v[10:11], v[6:7], v[14:15], -v[10:11]
	v_mul_f64 v[6:7], v[6:7], v[16:17]
	v_add_f64 v[30:31], v[30:31], v[10:11]
	v_fma_f64 v[6:7], v[8:9], v[14:15], v[6:7]
	v_add_f64 v[32:33], v[6:7], v[32:33]
	ds_read_b128 v[6:9], v25 offset:80
	ds_read_b128 v[10:13], v24 offset:2560
	s_waitcnt lgkmcnt(0)
	v_mul_f64 v[14:15], v[8:9], v[12:13]
	v_mul_f64 v[16:17], v[6:7], v[12:13]
	v_fma_f64 v[14:15], v[6:7], v[10:11], -v[14:15]
	v_fma_f64 v[16:17], v[8:9], v[10:11], v[16:17]
	v_add_f64 v[34:35], v[34:35], v[14:15]
	v_add_f64 v[36:37], v[16:17], v[36:37]
	ds_read_b128 v[14:17], v24 offset:2816
	s_waitcnt lgkmcnt(0)
	v_mul_f64 v[38:39], v[8:9], v[16:17]
	v_fma_f64 v[38:39], v[6:7], v[14:15], -v[38:39]
	v_mul_f64 v[6:7], v[6:7], v[16:17]
	v_add_f64 v[28:29], v[28:29], v[38:39]
	v_fma_f64 v[6:7], v[8:9], v[14:15], v[6:7]
	v_add_f64 v[26:27], v[6:7], v[26:27]
	ds_read_b128 v[6:9], v25 offset:2128
	s_waitcnt lgkmcnt(0)
	v_mul_f64 v[38:39], v[8:9], v[12:13]
	v_mul_f64 v[12:13], v[6:7], v[12:13]
	v_fma_f64 v[38:39], v[6:7], v[10:11], -v[38:39]
	v_fma_f64 v[10:11], v[8:9], v[10:11], v[12:13]
	v_add_f64 v[20:21], v[20:21], v[38:39]
	v_add_f64 v[18:19], v[10:11], v[18:19]
	v_mul_f64 v[10:11], v[8:9], v[16:17]
	v_fma_f64 v[10:11], v[6:7], v[14:15], -v[10:11]
	v_mul_f64 v[6:7], v[6:7], v[16:17]
	v_add_f64 v[30:31], v[30:31], v[10:11]
	v_fma_f64 v[6:7], v[8:9], v[14:15], v[6:7]
	;; [unrolled: 31-line block ×3, first 2 shown]
	v_add_f64 v[44:45], v[6:7], v[32:33]
	ds_read_b128 v[6:9], v25 offset:112
	ds_read_b128 v[10:13], v24 offset:3584
	;; [unrolled: 1-line block ×3, first 2 shown]
	s_waitcnt lgkmcnt(1)
	v_mul_f64 v[14:15], v[8:9], v[12:13]
	s_waitcnt lgkmcnt(0)
	v_mul_f64 v[30:31], v[8:9], v[28:29]
	v_mul_f64 v[16:17], v[6:7], v[12:13]
	v_fma_f64 v[14:15], v[6:7], v[10:11], -v[14:15]
	v_fma_f64 v[30:31], v[6:7], v[26:27], -v[30:31]
	v_mul_f64 v[6:7], v[6:7], v[28:29]
	v_fma_f64 v[16:17], v[8:9], v[10:11], v[16:17]
	v_add_f64 v[14:15], v[34:35], v[14:15]
	v_fma_f64 v[6:7], v[8:9], v[26:27], v[6:7]
	v_add_f64 v[8:9], v[38:39], v[30:31]
	ds_read_b128 v[30:33], v25 offset:2160
	v_add_f64 v[16:17], v[16:17], v[36:37]
	s_waitcnt lgkmcnt(0)
	s_barrier
	v_mul_f64 v[34:35], v[32:33], v[12:13]
	v_mul_f64 v[12:13], v[30:31], v[12:13]
	v_add_f64 v[6:7], v[6:7], v[40:41]
	v_fma_f64 v[34:35], v[30:31], v[10:11], -v[34:35]
	v_fma_f64 v[10:11], v[32:33], v[10:11], v[12:13]
	v_mul_f64 v[12:13], v[30:31], v[28:29]
	v_add_f64 v[20:21], v[20:21], v[34:35]
	v_add_f64 v[18:19], v[10:11], v[18:19]
	v_mul_f64 v[10:11], v[32:33], v[28:29]
	v_fma_f64 v[10:11], v[30:31], v[26:27], -v[10:11]
	v_fma_f64 v[26:27], v[32:33], v[26:27], v[12:13]
	v_add_f64 v[12:13], v[42:43], v[10:11]
	v_add_f64 v[10:11], v[26:27], v[44:45]
	v_mov_b32_e32 v27, s1
	v_mov_b32_e32 v26, s0
	v_cmp_le_u64_e32 vcc, s[12:13], v[26:27]
	s_cbranch_vccz .LBB1622_2
	s_branch .LBB1622_4
.LBB1622_3:
	v_mov_b32_e32 v14, 0
	v_mov_b32_e32 v16, 0
	;; [unrolled: 1-line block ×16, first 2 shown]
.LBB1622_4:
	v_add_u32_e32 v4, s7, v1
	v_ashrrev_i32_e32 v1, 31, v4
	v_mul_lo_u32 v3, s2, v1
	v_mul_lo_u32 v5, s3, v4
	v_mad_u64_u32 v[1:2], s[0:1], s2, v4, 0
	s_load_dword s10, s[4:5], 0x0
	v_add_u32_e32 v0, s6, v0
	v_add3_u32 v2, v2, v3, v5
	v_lshlrev_b64 v[1:2], 4, v[1:2]
	s_waitcnt lgkmcnt(0)
	v_mov_b32_e32 v3, s9
	v_add_co_u32_e64 v5, s[0:1], s8, v1
	v_addc_co_u32_e64 v22, s[0:1], v3, v2, s[0:1]
	v_cmp_gt_i32_e32 vcc, s10, v4
	v_cmp_le_i32_e64 s[0:1], v0, v4
	s_and_b64 s[0:1], vcc, s[0:1]
	s_and_saveexec_b64 s[4:5], s[0:1]
	s_cbranch_execz .LBB1622_6
; %bb.5:
	v_ashrrev_i32_e32 v1, 31, v0
	v_lshlrev_b64 v[1:2], 4, v[0:1]
	v_add_co_u32_e64 v1, s[0:1], v5, v1
	v_addc_co_u32_e64 v2, s[0:1], v22, v2, s[0:1]
	flat_load_dwordx4 v[23:26], v[1:2]
	s_waitcnt vmcnt(0) lgkmcnt(0)
	v_add_f64 v[14:15], v[14:15], v[23:24]
	v_add_f64 v[16:17], v[16:17], v[25:26]
	flat_store_dwordx4 v[1:2], v[14:17]
.LBB1622_6:
	s_or_b64 exec, exec, s[4:5]
	v_add_u32_e32 v2, 16, v0
	v_cmp_le_i32_e64 s[0:1], v2, v4
	s_and_b64 s[4:5], vcc, s[0:1]
	s_and_saveexec_b64 s[0:1], s[4:5]
	s_cbranch_execz .LBB1622_8
; %bb.7:
	v_ashrrev_i32_e32 v3, 31, v2
	v_lshlrev_b64 v[14:15], 4, v[2:3]
	v_add_co_u32_e32 v23, vcc, v5, v14
	v_addc_co_u32_e32 v24, vcc, v22, v15, vcc
	flat_load_dwordx4 v[14:17], v[23:24]
	s_waitcnt vmcnt(0) lgkmcnt(0)
	v_add_f64 v[14:15], v[8:9], v[14:15]
	v_add_f64 v[16:17], v[6:7], v[16:17]
	flat_store_dwordx4 v[23:24], v[14:17]
.LBB1622_8:
	s_or_b64 exec, exec, s[0:1]
	v_add_u32_e32 v3, 16, v4
	v_ashrrev_i32_e32 v1, 31, v3
	v_mul_lo_u32 v1, s2, v1
	v_mul_lo_u32 v6, s3, v3
	v_mad_u64_u32 v[4:5], s[0:1], s2, v3, 0
	v_cmp_gt_i32_e32 vcc, s10, v3
	v_add3_u32 v5, v5, v1, v6
	v_lshlrev_b64 v[4:5], 4, v[4:5]
	v_mov_b32_e32 v1, s9
	v_add_co_u32_e64 v4, s[0:1], s8, v4
	v_addc_co_u32_e64 v5, s[0:1], v1, v5, s[0:1]
	v_cmp_le_i32_e64 s[0:1], v0, v3
	s_and_b64 s[0:1], vcc, s[0:1]
	s_and_saveexec_b64 s[2:3], s[0:1]
	s_cbranch_execz .LBB1622_10
; %bb.9:
	v_ashrrev_i32_e32 v1, 31, v0
	v_lshlrev_b64 v[0:1], 4, v[0:1]
	v_add_co_u32_e64 v0, s[0:1], v4, v0
	v_addc_co_u32_e64 v1, s[0:1], v5, v1, s[0:1]
	flat_load_dwordx4 v[6:9], v[0:1]
	s_waitcnt vmcnt(0) lgkmcnt(0)
	v_add_f64 v[6:7], v[20:21], v[6:7]
	v_add_f64 v[8:9], v[18:19], v[8:9]
	flat_store_dwordx4 v[0:1], v[6:9]
.LBB1622_10:
	s_or_b64 exec, exec, s[2:3]
	v_cmp_le_i32_e64 s[0:1], v2, v3
	s_and_b64 s[0:1], vcc, s[0:1]
	s_and_saveexec_b64 s[2:3], s[0:1]
	s_cbranch_execz .LBB1622_12
; %bb.11:
	v_ashrrev_i32_e32 v3, 31, v2
	v_lshlrev_b64 v[0:1], 4, v[2:3]
	v_add_co_u32_e32 v4, vcc, v4, v0
	v_addc_co_u32_e32 v5, vcc, v5, v1, vcc
	flat_load_dwordx4 v[0:3], v[4:5]
	s_waitcnt vmcnt(0) lgkmcnt(0)
	v_add_f64 v[0:1], v[12:13], v[0:1]
	v_add_f64 v[2:3], v[10:11], v[2:3]
	flat_store_dwordx4 v[4:5], v[0:3]
.LBB1622_12:
	s_endpgm
	.section	.rodata,"a",@progbits
	.p2align	6, 0x0
	.amdhsa_kernel _ZL37rocblas_syrkx_herkx_restricted_kernelIl19rocblas_complex_numIdELi16ELi32ELi8ELi1ELi1ELb0ELc84ELc85EKPKS1_KPS1_EviT_PT9_S7_lS9_S7_lPT10_S7_li
		.amdhsa_group_segment_fixed_size 8192
		.amdhsa_private_segment_fixed_size 0
		.amdhsa_kernarg_size 92
		.amdhsa_user_sgpr_count 6
		.amdhsa_user_sgpr_private_segment_buffer 1
		.amdhsa_user_sgpr_dispatch_ptr 0
		.amdhsa_user_sgpr_queue_ptr 0
		.amdhsa_user_sgpr_kernarg_segment_ptr 1
		.amdhsa_user_sgpr_dispatch_id 0
		.amdhsa_user_sgpr_flat_scratch_init 0
		.amdhsa_user_sgpr_private_segment_size 0
		.amdhsa_uses_dynamic_stack 0
		.amdhsa_system_sgpr_private_segment_wavefront_offset 0
		.amdhsa_system_sgpr_workgroup_id_x 1
		.amdhsa_system_sgpr_workgroup_id_y 1
		.amdhsa_system_sgpr_workgroup_id_z 1
		.amdhsa_system_sgpr_workgroup_info 0
		.amdhsa_system_vgpr_workitem_id 1
		.amdhsa_next_free_vgpr 52
		.amdhsa_next_free_sgpr 61
		.amdhsa_reserve_vcc 1
		.amdhsa_reserve_flat_scratch 0
		.amdhsa_float_round_mode_32 0
		.amdhsa_float_round_mode_16_64 0
		.amdhsa_float_denorm_mode_32 3
		.amdhsa_float_denorm_mode_16_64 3
		.amdhsa_dx10_clamp 1
		.amdhsa_ieee_mode 1
		.amdhsa_fp16_overflow 0
		.amdhsa_exception_fp_ieee_invalid_op 0
		.amdhsa_exception_fp_denorm_src 0
		.amdhsa_exception_fp_ieee_div_zero 0
		.amdhsa_exception_fp_ieee_overflow 0
		.amdhsa_exception_fp_ieee_underflow 0
		.amdhsa_exception_fp_ieee_inexact 0
		.amdhsa_exception_int_div_zero 0
	.end_amdhsa_kernel
	.section	.text._ZL37rocblas_syrkx_herkx_restricted_kernelIl19rocblas_complex_numIdELi16ELi32ELi8ELi1ELi1ELb0ELc84ELc85EKPKS1_KPS1_EviT_PT9_S7_lS9_S7_lPT10_S7_li,"axG",@progbits,_ZL37rocblas_syrkx_herkx_restricted_kernelIl19rocblas_complex_numIdELi16ELi32ELi8ELi1ELi1ELb0ELc84ELc85EKPKS1_KPS1_EviT_PT9_S7_lS9_S7_lPT10_S7_li,comdat
.Lfunc_end1622:
	.size	_ZL37rocblas_syrkx_herkx_restricted_kernelIl19rocblas_complex_numIdELi16ELi32ELi8ELi1ELi1ELb0ELc84ELc85EKPKS1_KPS1_EviT_PT9_S7_lS9_S7_lPT10_S7_li, .Lfunc_end1622-_ZL37rocblas_syrkx_herkx_restricted_kernelIl19rocblas_complex_numIdELi16ELi32ELi8ELi1ELi1ELb0ELc84ELc85EKPKS1_KPS1_EviT_PT9_S7_lS9_S7_lPT10_S7_li
                                        ; -- End function
	.set _ZL37rocblas_syrkx_herkx_restricted_kernelIl19rocblas_complex_numIdELi16ELi32ELi8ELi1ELi1ELb0ELc84ELc85EKPKS1_KPS1_EviT_PT9_S7_lS9_S7_lPT10_S7_li.num_vgpr, 52
	.set _ZL37rocblas_syrkx_herkx_restricted_kernelIl19rocblas_complex_numIdELi16ELi32ELi8ELi1ELi1ELb0ELc84ELc85EKPKS1_KPS1_EviT_PT9_S7_lS9_S7_lPT10_S7_li.num_agpr, 0
	.set _ZL37rocblas_syrkx_herkx_restricted_kernelIl19rocblas_complex_numIdELi16ELi32ELi8ELi1ELi1ELb0ELc84ELc85EKPKS1_KPS1_EviT_PT9_S7_lS9_S7_lPT10_S7_li.numbered_sgpr, 20
	.set _ZL37rocblas_syrkx_herkx_restricted_kernelIl19rocblas_complex_numIdELi16ELi32ELi8ELi1ELi1ELb0ELc84ELc85EKPKS1_KPS1_EviT_PT9_S7_lS9_S7_lPT10_S7_li.num_named_barrier, 0
	.set _ZL37rocblas_syrkx_herkx_restricted_kernelIl19rocblas_complex_numIdELi16ELi32ELi8ELi1ELi1ELb0ELc84ELc85EKPKS1_KPS1_EviT_PT9_S7_lS9_S7_lPT10_S7_li.private_seg_size, 0
	.set _ZL37rocblas_syrkx_herkx_restricted_kernelIl19rocblas_complex_numIdELi16ELi32ELi8ELi1ELi1ELb0ELc84ELc85EKPKS1_KPS1_EviT_PT9_S7_lS9_S7_lPT10_S7_li.uses_vcc, 1
	.set _ZL37rocblas_syrkx_herkx_restricted_kernelIl19rocblas_complex_numIdELi16ELi32ELi8ELi1ELi1ELb0ELc84ELc85EKPKS1_KPS1_EviT_PT9_S7_lS9_S7_lPT10_S7_li.uses_flat_scratch, 0
	.set _ZL37rocblas_syrkx_herkx_restricted_kernelIl19rocblas_complex_numIdELi16ELi32ELi8ELi1ELi1ELb0ELc84ELc85EKPKS1_KPS1_EviT_PT9_S7_lS9_S7_lPT10_S7_li.has_dyn_sized_stack, 0
	.set _ZL37rocblas_syrkx_herkx_restricted_kernelIl19rocblas_complex_numIdELi16ELi32ELi8ELi1ELi1ELb0ELc84ELc85EKPKS1_KPS1_EviT_PT9_S7_lS9_S7_lPT10_S7_li.has_recursion, 0
	.set _ZL37rocblas_syrkx_herkx_restricted_kernelIl19rocblas_complex_numIdELi16ELi32ELi8ELi1ELi1ELb0ELc84ELc85EKPKS1_KPS1_EviT_PT9_S7_lS9_S7_lPT10_S7_li.has_indirect_call, 0
	.section	.AMDGPU.csdata,"",@progbits
; Kernel info:
; codeLenInByte = 2952
; TotalNumSgprs: 24
; NumVgprs: 52
; ScratchSize: 0
; MemoryBound: 0
; FloatMode: 240
; IeeeMode: 1
; LDSByteSize: 8192 bytes/workgroup (compile time only)
; SGPRBlocks: 8
; VGPRBlocks: 12
; NumSGPRsForWavesPerEU: 65
; NumVGPRsForWavesPerEU: 52
; Occupancy: 4
; WaveLimiterHint : 1
; COMPUTE_PGM_RSRC2:SCRATCH_EN: 0
; COMPUTE_PGM_RSRC2:USER_SGPR: 6
; COMPUTE_PGM_RSRC2:TRAP_HANDLER: 0
; COMPUTE_PGM_RSRC2:TGID_X_EN: 1
; COMPUTE_PGM_RSRC2:TGID_Y_EN: 1
; COMPUTE_PGM_RSRC2:TGID_Z_EN: 1
; COMPUTE_PGM_RSRC2:TIDIG_COMP_CNT: 1
	.section	.text._ZL37rocblas_syrkx_herkx_restricted_kernelIl19rocblas_complex_numIdELi16ELi32ELi8ELi1ELi1ELb0ELc67ELc85EKPKS1_KPS1_EviT_PT9_S7_lS9_S7_lPT10_S7_li,"axG",@progbits,_ZL37rocblas_syrkx_herkx_restricted_kernelIl19rocblas_complex_numIdELi16ELi32ELi8ELi1ELi1ELb0ELc67ELc85EKPKS1_KPS1_EviT_PT9_S7_lS9_S7_lPT10_S7_li,comdat
	.globl	_ZL37rocblas_syrkx_herkx_restricted_kernelIl19rocblas_complex_numIdELi16ELi32ELi8ELi1ELi1ELb0ELc67ELc85EKPKS1_KPS1_EviT_PT9_S7_lS9_S7_lPT10_S7_li ; -- Begin function _ZL37rocblas_syrkx_herkx_restricted_kernelIl19rocblas_complex_numIdELi16ELi32ELi8ELi1ELi1ELb0ELc67ELc85EKPKS1_KPS1_EviT_PT9_S7_lS9_S7_lPT10_S7_li
	.p2align	8
	.type	_ZL37rocblas_syrkx_herkx_restricted_kernelIl19rocblas_complex_numIdELi16ELi32ELi8ELi1ELi1ELb0ELc67ELc85EKPKS1_KPS1_EviT_PT9_S7_lS9_S7_lPT10_S7_li,@function
_ZL37rocblas_syrkx_herkx_restricted_kernelIl19rocblas_complex_numIdELi16ELi32ELi8ELi1ELi1ELb0ELc67ELc85EKPKS1_KPS1_EviT_PT9_S7_lS9_S7_lPT10_S7_li: ; @_ZL37rocblas_syrkx_herkx_restricted_kernelIl19rocblas_complex_numIdELi16ELi32ELi8ELi1ELi1ELb0ELc67ELc85EKPKS1_KPS1_EviT_PT9_S7_lS9_S7_lPT10_S7_li
; %bb.0:
	s_load_dwordx4 s[0:3], s[4:5], 0x40
	s_load_dwordx4 s[12:15], s[4:5], 0x8
	s_mov_b32 s9, 0
	s_lshl_b64 s[10:11], s[8:9], 3
	s_waitcnt lgkmcnt(0)
	s_add_u32 s0, s0, s10
	s_addc_u32 s1, s1, s11
	s_load_dwordx2 s[8:9], s[0:1], 0x0
	v_cmp_lt_i64_e64 s[0:1], s[12:13], 1
	s_lshl_b32 s6, s6, 5
	s_lshl_b32 s7, s7, 5
	s_and_b64 vcc, exec, s[0:1]
	s_cbranch_vccnz .LBB1623_3
; %bb.1:
	s_load_dwordx2 s[0:1], s[4:5], 0x18
	s_load_dwordx4 s[16:19], s[4:5], 0x28
	v_lshl_add_u32 v6, v1, 4, v0
	v_lshrrev_b32_e32 v8, 3, v6
	v_add_u32_e32 v4, s7, v8
	v_ashrrev_i32_e32 v5, 31, v4
	v_and_b32_e32 v2, 7, v0
	v_mov_b32_e32 v3, 0
	s_waitcnt lgkmcnt(0)
	v_mul_lo_u32 v7, s18, v5
	v_mul_lo_u32 v9, s19, v4
	v_mad_u64_u32 v[4:5], s[18:19], s18, v4, v[2:3]
	s_add_u32 s14, s14, s10
	v_lshlrev_b32_e32 v2, 4, v2
	v_add3_u32 v5, v9, v5, v7
	v_and_b32_e32 v9, 31, v6
	s_addc_u32 s15, s15, s11
	v_lshl_or_b32 v2, v8, 7, v2
	v_add_u32_e32 v8, s6, v9
	s_add_u32 s10, s16, s10
	v_lshrrev_b32_e32 v6, 5, v6
	v_mov_b32_e32 v7, v3
	v_lshlrev_b32_e32 v3, 4, v9
	v_add_u32_e32 v23, 0x1000, v2
	v_ashrrev_i32_e32 v2, 31, v8
	s_addc_u32 s11, s17, s11
	v_lshl_or_b32 v22, v6, 9, v3
	v_mul_lo_u32 v9, s0, v2
	v_mad_u64_u32 v[2:3], s[16:17], s0, v8, v[6:7]
	v_mul_lo_u32 v6, s1, v8
	s_load_dwordx2 s[14:15], s[14:15], 0x0
	v_lshlrev_b64 v[4:5], 4, v[4:5]
	s_load_dwordx2 s[10:11], s[10:11], 0x0
	v_add3_u32 v3, v6, v3, v9
	v_lshlrev_b64 v[2:3], 4, v[2:3]
	s_waitcnt lgkmcnt(0)
	v_mov_b32_e32 v6, s15
	v_add_co_u32_e32 v2, vcc, s14, v2
	v_addc_co_u32_e32 v3, vcc, v6, v3, vcc
	v_mov_b32_e32 v7, 0x1000
	v_mov_b32_e32 v6, s11
	v_add_co_u32_e32 v4, vcc, s10, v4
	v_lshl_add_u32 v25, v1, 7, v7
	v_addc_co_u32_e32 v5, vcc, v6, v5, vcc
	v_mov_b32_e32 v10, 0
	v_mov_b32_e32 v12, 0
	;; [unrolled: 1-line block ×8, first 2 shown]
	v_lshlrev_b32_e32 v24, 4, v0
	v_mov_b32_e32 v11, 0
	v_mov_b32_e32 v13, 0
	;; [unrolled: 1-line block ×8, first 2 shown]
	s_mov_b64 s[0:1], 0
.LBB1623_2:                             ; =>This Inner Loop Header: Depth=1
	flat_load_dwordx4 v[26:29], v[2:3]
	s_add_u32 s0, s0, 8
	v_add_co_u32_e32 v2, vcc, 0x80, v2
	s_addc_u32 s1, s1, 0
	v_addc_co_u32_e32 v3, vcc, 0, v3, vcc
	s_waitcnt vmcnt(0) lgkmcnt(0)
	ds_write_b128 v22, v[26:29]
	flat_load_dwordx4 v[26:29], v[4:5]
	v_add_co_u32_e32 v4, vcc, 0x80, v4
	v_addc_co_u32_e32 v5, vcc, 0, v5, vcc
	s_waitcnt vmcnt(0) lgkmcnt(0)
	ds_write_b128 v23, v[26:29]
	s_waitcnt lgkmcnt(0)
	s_barrier
	ds_read_b128 v[26:29], v25
	ds_read_b128 v[30:33], v25 offset:16
	ds_read_b128 v[34:37], v25 offset:32
	;; [unrolled: 1-line block ×3, first 2 shown]
	ds_read_b128 v[42:45], v24
	s_waitcnt lgkmcnt(0)
	v_mul_f64 v[46:47], v[28:29], v[44:45]
	v_mul_f64 v[48:49], v[26:27], v[44:45]
	v_fma_f64 v[46:47], v[26:27], v[42:43], -v[46:47]
	v_fma_f64 v[48:49], v[28:29], v[42:43], v[48:49]
	v_add_f64 v[46:47], v[14:15], v[46:47]
	v_add_f64 v[48:49], v[48:49], v[16:17]
	ds_read_b128 v[14:17], v24 offset:256
	s_waitcnt lgkmcnt(0)
	v_mul_f64 v[50:51], v[28:29], v[16:17]
	v_fma_f64 v[50:51], v[26:27], v[14:15], -v[50:51]
	v_mul_f64 v[26:27], v[26:27], v[16:17]
	v_fma_f64 v[26:27], v[28:29], v[14:15], v[26:27]
	v_add_f64 v[28:29], v[8:9], v[50:51]
	v_add_f64 v[26:27], v[26:27], v[6:7]
	ds_read_b128 v[6:9], v25 offset:2048
	s_waitcnt lgkmcnt(0)
	v_mul_f64 v[50:51], v[8:9], v[44:45]
	v_mul_f64 v[44:45], v[6:7], v[44:45]
	v_fma_f64 v[50:51], v[6:7], v[42:43], -v[50:51]
	v_fma_f64 v[42:43], v[8:9], v[42:43], v[44:45]
	v_add_f64 v[20:21], v[20:21], v[50:51]
	v_add_f64 v[18:19], v[42:43], v[18:19]
	v_mul_f64 v[42:43], v[8:9], v[16:17]
	v_fma_f64 v[42:43], v[6:7], v[14:15], -v[42:43]
	v_mul_f64 v[6:7], v[6:7], v[16:17]
	v_add_f64 v[42:43], v[12:13], v[42:43]
	v_fma_f64 v[6:7], v[8:9], v[14:15], v[6:7]
	v_add_f64 v[44:45], v[6:7], v[10:11]
	ds_read_b128 v[6:9], v24 offset:512
	s_waitcnt lgkmcnt(0)
	v_mul_f64 v[10:11], v[32:33], v[8:9]
	v_mul_f64 v[12:13], v[30:31], v[8:9]
	v_fma_f64 v[10:11], v[30:31], v[6:7], -v[10:11]
	v_fma_f64 v[12:13], v[32:33], v[6:7], v[12:13]
	v_add_f64 v[46:47], v[46:47], v[10:11]
	v_add_f64 v[48:49], v[12:13], v[48:49]
	ds_read_b128 v[10:13], v24 offset:768
	s_waitcnt lgkmcnt(0)
	v_mul_f64 v[14:15], v[32:33], v[12:13]
	v_mul_f64 v[16:17], v[30:31], v[12:13]
	v_fma_f64 v[14:15], v[30:31], v[10:11], -v[14:15]
	v_fma_f64 v[16:17], v[32:33], v[10:11], v[16:17]
	v_add_f64 v[28:29], v[28:29], v[14:15]
	v_add_f64 v[26:27], v[16:17], v[26:27]
	ds_read_b128 v[14:17], v25 offset:2064
	s_waitcnt lgkmcnt(0)
	v_mul_f64 v[30:31], v[16:17], v[8:9]
	v_mul_f64 v[8:9], v[14:15], v[8:9]
	v_fma_f64 v[30:31], v[14:15], v[6:7], -v[30:31]
	v_fma_f64 v[6:7], v[16:17], v[6:7], v[8:9]
	v_mul_f64 v[8:9], v[14:15], v[12:13]
	v_add_f64 v[20:21], v[20:21], v[30:31]
	v_add_f64 v[18:19], v[6:7], v[18:19]
	v_mul_f64 v[6:7], v[16:17], v[12:13]
	v_fma_f64 v[8:9], v[16:17], v[10:11], v[8:9]
	v_fma_f64 v[6:7], v[14:15], v[10:11], -v[6:7]
	v_add_f64 v[32:33], v[8:9], v[44:45]
	v_add_f64 v[30:31], v[42:43], v[6:7]
	ds_read_b128 v[6:9], v24 offset:1024
	s_waitcnt lgkmcnt(0)
	v_mul_f64 v[10:11], v[36:37], v[8:9]
	v_mul_f64 v[12:13], v[34:35], v[8:9]
	v_fma_f64 v[10:11], v[34:35], v[6:7], -v[10:11]
	v_fma_f64 v[12:13], v[36:37], v[6:7], v[12:13]
	v_add_f64 v[42:43], v[46:47], v[10:11]
	v_add_f64 v[44:45], v[12:13], v[48:49]
	ds_read_b128 v[10:13], v24 offset:1280
	s_waitcnt lgkmcnt(0)
	v_mul_f64 v[14:15], v[36:37], v[12:13]
	v_mul_f64 v[16:17], v[34:35], v[12:13]
	v_fma_f64 v[14:15], v[34:35], v[10:11], -v[14:15]
	v_fma_f64 v[16:17], v[36:37], v[10:11], v[16:17]
	v_add_f64 v[28:29], v[28:29], v[14:15]
	v_add_f64 v[26:27], v[16:17], v[26:27]
	ds_read_b128 v[14:17], v25 offset:2080
	s_waitcnt lgkmcnt(0)
	v_mul_f64 v[34:35], v[16:17], v[8:9]
	v_mul_f64 v[8:9], v[14:15], v[8:9]
	v_fma_f64 v[34:35], v[14:15], v[6:7], -v[34:35]
	v_fma_f64 v[6:7], v[16:17], v[6:7], v[8:9]
	v_mul_f64 v[8:9], v[14:15], v[12:13]
	v_add_f64 v[20:21], v[20:21], v[34:35]
	v_add_f64 v[18:19], v[6:7], v[18:19]
	v_mul_f64 v[6:7], v[16:17], v[12:13]
	v_fma_f64 v[8:9], v[16:17], v[10:11], v[8:9]
	v_fma_f64 v[6:7], v[14:15], v[10:11], -v[6:7]
	v_add_f64 v[32:33], v[8:9], v[32:33]
	;; [unrolled: 30-line block ×3, first 2 shown]
	v_add_f64 v[30:31], v[30:31], v[6:7]
	ds_read_b128 v[6:9], v25 offset:64
	ds_read_b128 v[10:13], v24 offset:2048
	s_waitcnt lgkmcnt(0)
	v_mul_f64 v[14:15], v[8:9], v[12:13]
	v_mul_f64 v[16:17], v[6:7], v[12:13]
	v_fma_f64 v[14:15], v[6:7], v[10:11], -v[14:15]
	v_fma_f64 v[16:17], v[8:9], v[10:11], v[16:17]
	v_add_f64 v[34:35], v[34:35], v[14:15]
	v_add_f64 v[36:37], v[16:17], v[36:37]
	ds_read_b128 v[14:17], v24 offset:2304
	s_waitcnt lgkmcnt(0)
	v_mul_f64 v[38:39], v[8:9], v[16:17]
	v_fma_f64 v[38:39], v[6:7], v[14:15], -v[38:39]
	v_mul_f64 v[6:7], v[6:7], v[16:17]
	v_add_f64 v[28:29], v[28:29], v[38:39]
	v_fma_f64 v[6:7], v[8:9], v[14:15], v[6:7]
	v_add_f64 v[26:27], v[6:7], v[26:27]
	ds_read_b128 v[6:9], v25 offset:2112
	s_waitcnt lgkmcnt(0)
	v_mul_f64 v[38:39], v[8:9], v[12:13]
	v_mul_f64 v[12:13], v[6:7], v[12:13]
	v_fma_f64 v[38:39], v[6:7], v[10:11], -v[38:39]
	v_fma_f64 v[10:11], v[8:9], v[10:11], v[12:13]
	v_add_f64 v[20:21], v[20:21], v[38:39]
	v_add_f64 v[18:19], v[10:11], v[18:19]
	v_mul_f64 v[10:11], v[8:9], v[16:17]
	v_fma_f64 v[10:11], v[6:7], v[14:15], -v[10:11]
	v_mul_f64 v[6:7], v[6:7], v[16:17]
	v_add_f64 v[30:31], v[30:31], v[10:11]
	v_fma_f64 v[6:7], v[8:9], v[14:15], v[6:7]
	v_add_f64 v[32:33], v[6:7], v[32:33]
	ds_read_b128 v[6:9], v25 offset:80
	ds_read_b128 v[10:13], v24 offset:2560
	s_waitcnt lgkmcnt(0)
	v_mul_f64 v[14:15], v[8:9], v[12:13]
	v_mul_f64 v[16:17], v[6:7], v[12:13]
	v_fma_f64 v[14:15], v[6:7], v[10:11], -v[14:15]
	v_fma_f64 v[16:17], v[8:9], v[10:11], v[16:17]
	v_add_f64 v[34:35], v[34:35], v[14:15]
	v_add_f64 v[36:37], v[16:17], v[36:37]
	ds_read_b128 v[14:17], v24 offset:2816
	s_waitcnt lgkmcnt(0)
	v_mul_f64 v[38:39], v[8:9], v[16:17]
	v_fma_f64 v[38:39], v[6:7], v[14:15], -v[38:39]
	v_mul_f64 v[6:7], v[6:7], v[16:17]
	v_add_f64 v[28:29], v[28:29], v[38:39]
	v_fma_f64 v[6:7], v[8:9], v[14:15], v[6:7]
	v_add_f64 v[26:27], v[6:7], v[26:27]
	ds_read_b128 v[6:9], v25 offset:2128
	s_waitcnt lgkmcnt(0)
	v_mul_f64 v[38:39], v[8:9], v[12:13]
	v_mul_f64 v[12:13], v[6:7], v[12:13]
	v_fma_f64 v[38:39], v[6:7], v[10:11], -v[38:39]
	v_fma_f64 v[10:11], v[8:9], v[10:11], v[12:13]
	v_add_f64 v[20:21], v[20:21], v[38:39]
	v_add_f64 v[18:19], v[10:11], v[18:19]
	v_mul_f64 v[10:11], v[8:9], v[16:17]
	v_fma_f64 v[10:11], v[6:7], v[14:15], -v[10:11]
	v_mul_f64 v[6:7], v[6:7], v[16:17]
	v_add_f64 v[30:31], v[30:31], v[10:11]
	v_fma_f64 v[6:7], v[8:9], v[14:15], v[6:7]
	;; [unrolled: 31-line block ×3, first 2 shown]
	v_add_f64 v[44:45], v[6:7], v[32:33]
	ds_read_b128 v[6:9], v25 offset:112
	ds_read_b128 v[10:13], v24 offset:3584
	;; [unrolled: 1-line block ×3, first 2 shown]
	s_waitcnt lgkmcnt(1)
	v_mul_f64 v[14:15], v[8:9], v[12:13]
	s_waitcnt lgkmcnt(0)
	v_mul_f64 v[30:31], v[8:9], v[28:29]
	v_mul_f64 v[16:17], v[6:7], v[12:13]
	v_fma_f64 v[14:15], v[6:7], v[10:11], -v[14:15]
	v_fma_f64 v[30:31], v[6:7], v[26:27], -v[30:31]
	v_mul_f64 v[6:7], v[6:7], v[28:29]
	v_fma_f64 v[16:17], v[8:9], v[10:11], v[16:17]
	v_add_f64 v[14:15], v[34:35], v[14:15]
	v_fma_f64 v[6:7], v[8:9], v[26:27], v[6:7]
	v_add_f64 v[8:9], v[38:39], v[30:31]
	ds_read_b128 v[30:33], v25 offset:2160
	v_add_f64 v[16:17], v[16:17], v[36:37]
	s_waitcnt lgkmcnt(0)
	s_barrier
	v_mul_f64 v[34:35], v[32:33], v[12:13]
	v_mul_f64 v[12:13], v[30:31], v[12:13]
	v_add_f64 v[6:7], v[6:7], v[40:41]
	v_fma_f64 v[34:35], v[30:31], v[10:11], -v[34:35]
	v_fma_f64 v[10:11], v[32:33], v[10:11], v[12:13]
	v_mul_f64 v[12:13], v[30:31], v[28:29]
	v_add_f64 v[20:21], v[20:21], v[34:35]
	v_add_f64 v[18:19], v[10:11], v[18:19]
	v_mul_f64 v[10:11], v[32:33], v[28:29]
	v_fma_f64 v[10:11], v[30:31], v[26:27], -v[10:11]
	v_fma_f64 v[26:27], v[32:33], v[26:27], v[12:13]
	v_add_f64 v[12:13], v[42:43], v[10:11]
	v_add_f64 v[10:11], v[26:27], v[44:45]
	v_mov_b32_e32 v27, s1
	v_mov_b32_e32 v26, s0
	v_cmp_le_u64_e32 vcc, s[12:13], v[26:27]
	s_cbranch_vccz .LBB1623_2
	s_branch .LBB1623_4
.LBB1623_3:
	v_mov_b32_e32 v14, 0
	v_mov_b32_e32 v16, 0
	;; [unrolled: 1-line block ×16, first 2 shown]
.LBB1623_4:
	v_add_u32_e32 v4, s7, v1
	v_ashrrev_i32_e32 v1, 31, v4
	v_mul_lo_u32 v3, s2, v1
	v_mul_lo_u32 v5, s3, v4
	v_mad_u64_u32 v[1:2], s[0:1], s2, v4, 0
	s_load_dword s10, s[4:5], 0x0
	v_add_u32_e32 v0, s6, v0
	v_add3_u32 v2, v2, v3, v5
	v_lshlrev_b64 v[1:2], 4, v[1:2]
	s_waitcnt lgkmcnt(0)
	v_mov_b32_e32 v3, s9
	v_add_co_u32_e64 v5, s[0:1], s8, v1
	v_addc_co_u32_e64 v22, s[0:1], v3, v2, s[0:1]
	v_cmp_gt_i32_e32 vcc, s10, v4
	v_cmp_le_i32_e64 s[0:1], v0, v4
	s_and_b64 s[0:1], vcc, s[0:1]
	s_and_saveexec_b64 s[4:5], s[0:1]
	s_cbranch_execz .LBB1623_6
; %bb.5:
	v_ashrrev_i32_e32 v1, 31, v0
	v_lshlrev_b64 v[1:2], 4, v[0:1]
	v_add_co_u32_e64 v1, s[0:1], v5, v1
	v_addc_co_u32_e64 v2, s[0:1], v22, v2, s[0:1]
	flat_load_dwordx4 v[23:26], v[1:2]
	s_waitcnt vmcnt(0) lgkmcnt(0)
	v_add_f64 v[14:15], v[14:15], v[23:24]
	v_add_f64 v[16:17], v[16:17], v[25:26]
	flat_store_dwordx4 v[1:2], v[14:17]
.LBB1623_6:
	s_or_b64 exec, exec, s[4:5]
	v_add_u32_e32 v2, 16, v0
	v_cmp_le_i32_e64 s[0:1], v2, v4
	s_and_b64 s[4:5], vcc, s[0:1]
	s_and_saveexec_b64 s[0:1], s[4:5]
	s_cbranch_execz .LBB1623_8
; %bb.7:
	v_ashrrev_i32_e32 v3, 31, v2
	v_lshlrev_b64 v[14:15], 4, v[2:3]
	v_add_co_u32_e32 v23, vcc, v5, v14
	v_addc_co_u32_e32 v24, vcc, v22, v15, vcc
	flat_load_dwordx4 v[14:17], v[23:24]
	s_waitcnt vmcnt(0) lgkmcnt(0)
	v_add_f64 v[14:15], v[8:9], v[14:15]
	v_add_f64 v[16:17], v[6:7], v[16:17]
	flat_store_dwordx4 v[23:24], v[14:17]
.LBB1623_8:
	s_or_b64 exec, exec, s[0:1]
	v_add_u32_e32 v3, 16, v4
	v_ashrrev_i32_e32 v1, 31, v3
	v_mul_lo_u32 v1, s2, v1
	v_mul_lo_u32 v6, s3, v3
	v_mad_u64_u32 v[4:5], s[0:1], s2, v3, 0
	v_cmp_gt_i32_e32 vcc, s10, v3
	v_add3_u32 v5, v5, v1, v6
	v_lshlrev_b64 v[4:5], 4, v[4:5]
	v_mov_b32_e32 v1, s9
	v_add_co_u32_e64 v4, s[0:1], s8, v4
	v_addc_co_u32_e64 v5, s[0:1], v1, v5, s[0:1]
	v_cmp_le_i32_e64 s[0:1], v0, v3
	s_and_b64 s[0:1], vcc, s[0:1]
	s_and_saveexec_b64 s[2:3], s[0:1]
	s_cbranch_execz .LBB1623_10
; %bb.9:
	v_ashrrev_i32_e32 v1, 31, v0
	v_lshlrev_b64 v[0:1], 4, v[0:1]
	v_add_co_u32_e64 v0, s[0:1], v4, v0
	v_addc_co_u32_e64 v1, s[0:1], v5, v1, s[0:1]
	flat_load_dwordx4 v[6:9], v[0:1]
	s_waitcnt vmcnt(0) lgkmcnt(0)
	v_add_f64 v[6:7], v[20:21], v[6:7]
	v_add_f64 v[8:9], v[18:19], v[8:9]
	flat_store_dwordx4 v[0:1], v[6:9]
.LBB1623_10:
	s_or_b64 exec, exec, s[2:3]
	v_cmp_le_i32_e64 s[0:1], v2, v3
	s_and_b64 s[0:1], vcc, s[0:1]
	s_and_saveexec_b64 s[2:3], s[0:1]
	s_cbranch_execz .LBB1623_12
; %bb.11:
	v_ashrrev_i32_e32 v3, 31, v2
	v_lshlrev_b64 v[0:1], 4, v[2:3]
	v_add_co_u32_e32 v4, vcc, v4, v0
	v_addc_co_u32_e32 v5, vcc, v5, v1, vcc
	flat_load_dwordx4 v[0:3], v[4:5]
	s_waitcnt vmcnt(0) lgkmcnt(0)
	v_add_f64 v[0:1], v[12:13], v[0:1]
	v_add_f64 v[2:3], v[10:11], v[2:3]
	flat_store_dwordx4 v[4:5], v[0:3]
.LBB1623_12:
	s_endpgm
	.section	.rodata,"a",@progbits
	.p2align	6, 0x0
	.amdhsa_kernel _ZL37rocblas_syrkx_herkx_restricted_kernelIl19rocblas_complex_numIdELi16ELi32ELi8ELi1ELi1ELb0ELc67ELc85EKPKS1_KPS1_EviT_PT9_S7_lS9_S7_lPT10_S7_li
		.amdhsa_group_segment_fixed_size 8192
		.amdhsa_private_segment_fixed_size 0
		.amdhsa_kernarg_size 92
		.amdhsa_user_sgpr_count 6
		.amdhsa_user_sgpr_private_segment_buffer 1
		.amdhsa_user_sgpr_dispatch_ptr 0
		.amdhsa_user_sgpr_queue_ptr 0
		.amdhsa_user_sgpr_kernarg_segment_ptr 1
		.amdhsa_user_sgpr_dispatch_id 0
		.amdhsa_user_sgpr_flat_scratch_init 0
		.amdhsa_user_sgpr_private_segment_size 0
		.amdhsa_uses_dynamic_stack 0
		.amdhsa_system_sgpr_private_segment_wavefront_offset 0
		.amdhsa_system_sgpr_workgroup_id_x 1
		.amdhsa_system_sgpr_workgroup_id_y 1
		.amdhsa_system_sgpr_workgroup_id_z 1
		.amdhsa_system_sgpr_workgroup_info 0
		.amdhsa_system_vgpr_workitem_id 1
		.amdhsa_next_free_vgpr 52
		.amdhsa_next_free_sgpr 61
		.amdhsa_reserve_vcc 1
		.amdhsa_reserve_flat_scratch 0
		.amdhsa_float_round_mode_32 0
		.amdhsa_float_round_mode_16_64 0
		.amdhsa_float_denorm_mode_32 3
		.amdhsa_float_denorm_mode_16_64 3
		.amdhsa_dx10_clamp 1
		.amdhsa_ieee_mode 1
		.amdhsa_fp16_overflow 0
		.amdhsa_exception_fp_ieee_invalid_op 0
		.amdhsa_exception_fp_denorm_src 0
		.amdhsa_exception_fp_ieee_div_zero 0
		.amdhsa_exception_fp_ieee_overflow 0
		.amdhsa_exception_fp_ieee_underflow 0
		.amdhsa_exception_fp_ieee_inexact 0
		.amdhsa_exception_int_div_zero 0
	.end_amdhsa_kernel
	.section	.text._ZL37rocblas_syrkx_herkx_restricted_kernelIl19rocblas_complex_numIdELi16ELi32ELi8ELi1ELi1ELb0ELc67ELc85EKPKS1_KPS1_EviT_PT9_S7_lS9_S7_lPT10_S7_li,"axG",@progbits,_ZL37rocblas_syrkx_herkx_restricted_kernelIl19rocblas_complex_numIdELi16ELi32ELi8ELi1ELi1ELb0ELc67ELc85EKPKS1_KPS1_EviT_PT9_S7_lS9_S7_lPT10_S7_li,comdat
.Lfunc_end1623:
	.size	_ZL37rocblas_syrkx_herkx_restricted_kernelIl19rocblas_complex_numIdELi16ELi32ELi8ELi1ELi1ELb0ELc67ELc85EKPKS1_KPS1_EviT_PT9_S7_lS9_S7_lPT10_S7_li, .Lfunc_end1623-_ZL37rocblas_syrkx_herkx_restricted_kernelIl19rocblas_complex_numIdELi16ELi32ELi8ELi1ELi1ELb0ELc67ELc85EKPKS1_KPS1_EviT_PT9_S7_lS9_S7_lPT10_S7_li
                                        ; -- End function
	.set _ZL37rocblas_syrkx_herkx_restricted_kernelIl19rocblas_complex_numIdELi16ELi32ELi8ELi1ELi1ELb0ELc67ELc85EKPKS1_KPS1_EviT_PT9_S7_lS9_S7_lPT10_S7_li.num_vgpr, 52
	.set _ZL37rocblas_syrkx_herkx_restricted_kernelIl19rocblas_complex_numIdELi16ELi32ELi8ELi1ELi1ELb0ELc67ELc85EKPKS1_KPS1_EviT_PT9_S7_lS9_S7_lPT10_S7_li.num_agpr, 0
	.set _ZL37rocblas_syrkx_herkx_restricted_kernelIl19rocblas_complex_numIdELi16ELi32ELi8ELi1ELi1ELb0ELc67ELc85EKPKS1_KPS1_EviT_PT9_S7_lS9_S7_lPT10_S7_li.numbered_sgpr, 20
	.set _ZL37rocblas_syrkx_herkx_restricted_kernelIl19rocblas_complex_numIdELi16ELi32ELi8ELi1ELi1ELb0ELc67ELc85EKPKS1_KPS1_EviT_PT9_S7_lS9_S7_lPT10_S7_li.num_named_barrier, 0
	.set _ZL37rocblas_syrkx_herkx_restricted_kernelIl19rocblas_complex_numIdELi16ELi32ELi8ELi1ELi1ELb0ELc67ELc85EKPKS1_KPS1_EviT_PT9_S7_lS9_S7_lPT10_S7_li.private_seg_size, 0
	.set _ZL37rocblas_syrkx_herkx_restricted_kernelIl19rocblas_complex_numIdELi16ELi32ELi8ELi1ELi1ELb0ELc67ELc85EKPKS1_KPS1_EviT_PT9_S7_lS9_S7_lPT10_S7_li.uses_vcc, 1
	.set _ZL37rocblas_syrkx_herkx_restricted_kernelIl19rocblas_complex_numIdELi16ELi32ELi8ELi1ELi1ELb0ELc67ELc85EKPKS1_KPS1_EviT_PT9_S7_lS9_S7_lPT10_S7_li.uses_flat_scratch, 0
	.set _ZL37rocblas_syrkx_herkx_restricted_kernelIl19rocblas_complex_numIdELi16ELi32ELi8ELi1ELi1ELb0ELc67ELc85EKPKS1_KPS1_EviT_PT9_S7_lS9_S7_lPT10_S7_li.has_dyn_sized_stack, 0
	.set _ZL37rocblas_syrkx_herkx_restricted_kernelIl19rocblas_complex_numIdELi16ELi32ELi8ELi1ELi1ELb0ELc67ELc85EKPKS1_KPS1_EviT_PT9_S7_lS9_S7_lPT10_S7_li.has_recursion, 0
	.set _ZL37rocblas_syrkx_herkx_restricted_kernelIl19rocblas_complex_numIdELi16ELi32ELi8ELi1ELi1ELb0ELc67ELc85EKPKS1_KPS1_EviT_PT9_S7_lS9_S7_lPT10_S7_li.has_indirect_call, 0
	.section	.AMDGPU.csdata,"",@progbits
; Kernel info:
; codeLenInByte = 2952
; TotalNumSgprs: 24
; NumVgprs: 52
; ScratchSize: 0
; MemoryBound: 0
; FloatMode: 240
; IeeeMode: 1
; LDSByteSize: 8192 bytes/workgroup (compile time only)
; SGPRBlocks: 8
; VGPRBlocks: 12
; NumSGPRsForWavesPerEU: 65
; NumVGPRsForWavesPerEU: 52
; Occupancy: 4
; WaveLimiterHint : 1
; COMPUTE_PGM_RSRC2:SCRATCH_EN: 0
; COMPUTE_PGM_RSRC2:USER_SGPR: 6
; COMPUTE_PGM_RSRC2:TRAP_HANDLER: 0
; COMPUTE_PGM_RSRC2:TGID_X_EN: 1
; COMPUTE_PGM_RSRC2:TGID_Y_EN: 1
; COMPUTE_PGM_RSRC2:TGID_Z_EN: 1
; COMPUTE_PGM_RSRC2:TIDIG_COMP_CNT: 1
	.section	.text._ZL37rocblas_syrkx_herkx_restricted_kernelIl19rocblas_complex_numIdELi16ELi32ELi8ELi1ELi1ELb0ELc78ELc85EKPKS1_KPS1_EviT_PT9_S7_lS9_S7_lPT10_S7_li,"axG",@progbits,_ZL37rocblas_syrkx_herkx_restricted_kernelIl19rocblas_complex_numIdELi16ELi32ELi8ELi1ELi1ELb0ELc78ELc85EKPKS1_KPS1_EviT_PT9_S7_lS9_S7_lPT10_S7_li,comdat
	.globl	_ZL37rocblas_syrkx_herkx_restricted_kernelIl19rocblas_complex_numIdELi16ELi32ELi8ELi1ELi1ELb0ELc78ELc85EKPKS1_KPS1_EviT_PT9_S7_lS9_S7_lPT10_S7_li ; -- Begin function _ZL37rocblas_syrkx_herkx_restricted_kernelIl19rocblas_complex_numIdELi16ELi32ELi8ELi1ELi1ELb0ELc78ELc85EKPKS1_KPS1_EviT_PT9_S7_lS9_S7_lPT10_S7_li
	.p2align	8
	.type	_ZL37rocblas_syrkx_herkx_restricted_kernelIl19rocblas_complex_numIdELi16ELi32ELi8ELi1ELi1ELb0ELc78ELc85EKPKS1_KPS1_EviT_PT9_S7_lS9_S7_lPT10_S7_li,@function
_ZL37rocblas_syrkx_herkx_restricted_kernelIl19rocblas_complex_numIdELi16ELi32ELi8ELi1ELi1ELb0ELc78ELc85EKPKS1_KPS1_EviT_PT9_S7_lS9_S7_lPT10_S7_li: ; @_ZL37rocblas_syrkx_herkx_restricted_kernelIl19rocblas_complex_numIdELi16ELi32ELi8ELi1ELi1ELb0ELc78ELc85EKPKS1_KPS1_EviT_PT9_S7_lS9_S7_lPT10_S7_li
; %bb.0:
	s_load_dwordx4 s[0:3], s[4:5], 0x40
	s_load_dwordx4 s[12:15], s[4:5], 0x8
	s_mov_b32 s9, 0
	s_lshl_b64 s[18:19], s[8:9], 3
	s_waitcnt lgkmcnt(0)
	s_add_u32 s0, s0, s18
	s_addc_u32 s1, s1, s19
	s_load_dwordx2 s[16:17], s[0:1], 0x0
	v_cmp_lt_i64_e64 s[0:1], s[12:13], 1
	s_lshl_b32 s20, s6, 5
	s_lshl_b32 s21, s7, 5
	s_and_b64 vcc, exec, s[0:1]
	s_cbranch_vccnz .LBB1624_3
; %bb.1:
	s_load_dwordx2 s[0:1], s[4:5], 0x18
	s_load_dwordx4 s[8:11], s[4:5], 0x28
	v_lshl_add_u32 v7, v1, 4, v0
	v_lshrrev_b32_e32 v8, 3, v7
	v_add_u32_e32 v2, s21, v8
	v_and_b32_e32 v6, 7, v0
	v_ashrrev_i32_e32 v3, 31, v2
	s_waitcnt lgkmcnt(0)
	v_mad_u64_u32 v[4:5], s[6:7], s10, v6, v[2:3]
	s_add_u32 s6, s14, s18
	s_addc_u32 s7, s15, s19
	v_mov_b32_e32 v2, v5
	v_mad_u64_u32 v[2:3], s[14:15], s11, v6, v[2:3]
	v_lshrrev_b32_e32 v9, 5, v7
	v_lshlrev_b32_e32 v6, 4, v6
	v_mov_b32_e32 v5, v2
	v_and_b32_e32 v2, 31, v7
	v_lshlrev_b32_e32 v3, 4, v2
	v_add_u32_e32 v2, s20, v2
	v_lshl_or_b32 v22, v9, 9, v3
	v_ashrrev_i32_e32 v3, 31, v2
	v_mad_u64_u32 v[2:3], s[14:15], s0, v9, v[2:3]
	v_lshl_or_b32 v6, v8, 7, v6
	v_add_u32_e32 v23, 0x1000, v6
	v_mad_u64_u32 v[6:7], s[14:15], s1, v9, v[3:4]
	s_load_dwordx2 s[6:7], s[6:7], 0x0
	s_add_u32 s8, s8, s18
	s_addc_u32 s9, s9, s19
	v_mov_b32_e32 v3, 0x1000
	s_load_dwordx2 s[8:9], s[8:9], 0x0
	v_lshl_add_u32 v25, v1, 7, v3
	v_mov_b32_e32 v3, v6
	v_lshlrev_b64 v[2:3], 4, v[2:3]
	s_waitcnt lgkmcnt(0)
	v_mov_b32_e32 v6, s7
	v_add_co_u32_e32 v2, vcc, s6, v2
	v_lshlrev_b64 v[4:5], 4, v[4:5]
	v_addc_co_u32_e32 v3, vcc, v6, v3, vcc
	v_mov_b32_e32 v6, s9
	v_add_co_u32_e32 v4, vcc, s8, v4
	s_lshl_b64 s[0:1], s[0:1], 7
	v_addc_co_u32_e32 v5, vcc, v6, v5, vcc
	s_lshl_b64 s[6:7], s[10:11], 7
	v_mov_b32_e32 v10, 0
	v_mov_b32_e32 v12, 0
	;; [unrolled: 1-line block ×8, first 2 shown]
	v_lshlrev_b32_e32 v24, 4, v0
	v_mov_b32_e32 v11, 0
	s_mov_b64 s[8:9], 0
	v_mov_b32_e32 v26, s1
	v_mov_b32_e32 v13, 0
	;; [unrolled: 1-line block ×9, first 2 shown]
.LBB1624_2:                             ; =>This Inner Loop Header: Depth=1
	flat_load_dwordx4 v[28:31], v[2:3]
	s_add_u32 s8, s8, 8
	v_add_co_u32_e32 v2, vcc, s0, v2
	s_addc_u32 s9, s9, 0
	v_addc_co_u32_e32 v3, vcc, v3, v26, vcc
	s_waitcnt vmcnt(0) lgkmcnt(0)
	ds_write_b128 v22, v[28:31]
	flat_load_dwordx4 v[28:31], v[4:5]
	v_add_co_u32_e32 v4, vcc, s6, v4
	v_addc_co_u32_e32 v5, vcc, v5, v27, vcc
	s_waitcnt vmcnt(0) lgkmcnt(0)
	ds_write_b128 v23, v[28:31]
	s_waitcnt lgkmcnt(0)
	s_barrier
	ds_read_b128 v[28:31], v25
	ds_read_b128 v[32:35], v25 offset:16
	ds_read_b128 v[36:39], v25 offset:32
	;; [unrolled: 1-line block ×3, first 2 shown]
	ds_read_b128 v[44:47], v24
	s_waitcnt lgkmcnt(0)
	v_mul_f64 v[48:49], v[30:31], v[46:47]
	v_mul_f64 v[50:51], v[28:29], v[46:47]
	v_fma_f64 v[48:49], v[28:29], v[44:45], -v[48:49]
	v_fma_f64 v[50:51], v[30:31], v[44:45], v[50:51]
	v_add_f64 v[48:49], v[18:19], v[48:49]
	v_add_f64 v[50:51], v[50:51], v[20:21]
	ds_read_b128 v[18:21], v24 offset:256
	s_waitcnt lgkmcnt(0)
	v_mul_f64 v[52:53], v[30:31], v[20:21]
	v_fma_f64 v[52:53], v[28:29], v[18:19], -v[52:53]
	v_mul_f64 v[28:29], v[28:29], v[20:21]
	v_fma_f64 v[28:29], v[30:31], v[18:19], v[28:29]
	v_add_f64 v[30:31], v[8:9], v[52:53]
	v_add_f64 v[28:29], v[28:29], v[6:7]
	ds_read_b128 v[6:9], v25 offset:2048
	s_waitcnt lgkmcnt(0)
	v_mul_f64 v[52:53], v[8:9], v[46:47]
	v_mul_f64 v[46:47], v[6:7], v[46:47]
	v_fma_f64 v[52:53], v[6:7], v[44:45], -v[52:53]
	v_fma_f64 v[44:45], v[8:9], v[44:45], v[46:47]
	v_add_f64 v[46:47], v[16:17], v[52:53]
	v_add_f64 v[44:45], v[44:45], v[14:15]
	v_mul_f64 v[14:15], v[8:9], v[20:21]
	v_fma_f64 v[14:15], v[6:7], v[18:19], -v[14:15]
	v_mul_f64 v[6:7], v[6:7], v[20:21]
	v_fma_f64 v[6:7], v[8:9], v[18:19], v[6:7]
	v_add_f64 v[18:19], v[12:13], v[14:15]
	v_add_f64 v[20:21], v[6:7], v[10:11]
	ds_read_b128 v[6:9], v24 offset:512
	s_waitcnt lgkmcnt(0)
	v_mul_f64 v[10:11], v[34:35], v[8:9]
	v_mul_f64 v[12:13], v[32:33], v[8:9]
	v_fma_f64 v[10:11], v[32:33], v[6:7], -v[10:11]
	v_fma_f64 v[12:13], v[34:35], v[6:7], v[12:13]
	v_add_f64 v[48:49], v[48:49], v[10:11]
	v_add_f64 v[50:51], v[12:13], v[50:51]
	ds_read_b128 v[10:13], v24 offset:768
	s_waitcnt lgkmcnt(0)
	v_mul_f64 v[14:15], v[34:35], v[12:13]
	v_mul_f64 v[16:17], v[32:33], v[12:13]
	v_fma_f64 v[14:15], v[32:33], v[10:11], -v[14:15]
	;; [unrolled: 8-line block ×3, first 2 shown]
	v_fma_f64 v[6:7], v[16:17], v[6:7], v[8:9]
	v_mul_f64 v[8:9], v[14:15], v[12:13]
	v_add_f64 v[32:33], v[46:47], v[32:33]
	v_add_f64 v[34:35], v[6:7], v[44:45]
	v_mul_f64 v[6:7], v[16:17], v[12:13]
	v_fma_f64 v[8:9], v[16:17], v[10:11], v[8:9]
	v_fma_f64 v[6:7], v[14:15], v[10:11], -v[6:7]
	v_add_f64 v[20:21], v[8:9], v[20:21]
	v_add_f64 v[18:19], v[18:19], v[6:7]
	ds_read_b128 v[6:9], v24 offset:1024
	s_waitcnt lgkmcnt(0)
	v_mul_f64 v[10:11], v[38:39], v[8:9]
	v_mul_f64 v[12:13], v[36:37], v[8:9]
	v_fma_f64 v[10:11], v[36:37], v[6:7], -v[10:11]
	v_fma_f64 v[12:13], v[38:39], v[6:7], v[12:13]
	v_add_f64 v[44:45], v[48:49], v[10:11]
	v_add_f64 v[46:47], v[12:13], v[50:51]
	ds_read_b128 v[10:13], v24 offset:1280
	s_waitcnt lgkmcnt(0)
	v_mul_f64 v[14:15], v[38:39], v[12:13]
	v_mul_f64 v[16:17], v[36:37], v[12:13]
	v_fma_f64 v[14:15], v[36:37], v[10:11], -v[14:15]
	v_fma_f64 v[16:17], v[38:39], v[10:11], v[16:17]
	;; [unrolled: 8-line block ×3, first 2 shown]
	v_mul_f64 v[8:9], v[14:15], v[12:13]
	v_add_f64 v[32:33], v[32:33], v[36:37]
	v_add_f64 v[34:35], v[6:7], v[34:35]
	v_mul_f64 v[6:7], v[16:17], v[12:13]
	v_fma_f64 v[8:9], v[16:17], v[10:11], v[8:9]
	v_fma_f64 v[6:7], v[14:15], v[10:11], -v[6:7]
	v_add_f64 v[20:21], v[8:9], v[20:21]
	v_add_f64 v[18:19], v[18:19], v[6:7]
	ds_read_b128 v[6:9], v24 offset:1536
	s_waitcnt lgkmcnt(0)
	v_mul_f64 v[10:11], v[42:43], v[8:9]
	v_mul_f64 v[12:13], v[40:41], v[8:9]
	v_fma_f64 v[10:11], v[40:41], v[6:7], -v[10:11]
	v_fma_f64 v[12:13], v[42:43], v[6:7], v[12:13]
	v_add_f64 v[36:37], v[44:45], v[10:11]
	v_add_f64 v[38:39], v[12:13], v[46:47]
	ds_read_b128 v[10:13], v24 offset:1792
	s_waitcnt lgkmcnt(0)
	v_mul_f64 v[14:15], v[42:43], v[12:13]
	v_mul_f64 v[16:17], v[40:41], v[12:13]
	v_fma_f64 v[14:15], v[40:41], v[10:11], -v[14:15]
	v_fma_f64 v[16:17], v[42:43], v[10:11], v[16:17]
	;; [unrolled: 8-line block ×3, first 2 shown]
	v_mul_f64 v[8:9], v[14:15], v[12:13]
	v_add_f64 v[32:33], v[32:33], v[40:41]
	v_add_f64 v[34:35], v[6:7], v[34:35]
	v_mul_f64 v[6:7], v[16:17], v[12:13]
	v_fma_f64 v[8:9], v[16:17], v[10:11], v[8:9]
	v_fma_f64 v[6:7], v[14:15], v[10:11], -v[6:7]
	v_add_f64 v[20:21], v[8:9], v[20:21]
	v_add_f64 v[18:19], v[18:19], v[6:7]
	ds_read_b128 v[6:9], v25 offset:64
	ds_read_b128 v[10:13], v24 offset:2048
	s_waitcnt lgkmcnt(0)
	v_mul_f64 v[14:15], v[8:9], v[12:13]
	v_mul_f64 v[16:17], v[6:7], v[12:13]
	v_fma_f64 v[14:15], v[6:7], v[10:11], -v[14:15]
	v_fma_f64 v[16:17], v[8:9], v[10:11], v[16:17]
	v_add_f64 v[36:37], v[36:37], v[14:15]
	v_add_f64 v[38:39], v[16:17], v[38:39]
	ds_read_b128 v[14:17], v24 offset:2304
	s_waitcnt lgkmcnt(0)
	v_mul_f64 v[40:41], v[8:9], v[16:17]
	v_fma_f64 v[40:41], v[6:7], v[14:15], -v[40:41]
	v_mul_f64 v[6:7], v[6:7], v[16:17]
	v_add_f64 v[30:31], v[30:31], v[40:41]
	v_fma_f64 v[6:7], v[8:9], v[14:15], v[6:7]
	v_add_f64 v[28:29], v[6:7], v[28:29]
	ds_read_b128 v[6:9], v25 offset:2112
	s_waitcnt lgkmcnt(0)
	v_mul_f64 v[40:41], v[8:9], v[12:13]
	v_mul_f64 v[12:13], v[6:7], v[12:13]
	v_fma_f64 v[40:41], v[6:7], v[10:11], -v[40:41]
	v_fma_f64 v[10:11], v[8:9], v[10:11], v[12:13]
	v_add_f64 v[32:33], v[32:33], v[40:41]
	v_add_f64 v[34:35], v[10:11], v[34:35]
	v_mul_f64 v[10:11], v[8:9], v[16:17]
	v_fma_f64 v[10:11], v[6:7], v[14:15], -v[10:11]
	v_mul_f64 v[6:7], v[6:7], v[16:17]
	v_add_f64 v[18:19], v[18:19], v[10:11]
	v_fma_f64 v[6:7], v[8:9], v[14:15], v[6:7]
	v_add_f64 v[20:21], v[6:7], v[20:21]
	ds_read_b128 v[6:9], v25 offset:80
	ds_read_b128 v[10:13], v24 offset:2560
	s_waitcnt lgkmcnt(0)
	v_mul_f64 v[14:15], v[8:9], v[12:13]
	v_mul_f64 v[16:17], v[6:7], v[12:13]
	v_fma_f64 v[14:15], v[6:7], v[10:11], -v[14:15]
	v_fma_f64 v[16:17], v[8:9], v[10:11], v[16:17]
	v_add_f64 v[36:37], v[36:37], v[14:15]
	v_add_f64 v[38:39], v[16:17], v[38:39]
	ds_read_b128 v[14:17], v24 offset:2816
	s_waitcnt lgkmcnt(0)
	v_mul_f64 v[40:41], v[8:9], v[16:17]
	v_fma_f64 v[40:41], v[6:7], v[14:15], -v[40:41]
	v_mul_f64 v[6:7], v[6:7], v[16:17]
	v_add_f64 v[30:31], v[30:31], v[40:41]
	v_fma_f64 v[6:7], v[8:9], v[14:15], v[6:7]
	v_add_f64 v[28:29], v[6:7], v[28:29]
	ds_read_b128 v[6:9], v25 offset:2128
	s_waitcnt lgkmcnt(0)
	v_mul_f64 v[40:41], v[8:9], v[12:13]
	v_mul_f64 v[12:13], v[6:7], v[12:13]
	v_fma_f64 v[40:41], v[6:7], v[10:11], -v[40:41]
	v_fma_f64 v[10:11], v[8:9], v[10:11], v[12:13]
	v_add_f64 v[32:33], v[32:33], v[40:41]
	v_add_f64 v[34:35], v[10:11], v[34:35]
	v_mul_f64 v[10:11], v[8:9], v[16:17]
	v_fma_f64 v[10:11], v[6:7], v[14:15], -v[10:11]
	v_mul_f64 v[6:7], v[6:7], v[16:17]
	v_add_f64 v[18:19], v[18:19], v[10:11]
	v_fma_f64 v[6:7], v[8:9], v[14:15], v[6:7]
	;; [unrolled: 31-line block ×3, first 2 shown]
	v_add_f64 v[50:51], v[6:7], v[20:21]
	ds_read_b128 v[6:9], v25 offset:112
	ds_read_b128 v[10:13], v24 offset:3584
	;; [unrolled: 1-line block ×4, first 2 shown]
	s_waitcnt lgkmcnt(0)
	s_barrier
	v_mul_f64 v[14:15], v[8:9], v[12:13]
	v_mul_f64 v[16:17], v[6:7], v[12:13]
	v_fma_f64 v[14:15], v[6:7], v[10:11], -v[14:15]
	v_fma_f64 v[16:17], v[8:9], v[10:11], v[16:17]
	v_add_f64 v[18:19], v[36:37], v[14:15]
	v_mul_f64 v[14:15], v[8:9], v[30:31]
	v_add_f64 v[20:21], v[16:17], v[38:39]
	v_fma_f64 v[14:15], v[6:7], v[28:29], -v[14:15]
	v_mul_f64 v[6:7], v[6:7], v[30:31]
	v_fma_f64 v[6:7], v[8:9], v[28:29], v[6:7]
	v_add_f64 v[8:9], v[40:41], v[14:15]
	v_mul_f64 v[14:15], v[34:35], v[12:13]
	v_mul_f64 v[12:13], v[32:33], v[12:13]
	v_add_f64 v[6:7], v[6:7], v[42:43]
	v_fma_f64 v[14:15], v[32:33], v[10:11], -v[14:15]
	v_fma_f64 v[10:11], v[34:35], v[10:11], v[12:13]
	v_mul_f64 v[12:13], v[32:33], v[30:31]
	v_add_f64 v[16:17], v[44:45], v[14:15]
	v_add_f64 v[14:15], v[10:11], v[46:47]
	v_mul_f64 v[10:11], v[34:35], v[30:31]
	v_fma_f64 v[10:11], v[32:33], v[28:29], -v[10:11]
	v_fma_f64 v[28:29], v[34:35], v[28:29], v[12:13]
	v_add_f64 v[12:13], v[48:49], v[10:11]
	v_add_f64 v[10:11], v[28:29], v[50:51]
	v_mov_b32_e32 v29, s9
	v_mov_b32_e32 v28, s8
	v_cmp_le_u64_e32 vcc, s[12:13], v[28:29]
	s_cbranch_vccz .LBB1624_2
	s_branch .LBB1624_4
.LBB1624_3:
	v_mov_b32_e32 v18, 0
	v_mov_b32_e32 v20, 0
	;; [unrolled: 1-line block ×16, first 2 shown]
.LBB1624_4:
	v_add_u32_e32 v4, s21, v1
	v_ashrrev_i32_e32 v1, 31, v4
	v_mul_lo_u32 v3, s2, v1
	v_mul_lo_u32 v5, s3, v4
	v_mad_u64_u32 v[1:2], s[0:1], s2, v4, 0
	s_load_dword s6, s[4:5], 0x0
	v_add_u32_e32 v0, s20, v0
	v_add3_u32 v2, v2, v3, v5
	v_lshlrev_b64 v[1:2], 4, v[1:2]
	s_waitcnt lgkmcnt(0)
	v_mov_b32_e32 v3, s17
	v_add_co_u32_e64 v5, s[0:1], s16, v1
	v_addc_co_u32_e64 v22, s[0:1], v3, v2, s[0:1]
	v_cmp_gt_i32_e32 vcc, s6, v4
	v_cmp_le_i32_e64 s[0:1], v0, v4
	s_and_b64 s[0:1], vcc, s[0:1]
	s_and_saveexec_b64 s[4:5], s[0:1]
	s_cbranch_execz .LBB1624_6
; %bb.5:
	v_ashrrev_i32_e32 v1, 31, v0
	v_lshlrev_b64 v[1:2], 4, v[0:1]
	v_add_co_u32_e64 v1, s[0:1], v5, v1
	v_addc_co_u32_e64 v2, s[0:1], v22, v2, s[0:1]
	flat_load_dwordx4 v[23:26], v[1:2]
	s_waitcnt vmcnt(0) lgkmcnt(0)
	v_add_f64 v[18:19], v[18:19], v[23:24]
	v_add_f64 v[20:21], v[20:21], v[25:26]
	flat_store_dwordx4 v[1:2], v[18:21]
.LBB1624_6:
	s_or_b64 exec, exec, s[4:5]
	v_add_u32_e32 v2, 16, v0
	v_cmp_le_i32_e64 s[0:1], v2, v4
	s_and_b64 s[4:5], vcc, s[0:1]
	s_and_saveexec_b64 s[0:1], s[4:5]
	s_cbranch_execz .LBB1624_8
; %bb.7:
	v_ashrrev_i32_e32 v3, 31, v2
	v_lshlrev_b64 v[18:19], 4, v[2:3]
	v_add_co_u32_e32 v23, vcc, v5, v18
	v_addc_co_u32_e32 v24, vcc, v22, v19, vcc
	flat_load_dwordx4 v[18:21], v[23:24]
	s_waitcnt vmcnt(0) lgkmcnt(0)
	v_add_f64 v[18:19], v[8:9], v[18:19]
	v_add_f64 v[20:21], v[6:7], v[20:21]
	flat_store_dwordx4 v[23:24], v[18:21]
.LBB1624_8:
	s_or_b64 exec, exec, s[0:1]
	v_add_u32_e32 v3, 16, v4
	v_ashrrev_i32_e32 v1, 31, v3
	v_mul_lo_u32 v1, s2, v1
	v_mul_lo_u32 v6, s3, v3
	v_mad_u64_u32 v[4:5], s[0:1], s2, v3, 0
	v_cmp_gt_i32_e32 vcc, s6, v3
	v_add3_u32 v5, v5, v1, v6
	v_lshlrev_b64 v[4:5], 4, v[4:5]
	v_mov_b32_e32 v1, s17
	v_add_co_u32_e64 v4, s[0:1], s16, v4
	v_addc_co_u32_e64 v5, s[0:1], v1, v5, s[0:1]
	v_cmp_le_i32_e64 s[0:1], v0, v3
	s_and_b64 s[0:1], vcc, s[0:1]
	s_and_saveexec_b64 s[2:3], s[0:1]
	s_cbranch_execz .LBB1624_10
; %bb.9:
	v_ashrrev_i32_e32 v1, 31, v0
	v_lshlrev_b64 v[0:1], 4, v[0:1]
	v_add_co_u32_e64 v0, s[0:1], v4, v0
	v_addc_co_u32_e64 v1, s[0:1], v5, v1, s[0:1]
	flat_load_dwordx4 v[6:9], v[0:1]
	s_waitcnt vmcnt(0) lgkmcnt(0)
	v_add_f64 v[6:7], v[16:17], v[6:7]
	v_add_f64 v[8:9], v[14:15], v[8:9]
	flat_store_dwordx4 v[0:1], v[6:9]
.LBB1624_10:
	s_or_b64 exec, exec, s[2:3]
	v_cmp_le_i32_e64 s[0:1], v2, v3
	s_and_b64 s[0:1], vcc, s[0:1]
	s_and_saveexec_b64 s[2:3], s[0:1]
	s_cbranch_execz .LBB1624_12
; %bb.11:
	v_ashrrev_i32_e32 v3, 31, v2
	v_lshlrev_b64 v[0:1], 4, v[2:3]
	v_add_co_u32_e32 v4, vcc, v4, v0
	v_addc_co_u32_e32 v5, vcc, v5, v1, vcc
	flat_load_dwordx4 v[0:3], v[4:5]
	s_waitcnt vmcnt(0) lgkmcnt(0)
	v_add_f64 v[0:1], v[12:13], v[0:1]
	v_add_f64 v[2:3], v[10:11], v[2:3]
	flat_store_dwordx4 v[4:5], v[0:3]
.LBB1624_12:
	s_endpgm
	.section	.rodata,"a",@progbits
	.p2align	6, 0x0
	.amdhsa_kernel _ZL37rocblas_syrkx_herkx_restricted_kernelIl19rocblas_complex_numIdELi16ELi32ELi8ELi1ELi1ELb0ELc78ELc85EKPKS1_KPS1_EviT_PT9_S7_lS9_S7_lPT10_S7_li
		.amdhsa_group_segment_fixed_size 8192
		.amdhsa_private_segment_fixed_size 0
		.amdhsa_kernarg_size 92
		.amdhsa_user_sgpr_count 6
		.amdhsa_user_sgpr_private_segment_buffer 1
		.amdhsa_user_sgpr_dispatch_ptr 0
		.amdhsa_user_sgpr_queue_ptr 0
		.amdhsa_user_sgpr_kernarg_segment_ptr 1
		.amdhsa_user_sgpr_dispatch_id 0
		.amdhsa_user_sgpr_flat_scratch_init 0
		.amdhsa_user_sgpr_private_segment_size 0
		.amdhsa_uses_dynamic_stack 0
		.amdhsa_system_sgpr_private_segment_wavefront_offset 0
		.amdhsa_system_sgpr_workgroup_id_x 1
		.amdhsa_system_sgpr_workgroup_id_y 1
		.amdhsa_system_sgpr_workgroup_id_z 1
		.amdhsa_system_sgpr_workgroup_info 0
		.amdhsa_system_vgpr_workitem_id 1
		.amdhsa_next_free_vgpr 54
		.amdhsa_next_free_sgpr 61
		.amdhsa_reserve_vcc 1
		.amdhsa_reserve_flat_scratch 0
		.amdhsa_float_round_mode_32 0
		.amdhsa_float_round_mode_16_64 0
		.amdhsa_float_denorm_mode_32 3
		.amdhsa_float_denorm_mode_16_64 3
		.amdhsa_dx10_clamp 1
		.amdhsa_ieee_mode 1
		.amdhsa_fp16_overflow 0
		.amdhsa_exception_fp_ieee_invalid_op 0
		.amdhsa_exception_fp_denorm_src 0
		.amdhsa_exception_fp_ieee_div_zero 0
		.amdhsa_exception_fp_ieee_overflow 0
		.amdhsa_exception_fp_ieee_underflow 0
		.amdhsa_exception_fp_ieee_inexact 0
		.amdhsa_exception_int_div_zero 0
	.end_amdhsa_kernel
	.section	.text._ZL37rocblas_syrkx_herkx_restricted_kernelIl19rocblas_complex_numIdELi16ELi32ELi8ELi1ELi1ELb0ELc78ELc85EKPKS1_KPS1_EviT_PT9_S7_lS9_S7_lPT10_S7_li,"axG",@progbits,_ZL37rocblas_syrkx_herkx_restricted_kernelIl19rocblas_complex_numIdELi16ELi32ELi8ELi1ELi1ELb0ELc78ELc85EKPKS1_KPS1_EviT_PT9_S7_lS9_S7_lPT10_S7_li,comdat
.Lfunc_end1624:
	.size	_ZL37rocblas_syrkx_herkx_restricted_kernelIl19rocblas_complex_numIdELi16ELi32ELi8ELi1ELi1ELb0ELc78ELc85EKPKS1_KPS1_EviT_PT9_S7_lS9_S7_lPT10_S7_li, .Lfunc_end1624-_ZL37rocblas_syrkx_herkx_restricted_kernelIl19rocblas_complex_numIdELi16ELi32ELi8ELi1ELi1ELb0ELc78ELc85EKPKS1_KPS1_EviT_PT9_S7_lS9_S7_lPT10_S7_li
                                        ; -- End function
	.set _ZL37rocblas_syrkx_herkx_restricted_kernelIl19rocblas_complex_numIdELi16ELi32ELi8ELi1ELi1ELb0ELc78ELc85EKPKS1_KPS1_EviT_PT9_S7_lS9_S7_lPT10_S7_li.num_vgpr, 54
	.set _ZL37rocblas_syrkx_herkx_restricted_kernelIl19rocblas_complex_numIdELi16ELi32ELi8ELi1ELi1ELb0ELc78ELc85EKPKS1_KPS1_EviT_PT9_S7_lS9_S7_lPT10_S7_li.num_agpr, 0
	.set _ZL37rocblas_syrkx_herkx_restricted_kernelIl19rocblas_complex_numIdELi16ELi32ELi8ELi1ELi1ELb0ELc78ELc85EKPKS1_KPS1_EviT_PT9_S7_lS9_S7_lPT10_S7_li.numbered_sgpr, 22
	.set _ZL37rocblas_syrkx_herkx_restricted_kernelIl19rocblas_complex_numIdELi16ELi32ELi8ELi1ELi1ELb0ELc78ELc85EKPKS1_KPS1_EviT_PT9_S7_lS9_S7_lPT10_S7_li.num_named_barrier, 0
	.set _ZL37rocblas_syrkx_herkx_restricted_kernelIl19rocblas_complex_numIdELi16ELi32ELi8ELi1ELi1ELb0ELc78ELc85EKPKS1_KPS1_EviT_PT9_S7_lS9_S7_lPT10_S7_li.private_seg_size, 0
	.set _ZL37rocblas_syrkx_herkx_restricted_kernelIl19rocblas_complex_numIdELi16ELi32ELi8ELi1ELi1ELb0ELc78ELc85EKPKS1_KPS1_EviT_PT9_S7_lS9_S7_lPT10_S7_li.uses_vcc, 1
	.set _ZL37rocblas_syrkx_herkx_restricted_kernelIl19rocblas_complex_numIdELi16ELi32ELi8ELi1ELi1ELb0ELc78ELc85EKPKS1_KPS1_EviT_PT9_S7_lS9_S7_lPT10_S7_li.uses_flat_scratch, 0
	.set _ZL37rocblas_syrkx_herkx_restricted_kernelIl19rocblas_complex_numIdELi16ELi32ELi8ELi1ELi1ELb0ELc78ELc85EKPKS1_KPS1_EviT_PT9_S7_lS9_S7_lPT10_S7_li.has_dyn_sized_stack, 0
	.set _ZL37rocblas_syrkx_herkx_restricted_kernelIl19rocblas_complex_numIdELi16ELi32ELi8ELi1ELi1ELb0ELc78ELc85EKPKS1_KPS1_EviT_PT9_S7_lS9_S7_lPT10_S7_li.has_recursion, 0
	.set _ZL37rocblas_syrkx_herkx_restricted_kernelIl19rocblas_complex_numIdELi16ELi32ELi8ELi1ELi1ELb0ELc78ELc85EKPKS1_KPS1_EviT_PT9_S7_lS9_S7_lPT10_S7_li.has_indirect_call, 0
	.section	.AMDGPU.csdata,"",@progbits
; Kernel info:
; codeLenInByte = 2924
; TotalNumSgprs: 26
; NumVgprs: 54
; ScratchSize: 0
; MemoryBound: 0
; FloatMode: 240
; IeeeMode: 1
; LDSByteSize: 8192 bytes/workgroup (compile time only)
; SGPRBlocks: 8
; VGPRBlocks: 13
; NumSGPRsForWavesPerEU: 65
; NumVGPRsForWavesPerEU: 54
; Occupancy: 4
; WaveLimiterHint : 1
; COMPUTE_PGM_RSRC2:SCRATCH_EN: 0
; COMPUTE_PGM_RSRC2:USER_SGPR: 6
; COMPUTE_PGM_RSRC2:TRAP_HANDLER: 0
; COMPUTE_PGM_RSRC2:TGID_X_EN: 1
; COMPUTE_PGM_RSRC2:TGID_Y_EN: 1
; COMPUTE_PGM_RSRC2:TGID_Z_EN: 1
; COMPUTE_PGM_RSRC2:TIDIG_COMP_CNT: 1
	.section	.text._ZL37rocblas_syrkx_herkx_restricted_kernelIl19rocblas_complex_numIdELi16ELi32ELi8ELi1ELin1ELb0ELc84ELc76EKPKS1_KPS1_EviT_PT9_S7_lS9_S7_lPT10_S7_li,"axG",@progbits,_ZL37rocblas_syrkx_herkx_restricted_kernelIl19rocblas_complex_numIdELi16ELi32ELi8ELi1ELin1ELb0ELc84ELc76EKPKS1_KPS1_EviT_PT9_S7_lS9_S7_lPT10_S7_li,comdat
	.globl	_ZL37rocblas_syrkx_herkx_restricted_kernelIl19rocblas_complex_numIdELi16ELi32ELi8ELi1ELin1ELb0ELc84ELc76EKPKS1_KPS1_EviT_PT9_S7_lS9_S7_lPT10_S7_li ; -- Begin function _ZL37rocblas_syrkx_herkx_restricted_kernelIl19rocblas_complex_numIdELi16ELi32ELi8ELi1ELin1ELb0ELc84ELc76EKPKS1_KPS1_EviT_PT9_S7_lS9_S7_lPT10_S7_li
	.p2align	8
	.type	_ZL37rocblas_syrkx_herkx_restricted_kernelIl19rocblas_complex_numIdELi16ELi32ELi8ELi1ELin1ELb0ELc84ELc76EKPKS1_KPS1_EviT_PT9_S7_lS9_S7_lPT10_S7_li,@function
_ZL37rocblas_syrkx_herkx_restricted_kernelIl19rocblas_complex_numIdELi16ELi32ELi8ELi1ELin1ELb0ELc84ELc76EKPKS1_KPS1_EviT_PT9_S7_lS9_S7_lPT10_S7_li: ; @_ZL37rocblas_syrkx_herkx_restricted_kernelIl19rocblas_complex_numIdELi16ELi32ELi8ELi1ELin1ELb0ELc84ELc76EKPKS1_KPS1_EviT_PT9_S7_lS9_S7_lPT10_S7_li
; %bb.0:
	s_load_dwordx4 s[12:15], s[4:5], 0x40
	s_load_dwordx4 s[0:3], s[4:5], 0x8
	s_mov_b32 s9, 0
	s_lshl_b64 s[10:11], s[8:9], 3
	s_waitcnt lgkmcnt(0)
	s_add_u32 s8, s12, s10
	s_addc_u32 s9, s13, s11
	s_load_dwordx2 s[8:9], s[8:9], 0x0
	v_cmp_lt_i64_e64 s[12:13], s[0:1], 1
	s_lshl_b32 s6, s6, 5
	s_lshl_b32 s7, s7, 5
	s_and_b64 vcc, exec, s[12:13]
	s_cbranch_vccnz .LBB1625_3
; %bb.1:
	s_load_dwordx2 s[12:13], s[4:5], 0x18
	s_load_dwordx4 s[16:19], s[4:5], 0x28
	v_lshl_add_u32 v6, v1, 4, v0
	v_lshrrev_b32_e32 v8, 3, v6
	v_add_u32_e32 v4, s7, v8
	v_ashrrev_i32_e32 v5, 31, v4
	v_and_b32_e32 v2, 7, v0
	v_mov_b32_e32 v3, 0
	s_waitcnt lgkmcnt(0)
	v_mul_lo_u32 v7, s18, v5
	v_mul_lo_u32 v9, s19, v4
	v_mad_u64_u32 v[4:5], s[18:19], s18, v4, v[2:3]
	s_add_u32 s2, s2, s10
	v_lshlrev_b32_e32 v2, 4, v2
	v_add3_u32 v5, v9, v5, v7
	v_and_b32_e32 v9, 31, v6
	s_addc_u32 s3, s3, s11
	v_lshl_or_b32 v2, v8, 7, v2
	v_add_u32_e32 v8, s6, v9
	s_add_u32 s10, s16, s10
	v_lshrrev_b32_e32 v6, 5, v6
	v_mov_b32_e32 v7, v3
	v_lshlrev_b32_e32 v3, 4, v9
	v_add_u32_e32 v23, 0x1000, v2
	v_ashrrev_i32_e32 v2, 31, v8
	s_addc_u32 s11, s17, s11
	v_lshl_or_b32 v22, v6, 9, v3
	v_mul_lo_u32 v9, s12, v2
	v_mad_u64_u32 v[2:3], s[16:17], s12, v8, v[6:7]
	v_mul_lo_u32 v6, s13, v8
	s_load_dwordx2 s[2:3], s[2:3], 0x0
	v_lshlrev_b64 v[4:5], 4, v[4:5]
	s_load_dwordx2 s[10:11], s[10:11], 0x0
	v_add3_u32 v3, v6, v3, v9
	v_lshlrev_b64 v[2:3], 4, v[2:3]
	s_waitcnt lgkmcnt(0)
	v_mov_b32_e32 v6, s3
	v_add_co_u32_e32 v2, vcc, s2, v2
	v_addc_co_u32_e32 v3, vcc, v6, v3, vcc
	v_mov_b32_e32 v7, 0x1000
	v_mov_b32_e32 v6, s11
	v_add_co_u32_e32 v4, vcc, s10, v4
	v_lshl_add_u32 v25, v1, 7, v7
	v_addc_co_u32_e32 v5, vcc, v6, v5, vcc
	v_mov_b32_e32 v10, 0
	v_mov_b32_e32 v12, 0
	;; [unrolled: 1-line block ×8, first 2 shown]
	v_lshlrev_b32_e32 v24, 4, v0
	v_mov_b32_e32 v11, 0
	v_mov_b32_e32 v13, 0
	;; [unrolled: 1-line block ×8, first 2 shown]
	s_mov_b64 s[2:3], 0
.LBB1625_2:                             ; =>This Inner Loop Header: Depth=1
	flat_load_dwordx4 v[26:29], v[2:3]
	s_add_u32 s2, s2, 8
	v_add_co_u32_e32 v2, vcc, 0x80, v2
	s_addc_u32 s3, s3, 0
	v_addc_co_u32_e32 v3, vcc, 0, v3, vcc
	s_waitcnt vmcnt(0) lgkmcnt(0)
	ds_write_b128 v22, v[26:29]
	flat_load_dwordx4 v[26:29], v[4:5]
	v_add_co_u32_e32 v4, vcc, 0x80, v4
	v_addc_co_u32_e32 v5, vcc, 0, v5, vcc
	s_waitcnt vmcnt(0) lgkmcnt(0)
	ds_write_b128 v23, v[26:29]
	s_waitcnt lgkmcnt(0)
	s_barrier
	ds_read_b128 v[26:29], v25
	ds_read_b128 v[30:33], v25 offset:16
	ds_read_b128 v[34:37], v25 offset:32
	;; [unrolled: 1-line block ×3, first 2 shown]
	ds_read_b128 v[42:45], v24
	s_waitcnt lgkmcnt(0)
	v_mul_f64 v[46:47], v[28:29], v[44:45]
	v_mul_f64 v[48:49], v[26:27], v[44:45]
	v_fma_f64 v[46:47], v[26:27], v[42:43], -v[46:47]
	v_fma_f64 v[48:49], v[28:29], v[42:43], v[48:49]
	v_add_f64 v[46:47], v[14:15], v[46:47]
	v_add_f64 v[48:49], v[48:49], v[16:17]
	ds_read_b128 v[14:17], v24 offset:256
	s_waitcnt lgkmcnt(0)
	v_mul_f64 v[50:51], v[28:29], v[16:17]
	v_fma_f64 v[50:51], v[26:27], v[14:15], -v[50:51]
	v_mul_f64 v[26:27], v[26:27], v[16:17]
	v_fma_f64 v[26:27], v[28:29], v[14:15], v[26:27]
	v_add_f64 v[28:29], v[8:9], v[50:51]
	v_add_f64 v[26:27], v[26:27], v[6:7]
	ds_read_b128 v[6:9], v25 offset:2048
	s_waitcnt lgkmcnt(0)
	v_mul_f64 v[50:51], v[8:9], v[44:45]
	v_mul_f64 v[44:45], v[6:7], v[44:45]
	v_fma_f64 v[50:51], v[6:7], v[42:43], -v[50:51]
	v_fma_f64 v[42:43], v[8:9], v[42:43], v[44:45]
	v_add_f64 v[20:21], v[20:21], v[50:51]
	v_add_f64 v[18:19], v[42:43], v[18:19]
	v_mul_f64 v[42:43], v[8:9], v[16:17]
	v_fma_f64 v[42:43], v[6:7], v[14:15], -v[42:43]
	v_mul_f64 v[6:7], v[6:7], v[16:17]
	v_add_f64 v[42:43], v[12:13], v[42:43]
	v_fma_f64 v[6:7], v[8:9], v[14:15], v[6:7]
	v_add_f64 v[44:45], v[6:7], v[10:11]
	ds_read_b128 v[6:9], v24 offset:512
	s_waitcnt lgkmcnt(0)
	v_mul_f64 v[10:11], v[32:33], v[8:9]
	v_mul_f64 v[12:13], v[30:31], v[8:9]
	v_fma_f64 v[10:11], v[30:31], v[6:7], -v[10:11]
	v_fma_f64 v[12:13], v[32:33], v[6:7], v[12:13]
	v_add_f64 v[46:47], v[46:47], v[10:11]
	v_add_f64 v[48:49], v[12:13], v[48:49]
	ds_read_b128 v[10:13], v24 offset:768
	s_waitcnt lgkmcnt(0)
	v_mul_f64 v[14:15], v[32:33], v[12:13]
	v_mul_f64 v[16:17], v[30:31], v[12:13]
	v_fma_f64 v[14:15], v[30:31], v[10:11], -v[14:15]
	v_fma_f64 v[16:17], v[32:33], v[10:11], v[16:17]
	v_add_f64 v[28:29], v[28:29], v[14:15]
	v_add_f64 v[26:27], v[16:17], v[26:27]
	ds_read_b128 v[14:17], v25 offset:2064
	s_waitcnt lgkmcnt(0)
	v_mul_f64 v[30:31], v[16:17], v[8:9]
	v_mul_f64 v[8:9], v[14:15], v[8:9]
	v_fma_f64 v[30:31], v[14:15], v[6:7], -v[30:31]
	v_fma_f64 v[6:7], v[16:17], v[6:7], v[8:9]
	v_mul_f64 v[8:9], v[14:15], v[12:13]
	v_add_f64 v[20:21], v[20:21], v[30:31]
	v_add_f64 v[18:19], v[6:7], v[18:19]
	v_mul_f64 v[6:7], v[16:17], v[12:13]
	v_fma_f64 v[8:9], v[16:17], v[10:11], v[8:9]
	v_fma_f64 v[6:7], v[14:15], v[10:11], -v[6:7]
	v_add_f64 v[32:33], v[8:9], v[44:45]
	v_add_f64 v[30:31], v[42:43], v[6:7]
	ds_read_b128 v[6:9], v24 offset:1024
	s_waitcnt lgkmcnt(0)
	v_mul_f64 v[10:11], v[36:37], v[8:9]
	v_mul_f64 v[12:13], v[34:35], v[8:9]
	v_fma_f64 v[10:11], v[34:35], v[6:7], -v[10:11]
	v_fma_f64 v[12:13], v[36:37], v[6:7], v[12:13]
	v_add_f64 v[42:43], v[46:47], v[10:11]
	v_add_f64 v[44:45], v[12:13], v[48:49]
	ds_read_b128 v[10:13], v24 offset:1280
	s_waitcnt lgkmcnt(0)
	v_mul_f64 v[14:15], v[36:37], v[12:13]
	v_mul_f64 v[16:17], v[34:35], v[12:13]
	v_fma_f64 v[14:15], v[34:35], v[10:11], -v[14:15]
	v_fma_f64 v[16:17], v[36:37], v[10:11], v[16:17]
	v_add_f64 v[28:29], v[28:29], v[14:15]
	v_add_f64 v[26:27], v[16:17], v[26:27]
	ds_read_b128 v[14:17], v25 offset:2080
	s_waitcnt lgkmcnt(0)
	v_mul_f64 v[34:35], v[16:17], v[8:9]
	v_mul_f64 v[8:9], v[14:15], v[8:9]
	v_fma_f64 v[34:35], v[14:15], v[6:7], -v[34:35]
	v_fma_f64 v[6:7], v[16:17], v[6:7], v[8:9]
	v_mul_f64 v[8:9], v[14:15], v[12:13]
	v_add_f64 v[20:21], v[20:21], v[34:35]
	v_add_f64 v[18:19], v[6:7], v[18:19]
	v_mul_f64 v[6:7], v[16:17], v[12:13]
	v_fma_f64 v[8:9], v[16:17], v[10:11], v[8:9]
	v_fma_f64 v[6:7], v[14:15], v[10:11], -v[6:7]
	v_add_f64 v[32:33], v[8:9], v[32:33]
	;; [unrolled: 30-line block ×3, first 2 shown]
	v_add_f64 v[30:31], v[30:31], v[6:7]
	ds_read_b128 v[6:9], v25 offset:64
	ds_read_b128 v[10:13], v24 offset:2048
	s_waitcnt lgkmcnt(0)
	v_mul_f64 v[14:15], v[8:9], v[12:13]
	v_mul_f64 v[16:17], v[6:7], v[12:13]
	v_fma_f64 v[14:15], v[6:7], v[10:11], -v[14:15]
	v_fma_f64 v[16:17], v[8:9], v[10:11], v[16:17]
	v_add_f64 v[34:35], v[34:35], v[14:15]
	v_add_f64 v[36:37], v[16:17], v[36:37]
	ds_read_b128 v[14:17], v24 offset:2304
	s_waitcnt lgkmcnt(0)
	v_mul_f64 v[38:39], v[8:9], v[16:17]
	v_fma_f64 v[38:39], v[6:7], v[14:15], -v[38:39]
	v_mul_f64 v[6:7], v[6:7], v[16:17]
	v_add_f64 v[28:29], v[28:29], v[38:39]
	v_fma_f64 v[6:7], v[8:9], v[14:15], v[6:7]
	v_add_f64 v[26:27], v[6:7], v[26:27]
	ds_read_b128 v[6:9], v25 offset:2112
	s_waitcnt lgkmcnt(0)
	v_mul_f64 v[38:39], v[8:9], v[12:13]
	v_mul_f64 v[12:13], v[6:7], v[12:13]
	v_fma_f64 v[38:39], v[6:7], v[10:11], -v[38:39]
	v_fma_f64 v[10:11], v[8:9], v[10:11], v[12:13]
	v_add_f64 v[20:21], v[20:21], v[38:39]
	v_add_f64 v[18:19], v[10:11], v[18:19]
	v_mul_f64 v[10:11], v[8:9], v[16:17]
	v_fma_f64 v[10:11], v[6:7], v[14:15], -v[10:11]
	v_mul_f64 v[6:7], v[6:7], v[16:17]
	v_add_f64 v[30:31], v[30:31], v[10:11]
	v_fma_f64 v[6:7], v[8:9], v[14:15], v[6:7]
	v_add_f64 v[32:33], v[6:7], v[32:33]
	ds_read_b128 v[6:9], v25 offset:80
	ds_read_b128 v[10:13], v24 offset:2560
	s_waitcnt lgkmcnt(0)
	v_mul_f64 v[14:15], v[8:9], v[12:13]
	v_mul_f64 v[16:17], v[6:7], v[12:13]
	v_fma_f64 v[14:15], v[6:7], v[10:11], -v[14:15]
	v_fma_f64 v[16:17], v[8:9], v[10:11], v[16:17]
	v_add_f64 v[34:35], v[34:35], v[14:15]
	v_add_f64 v[36:37], v[16:17], v[36:37]
	ds_read_b128 v[14:17], v24 offset:2816
	s_waitcnt lgkmcnt(0)
	v_mul_f64 v[38:39], v[8:9], v[16:17]
	v_fma_f64 v[38:39], v[6:7], v[14:15], -v[38:39]
	v_mul_f64 v[6:7], v[6:7], v[16:17]
	v_add_f64 v[28:29], v[28:29], v[38:39]
	v_fma_f64 v[6:7], v[8:9], v[14:15], v[6:7]
	v_add_f64 v[26:27], v[6:7], v[26:27]
	ds_read_b128 v[6:9], v25 offset:2128
	s_waitcnt lgkmcnt(0)
	v_mul_f64 v[38:39], v[8:9], v[12:13]
	v_mul_f64 v[12:13], v[6:7], v[12:13]
	v_fma_f64 v[38:39], v[6:7], v[10:11], -v[38:39]
	v_fma_f64 v[10:11], v[8:9], v[10:11], v[12:13]
	v_add_f64 v[20:21], v[20:21], v[38:39]
	v_add_f64 v[18:19], v[10:11], v[18:19]
	v_mul_f64 v[10:11], v[8:9], v[16:17]
	v_fma_f64 v[10:11], v[6:7], v[14:15], -v[10:11]
	v_mul_f64 v[6:7], v[6:7], v[16:17]
	v_add_f64 v[30:31], v[30:31], v[10:11]
	v_fma_f64 v[6:7], v[8:9], v[14:15], v[6:7]
	;; [unrolled: 31-line block ×3, first 2 shown]
	v_add_f64 v[44:45], v[6:7], v[32:33]
	ds_read_b128 v[6:9], v25 offset:112
	ds_read_b128 v[10:13], v24 offset:3584
	;; [unrolled: 1-line block ×3, first 2 shown]
	s_waitcnt lgkmcnt(1)
	v_mul_f64 v[14:15], v[8:9], v[12:13]
	s_waitcnt lgkmcnt(0)
	v_mul_f64 v[30:31], v[8:9], v[28:29]
	v_mul_f64 v[16:17], v[6:7], v[12:13]
	v_fma_f64 v[14:15], v[6:7], v[10:11], -v[14:15]
	v_fma_f64 v[30:31], v[6:7], v[26:27], -v[30:31]
	v_mul_f64 v[6:7], v[6:7], v[28:29]
	v_fma_f64 v[16:17], v[8:9], v[10:11], v[16:17]
	v_add_f64 v[14:15], v[34:35], v[14:15]
	v_fma_f64 v[6:7], v[8:9], v[26:27], v[6:7]
	v_add_f64 v[8:9], v[38:39], v[30:31]
	ds_read_b128 v[30:33], v25 offset:2160
	v_add_f64 v[16:17], v[16:17], v[36:37]
	s_waitcnt lgkmcnt(0)
	s_barrier
	v_mul_f64 v[34:35], v[32:33], v[12:13]
	v_mul_f64 v[12:13], v[30:31], v[12:13]
	v_add_f64 v[6:7], v[6:7], v[40:41]
	v_fma_f64 v[34:35], v[30:31], v[10:11], -v[34:35]
	v_fma_f64 v[10:11], v[32:33], v[10:11], v[12:13]
	v_mul_f64 v[12:13], v[30:31], v[28:29]
	v_add_f64 v[20:21], v[20:21], v[34:35]
	v_add_f64 v[18:19], v[10:11], v[18:19]
	v_mul_f64 v[10:11], v[32:33], v[28:29]
	v_fma_f64 v[10:11], v[30:31], v[26:27], -v[10:11]
	v_fma_f64 v[26:27], v[32:33], v[26:27], v[12:13]
	v_add_f64 v[12:13], v[42:43], v[10:11]
	v_add_f64 v[10:11], v[26:27], v[44:45]
	v_mov_b32_e32 v27, s3
	v_mov_b32_e32 v26, s2
	v_cmp_le_u64_e32 vcc, s[0:1], v[26:27]
	s_cbranch_vccz .LBB1625_2
	s_branch .LBB1625_4
.LBB1625_3:
	v_mov_b32_e32 v14, 0
	v_mov_b32_e32 v16, 0
	;; [unrolled: 1-line block ×16, first 2 shown]
.LBB1625_4:
	v_add_u32_e32 v4, s7, v1
	v_ashrrev_i32_e32 v1, 31, v4
	v_mul_lo_u32 v3, s14, v1
	v_mul_lo_u32 v5, s15, v4
	v_mad_u64_u32 v[1:2], s[0:1], s14, v4, 0
	s_load_dword s4, s[4:5], 0x0
	v_add_u32_e32 v0, s6, v0
	v_add3_u32 v2, v2, v3, v5
	v_lshlrev_b64 v[1:2], 4, v[1:2]
	s_waitcnt lgkmcnt(0)
	v_mov_b32_e32 v3, s9
	v_add_co_u32_e32 v5, vcc, s8, v1
	v_addc_co_u32_e32 v22, vcc, v3, v2, vcc
	v_cmp_le_i32_e64 s[0:1], v4, v0
	v_cmp_gt_i32_e32 vcc, s4, v0
	s_and_b64 s[0:1], s[0:1], vcc
	s_and_saveexec_b64 s[2:3], s[0:1]
	s_cbranch_execz .LBB1625_6
; %bb.5:
	v_ashrrev_i32_e32 v1, 31, v0
	v_lshlrev_b64 v[1:2], 4, v[0:1]
	v_add_co_u32_e64 v1, s[0:1], v5, v1
	v_addc_co_u32_e64 v2, s[0:1], v22, v2, s[0:1]
	flat_load_dwordx4 v[23:26], v[1:2]
	s_waitcnt vmcnt(0) lgkmcnt(0)
	v_add_f64 v[14:15], v[14:15], -v[23:24]
	v_add_f64 v[16:17], v[16:17], -v[25:26]
	flat_store_dwordx4 v[1:2], v[14:17]
.LBB1625_6:
	s_or_b64 exec, exec, s[2:3]
	v_add_u32_e32 v2, 16, v0
	v_cmp_le_i32_e64 s[2:3], v4, v2
	v_cmp_gt_i32_e64 s[0:1], s4, v2
	s_and_b64 s[2:3], s[2:3], s[0:1]
	s_and_saveexec_b64 s[4:5], s[2:3]
	s_cbranch_execz .LBB1625_8
; %bb.7:
	v_ashrrev_i32_e32 v3, 31, v2
	v_lshlrev_b64 v[14:15], 4, v[2:3]
	v_add_co_u32_e64 v23, s[2:3], v5, v14
	v_addc_co_u32_e64 v24, s[2:3], v22, v15, s[2:3]
	flat_load_dwordx4 v[14:17], v[23:24]
	s_waitcnt vmcnt(0) lgkmcnt(0)
	v_add_f64 v[14:15], v[8:9], -v[14:15]
	v_add_f64 v[16:17], v[6:7], -v[16:17]
	flat_store_dwordx4 v[23:24], v[14:17]
.LBB1625_8:
	s_or_b64 exec, exec, s[4:5]
	v_add_u32_e32 v3, 16, v4
	v_ashrrev_i32_e32 v1, 31, v3
	v_mul_lo_u32 v6, s15, v3
	v_mad_u64_u32 v[4:5], s[2:3], s14, v3, 0
	v_mul_lo_u32 v1, s14, v1
	v_add3_u32 v5, v5, v1, v6
	v_lshlrev_b64 v[4:5], 4, v[4:5]
	v_mov_b32_e32 v1, s9
	v_add_co_u32_e64 v4, s[2:3], s8, v4
	v_addc_co_u32_e64 v5, s[2:3], v1, v5, s[2:3]
	v_cmp_le_i32_e64 s[2:3], v3, v0
	s_and_b64 s[4:5], s[2:3], vcc
	s_and_saveexec_b64 s[2:3], s[4:5]
	s_cbranch_execz .LBB1625_10
; %bb.9:
	v_ashrrev_i32_e32 v1, 31, v0
	v_lshlrev_b64 v[0:1], 4, v[0:1]
	v_add_co_u32_e32 v0, vcc, v4, v0
	v_addc_co_u32_e32 v1, vcc, v5, v1, vcc
	flat_load_dwordx4 v[6:9], v[0:1]
	s_waitcnt vmcnt(0) lgkmcnt(0)
	v_add_f64 v[6:7], v[20:21], -v[6:7]
	v_add_f64 v[8:9], v[18:19], -v[8:9]
	flat_store_dwordx4 v[0:1], v[6:9]
.LBB1625_10:
	s_or_b64 exec, exec, s[2:3]
	v_cmp_le_i32_e32 vcc, v3, v2
	s_and_b64 s[0:1], vcc, s[0:1]
	s_and_saveexec_b64 s[2:3], s[0:1]
	s_cbranch_execz .LBB1625_12
; %bb.11:
	v_ashrrev_i32_e32 v3, 31, v2
	v_lshlrev_b64 v[0:1], 4, v[2:3]
	v_add_co_u32_e32 v4, vcc, v4, v0
	v_addc_co_u32_e32 v5, vcc, v5, v1, vcc
	flat_load_dwordx4 v[0:3], v[4:5]
	s_waitcnt vmcnt(0) lgkmcnt(0)
	v_add_f64 v[0:1], v[12:13], -v[0:1]
	v_add_f64 v[2:3], v[10:11], -v[2:3]
	flat_store_dwordx4 v[4:5], v[0:3]
.LBB1625_12:
	s_endpgm
	.section	.rodata,"a",@progbits
	.p2align	6, 0x0
	.amdhsa_kernel _ZL37rocblas_syrkx_herkx_restricted_kernelIl19rocblas_complex_numIdELi16ELi32ELi8ELi1ELin1ELb0ELc84ELc76EKPKS1_KPS1_EviT_PT9_S7_lS9_S7_lPT10_S7_li
		.amdhsa_group_segment_fixed_size 8192
		.amdhsa_private_segment_fixed_size 0
		.amdhsa_kernarg_size 92
		.amdhsa_user_sgpr_count 6
		.amdhsa_user_sgpr_private_segment_buffer 1
		.amdhsa_user_sgpr_dispatch_ptr 0
		.amdhsa_user_sgpr_queue_ptr 0
		.amdhsa_user_sgpr_kernarg_segment_ptr 1
		.amdhsa_user_sgpr_dispatch_id 0
		.amdhsa_user_sgpr_flat_scratch_init 0
		.amdhsa_user_sgpr_private_segment_size 0
		.amdhsa_uses_dynamic_stack 0
		.amdhsa_system_sgpr_private_segment_wavefront_offset 0
		.amdhsa_system_sgpr_workgroup_id_x 1
		.amdhsa_system_sgpr_workgroup_id_y 1
		.amdhsa_system_sgpr_workgroup_id_z 1
		.amdhsa_system_sgpr_workgroup_info 0
		.amdhsa_system_vgpr_workitem_id 1
		.amdhsa_next_free_vgpr 52
		.amdhsa_next_free_sgpr 61
		.amdhsa_reserve_vcc 1
		.amdhsa_reserve_flat_scratch 0
		.amdhsa_float_round_mode_32 0
		.amdhsa_float_round_mode_16_64 0
		.amdhsa_float_denorm_mode_32 3
		.amdhsa_float_denorm_mode_16_64 3
		.amdhsa_dx10_clamp 1
		.amdhsa_ieee_mode 1
		.amdhsa_fp16_overflow 0
		.amdhsa_exception_fp_ieee_invalid_op 0
		.amdhsa_exception_fp_denorm_src 0
		.amdhsa_exception_fp_ieee_div_zero 0
		.amdhsa_exception_fp_ieee_overflow 0
		.amdhsa_exception_fp_ieee_underflow 0
		.amdhsa_exception_fp_ieee_inexact 0
		.amdhsa_exception_int_div_zero 0
	.end_amdhsa_kernel
	.section	.text._ZL37rocblas_syrkx_herkx_restricted_kernelIl19rocblas_complex_numIdELi16ELi32ELi8ELi1ELin1ELb0ELc84ELc76EKPKS1_KPS1_EviT_PT9_S7_lS9_S7_lPT10_S7_li,"axG",@progbits,_ZL37rocblas_syrkx_herkx_restricted_kernelIl19rocblas_complex_numIdELi16ELi32ELi8ELi1ELin1ELb0ELc84ELc76EKPKS1_KPS1_EviT_PT9_S7_lS9_S7_lPT10_S7_li,comdat
.Lfunc_end1625:
	.size	_ZL37rocblas_syrkx_herkx_restricted_kernelIl19rocblas_complex_numIdELi16ELi32ELi8ELi1ELin1ELb0ELc84ELc76EKPKS1_KPS1_EviT_PT9_S7_lS9_S7_lPT10_S7_li, .Lfunc_end1625-_ZL37rocblas_syrkx_herkx_restricted_kernelIl19rocblas_complex_numIdELi16ELi32ELi8ELi1ELin1ELb0ELc84ELc76EKPKS1_KPS1_EviT_PT9_S7_lS9_S7_lPT10_S7_li
                                        ; -- End function
	.set _ZL37rocblas_syrkx_herkx_restricted_kernelIl19rocblas_complex_numIdELi16ELi32ELi8ELi1ELin1ELb0ELc84ELc76EKPKS1_KPS1_EviT_PT9_S7_lS9_S7_lPT10_S7_li.num_vgpr, 52
	.set _ZL37rocblas_syrkx_herkx_restricted_kernelIl19rocblas_complex_numIdELi16ELi32ELi8ELi1ELin1ELb0ELc84ELc76EKPKS1_KPS1_EviT_PT9_S7_lS9_S7_lPT10_S7_li.num_agpr, 0
	.set _ZL37rocblas_syrkx_herkx_restricted_kernelIl19rocblas_complex_numIdELi16ELi32ELi8ELi1ELin1ELb0ELc84ELc76EKPKS1_KPS1_EviT_PT9_S7_lS9_S7_lPT10_S7_li.numbered_sgpr, 20
	.set _ZL37rocblas_syrkx_herkx_restricted_kernelIl19rocblas_complex_numIdELi16ELi32ELi8ELi1ELin1ELb0ELc84ELc76EKPKS1_KPS1_EviT_PT9_S7_lS9_S7_lPT10_S7_li.num_named_barrier, 0
	.set _ZL37rocblas_syrkx_herkx_restricted_kernelIl19rocblas_complex_numIdELi16ELi32ELi8ELi1ELin1ELb0ELc84ELc76EKPKS1_KPS1_EviT_PT9_S7_lS9_S7_lPT10_S7_li.private_seg_size, 0
	.set _ZL37rocblas_syrkx_herkx_restricted_kernelIl19rocblas_complex_numIdELi16ELi32ELi8ELi1ELin1ELb0ELc84ELc76EKPKS1_KPS1_EviT_PT9_S7_lS9_S7_lPT10_S7_li.uses_vcc, 1
	.set _ZL37rocblas_syrkx_herkx_restricted_kernelIl19rocblas_complex_numIdELi16ELi32ELi8ELi1ELin1ELb0ELc84ELc76EKPKS1_KPS1_EviT_PT9_S7_lS9_S7_lPT10_S7_li.uses_flat_scratch, 0
	.set _ZL37rocblas_syrkx_herkx_restricted_kernelIl19rocblas_complex_numIdELi16ELi32ELi8ELi1ELin1ELb0ELc84ELc76EKPKS1_KPS1_EviT_PT9_S7_lS9_S7_lPT10_S7_li.has_dyn_sized_stack, 0
	.set _ZL37rocblas_syrkx_herkx_restricted_kernelIl19rocblas_complex_numIdELi16ELi32ELi8ELi1ELin1ELb0ELc84ELc76EKPKS1_KPS1_EviT_PT9_S7_lS9_S7_lPT10_S7_li.has_recursion, 0
	.set _ZL37rocblas_syrkx_herkx_restricted_kernelIl19rocblas_complex_numIdELi16ELi32ELi8ELi1ELin1ELb0ELc84ELc76EKPKS1_KPS1_EviT_PT9_S7_lS9_S7_lPT10_S7_li.has_indirect_call, 0
	.section	.AMDGPU.csdata,"",@progbits
; Kernel info:
; codeLenInByte = 2944
; TotalNumSgprs: 24
; NumVgprs: 52
; ScratchSize: 0
; MemoryBound: 0
; FloatMode: 240
; IeeeMode: 1
; LDSByteSize: 8192 bytes/workgroup (compile time only)
; SGPRBlocks: 8
; VGPRBlocks: 12
; NumSGPRsForWavesPerEU: 65
; NumVGPRsForWavesPerEU: 52
; Occupancy: 4
; WaveLimiterHint : 1
; COMPUTE_PGM_RSRC2:SCRATCH_EN: 0
; COMPUTE_PGM_RSRC2:USER_SGPR: 6
; COMPUTE_PGM_RSRC2:TRAP_HANDLER: 0
; COMPUTE_PGM_RSRC2:TGID_X_EN: 1
; COMPUTE_PGM_RSRC2:TGID_Y_EN: 1
; COMPUTE_PGM_RSRC2:TGID_Z_EN: 1
; COMPUTE_PGM_RSRC2:TIDIG_COMP_CNT: 1
	.section	.text._ZL37rocblas_syrkx_herkx_restricted_kernelIl19rocblas_complex_numIdELi16ELi32ELi8ELi1ELin1ELb0ELc67ELc76EKPKS1_KPS1_EviT_PT9_S7_lS9_S7_lPT10_S7_li,"axG",@progbits,_ZL37rocblas_syrkx_herkx_restricted_kernelIl19rocblas_complex_numIdELi16ELi32ELi8ELi1ELin1ELb0ELc67ELc76EKPKS1_KPS1_EviT_PT9_S7_lS9_S7_lPT10_S7_li,comdat
	.globl	_ZL37rocblas_syrkx_herkx_restricted_kernelIl19rocblas_complex_numIdELi16ELi32ELi8ELi1ELin1ELb0ELc67ELc76EKPKS1_KPS1_EviT_PT9_S7_lS9_S7_lPT10_S7_li ; -- Begin function _ZL37rocblas_syrkx_herkx_restricted_kernelIl19rocblas_complex_numIdELi16ELi32ELi8ELi1ELin1ELb0ELc67ELc76EKPKS1_KPS1_EviT_PT9_S7_lS9_S7_lPT10_S7_li
	.p2align	8
	.type	_ZL37rocblas_syrkx_herkx_restricted_kernelIl19rocblas_complex_numIdELi16ELi32ELi8ELi1ELin1ELb0ELc67ELc76EKPKS1_KPS1_EviT_PT9_S7_lS9_S7_lPT10_S7_li,@function
_ZL37rocblas_syrkx_herkx_restricted_kernelIl19rocblas_complex_numIdELi16ELi32ELi8ELi1ELin1ELb0ELc67ELc76EKPKS1_KPS1_EviT_PT9_S7_lS9_S7_lPT10_S7_li: ; @_ZL37rocblas_syrkx_herkx_restricted_kernelIl19rocblas_complex_numIdELi16ELi32ELi8ELi1ELin1ELb0ELc67ELc76EKPKS1_KPS1_EviT_PT9_S7_lS9_S7_lPT10_S7_li
; %bb.0:
	s_load_dwordx4 s[12:15], s[4:5], 0x40
	s_load_dwordx4 s[0:3], s[4:5], 0x8
	s_mov_b32 s9, 0
	s_lshl_b64 s[10:11], s[8:9], 3
	s_waitcnt lgkmcnt(0)
	s_add_u32 s8, s12, s10
	s_addc_u32 s9, s13, s11
	s_load_dwordx2 s[8:9], s[8:9], 0x0
	v_cmp_lt_i64_e64 s[12:13], s[0:1], 1
	s_lshl_b32 s6, s6, 5
	s_lshl_b32 s7, s7, 5
	s_and_b64 vcc, exec, s[12:13]
	s_cbranch_vccnz .LBB1626_3
; %bb.1:
	s_load_dwordx2 s[12:13], s[4:5], 0x18
	s_load_dwordx4 s[16:19], s[4:5], 0x28
	v_lshl_add_u32 v6, v1, 4, v0
	v_lshrrev_b32_e32 v8, 3, v6
	v_add_u32_e32 v4, s7, v8
	v_ashrrev_i32_e32 v5, 31, v4
	v_and_b32_e32 v2, 7, v0
	v_mov_b32_e32 v3, 0
	s_waitcnt lgkmcnt(0)
	v_mul_lo_u32 v7, s18, v5
	v_mul_lo_u32 v9, s19, v4
	v_mad_u64_u32 v[4:5], s[18:19], s18, v4, v[2:3]
	s_add_u32 s2, s2, s10
	v_lshlrev_b32_e32 v2, 4, v2
	v_add3_u32 v5, v9, v5, v7
	v_and_b32_e32 v9, 31, v6
	s_addc_u32 s3, s3, s11
	v_lshl_or_b32 v2, v8, 7, v2
	v_add_u32_e32 v8, s6, v9
	s_add_u32 s10, s16, s10
	v_lshrrev_b32_e32 v6, 5, v6
	v_mov_b32_e32 v7, v3
	v_lshlrev_b32_e32 v3, 4, v9
	v_add_u32_e32 v23, 0x1000, v2
	v_ashrrev_i32_e32 v2, 31, v8
	s_addc_u32 s11, s17, s11
	v_lshl_or_b32 v22, v6, 9, v3
	v_mul_lo_u32 v9, s12, v2
	v_mad_u64_u32 v[2:3], s[16:17], s12, v8, v[6:7]
	v_mul_lo_u32 v6, s13, v8
	s_load_dwordx2 s[2:3], s[2:3], 0x0
	v_lshlrev_b64 v[4:5], 4, v[4:5]
	s_load_dwordx2 s[10:11], s[10:11], 0x0
	v_add3_u32 v3, v6, v3, v9
	v_lshlrev_b64 v[2:3], 4, v[2:3]
	s_waitcnt lgkmcnt(0)
	v_mov_b32_e32 v6, s3
	v_add_co_u32_e32 v2, vcc, s2, v2
	v_addc_co_u32_e32 v3, vcc, v6, v3, vcc
	v_mov_b32_e32 v7, 0x1000
	v_mov_b32_e32 v6, s11
	v_add_co_u32_e32 v4, vcc, s10, v4
	v_lshl_add_u32 v25, v1, 7, v7
	v_addc_co_u32_e32 v5, vcc, v6, v5, vcc
	v_mov_b32_e32 v10, 0
	v_mov_b32_e32 v12, 0
	;; [unrolled: 1-line block ×8, first 2 shown]
	v_lshlrev_b32_e32 v24, 4, v0
	v_mov_b32_e32 v11, 0
	v_mov_b32_e32 v13, 0
	;; [unrolled: 1-line block ×8, first 2 shown]
	s_mov_b64 s[2:3], 0
.LBB1626_2:                             ; =>This Inner Loop Header: Depth=1
	flat_load_dwordx4 v[26:29], v[2:3]
	s_add_u32 s2, s2, 8
	v_add_co_u32_e32 v2, vcc, 0x80, v2
	s_addc_u32 s3, s3, 0
	v_addc_co_u32_e32 v3, vcc, 0, v3, vcc
	s_waitcnt vmcnt(0) lgkmcnt(0)
	ds_write_b128 v22, v[26:29]
	flat_load_dwordx4 v[26:29], v[4:5]
	v_add_co_u32_e32 v4, vcc, 0x80, v4
	v_addc_co_u32_e32 v5, vcc, 0, v5, vcc
	s_waitcnt vmcnt(0) lgkmcnt(0)
	ds_write_b128 v23, v[26:29]
	s_waitcnt lgkmcnt(0)
	s_barrier
	ds_read_b128 v[26:29], v25
	ds_read_b128 v[30:33], v25 offset:16
	ds_read_b128 v[34:37], v25 offset:32
	;; [unrolled: 1-line block ×3, first 2 shown]
	ds_read_b128 v[42:45], v24
	s_waitcnt lgkmcnt(0)
	v_mul_f64 v[46:47], v[28:29], v[44:45]
	v_mul_f64 v[48:49], v[26:27], v[44:45]
	v_fma_f64 v[46:47], v[26:27], v[42:43], -v[46:47]
	v_fma_f64 v[48:49], v[28:29], v[42:43], v[48:49]
	v_add_f64 v[46:47], v[14:15], v[46:47]
	v_add_f64 v[48:49], v[48:49], v[16:17]
	ds_read_b128 v[14:17], v24 offset:256
	s_waitcnt lgkmcnt(0)
	v_mul_f64 v[50:51], v[28:29], v[16:17]
	v_fma_f64 v[50:51], v[26:27], v[14:15], -v[50:51]
	v_mul_f64 v[26:27], v[26:27], v[16:17]
	v_fma_f64 v[26:27], v[28:29], v[14:15], v[26:27]
	v_add_f64 v[28:29], v[8:9], v[50:51]
	v_add_f64 v[26:27], v[26:27], v[6:7]
	ds_read_b128 v[6:9], v25 offset:2048
	s_waitcnt lgkmcnt(0)
	v_mul_f64 v[50:51], v[8:9], v[44:45]
	v_mul_f64 v[44:45], v[6:7], v[44:45]
	v_fma_f64 v[50:51], v[6:7], v[42:43], -v[50:51]
	v_fma_f64 v[42:43], v[8:9], v[42:43], v[44:45]
	v_add_f64 v[20:21], v[20:21], v[50:51]
	v_add_f64 v[18:19], v[42:43], v[18:19]
	v_mul_f64 v[42:43], v[8:9], v[16:17]
	v_fma_f64 v[42:43], v[6:7], v[14:15], -v[42:43]
	v_mul_f64 v[6:7], v[6:7], v[16:17]
	v_add_f64 v[42:43], v[12:13], v[42:43]
	v_fma_f64 v[6:7], v[8:9], v[14:15], v[6:7]
	v_add_f64 v[44:45], v[6:7], v[10:11]
	ds_read_b128 v[6:9], v24 offset:512
	s_waitcnt lgkmcnt(0)
	v_mul_f64 v[10:11], v[32:33], v[8:9]
	v_mul_f64 v[12:13], v[30:31], v[8:9]
	v_fma_f64 v[10:11], v[30:31], v[6:7], -v[10:11]
	v_fma_f64 v[12:13], v[32:33], v[6:7], v[12:13]
	v_add_f64 v[46:47], v[46:47], v[10:11]
	v_add_f64 v[48:49], v[12:13], v[48:49]
	ds_read_b128 v[10:13], v24 offset:768
	s_waitcnt lgkmcnt(0)
	v_mul_f64 v[14:15], v[32:33], v[12:13]
	v_mul_f64 v[16:17], v[30:31], v[12:13]
	v_fma_f64 v[14:15], v[30:31], v[10:11], -v[14:15]
	v_fma_f64 v[16:17], v[32:33], v[10:11], v[16:17]
	v_add_f64 v[28:29], v[28:29], v[14:15]
	v_add_f64 v[26:27], v[16:17], v[26:27]
	ds_read_b128 v[14:17], v25 offset:2064
	s_waitcnt lgkmcnt(0)
	v_mul_f64 v[30:31], v[16:17], v[8:9]
	v_mul_f64 v[8:9], v[14:15], v[8:9]
	v_fma_f64 v[30:31], v[14:15], v[6:7], -v[30:31]
	v_fma_f64 v[6:7], v[16:17], v[6:7], v[8:9]
	v_mul_f64 v[8:9], v[14:15], v[12:13]
	v_add_f64 v[20:21], v[20:21], v[30:31]
	v_add_f64 v[18:19], v[6:7], v[18:19]
	v_mul_f64 v[6:7], v[16:17], v[12:13]
	v_fma_f64 v[8:9], v[16:17], v[10:11], v[8:9]
	v_fma_f64 v[6:7], v[14:15], v[10:11], -v[6:7]
	v_add_f64 v[32:33], v[8:9], v[44:45]
	v_add_f64 v[30:31], v[42:43], v[6:7]
	ds_read_b128 v[6:9], v24 offset:1024
	s_waitcnt lgkmcnt(0)
	v_mul_f64 v[10:11], v[36:37], v[8:9]
	v_mul_f64 v[12:13], v[34:35], v[8:9]
	v_fma_f64 v[10:11], v[34:35], v[6:7], -v[10:11]
	v_fma_f64 v[12:13], v[36:37], v[6:7], v[12:13]
	v_add_f64 v[42:43], v[46:47], v[10:11]
	v_add_f64 v[44:45], v[12:13], v[48:49]
	ds_read_b128 v[10:13], v24 offset:1280
	s_waitcnt lgkmcnt(0)
	v_mul_f64 v[14:15], v[36:37], v[12:13]
	v_mul_f64 v[16:17], v[34:35], v[12:13]
	v_fma_f64 v[14:15], v[34:35], v[10:11], -v[14:15]
	v_fma_f64 v[16:17], v[36:37], v[10:11], v[16:17]
	v_add_f64 v[28:29], v[28:29], v[14:15]
	v_add_f64 v[26:27], v[16:17], v[26:27]
	ds_read_b128 v[14:17], v25 offset:2080
	s_waitcnt lgkmcnt(0)
	v_mul_f64 v[34:35], v[16:17], v[8:9]
	v_mul_f64 v[8:9], v[14:15], v[8:9]
	v_fma_f64 v[34:35], v[14:15], v[6:7], -v[34:35]
	v_fma_f64 v[6:7], v[16:17], v[6:7], v[8:9]
	v_mul_f64 v[8:9], v[14:15], v[12:13]
	v_add_f64 v[20:21], v[20:21], v[34:35]
	v_add_f64 v[18:19], v[6:7], v[18:19]
	v_mul_f64 v[6:7], v[16:17], v[12:13]
	v_fma_f64 v[8:9], v[16:17], v[10:11], v[8:9]
	v_fma_f64 v[6:7], v[14:15], v[10:11], -v[6:7]
	v_add_f64 v[32:33], v[8:9], v[32:33]
	;; [unrolled: 30-line block ×3, first 2 shown]
	v_add_f64 v[30:31], v[30:31], v[6:7]
	ds_read_b128 v[6:9], v25 offset:64
	ds_read_b128 v[10:13], v24 offset:2048
	s_waitcnt lgkmcnt(0)
	v_mul_f64 v[14:15], v[8:9], v[12:13]
	v_mul_f64 v[16:17], v[6:7], v[12:13]
	v_fma_f64 v[14:15], v[6:7], v[10:11], -v[14:15]
	v_fma_f64 v[16:17], v[8:9], v[10:11], v[16:17]
	v_add_f64 v[34:35], v[34:35], v[14:15]
	v_add_f64 v[36:37], v[16:17], v[36:37]
	ds_read_b128 v[14:17], v24 offset:2304
	s_waitcnt lgkmcnt(0)
	v_mul_f64 v[38:39], v[8:9], v[16:17]
	v_fma_f64 v[38:39], v[6:7], v[14:15], -v[38:39]
	v_mul_f64 v[6:7], v[6:7], v[16:17]
	v_add_f64 v[28:29], v[28:29], v[38:39]
	v_fma_f64 v[6:7], v[8:9], v[14:15], v[6:7]
	v_add_f64 v[26:27], v[6:7], v[26:27]
	ds_read_b128 v[6:9], v25 offset:2112
	s_waitcnt lgkmcnt(0)
	v_mul_f64 v[38:39], v[8:9], v[12:13]
	v_mul_f64 v[12:13], v[6:7], v[12:13]
	v_fma_f64 v[38:39], v[6:7], v[10:11], -v[38:39]
	v_fma_f64 v[10:11], v[8:9], v[10:11], v[12:13]
	v_add_f64 v[20:21], v[20:21], v[38:39]
	v_add_f64 v[18:19], v[10:11], v[18:19]
	v_mul_f64 v[10:11], v[8:9], v[16:17]
	v_fma_f64 v[10:11], v[6:7], v[14:15], -v[10:11]
	v_mul_f64 v[6:7], v[6:7], v[16:17]
	v_add_f64 v[30:31], v[30:31], v[10:11]
	v_fma_f64 v[6:7], v[8:9], v[14:15], v[6:7]
	v_add_f64 v[32:33], v[6:7], v[32:33]
	ds_read_b128 v[6:9], v25 offset:80
	ds_read_b128 v[10:13], v24 offset:2560
	s_waitcnt lgkmcnt(0)
	v_mul_f64 v[14:15], v[8:9], v[12:13]
	v_mul_f64 v[16:17], v[6:7], v[12:13]
	v_fma_f64 v[14:15], v[6:7], v[10:11], -v[14:15]
	v_fma_f64 v[16:17], v[8:9], v[10:11], v[16:17]
	v_add_f64 v[34:35], v[34:35], v[14:15]
	v_add_f64 v[36:37], v[16:17], v[36:37]
	ds_read_b128 v[14:17], v24 offset:2816
	s_waitcnt lgkmcnt(0)
	v_mul_f64 v[38:39], v[8:9], v[16:17]
	v_fma_f64 v[38:39], v[6:7], v[14:15], -v[38:39]
	v_mul_f64 v[6:7], v[6:7], v[16:17]
	v_add_f64 v[28:29], v[28:29], v[38:39]
	v_fma_f64 v[6:7], v[8:9], v[14:15], v[6:7]
	v_add_f64 v[26:27], v[6:7], v[26:27]
	ds_read_b128 v[6:9], v25 offset:2128
	s_waitcnt lgkmcnt(0)
	v_mul_f64 v[38:39], v[8:9], v[12:13]
	v_mul_f64 v[12:13], v[6:7], v[12:13]
	v_fma_f64 v[38:39], v[6:7], v[10:11], -v[38:39]
	v_fma_f64 v[10:11], v[8:9], v[10:11], v[12:13]
	v_add_f64 v[20:21], v[20:21], v[38:39]
	v_add_f64 v[18:19], v[10:11], v[18:19]
	v_mul_f64 v[10:11], v[8:9], v[16:17]
	v_fma_f64 v[10:11], v[6:7], v[14:15], -v[10:11]
	v_mul_f64 v[6:7], v[6:7], v[16:17]
	v_add_f64 v[30:31], v[30:31], v[10:11]
	v_fma_f64 v[6:7], v[8:9], v[14:15], v[6:7]
	;; [unrolled: 31-line block ×3, first 2 shown]
	v_add_f64 v[44:45], v[6:7], v[32:33]
	ds_read_b128 v[6:9], v25 offset:112
	ds_read_b128 v[10:13], v24 offset:3584
	;; [unrolled: 1-line block ×3, first 2 shown]
	s_waitcnt lgkmcnt(1)
	v_mul_f64 v[14:15], v[8:9], v[12:13]
	s_waitcnt lgkmcnt(0)
	v_mul_f64 v[30:31], v[8:9], v[28:29]
	v_mul_f64 v[16:17], v[6:7], v[12:13]
	v_fma_f64 v[14:15], v[6:7], v[10:11], -v[14:15]
	v_fma_f64 v[30:31], v[6:7], v[26:27], -v[30:31]
	v_mul_f64 v[6:7], v[6:7], v[28:29]
	v_fma_f64 v[16:17], v[8:9], v[10:11], v[16:17]
	v_add_f64 v[14:15], v[34:35], v[14:15]
	v_fma_f64 v[6:7], v[8:9], v[26:27], v[6:7]
	v_add_f64 v[8:9], v[38:39], v[30:31]
	ds_read_b128 v[30:33], v25 offset:2160
	v_add_f64 v[16:17], v[16:17], v[36:37]
	s_waitcnt lgkmcnt(0)
	s_barrier
	v_mul_f64 v[34:35], v[32:33], v[12:13]
	v_mul_f64 v[12:13], v[30:31], v[12:13]
	v_add_f64 v[6:7], v[6:7], v[40:41]
	v_fma_f64 v[34:35], v[30:31], v[10:11], -v[34:35]
	v_fma_f64 v[10:11], v[32:33], v[10:11], v[12:13]
	v_mul_f64 v[12:13], v[30:31], v[28:29]
	v_add_f64 v[20:21], v[20:21], v[34:35]
	v_add_f64 v[18:19], v[10:11], v[18:19]
	v_mul_f64 v[10:11], v[32:33], v[28:29]
	v_fma_f64 v[10:11], v[30:31], v[26:27], -v[10:11]
	v_fma_f64 v[26:27], v[32:33], v[26:27], v[12:13]
	v_add_f64 v[12:13], v[42:43], v[10:11]
	v_add_f64 v[10:11], v[26:27], v[44:45]
	v_mov_b32_e32 v27, s3
	v_mov_b32_e32 v26, s2
	v_cmp_le_u64_e32 vcc, s[0:1], v[26:27]
	s_cbranch_vccz .LBB1626_2
	s_branch .LBB1626_4
.LBB1626_3:
	v_mov_b32_e32 v14, 0
	v_mov_b32_e32 v16, 0
	;; [unrolled: 1-line block ×16, first 2 shown]
.LBB1626_4:
	v_add_u32_e32 v4, s7, v1
	v_ashrrev_i32_e32 v1, 31, v4
	v_mul_lo_u32 v3, s14, v1
	v_mul_lo_u32 v5, s15, v4
	v_mad_u64_u32 v[1:2], s[0:1], s14, v4, 0
	s_load_dword s4, s[4:5], 0x0
	v_add_u32_e32 v0, s6, v0
	v_add3_u32 v2, v2, v3, v5
	v_lshlrev_b64 v[1:2], 4, v[1:2]
	s_waitcnt lgkmcnt(0)
	v_mov_b32_e32 v3, s9
	v_add_co_u32_e32 v5, vcc, s8, v1
	v_addc_co_u32_e32 v22, vcc, v3, v2, vcc
	v_cmp_le_i32_e64 s[0:1], v4, v0
	v_cmp_gt_i32_e32 vcc, s4, v0
	s_and_b64 s[0:1], s[0:1], vcc
	s_and_saveexec_b64 s[2:3], s[0:1]
	s_cbranch_execz .LBB1626_6
; %bb.5:
	v_ashrrev_i32_e32 v1, 31, v0
	v_lshlrev_b64 v[1:2], 4, v[0:1]
	v_add_co_u32_e64 v1, s[0:1], v5, v1
	v_addc_co_u32_e64 v2, s[0:1], v22, v2, s[0:1]
	flat_load_dwordx4 v[23:26], v[1:2]
	s_waitcnt vmcnt(0) lgkmcnt(0)
	v_add_f64 v[14:15], v[14:15], -v[23:24]
	v_add_f64 v[16:17], v[16:17], -v[25:26]
	flat_store_dwordx4 v[1:2], v[14:17]
.LBB1626_6:
	s_or_b64 exec, exec, s[2:3]
	v_add_u32_e32 v2, 16, v0
	v_cmp_le_i32_e64 s[2:3], v4, v2
	v_cmp_gt_i32_e64 s[0:1], s4, v2
	s_and_b64 s[2:3], s[2:3], s[0:1]
	s_and_saveexec_b64 s[4:5], s[2:3]
	s_cbranch_execz .LBB1626_8
; %bb.7:
	v_ashrrev_i32_e32 v3, 31, v2
	v_lshlrev_b64 v[14:15], 4, v[2:3]
	v_add_co_u32_e64 v23, s[2:3], v5, v14
	v_addc_co_u32_e64 v24, s[2:3], v22, v15, s[2:3]
	flat_load_dwordx4 v[14:17], v[23:24]
	s_waitcnt vmcnt(0) lgkmcnt(0)
	v_add_f64 v[14:15], v[8:9], -v[14:15]
	v_add_f64 v[16:17], v[6:7], -v[16:17]
	flat_store_dwordx4 v[23:24], v[14:17]
.LBB1626_8:
	s_or_b64 exec, exec, s[4:5]
	v_add_u32_e32 v3, 16, v4
	v_ashrrev_i32_e32 v1, 31, v3
	v_mul_lo_u32 v6, s15, v3
	v_mad_u64_u32 v[4:5], s[2:3], s14, v3, 0
	v_mul_lo_u32 v1, s14, v1
	v_add3_u32 v5, v5, v1, v6
	v_lshlrev_b64 v[4:5], 4, v[4:5]
	v_mov_b32_e32 v1, s9
	v_add_co_u32_e64 v4, s[2:3], s8, v4
	v_addc_co_u32_e64 v5, s[2:3], v1, v5, s[2:3]
	v_cmp_le_i32_e64 s[2:3], v3, v0
	s_and_b64 s[4:5], s[2:3], vcc
	s_and_saveexec_b64 s[2:3], s[4:5]
	s_cbranch_execz .LBB1626_10
; %bb.9:
	v_ashrrev_i32_e32 v1, 31, v0
	v_lshlrev_b64 v[0:1], 4, v[0:1]
	v_add_co_u32_e32 v0, vcc, v4, v0
	v_addc_co_u32_e32 v1, vcc, v5, v1, vcc
	flat_load_dwordx4 v[6:9], v[0:1]
	s_waitcnt vmcnt(0) lgkmcnt(0)
	v_add_f64 v[6:7], v[20:21], -v[6:7]
	v_add_f64 v[8:9], v[18:19], -v[8:9]
	flat_store_dwordx4 v[0:1], v[6:9]
.LBB1626_10:
	s_or_b64 exec, exec, s[2:3]
	v_cmp_le_i32_e32 vcc, v3, v2
	s_and_b64 s[0:1], vcc, s[0:1]
	s_and_saveexec_b64 s[2:3], s[0:1]
	s_cbranch_execz .LBB1626_12
; %bb.11:
	v_ashrrev_i32_e32 v3, 31, v2
	v_lshlrev_b64 v[0:1], 4, v[2:3]
	v_add_co_u32_e32 v4, vcc, v4, v0
	v_addc_co_u32_e32 v5, vcc, v5, v1, vcc
	flat_load_dwordx4 v[0:3], v[4:5]
	s_waitcnt vmcnt(0) lgkmcnt(0)
	v_add_f64 v[0:1], v[12:13], -v[0:1]
	v_add_f64 v[2:3], v[10:11], -v[2:3]
	flat_store_dwordx4 v[4:5], v[0:3]
.LBB1626_12:
	s_endpgm
	.section	.rodata,"a",@progbits
	.p2align	6, 0x0
	.amdhsa_kernel _ZL37rocblas_syrkx_herkx_restricted_kernelIl19rocblas_complex_numIdELi16ELi32ELi8ELi1ELin1ELb0ELc67ELc76EKPKS1_KPS1_EviT_PT9_S7_lS9_S7_lPT10_S7_li
		.amdhsa_group_segment_fixed_size 8192
		.amdhsa_private_segment_fixed_size 0
		.amdhsa_kernarg_size 92
		.amdhsa_user_sgpr_count 6
		.amdhsa_user_sgpr_private_segment_buffer 1
		.amdhsa_user_sgpr_dispatch_ptr 0
		.amdhsa_user_sgpr_queue_ptr 0
		.amdhsa_user_sgpr_kernarg_segment_ptr 1
		.amdhsa_user_sgpr_dispatch_id 0
		.amdhsa_user_sgpr_flat_scratch_init 0
		.amdhsa_user_sgpr_private_segment_size 0
		.amdhsa_uses_dynamic_stack 0
		.amdhsa_system_sgpr_private_segment_wavefront_offset 0
		.amdhsa_system_sgpr_workgroup_id_x 1
		.amdhsa_system_sgpr_workgroup_id_y 1
		.amdhsa_system_sgpr_workgroup_id_z 1
		.amdhsa_system_sgpr_workgroup_info 0
		.amdhsa_system_vgpr_workitem_id 1
		.amdhsa_next_free_vgpr 52
		.amdhsa_next_free_sgpr 61
		.amdhsa_reserve_vcc 1
		.amdhsa_reserve_flat_scratch 0
		.amdhsa_float_round_mode_32 0
		.amdhsa_float_round_mode_16_64 0
		.amdhsa_float_denorm_mode_32 3
		.amdhsa_float_denorm_mode_16_64 3
		.amdhsa_dx10_clamp 1
		.amdhsa_ieee_mode 1
		.amdhsa_fp16_overflow 0
		.amdhsa_exception_fp_ieee_invalid_op 0
		.amdhsa_exception_fp_denorm_src 0
		.amdhsa_exception_fp_ieee_div_zero 0
		.amdhsa_exception_fp_ieee_overflow 0
		.amdhsa_exception_fp_ieee_underflow 0
		.amdhsa_exception_fp_ieee_inexact 0
		.amdhsa_exception_int_div_zero 0
	.end_amdhsa_kernel
	.section	.text._ZL37rocblas_syrkx_herkx_restricted_kernelIl19rocblas_complex_numIdELi16ELi32ELi8ELi1ELin1ELb0ELc67ELc76EKPKS1_KPS1_EviT_PT9_S7_lS9_S7_lPT10_S7_li,"axG",@progbits,_ZL37rocblas_syrkx_herkx_restricted_kernelIl19rocblas_complex_numIdELi16ELi32ELi8ELi1ELin1ELb0ELc67ELc76EKPKS1_KPS1_EviT_PT9_S7_lS9_S7_lPT10_S7_li,comdat
.Lfunc_end1626:
	.size	_ZL37rocblas_syrkx_herkx_restricted_kernelIl19rocblas_complex_numIdELi16ELi32ELi8ELi1ELin1ELb0ELc67ELc76EKPKS1_KPS1_EviT_PT9_S7_lS9_S7_lPT10_S7_li, .Lfunc_end1626-_ZL37rocblas_syrkx_herkx_restricted_kernelIl19rocblas_complex_numIdELi16ELi32ELi8ELi1ELin1ELb0ELc67ELc76EKPKS1_KPS1_EviT_PT9_S7_lS9_S7_lPT10_S7_li
                                        ; -- End function
	.set _ZL37rocblas_syrkx_herkx_restricted_kernelIl19rocblas_complex_numIdELi16ELi32ELi8ELi1ELin1ELb0ELc67ELc76EKPKS1_KPS1_EviT_PT9_S7_lS9_S7_lPT10_S7_li.num_vgpr, 52
	.set _ZL37rocblas_syrkx_herkx_restricted_kernelIl19rocblas_complex_numIdELi16ELi32ELi8ELi1ELin1ELb0ELc67ELc76EKPKS1_KPS1_EviT_PT9_S7_lS9_S7_lPT10_S7_li.num_agpr, 0
	.set _ZL37rocblas_syrkx_herkx_restricted_kernelIl19rocblas_complex_numIdELi16ELi32ELi8ELi1ELin1ELb0ELc67ELc76EKPKS1_KPS1_EviT_PT9_S7_lS9_S7_lPT10_S7_li.numbered_sgpr, 20
	.set _ZL37rocblas_syrkx_herkx_restricted_kernelIl19rocblas_complex_numIdELi16ELi32ELi8ELi1ELin1ELb0ELc67ELc76EKPKS1_KPS1_EviT_PT9_S7_lS9_S7_lPT10_S7_li.num_named_barrier, 0
	.set _ZL37rocblas_syrkx_herkx_restricted_kernelIl19rocblas_complex_numIdELi16ELi32ELi8ELi1ELin1ELb0ELc67ELc76EKPKS1_KPS1_EviT_PT9_S7_lS9_S7_lPT10_S7_li.private_seg_size, 0
	.set _ZL37rocblas_syrkx_herkx_restricted_kernelIl19rocblas_complex_numIdELi16ELi32ELi8ELi1ELin1ELb0ELc67ELc76EKPKS1_KPS1_EviT_PT9_S7_lS9_S7_lPT10_S7_li.uses_vcc, 1
	.set _ZL37rocblas_syrkx_herkx_restricted_kernelIl19rocblas_complex_numIdELi16ELi32ELi8ELi1ELin1ELb0ELc67ELc76EKPKS1_KPS1_EviT_PT9_S7_lS9_S7_lPT10_S7_li.uses_flat_scratch, 0
	.set _ZL37rocblas_syrkx_herkx_restricted_kernelIl19rocblas_complex_numIdELi16ELi32ELi8ELi1ELin1ELb0ELc67ELc76EKPKS1_KPS1_EviT_PT9_S7_lS9_S7_lPT10_S7_li.has_dyn_sized_stack, 0
	.set _ZL37rocblas_syrkx_herkx_restricted_kernelIl19rocblas_complex_numIdELi16ELi32ELi8ELi1ELin1ELb0ELc67ELc76EKPKS1_KPS1_EviT_PT9_S7_lS9_S7_lPT10_S7_li.has_recursion, 0
	.set _ZL37rocblas_syrkx_herkx_restricted_kernelIl19rocblas_complex_numIdELi16ELi32ELi8ELi1ELin1ELb0ELc67ELc76EKPKS1_KPS1_EviT_PT9_S7_lS9_S7_lPT10_S7_li.has_indirect_call, 0
	.section	.AMDGPU.csdata,"",@progbits
; Kernel info:
; codeLenInByte = 2944
; TotalNumSgprs: 24
; NumVgprs: 52
; ScratchSize: 0
; MemoryBound: 0
; FloatMode: 240
; IeeeMode: 1
; LDSByteSize: 8192 bytes/workgroup (compile time only)
; SGPRBlocks: 8
; VGPRBlocks: 12
; NumSGPRsForWavesPerEU: 65
; NumVGPRsForWavesPerEU: 52
; Occupancy: 4
; WaveLimiterHint : 1
; COMPUTE_PGM_RSRC2:SCRATCH_EN: 0
; COMPUTE_PGM_RSRC2:USER_SGPR: 6
; COMPUTE_PGM_RSRC2:TRAP_HANDLER: 0
; COMPUTE_PGM_RSRC2:TGID_X_EN: 1
; COMPUTE_PGM_RSRC2:TGID_Y_EN: 1
; COMPUTE_PGM_RSRC2:TGID_Z_EN: 1
; COMPUTE_PGM_RSRC2:TIDIG_COMP_CNT: 1
	.section	.text._ZL37rocblas_syrkx_herkx_restricted_kernelIl19rocblas_complex_numIdELi16ELi32ELi8ELi1ELin1ELb0ELc78ELc76EKPKS1_KPS1_EviT_PT9_S7_lS9_S7_lPT10_S7_li,"axG",@progbits,_ZL37rocblas_syrkx_herkx_restricted_kernelIl19rocblas_complex_numIdELi16ELi32ELi8ELi1ELin1ELb0ELc78ELc76EKPKS1_KPS1_EviT_PT9_S7_lS9_S7_lPT10_S7_li,comdat
	.globl	_ZL37rocblas_syrkx_herkx_restricted_kernelIl19rocblas_complex_numIdELi16ELi32ELi8ELi1ELin1ELb0ELc78ELc76EKPKS1_KPS1_EviT_PT9_S7_lS9_S7_lPT10_S7_li ; -- Begin function _ZL37rocblas_syrkx_herkx_restricted_kernelIl19rocblas_complex_numIdELi16ELi32ELi8ELi1ELin1ELb0ELc78ELc76EKPKS1_KPS1_EviT_PT9_S7_lS9_S7_lPT10_S7_li
	.p2align	8
	.type	_ZL37rocblas_syrkx_herkx_restricted_kernelIl19rocblas_complex_numIdELi16ELi32ELi8ELi1ELin1ELb0ELc78ELc76EKPKS1_KPS1_EviT_PT9_S7_lS9_S7_lPT10_S7_li,@function
_ZL37rocblas_syrkx_herkx_restricted_kernelIl19rocblas_complex_numIdELi16ELi32ELi8ELi1ELin1ELb0ELc78ELc76EKPKS1_KPS1_EviT_PT9_S7_lS9_S7_lPT10_S7_li: ; @_ZL37rocblas_syrkx_herkx_restricted_kernelIl19rocblas_complex_numIdELi16ELi32ELi8ELi1ELin1ELb0ELc78ELc76EKPKS1_KPS1_EviT_PT9_S7_lS9_S7_lPT10_S7_li
; %bb.0:
	s_load_dwordx4 s[12:15], s[4:5], 0x40
	s_load_dwordx4 s[0:3], s[4:5], 0x8
	s_mov_b32 s9, 0
	s_lshl_b64 s[16:17], s[8:9], 3
	s_waitcnt lgkmcnt(0)
	s_add_u32 s8, s12, s16
	s_addc_u32 s9, s13, s17
	s_load_dwordx2 s[12:13], s[8:9], 0x0
	v_cmp_lt_i64_e64 s[8:9], s[0:1], 1
	s_lshl_b32 s18, s6, 5
	s_lshl_b32 s19, s7, 5
	s_and_b64 vcc, exec, s[8:9]
	s_cbranch_vccnz .LBB1627_3
; %bb.1:
	s_load_dwordx2 s[6:7], s[4:5], 0x18
	s_load_dwordx4 s[8:11], s[4:5], 0x28
	v_lshl_add_u32 v7, v1, 4, v0
	v_lshrrev_b32_e32 v8, 3, v7
	v_add_u32_e32 v2, s19, v8
	v_and_b32_e32 v6, 7, v0
	v_ashrrev_i32_e32 v3, 31, v2
	s_waitcnt lgkmcnt(0)
	v_mad_u64_u32 v[4:5], s[20:21], s10, v6, v[2:3]
	s_add_u32 s2, s2, s16
	s_addc_u32 s3, s3, s17
	v_mov_b32_e32 v2, v5
	v_mad_u64_u32 v[2:3], s[20:21], s11, v6, v[2:3]
	v_lshrrev_b32_e32 v9, 5, v7
	s_add_u32 s8, s8, s16
	v_mov_b32_e32 v5, v2
	v_and_b32_e32 v2, 31, v7
	v_lshlrev_b32_e32 v3, 4, v2
	v_add_u32_e32 v2, s18, v2
	v_lshl_or_b32 v22, v9, 9, v3
	v_ashrrev_i32_e32 v3, 31, v2
	s_addc_u32 s9, s9, s17
	v_mad_u64_u32 v[2:3], s[16:17], s6, v9, v[2:3]
	v_lshlrev_b32_e32 v6, 4, v6
	v_lshl_or_b32 v6, v8, 7, v6
	v_add_u32_e32 v23, 0x1000, v6
	v_mad_u64_u32 v[6:7], s[16:17], s7, v9, v[3:4]
	s_load_dwordx2 s[2:3], s[2:3], 0x0
	v_mov_b32_e32 v3, 0x1000
	s_load_dwordx2 s[8:9], s[8:9], 0x0
	v_lshl_add_u32 v25, v1, 7, v3
	v_mov_b32_e32 v3, v6
	v_lshlrev_b64 v[2:3], 4, v[2:3]
	s_waitcnt lgkmcnt(0)
	v_mov_b32_e32 v6, s3
	v_add_co_u32_e32 v2, vcc, s2, v2
	v_lshlrev_b64 v[4:5], 4, v[4:5]
	v_addc_co_u32_e32 v3, vcc, v6, v3, vcc
	v_mov_b32_e32 v6, s9
	v_add_co_u32_e32 v4, vcc, s8, v4
	s_lshl_b64 s[2:3], s[6:7], 7
	v_addc_co_u32_e32 v5, vcc, v6, v5, vcc
	s_lshl_b64 s[6:7], s[10:11], 7
	v_mov_b32_e32 v10, 0
	v_mov_b32_e32 v12, 0
	;; [unrolled: 1-line block ×8, first 2 shown]
	v_lshlrev_b32_e32 v24, 4, v0
	v_mov_b32_e32 v11, 0
	s_mov_b64 s[8:9], 0
	v_mov_b32_e32 v26, s3
	v_mov_b32_e32 v13, 0
	;; [unrolled: 1-line block ×9, first 2 shown]
.LBB1627_2:                             ; =>This Inner Loop Header: Depth=1
	flat_load_dwordx4 v[28:31], v[2:3]
	s_add_u32 s8, s8, 8
	v_add_co_u32_e32 v2, vcc, s2, v2
	s_addc_u32 s9, s9, 0
	v_addc_co_u32_e32 v3, vcc, v3, v26, vcc
	s_waitcnt vmcnt(0) lgkmcnt(0)
	ds_write_b128 v22, v[28:31]
	flat_load_dwordx4 v[28:31], v[4:5]
	v_add_co_u32_e32 v4, vcc, s6, v4
	v_addc_co_u32_e32 v5, vcc, v5, v27, vcc
	s_waitcnt vmcnt(0) lgkmcnt(0)
	ds_write_b128 v23, v[28:31]
	s_waitcnt lgkmcnt(0)
	s_barrier
	ds_read_b128 v[28:31], v25
	ds_read_b128 v[32:35], v25 offset:16
	ds_read_b128 v[36:39], v25 offset:32
	;; [unrolled: 1-line block ×3, first 2 shown]
	ds_read_b128 v[44:47], v24
	s_waitcnt lgkmcnt(0)
	v_mul_f64 v[48:49], v[30:31], v[46:47]
	v_mul_f64 v[50:51], v[28:29], v[46:47]
	v_fma_f64 v[48:49], v[28:29], v[44:45], -v[48:49]
	v_fma_f64 v[50:51], v[30:31], v[44:45], v[50:51]
	v_add_f64 v[48:49], v[18:19], v[48:49]
	v_add_f64 v[50:51], v[50:51], v[20:21]
	ds_read_b128 v[18:21], v24 offset:256
	s_waitcnt lgkmcnt(0)
	v_mul_f64 v[52:53], v[30:31], v[20:21]
	v_fma_f64 v[52:53], v[28:29], v[18:19], -v[52:53]
	v_mul_f64 v[28:29], v[28:29], v[20:21]
	v_fma_f64 v[28:29], v[30:31], v[18:19], v[28:29]
	v_add_f64 v[30:31], v[8:9], v[52:53]
	v_add_f64 v[28:29], v[28:29], v[6:7]
	ds_read_b128 v[6:9], v25 offset:2048
	s_waitcnt lgkmcnt(0)
	v_mul_f64 v[52:53], v[8:9], v[46:47]
	v_mul_f64 v[46:47], v[6:7], v[46:47]
	v_fma_f64 v[52:53], v[6:7], v[44:45], -v[52:53]
	v_fma_f64 v[44:45], v[8:9], v[44:45], v[46:47]
	v_add_f64 v[46:47], v[16:17], v[52:53]
	v_add_f64 v[44:45], v[44:45], v[14:15]
	v_mul_f64 v[14:15], v[8:9], v[20:21]
	v_fma_f64 v[14:15], v[6:7], v[18:19], -v[14:15]
	v_mul_f64 v[6:7], v[6:7], v[20:21]
	v_fma_f64 v[6:7], v[8:9], v[18:19], v[6:7]
	v_add_f64 v[18:19], v[12:13], v[14:15]
	v_add_f64 v[20:21], v[6:7], v[10:11]
	ds_read_b128 v[6:9], v24 offset:512
	s_waitcnt lgkmcnt(0)
	v_mul_f64 v[10:11], v[34:35], v[8:9]
	v_mul_f64 v[12:13], v[32:33], v[8:9]
	v_fma_f64 v[10:11], v[32:33], v[6:7], -v[10:11]
	v_fma_f64 v[12:13], v[34:35], v[6:7], v[12:13]
	v_add_f64 v[48:49], v[48:49], v[10:11]
	v_add_f64 v[50:51], v[12:13], v[50:51]
	ds_read_b128 v[10:13], v24 offset:768
	s_waitcnt lgkmcnt(0)
	v_mul_f64 v[14:15], v[34:35], v[12:13]
	v_mul_f64 v[16:17], v[32:33], v[12:13]
	v_fma_f64 v[14:15], v[32:33], v[10:11], -v[14:15]
	;; [unrolled: 8-line block ×3, first 2 shown]
	v_fma_f64 v[6:7], v[16:17], v[6:7], v[8:9]
	v_mul_f64 v[8:9], v[14:15], v[12:13]
	v_add_f64 v[32:33], v[46:47], v[32:33]
	v_add_f64 v[34:35], v[6:7], v[44:45]
	v_mul_f64 v[6:7], v[16:17], v[12:13]
	v_fma_f64 v[8:9], v[16:17], v[10:11], v[8:9]
	v_fma_f64 v[6:7], v[14:15], v[10:11], -v[6:7]
	v_add_f64 v[20:21], v[8:9], v[20:21]
	v_add_f64 v[18:19], v[18:19], v[6:7]
	ds_read_b128 v[6:9], v24 offset:1024
	s_waitcnt lgkmcnt(0)
	v_mul_f64 v[10:11], v[38:39], v[8:9]
	v_mul_f64 v[12:13], v[36:37], v[8:9]
	v_fma_f64 v[10:11], v[36:37], v[6:7], -v[10:11]
	v_fma_f64 v[12:13], v[38:39], v[6:7], v[12:13]
	v_add_f64 v[44:45], v[48:49], v[10:11]
	v_add_f64 v[46:47], v[12:13], v[50:51]
	ds_read_b128 v[10:13], v24 offset:1280
	s_waitcnt lgkmcnt(0)
	v_mul_f64 v[14:15], v[38:39], v[12:13]
	v_mul_f64 v[16:17], v[36:37], v[12:13]
	v_fma_f64 v[14:15], v[36:37], v[10:11], -v[14:15]
	v_fma_f64 v[16:17], v[38:39], v[10:11], v[16:17]
	;; [unrolled: 8-line block ×3, first 2 shown]
	v_mul_f64 v[8:9], v[14:15], v[12:13]
	v_add_f64 v[32:33], v[32:33], v[36:37]
	v_add_f64 v[34:35], v[6:7], v[34:35]
	v_mul_f64 v[6:7], v[16:17], v[12:13]
	v_fma_f64 v[8:9], v[16:17], v[10:11], v[8:9]
	v_fma_f64 v[6:7], v[14:15], v[10:11], -v[6:7]
	v_add_f64 v[20:21], v[8:9], v[20:21]
	v_add_f64 v[18:19], v[18:19], v[6:7]
	ds_read_b128 v[6:9], v24 offset:1536
	s_waitcnt lgkmcnt(0)
	v_mul_f64 v[10:11], v[42:43], v[8:9]
	v_mul_f64 v[12:13], v[40:41], v[8:9]
	v_fma_f64 v[10:11], v[40:41], v[6:7], -v[10:11]
	v_fma_f64 v[12:13], v[42:43], v[6:7], v[12:13]
	v_add_f64 v[36:37], v[44:45], v[10:11]
	v_add_f64 v[38:39], v[12:13], v[46:47]
	ds_read_b128 v[10:13], v24 offset:1792
	s_waitcnt lgkmcnt(0)
	v_mul_f64 v[14:15], v[42:43], v[12:13]
	v_mul_f64 v[16:17], v[40:41], v[12:13]
	v_fma_f64 v[14:15], v[40:41], v[10:11], -v[14:15]
	v_fma_f64 v[16:17], v[42:43], v[10:11], v[16:17]
	;; [unrolled: 8-line block ×3, first 2 shown]
	v_mul_f64 v[8:9], v[14:15], v[12:13]
	v_add_f64 v[32:33], v[32:33], v[40:41]
	v_add_f64 v[34:35], v[6:7], v[34:35]
	v_mul_f64 v[6:7], v[16:17], v[12:13]
	v_fma_f64 v[8:9], v[16:17], v[10:11], v[8:9]
	v_fma_f64 v[6:7], v[14:15], v[10:11], -v[6:7]
	v_add_f64 v[20:21], v[8:9], v[20:21]
	v_add_f64 v[18:19], v[18:19], v[6:7]
	ds_read_b128 v[6:9], v25 offset:64
	ds_read_b128 v[10:13], v24 offset:2048
	s_waitcnt lgkmcnt(0)
	v_mul_f64 v[14:15], v[8:9], v[12:13]
	v_mul_f64 v[16:17], v[6:7], v[12:13]
	v_fma_f64 v[14:15], v[6:7], v[10:11], -v[14:15]
	v_fma_f64 v[16:17], v[8:9], v[10:11], v[16:17]
	v_add_f64 v[36:37], v[36:37], v[14:15]
	v_add_f64 v[38:39], v[16:17], v[38:39]
	ds_read_b128 v[14:17], v24 offset:2304
	s_waitcnt lgkmcnt(0)
	v_mul_f64 v[40:41], v[8:9], v[16:17]
	v_fma_f64 v[40:41], v[6:7], v[14:15], -v[40:41]
	v_mul_f64 v[6:7], v[6:7], v[16:17]
	v_add_f64 v[30:31], v[30:31], v[40:41]
	v_fma_f64 v[6:7], v[8:9], v[14:15], v[6:7]
	v_add_f64 v[28:29], v[6:7], v[28:29]
	ds_read_b128 v[6:9], v25 offset:2112
	s_waitcnt lgkmcnt(0)
	v_mul_f64 v[40:41], v[8:9], v[12:13]
	v_mul_f64 v[12:13], v[6:7], v[12:13]
	v_fma_f64 v[40:41], v[6:7], v[10:11], -v[40:41]
	v_fma_f64 v[10:11], v[8:9], v[10:11], v[12:13]
	v_add_f64 v[32:33], v[32:33], v[40:41]
	v_add_f64 v[34:35], v[10:11], v[34:35]
	v_mul_f64 v[10:11], v[8:9], v[16:17]
	v_fma_f64 v[10:11], v[6:7], v[14:15], -v[10:11]
	v_mul_f64 v[6:7], v[6:7], v[16:17]
	v_add_f64 v[18:19], v[18:19], v[10:11]
	v_fma_f64 v[6:7], v[8:9], v[14:15], v[6:7]
	v_add_f64 v[20:21], v[6:7], v[20:21]
	ds_read_b128 v[6:9], v25 offset:80
	ds_read_b128 v[10:13], v24 offset:2560
	s_waitcnt lgkmcnt(0)
	v_mul_f64 v[14:15], v[8:9], v[12:13]
	v_mul_f64 v[16:17], v[6:7], v[12:13]
	v_fma_f64 v[14:15], v[6:7], v[10:11], -v[14:15]
	v_fma_f64 v[16:17], v[8:9], v[10:11], v[16:17]
	v_add_f64 v[36:37], v[36:37], v[14:15]
	v_add_f64 v[38:39], v[16:17], v[38:39]
	ds_read_b128 v[14:17], v24 offset:2816
	s_waitcnt lgkmcnt(0)
	v_mul_f64 v[40:41], v[8:9], v[16:17]
	v_fma_f64 v[40:41], v[6:7], v[14:15], -v[40:41]
	v_mul_f64 v[6:7], v[6:7], v[16:17]
	v_add_f64 v[30:31], v[30:31], v[40:41]
	v_fma_f64 v[6:7], v[8:9], v[14:15], v[6:7]
	v_add_f64 v[28:29], v[6:7], v[28:29]
	ds_read_b128 v[6:9], v25 offset:2128
	s_waitcnt lgkmcnt(0)
	v_mul_f64 v[40:41], v[8:9], v[12:13]
	v_mul_f64 v[12:13], v[6:7], v[12:13]
	v_fma_f64 v[40:41], v[6:7], v[10:11], -v[40:41]
	v_fma_f64 v[10:11], v[8:9], v[10:11], v[12:13]
	v_add_f64 v[32:33], v[32:33], v[40:41]
	v_add_f64 v[34:35], v[10:11], v[34:35]
	v_mul_f64 v[10:11], v[8:9], v[16:17]
	v_fma_f64 v[10:11], v[6:7], v[14:15], -v[10:11]
	v_mul_f64 v[6:7], v[6:7], v[16:17]
	v_add_f64 v[18:19], v[18:19], v[10:11]
	v_fma_f64 v[6:7], v[8:9], v[14:15], v[6:7]
	;; [unrolled: 31-line block ×3, first 2 shown]
	v_add_f64 v[50:51], v[6:7], v[20:21]
	ds_read_b128 v[6:9], v25 offset:112
	ds_read_b128 v[10:13], v24 offset:3584
	;; [unrolled: 1-line block ×4, first 2 shown]
	s_waitcnt lgkmcnt(0)
	s_barrier
	v_mul_f64 v[14:15], v[8:9], v[12:13]
	v_mul_f64 v[16:17], v[6:7], v[12:13]
	v_fma_f64 v[14:15], v[6:7], v[10:11], -v[14:15]
	v_fma_f64 v[16:17], v[8:9], v[10:11], v[16:17]
	v_add_f64 v[18:19], v[36:37], v[14:15]
	v_mul_f64 v[14:15], v[8:9], v[30:31]
	v_add_f64 v[20:21], v[16:17], v[38:39]
	v_fma_f64 v[14:15], v[6:7], v[28:29], -v[14:15]
	v_mul_f64 v[6:7], v[6:7], v[30:31]
	v_fma_f64 v[6:7], v[8:9], v[28:29], v[6:7]
	v_add_f64 v[8:9], v[40:41], v[14:15]
	v_mul_f64 v[14:15], v[34:35], v[12:13]
	v_mul_f64 v[12:13], v[32:33], v[12:13]
	v_add_f64 v[6:7], v[6:7], v[42:43]
	v_fma_f64 v[14:15], v[32:33], v[10:11], -v[14:15]
	v_fma_f64 v[10:11], v[34:35], v[10:11], v[12:13]
	v_mul_f64 v[12:13], v[32:33], v[30:31]
	v_add_f64 v[16:17], v[44:45], v[14:15]
	v_add_f64 v[14:15], v[10:11], v[46:47]
	v_mul_f64 v[10:11], v[34:35], v[30:31]
	v_fma_f64 v[10:11], v[32:33], v[28:29], -v[10:11]
	v_fma_f64 v[28:29], v[34:35], v[28:29], v[12:13]
	v_add_f64 v[12:13], v[48:49], v[10:11]
	v_add_f64 v[10:11], v[28:29], v[50:51]
	v_mov_b32_e32 v29, s9
	v_mov_b32_e32 v28, s8
	v_cmp_le_u64_e32 vcc, s[0:1], v[28:29]
	s_cbranch_vccz .LBB1627_2
	s_branch .LBB1627_4
.LBB1627_3:
	v_mov_b32_e32 v18, 0
	v_mov_b32_e32 v20, 0
	;; [unrolled: 1-line block ×16, first 2 shown]
.LBB1627_4:
	v_add_u32_e32 v4, s19, v1
	v_ashrrev_i32_e32 v1, 31, v4
	v_mul_lo_u32 v3, s14, v1
	v_mul_lo_u32 v5, s15, v4
	v_mad_u64_u32 v[1:2], s[0:1], s14, v4, 0
	s_load_dword s4, s[4:5], 0x0
	v_add_u32_e32 v0, s18, v0
	v_add3_u32 v2, v2, v3, v5
	v_lshlrev_b64 v[1:2], 4, v[1:2]
	s_waitcnt lgkmcnt(0)
	v_mov_b32_e32 v3, s13
	v_add_co_u32_e32 v5, vcc, s12, v1
	v_addc_co_u32_e32 v22, vcc, v3, v2, vcc
	v_cmp_le_i32_e64 s[0:1], v4, v0
	v_cmp_gt_i32_e32 vcc, s4, v0
	s_and_b64 s[0:1], s[0:1], vcc
	s_and_saveexec_b64 s[2:3], s[0:1]
	s_cbranch_execz .LBB1627_6
; %bb.5:
	v_ashrrev_i32_e32 v1, 31, v0
	v_lshlrev_b64 v[1:2], 4, v[0:1]
	v_add_co_u32_e64 v1, s[0:1], v5, v1
	v_addc_co_u32_e64 v2, s[0:1], v22, v2, s[0:1]
	flat_load_dwordx4 v[23:26], v[1:2]
	s_waitcnt vmcnt(0) lgkmcnt(0)
	v_add_f64 v[18:19], v[18:19], -v[23:24]
	v_add_f64 v[20:21], v[20:21], -v[25:26]
	flat_store_dwordx4 v[1:2], v[18:21]
.LBB1627_6:
	s_or_b64 exec, exec, s[2:3]
	v_add_u32_e32 v2, 16, v0
	v_cmp_le_i32_e64 s[2:3], v4, v2
	v_cmp_gt_i32_e64 s[0:1], s4, v2
	s_and_b64 s[2:3], s[2:3], s[0:1]
	s_and_saveexec_b64 s[4:5], s[2:3]
	s_cbranch_execz .LBB1627_8
; %bb.7:
	v_ashrrev_i32_e32 v3, 31, v2
	v_lshlrev_b64 v[18:19], 4, v[2:3]
	v_add_co_u32_e64 v23, s[2:3], v5, v18
	v_addc_co_u32_e64 v24, s[2:3], v22, v19, s[2:3]
	flat_load_dwordx4 v[18:21], v[23:24]
	s_waitcnt vmcnt(0) lgkmcnt(0)
	v_add_f64 v[18:19], v[8:9], -v[18:19]
	v_add_f64 v[20:21], v[6:7], -v[20:21]
	flat_store_dwordx4 v[23:24], v[18:21]
.LBB1627_8:
	s_or_b64 exec, exec, s[4:5]
	v_add_u32_e32 v3, 16, v4
	v_ashrrev_i32_e32 v1, 31, v3
	v_mul_lo_u32 v6, s15, v3
	v_mad_u64_u32 v[4:5], s[2:3], s14, v3, 0
	v_mul_lo_u32 v1, s14, v1
	v_add3_u32 v5, v5, v1, v6
	v_lshlrev_b64 v[4:5], 4, v[4:5]
	v_mov_b32_e32 v1, s13
	v_add_co_u32_e64 v4, s[2:3], s12, v4
	v_addc_co_u32_e64 v5, s[2:3], v1, v5, s[2:3]
	v_cmp_le_i32_e64 s[2:3], v3, v0
	s_and_b64 s[4:5], s[2:3], vcc
	s_and_saveexec_b64 s[2:3], s[4:5]
	s_cbranch_execz .LBB1627_10
; %bb.9:
	v_ashrrev_i32_e32 v1, 31, v0
	v_lshlrev_b64 v[0:1], 4, v[0:1]
	v_add_co_u32_e32 v0, vcc, v4, v0
	v_addc_co_u32_e32 v1, vcc, v5, v1, vcc
	flat_load_dwordx4 v[6:9], v[0:1]
	s_waitcnt vmcnt(0) lgkmcnt(0)
	v_add_f64 v[6:7], v[16:17], -v[6:7]
	v_add_f64 v[8:9], v[14:15], -v[8:9]
	flat_store_dwordx4 v[0:1], v[6:9]
.LBB1627_10:
	s_or_b64 exec, exec, s[2:3]
	v_cmp_le_i32_e32 vcc, v3, v2
	s_and_b64 s[0:1], vcc, s[0:1]
	s_and_saveexec_b64 s[2:3], s[0:1]
	s_cbranch_execz .LBB1627_12
; %bb.11:
	v_ashrrev_i32_e32 v3, 31, v2
	v_lshlrev_b64 v[0:1], 4, v[2:3]
	v_add_co_u32_e32 v4, vcc, v4, v0
	v_addc_co_u32_e32 v5, vcc, v5, v1, vcc
	flat_load_dwordx4 v[0:3], v[4:5]
	s_waitcnt vmcnt(0) lgkmcnt(0)
	v_add_f64 v[0:1], v[12:13], -v[0:1]
	v_add_f64 v[2:3], v[10:11], -v[2:3]
	flat_store_dwordx4 v[4:5], v[0:3]
.LBB1627_12:
	s_endpgm
	.section	.rodata,"a",@progbits
	.p2align	6, 0x0
	.amdhsa_kernel _ZL37rocblas_syrkx_herkx_restricted_kernelIl19rocblas_complex_numIdELi16ELi32ELi8ELi1ELin1ELb0ELc78ELc76EKPKS1_KPS1_EviT_PT9_S7_lS9_S7_lPT10_S7_li
		.amdhsa_group_segment_fixed_size 8192
		.amdhsa_private_segment_fixed_size 0
		.amdhsa_kernarg_size 92
		.amdhsa_user_sgpr_count 6
		.amdhsa_user_sgpr_private_segment_buffer 1
		.amdhsa_user_sgpr_dispatch_ptr 0
		.amdhsa_user_sgpr_queue_ptr 0
		.amdhsa_user_sgpr_kernarg_segment_ptr 1
		.amdhsa_user_sgpr_dispatch_id 0
		.amdhsa_user_sgpr_flat_scratch_init 0
		.amdhsa_user_sgpr_private_segment_size 0
		.amdhsa_uses_dynamic_stack 0
		.amdhsa_system_sgpr_private_segment_wavefront_offset 0
		.amdhsa_system_sgpr_workgroup_id_x 1
		.amdhsa_system_sgpr_workgroup_id_y 1
		.amdhsa_system_sgpr_workgroup_id_z 1
		.amdhsa_system_sgpr_workgroup_info 0
		.amdhsa_system_vgpr_workitem_id 1
		.amdhsa_next_free_vgpr 54
		.amdhsa_next_free_sgpr 61
		.amdhsa_reserve_vcc 1
		.amdhsa_reserve_flat_scratch 0
		.amdhsa_float_round_mode_32 0
		.amdhsa_float_round_mode_16_64 0
		.amdhsa_float_denorm_mode_32 3
		.amdhsa_float_denorm_mode_16_64 3
		.amdhsa_dx10_clamp 1
		.amdhsa_ieee_mode 1
		.amdhsa_fp16_overflow 0
		.amdhsa_exception_fp_ieee_invalid_op 0
		.amdhsa_exception_fp_denorm_src 0
		.amdhsa_exception_fp_ieee_div_zero 0
		.amdhsa_exception_fp_ieee_overflow 0
		.amdhsa_exception_fp_ieee_underflow 0
		.amdhsa_exception_fp_ieee_inexact 0
		.amdhsa_exception_int_div_zero 0
	.end_amdhsa_kernel
	.section	.text._ZL37rocblas_syrkx_herkx_restricted_kernelIl19rocblas_complex_numIdELi16ELi32ELi8ELi1ELin1ELb0ELc78ELc76EKPKS1_KPS1_EviT_PT9_S7_lS9_S7_lPT10_S7_li,"axG",@progbits,_ZL37rocblas_syrkx_herkx_restricted_kernelIl19rocblas_complex_numIdELi16ELi32ELi8ELi1ELin1ELb0ELc78ELc76EKPKS1_KPS1_EviT_PT9_S7_lS9_S7_lPT10_S7_li,comdat
.Lfunc_end1627:
	.size	_ZL37rocblas_syrkx_herkx_restricted_kernelIl19rocblas_complex_numIdELi16ELi32ELi8ELi1ELin1ELb0ELc78ELc76EKPKS1_KPS1_EviT_PT9_S7_lS9_S7_lPT10_S7_li, .Lfunc_end1627-_ZL37rocblas_syrkx_herkx_restricted_kernelIl19rocblas_complex_numIdELi16ELi32ELi8ELi1ELin1ELb0ELc78ELc76EKPKS1_KPS1_EviT_PT9_S7_lS9_S7_lPT10_S7_li
                                        ; -- End function
	.set _ZL37rocblas_syrkx_herkx_restricted_kernelIl19rocblas_complex_numIdELi16ELi32ELi8ELi1ELin1ELb0ELc78ELc76EKPKS1_KPS1_EviT_PT9_S7_lS9_S7_lPT10_S7_li.num_vgpr, 54
	.set _ZL37rocblas_syrkx_herkx_restricted_kernelIl19rocblas_complex_numIdELi16ELi32ELi8ELi1ELin1ELb0ELc78ELc76EKPKS1_KPS1_EviT_PT9_S7_lS9_S7_lPT10_S7_li.num_agpr, 0
	.set _ZL37rocblas_syrkx_herkx_restricted_kernelIl19rocblas_complex_numIdELi16ELi32ELi8ELi1ELin1ELb0ELc78ELc76EKPKS1_KPS1_EviT_PT9_S7_lS9_S7_lPT10_S7_li.numbered_sgpr, 22
	.set _ZL37rocblas_syrkx_herkx_restricted_kernelIl19rocblas_complex_numIdELi16ELi32ELi8ELi1ELin1ELb0ELc78ELc76EKPKS1_KPS1_EviT_PT9_S7_lS9_S7_lPT10_S7_li.num_named_barrier, 0
	.set _ZL37rocblas_syrkx_herkx_restricted_kernelIl19rocblas_complex_numIdELi16ELi32ELi8ELi1ELin1ELb0ELc78ELc76EKPKS1_KPS1_EviT_PT9_S7_lS9_S7_lPT10_S7_li.private_seg_size, 0
	.set _ZL37rocblas_syrkx_herkx_restricted_kernelIl19rocblas_complex_numIdELi16ELi32ELi8ELi1ELin1ELb0ELc78ELc76EKPKS1_KPS1_EviT_PT9_S7_lS9_S7_lPT10_S7_li.uses_vcc, 1
	.set _ZL37rocblas_syrkx_herkx_restricted_kernelIl19rocblas_complex_numIdELi16ELi32ELi8ELi1ELin1ELb0ELc78ELc76EKPKS1_KPS1_EviT_PT9_S7_lS9_S7_lPT10_S7_li.uses_flat_scratch, 0
	.set _ZL37rocblas_syrkx_herkx_restricted_kernelIl19rocblas_complex_numIdELi16ELi32ELi8ELi1ELin1ELb0ELc78ELc76EKPKS1_KPS1_EviT_PT9_S7_lS9_S7_lPT10_S7_li.has_dyn_sized_stack, 0
	.set _ZL37rocblas_syrkx_herkx_restricted_kernelIl19rocblas_complex_numIdELi16ELi32ELi8ELi1ELin1ELb0ELc78ELc76EKPKS1_KPS1_EviT_PT9_S7_lS9_S7_lPT10_S7_li.has_recursion, 0
	.set _ZL37rocblas_syrkx_herkx_restricted_kernelIl19rocblas_complex_numIdELi16ELi32ELi8ELi1ELin1ELb0ELc78ELc76EKPKS1_KPS1_EviT_PT9_S7_lS9_S7_lPT10_S7_li.has_indirect_call, 0
	.section	.AMDGPU.csdata,"",@progbits
; Kernel info:
; codeLenInByte = 2916
; TotalNumSgprs: 26
; NumVgprs: 54
; ScratchSize: 0
; MemoryBound: 0
; FloatMode: 240
; IeeeMode: 1
; LDSByteSize: 8192 bytes/workgroup (compile time only)
; SGPRBlocks: 8
; VGPRBlocks: 13
; NumSGPRsForWavesPerEU: 65
; NumVGPRsForWavesPerEU: 54
; Occupancy: 4
; WaveLimiterHint : 1
; COMPUTE_PGM_RSRC2:SCRATCH_EN: 0
; COMPUTE_PGM_RSRC2:USER_SGPR: 6
; COMPUTE_PGM_RSRC2:TRAP_HANDLER: 0
; COMPUTE_PGM_RSRC2:TGID_X_EN: 1
; COMPUTE_PGM_RSRC2:TGID_Y_EN: 1
; COMPUTE_PGM_RSRC2:TGID_Z_EN: 1
; COMPUTE_PGM_RSRC2:TIDIG_COMP_CNT: 1
	.section	.text._ZL37rocblas_syrkx_herkx_restricted_kernelIl19rocblas_complex_numIdELi16ELi32ELi8ELi1ELin1ELb0ELc84ELc85EKPKS1_KPS1_EviT_PT9_S7_lS9_S7_lPT10_S7_li,"axG",@progbits,_ZL37rocblas_syrkx_herkx_restricted_kernelIl19rocblas_complex_numIdELi16ELi32ELi8ELi1ELin1ELb0ELc84ELc85EKPKS1_KPS1_EviT_PT9_S7_lS9_S7_lPT10_S7_li,comdat
	.globl	_ZL37rocblas_syrkx_herkx_restricted_kernelIl19rocblas_complex_numIdELi16ELi32ELi8ELi1ELin1ELb0ELc84ELc85EKPKS1_KPS1_EviT_PT9_S7_lS9_S7_lPT10_S7_li ; -- Begin function _ZL37rocblas_syrkx_herkx_restricted_kernelIl19rocblas_complex_numIdELi16ELi32ELi8ELi1ELin1ELb0ELc84ELc85EKPKS1_KPS1_EviT_PT9_S7_lS9_S7_lPT10_S7_li
	.p2align	8
	.type	_ZL37rocblas_syrkx_herkx_restricted_kernelIl19rocblas_complex_numIdELi16ELi32ELi8ELi1ELin1ELb0ELc84ELc85EKPKS1_KPS1_EviT_PT9_S7_lS9_S7_lPT10_S7_li,@function
_ZL37rocblas_syrkx_herkx_restricted_kernelIl19rocblas_complex_numIdELi16ELi32ELi8ELi1ELin1ELb0ELc84ELc85EKPKS1_KPS1_EviT_PT9_S7_lS9_S7_lPT10_S7_li: ; @_ZL37rocblas_syrkx_herkx_restricted_kernelIl19rocblas_complex_numIdELi16ELi32ELi8ELi1ELin1ELb0ELc84ELc85EKPKS1_KPS1_EviT_PT9_S7_lS9_S7_lPT10_S7_li
; %bb.0:
	s_load_dwordx4 s[0:3], s[4:5], 0x40
	s_load_dwordx4 s[12:15], s[4:5], 0x8
	s_mov_b32 s9, 0
	s_lshl_b64 s[10:11], s[8:9], 3
	s_waitcnt lgkmcnt(0)
	s_add_u32 s0, s0, s10
	s_addc_u32 s1, s1, s11
	s_load_dwordx2 s[8:9], s[0:1], 0x0
	v_cmp_lt_i64_e64 s[0:1], s[12:13], 1
	s_lshl_b32 s6, s6, 5
	s_lshl_b32 s7, s7, 5
	s_and_b64 vcc, exec, s[0:1]
	s_cbranch_vccnz .LBB1628_3
; %bb.1:
	s_load_dwordx2 s[0:1], s[4:5], 0x18
	s_load_dwordx4 s[16:19], s[4:5], 0x28
	v_lshl_add_u32 v6, v1, 4, v0
	v_lshrrev_b32_e32 v8, 3, v6
	v_add_u32_e32 v4, s7, v8
	v_ashrrev_i32_e32 v5, 31, v4
	v_and_b32_e32 v2, 7, v0
	v_mov_b32_e32 v3, 0
	s_waitcnt lgkmcnt(0)
	v_mul_lo_u32 v7, s18, v5
	v_mul_lo_u32 v9, s19, v4
	v_mad_u64_u32 v[4:5], s[18:19], s18, v4, v[2:3]
	s_add_u32 s14, s14, s10
	v_lshlrev_b32_e32 v2, 4, v2
	v_add3_u32 v5, v9, v5, v7
	v_and_b32_e32 v9, 31, v6
	s_addc_u32 s15, s15, s11
	v_lshl_or_b32 v2, v8, 7, v2
	v_add_u32_e32 v8, s6, v9
	s_add_u32 s10, s16, s10
	v_lshrrev_b32_e32 v6, 5, v6
	v_mov_b32_e32 v7, v3
	v_lshlrev_b32_e32 v3, 4, v9
	v_add_u32_e32 v23, 0x1000, v2
	v_ashrrev_i32_e32 v2, 31, v8
	s_addc_u32 s11, s17, s11
	v_lshl_or_b32 v22, v6, 9, v3
	v_mul_lo_u32 v9, s0, v2
	v_mad_u64_u32 v[2:3], s[16:17], s0, v8, v[6:7]
	v_mul_lo_u32 v6, s1, v8
	s_load_dwordx2 s[14:15], s[14:15], 0x0
	v_lshlrev_b64 v[4:5], 4, v[4:5]
	s_load_dwordx2 s[10:11], s[10:11], 0x0
	v_add3_u32 v3, v6, v3, v9
	v_lshlrev_b64 v[2:3], 4, v[2:3]
	s_waitcnt lgkmcnt(0)
	v_mov_b32_e32 v6, s15
	v_add_co_u32_e32 v2, vcc, s14, v2
	v_addc_co_u32_e32 v3, vcc, v6, v3, vcc
	v_mov_b32_e32 v7, 0x1000
	v_mov_b32_e32 v6, s11
	v_add_co_u32_e32 v4, vcc, s10, v4
	v_lshl_add_u32 v25, v1, 7, v7
	v_addc_co_u32_e32 v5, vcc, v6, v5, vcc
	v_mov_b32_e32 v10, 0
	v_mov_b32_e32 v12, 0
	v_mov_b32_e32 v18, 0
	v_mov_b32_e32 v20, 0
	v_mov_b32_e32 v6, 0
	v_mov_b32_e32 v8, 0
	v_mov_b32_e32 v16, 0
	v_mov_b32_e32 v14, 0
	v_lshlrev_b32_e32 v24, 4, v0
	v_mov_b32_e32 v11, 0
	v_mov_b32_e32 v13, 0
	;; [unrolled: 1-line block ×8, first 2 shown]
	s_mov_b64 s[0:1], 0
.LBB1628_2:                             ; =>This Inner Loop Header: Depth=1
	flat_load_dwordx4 v[26:29], v[2:3]
	s_add_u32 s0, s0, 8
	v_add_co_u32_e32 v2, vcc, 0x80, v2
	s_addc_u32 s1, s1, 0
	v_addc_co_u32_e32 v3, vcc, 0, v3, vcc
	s_waitcnt vmcnt(0) lgkmcnt(0)
	ds_write_b128 v22, v[26:29]
	flat_load_dwordx4 v[26:29], v[4:5]
	v_add_co_u32_e32 v4, vcc, 0x80, v4
	v_addc_co_u32_e32 v5, vcc, 0, v5, vcc
	s_waitcnt vmcnt(0) lgkmcnt(0)
	ds_write_b128 v23, v[26:29]
	s_waitcnt lgkmcnt(0)
	s_barrier
	ds_read_b128 v[26:29], v25
	ds_read_b128 v[30:33], v25 offset:16
	ds_read_b128 v[34:37], v25 offset:32
	;; [unrolled: 1-line block ×3, first 2 shown]
	ds_read_b128 v[42:45], v24
	s_waitcnt lgkmcnt(0)
	v_mul_f64 v[46:47], v[28:29], v[44:45]
	v_mul_f64 v[48:49], v[26:27], v[44:45]
	v_fma_f64 v[46:47], v[26:27], v[42:43], -v[46:47]
	v_fma_f64 v[48:49], v[28:29], v[42:43], v[48:49]
	v_add_f64 v[46:47], v[14:15], v[46:47]
	v_add_f64 v[48:49], v[48:49], v[16:17]
	ds_read_b128 v[14:17], v24 offset:256
	s_waitcnt lgkmcnt(0)
	v_mul_f64 v[50:51], v[28:29], v[16:17]
	v_fma_f64 v[50:51], v[26:27], v[14:15], -v[50:51]
	v_mul_f64 v[26:27], v[26:27], v[16:17]
	v_fma_f64 v[26:27], v[28:29], v[14:15], v[26:27]
	v_add_f64 v[28:29], v[8:9], v[50:51]
	v_add_f64 v[26:27], v[26:27], v[6:7]
	ds_read_b128 v[6:9], v25 offset:2048
	s_waitcnt lgkmcnt(0)
	v_mul_f64 v[50:51], v[8:9], v[44:45]
	v_mul_f64 v[44:45], v[6:7], v[44:45]
	v_fma_f64 v[50:51], v[6:7], v[42:43], -v[50:51]
	v_fma_f64 v[42:43], v[8:9], v[42:43], v[44:45]
	v_add_f64 v[20:21], v[20:21], v[50:51]
	v_add_f64 v[18:19], v[42:43], v[18:19]
	v_mul_f64 v[42:43], v[8:9], v[16:17]
	v_fma_f64 v[42:43], v[6:7], v[14:15], -v[42:43]
	v_mul_f64 v[6:7], v[6:7], v[16:17]
	v_add_f64 v[42:43], v[12:13], v[42:43]
	v_fma_f64 v[6:7], v[8:9], v[14:15], v[6:7]
	v_add_f64 v[44:45], v[6:7], v[10:11]
	ds_read_b128 v[6:9], v24 offset:512
	s_waitcnt lgkmcnt(0)
	v_mul_f64 v[10:11], v[32:33], v[8:9]
	v_mul_f64 v[12:13], v[30:31], v[8:9]
	v_fma_f64 v[10:11], v[30:31], v[6:7], -v[10:11]
	v_fma_f64 v[12:13], v[32:33], v[6:7], v[12:13]
	v_add_f64 v[46:47], v[46:47], v[10:11]
	v_add_f64 v[48:49], v[12:13], v[48:49]
	ds_read_b128 v[10:13], v24 offset:768
	s_waitcnt lgkmcnt(0)
	v_mul_f64 v[14:15], v[32:33], v[12:13]
	v_mul_f64 v[16:17], v[30:31], v[12:13]
	v_fma_f64 v[14:15], v[30:31], v[10:11], -v[14:15]
	v_fma_f64 v[16:17], v[32:33], v[10:11], v[16:17]
	v_add_f64 v[28:29], v[28:29], v[14:15]
	v_add_f64 v[26:27], v[16:17], v[26:27]
	ds_read_b128 v[14:17], v25 offset:2064
	s_waitcnt lgkmcnt(0)
	v_mul_f64 v[30:31], v[16:17], v[8:9]
	v_mul_f64 v[8:9], v[14:15], v[8:9]
	v_fma_f64 v[30:31], v[14:15], v[6:7], -v[30:31]
	v_fma_f64 v[6:7], v[16:17], v[6:7], v[8:9]
	v_mul_f64 v[8:9], v[14:15], v[12:13]
	v_add_f64 v[20:21], v[20:21], v[30:31]
	v_add_f64 v[18:19], v[6:7], v[18:19]
	v_mul_f64 v[6:7], v[16:17], v[12:13]
	v_fma_f64 v[8:9], v[16:17], v[10:11], v[8:9]
	v_fma_f64 v[6:7], v[14:15], v[10:11], -v[6:7]
	v_add_f64 v[32:33], v[8:9], v[44:45]
	v_add_f64 v[30:31], v[42:43], v[6:7]
	ds_read_b128 v[6:9], v24 offset:1024
	s_waitcnt lgkmcnt(0)
	v_mul_f64 v[10:11], v[36:37], v[8:9]
	v_mul_f64 v[12:13], v[34:35], v[8:9]
	v_fma_f64 v[10:11], v[34:35], v[6:7], -v[10:11]
	v_fma_f64 v[12:13], v[36:37], v[6:7], v[12:13]
	v_add_f64 v[42:43], v[46:47], v[10:11]
	v_add_f64 v[44:45], v[12:13], v[48:49]
	ds_read_b128 v[10:13], v24 offset:1280
	s_waitcnt lgkmcnt(0)
	v_mul_f64 v[14:15], v[36:37], v[12:13]
	v_mul_f64 v[16:17], v[34:35], v[12:13]
	v_fma_f64 v[14:15], v[34:35], v[10:11], -v[14:15]
	v_fma_f64 v[16:17], v[36:37], v[10:11], v[16:17]
	v_add_f64 v[28:29], v[28:29], v[14:15]
	v_add_f64 v[26:27], v[16:17], v[26:27]
	ds_read_b128 v[14:17], v25 offset:2080
	s_waitcnt lgkmcnt(0)
	v_mul_f64 v[34:35], v[16:17], v[8:9]
	v_mul_f64 v[8:9], v[14:15], v[8:9]
	v_fma_f64 v[34:35], v[14:15], v[6:7], -v[34:35]
	v_fma_f64 v[6:7], v[16:17], v[6:7], v[8:9]
	v_mul_f64 v[8:9], v[14:15], v[12:13]
	v_add_f64 v[20:21], v[20:21], v[34:35]
	v_add_f64 v[18:19], v[6:7], v[18:19]
	v_mul_f64 v[6:7], v[16:17], v[12:13]
	v_fma_f64 v[8:9], v[16:17], v[10:11], v[8:9]
	v_fma_f64 v[6:7], v[14:15], v[10:11], -v[6:7]
	v_add_f64 v[32:33], v[8:9], v[32:33]
	v_add_f64 v[30:31], v[30:31], v[6:7]
	ds_read_b128 v[6:9], v24 offset:1536
	s_waitcnt lgkmcnt(0)
	v_mul_f64 v[10:11], v[40:41], v[8:9]
	v_mul_f64 v[12:13], v[38:39], v[8:9]
	v_fma_f64 v[10:11], v[38:39], v[6:7], -v[10:11]
	v_fma_f64 v[12:13], v[40:41], v[6:7], v[12:13]
	v_add_f64 v[34:35], v[42:43], v[10:11]
	v_add_f64 v[36:37], v[12:13], v[44:45]
	ds_read_b128 v[10:13], v24 offset:1792
	s_waitcnt lgkmcnt(0)
	v_mul_f64 v[14:15], v[40:41], v[12:13]
	v_mul_f64 v[16:17], v[38:39], v[12:13]
	v_fma_f64 v[14:15], v[38:39], v[10:11], -v[14:15]
	v_fma_f64 v[16:17], v[40:41], v[10:11], v[16:17]
	v_add_f64 v[28:29], v[28:29], v[14:15]
	v_add_f64 v[26:27], v[16:17], v[26:27]
	ds_read_b128 v[14:17], v25 offset:2096
	s_waitcnt lgkmcnt(0)
	v_mul_f64 v[38:39], v[16:17], v[8:9]
	v_mul_f64 v[8:9], v[14:15], v[8:9]
	v_fma_f64 v[38:39], v[14:15], v[6:7], -v[38:39]
	v_fma_f64 v[6:7], v[16:17], v[6:7], v[8:9]
	v_mul_f64 v[8:9], v[14:15], v[12:13]
	v_add_f64 v[20:21], v[20:21], v[38:39]
	v_add_f64 v[18:19], v[6:7], v[18:19]
	v_mul_f64 v[6:7], v[16:17], v[12:13]
	v_fma_f64 v[8:9], v[16:17], v[10:11], v[8:9]
	v_fma_f64 v[6:7], v[14:15], v[10:11], -v[6:7]
	v_add_f64 v[32:33], v[8:9], v[32:33]
	v_add_f64 v[30:31], v[30:31], v[6:7]
	ds_read_b128 v[6:9], v25 offset:64
	ds_read_b128 v[10:13], v24 offset:2048
	s_waitcnt lgkmcnt(0)
	v_mul_f64 v[14:15], v[8:9], v[12:13]
	v_mul_f64 v[16:17], v[6:7], v[12:13]
	v_fma_f64 v[14:15], v[6:7], v[10:11], -v[14:15]
	v_fma_f64 v[16:17], v[8:9], v[10:11], v[16:17]
	v_add_f64 v[34:35], v[34:35], v[14:15]
	v_add_f64 v[36:37], v[16:17], v[36:37]
	ds_read_b128 v[14:17], v24 offset:2304
	s_waitcnt lgkmcnt(0)
	v_mul_f64 v[38:39], v[8:9], v[16:17]
	v_fma_f64 v[38:39], v[6:7], v[14:15], -v[38:39]
	v_mul_f64 v[6:7], v[6:7], v[16:17]
	v_add_f64 v[28:29], v[28:29], v[38:39]
	v_fma_f64 v[6:7], v[8:9], v[14:15], v[6:7]
	v_add_f64 v[26:27], v[6:7], v[26:27]
	ds_read_b128 v[6:9], v25 offset:2112
	s_waitcnt lgkmcnt(0)
	v_mul_f64 v[38:39], v[8:9], v[12:13]
	v_mul_f64 v[12:13], v[6:7], v[12:13]
	v_fma_f64 v[38:39], v[6:7], v[10:11], -v[38:39]
	v_fma_f64 v[10:11], v[8:9], v[10:11], v[12:13]
	v_add_f64 v[20:21], v[20:21], v[38:39]
	v_add_f64 v[18:19], v[10:11], v[18:19]
	v_mul_f64 v[10:11], v[8:9], v[16:17]
	v_fma_f64 v[10:11], v[6:7], v[14:15], -v[10:11]
	v_mul_f64 v[6:7], v[6:7], v[16:17]
	v_add_f64 v[30:31], v[30:31], v[10:11]
	v_fma_f64 v[6:7], v[8:9], v[14:15], v[6:7]
	v_add_f64 v[32:33], v[6:7], v[32:33]
	ds_read_b128 v[6:9], v25 offset:80
	ds_read_b128 v[10:13], v24 offset:2560
	s_waitcnt lgkmcnt(0)
	v_mul_f64 v[14:15], v[8:9], v[12:13]
	v_mul_f64 v[16:17], v[6:7], v[12:13]
	v_fma_f64 v[14:15], v[6:7], v[10:11], -v[14:15]
	v_fma_f64 v[16:17], v[8:9], v[10:11], v[16:17]
	v_add_f64 v[34:35], v[34:35], v[14:15]
	v_add_f64 v[36:37], v[16:17], v[36:37]
	ds_read_b128 v[14:17], v24 offset:2816
	s_waitcnt lgkmcnt(0)
	v_mul_f64 v[38:39], v[8:9], v[16:17]
	v_fma_f64 v[38:39], v[6:7], v[14:15], -v[38:39]
	v_mul_f64 v[6:7], v[6:7], v[16:17]
	v_add_f64 v[28:29], v[28:29], v[38:39]
	v_fma_f64 v[6:7], v[8:9], v[14:15], v[6:7]
	v_add_f64 v[26:27], v[6:7], v[26:27]
	ds_read_b128 v[6:9], v25 offset:2128
	s_waitcnt lgkmcnt(0)
	v_mul_f64 v[38:39], v[8:9], v[12:13]
	v_mul_f64 v[12:13], v[6:7], v[12:13]
	v_fma_f64 v[38:39], v[6:7], v[10:11], -v[38:39]
	v_fma_f64 v[10:11], v[8:9], v[10:11], v[12:13]
	v_add_f64 v[20:21], v[20:21], v[38:39]
	v_add_f64 v[18:19], v[10:11], v[18:19]
	v_mul_f64 v[10:11], v[8:9], v[16:17]
	v_fma_f64 v[10:11], v[6:7], v[14:15], -v[10:11]
	v_mul_f64 v[6:7], v[6:7], v[16:17]
	v_add_f64 v[30:31], v[30:31], v[10:11]
	v_fma_f64 v[6:7], v[8:9], v[14:15], v[6:7]
	v_add_f64 v[32:33], v[6:7], v[32:33]
	ds_read_b128 v[6:9], v25 offset:96
	ds_read_b128 v[10:13], v24 offset:3072
	s_waitcnt lgkmcnt(0)
	v_mul_f64 v[14:15], v[8:9], v[12:13]
	v_mul_f64 v[16:17], v[6:7], v[12:13]
	v_fma_f64 v[14:15], v[6:7], v[10:11], -v[14:15]
	v_fma_f64 v[16:17], v[8:9], v[10:11], v[16:17]
	v_add_f64 v[34:35], v[34:35], v[14:15]
	v_add_f64 v[36:37], v[16:17], v[36:37]
	ds_read_b128 v[14:17], v24 offset:3328
	s_waitcnt lgkmcnt(0)
	v_mul_f64 v[38:39], v[8:9], v[16:17]
	v_fma_f64 v[38:39], v[6:7], v[14:15], -v[38:39]
	v_mul_f64 v[6:7], v[6:7], v[16:17]
	v_add_f64 v[38:39], v[28:29], v[38:39]
	v_fma_f64 v[6:7], v[8:9], v[14:15], v[6:7]
	v_add_f64 v[40:41], v[6:7], v[26:27]
	ds_read_b128 v[6:9], v25 offset:2144
	s_waitcnt lgkmcnt(0)
	v_mul_f64 v[26:27], v[8:9], v[12:13]
	v_mul_f64 v[12:13], v[6:7], v[12:13]
	v_fma_f64 v[26:27], v[6:7], v[10:11], -v[26:27]
	v_fma_f64 v[10:11], v[8:9], v[10:11], v[12:13]
	v_add_f64 v[20:21], v[20:21], v[26:27]
	v_add_f64 v[18:19], v[10:11], v[18:19]
	v_mul_f64 v[10:11], v[8:9], v[16:17]
	v_fma_f64 v[10:11], v[6:7], v[14:15], -v[10:11]
	v_mul_f64 v[6:7], v[6:7], v[16:17]
	v_add_f64 v[42:43], v[30:31], v[10:11]
	v_fma_f64 v[6:7], v[8:9], v[14:15], v[6:7]
	v_add_f64 v[44:45], v[6:7], v[32:33]
	ds_read_b128 v[6:9], v25 offset:112
	ds_read_b128 v[10:13], v24 offset:3584
	;; [unrolled: 1-line block ×3, first 2 shown]
	s_waitcnt lgkmcnt(1)
	v_mul_f64 v[14:15], v[8:9], v[12:13]
	s_waitcnt lgkmcnt(0)
	v_mul_f64 v[30:31], v[8:9], v[28:29]
	v_mul_f64 v[16:17], v[6:7], v[12:13]
	v_fma_f64 v[14:15], v[6:7], v[10:11], -v[14:15]
	v_fma_f64 v[30:31], v[6:7], v[26:27], -v[30:31]
	v_mul_f64 v[6:7], v[6:7], v[28:29]
	v_fma_f64 v[16:17], v[8:9], v[10:11], v[16:17]
	v_add_f64 v[14:15], v[34:35], v[14:15]
	v_fma_f64 v[6:7], v[8:9], v[26:27], v[6:7]
	v_add_f64 v[8:9], v[38:39], v[30:31]
	ds_read_b128 v[30:33], v25 offset:2160
	v_add_f64 v[16:17], v[16:17], v[36:37]
	s_waitcnt lgkmcnt(0)
	s_barrier
	v_mul_f64 v[34:35], v[32:33], v[12:13]
	v_mul_f64 v[12:13], v[30:31], v[12:13]
	v_add_f64 v[6:7], v[6:7], v[40:41]
	v_fma_f64 v[34:35], v[30:31], v[10:11], -v[34:35]
	v_fma_f64 v[10:11], v[32:33], v[10:11], v[12:13]
	v_mul_f64 v[12:13], v[30:31], v[28:29]
	v_add_f64 v[20:21], v[20:21], v[34:35]
	v_add_f64 v[18:19], v[10:11], v[18:19]
	v_mul_f64 v[10:11], v[32:33], v[28:29]
	v_fma_f64 v[10:11], v[30:31], v[26:27], -v[10:11]
	v_fma_f64 v[26:27], v[32:33], v[26:27], v[12:13]
	v_add_f64 v[12:13], v[42:43], v[10:11]
	v_add_f64 v[10:11], v[26:27], v[44:45]
	v_mov_b32_e32 v27, s1
	v_mov_b32_e32 v26, s0
	v_cmp_le_u64_e32 vcc, s[12:13], v[26:27]
	s_cbranch_vccz .LBB1628_2
	s_branch .LBB1628_4
.LBB1628_3:
	v_mov_b32_e32 v14, 0
	v_mov_b32_e32 v16, 0
	;; [unrolled: 1-line block ×16, first 2 shown]
.LBB1628_4:
	v_add_u32_e32 v4, s7, v1
	v_ashrrev_i32_e32 v1, 31, v4
	v_mul_lo_u32 v3, s2, v1
	v_mul_lo_u32 v5, s3, v4
	v_mad_u64_u32 v[1:2], s[0:1], s2, v4, 0
	s_load_dword s10, s[4:5], 0x0
	v_add_u32_e32 v0, s6, v0
	v_add3_u32 v2, v2, v3, v5
	v_lshlrev_b64 v[1:2], 4, v[1:2]
	s_waitcnt lgkmcnt(0)
	v_mov_b32_e32 v3, s9
	v_add_co_u32_e64 v5, s[0:1], s8, v1
	v_addc_co_u32_e64 v22, s[0:1], v3, v2, s[0:1]
	v_cmp_gt_i32_e32 vcc, s10, v4
	v_cmp_le_i32_e64 s[0:1], v0, v4
	s_and_b64 s[0:1], vcc, s[0:1]
	s_and_saveexec_b64 s[4:5], s[0:1]
	s_cbranch_execz .LBB1628_6
; %bb.5:
	v_ashrrev_i32_e32 v1, 31, v0
	v_lshlrev_b64 v[1:2], 4, v[0:1]
	v_add_co_u32_e64 v1, s[0:1], v5, v1
	v_addc_co_u32_e64 v2, s[0:1], v22, v2, s[0:1]
	flat_load_dwordx4 v[23:26], v[1:2]
	s_waitcnt vmcnt(0) lgkmcnt(0)
	v_add_f64 v[14:15], v[14:15], -v[23:24]
	v_add_f64 v[16:17], v[16:17], -v[25:26]
	flat_store_dwordx4 v[1:2], v[14:17]
.LBB1628_6:
	s_or_b64 exec, exec, s[4:5]
	v_add_u32_e32 v2, 16, v0
	v_cmp_le_i32_e64 s[0:1], v2, v4
	s_and_b64 s[4:5], vcc, s[0:1]
	s_and_saveexec_b64 s[0:1], s[4:5]
	s_cbranch_execz .LBB1628_8
; %bb.7:
	v_ashrrev_i32_e32 v3, 31, v2
	v_lshlrev_b64 v[14:15], 4, v[2:3]
	v_add_co_u32_e32 v23, vcc, v5, v14
	v_addc_co_u32_e32 v24, vcc, v22, v15, vcc
	flat_load_dwordx4 v[14:17], v[23:24]
	s_waitcnt vmcnt(0) lgkmcnt(0)
	v_add_f64 v[14:15], v[8:9], -v[14:15]
	v_add_f64 v[16:17], v[6:7], -v[16:17]
	flat_store_dwordx4 v[23:24], v[14:17]
.LBB1628_8:
	s_or_b64 exec, exec, s[0:1]
	v_add_u32_e32 v3, 16, v4
	v_ashrrev_i32_e32 v1, 31, v3
	v_mul_lo_u32 v1, s2, v1
	v_mul_lo_u32 v6, s3, v3
	v_mad_u64_u32 v[4:5], s[0:1], s2, v3, 0
	v_cmp_gt_i32_e32 vcc, s10, v3
	v_add3_u32 v5, v5, v1, v6
	v_lshlrev_b64 v[4:5], 4, v[4:5]
	v_mov_b32_e32 v1, s9
	v_add_co_u32_e64 v4, s[0:1], s8, v4
	v_addc_co_u32_e64 v5, s[0:1], v1, v5, s[0:1]
	v_cmp_le_i32_e64 s[0:1], v0, v3
	s_and_b64 s[0:1], vcc, s[0:1]
	s_and_saveexec_b64 s[2:3], s[0:1]
	s_cbranch_execz .LBB1628_10
; %bb.9:
	v_ashrrev_i32_e32 v1, 31, v0
	v_lshlrev_b64 v[0:1], 4, v[0:1]
	v_add_co_u32_e64 v0, s[0:1], v4, v0
	v_addc_co_u32_e64 v1, s[0:1], v5, v1, s[0:1]
	flat_load_dwordx4 v[6:9], v[0:1]
	s_waitcnt vmcnt(0) lgkmcnt(0)
	v_add_f64 v[6:7], v[20:21], -v[6:7]
	v_add_f64 v[8:9], v[18:19], -v[8:9]
	flat_store_dwordx4 v[0:1], v[6:9]
.LBB1628_10:
	s_or_b64 exec, exec, s[2:3]
	v_cmp_le_i32_e64 s[0:1], v2, v3
	s_and_b64 s[0:1], vcc, s[0:1]
	s_and_saveexec_b64 s[2:3], s[0:1]
	s_cbranch_execz .LBB1628_12
; %bb.11:
	v_ashrrev_i32_e32 v3, 31, v2
	v_lshlrev_b64 v[0:1], 4, v[2:3]
	v_add_co_u32_e32 v4, vcc, v4, v0
	v_addc_co_u32_e32 v5, vcc, v5, v1, vcc
	flat_load_dwordx4 v[0:3], v[4:5]
	s_waitcnt vmcnt(0) lgkmcnt(0)
	v_add_f64 v[0:1], v[12:13], -v[0:1]
	v_add_f64 v[2:3], v[10:11], -v[2:3]
	flat_store_dwordx4 v[4:5], v[0:3]
.LBB1628_12:
	s_endpgm
	.section	.rodata,"a",@progbits
	.p2align	6, 0x0
	.amdhsa_kernel _ZL37rocblas_syrkx_herkx_restricted_kernelIl19rocblas_complex_numIdELi16ELi32ELi8ELi1ELin1ELb0ELc84ELc85EKPKS1_KPS1_EviT_PT9_S7_lS9_S7_lPT10_S7_li
		.amdhsa_group_segment_fixed_size 8192
		.amdhsa_private_segment_fixed_size 0
		.amdhsa_kernarg_size 92
		.amdhsa_user_sgpr_count 6
		.amdhsa_user_sgpr_private_segment_buffer 1
		.amdhsa_user_sgpr_dispatch_ptr 0
		.amdhsa_user_sgpr_queue_ptr 0
		.amdhsa_user_sgpr_kernarg_segment_ptr 1
		.amdhsa_user_sgpr_dispatch_id 0
		.amdhsa_user_sgpr_flat_scratch_init 0
		.amdhsa_user_sgpr_private_segment_size 0
		.amdhsa_uses_dynamic_stack 0
		.amdhsa_system_sgpr_private_segment_wavefront_offset 0
		.amdhsa_system_sgpr_workgroup_id_x 1
		.amdhsa_system_sgpr_workgroup_id_y 1
		.amdhsa_system_sgpr_workgroup_id_z 1
		.amdhsa_system_sgpr_workgroup_info 0
		.amdhsa_system_vgpr_workitem_id 1
		.amdhsa_next_free_vgpr 52
		.amdhsa_next_free_sgpr 61
		.amdhsa_reserve_vcc 1
		.amdhsa_reserve_flat_scratch 0
		.amdhsa_float_round_mode_32 0
		.amdhsa_float_round_mode_16_64 0
		.amdhsa_float_denorm_mode_32 3
		.amdhsa_float_denorm_mode_16_64 3
		.amdhsa_dx10_clamp 1
		.amdhsa_ieee_mode 1
		.amdhsa_fp16_overflow 0
		.amdhsa_exception_fp_ieee_invalid_op 0
		.amdhsa_exception_fp_denorm_src 0
		.amdhsa_exception_fp_ieee_div_zero 0
		.amdhsa_exception_fp_ieee_overflow 0
		.amdhsa_exception_fp_ieee_underflow 0
		.amdhsa_exception_fp_ieee_inexact 0
		.amdhsa_exception_int_div_zero 0
	.end_amdhsa_kernel
	.section	.text._ZL37rocblas_syrkx_herkx_restricted_kernelIl19rocblas_complex_numIdELi16ELi32ELi8ELi1ELin1ELb0ELc84ELc85EKPKS1_KPS1_EviT_PT9_S7_lS9_S7_lPT10_S7_li,"axG",@progbits,_ZL37rocblas_syrkx_herkx_restricted_kernelIl19rocblas_complex_numIdELi16ELi32ELi8ELi1ELin1ELb0ELc84ELc85EKPKS1_KPS1_EviT_PT9_S7_lS9_S7_lPT10_S7_li,comdat
.Lfunc_end1628:
	.size	_ZL37rocblas_syrkx_herkx_restricted_kernelIl19rocblas_complex_numIdELi16ELi32ELi8ELi1ELin1ELb0ELc84ELc85EKPKS1_KPS1_EviT_PT9_S7_lS9_S7_lPT10_S7_li, .Lfunc_end1628-_ZL37rocblas_syrkx_herkx_restricted_kernelIl19rocblas_complex_numIdELi16ELi32ELi8ELi1ELin1ELb0ELc84ELc85EKPKS1_KPS1_EviT_PT9_S7_lS9_S7_lPT10_S7_li
                                        ; -- End function
	.set _ZL37rocblas_syrkx_herkx_restricted_kernelIl19rocblas_complex_numIdELi16ELi32ELi8ELi1ELin1ELb0ELc84ELc85EKPKS1_KPS1_EviT_PT9_S7_lS9_S7_lPT10_S7_li.num_vgpr, 52
	.set _ZL37rocblas_syrkx_herkx_restricted_kernelIl19rocblas_complex_numIdELi16ELi32ELi8ELi1ELin1ELb0ELc84ELc85EKPKS1_KPS1_EviT_PT9_S7_lS9_S7_lPT10_S7_li.num_agpr, 0
	.set _ZL37rocblas_syrkx_herkx_restricted_kernelIl19rocblas_complex_numIdELi16ELi32ELi8ELi1ELin1ELb0ELc84ELc85EKPKS1_KPS1_EviT_PT9_S7_lS9_S7_lPT10_S7_li.numbered_sgpr, 20
	.set _ZL37rocblas_syrkx_herkx_restricted_kernelIl19rocblas_complex_numIdELi16ELi32ELi8ELi1ELin1ELb0ELc84ELc85EKPKS1_KPS1_EviT_PT9_S7_lS9_S7_lPT10_S7_li.num_named_barrier, 0
	.set _ZL37rocblas_syrkx_herkx_restricted_kernelIl19rocblas_complex_numIdELi16ELi32ELi8ELi1ELin1ELb0ELc84ELc85EKPKS1_KPS1_EviT_PT9_S7_lS9_S7_lPT10_S7_li.private_seg_size, 0
	.set _ZL37rocblas_syrkx_herkx_restricted_kernelIl19rocblas_complex_numIdELi16ELi32ELi8ELi1ELin1ELb0ELc84ELc85EKPKS1_KPS1_EviT_PT9_S7_lS9_S7_lPT10_S7_li.uses_vcc, 1
	.set _ZL37rocblas_syrkx_herkx_restricted_kernelIl19rocblas_complex_numIdELi16ELi32ELi8ELi1ELin1ELb0ELc84ELc85EKPKS1_KPS1_EviT_PT9_S7_lS9_S7_lPT10_S7_li.uses_flat_scratch, 0
	.set _ZL37rocblas_syrkx_herkx_restricted_kernelIl19rocblas_complex_numIdELi16ELi32ELi8ELi1ELin1ELb0ELc84ELc85EKPKS1_KPS1_EviT_PT9_S7_lS9_S7_lPT10_S7_li.has_dyn_sized_stack, 0
	.set _ZL37rocblas_syrkx_herkx_restricted_kernelIl19rocblas_complex_numIdELi16ELi32ELi8ELi1ELin1ELb0ELc84ELc85EKPKS1_KPS1_EviT_PT9_S7_lS9_S7_lPT10_S7_li.has_recursion, 0
	.set _ZL37rocblas_syrkx_herkx_restricted_kernelIl19rocblas_complex_numIdELi16ELi32ELi8ELi1ELin1ELb0ELc84ELc85EKPKS1_KPS1_EviT_PT9_S7_lS9_S7_lPT10_S7_li.has_indirect_call, 0
	.section	.AMDGPU.csdata,"",@progbits
; Kernel info:
; codeLenInByte = 2952
; TotalNumSgprs: 24
; NumVgprs: 52
; ScratchSize: 0
; MemoryBound: 0
; FloatMode: 240
; IeeeMode: 1
; LDSByteSize: 8192 bytes/workgroup (compile time only)
; SGPRBlocks: 8
; VGPRBlocks: 12
; NumSGPRsForWavesPerEU: 65
; NumVGPRsForWavesPerEU: 52
; Occupancy: 4
; WaveLimiterHint : 1
; COMPUTE_PGM_RSRC2:SCRATCH_EN: 0
; COMPUTE_PGM_RSRC2:USER_SGPR: 6
; COMPUTE_PGM_RSRC2:TRAP_HANDLER: 0
; COMPUTE_PGM_RSRC2:TGID_X_EN: 1
; COMPUTE_PGM_RSRC2:TGID_Y_EN: 1
; COMPUTE_PGM_RSRC2:TGID_Z_EN: 1
; COMPUTE_PGM_RSRC2:TIDIG_COMP_CNT: 1
	.section	.text._ZL37rocblas_syrkx_herkx_restricted_kernelIl19rocblas_complex_numIdELi16ELi32ELi8ELi1ELin1ELb0ELc67ELc85EKPKS1_KPS1_EviT_PT9_S7_lS9_S7_lPT10_S7_li,"axG",@progbits,_ZL37rocblas_syrkx_herkx_restricted_kernelIl19rocblas_complex_numIdELi16ELi32ELi8ELi1ELin1ELb0ELc67ELc85EKPKS1_KPS1_EviT_PT9_S7_lS9_S7_lPT10_S7_li,comdat
	.globl	_ZL37rocblas_syrkx_herkx_restricted_kernelIl19rocblas_complex_numIdELi16ELi32ELi8ELi1ELin1ELb0ELc67ELc85EKPKS1_KPS1_EviT_PT9_S7_lS9_S7_lPT10_S7_li ; -- Begin function _ZL37rocblas_syrkx_herkx_restricted_kernelIl19rocblas_complex_numIdELi16ELi32ELi8ELi1ELin1ELb0ELc67ELc85EKPKS1_KPS1_EviT_PT9_S7_lS9_S7_lPT10_S7_li
	.p2align	8
	.type	_ZL37rocblas_syrkx_herkx_restricted_kernelIl19rocblas_complex_numIdELi16ELi32ELi8ELi1ELin1ELb0ELc67ELc85EKPKS1_KPS1_EviT_PT9_S7_lS9_S7_lPT10_S7_li,@function
_ZL37rocblas_syrkx_herkx_restricted_kernelIl19rocblas_complex_numIdELi16ELi32ELi8ELi1ELin1ELb0ELc67ELc85EKPKS1_KPS1_EviT_PT9_S7_lS9_S7_lPT10_S7_li: ; @_ZL37rocblas_syrkx_herkx_restricted_kernelIl19rocblas_complex_numIdELi16ELi32ELi8ELi1ELin1ELb0ELc67ELc85EKPKS1_KPS1_EviT_PT9_S7_lS9_S7_lPT10_S7_li
; %bb.0:
	s_load_dwordx4 s[0:3], s[4:5], 0x40
	s_load_dwordx4 s[12:15], s[4:5], 0x8
	s_mov_b32 s9, 0
	s_lshl_b64 s[10:11], s[8:9], 3
	s_waitcnt lgkmcnt(0)
	s_add_u32 s0, s0, s10
	s_addc_u32 s1, s1, s11
	s_load_dwordx2 s[8:9], s[0:1], 0x0
	v_cmp_lt_i64_e64 s[0:1], s[12:13], 1
	s_lshl_b32 s6, s6, 5
	s_lshl_b32 s7, s7, 5
	s_and_b64 vcc, exec, s[0:1]
	s_cbranch_vccnz .LBB1629_3
; %bb.1:
	s_load_dwordx2 s[0:1], s[4:5], 0x18
	s_load_dwordx4 s[16:19], s[4:5], 0x28
	v_lshl_add_u32 v6, v1, 4, v0
	v_lshrrev_b32_e32 v8, 3, v6
	v_add_u32_e32 v4, s7, v8
	v_ashrrev_i32_e32 v5, 31, v4
	v_and_b32_e32 v2, 7, v0
	v_mov_b32_e32 v3, 0
	s_waitcnt lgkmcnt(0)
	v_mul_lo_u32 v7, s18, v5
	v_mul_lo_u32 v9, s19, v4
	v_mad_u64_u32 v[4:5], s[18:19], s18, v4, v[2:3]
	s_add_u32 s14, s14, s10
	v_lshlrev_b32_e32 v2, 4, v2
	v_add3_u32 v5, v9, v5, v7
	v_and_b32_e32 v9, 31, v6
	s_addc_u32 s15, s15, s11
	v_lshl_or_b32 v2, v8, 7, v2
	v_add_u32_e32 v8, s6, v9
	s_add_u32 s10, s16, s10
	v_lshrrev_b32_e32 v6, 5, v6
	v_mov_b32_e32 v7, v3
	v_lshlrev_b32_e32 v3, 4, v9
	v_add_u32_e32 v23, 0x1000, v2
	v_ashrrev_i32_e32 v2, 31, v8
	s_addc_u32 s11, s17, s11
	v_lshl_or_b32 v22, v6, 9, v3
	v_mul_lo_u32 v9, s0, v2
	v_mad_u64_u32 v[2:3], s[16:17], s0, v8, v[6:7]
	v_mul_lo_u32 v6, s1, v8
	s_load_dwordx2 s[14:15], s[14:15], 0x0
	v_lshlrev_b64 v[4:5], 4, v[4:5]
	s_load_dwordx2 s[10:11], s[10:11], 0x0
	v_add3_u32 v3, v6, v3, v9
	v_lshlrev_b64 v[2:3], 4, v[2:3]
	s_waitcnt lgkmcnt(0)
	v_mov_b32_e32 v6, s15
	v_add_co_u32_e32 v2, vcc, s14, v2
	v_addc_co_u32_e32 v3, vcc, v6, v3, vcc
	v_mov_b32_e32 v7, 0x1000
	v_mov_b32_e32 v6, s11
	v_add_co_u32_e32 v4, vcc, s10, v4
	v_lshl_add_u32 v25, v1, 7, v7
	v_addc_co_u32_e32 v5, vcc, v6, v5, vcc
	v_mov_b32_e32 v10, 0
	v_mov_b32_e32 v12, 0
	;; [unrolled: 1-line block ×8, first 2 shown]
	v_lshlrev_b32_e32 v24, 4, v0
	v_mov_b32_e32 v11, 0
	v_mov_b32_e32 v13, 0
	;; [unrolled: 1-line block ×8, first 2 shown]
	s_mov_b64 s[0:1], 0
.LBB1629_2:                             ; =>This Inner Loop Header: Depth=1
	flat_load_dwordx4 v[26:29], v[2:3]
	s_add_u32 s0, s0, 8
	v_add_co_u32_e32 v2, vcc, 0x80, v2
	s_addc_u32 s1, s1, 0
	v_addc_co_u32_e32 v3, vcc, 0, v3, vcc
	s_waitcnt vmcnt(0) lgkmcnt(0)
	ds_write_b128 v22, v[26:29]
	flat_load_dwordx4 v[26:29], v[4:5]
	v_add_co_u32_e32 v4, vcc, 0x80, v4
	v_addc_co_u32_e32 v5, vcc, 0, v5, vcc
	s_waitcnt vmcnt(0) lgkmcnt(0)
	ds_write_b128 v23, v[26:29]
	s_waitcnt lgkmcnt(0)
	s_barrier
	ds_read_b128 v[26:29], v25
	ds_read_b128 v[30:33], v25 offset:16
	ds_read_b128 v[34:37], v25 offset:32
	;; [unrolled: 1-line block ×3, first 2 shown]
	ds_read_b128 v[42:45], v24
	s_waitcnt lgkmcnt(0)
	v_mul_f64 v[46:47], v[28:29], v[44:45]
	v_mul_f64 v[48:49], v[26:27], v[44:45]
	v_fma_f64 v[46:47], v[26:27], v[42:43], -v[46:47]
	v_fma_f64 v[48:49], v[28:29], v[42:43], v[48:49]
	v_add_f64 v[46:47], v[14:15], v[46:47]
	v_add_f64 v[48:49], v[48:49], v[16:17]
	ds_read_b128 v[14:17], v24 offset:256
	s_waitcnt lgkmcnt(0)
	v_mul_f64 v[50:51], v[28:29], v[16:17]
	v_fma_f64 v[50:51], v[26:27], v[14:15], -v[50:51]
	v_mul_f64 v[26:27], v[26:27], v[16:17]
	v_fma_f64 v[26:27], v[28:29], v[14:15], v[26:27]
	v_add_f64 v[28:29], v[8:9], v[50:51]
	v_add_f64 v[26:27], v[26:27], v[6:7]
	ds_read_b128 v[6:9], v25 offset:2048
	s_waitcnt lgkmcnt(0)
	v_mul_f64 v[50:51], v[8:9], v[44:45]
	v_mul_f64 v[44:45], v[6:7], v[44:45]
	v_fma_f64 v[50:51], v[6:7], v[42:43], -v[50:51]
	v_fma_f64 v[42:43], v[8:9], v[42:43], v[44:45]
	v_add_f64 v[20:21], v[20:21], v[50:51]
	v_add_f64 v[18:19], v[42:43], v[18:19]
	v_mul_f64 v[42:43], v[8:9], v[16:17]
	v_fma_f64 v[42:43], v[6:7], v[14:15], -v[42:43]
	v_mul_f64 v[6:7], v[6:7], v[16:17]
	v_add_f64 v[42:43], v[12:13], v[42:43]
	v_fma_f64 v[6:7], v[8:9], v[14:15], v[6:7]
	v_add_f64 v[44:45], v[6:7], v[10:11]
	ds_read_b128 v[6:9], v24 offset:512
	s_waitcnt lgkmcnt(0)
	v_mul_f64 v[10:11], v[32:33], v[8:9]
	v_mul_f64 v[12:13], v[30:31], v[8:9]
	v_fma_f64 v[10:11], v[30:31], v[6:7], -v[10:11]
	v_fma_f64 v[12:13], v[32:33], v[6:7], v[12:13]
	v_add_f64 v[46:47], v[46:47], v[10:11]
	v_add_f64 v[48:49], v[12:13], v[48:49]
	ds_read_b128 v[10:13], v24 offset:768
	s_waitcnt lgkmcnt(0)
	v_mul_f64 v[14:15], v[32:33], v[12:13]
	v_mul_f64 v[16:17], v[30:31], v[12:13]
	v_fma_f64 v[14:15], v[30:31], v[10:11], -v[14:15]
	v_fma_f64 v[16:17], v[32:33], v[10:11], v[16:17]
	v_add_f64 v[28:29], v[28:29], v[14:15]
	v_add_f64 v[26:27], v[16:17], v[26:27]
	ds_read_b128 v[14:17], v25 offset:2064
	s_waitcnt lgkmcnt(0)
	v_mul_f64 v[30:31], v[16:17], v[8:9]
	v_mul_f64 v[8:9], v[14:15], v[8:9]
	v_fma_f64 v[30:31], v[14:15], v[6:7], -v[30:31]
	v_fma_f64 v[6:7], v[16:17], v[6:7], v[8:9]
	v_mul_f64 v[8:9], v[14:15], v[12:13]
	v_add_f64 v[20:21], v[20:21], v[30:31]
	v_add_f64 v[18:19], v[6:7], v[18:19]
	v_mul_f64 v[6:7], v[16:17], v[12:13]
	v_fma_f64 v[8:9], v[16:17], v[10:11], v[8:9]
	v_fma_f64 v[6:7], v[14:15], v[10:11], -v[6:7]
	v_add_f64 v[32:33], v[8:9], v[44:45]
	v_add_f64 v[30:31], v[42:43], v[6:7]
	ds_read_b128 v[6:9], v24 offset:1024
	s_waitcnt lgkmcnt(0)
	v_mul_f64 v[10:11], v[36:37], v[8:9]
	v_mul_f64 v[12:13], v[34:35], v[8:9]
	v_fma_f64 v[10:11], v[34:35], v[6:7], -v[10:11]
	v_fma_f64 v[12:13], v[36:37], v[6:7], v[12:13]
	v_add_f64 v[42:43], v[46:47], v[10:11]
	v_add_f64 v[44:45], v[12:13], v[48:49]
	ds_read_b128 v[10:13], v24 offset:1280
	s_waitcnt lgkmcnt(0)
	v_mul_f64 v[14:15], v[36:37], v[12:13]
	v_mul_f64 v[16:17], v[34:35], v[12:13]
	v_fma_f64 v[14:15], v[34:35], v[10:11], -v[14:15]
	v_fma_f64 v[16:17], v[36:37], v[10:11], v[16:17]
	v_add_f64 v[28:29], v[28:29], v[14:15]
	v_add_f64 v[26:27], v[16:17], v[26:27]
	ds_read_b128 v[14:17], v25 offset:2080
	s_waitcnt lgkmcnt(0)
	v_mul_f64 v[34:35], v[16:17], v[8:9]
	v_mul_f64 v[8:9], v[14:15], v[8:9]
	v_fma_f64 v[34:35], v[14:15], v[6:7], -v[34:35]
	v_fma_f64 v[6:7], v[16:17], v[6:7], v[8:9]
	v_mul_f64 v[8:9], v[14:15], v[12:13]
	v_add_f64 v[20:21], v[20:21], v[34:35]
	v_add_f64 v[18:19], v[6:7], v[18:19]
	v_mul_f64 v[6:7], v[16:17], v[12:13]
	v_fma_f64 v[8:9], v[16:17], v[10:11], v[8:9]
	v_fma_f64 v[6:7], v[14:15], v[10:11], -v[6:7]
	v_add_f64 v[32:33], v[8:9], v[32:33]
	;; [unrolled: 30-line block ×3, first 2 shown]
	v_add_f64 v[30:31], v[30:31], v[6:7]
	ds_read_b128 v[6:9], v25 offset:64
	ds_read_b128 v[10:13], v24 offset:2048
	s_waitcnt lgkmcnt(0)
	v_mul_f64 v[14:15], v[8:9], v[12:13]
	v_mul_f64 v[16:17], v[6:7], v[12:13]
	v_fma_f64 v[14:15], v[6:7], v[10:11], -v[14:15]
	v_fma_f64 v[16:17], v[8:9], v[10:11], v[16:17]
	v_add_f64 v[34:35], v[34:35], v[14:15]
	v_add_f64 v[36:37], v[16:17], v[36:37]
	ds_read_b128 v[14:17], v24 offset:2304
	s_waitcnt lgkmcnt(0)
	v_mul_f64 v[38:39], v[8:9], v[16:17]
	v_fma_f64 v[38:39], v[6:7], v[14:15], -v[38:39]
	v_mul_f64 v[6:7], v[6:7], v[16:17]
	v_add_f64 v[28:29], v[28:29], v[38:39]
	v_fma_f64 v[6:7], v[8:9], v[14:15], v[6:7]
	v_add_f64 v[26:27], v[6:7], v[26:27]
	ds_read_b128 v[6:9], v25 offset:2112
	s_waitcnt lgkmcnt(0)
	v_mul_f64 v[38:39], v[8:9], v[12:13]
	v_mul_f64 v[12:13], v[6:7], v[12:13]
	v_fma_f64 v[38:39], v[6:7], v[10:11], -v[38:39]
	v_fma_f64 v[10:11], v[8:9], v[10:11], v[12:13]
	v_add_f64 v[20:21], v[20:21], v[38:39]
	v_add_f64 v[18:19], v[10:11], v[18:19]
	v_mul_f64 v[10:11], v[8:9], v[16:17]
	v_fma_f64 v[10:11], v[6:7], v[14:15], -v[10:11]
	v_mul_f64 v[6:7], v[6:7], v[16:17]
	v_add_f64 v[30:31], v[30:31], v[10:11]
	v_fma_f64 v[6:7], v[8:9], v[14:15], v[6:7]
	v_add_f64 v[32:33], v[6:7], v[32:33]
	ds_read_b128 v[6:9], v25 offset:80
	ds_read_b128 v[10:13], v24 offset:2560
	s_waitcnt lgkmcnt(0)
	v_mul_f64 v[14:15], v[8:9], v[12:13]
	v_mul_f64 v[16:17], v[6:7], v[12:13]
	v_fma_f64 v[14:15], v[6:7], v[10:11], -v[14:15]
	v_fma_f64 v[16:17], v[8:9], v[10:11], v[16:17]
	v_add_f64 v[34:35], v[34:35], v[14:15]
	v_add_f64 v[36:37], v[16:17], v[36:37]
	ds_read_b128 v[14:17], v24 offset:2816
	s_waitcnt lgkmcnt(0)
	v_mul_f64 v[38:39], v[8:9], v[16:17]
	v_fma_f64 v[38:39], v[6:7], v[14:15], -v[38:39]
	v_mul_f64 v[6:7], v[6:7], v[16:17]
	v_add_f64 v[28:29], v[28:29], v[38:39]
	v_fma_f64 v[6:7], v[8:9], v[14:15], v[6:7]
	v_add_f64 v[26:27], v[6:7], v[26:27]
	ds_read_b128 v[6:9], v25 offset:2128
	s_waitcnt lgkmcnt(0)
	v_mul_f64 v[38:39], v[8:9], v[12:13]
	v_mul_f64 v[12:13], v[6:7], v[12:13]
	v_fma_f64 v[38:39], v[6:7], v[10:11], -v[38:39]
	v_fma_f64 v[10:11], v[8:9], v[10:11], v[12:13]
	v_add_f64 v[20:21], v[20:21], v[38:39]
	v_add_f64 v[18:19], v[10:11], v[18:19]
	v_mul_f64 v[10:11], v[8:9], v[16:17]
	v_fma_f64 v[10:11], v[6:7], v[14:15], -v[10:11]
	v_mul_f64 v[6:7], v[6:7], v[16:17]
	v_add_f64 v[30:31], v[30:31], v[10:11]
	v_fma_f64 v[6:7], v[8:9], v[14:15], v[6:7]
	;; [unrolled: 31-line block ×3, first 2 shown]
	v_add_f64 v[44:45], v[6:7], v[32:33]
	ds_read_b128 v[6:9], v25 offset:112
	ds_read_b128 v[10:13], v24 offset:3584
	;; [unrolled: 1-line block ×3, first 2 shown]
	s_waitcnt lgkmcnt(1)
	v_mul_f64 v[14:15], v[8:9], v[12:13]
	s_waitcnt lgkmcnt(0)
	v_mul_f64 v[30:31], v[8:9], v[28:29]
	v_mul_f64 v[16:17], v[6:7], v[12:13]
	v_fma_f64 v[14:15], v[6:7], v[10:11], -v[14:15]
	v_fma_f64 v[30:31], v[6:7], v[26:27], -v[30:31]
	v_mul_f64 v[6:7], v[6:7], v[28:29]
	v_fma_f64 v[16:17], v[8:9], v[10:11], v[16:17]
	v_add_f64 v[14:15], v[34:35], v[14:15]
	v_fma_f64 v[6:7], v[8:9], v[26:27], v[6:7]
	v_add_f64 v[8:9], v[38:39], v[30:31]
	ds_read_b128 v[30:33], v25 offset:2160
	v_add_f64 v[16:17], v[16:17], v[36:37]
	s_waitcnt lgkmcnt(0)
	s_barrier
	v_mul_f64 v[34:35], v[32:33], v[12:13]
	v_mul_f64 v[12:13], v[30:31], v[12:13]
	v_add_f64 v[6:7], v[6:7], v[40:41]
	v_fma_f64 v[34:35], v[30:31], v[10:11], -v[34:35]
	v_fma_f64 v[10:11], v[32:33], v[10:11], v[12:13]
	v_mul_f64 v[12:13], v[30:31], v[28:29]
	v_add_f64 v[20:21], v[20:21], v[34:35]
	v_add_f64 v[18:19], v[10:11], v[18:19]
	v_mul_f64 v[10:11], v[32:33], v[28:29]
	v_fma_f64 v[10:11], v[30:31], v[26:27], -v[10:11]
	v_fma_f64 v[26:27], v[32:33], v[26:27], v[12:13]
	v_add_f64 v[12:13], v[42:43], v[10:11]
	v_add_f64 v[10:11], v[26:27], v[44:45]
	v_mov_b32_e32 v27, s1
	v_mov_b32_e32 v26, s0
	v_cmp_le_u64_e32 vcc, s[12:13], v[26:27]
	s_cbranch_vccz .LBB1629_2
	s_branch .LBB1629_4
.LBB1629_3:
	v_mov_b32_e32 v14, 0
	v_mov_b32_e32 v16, 0
	;; [unrolled: 1-line block ×16, first 2 shown]
.LBB1629_4:
	v_add_u32_e32 v4, s7, v1
	v_ashrrev_i32_e32 v1, 31, v4
	v_mul_lo_u32 v3, s2, v1
	v_mul_lo_u32 v5, s3, v4
	v_mad_u64_u32 v[1:2], s[0:1], s2, v4, 0
	s_load_dword s10, s[4:5], 0x0
	v_add_u32_e32 v0, s6, v0
	v_add3_u32 v2, v2, v3, v5
	v_lshlrev_b64 v[1:2], 4, v[1:2]
	s_waitcnt lgkmcnt(0)
	v_mov_b32_e32 v3, s9
	v_add_co_u32_e64 v5, s[0:1], s8, v1
	v_addc_co_u32_e64 v22, s[0:1], v3, v2, s[0:1]
	v_cmp_gt_i32_e32 vcc, s10, v4
	v_cmp_le_i32_e64 s[0:1], v0, v4
	s_and_b64 s[0:1], vcc, s[0:1]
	s_and_saveexec_b64 s[4:5], s[0:1]
	s_cbranch_execz .LBB1629_6
; %bb.5:
	v_ashrrev_i32_e32 v1, 31, v0
	v_lshlrev_b64 v[1:2], 4, v[0:1]
	v_add_co_u32_e64 v1, s[0:1], v5, v1
	v_addc_co_u32_e64 v2, s[0:1], v22, v2, s[0:1]
	flat_load_dwordx4 v[23:26], v[1:2]
	s_waitcnt vmcnt(0) lgkmcnt(0)
	v_add_f64 v[14:15], v[14:15], -v[23:24]
	v_add_f64 v[16:17], v[16:17], -v[25:26]
	flat_store_dwordx4 v[1:2], v[14:17]
.LBB1629_6:
	s_or_b64 exec, exec, s[4:5]
	v_add_u32_e32 v2, 16, v0
	v_cmp_le_i32_e64 s[0:1], v2, v4
	s_and_b64 s[4:5], vcc, s[0:1]
	s_and_saveexec_b64 s[0:1], s[4:5]
	s_cbranch_execz .LBB1629_8
; %bb.7:
	v_ashrrev_i32_e32 v3, 31, v2
	v_lshlrev_b64 v[14:15], 4, v[2:3]
	v_add_co_u32_e32 v23, vcc, v5, v14
	v_addc_co_u32_e32 v24, vcc, v22, v15, vcc
	flat_load_dwordx4 v[14:17], v[23:24]
	s_waitcnt vmcnt(0) lgkmcnt(0)
	v_add_f64 v[14:15], v[8:9], -v[14:15]
	v_add_f64 v[16:17], v[6:7], -v[16:17]
	flat_store_dwordx4 v[23:24], v[14:17]
.LBB1629_8:
	s_or_b64 exec, exec, s[0:1]
	v_add_u32_e32 v3, 16, v4
	v_ashrrev_i32_e32 v1, 31, v3
	v_mul_lo_u32 v1, s2, v1
	v_mul_lo_u32 v6, s3, v3
	v_mad_u64_u32 v[4:5], s[0:1], s2, v3, 0
	v_cmp_gt_i32_e32 vcc, s10, v3
	v_add3_u32 v5, v5, v1, v6
	v_lshlrev_b64 v[4:5], 4, v[4:5]
	v_mov_b32_e32 v1, s9
	v_add_co_u32_e64 v4, s[0:1], s8, v4
	v_addc_co_u32_e64 v5, s[0:1], v1, v5, s[0:1]
	v_cmp_le_i32_e64 s[0:1], v0, v3
	s_and_b64 s[0:1], vcc, s[0:1]
	s_and_saveexec_b64 s[2:3], s[0:1]
	s_cbranch_execz .LBB1629_10
; %bb.9:
	v_ashrrev_i32_e32 v1, 31, v0
	v_lshlrev_b64 v[0:1], 4, v[0:1]
	v_add_co_u32_e64 v0, s[0:1], v4, v0
	v_addc_co_u32_e64 v1, s[0:1], v5, v1, s[0:1]
	flat_load_dwordx4 v[6:9], v[0:1]
	s_waitcnt vmcnt(0) lgkmcnt(0)
	v_add_f64 v[6:7], v[20:21], -v[6:7]
	v_add_f64 v[8:9], v[18:19], -v[8:9]
	flat_store_dwordx4 v[0:1], v[6:9]
.LBB1629_10:
	s_or_b64 exec, exec, s[2:3]
	v_cmp_le_i32_e64 s[0:1], v2, v3
	s_and_b64 s[0:1], vcc, s[0:1]
	s_and_saveexec_b64 s[2:3], s[0:1]
	s_cbranch_execz .LBB1629_12
; %bb.11:
	v_ashrrev_i32_e32 v3, 31, v2
	v_lshlrev_b64 v[0:1], 4, v[2:3]
	v_add_co_u32_e32 v4, vcc, v4, v0
	v_addc_co_u32_e32 v5, vcc, v5, v1, vcc
	flat_load_dwordx4 v[0:3], v[4:5]
	s_waitcnt vmcnt(0) lgkmcnt(0)
	v_add_f64 v[0:1], v[12:13], -v[0:1]
	v_add_f64 v[2:3], v[10:11], -v[2:3]
	flat_store_dwordx4 v[4:5], v[0:3]
.LBB1629_12:
	s_endpgm
	.section	.rodata,"a",@progbits
	.p2align	6, 0x0
	.amdhsa_kernel _ZL37rocblas_syrkx_herkx_restricted_kernelIl19rocblas_complex_numIdELi16ELi32ELi8ELi1ELin1ELb0ELc67ELc85EKPKS1_KPS1_EviT_PT9_S7_lS9_S7_lPT10_S7_li
		.amdhsa_group_segment_fixed_size 8192
		.amdhsa_private_segment_fixed_size 0
		.amdhsa_kernarg_size 92
		.amdhsa_user_sgpr_count 6
		.amdhsa_user_sgpr_private_segment_buffer 1
		.amdhsa_user_sgpr_dispatch_ptr 0
		.amdhsa_user_sgpr_queue_ptr 0
		.amdhsa_user_sgpr_kernarg_segment_ptr 1
		.amdhsa_user_sgpr_dispatch_id 0
		.amdhsa_user_sgpr_flat_scratch_init 0
		.amdhsa_user_sgpr_private_segment_size 0
		.amdhsa_uses_dynamic_stack 0
		.amdhsa_system_sgpr_private_segment_wavefront_offset 0
		.amdhsa_system_sgpr_workgroup_id_x 1
		.amdhsa_system_sgpr_workgroup_id_y 1
		.amdhsa_system_sgpr_workgroup_id_z 1
		.amdhsa_system_sgpr_workgroup_info 0
		.amdhsa_system_vgpr_workitem_id 1
		.amdhsa_next_free_vgpr 52
		.amdhsa_next_free_sgpr 61
		.amdhsa_reserve_vcc 1
		.amdhsa_reserve_flat_scratch 0
		.amdhsa_float_round_mode_32 0
		.amdhsa_float_round_mode_16_64 0
		.amdhsa_float_denorm_mode_32 3
		.amdhsa_float_denorm_mode_16_64 3
		.amdhsa_dx10_clamp 1
		.amdhsa_ieee_mode 1
		.amdhsa_fp16_overflow 0
		.amdhsa_exception_fp_ieee_invalid_op 0
		.amdhsa_exception_fp_denorm_src 0
		.amdhsa_exception_fp_ieee_div_zero 0
		.amdhsa_exception_fp_ieee_overflow 0
		.amdhsa_exception_fp_ieee_underflow 0
		.amdhsa_exception_fp_ieee_inexact 0
		.amdhsa_exception_int_div_zero 0
	.end_amdhsa_kernel
	.section	.text._ZL37rocblas_syrkx_herkx_restricted_kernelIl19rocblas_complex_numIdELi16ELi32ELi8ELi1ELin1ELb0ELc67ELc85EKPKS1_KPS1_EviT_PT9_S7_lS9_S7_lPT10_S7_li,"axG",@progbits,_ZL37rocblas_syrkx_herkx_restricted_kernelIl19rocblas_complex_numIdELi16ELi32ELi8ELi1ELin1ELb0ELc67ELc85EKPKS1_KPS1_EviT_PT9_S7_lS9_S7_lPT10_S7_li,comdat
.Lfunc_end1629:
	.size	_ZL37rocblas_syrkx_herkx_restricted_kernelIl19rocblas_complex_numIdELi16ELi32ELi8ELi1ELin1ELb0ELc67ELc85EKPKS1_KPS1_EviT_PT9_S7_lS9_S7_lPT10_S7_li, .Lfunc_end1629-_ZL37rocblas_syrkx_herkx_restricted_kernelIl19rocblas_complex_numIdELi16ELi32ELi8ELi1ELin1ELb0ELc67ELc85EKPKS1_KPS1_EviT_PT9_S7_lS9_S7_lPT10_S7_li
                                        ; -- End function
	.set _ZL37rocblas_syrkx_herkx_restricted_kernelIl19rocblas_complex_numIdELi16ELi32ELi8ELi1ELin1ELb0ELc67ELc85EKPKS1_KPS1_EviT_PT9_S7_lS9_S7_lPT10_S7_li.num_vgpr, 52
	.set _ZL37rocblas_syrkx_herkx_restricted_kernelIl19rocblas_complex_numIdELi16ELi32ELi8ELi1ELin1ELb0ELc67ELc85EKPKS1_KPS1_EviT_PT9_S7_lS9_S7_lPT10_S7_li.num_agpr, 0
	.set _ZL37rocblas_syrkx_herkx_restricted_kernelIl19rocblas_complex_numIdELi16ELi32ELi8ELi1ELin1ELb0ELc67ELc85EKPKS1_KPS1_EviT_PT9_S7_lS9_S7_lPT10_S7_li.numbered_sgpr, 20
	.set _ZL37rocblas_syrkx_herkx_restricted_kernelIl19rocblas_complex_numIdELi16ELi32ELi8ELi1ELin1ELb0ELc67ELc85EKPKS1_KPS1_EviT_PT9_S7_lS9_S7_lPT10_S7_li.num_named_barrier, 0
	.set _ZL37rocblas_syrkx_herkx_restricted_kernelIl19rocblas_complex_numIdELi16ELi32ELi8ELi1ELin1ELb0ELc67ELc85EKPKS1_KPS1_EviT_PT9_S7_lS9_S7_lPT10_S7_li.private_seg_size, 0
	.set _ZL37rocblas_syrkx_herkx_restricted_kernelIl19rocblas_complex_numIdELi16ELi32ELi8ELi1ELin1ELb0ELc67ELc85EKPKS1_KPS1_EviT_PT9_S7_lS9_S7_lPT10_S7_li.uses_vcc, 1
	.set _ZL37rocblas_syrkx_herkx_restricted_kernelIl19rocblas_complex_numIdELi16ELi32ELi8ELi1ELin1ELb0ELc67ELc85EKPKS1_KPS1_EviT_PT9_S7_lS9_S7_lPT10_S7_li.uses_flat_scratch, 0
	.set _ZL37rocblas_syrkx_herkx_restricted_kernelIl19rocblas_complex_numIdELi16ELi32ELi8ELi1ELin1ELb0ELc67ELc85EKPKS1_KPS1_EviT_PT9_S7_lS9_S7_lPT10_S7_li.has_dyn_sized_stack, 0
	.set _ZL37rocblas_syrkx_herkx_restricted_kernelIl19rocblas_complex_numIdELi16ELi32ELi8ELi1ELin1ELb0ELc67ELc85EKPKS1_KPS1_EviT_PT9_S7_lS9_S7_lPT10_S7_li.has_recursion, 0
	.set _ZL37rocblas_syrkx_herkx_restricted_kernelIl19rocblas_complex_numIdELi16ELi32ELi8ELi1ELin1ELb0ELc67ELc85EKPKS1_KPS1_EviT_PT9_S7_lS9_S7_lPT10_S7_li.has_indirect_call, 0
	.section	.AMDGPU.csdata,"",@progbits
; Kernel info:
; codeLenInByte = 2952
; TotalNumSgprs: 24
; NumVgprs: 52
; ScratchSize: 0
; MemoryBound: 0
; FloatMode: 240
; IeeeMode: 1
; LDSByteSize: 8192 bytes/workgroup (compile time only)
; SGPRBlocks: 8
; VGPRBlocks: 12
; NumSGPRsForWavesPerEU: 65
; NumVGPRsForWavesPerEU: 52
; Occupancy: 4
; WaveLimiterHint : 1
; COMPUTE_PGM_RSRC2:SCRATCH_EN: 0
; COMPUTE_PGM_RSRC2:USER_SGPR: 6
; COMPUTE_PGM_RSRC2:TRAP_HANDLER: 0
; COMPUTE_PGM_RSRC2:TGID_X_EN: 1
; COMPUTE_PGM_RSRC2:TGID_Y_EN: 1
; COMPUTE_PGM_RSRC2:TGID_Z_EN: 1
; COMPUTE_PGM_RSRC2:TIDIG_COMP_CNT: 1
	.section	.text._ZL37rocblas_syrkx_herkx_restricted_kernelIl19rocblas_complex_numIdELi16ELi32ELi8ELi1ELin1ELb0ELc78ELc85EKPKS1_KPS1_EviT_PT9_S7_lS9_S7_lPT10_S7_li,"axG",@progbits,_ZL37rocblas_syrkx_herkx_restricted_kernelIl19rocblas_complex_numIdELi16ELi32ELi8ELi1ELin1ELb0ELc78ELc85EKPKS1_KPS1_EviT_PT9_S7_lS9_S7_lPT10_S7_li,comdat
	.globl	_ZL37rocblas_syrkx_herkx_restricted_kernelIl19rocblas_complex_numIdELi16ELi32ELi8ELi1ELin1ELb0ELc78ELc85EKPKS1_KPS1_EviT_PT9_S7_lS9_S7_lPT10_S7_li ; -- Begin function _ZL37rocblas_syrkx_herkx_restricted_kernelIl19rocblas_complex_numIdELi16ELi32ELi8ELi1ELin1ELb0ELc78ELc85EKPKS1_KPS1_EviT_PT9_S7_lS9_S7_lPT10_S7_li
	.p2align	8
	.type	_ZL37rocblas_syrkx_herkx_restricted_kernelIl19rocblas_complex_numIdELi16ELi32ELi8ELi1ELin1ELb0ELc78ELc85EKPKS1_KPS1_EviT_PT9_S7_lS9_S7_lPT10_S7_li,@function
_ZL37rocblas_syrkx_herkx_restricted_kernelIl19rocblas_complex_numIdELi16ELi32ELi8ELi1ELin1ELb0ELc78ELc85EKPKS1_KPS1_EviT_PT9_S7_lS9_S7_lPT10_S7_li: ; @_ZL37rocblas_syrkx_herkx_restricted_kernelIl19rocblas_complex_numIdELi16ELi32ELi8ELi1ELin1ELb0ELc78ELc85EKPKS1_KPS1_EviT_PT9_S7_lS9_S7_lPT10_S7_li
; %bb.0:
	s_load_dwordx4 s[0:3], s[4:5], 0x40
	s_load_dwordx4 s[12:15], s[4:5], 0x8
	s_mov_b32 s9, 0
	s_lshl_b64 s[18:19], s[8:9], 3
	s_waitcnt lgkmcnt(0)
	s_add_u32 s0, s0, s18
	s_addc_u32 s1, s1, s19
	s_load_dwordx2 s[16:17], s[0:1], 0x0
	v_cmp_lt_i64_e64 s[0:1], s[12:13], 1
	s_lshl_b32 s20, s6, 5
	s_lshl_b32 s21, s7, 5
	s_and_b64 vcc, exec, s[0:1]
	s_cbranch_vccnz .LBB1630_3
; %bb.1:
	s_load_dwordx2 s[0:1], s[4:5], 0x18
	s_load_dwordx4 s[8:11], s[4:5], 0x28
	v_lshl_add_u32 v7, v1, 4, v0
	v_lshrrev_b32_e32 v8, 3, v7
	v_add_u32_e32 v2, s21, v8
	v_and_b32_e32 v6, 7, v0
	v_ashrrev_i32_e32 v3, 31, v2
	s_waitcnt lgkmcnt(0)
	v_mad_u64_u32 v[4:5], s[6:7], s10, v6, v[2:3]
	s_add_u32 s6, s14, s18
	s_addc_u32 s7, s15, s19
	v_mov_b32_e32 v2, v5
	v_mad_u64_u32 v[2:3], s[14:15], s11, v6, v[2:3]
	v_lshrrev_b32_e32 v9, 5, v7
	v_lshlrev_b32_e32 v6, 4, v6
	v_mov_b32_e32 v5, v2
	v_and_b32_e32 v2, 31, v7
	v_lshlrev_b32_e32 v3, 4, v2
	v_add_u32_e32 v2, s20, v2
	v_lshl_or_b32 v22, v9, 9, v3
	v_ashrrev_i32_e32 v3, 31, v2
	v_mad_u64_u32 v[2:3], s[14:15], s0, v9, v[2:3]
	v_lshl_or_b32 v6, v8, 7, v6
	v_add_u32_e32 v23, 0x1000, v6
	v_mad_u64_u32 v[6:7], s[14:15], s1, v9, v[3:4]
	s_load_dwordx2 s[6:7], s[6:7], 0x0
	s_add_u32 s8, s8, s18
	s_addc_u32 s9, s9, s19
	v_mov_b32_e32 v3, 0x1000
	s_load_dwordx2 s[8:9], s[8:9], 0x0
	v_lshl_add_u32 v25, v1, 7, v3
	v_mov_b32_e32 v3, v6
	v_lshlrev_b64 v[2:3], 4, v[2:3]
	s_waitcnt lgkmcnt(0)
	v_mov_b32_e32 v6, s7
	v_add_co_u32_e32 v2, vcc, s6, v2
	v_lshlrev_b64 v[4:5], 4, v[4:5]
	v_addc_co_u32_e32 v3, vcc, v6, v3, vcc
	v_mov_b32_e32 v6, s9
	v_add_co_u32_e32 v4, vcc, s8, v4
	s_lshl_b64 s[0:1], s[0:1], 7
	v_addc_co_u32_e32 v5, vcc, v6, v5, vcc
	s_lshl_b64 s[6:7], s[10:11], 7
	v_mov_b32_e32 v10, 0
	v_mov_b32_e32 v12, 0
	v_mov_b32_e32 v14, 0
	v_mov_b32_e32 v16, 0
	v_mov_b32_e32 v6, 0
	v_mov_b32_e32 v8, 0
	v_mov_b32_e32 v20, 0
	v_mov_b32_e32 v18, 0
	v_lshlrev_b32_e32 v24, 4, v0
	v_mov_b32_e32 v11, 0
	s_mov_b64 s[8:9], 0
	v_mov_b32_e32 v26, s1
	v_mov_b32_e32 v13, 0
	;; [unrolled: 1-line block ×9, first 2 shown]
.LBB1630_2:                             ; =>This Inner Loop Header: Depth=1
	flat_load_dwordx4 v[28:31], v[2:3]
	s_add_u32 s8, s8, 8
	v_add_co_u32_e32 v2, vcc, s0, v2
	s_addc_u32 s9, s9, 0
	v_addc_co_u32_e32 v3, vcc, v3, v26, vcc
	s_waitcnt vmcnt(0) lgkmcnt(0)
	ds_write_b128 v22, v[28:31]
	flat_load_dwordx4 v[28:31], v[4:5]
	v_add_co_u32_e32 v4, vcc, s6, v4
	v_addc_co_u32_e32 v5, vcc, v5, v27, vcc
	s_waitcnt vmcnt(0) lgkmcnt(0)
	ds_write_b128 v23, v[28:31]
	s_waitcnt lgkmcnt(0)
	s_barrier
	ds_read_b128 v[28:31], v25
	ds_read_b128 v[32:35], v25 offset:16
	ds_read_b128 v[36:39], v25 offset:32
	;; [unrolled: 1-line block ×3, first 2 shown]
	ds_read_b128 v[44:47], v24
	s_waitcnt lgkmcnt(0)
	v_mul_f64 v[48:49], v[30:31], v[46:47]
	v_mul_f64 v[50:51], v[28:29], v[46:47]
	v_fma_f64 v[48:49], v[28:29], v[44:45], -v[48:49]
	v_fma_f64 v[50:51], v[30:31], v[44:45], v[50:51]
	v_add_f64 v[48:49], v[18:19], v[48:49]
	v_add_f64 v[50:51], v[50:51], v[20:21]
	ds_read_b128 v[18:21], v24 offset:256
	s_waitcnt lgkmcnt(0)
	v_mul_f64 v[52:53], v[30:31], v[20:21]
	v_fma_f64 v[52:53], v[28:29], v[18:19], -v[52:53]
	v_mul_f64 v[28:29], v[28:29], v[20:21]
	v_fma_f64 v[28:29], v[30:31], v[18:19], v[28:29]
	v_add_f64 v[30:31], v[8:9], v[52:53]
	v_add_f64 v[28:29], v[28:29], v[6:7]
	ds_read_b128 v[6:9], v25 offset:2048
	s_waitcnt lgkmcnt(0)
	v_mul_f64 v[52:53], v[8:9], v[46:47]
	v_mul_f64 v[46:47], v[6:7], v[46:47]
	v_fma_f64 v[52:53], v[6:7], v[44:45], -v[52:53]
	v_fma_f64 v[44:45], v[8:9], v[44:45], v[46:47]
	v_add_f64 v[46:47], v[16:17], v[52:53]
	v_add_f64 v[44:45], v[44:45], v[14:15]
	v_mul_f64 v[14:15], v[8:9], v[20:21]
	v_fma_f64 v[14:15], v[6:7], v[18:19], -v[14:15]
	v_mul_f64 v[6:7], v[6:7], v[20:21]
	v_fma_f64 v[6:7], v[8:9], v[18:19], v[6:7]
	v_add_f64 v[18:19], v[12:13], v[14:15]
	v_add_f64 v[20:21], v[6:7], v[10:11]
	ds_read_b128 v[6:9], v24 offset:512
	s_waitcnt lgkmcnt(0)
	v_mul_f64 v[10:11], v[34:35], v[8:9]
	v_mul_f64 v[12:13], v[32:33], v[8:9]
	v_fma_f64 v[10:11], v[32:33], v[6:7], -v[10:11]
	v_fma_f64 v[12:13], v[34:35], v[6:7], v[12:13]
	v_add_f64 v[48:49], v[48:49], v[10:11]
	v_add_f64 v[50:51], v[12:13], v[50:51]
	ds_read_b128 v[10:13], v24 offset:768
	s_waitcnt lgkmcnt(0)
	v_mul_f64 v[14:15], v[34:35], v[12:13]
	v_mul_f64 v[16:17], v[32:33], v[12:13]
	v_fma_f64 v[14:15], v[32:33], v[10:11], -v[14:15]
	;; [unrolled: 8-line block ×3, first 2 shown]
	v_fma_f64 v[6:7], v[16:17], v[6:7], v[8:9]
	v_mul_f64 v[8:9], v[14:15], v[12:13]
	v_add_f64 v[32:33], v[46:47], v[32:33]
	v_add_f64 v[34:35], v[6:7], v[44:45]
	v_mul_f64 v[6:7], v[16:17], v[12:13]
	v_fma_f64 v[8:9], v[16:17], v[10:11], v[8:9]
	v_fma_f64 v[6:7], v[14:15], v[10:11], -v[6:7]
	v_add_f64 v[20:21], v[8:9], v[20:21]
	v_add_f64 v[18:19], v[18:19], v[6:7]
	ds_read_b128 v[6:9], v24 offset:1024
	s_waitcnt lgkmcnt(0)
	v_mul_f64 v[10:11], v[38:39], v[8:9]
	v_mul_f64 v[12:13], v[36:37], v[8:9]
	v_fma_f64 v[10:11], v[36:37], v[6:7], -v[10:11]
	v_fma_f64 v[12:13], v[38:39], v[6:7], v[12:13]
	v_add_f64 v[44:45], v[48:49], v[10:11]
	v_add_f64 v[46:47], v[12:13], v[50:51]
	ds_read_b128 v[10:13], v24 offset:1280
	s_waitcnt lgkmcnt(0)
	v_mul_f64 v[14:15], v[38:39], v[12:13]
	v_mul_f64 v[16:17], v[36:37], v[12:13]
	v_fma_f64 v[14:15], v[36:37], v[10:11], -v[14:15]
	v_fma_f64 v[16:17], v[38:39], v[10:11], v[16:17]
	;; [unrolled: 8-line block ×3, first 2 shown]
	v_mul_f64 v[8:9], v[14:15], v[12:13]
	v_add_f64 v[32:33], v[32:33], v[36:37]
	v_add_f64 v[34:35], v[6:7], v[34:35]
	v_mul_f64 v[6:7], v[16:17], v[12:13]
	v_fma_f64 v[8:9], v[16:17], v[10:11], v[8:9]
	v_fma_f64 v[6:7], v[14:15], v[10:11], -v[6:7]
	v_add_f64 v[20:21], v[8:9], v[20:21]
	v_add_f64 v[18:19], v[18:19], v[6:7]
	ds_read_b128 v[6:9], v24 offset:1536
	s_waitcnt lgkmcnt(0)
	v_mul_f64 v[10:11], v[42:43], v[8:9]
	v_mul_f64 v[12:13], v[40:41], v[8:9]
	v_fma_f64 v[10:11], v[40:41], v[6:7], -v[10:11]
	v_fma_f64 v[12:13], v[42:43], v[6:7], v[12:13]
	v_add_f64 v[36:37], v[44:45], v[10:11]
	v_add_f64 v[38:39], v[12:13], v[46:47]
	ds_read_b128 v[10:13], v24 offset:1792
	s_waitcnt lgkmcnt(0)
	v_mul_f64 v[14:15], v[42:43], v[12:13]
	v_mul_f64 v[16:17], v[40:41], v[12:13]
	v_fma_f64 v[14:15], v[40:41], v[10:11], -v[14:15]
	v_fma_f64 v[16:17], v[42:43], v[10:11], v[16:17]
	;; [unrolled: 8-line block ×3, first 2 shown]
	v_mul_f64 v[8:9], v[14:15], v[12:13]
	v_add_f64 v[32:33], v[32:33], v[40:41]
	v_add_f64 v[34:35], v[6:7], v[34:35]
	v_mul_f64 v[6:7], v[16:17], v[12:13]
	v_fma_f64 v[8:9], v[16:17], v[10:11], v[8:9]
	v_fma_f64 v[6:7], v[14:15], v[10:11], -v[6:7]
	v_add_f64 v[20:21], v[8:9], v[20:21]
	v_add_f64 v[18:19], v[18:19], v[6:7]
	ds_read_b128 v[6:9], v25 offset:64
	ds_read_b128 v[10:13], v24 offset:2048
	s_waitcnt lgkmcnt(0)
	v_mul_f64 v[14:15], v[8:9], v[12:13]
	v_mul_f64 v[16:17], v[6:7], v[12:13]
	v_fma_f64 v[14:15], v[6:7], v[10:11], -v[14:15]
	v_fma_f64 v[16:17], v[8:9], v[10:11], v[16:17]
	v_add_f64 v[36:37], v[36:37], v[14:15]
	v_add_f64 v[38:39], v[16:17], v[38:39]
	ds_read_b128 v[14:17], v24 offset:2304
	s_waitcnt lgkmcnt(0)
	v_mul_f64 v[40:41], v[8:9], v[16:17]
	v_fma_f64 v[40:41], v[6:7], v[14:15], -v[40:41]
	v_mul_f64 v[6:7], v[6:7], v[16:17]
	v_add_f64 v[30:31], v[30:31], v[40:41]
	v_fma_f64 v[6:7], v[8:9], v[14:15], v[6:7]
	v_add_f64 v[28:29], v[6:7], v[28:29]
	ds_read_b128 v[6:9], v25 offset:2112
	s_waitcnt lgkmcnt(0)
	v_mul_f64 v[40:41], v[8:9], v[12:13]
	v_mul_f64 v[12:13], v[6:7], v[12:13]
	v_fma_f64 v[40:41], v[6:7], v[10:11], -v[40:41]
	v_fma_f64 v[10:11], v[8:9], v[10:11], v[12:13]
	v_add_f64 v[32:33], v[32:33], v[40:41]
	v_add_f64 v[34:35], v[10:11], v[34:35]
	v_mul_f64 v[10:11], v[8:9], v[16:17]
	v_fma_f64 v[10:11], v[6:7], v[14:15], -v[10:11]
	v_mul_f64 v[6:7], v[6:7], v[16:17]
	v_add_f64 v[18:19], v[18:19], v[10:11]
	v_fma_f64 v[6:7], v[8:9], v[14:15], v[6:7]
	v_add_f64 v[20:21], v[6:7], v[20:21]
	ds_read_b128 v[6:9], v25 offset:80
	ds_read_b128 v[10:13], v24 offset:2560
	s_waitcnt lgkmcnt(0)
	v_mul_f64 v[14:15], v[8:9], v[12:13]
	v_mul_f64 v[16:17], v[6:7], v[12:13]
	v_fma_f64 v[14:15], v[6:7], v[10:11], -v[14:15]
	v_fma_f64 v[16:17], v[8:9], v[10:11], v[16:17]
	v_add_f64 v[36:37], v[36:37], v[14:15]
	v_add_f64 v[38:39], v[16:17], v[38:39]
	ds_read_b128 v[14:17], v24 offset:2816
	s_waitcnt lgkmcnt(0)
	v_mul_f64 v[40:41], v[8:9], v[16:17]
	v_fma_f64 v[40:41], v[6:7], v[14:15], -v[40:41]
	v_mul_f64 v[6:7], v[6:7], v[16:17]
	v_add_f64 v[30:31], v[30:31], v[40:41]
	v_fma_f64 v[6:7], v[8:9], v[14:15], v[6:7]
	v_add_f64 v[28:29], v[6:7], v[28:29]
	ds_read_b128 v[6:9], v25 offset:2128
	s_waitcnt lgkmcnt(0)
	v_mul_f64 v[40:41], v[8:9], v[12:13]
	v_mul_f64 v[12:13], v[6:7], v[12:13]
	v_fma_f64 v[40:41], v[6:7], v[10:11], -v[40:41]
	v_fma_f64 v[10:11], v[8:9], v[10:11], v[12:13]
	v_add_f64 v[32:33], v[32:33], v[40:41]
	v_add_f64 v[34:35], v[10:11], v[34:35]
	v_mul_f64 v[10:11], v[8:9], v[16:17]
	v_fma_f64 v[10:11], v[6:7], v[14:15], -v[10:11]
	v_mul_f64 v[6:7], v[6:7], v[16:17]
	v_add_f64 v[18:19], v[18:19], v[10:11]
	v_fma_f64 v[6:7], v[8:9], v[14:15], v[6:7]
	;; [unrolled: 31-line block ×3, first 2 shown]
	v_add_f64 v[50:51], v[6:7], v[20:21]
	ds_read_b128 v[6:9], v25 offset:112
	ds_read_b128 v[10:13], v24 offset:3584
	;; [unrolled: 1-line block ×4, first 2 shown]
	s_waitcnt lgkmcnt(0)
	s_barrier
	v_mul_f64 v[14:15], v[8:9], v[12:13]
	v_mul_f64 v[16:17], v[6:7], v[12:13]
	v_fma_f64 v[14:15], v[6:7], v[10:11], -v[14:15]
	v_fma_f64 v[16:17], v[8:9], v[10:11], v[16:17]
	v_add_f64 v[18:19], v[36:37], v[14:15]
	v_mul_f64 v[14:15], v[8:9], v[30:31]
	v_add_f64 v[20:21], v[16:17], v[38:39]
	v_fma_f64 v[14:15], v[6:7], v[28:29], -v[14:15]
	v_mul_f64 v[6:7], v[6:7], v[30:31]
	v_fma_f64 v[6:7], v[8:9], v[28:29], v[6:7]
	v_add_f64 v[8:9], v[40:41], v[14:15]
	v_mul_f64 v[14:15], v[34:35], v[12:13]
	v_mul_f64 v[12:13], v[32:33], v[12:13]
	v_add_f64 v[6:7], v[6:7], v[42:43]
	v_fma_f64 v[14:15], v[32:33], v[10:11], -v[14:15]
	v_fma_f64 v[10:11], v[34:35], v[10:11], v[12:13]
	v_mul_f64 v[12:13], v[32:33], v[30:31]
	v_add_f64 v[16:17], v[44:45], v[14:15]
	v_add_f64 v[14:15], v[10:11], v[46:47]
	v_mul_f64 v[10:11], v[34:35], v[30:31]
	v_fma_f64 v[10:11], v[32:33], v[28:29], -v[10:11]
	v_fma_f64 v[28:29], v[34:35], v[28:29], v[12:13]
	v_add_f64 v[12:13], v[48:49], v[10:11]
	v_add_f64 v[10:11], v[28:29], v[50:51]
	v_mov_b32_e32 v29, s9
	v_mov_b32_e32 v28, s8
	v_cmp_le_u64_e32 vcc, s[12:13], v[28:29]
	s_cbranch_vccz .LBB1630_2
	s_branch .LBB1630_4
.LBB1630_3:
	v_mov_b32_e32 v18, 0
	v_mov_b32_e32 v20, 0
	;; [unrolled: 1-line block ×16, first 2 shown]
.LBB1630_4:
	v_add_u32_e32 v4, s21, v1
	v_ashrrev_i32_e32 v1, 31, v4
	v_mul_lo_u32 v3, s2, v1
	v_mul_lo_u32 v5, s3, v4
	v_mad_u64_u32 v[1:2], s[0:1], s2, v4, 0
	s_load_dword s6, s[4:5], 0x0
	v_add_u32_e32 v0, s20, v0
	v_add3_u32 v2, v2, v3, v5
	v_lshlrev_b64 v[1:2], 4, v[1:2]
	s_waitcnt lgkmcnt(0)
	v_mov_b32_e32 v3, s17
	v_add_co_u32_e64 v5, s[0:1], s16, v1
	v_addc_co_u32_e64 v22, s[0:1], v3, v2, s[0:1]
	v_cmp_gt_i32_e32 vcc, s6, v4
	v_cmp_le_i32_e64 s[0:1], v0, v4
	s_and_b64 s[0:1], vcc, s[0:1]
	s_and_saveexec_b64 s[4:5], s[0:1]
	s_cbranch_execz .LBB1630_6
; %bb.5:
	v_ashrrev_i32_e32 v1, 31, v0
	v_lshlrev_b64 v[1:2], 4, v[0:1]
	v_add_co_u32_e64 v1, s[0:1], v5, v1
	v_addc_co_u32_e64 v2, s[0:1], v22, v2, s[0:1]
	flat_load_dwordx4 v[23:26], v[1:2]
	s_waitcnt vmcnt(0) lgkmcnt(0)
	v_add_f64 v[18:19], v[18:19], -v[23:24]
	v_add_f64 v[20:21], v[20:21], -v[25:26]
	flat_store_dwordx4 v[1:2], v[18:21]
.LBB1630_6:
	s_or_b64 exec, exec, s[4:5]
	v_add_u32_e32 v2, 16, v0
	v_cmp_le_i32_e64 s[0:1], v2, v4
	s_and_b64 s[4:5], vcc, s[0:1]
	s_and_saveexec_b64 s[0:1], s[4:5]
	s_cbranch_execz .LBB1630_8
; %bb.7:
	v_ashrrev_i32_e32 v3, 31, v2
	v_lshlrev_b64 v[18:19], 4, v[2:3]
	v_add_co_u32_e32 v23, vcc, v5, v18
	v_addc_co_u32_e32 v24, vcc, v22, v19, vcc
	flat_load_dwordx4 v[18:21], v[23:24]
	s_waitcnt vmcnt(0) lgkmcnt(0)
	v_add_f64 v[18:19], v[8:9], -v[18:19]
	v_add_f64 v[20:21], v[6:7], -v[20:21]
	flat_store_dwordx4 v[23:24], v[18:21]
.LBB1630_8:
	s_or_b64 exec, exec, s[0:1]
	v_add_u32_e32 v3, 16, v4
	v_ashrrev_i32_e32 v1, 31, v3
	v_mul_lo_u32 v1, s2, v1
	v_mul_lo_u32 v6, s3, v3
	v_mad_u64_u32 v[4:5], s[0:1], s2, v3, 0
	v_cmp_gt_i32_e32 vcc, s6, v3
	v_add3_u32 v5, v5, v1, v6
	v_lshlrev_b64 v[4:5], 4, v[4:5]
	v_mov_b32_e32 v1, s17
	v_add_co_u32_e64 v4, s[0:1], s16, v4
	v_addc_co_u32_e64 v5, s[0:1], v1, v5, s[0:1]
	v_cmp_le_i32_e64 s[0:1], v0, v3
	s_and_b64 s[0:1], vcc, s[0:1]
	s_and_saveexec_b64 s[2:3], s[0:1]
	s_cbranch_execz .LBB1630_10
; %bb.9:
	v_ashrrev_i32_e32 v1, 31, v0
	v_lshlrev_b64 v[0:1], 4, v[0:1]
	v_add_co_u32_e64 v0, s[0:1], v4, v0
	v_addc_co_u32_e64 v1, s[0:1], v5, v1, s[0:1]
	flat_load_dwordx4 v[6:9], v[0:1]
	s_waitcnt vmcnt(0) lgkmcnt(0)
	v_add_f64 v[6:7], v[16:17], -v[6:7]
	v_add_f64 v[8:9], v[14:15], -v[8:9]
	flat_store_dwordx4 v[0:1], v[6:9]
.LBB1630_10:
	s_or_b64 exec, exec, s[2:3]
	v_cmp_le_i32_e64 s[0:1], v2, v3
	s_and_b64 s[0:1], vcc, s[0:1]
	s_and_saveexec_b64 s[2:3], s[0:1]
	s_cbranch_execz .LBB1630_12
; %bb.11:
	v_ashrrev_i32_e32 v3, 31, v2
	v_lshlrev_b64 v[0:1], 4, v[2:3]
	v_add_co_u32_e32 v4, vcc, v4, v0
	v_addc_co_u32_e32 v5, vcc, v5, v1, vcc
	flat_load_dwordx4 v[0:3], v[4:5]
	s_waitcnt vmcnt(0) lgkmcnt(0)
	v_add_f64 v[0:1], v[12:13], -v[0:1]
	v_add_f64 v[2:3], v[10:11], -v[2:3]
	flat_store_dwordx4 v[4:5], v[0:3]
.LBB1630_12:
	s_endpgm
	.section	.rodata,"a",@progbits
	.p2align	6, 0x0
	.amdhsa_kernel _ZL37rocblas_syrkx_herkx_restricted_kernelIl19rocblas_complex_numIdELi16ELi32ELi8ELi1ELin1ELb0ELc78ELc85EKPKS1_KPS1_EviT_PT9_S7_lS9_S7_lPT10_S7_li
		.amdhsa_group_segment_fixed_size 8192
		.amdhsa_private_segment_fixed_size 0
		.amdhsa_kernarg_size 92
		.amdhsa_user_sgpr_count 6
		.amdhsa_user_sgpr_private_segment_buffer 1
		.amdhsa_user_sgpr_dispatch_ptr 0
		.amdhsa_user_sgpr_queue_ptr 0
		.amdhsa_user_sgpr_kernarg_segment_ptr 1
		.amdhsa_user_sgpr_dispatch_id 0
		.amdhsa_user_sgpr_flat_scratch_init 0
		.amdhsa_user_sgpr_private_segment_size 0
		.amdhsa_uses_dynamic_stack 0
		.amdhsa_system_sgpr_private_segment_wavefront_offset 0
		.amdhsa_system_sgpr_workgroup_id_x 1
		.amdhsa_system_sgpr_workgroup_id_y 1
		.amdhsa_system_sgpr_workgroup_id_z 1
		.amdhsa_system_sgpr_workgroup_info 0
		.amdhsa_system_vgpr_workitem_id 1
		.amdhsa_next_free_vgpr 54
		.amdhsa_next_free_sgpr 61
		.amdhsa_reserve_vcc 1
		.amdhsa_reserve_flat_scratch 0
		.amdhsa_float_round_mode_32 0
		.amdhsa_float_round_mode_16_64 0
		.amdhsa_float_denorm_mode_32 3
		.amdhsa_float_denorm_mode_16_64 3
		.amdhsa_dx10_clamp 1
		.amdhsa_ieee_mode 1
		.amdhsa_fp16_overflow 0
		.amdhsa_exception_fp_ieee_invalid_op 0
		.amdhsa_exception_fp_denorm_src 0
		.amdhsa_exception_fp_ieee_div_zero 0
		.amdhsa_exception_fp_ieee_overflow 0
		.amdhsa_exception_fp_ieee_underflow 0
		.amdhsa_exception_fp_ieee_inexact 0
		.amdhsa_exception_int_div_zero 0
	.end_amdhsa_kernel
	.section	.text._ZL37rocblas_syrkx_herkx_restricted_kernelIl19rocblas_complex_numIdELi16ELi32ELi8ELi1ELin1ELb0ELc78ELc85EKPKS1_KPS1_EviT_PT9_S7_lS9_S7_lPT10_S7_li,"axG",@progbits,_ZL37rocblas_syrkx_herkx_restricted_kernelIl19rocblas_complex_numIdELi16ELi32ELi8ELi1ELin1ELb0ELc78ELc85EKPKS1_KPS1_EviT_PT9_S7_lS9_S7_lPT10_S7_li,comdat
.Lfunc_end1630:
	.size	_ZL37rocblas_syrkx_herkx_restricted_kernelIl19rocblas_complex_numIdELi16ELi32ELi8ELi1ELin1ELb0ELc78ELc85EKPKS1_KPS1_EviT_PT9_S7_lS9_S7_lPT10_S7_li, .Lfunc_end1630-_ZL37rocblas_syrkx_herkx_restricted_kernelIl19rocblas_complex_numIdELi16ELi32ELi8ELi1ELin1ELb0ELc78ELc85EKPKS1_KPS1_EviT_PT9_S7_lS9_S7_lPT10_S7_li
                                        ; -- End function
	.set _ZL37rocblas_syrkx_herkx_restricted_kernelIl19rocblas_complex_numIdELi16ELi32ELi8ELi1ELin1ELb0ELc78ELc85EKPKS1_KPS1_EviT_PT9_S7_lS9_S7_lPT10_S7_li.num_vgpr, 54
	.set _ZL37rocblas_syrkx_herkx_restricted_kernelIl19rocblas_complex_numIdELi16ELi32ELi8ELi1ELin1ELb0ELc78ELc85EKPKS1_KPS1_EviT_PT9_S7_lS9_S7_lPT10_S7_li.num_agpr, 0
	.set _ZL37rocblas_syrkx_herkx_restricted_kernelIl19rocblas_complex_numIdELi16ELi32ELi8ELi1ELin1ELb0ELc78ELc85EKPKS1_KPS1_EviT_PT9_S7_lS9_S7_lPT10_S7_li.numbered_sgpr, 22
	.set _ZL37rocblas_syrkx_herkx_restricted_kernelIl19rocblas_complex_numIdELi16ELi32ELi8ELi1ELin1ELb0ELc78ELc85EKPKS1_KPS1_EviT_PT9_S7_lS9_S7_lPT10_S7_li.num_named_barrier, 0
	.set _ZL37rocblas_syrkx_herkx_restricted_kernelIl19rocblas_complex_numIdELi16ELi32ELi8ELi1ELin1ELb0ELc78ELc85EKPKS1_KPS1_EviT_PT9_S7_lS9_S7_lPT10_S7_li.private_seg_size, 0
	.set _ZL37rocblas_syrkx_herkx_restricted_kernelIl19rocblas_complex_numIdELi16ELi32ELi8ELi1ELin1ELb0ELc78ELc85EKPKS1_KPS1_EviT_PT9_S7_lS9_S7_lPT10_S7_li.uses_vcc, 1
	.set _ZL37rocblas_syrkx_herkx_restricted_kernelIl19rocblas_complex_numIdELi16ELi32ELi8ELi1ELin1ELb0ELc78ELc85EKPKS1_KPS1_EviT_PT9_S7_lS9_S7_lPT10_S7_li.uses_flat_scratch, 0
	.set _ZL37rocblas_syrkx_herkx_restricted_kernelIl19rocblas_complex_numIdELi16ELi32ELi8ELi1ELin1ELb0ELc78ELc85EKPKS1_KPS1_EviT_PT9_S7_lS9_S7_lPT10_S7_li.has_dyn_sized_stack, 0
	.set _ZL37rocblas_syrkx_herkx_restricted_kernelIl19rocblas_complex_numIdELi16ELi32ELi8ELi1ELin1ELb0ELc78ELc85EKPKS1_KPS1_EviT_PT9_S7_lS9_S7_lPT10_S7_li.has_recursion, 0
	.set _ZL37rocblas_syrkx_herkx_restricted_kernelIl19rocblas_complex_numIdELi16ELi32ELi8ELi1ELin1ELb0ELc78ELc85EKPKS1_KPS1_EviT_PT9_S7_lS9_S7_lPT10_S7_li.has_indirect_call, 0
	.section	.AMDGPU.csdata,"",@progbits
; Kernel info:
; codeLenInByte = 2924
; TotalNumSgprs: 26
; NumVgprs: 54
; ScratchSize: 0
; MemoryBound: 0
; FloatMode: 240
; IeeeMode: 1
; LDSByteSize: 8192 bytes/workgroup (compile time only)
; SGPRBlocks: 8
; VGPRBlocks: 13
; NumSGPRsForWavesPerEU: 65
; NumVGPRsForWavesPerEU: 54
; Occupancy: 4
; WaveLimiterHint : 1
; COMPUTE_PGM_RSRC2:SCRATCH_EN: 0
; COMPUTE_PGM_RSRC2:USER_SGPR: 6
; COMPUTE_PGM_RSRC2:TRAP_HANDLER: 0
; COMPUTE_PGM_RSRC2:TGID_X_EN: 1
; COMPUTE_PGM_RSRC2:TGID_Y_EN: 1
; COMPUTE_PGM_RSRC2:TGID_Z_EN: 1
; COMPUTE_PGM_RSRC2:TIDIG_COMP_CNT: 1
	.section	.text._ZL37rocblas_syrkx_herkx_restricted_kernelIl19rocblas_complex_numIdELi16ELi32ELi8ELi1ELi0ELb0ELc84ELc76EKPKS1_KPS1_EviT_PT9_S7_lS9_S7_lPT10_S7_li,"axG",@progbits,_ZL37rocblas_syrkx_herkx_restricted_kernelIl19rocblas_complex_numIdELi16ELi32ELi8ELi1ELi0ELb0ELc84ELc76EKPKS1_KPS1_EviT_PT9_S7_lS9_S7_lPT10_S7_li,comdat
	.globl	_ZL37rocblas_syrkx_herkx_restricted_kernelIl19rocblas_complex_numIdELi16ELi32ELi8ELi1ELi0ELb0ELc84ELc76EKPKS1_KPS1_EviT_PT9_S7_lS9_S7_lPT10_S7_li ; -- Begin function _ZL37rocblas_syrkx_herkx_restricted_kernelIl19rocblas_complex_numIdELi16ELi32ELi8ELi1ELi0ELb0ELc84ELc76EKPKS1_KPS1_EviT_PT9_S7_lS9_S7_lPT10_S7_li
	.p2align	8
	.type	_ZL37rocblas_syrkx_herkx_restricted_kernelIl19rocblas_complex_numIdELi16ELi32ELi8ELi1ELi0ELb0ELc84ELc76EKPKS1_KPS1_EviT_PT9_S7_lS9_S7_lPT10_S7_li,@function
_ZL37rocblas_syrkx_herkx_restricted_kernelIl19rocblas_complex_numIdELi16ELi32ELi8ELi1ELi0ELb0ELc84ELc76EKPKS1_KPS1_EviT_PT9_S7_lS9_S7_lPT10_S7_li: ; @_ZL37rocblas_syrkx_herkx_restricted_kernelIl19rocblas_complex_numIdELi16ELi32ELi8ELi1ELi0ELb0ELc84ELc76EKPKS1_KPS1_EviT_PT9_S7_lS9_S7_lPT10_S7_li
; %bb.0:
	s_load_dwordx4 s[12:15], s[4:5], 0x40
	s_load_dwordx4 s[0:3], s[4:5], 0x8
	s_mov_b32 s9, 0
	s_lshl_b64 s[10:11], s[8:9], 3
	s_waitcnt lgkmcnt(0)
	s_add_u32 s8, s12, s10
	s_addc_u32 s9, s13, s11
	s_load_dwordx2 s[8:9], s[8:9], 0x0
	v_cmp_lt_i64_e64 s[12:13], s[0:1], 1
	s_lshl_b32 s6, s6, 5
	s_lshl_b32 s7, s7, 5
	s_and_b64 vcc, exec, s[12:13]
	s_cbranch_vccnz .LBB1631_3
; %bb.1:
	s_load_dwordx2 s[12:13], s[4:5], 0x18
	s_load_dwordx4 s[16:19], s[4:5], 0x28
	v_lshl_add_u32 v6, v1, 4, v0
	v_lshrrev_b32_e32 v8, 3, v6
	v_add_u32_e32 v4, s7, v8
	v_ashrrev_i32_e32 v5, 31, v4
	v_and_b32_e32 v2, 7, v0
	v_mov_b32_e32 v3, 0
	s_waitcnt lgkmcnt(0)
	v_mul_lo_u32 v7, s18, v5
	v_mul_lo_u32 v9, s19, v4
	v_mad_u64_u32 v[4:5], s[18:19], s18, v4, v[2:3]
	s_add_u32 s2, s2, s10
	v_lshlrev_b32_e32 v2, 4, v2
	v_add3_u32 v5, v9, v5, v7
	v_and_b32_e32 v9, 31, v6
	s_addc_u32 s3, s3, s11
	v_lshl_or_b32 v2, v8, 7, v2
	v_add_u32_e32 v8, s6, v9
	s_add_u32 s10, s16, s10
	v_lshrrev_b32_e32 v6, 5, v6
	v_mov_b32_e32 v7, v3
	v_lshlrev_b32_e32 v3, 4, v9
	v_add_u32_e32 v23, 0x1000, v2
	v_ashrrev_i32_e32 v2, 31, v8
	s_addc_u32 s11, s17, s11
	v_lshl_or_b32 v22, v6, 9, v3
	v_mul_lo_u32 v9, s12, v2
	v_mad_u64_u32 v[2:3], s[16:17], s12, v8, v[6:7]
	v_mul_lo_u32 v6, s13, v8
	s_load_dwordx2 s[2:3], s[2:3], 0x0
	v_mov_b32_e32 v7, 0x1000
	s_load_dwordx2 s[10:11], s[10:11], 0x0
	v_add3_u32 v3, v6, v3, v9
	v_lshlrev_b64 v[2:3], 4, v[2:3]
	s_waitcnt lgkmcnt(0)
	v_mov_b32_e32 v6, s3
	v_add_co_u32_e32 v18, vcc, s2, v2
	v_addc_co_u32_e32 v19, vcc, v6, v3, vcc
	v_lshlrev_b64 v[2:3], 4, v[4:5]
	v_mov_b32_e32 v4, s11
	v_add_co_u32_e32 v20, vcc, s10, v2
	v_lshl_add_u32 v25, v1, 7, v7
	v_addc_co_u32_e32 v21, vcc, v4, v3, vcc
	v_mov_b32_e32 v8, 0
	v_mov_b32_e32 v6, 0
	;; [unrolled: 1-line block ×8, first 2 shown]
	v_lshlrev_b32_e32 v24, 4, v0
	v_mov_b32_e32 v9, 0
	v_mov_b32_e32 v7, 0
	;; [unrolled: 1-line block ×8, first 2 shown]
	s_mov_b64 s[2:3], 0
.LBB1631_2:                             ; =>This Inner Loop Header: Depth=1
	flat_load_dwordx4 v[26:29], v[18:19]
	s_add_u32 s2, s2, 8
	v_add_co_u32_e32 v18, vcc, 0x80, v18
	s_addc_u32 s3, s3, 0
	v_addc_co_u32_e32 v19, vcc, 0, v19, vcc
	s_waitcnt vmcnt(0) lgkmcnt(0)
	ds_write_b128 v22, v[26:29]
	flat_load_dwordx4 v[26:29], v[20:21]
	v_add_co_u32_e32 v20, vcc, 0x80, v20
	v_addc_co_u32_e32 v21, vcc, 0, v21, vcc
	s_waitcnt vmcnt(0) lgkmcnt(0)
	ds_write_b128 v23, v[26:29]
	s_waitcnt lgkmcnt(0)
	s_barrier
	ds_read_b128 v[26:29], v25
	ds_read_b128 v[30:33], v25 offset:16
	ds_read_b128 v[34:37], v25 offset:32
	;; [unrolled: 1-line block ×3, first 2 shown]
	ds_read_b128 v[42:45], v24
	s_waitcnt lgkmcnt(0)
	v_mul_f64 v[46:47], v[28:29], v[44:45]
	v_mul_f64 v[48:49], v[26:27], v[44:45]
	v_fma_f64 v[46:47], v[26:27], v[42:43], -v[46:47]
	v_fma_f64 v[48:49], v[28:29], v[42:43], v[48:49]
	v_add_f64 v[46:47], v[10:11], v[46:47]
	v_add_f64 v[48:49], v[48:49], v[12:13]
	ds_read_b128 v[10:13], v24 offset:256
	s_waitcnt lgkmcnt(0)
	v_mul_f64 v[50:51], v[28:29], v[12:13]
	v_fma_f64 v[50:51], v[26:27], v[10:11], -v[50:51]
	v_mul_f64 v[26:27], v[26:27], v[12:13]
	v_fma_f64 v[26:27], v[28:29], v[10:11], v[26:27]
	v_add_f64 v[28:29], v[2:3], v[50:51]
	v_add_f64 v[26:27], v[26:27], v[4:5]
	ds_read_b128 v[2:5], v25 offset:2048
	s_waitcnt lgkmcnt(0)
	v_mul_f64 v[50:51], v[4:5], v[44:45]
	v_mul_f64 v[44:45], v[2:3], v[44:45]
	v_fma_f64 v[50:51], v[2:3], v[42:43], -v[50:51]
	v_fma_f64 v[42:43], v[4:5], v[42:43], v[44:45]
	v_add_f64 v[14:15], v[14:15], v[50:51]
	v_add_f64 v[16:17], v[42:43], v[16:17]
	v_mul_f64 v[42:43], v[4:5], v[12:13]
	v_fma_f64 v[42:43], v[2:3], v[10:11], -v[42:43]
	v_mul_f64 v[2:3], v[2:3], v[12:13]
	v_add_f64 v[42:43], v[6:7], v[42:43]
	v_fma_f64 v[2:3], v[4:5], v[10:11], v[2:3]
	v_add_f64 v[44:45], v[2:3], v[8:9]
	ds_read_b128 v[2:5], v24 offset:512
	s_waitcnt lgkmcnt(0)
	v_mul_f64 v[6:7], v[32:33], v[4:5]
	v_mul_f64 v[8:9], v[30:31], v[4:5]
	v_fma_f64 v[6:7], v[30:31], v[2:3], -v[6:7]
	v_fma_f64 v[8:9], v[32:33], v[2:3], v[8:9]
	v_add_f64 v[46:47], v[46:47], v[6:7]
	v_add_f64 v[48:49], v[8:9], v[48:49]
	ds_read_b128 v[6:9], v24 offset:768
	s_waitcnt lgkmcnt(0)
	v_mul_f64 v[10:11], v[32:33], v[8:9]
	v_mul_f64 v[12:13], v[30:31], v[8:9]
	v_fma_f64 v[10:11], v[30:31], v[6:7], -v[10:11]
	v_fma_f64 v[12:13], v[32:33], v[6:7], v[12:13]
	v_add_f64 v[28:29], v[28:29], v[10:11]
	v_add_f64 v[26:27], v[12:13], v[26:27]
	ds_read_b128 v[10:13], v25 offset:2064
	s_waitcnt lgkmcnt(0)
	v_mul_f64 v[30:31], v[12:13], v[4:5]
	v_mul_f64 v[4:5], v[10:11], v[4:5]
	v_fma_f64 v[30:31], v[10:11], v[2:3], -v[30:31]
	v_fma_f64 v[2:3], v[12:13], v[2:3], v[4:5]
	v_mul_f64 v[4:5], v[10:11], v[8:9]
	v_add_f64 v[14:15], v[14:15], v[30:31]
	v_add_f64 v[16:17], v[2:3], v[16:17]
	v_mul_f64 v[2:3], v[12:13], v[8:9]
	v_fma_f64 v[4:5], v[12:13], v[6:7], v[4:5]
	v_fma_f64 v[2:3], v[10:11], v[6:7], -v[2:3]
	v_add_f64 v[32:33], v[4:5], v[44:45]
	v_add_f64 v[30:31], v[42:43], v[2:3]
	ds_read_b128 v[2:5], v24 offset:1024
	s_waitcnt lgkmcnt(0)
	v_mul_f64 v[6:7], v[36:37], v[4:5]
	v_mul_f64 v[8:9], v[34:35], v[4:5]
	v_fma_f64 v[6:7], v[34:35], v[2:3], -v[6:7]
	v_fma_f64 v[8:9], v[36:37], v[2:3], v[8:9]
	v_add_f64 v[42:43], v[46:47], v[6:7]
	v_add_f64 v[44:45], v[8:9], v[48:49]
	ds_read_b128 v[6:9], v24 offset:1280
	s_waitcnt lgkmcnt(0)
	v_mul_f64 v[10:11], v[36:37], v[8:9]
	v_mul_f64 v[12:13], v[34:35], v[8:9]
	v_fma_f64 v[10:11], v[34:35], v[6:7], -v[10:11]
	v_fma_f64 v[12:13], v[36:37], v[6:7], v[12:13]
	v_add_f64 v[28:29], v[28:29], v[10:11]
	v_add_f64 v[26:27], v[12:13], v[26:27]
	ds_read_b128 v[10:13], v25 offset:2080
	s_waitcnt lgkmcnt(0)
	v_mul_f64 v[34:35], v[12:13], v[4:5]
	v_mul_f64 v[4:5], v[10:11], v[4:5]
	v_fma_f64 v[34:35], v[10:11], v[2:3], -v[34:35]
	v_fma_f64 v[2:3], v[12:13], v[2:3], v[4:5]
	v_mul_f64 v[4:5], v[10:11], v[8:9]
	v_add_f64 v[14:15], v[14:15], v[34:35]
	v_add_f64 v[16:17], v[2:3], v[16:17]
	v_mul_f64 v[2:3], v[12:13], v[8:9]
	v_fma_f64 v[4:5], v[12:13], v[6:7], v[4:5]
	v_fma_f64 v[2:3], v[10:11], v[6:7], -v[2:3]
	v_add_f64 v[32:33], v[4:5], v[32:33]
	;; [unrolled: 30-line block ×3, first 2 shown]
	v_add_f64 v[30:31], v[30:31], v[2:3]
	ds_read_b128 v[2:5], v25 offset:64
	ds_read_b128 v[6:9], v24 offset:2048
	s_waitcnt lgkmcnt(0)
	v_mul_f64 v[10:11], v[4:5], v[8:9]
	v_mul_f64 v[12:13], v[2:3], v[8:9]
	v_fma_f64 v[10:11], v[2:3], v[6:7], -v[10:11]
	v_fma_f64 v[12:13], v[4:5], v[6:7], v[12:13]
	v_add_f64 v[34:35], v[34:35], v[10:11]
	v_add_f64 v[36:37], v[12:13], v[36:37]
	ds_read_b128 v[10:13], v24 offset:2304
	s_waitcnt lgkmcnt(0)
	v_mul_f64 v[38:39], v[4:5], v[12:13]
	v_fma_f64 v[38:39], v[2:3], v[10:11], -v[38:39]
	v_mul_f64 v[2:3], v[2:3], v[12:13]
	v_add_f64 v[28:29], v[28:29], v[38:39]
	v_fma_f64 v[2:3], v[4:5], v[10:11], v[2:3]
	v_add_f64 v[26:27], v[2:3], v[26:27]
	ds_read_b128 v[2:5], v25 offset:2112
	s_waitcnt lgkmcnt(0)
	v_mul_f64 v[38:39], v[4:5], v[8:9]
	v_mul_f64 v[8:9], v[2:3], v[8:9]
	v_fma_f64 v[38:39], v[2:3], v[6:7], -v[38:39]
	v_fma_f64 v[6:7], v[4:5], v[6:7], v[8:9]
	v_add_f64 v[14:15], v[14:15], v[38:39]
	v_add_f64 v[16:17], v[6:7], v[16:17]
	v_mul_f64 v[6:7], v[4:5], v[12:13]
	v_fma_f64 v[6:7], v[2:3], v[10:11], -v[6:7]
	v_mul_f64 v[2:3], v[2:3], v[12:13]
	v_add_f64 v[30:31], v[30:31], v[6:7]
	v_fma_f64 v[2:3], v[4:5], v[10:11], v[2:3]
	v_add_f64 v[32:33], v[2:3], v[32:33]
	ds_read_b128 v[2:5], v25 offset:80
	ds_read_b128 v[6:9], v24 offset:2560
	s_waitcnt lgkmcnt(0)
	v_mul_f64 v[10:11], v[4:5], v[8:9]
	v_mul_f64 v[12:13], v[2:3], v[8:9]
	v_fma_f64 v[10:11], v[2:3], v[6:7], -v[10:11]
	v_fma_f64 v[12:13], v[4:5], v[6:7], v[12:13]
	v_add_f64 v[34:35], v[34:35], v[10:11]
	v_add_f64 v[36:37], v[12:13], v[36:37]
	ds_read_b128 v[10:13], v24 offset:2816
	s_waitcnt lgkmcnt(0)
	v_mul_f64 v[38:39], v[4:5], v[12:13]
	v_fma_f64 v[38:39], v[2:3], v[10:11], -v[38:39]
	v_mul_f64 v[2:3], v[2:3], v[12:13]
	v_add_f64 v[28:29], v[28:29], v[38:39]
	v_fma_f64 v[2:3], v[4:5], v[10:11], v[2:3]
	v_add_f64 v[26:27], v[2:3], v[26:27]
	ds_read_b128 v[2:5], v25 offset:2128
	s_waitcnt lgkmcnt(0)
	v_mul_f64 v[38:39], v[4:5], v[8:9]
	v_mul_f64 v[8:9], v[2:3], v[8:9]
	v_fma_f64 v[38:39], v[2:3], v[6:7], -v[38:39]
	v_fma_f64 v[6:7], v[4:5], v[6:7], v[8:9]
	v_add_f64 v[14:15], v[14:15], v[38:39]
	v_add_f64 v[16:17], v[6:7], v[16:17]
	v_mul_f64 v[6:7], v[4:5], v[12:13]
	v_fma_f64 v[6:7], v[2:3], v[10:11], -v[6:7]
	v_mul_f64 v[2:3], v[2:3], v[12:13]
	v_add_f64 v[30:31], v[30:31], v[6:7]
	v_fma_f64 v[2:3], v[4:5], v[10:11], v[2:3]
	v_add_f64 v[32:33], v[2:3], v[32:33]
	ds_read_b128 v[2:5], v25 offset:96
	ds_read_b128 v[6:9], v24 offset:3072
	s_waitcnt lgkmcnt(0)
	v_mul_f64 v[10:11], v[4:5], v[8:9]
	v_mul_f64 v[12:13], v[2:3], v[8:9]
	v_fma_f64 v[10:11], v[2:3], v[6:7], -v[10:11]
	v_fma_f64 v[12:13], v[4:5], v[6:7], v[12:13]
	v_add_f64 v[34:35], v[34:35], v[10:11]
	v_add_f64 v[36:37], v[12:13], v[36:37]
	ds_read_b128 v[10:13], v24 offset:3328
	s_waitcnt lgkmcnt(0)
	v_mul_f64 v[38:39], v[4:5], v[12:13]
	v_fma_f64 v[38:39], v[2:3], v[10:11], -v[38:39]
	v_mul_f64 v[2:3], v[2:3], v[12:13]
	v_add_f64 v[38:39], v[28:29], v[38:39]
	v_fma_f64 v[2:3], v[4:5], v[10:11], v[2:3]
	v_add_f64 v[40:41], v[2:3], v[26:27]
	ds_read_b128 v[2:5], v25 offset:2144
	s_waitcnt lgkmcnt(0)
	v_mul_f64 v[26:27], v[4:5], v[8:9]
	v_mul_f64 v[8:9], v[2:3], v[8:9]
	v_fma_f64 v[26:27], v[2:3], v[6:7], -v[26:27]
	v_fma_f64 v[6:7], v[4:5], v[6:7], v[8:9]
	v_add_f64 v[14:15], v[14:15], v[26:27]
	v_add_f64 v[16:17], v[6:7], v[16:17]
	v_mul_f64 v[6:7], v[4:5], v[12:13]
	v_fma_f64 v[6:7], v[2:3], v[10:11], -v[6:7]
	v_mul_f64 v[2:3], v[2:3], v[12:13]
	v_add_f64 v[42:43], v[30:31], v[6:7]
	v_fma_f64 v[2:3], v[4:5], v[10:11], v[2:3]
	v_add_f64 v[44:45], v[2:3], v[32:33]
	ds_read_b128 v[2:5], v25 offset:112
	ds_read_b128 v[6:9], v24 offset:3584
	;; [unrolled: 1-line block ×3, first 2 shown]
	s_waitcnt lgkmcnt(1)
	v_mul_f64 v[10:11], v[4:5], v[8:9]
	s_waitcnt lgkmcnt(0)
	v_mul_f64 v[30:31], v[4:5], v[28:29]
	v_mul_f64 v[12:13], v[2:3], v[8:9]
	v_fma_f64 v[10:11], v[2:3], v[6:7], -v[10:11]
	v_fma_f64 v[30:31], v[2:3], v[26:27], -v[30:31]
	v_mul_f64 v[2:3], v[2:3], v[28:29]
	v_fma_f64 v[12:13], v[4:5], v[6:7], v[12:13]
	v_add_f64 v[10:11], v[34:35], v[10:11]
	v_fma_f64 v[4:5], v[4:5], v[26:27], v[2:3]
	v_add_f64 v[2:3], v[38:39], v[30:31]
	ds_read_b128 v[30:33], v25 offset:2160
	v_add_f64 v[12:13], v[12:13], v[36:37]
	s_waitcnt lgkmcnt(0)
	s_barrier
	v_mul_f64 v[34:35], v[32:33], v[8:9]
	v_mul_f64 v[8:9], v[30:31], v[8:9]
	v_add_f64 v[4:5], v[4:5], v[40:41]
	v_fma_f64 v[34:35], v[30:31], v[6:7], -v[34:35]
	v_fma_f64 v[6:7], v[32:33], v[6:7], v[8:9]
	v_mul_f64 v[8:9], v[30:31], v[28:29]
	v_add_f64 v[14:15], v[14:15], v[34:35]
	v_add_f64 v[16:17], v[6:7], v[16:17]
	v_mul_f64 v[6:7], v[32:33], v[28:29]
	v_fma_f64 v[8:9], v[32:33], v[26:27], v[8:9]
	v_fma_f64 v[6:7], v[30:31], v[26:27], -v[6:7]
	v_add_f64 v[8:9], v[8:9], v[44:45]
	v_mov_b32_e32 v27, s3
	v_mov_b32_e32 v26, s2
	v_cmp_le_u64_e32 vcc, s[0:1], v[26:27]
	v_add_f64 v[6:7], v[42:43], v[6:7]
	s_cbranch_vccz .LBB1631_2
	s_branch .LBB1631_4
.LBB1631_3:
	v_mov_b32_e32 v10, 0
	v_mov_b32_e32 v12, 0
	;; [unrolled: 1-line block ×16, first 2 shown]
.LBB1631_4:
	v_add_u32_e32 v18, s7, v1
	v_ashrrev_i32_e32 v1, 31, v18
	v_mul_lo_u32 v1, s14, v1
	v_mul_lo_u32 v21, s15, v18
	v_mad_u64_u32 v[19:20], s[0:1], s14, v18, 0
	s_load_dword s4, s[4:5], 0x0
	v_add_u32_e32 v0, s6, v0
	v_add3_u32 v20, v20, v1, v21
	v_lshlrev_b64 v[19:20], 4, v[19:20]
	s_waitcnt lgkmcnt(0)
	v_mov_b32_e32 v1, s9
	v_add_co_u32_e32 v19, vcc, s8, v19
	v_addc_co_u32_e32 v20, vcc, v1, v20, vcc
	v_cmp_le_i32_e64 s[0:1], v18, v0
	v_cmp_gt_i32_e32 vcc, s4, v0
	s_and_b64 s[0:1], s[0:1], vcc
	s_and_saveexec_b64 s[2:3], s[0:1]
	s_cbranch_execz .LBB1631_6
; %bb.5:
	v_ashrrev_i32_e32 v1, 31, v0
	v_lshlrev_b64 v[21:22], 4, v[0:1]
	v_add_co_u32_e64 v21, s[0:1], v19, v21
	v_addc_co_u32_e64 v22, s[0:1], v20, v22, s[0:1]
	flat_store_dwordx4 v[21:22], v[10:13]
.LBB1631_6:
	s_or_b64 exec, exec, s[2:3]
	v_add_u32_e32 v10, 16, v0
	v_cmp_le_i32_e64 s[2:3], v18, v10
	v_cmp_gt_i32_e64 s[0:1], s4, v10
	s_and_b64 s[2:3], s[2:3], s[0:1]
	s_and_saveexec_b64 s[4:5], s[2:3]
	s_cbranch_execz .LBB1631_8
; %bb.7:
	v_ashrrev_i32_e32 v11, 31, v10
	v_lshlrev_b64 v[11:12], 4, v[10:11]
	v_add_co_u32_e64 v11, s[2:3], v19, v11
	v_addc_co_u32_e64 v12, s[2:3], v20, v12, s[2:3]
	flat_store_dwordx4 v[11:12], v[2:5]
.LBB1631_8:
	s_or_b64 exec, exec, s[4:5]
	v_add_u32_e32 v2, 16, v18
	v_ashrrev_i32_e32 v1, 31, v2
	v_mul_lo_u32 v5, s15, v2
	v_mad_u64_u32 v[3:4], s[2:3], s14, v2, 0
	v_mul_lo_u32 v1, s14, v1
	v_add3_u32 v4, v4, v1, v5
	v_lshlrev_b64 v[3:4], 4, v[3:4]
	v_mov_b32_e32 v1, s9
	v_add_co_u32_e64 v3, s[2:3], s8, v3
	v_addc_co_u32_e64 v4, s[2:3], v1, v4, s[2:3]
	v_cmp_le_i32_e64 s[2:3], v2, v0
	s_and_b64 s[4:5], s[2:3], vcc
	s_and_saveexec_b64 s[2:3], s[4:5]
	s_cbranch_execz .LBB1631_10
; %bb.9:
	v_ashrrev_i32_e32 v1, 31, v0
	v_lshlrev_b64 v[0:1], 4, v[0:1]
	v_add_co_u32_e32 v0, vcc, v3, v0
	v_addc_co_u32_e32 v1, vcc, v4, v1, vcc
	flat_store_dwordx4 v[0:1], v[14:17]
.LBB1631_10:
	s_or_b64 exec, exec, s[2:3]
	v_cmp_le_i32_e32 vcc, v2, v10
	s_and_b64 s[0:1], vcc, s[0:1]
	s_and_saveexec_b64 s[2:3], s[0:1]
	s_cbranch_execz .LBB1631_12
; %bb.11:
	v_ashrrev_i32_e32 v11, 31, v10
	v_lshlrev_b64 v[0:1], 4, v[10:11]
	v_add_co_u32_e32 v0, vcc, v3, v0
	v_addc_co_u32_e32 v1, vcc, v4, v1, vcc
	flat_store_dwordx4 v[0:1], v[6:9]
.LBB1631_12:
	s_endpgm
	.section	.rodata,"a",@progbits
	.p2align	6, 0x0
	.amdhsa_kernel _ZL37rocblas_syrkx_herkx_restricted_kernelIl19rocblas_complex_numIdELi16ELi32ELi8ELi1ELi0ELb0ELc84ELc76EKPKS1_KPS1_EviT_PT9_S7_lS9_S7_lPT10_S7_li
		.amdhsa_group_segment_fixed_size 8192
		.amdhsa_private_segment_fixed_size 0
		.amdhsa_kernarg_size 92
		.amdhsa_user_sgpr_count 6
		.amdhsa_user_sgpr_private_segment_buffer 1
		.amdhsa_user_sgpr_dispatch_ptr 0
		.amdhsa_user_sgpr_queue_ptr 0
		.amdhsa_user_sgpr_kernarg_segment_ptr 1
		.amdhsa_user_sgpr_dispatch_id 0
		.amdhsa_user_sgpr_flat_scratch_init 0
		.amdhsa_user_sgpr_private_segment_size 0
		.amdhsa_uses_dynamic_stack 0
		.amdhsa_system_sgpr_private_segment_wavefront_offset 0
		.amdhsa_system_sgpr_workgroup_id_x 1
		.amdhsa_system_sgpr_workgroup_id_y 1
		.amdhsa_system_sgpr_workgroup_id_z 1
		.amdhsa_system_sgpr_workgroup_info 0
		.amdhsa_system_vgpr_workitem_id 1
		.amdhsa_next_free_vgpr 52
		.amdhsa_next_free_sgpr 61
		.amdhsa_reserve_vcc 1
		.amdhsa_reserve_flat_scratch 0
		.amdhsa_float_round_mode_32 0
		.amdhsa_float_round_mode_16_64 0
		.amdhsa_float_denorm_mode_32 3
		.amdhsa_float_denorm_mode_16_64 3
		.amdhsa_dx10_clamp 1
		.amdhsa_ieee_mode 1
		.amdhsa_fp16_overflow 0
		.amdhsa_exception_fp_ieee_invalid_op 0
		.amdhsa_exception_fp_denorm_src 0
		.amdhsa_exception_fp_ieee_div_zero 0
		.amdhsa_exception_fp_ieee_overflow 0
		.amdhsa_exception_fp_ieee_underflow 0
		.amdhsa_exception_fp_ieee_inexact 0
		.amdhsa_exception_int_div_zero 0
	.end_amdhsa_kernel
	.section	.text._ZL37rocblas_syrkx_herkx_restricted_kernelIl19rocblas_complex_numIdELi16ELi32ELi8ELi1ELi0ELb0ELc84ELc76EKPKS1_KPS1_EviT_PT9_S7_lS9_S7_lPT10_S7_li,"axG",@progbits,_ZL37rocblas_syrkx_herkx_restricted_kernelIl19rocblas_complex_numIdELi16ELi32ELi8ELi1ELi0ELb0ELc84ELc76EKPKS1_KPS1_EviT_PT9_S7_lS9_S7_lPT10_S7_li,comdat
.Lfunc_end1631:
	.size	_ZL37rocblas_syrkx_herkx_restricted_kernelIl19rocblas_complex_numIdELi16ELi32ELi8ELi1ELi0ELb0ELc84ELc76EKPKS1_KPS1_EviT_PT9_S7_lS9_S7_lPT10_S7_li, .Lfunc_end1631-_ZL37rocblas_syrkx_herkx_restricted_kernelIl19rocblas_complex_numIdELi16ELi32ELi8ELi1ELi0ELb0ELc84ELc76EKPKS1_KPS1_EviT_PT9_S7_lS9_S7_lPT10_S7_li
                                        ; -- End function
	.set _ZL37rocblas_syrkx_herkx_restricted_kernelIl19rocblas_complex_numIdELi16ELi32ELi8ELi1ELi0ELb0ELc84ELc76EKPKS1_KPS1_EviT_PT9_S7_lS9_S7_lPT10_S7_li.num_vgpr, 52
	.set _ZL37rocblas_syrkx_herkx_restricted_kernelIl19rocblas_complex_numIdELi16ELi32ELi8ELi1ELi0ELb0ELc84ELc76EKPKS1_KPS1_EviT_PT9_S7_lS9_S7_lPT10_S7_li.num_agpr, 0
	.set _ZL37rocblas_syrkx_herkx_restricted_kernelIl19rocblas_complex_numIdELi16ELi32ELi8ELi1ELi0ELb0ELc84ELc76EKPKS1_KPS1_EviT_PT9_S7_lS9_S7_lPT10_S7_li.numbered_sgpr, 20
	.set _ZL37rocblas_syrkx_herkx_restricted_kernelIl19rocblas_complex_numIdELi16ELi32ELi8ELi1ELi0ELb0ELc84ELc76EKPKS1_KPS1_EviT_PT9_S7_lS9_S7_lPT10_S7_li.num_named_barrier, 0
	.set _ZL37rocblas_syrkx_herkx_restricted_kernelIl19rocblas_complex_numIdELi16ELi32ELi8ELi1ELi0ELb0ELc84ELc76EKPKS1_KPS1_EviT_PT9_S7_lS9_S7_lPT10_S7_li.private_seg_size, 0
	.set _ZL37rocblas_syrkx_herkx_restricted_kernelIl19rocblas_complex_numIdELi16ELi32ELi8ELi1ELi0ELb0ELc84ELc76EKPKS1_KPS1_EviT_PT9_S7_lS9_S7_lPT10_S7_li.uses_vcc, 1
	.set _ZL37rocblas_syrkx_herkx_restricted_kernelIl19rocblas_complex_numIdELi16ELi32ELi8ELi1ELi0ELb0ELc84ELc76EKPKS1_KPS1_EviT_PT9_S7_lS9_S7_lPT10_S7_li.uses_flat_scratch, 0
	.set _ZL37rocblas_syrkx_herkx_restricted_kernelIl19rocblas_complex_numIdELi16ELi32ELi8ELi1ELi0ELb0ELc84ELc76EKPKS1_KPS1_EviT_PT9_S7_lS9_S7_lPT10_S7_li.has_dyn_sized_stack, 0
	.set _ZL37rocblas_syrkx_herkx_restricted_kernelIl19rocblas_complex_numIdELi16ELi32ELi8ELi1ELi0ELb0ELc84ELc76EKPKS1_KPS1_EviT_PT9_S7_lS9_S7_lPT10_S7_li.has_recursion, 0
	.set _ZL37rocblas_syrkx_herkx_restricted_kernelIl19rocblas_complex_numIdELi16ELi32ELi8ELi1ELi0ELb0ELc84ELc76EKPKS1_KPS1_EviT_PT9_S7_lS9_S7_lPT10_S7_li.has_indirect_call, 0
	.section	.AMDGPU.csdata,"",@progbits
; Kernel info:
; codeLenInByte = 2832
; TotalNumSgprs: 24
; NumVgprs: 52
; ScratchSize: 0
; MemoryBound: 0
; FloatMode: 240
; IeeeMode: 1
; LDSByteSize: 8192 bytes/workgroup (compile time only)
; SGPRBlocks: 8
; VGPRBlocks: 12
; NumSGPRsForWavesPerEU: 65
; NumVGPRsForWavesPerEU: 52
; Occupancy: 4
; WaveLimiterHint : 1
; COMPUTE_PGM_RSRC2:SCRATCH_EN: 0
; COMPUTE_PGM_RSRC2:USER_SGPR: 6
; COMPUTE_PGM_RSRC2:TRAP_HANDLER: 0
; COMPUTE_PGM_RSRC2:TGID_X_EN: 1
; COMPUTE_PGM_RSRC2:TGID_Y_EN: 1
; COMPUTE_PGM_RSRC2:TGID_Z_EN: 1
; COMPUTE_PGM_RSRC2:TIDIG_COMP_CNT: 1
	.section	.text._ZL37rocblas_syrkx_herkx_restricted_kernelIl19rocblas_complex_numIdELi16ELi32ELi8ELi1ELi0ELb0ELc67ELc76EKPKS1_KPS1_EviT_PT9_S7_lS9_S7_lPT10_S7_li,"axG",@progbits,_ZL37rocblas_syrkx_herkx_restricted_kernelIl19rocblas_complex_numIdELi16ELi32ELi8ELi1ELi0ELb0ELc67ELc76EKPKS1_KPS1_EviT_PT9_S7_lS9_S7_lPT10_S7_li,comdat
	.globl	_ZL37rocblas_syrkx_herkx_restricted_kernelIl19rocblas_complex_numIdELi16ELi32ELi8ELi1ELi0ELb0ELc67ELc76EKPKS1_KPS1_EviT_PT9_S7_lS9_S7_lPT10_S7_li ; -- Begin function _ZL37rocblas_syrkx_herkx_restricted_kernelIl19rocblas_complex_numIdELi16ELi32ELi8ELi1ELi0ELb0ELc67ELc76EKPKS1_KPS1_EviT_PT9_S7_lS9_S7_lPT10_S7_li
	.p2align	8
	.type	_ZL37rocblas_syrkx_herkx_restricted_kernelIl19rocblas_complex_numIdELi16ELi32ELi8ELi1ELi0ELb0ELc67ELc76EKPKS1_KPS1_EviT_PT9_S7_lS9_S7_lPT10_S7_li,@function
_ZL37rocblas_syrkx_herkx_restricted_kernelIl19rocblas_complex_numIdELi16ELi32ELi8ELi1ELi0ELb0ELc67ELc76EKPKS1_KPS1_EviT_PT9_S7_lS9_S7_lPT10_S7_li: ; @_ZL37rocblas_syrkx_herkx_restricted_kernelIl19rocblas_complex_numIdELi16ELi32ELi8ELi1ELi0ELb0ELc67ELc76EKPKS1_KPS1_EviT_PT9_S7_lS9_S7_lPT10_S7_li
; %bb.0:
	s_load_dwordx4 s[12:15], s[4:5], 0x40
	s_load_dwordx4 s[0:3], s[4:5], 0x8
	s_mov_b32 s9, 0
	s_lshl_b64 s[10:11], s[8:9], 3
	s_waitcnt lgkmcnt(0)
	s_add_u32 s8, s12, s10
	s_addc_u32 s9, s13, s11
	s_load_dwordx2 s[8:9], s[8:9], 0x0
	v_cmp_lt_i64_e64 s[12:13], s[0:1], 1
	s_lshl_b32 s6, s6, 5
	s_lshl_b32 s7, s7, 5
	s_and_b64 vcc, exec, s[12:13]
	s_cbranch_vccnz .LBB1632_3
; %bb.1:
	s_load_dwordx2 s[12:13], s[4:5], 0x18
	s_load_dwordx4 s[16:19], s[4:5], 0x28
	v_lshl_add_u32 v6, v1, 4, v0
	v_lshrrev_b32_e32 v8, 3, v6
	v_add_u32_e32 v4, s7, v8
	v_ashrrev_i32_e32 v5, 31, v4
	v_and_b32_e32 v2, 7, v0
	v_mov_b32_e32 v3, 0
	s_waitcnt lgkmcnt(0)
	v_mul_lo_u32 v7, s18, v5
	v_mul_lo_u32 v9, s19, v4
	v_mad_u64_u32 v[4:5], s[18:19], s18, v4, v[2:3]
	s_add_u32 s2, s2, s10
	v_lshlrev_b32_e32 v2, 4, v2
	v_add3_u32 v5, v9, v5, v7
	v_and_b32_e32 v9, 31, v6
	s_addc_u32 s3, s3, s11
	v_lshl_or_b32 v2, v8, 7, v2
	v_add_u32_e32 v8, s6, v9
	s_add_u32 s10, s16, s10
	v_lshrrev_b32_e32 v6, 5, v6
	v_mov_b32_e32 v7, v3
	v_lshlrev_b32_e32 v3, 4, v9
	v_add_u32_e32 v23, 0x1000, v2
	v_ashrrev_i32_e32 v2, 31, v8
	s_addc_u32 s11, s17, s11
	v_lshl_or_b32 v22, v6, 9, v3
	v_mul_lo_u32 v9, s12, v2
	v_mad_u64_u32 v[2:3], s[16:17], s12, v8, v[6:7]
	v_mul_lo_u32 v6, s13, v8
	s_load_dwordx2 s[2:3], s[2:3], 0x0
	v_mov_b32_e32 v7, 0x1000
	s_load_dwordx2 s[10:11], s[10:11], 0x0
	v_add3_u32 v3, v6, v3, v9
	v_lshlrev_b64 v[2:3], 4, v[2:3]
	s_waitcnt lgkmcnt(0)
	v_mov_b32_e32 v6, s3
	v_add_co_u32_e32 v18, vcc, s2, v2
	v_addc_co_u32_e32 v19, vcc, v6, v3, vcc
	v_lshlrev_b64 v[2:3], 4, v[4:5]
	v_mov_b32_e32 v4, s11
	v_add_co_u32_e32 v20, vcc, s10, v2
	v_lshl_add_u32 v25, v1, 7, v7
	v_addc_co_u32_e32 v21, vcc, v4, v3, vcc
	v_mov_b32_e32 v8, 0
	v_mov_b32_e32 v6, 0
	;; [unrolled: 1-line block ×8, first 2 shown]
	v_lshlrev_b32_e32 v24, 4, v0
	v_mov_b32_e32 v9, 0
	v_mov_b32_e32 v7, 0
	;; [unrolled: 1-line block ×8, first 2 shown]
	s_mov_b64 s[2:3], 0
.LBB1632_2:                             ; =>This Inner Loop Header: Depth=1
	flat_load_dwordx4 v[26:29], v[18:19]
	s_add_u32 s2, s2, 8
	v_add_co_u32_e32 v18, vcc, 0x80, v18
	s_addc_u32 s3, s3, 0
	v_addc_co_u32_e32 v19, vcc, 0, v19, vcc
	s_waitcnt vmcnt(0) lgkmcnt(0)
	ds_write_b128 v22, v[26:29]
	flat_load_dwordx4 v[26:29], v[20:21]
	v_add_co_u32_e32 v20, vcc, 0x80, v20
	v_addc_co_u32_e32 v21, vcc, 0, v21, vcc
	s_waitcnt vmcnt(0) lgkmcnt(0)
	ds_write_b128 v23, v[26:29]
	s_waitcnt lgkmcnt(0)
	s_barrier
	ds_read_b128 v[26:29], v25
	ds_read_b128 v[30:33], v25 offset:16
	ds_read_b128 v[34:37], v25 offset:32
	;; [unrolled: 1-line block ×3, first 2 shown]
	ds_read_b128 v[42:45], v24
	s_waitcnt lgkmcnt(0)
	v_mul_f64 v[46:47], v[28:29], v[44:45]
	v_mul_f64 v[48:49], v[26:27], v[44:45]
	v_fma_f64 v[46:47], v[26:27], v[42:43], -v[46:47]
	v_fma_f64 v[48:49], v[28:29], v[42:43], v[48:49]
	v_add_f64 v[46:47], v[10:11], v[46:47]
	v_add_f64 v[48:49], v[48:49], v[12:13]
	ds_read_b128 v[10:13], v24 offset:256
	s_waitcnt lgkmcnt(0)
	v_mul_f64 v[50:51], v[28:29], v[12:13]
	v_fma_f64 v[50:51], v[26:27], v[10:11], -v[50:51]
	v_mul_f64 v[26:27], v[26:27], v[12:13]
	v_fma_f64 v[26:27], v[28:29], v[10:11], v[26:27]
	v_add_f64 v[28:29], v[2:3], v[50:51]
	v_add_f64 v[26:27], v[26:27], v[4:5]
	ds_read_b128 v[2:5], v25 offset:2048
	s_waitcnt lgkmcnt(0)
	v_mul_f64 v[50:51], v[4:5], v[44:45]
	v_mul_f64 v[44:45], v[2:3], v[44:45]
	v_fma_f64 v[50:51], v[2:3], v[42:43], -v[50:51]
	v_fma_f64 v[42:43], v[4:5], v[42:43], v[44:45]
	v_add_f64 v[14:15], v[14:15], v[50:51]
	v_add_f64 v[16:17], v[42:43], v[16:17]
	v_mul_f64 v[42:43], v[4:5], v[12:13]
	v_fma_f64 v[42:43], v[2:3], v[10:11], -v[42:43]
	v_mul_f64 v[2:3], v[2:3], v[12:13]
	v_add_f64 v[42:43], v[6:7], v[42:43]
	v_fma_f64 v[2:3], v[4:5], v[10:11], v[2:3]
	v_add_f64 v[44:45], v[2:3], v[8:9]
	ds_read_b128 v[2:5], v24 offset:512
	s_waitcnt lgkmcnt(0)
	v_mul_f64 v[6:7], v[32:33], v[4:5]
	v_mul_f64 v[8:9], v[30:31], v[4:5]
	v_fma_f64 v[6:7], v[30:31], v[2:3], -v[6:7]
	v_fma_f64 v[8:9], v[32:33], v[2:3], v[8:9]
	v_add_f64 v[46:47], v[46:47], v[6:7]
	v_add_f64 v[48:49], v[8:9], v[48:49]
	ds_read_b128 v[6:9], v24 offset:768
	s_waitcnt lgkmcnt(0)
	v_mul_f64 v[10:11], v[32:33], v[8:9]
	v_mul_f64 v[12:13], v[30:31], v[8:9]
	v_fma_f64 v[10:11], v[30:31], v[6:7], -v[10:11]
	v_fma_f64 v[12:13], v[32:33], v[6:7], v[12:13]
	v_add_f64 v[28:29], v[28:29], v[10:11]
	v_add_f64 v[26:27], v[12:13], v[26:27]
	ds_read_b128 v[10:13], v25 offset:2064
	s_waitcnt lgkmcnt(0)
	v_mul_f64 v[30:31], v[12:13], v[4:5]
	v_mul_f64 v[4:5], v[10:11], v[4:5]
	v_fma_f64 v[30:31], v[10:11], v[2:3], -v[30:31]
	v_fma_f64 v[2:3], v[12:13], v[2:3], v[4:5]
	v_mul_f64 v[4:5], v[10:11], v[8:9]
	v_add_f64 v[14:15], v[14:15], v[30:31]
	v_add_f64 v[16:17], v[2:3], v[16:17]
	v_mul_f64 v[2:3], v[12:13], v[8:9]
	v_fma_f64 v[4:5], v[12:13], v[6:7], v[4:5]
	v_fma_f64 v[2:3], v[10:11], v[6:7], -v[2:3]
	v_add_f64 v[32:33], v[4:5], v[44:45]
	v_add_f64 v[30:31], v[42:43], v[2:3]
	ds_read_b128 v[2:5], v24 offset:1024
	s_waitcnt lgkmcnt(0)
	v_mul_f64 v[6:7], v[36:37], v[4:5]
	v_mul_f64 v[8:9], v[34:35], v[4:5]
	v_fma_f64 v[6:7], v[34:35], v[2:3], -v[6:7]
	v_fma_f64 v[8:9], v[36:37], v[2:3], v[8:9]
	v_add_f64 v[42:43], v[46:47], v[6:7]
	v_add_f64 v[44:45], v[8:9], v[48:49]
	ds_read_b128 v[6:9], v24 offset:1280
	s_waitcnt lgkmcnt(0)
	v_mul_f64 v[10:11], v[36:37], v[8:9]
	v_mul_f64 v[12:13], v[34:35], v[8:9]
	v_fma_f64 v[10:11], v[34:35], v[6:7], -v[10:11]
	v_fma_f64 v[12:13], v[36:37], v[6:7], v[12:13]
	v_add_f64 v[28:29], v[28:29], v[10:11]
	v_add_f64 v[26:27], v[12:13], v[26:27]
	ds_read_b128 v[10:13], v25 offset:2080
	s_waitcnt lgkmcnt(0)
	v_mul_f64 v[34:35], v[12:13], v[4:5]
	v_mul_f64 v[4:5], v[10:11], v[4:5]
	v_fma_f64 v[34:35], v[10:11], v[2:3], -v[34:35]
	v_fma_f64 v[2:3], v[12:13], v[2:3], v[4:5]
	v_mul_f64 v[4:5], v[10:11], v[8:9]
	v_add_f64 v[14:15], v[14:15], v[34:35]
	v_add_f64 v[16:17], v[2:3], v[16:17]
	v_mul_f64 v[2:3], v[12:13], v[8:9]
	v_fma_f64 v[4:5], v[12:13], v[6:7], v[4:5]
	v_fma_f64 v[2:3], v[10:11], v[6:7], -v[2:3]
	v_add_f64 v[32:33], v[4:5], v[32:33]
	;; [unrolled: 30-line block ×3, first 2 shown]
	v_add_f64 v[30:31], v[30:31], v[2:3]
	ds_read_b128 v[2:5], v25 offset:64
	ds_read_b128 v[6:9], v24 offset:2048
	s_waitcnt lgkmcnt(0)
	v_mul_f64 v[10:11], v[4:5], v[8:9]
	v_mul_f64 v[12:13], v[2:3], v[8:9]
	v_fma_f64 v[10:11], v[2:3], v[6:7], -v[10:11]
	v_fma_f64 v[12:13], v[4:5], v[6:7], v[12:13]
	v_add_f64 v[34:35], v[34:35], v[10:11]
	v_add_f64 v[36:37], v[12:13], v[36:37]
	ds_read_b128 v[10:13], v24 offset:2304
	s_waitcnt lgkmcnt(0)
	v_mul_f64 v[38:39], v[4:5], v[12:13]
	v_fma_f64 v[38:39], v[2:3], v[10:11], -v[38:39]
	v_mul_f64 v[2:3], v[2:3], v[12:13]
	v_add_f64 v[28:29], v[28:29], v[38:39]
	v_fma_f64 v[2:3], v[4:5], v[10:11], v[2:3]
	v_add_f64 v[26:27], v[2:3], v[26:27]
	ds_read_b128 v[2:5], v25 offset:2112
	s_waitcnt lgkmcnt(0)
	v_mul_f64 v[38:39], v[4:5], v[8:9]
	v_mul_f64 v[8:9], v[2:3], v[8:9]
	v_fma_f64 v[38:39], v[2:3], v[6:7], -v[38:39]
	v_fma_f64 v[6:7], v[4:5], v[6:7], v[8:9]
	v_add_f64 v[14:15], v[14:15], v[38:39]
	v_add_f64 v[16:17], v[6:7], v[16:17]
	v_mul_f64 v[6:7], v[4:5], v[12:13]
	v_fma_f64 v[6:7], v[2:3], v[10:11], -v[6:7]
	v_mul_f64 v[2:3], v[2:3], v[12:13]
	v_add_f64 v[30:31], v[30:31], v[6:7]
	v_fma_f64 v[2:3], v[4:5], v[10:11], v[2:3]
	v_add_f64 v[32:33], v[2:3], v[32:33]
	ds_read_b128 v[2:5], v25 offset:80
	ds_read_b128 v[6:9], v24 offset:2560
	s_waitcnt lgkmcnt(0)
	v_mul_f64 v[10:11], v[4:5], v[8:9]
	v_mul_f64 v[12:13], v[2:3], v[8:9]
	v_fma_f64 v[10:11], v[2:3], v[6:7], -v[10:11]
	v_fma_f64 v[12:13], v[4:5], v[6:7], v[12:13]
	v_add_f64 v[34:35], v[34:35], v[10:11]
	v_add_f64 v[36:37], v[12:13], v[36:37]
	ds_read_b128 v[10:13], v24 offset:2816
	s_waitcnt lgkmcnt(0)
	v_mul_f64 v[38:39], v[4:5], v[12:13]
	v_fma_f64 v[38:39], v[2:3], v[10:11], -v[38:39]
	v_mul_f64 v[2:3], v[2:3], v[12:13]
	v_add_f64 v[28:29], v[28:29], v[38:39]
	v_fma_f64 v[2:3], v[4:5], v[10:11], v[2:3]
	v_add_f64 v[26:27], v[2:3], v[26:27]
	ds_read_b128 v[2:5], v25 offset:2128
	s_waitcnt lgkmcnt(0)
	v_mul_f64 v[38:39], v[4:5], v[8:9]
	v_mul_f64 v[8:9], v[2:3], v[8:9]
	v_fma_f64 v[38:39], v[2:3], v[6:7], -v[38:39]
	v_fma_f64 v[6:7], v[4:5], v[6:7], v[8:9]
	v_add_f64 v[14:15], v[14:15], v[38:39]
	v_add_f64 v[16:17], v[6:7], v[16:17]
	v_mul_f64 v[6:7], v[4:5], v[12:13]
	v_fma_f64 v[6:7], v[2:3], v[10:11], -v[6:7]
	v_mul_f64 v[2:3], v[2:3], v[12:13]
	v_add_f64 v[30:31], v[30:31], v[6:7]
	v_fma_f64 v[2:3], v[4:5], v[10:11], v[2:3]
	;; [unrolled: 31-line block ×3, first 2 shown]
	v_add_f64 v[44:45], v[2:3], v[32:33]
	ds_read_b128 v[2:5], v25 offset:112
	ds_read_b128 v[6:9], v24 offset:3584
	;; [unrolled: 1-line block ×3, first 2 shown]
	s_waitcnt lgkmcnt(1)
	v_mul_f64 v[10:11], v[4:5], v[8:9]
	s_waitcnt lgkmcnt(0)
	v_mul_f64 v[30:31], v[4:5], v[28:29]
	v_mul_f64 v[12:13], v[2:3], v[8:9]
	v_fma_f64 v[10:11], v[2:3], v[6:7], -v[10:11]
	v_fma_f64 v[30:31], v[2:3], v[26:27], -v[30:31]
	v_mul_f64 v[2:3], v[2:3], v[28:29]
	v_fma_f64 v[12:13], v[4:5], v[6:7], v[12:13]
	v_add_f64 v[10:11], v[34:35], v[10:11]
	v_fma_f64 v[4:5], v[4:5], v[26:27], v[2:3]
	v_add_f64 v[2:3], v[38:39], v[30:31]
	ds_read_b128 v[30:33], v25 offset:2160
	v_add_f64 v[12:13], v[12:13], v[36:37]
	s_waitcnt lgkmcnt(0)
	s_barrier
	v_mul_f64 v[34:35], v[32:33], v[8:9]
	v_mul_f64 v[8:9], v[30:31], v[8:9]
	v_add_f64 v[4:5], v[4:5], v[40:41]
	v_fma_f64 v[34:35], v[30:31], v[6:7], -v[34:35]
	v_fma_f64 v[6:7], v[32:33], v[6:7], v[8:9]
	v_mul_f64 v[8:9], v[30:31], v[28:29]
	v_add_f64 v[14:15], v[14:15], v[34:35]
	v_add_f64 v[16:17], v[6:7], v[16:17]
	v_mul_f64 v[6:7], v[32:33], v[28:29]
	v_fma_f64 v[8:9], v[32:33], v[26:27], v[8:9]
	v_fma_f64 v[6:7], v[30:31], v[26:27], -v[6:7]
	v_add_f64 v[8:9], v[8:9], v[44:45]
	v_mov_b32_e32 v27, s3
	v_mov_b32_e32 v26, s2
	v_cmp_le_u64_e32 vcc, s[0:1], v[26:27]
	v_add_f64 v[6:7], v[42:43], v[6:7]
	s_cbranch_vccz .LBB1632_2
	s_branch .LBB1632_4
.LBB1632_3:
	v_mov_b32_e32 v10, 0
	v_mov_b32_e32 v12, 0
	;; [unrolled: 1-line block ×16, first 2 shown]
.LBB1632_4:
	v_add_u32_e32 v18, s7, v1
	v_ashrrev_i32_e32 v1, 31, v18
	v_mul_lo_u32 v1, s14, v1
	v_mul_lo_u32 v21, s15, v18
	v_mad_u64_u32 v[19:20], s[0:1], s14, v18, 0
	s_load_dword s4, s[4:5], 0x0
	v_add_u32_e32 v0, s6, v0
	v_add3_u32 v20, v20, v1, v21
	v_lshlrev_b64 v[19:20], 4, v[19:20]
	s_waitcnt lgkmcnt(0)
	v_mov_b32_e32 v1, s9
	v_add_co_u32_e32 v19, vcc, s8, v19
	v_addc_co_u32_e32 v20, vcc, v1, v20, vcc
	v_cmp_le_i32_e64 s[0:1], v18, v0
	v_cmp_gt_i32_e32 vcc, s4, v0
	s_and_b64 s[0:1], s[0:1], vcc
	s_and_saveexec_b64 s[2:3], s[0:1]
	s_cbranch_execz .LBB1632_6
; %bb.5:
	v_ashrrev_i32_e32 v1, 31, v0
	v_lshlrev_b64 v[21:22], 4, v[0:1]
	v_add_co_u32_e64 v21, s[0:1], v19, v21
	v_addc_co_u32_e64 v22, s[0:1], v20, v22, s[0:1]
	flat_store_dwordx4 v[21:22], v[10:13]
.LBB1632_6:
	s_or_b64 exec, exec, s[2:3]
	v_add_u32_e32 v10, 16, v0
	v_cmp_le_i32_e64 s[2:3], v18, v10
	v_cmp_gt_i32_e64 s[0:1], s4, v10
	s_and_b64 s[2:3], s[2:3], s[0:1]
	s_and_saveexec_b64 s[4:5], s[2:3]
	s_cbranch_execz .LBB1632_8
; %bb.7:
	v_ashrrev_i32_e32 v11, 31, v10
	v_lshlrev_b64 v[11:12], 4, v[10:11]
	v_add_co_u32_e64 v11, s[2:3], v19, v11
	v_addc_co_u32_e64 v12, s[2:3], v20, v12, s[2:3]
	flat_store_dwordx4 v[11:12], v[2:5]
.LBB1632_8:
	s_or_b64 exec, exec, s[4:5]
	v_add_u32_e32 v2, 16, v18
	v_ashrrev_i32_e32 v1, 31, v2
	v_mul_lo_u32 v5, s15, v2
	v_mad_u64_u32 v[3:4], s[2:3], s14, v2, 0
	v_mul_lo_u32 v1, s14, v1
	v_add3_u32 v4, v4, v1, v5
	v_lshlrev_b64 v[3:4], 4, v[3:4]
	v_mov_b32_e32 v1, s9
	v_add_co_u32_e64 v3, s[2:3], s8, v3
	v_addc_co_u32_e64 v4, s[2:3], v1, v4, s[2:3]
	v_cmp_le_i32_e64 s[2:3], v2, v0
	s_and_b64 s[4:5], s[2:3], vcc
	s_and_saveexec_b64 s[2:3], s[4:5]
	s_cbranch_execz .LBB1632_10
; %bb.9:
	v_ashrrev_i32_e32 v1, 31, v0
	v_lshlrev_b64 v[0:1], 4, v[0:1]
	v_add_co_u32_e32 v0, vcc, v3, v0
	v_addc_co_u32_e32 v1, vcc, v4, v1, vcc
	flat_store_dwordx4 v[0:1], v[14:17]
.LBB1632_10:
	s_or_b64 exec, exec, s[2:3]
	v_cmp_le_i32_e32 vcc, v2, v10
	s_and_b64 s[0:1], vcc, s[0:1]
	s_and_saveexec_b64 s[2:3], s[0:1]
	s_cbranch_execz .LBB1632_12
; %bb.11:
	v_ashrrev_i32_e32 v11, 31, v10
	v_lshlrev_b64 v[0:1], 4, v[10:11]
	v_add_co_u32_e32 v0, vcc, v3, v0
	v_addc_co_u32_e32 v1, vcc, v4, v1, vcc
	flat_store_dwordx4 v[0:1], v[6:9]
.LBB1632_12:
	s_endpgm
	.section	.rodata,"a",@progbits
	.p2align	6, 0x0
	.amdhsa_kernel _ZL37rocblas_syrkx_herkx_restricted_kernelIl19rocblas_complex_numIdELi16ELi32ELi8ELi1ELi0ELb0ELc67ELc76EKPKS1_KPS1_EviT_PT9_S7_lS9_S7_lPT10_S7_li
		.amdhsa_group_segment_fixed_size 8192
		.amdhsa_private_segment_fixed_size 0
		.amdhsa_kernarg_size 92
		.amdhsa_user_sgpr_count 6
		.amdhsa_user_sgpr_private_segment_buffer 1
		.amdhsa_user_sgpr_dispatch_ptr 0
		.amdhsa_user_sgpr_queue_ptr 0
		.amdhsa_user_sgpr_kernarg_segment_ptr 1
		.amdhsa_user_sgpr_dispatch_id 0
		.amdhsa_user_sgpr_flat_scratch_init 0
		.amdhsa_user_sgpr_private_segment_size 0
		.amdhsa_uses_dynamic_stack 0
		.amdhsa_system_sgpr_private_segment_wavefront_offset 0
		.amdhsa_system_sgpr_workgroup_id_x 1
		.amdhsa_system_sgpr_workgroup_id_y 1
		.amdhsa_system_sgpr_workgroup_id_z 1
		.amdhsa_system_sgpr_workgroup_info 0
		.amdhsa_system_vgpr_workitem_id 1
		.amdhsa_next_free_vgpr 52
		.amdhsa_next_free_sgpr 61
		.amdhsa_reserve_vcc 1
		.amdhsa_reserve_flat_scratch 0
		.amdhsa_float_round_mode_32 0
		.amdhsa_float_round_mode_16_64 0
		.amdhsa_float_denorm_mode_32 3
		.amdhsa_float_denorm_mode_16_64 3
		.amdhsa_dx10_clamp 1
		.amdhsa_ieee_mode 1
		.amdhsa_fp16_overflow 0
		.amdhsa_exception_fp_ieee_invalid_op 0
		.amdhsa_exception_fp_denorm_src 0
		.amdhsa_exception_fp_ieee_div_zero 0
		.amdhsa_exception_fp_ieee_overflow 0
		.amdhsa_exception_fp_ieee_underflow 0
		.amdhsa_exception_fp_ieee_inexact 0
		.amdhsa_exception_int_div_zero 0
	.end_amdhsa_kernel
	.section	.text._ZL37rocblas_syrkx_herkx_restricted_kernelIl19rocblas_complex_numIdELi16ELi32ELi8ELi1ELi0ELb0ELc67ELc76EKPKS1_KPS1_EviT_PT9_S7_lS9_S7_lPT10_S7_li,"axG",@progbits,_ZL37rocblas_syrkx_herkx_restricted_kernelIl19rocblas_complex_numIdELi16ELi32ELi8ELi1ELi0ELb0ELc67ELc76EKPKS1_KPS1_EviT_PT9_S7_lS9_S7_lPT10_S7_li,comdat
.Lfunc_end1632:
	.size	_ZL37rocblas_syrkx_herkx_restricted_kernelIl19rocblas_complex_numIdELi16ELi32ELi8ELi1ELi0ELb0ELc67ELc76EKPKS1_KPS1_EviT_PT9_S7_lS9_S7_lPT10_S7_li, .Lfunc_end1632-_ZL37rocblas_syrkx_herkx_restricted_kernelIl19rocblas_complex_numIdELi16ELi32ELi8ELi1ELi0ELb0ELc67ELc76EKPKS1_KPS1_EviT_PT9_S7_lS9_S7_lPT10_S7_li
                                        ; -- End function
	.set _ZL37rocblas_syrkx_herkx_restricted_kernelIl19rocblas_complex_numIdELi16ELi32ELi8ELi1ELi0ELb0ELc67ELc76EKPKS1_KPS1_EviT_PT9_S7_lS9_S7_lPT10_S7_li.num_vgpr, 52
	.set _ZL37rocblas_syrkx_herkx_restricted_kernelIl19rocblas_complex_numIdELi16ELi32ELi8ELi1ELi0ELb0ELc67ELc76EKPKS1_KPS1_EviT_PT9_S7_lS9_S7_lPT10_S7_li.num_agpr, 0
	.set _ZL37rocblas_syrkx_herkx_restricted_kernelIl19rocblas_complex_numIdELi16ELi32ELi8ELi1ELi0ELb0ELc67ELc76EKPKS1_KPS1_EviT_PT9_S7_lS9_S7_lPT10_S7_li.numbered_sgpr, 20
	.set _ZL37rocblas_syrkx_herkx_restricted_kernelIl19rocblas_complex_numIdELi16ELi32ELi8ELi1ELi0ELb0ELc67ELc76EKPKS1_KPS1_EviT_PT9_S7_lS9_S7_lPT10_S7_li.num_named_barrier, 0
	.set _ZL37rocblas_syrkx_herkx_restricted_kernelIl19rocblas_complex_numIdELi16ELi32ELi8ELi1ELi0ELb0ELc67ELc76EKPKS1_KPS1_EviT_PT9_S7_lS9_S7_lPT10_S7_li.private_seg_size, 0
	.set _ZL37rocblas_syrkx_herkx_restricted_kernelIl19rocblas_complex_numIdELi16ELi32ELi8ELi1ELi0ELb0ELc67ELc76EKPKS1_KPS1_EviT_PT9_S7_lS9_S7_lPT10_S7_li.uses_vcc, 1
	.set _ZL37rocblas_syrkx_herkx_restricted_kernelIl19rocblas_complex_numIdELi16ELi32ELi8ELi1ELi0ELb0ELc67ELc76EKPKS1_KPS1_EviT_PT9_S7_lS9_S7_lPT10_S7_li.uses_flat_scratch, 0
	.set _ZL37rocblas_syrkx_herkx_restricted_kernelIl19rocblas_complex_numIdELi16ELi32ELi8ELi1ELi0ELb0ELc67ELc76EKPKS1_KPS1_EviT_PT9_S7_lS9_S7_lPT10_S7_li.has_dyn_sized_stack, 0
	.set _ZL37rocblas_syrkx_herkx_restricted_kernelIl19rocblas_complex_numIdELi16ELi32ELi8ELi1ELi0ELb0ELc67ELc76EKPKS1_KPS1_EviT_PT9_S7_lS9_S7_lPT10_S7_li.has_recursion, 0
	.set _ZL37rocblas_syrkx_herkx_restricted_kernelIl19rocblas_complex_numIdELi16ELi32ELi8ELi1ELi0ELb0ELc67ELc76EKPKS1_KPS1_EviT_PT9_S7_lS9_S7_lPT10_S7_li.has_indirect_call, 0
	.section	.AMDGPU.csdata,"",@progbits
; Kernel info:
; codeLenInByte = 2832
; TotalNumSgprs: 24
; NumVgprs: 52
; ScratchSize: 0
; MemoryBound: 0
; FloatMode: 240
; IeeeMode: 1
; LDSByteSize: 8192 bytes/workgroup (compile time only)
; SGPRBlocks: 8
; VGPRBlocks: 12
; NumSGPRsForWavesPerEU: 65
; NumVGPRsForWavesPerEU: 52
; Occupancy: 4
; WaveLimiterHint : 1
; COMPUTE_PGM_RSRC2:SCRATCH_EN: 0
; COMPUTE_PGM_RSRC2:USER_SGPR: 6
; COMPUTE_PGM_RSRC2:TRAP_HANDLER: 0
; COMPUTE_PGM_RSRC2:TGID_X_EN: 1
; COMPUTE_PGM_RSRC2:TGID_Y_EN: 1
; COMPUTE_PGM_RSRC2:TGID_Z_EN: 1
; COMPUTE_PGM_RSRC2:TIDIG_COMP_CNT: 1
	.section	.text._ZL37rocblas_syrkx_herkx_restricted_kernelIl19rocblas_complex_numIdELi16ELi32ELi8ELi1ELi0ELb0ELc78ELc76EKPKS1_KPS1_EviT_PT9_S7_lS9_S7_lPT10_S7_li,"axG",@progbits,_ZL37rocblas_syrkx_herkx_restricted_kernelIl19rocblas_complex_numIdELi16ELi32ELi8ELi1ELi0ELb0ELc78ELc76EKPKS1_KPS1_EviT_PT9_S7_lS9_S7_lPT10_S7_li,comdat
	.globl	_ZL37rocblas_syrkx_herkx_restricted_kernelIl19rocblas_complex_numIdELi16ELi32ELi8ELi1ELi0ELb0ELc78ELc76EKPKS1_KPS1_EviT_PT9_S7_lS9_S7_lPT10_S7_li ; -- Begin function _ZL37rocblas_syrkx_herkx_restricted_kernelIl19rocblas_complex_numIdELi16ELi32ELi8ELi1ELi0ELb0ELc78ELc76EKPKS1_KPS1_EviT_PT9_S7_lS9_S7_lPT10_S7_li
	.p2align	8
	.type	_ZL37rocblas_syrkx_herkx_restricted_kernelIl19rocblas_complex_numIdELi16ELi32ELi8ELi1ELi0ELb0ELc78ELc76EKPKS1_KPS1_EviT_PT9_S7_lS9_S7_lPT10_S7_li,@function
_ZL37rocblas_syrkx_herkx_restricted_kernelIl19rocblas_complex_numIdELi16ELi32ELi8ELi1ELi0ELb0ELc78ELc76EKPKS1_KPS1_EviT_PT9_S7_lS9_S7_lPT10_S7_li: ; @_ZL37rocblas_syrkx_herkx_restricted_kernelIl19rocblas_complex_numIdELi16ELi32ELi8ELi1ELi0ELb0ELc78ELc76EKPKS1_KPS1_EviT_PT9_S7_lS9_S7_lPT10_S7_li
; %bb.0:
	s_load_dwordx4 s[12:15], s[4:5], 0x40
	s_load_dwordx4 s[0:3], s[4:5], 0x8
	s_mov_b32 s9, 0
	s_lshl_b64 s[16:17], s[8:9], 3
	s_waitcnt lgkmcnt(0)
	s_add_u32 s8, s12, s16
	s_addc_u32 s9, s13, s17
	s_load_dwordx2 s[12:13], s[8:9], 0x0
	v_cmp_lt_i64_e64 s[8:9], s[0:1], 1
	s_lshl_b32 s18, s6, 5
	s_lshl_b32 s19, s7, 5
	s_and_b64 vcc, exec, s[8:9]
	s_cbranch_vccnz .LBB1633_3
; %bb.1:
	s_load_dwordx2 s[6:7], s[4:5], 0x18
	s_load_dwordx4 s[8:11], s[4:5], 0x28
	v_lshl_add_u32 v5, v1, 4, v0
	v_lshrrev_b32_e32 v7, 3, v5
	v_add_u32_e32 v2, s19, v7
	v_and_b32_e32 v6, 7, v0
	v_ashrrev_i32_e32 v3, 31, v2
	s_waitcnt lgkmcnt(0)
	v_mad_u64_u32 v[2:3], s[20:21], s10, v6, v[2:3]
	s_add_u32 s2, s2, s16
	s_addc_u32 s3, s3, s17
	v_mad_u64_u32 v[3:4], s[20:21], s11, v6, v[3:4]
	v_and_b32_e32 v4, 31, v5
	v_lshrrev_b32_e32 v8, 5, v5
	v_lshlrev_b32_e32 v5, 4, v4
	v_add_u32_e32 v4, s18, v4
	s_add_u32 s8, s8, s16
	v_lshl_or_b32 v22, v8, 9, v5
	v_ashrrev_i32_e32 v5, 31, v4
	s_addc_u32 s9, s9, s17
	v_mad_u64_u32 v[4:5], s[16:17], s6, v8, v[4:5]
	v_lshlrev_b32_e32 v6, 4, v6
	v_lshl_or_b32 v6, v7, 7, v6
	v_add_u32_e32 v23, 0x1000, v6
	v_mad_u64_u32 v[5:6], s[16:17], s7, v8, v[5:6]
	s_load_dwordx2 s[2:3], s[2:3], 0x0
	v_mov_b32_e32 v6, 0x1000
	s_load_dwordx2 s[8:9], s[8:9], 0x0
	v_lshlrev_b64 v[4:5], 4, v[4:5]
	v_lshl_add_u32 v25, v1, 7, v6
	s_waitcnt lgkmcnt(0)
	v_mov_b32_e32 v6, s3
	v_add_co_u32_e32 v18, vcc, s2, v4
	v_lshlrev_b64 v[2:3], 4, v[2:3]
	v_addc_co_u32_e32 v19, vcc, v6, v5, vcc
	v_mov_b32_e32 v4, s9
	v_add_co_u32_e32 v20, vcc, s8, v2
	s_lshl_b64 s[2:3], s[6:7], 7
	v_addc_co_u32_e32 v21, vcc, v4, v3, vcc
	s_lshl_b64 s[6:7], s[10:11], 7
	v_mov_b32_e32 v8, 0
	v_mov_b32_e32 v6, 0
	;; [unrolled: 1-line block ×8, first 2 shown]
	v_lshlrev_b32_e32 v24, 4, v0
	v_mov_b32_e32 v9, 0
	s_mov_b64 s[8:9], 0
	v_mov_b32_e32 v26, s3
	v_mov_b32_e32 v7, 0
	;; [unrolled: 1-line block ×9, first 2 shown]
.LBB1633_2:                             ; =>This Inner Loop Header: Depth=1
	flat_load_dwordx4 v[28:31], v[18:19]
	s_add_u32 s8, s8, 8
	v_add_co_u32_e32 v18, vcc, s2, v18
	s_addc_u32 s9, s9, 0
	v_addc_co_u32_e32 v19, vcc, v19, v26, vcc
	s_waitcnt vmcnt(0) lgkmcnt(0)
	ds_write_b128 v22, v[28:31]
	flat_load_dwordx4 v[28:31], v[20:21]
	v_add_co_u32_e32 v20, vcc, s6, v20
	v_addc_co_u32_e32 v21, vcc, v21, v27, vcc
	s_waitcnt vmcnt(0) lgkmcnt(0)
	ds_write_b128 v23, v[28:31]
	s_waitcnt lgkmcnt(0)
	s_barrier
	ds_read_b128 v[28:31], v25
	ds_read_b128 v[32:35], v25 offset:16
	ds_read_b128 v[36:39], v25 offset:32
	;; [unrolled: 1-line block ×3, first 2 shown]
	ds_read_b128 v[44:47], v24
	s_waitcnt lgkmcnt(0)
	v_mul_f64 v[48:49], v[30:31], v[46:47]
	v_mul_f64 v[50:51], v[28:29], v[46:47]
	v_fma_f64 v[48:49], v[28:29], v[44:45], -v[48:49]
	v_fma_f64 v[50:51], v[30:31], v[44:45], v[50:51]
	v_add_f64 v[48:49], v[14:15], v[48:49]
	v_add_f64 v[50:51], v[50:51], v[16:17]
	ds_read_b128 v[14:17], v24 offset:256
	s_waitcnt lgkmcnt(0)
	v_mul_f64 v[52:53], v[30:31], v[16:17]
	v_fma_f64 v[52:53], v[28:29], v[14:15], -v[52:53]
	v_mul_f64 v[28:29], v[28:29], v[16:17]
	v_fma_f64 v[28:29], v[30:31], v[14:15], v[28:29]
	v_add_f64 v[30:31], v[2:3], v[52:53]
	v_add_f64 v[28:29], v[28:29], v[4:5]
	ds_read_b128 v[2:5], v25 offset:2048
	s_waitcnt lgkmcnt(0)
	v_mul_f64 v[52:53], v[4:5], v[46:47]
	v_mul_f64 v[46:47], v[2:3], v[46:47]
	v_fma_f64 v[52:53], v[2:3], v[44:45], -v[52:53]
	v_fma_f64 v[44:45], v[4:5], v[44:45], v[46:47]
	v_add_f64 v[46:47], v[10:11], v[52:53]
	v_mul_f64 v[10:11], v[4:5], v[16:17]
	v_add_f64 v[44:45], v[44:45], v[12:13]
	v_fma_f64 v[10:11], v[2:3], v[14:15], -v[10:11]
	v_mul_f64 v[2:3], v[2:3], v[16:17]
	v_fma_f64 v[2:3], v[4:5], v[14:15], v[2:3]
	v_add_f64 v[14:15], v[6:7], v[10:11]
	v_add_f64 v[16:17], v[2:3], v[8:9]
	ds_read_b128 v[2:5], v24 offset:512
	s_waitcnt lgkmcnt(0)
	v_mul_f64 v[6:7], v[34:35], v[4:5]
	v_mul_f64 v[8:9], v[32:33], v[4:5]
	v_fma_f64 v[6:7], v[32:33], v[2:3], -v[6:7]
	v_fma_f64 v[8:9], v[34:35], v[2:3], v[8:9]
	v_add_f64 v[48:49], v[48:49], v[6:7]
	v_add_f64 v[50:51], v[8:9], v[50:51]
	ds_read_b128 v[6:9], v24 offset:768
	s_waitcnt lgkmcnt(0)
	v_mul_f64 v[10:11], v[34:35], v[8:9]
	v_mul_f64 v[12:13], v[32:33], v[8:9]
	v_fma_f64 v[10:11], v[32:33], v[6:7], -v[10:11]
	v_fma_f64 v[12:13], v[34:35], v[6:7], v[12:13]
	v_add_f64 v[30:31], v[30:31], v[10:11]
	v_add_f64 v[28:29], v[12:13], v[28:29]
	ds_read_b128 v[10:13], v25 offset:2064
	s_waitcnt lgkmcnt(0)
	v_mul_f64 v[32:33], v[12:13], v[4:5]
	v_mul_f64 v[4:5], v[10:11], v[4:5]
	v_fma_f64 v[32:33], v[10:11], v[2:3], -v[32:33]
	v_fma_f64 v[2:3], v[12:13], v[2:3], v[4:5]
	v_mul_f64 v[4:5], v[10:11], v[8:9]
	v_add_f64 v[32:33], v[46:47], v[32:33]
	v_add_f64 v[34:35], v[2:3], v[44:45]
	v_mul_f64 v[2:3], v[12:13], v[8:9]
	v_fma_f64 v[4:5], v[12:13], v[6:7], v[4:5]
	v_fma_f64 v[2:3], v[10:11], v[6:7], -v[2:3]
	v_add_f64 v[16:17], v[4:5], v[16:17]
	v_add_f64 v[14:15], v[14:15], v[2:3]
	ds_read_b128 v[2:5], v24 offset:1024
	s_waitcnt lgkmcnt(0)
	v_mul_f64 v[6:7], v[38:39], v[4:5]
	v_mul_f64 v[8:9], v[36:37], v[4:5]
	v_fma_f64 v[6:7], v[36:37], v[2:3], -v[6:7]
	v_fma_f64 v[8:9], v[38:39], v[2:3], v[8:9]
	v_add_f64 v[44:45], v[48:49], v[6:7]
	v_add_f64 v[46:47], v[8:9], v[50:51]
	ds_read_b128 v[6:9], v24 offset:1280
	s_waitcnt lgkmcnt(0)
	v_mul_f64 v[10:11], v[38:39], v[8:9]
	v_mul_f64 v[12:13], v[36:37], v[8:9]
	v_fma_f64 v[10:11], v[36:37], v[6:7], -v[10:11]
	v_fma_f64 v[12:13], v[38:39], v[6:7], v[12:13]
	;; [unrolled: 8-line block ×3, first 2 shown]
	v_mul_f64 v[4:5], v[10:11], v[8:9]
	v_add_f64 v[32:33], v[32:33], v[36:37]
	v_add_f64 v[34:35], v[2:3], v[34:35]
	v_mul_f64 v[2:3], v[12:13], v[8:9]
	v_fma_f64 v[4:5], v[12:13], v[6:7], v[4:5]
	v_fma_f64 v[2:3], v[10:11], v[6:7], -v[2:3]
	v_add_f64 v[16:17], v[4:5], v[16:17]
	v_add_f64 v[14:15], v[14:15], v[2:3]
	ds_read_b128 v[2:5], v24 offset:1536
	s_waitcnt lgkmcnt(0)
	v_mul_f64 v[6:7], v[42:43], v[4:5]
	v_mul_f64 v[8:9], v[40:41], v[4:5]
	v_fma_f64 v[6:7], v[40:41], v[2:3], -v[6:7]
	v_fma_f64 v[8:9], v[42:43], v[2:3], v[8:9]
	v_add_f64 v[36:37], v[44:45], v[6:7]
	v_add_f64 v[38:39], v[8:9], v[46:47]
	ds_read_b128 v[6:9], v24 offset:1792
	s_waitcnt lgkmcnt(0)
	v_mul_f64 v[10:11], v[42:43], v[8:9]
	v_mul_f64 v[12:13], v[40:41], v[8:9]
	v_fma_f64 v[10:11], v[40:41], v[6:7], -v[10:11]
	v_fma_f64 v[12:13], v[42:43], v[6:7], v[12:13]
	;; [unrolled: 8-line block ×3, first 2 shown]
	v_mul_f64 v[4:5], v[10:11], v[8:9]
	v_add_f64 v[32:33], v[32:33], v[40:41]
	v_add_f64 v[34:35], v[2:3], v[34:35]
	v_mul_f64 v[2:3], v[12:13], v[8:9]
	v_fma_f64 v[4:5], v[12:13], v[6:7], v[4:5]
	v_fma_f64 v[2:3], v[10:11], v[6:7], -v[2:3]
	v_add_f64 v[16:17], v[4:5], v[16:17]
	v_add_f64 v[14:15], v[14:15], v[2:3]
	ds_read_b128 v[2:5], v25 offset:64
	ds_read_b128 v[6:9], v24 offset:2048
	s_waitcnt lgkmcnt(0)
	v_mul_f64 v[10:11], v[4:5], v[8:9]
	v_mul_f64 v[12:13], v[2:3], v[8:9]
	v_fma_f64 v[10:11], v[2:3], v[6:7], -v[10:11]
	v_fma_f64 v[12:13], v[4:5], v[6:7], v[12:13]
	v_add_f64 v[36:37], v[36:37], v[10:11]
	v_add_f64 v[38:39], v[12:13], v[38:39]
	ds_read_b128 v[10:13], v24 offset:2304
	s_waitcnt lgkmcnt(0)
	v_mul_f64 v[40:41], v[4:5], v[12:13]
	v_fma_f64 v[40:41], v[2:3], v[10:11], -v[40:41]
	v_mul_f64 v[2:3], v[2:3], v[12:13]
	v_add_f64 v[30:31], v[30:31], v[40:41]
	v_fma_f64 v[2:3], v[4:5], v[10:11], v[2:3]
	v_add_f64 v[28:29], v[2:3], v[28:29]
	ds_read_b128 v[2:5], v25 offset:2112
	s_waitcnt lgkmcnt(0)
	v_mul_f64 v[40:41], v[4:5], v[8:9]
	v_mul_f64 v[8:9], v[2:3], v[8:9]
	v_fma_f64 v[40:41], v[2:3], v[6:7], -v[40:41]
	v_fma_f64 v[6:7], v[4:5], v[6:7], v[8:9]
	v_add_f64 v[32:33], v[32:33], v[40:41]
	v_add_f64 v[34:35], v[6:7], v[34:35]
	v_mul_f64 v[6:7], v[4:5], v[12:13]
	v_fma_f64 v[6:7], v[2:3], v[10:11], -v[6:7]
	v_mul_f64 v[2:3], v[2:3], v[12:13]
	v_add_f64 v[14:15], v[14:15], v[6:7]
	v_fma_f64 v[2:3], v[4:5], v[10:11], v[2:3]
	v_add_f64 v[16:17], v[2:3], v[16:17]
	ds_read_b128 v[2:5], v25 offset:80
	ds_read_b128 v[6:9], v24 offset:2560
	s_waitcnt lgkmcnt(0)
	v_mul_f64 v[10:11], v[4:5], v[8:9]
	v_mul_f64 v[12:13], v[2:3], v[8:9]
	v_fma_f64 v[10:11], v[2:3], v[6:7], -v[10:11]
	v_fma_f64 v[12:13], v[4:5], v[6:7], v[12:13]
	v_add_f64 v[36:37], v[36:37], v[10:11]
	v_add_f64 v[38:39], v[12:13], v[38:39]
	ds_read_b128 v[10:13], v24 offset:2816
	s_waitcnt lgkmcnt(0)
	v_mul_f64 v[40:41], v[4:5], v[12:13]
	v_fma_f64 v[40:41], v[2:3], v[10:11], -v[40:41]
	v_mul_f64 v[2:3], v[2:3], v[12:13]
	v_add_f64 v[30:31], v[30:31], v[40:41]
	v_fma_f64 v[2:3], v[4:5], v[10:11], v[2:3]
	v_add_f64 v[28:29], v[2:3], v[28:29]
	ds_read_b128 v[2:5], v25 offset:2128
	s_waitcnt lgkmcnt(0)
	v_mul_f64 v[40:41], v[4:5], v[8:9]
	v_mul_f64 v[8:9], v[2:3], v[8:9]
	v_fma_f64 v[40:41], v[2:3], v[6:7], -v[40:41]
	v_fma_f64 v[6:7], v[4:5], v[6:7], v[8:9]
	v_add_f64 v[32:33], v[32:33], v[40:41]
	v_add_f64 v[34:35], v[6:7], v[34:35]
	v_mul_f64 v[6:7], v[4:5], v[12:13]
	v_fma_f64 v[6:7], v[2:3], v[10:11], -v[6:7]
	v_mul_f64 v[2:3], v[2:3], v[12:13]
	v_add_f64 v[14:15], v[14:15], v[6:7]
	v_fma_f64 v[2:3], v[4:5], v[10:11], v[2:3]
	;; [unrolled: 31-line block ×3, first 2 shown]
	v_add_f64 v[50:51], v[2:3], v[16:17]
	ds_read_b128 v[2:5], v25 offset:112
	ds_read_b128 v[6:9], v24 offset:3584
	ds_read_b128 v[28:31], v24 offset:3840
	ds_read_b128 v[32:35], v25 offset:2160
	s_waitcnt lgkmcnt(0)
	s_barrier
	v_mul_f64 v[10:11], v[4:5], v[8:9]
	v_mul_f64 v[12:13], v[2:3], v[8:9]
	v_fma_f64 v[10:11], v[2:3], v[6:7], -v[10:11]
	v_fma_f64 v[12:13], v[4:5], v[6:7], v[12:13]
	v_add_f64 v[14:15], v[36:37], v[10:11]
	v_mul_f64 v[10:11], v[4:5], v[30:31]
	v_add_f64 v[16:17], v[12:13], v[38:39]
	v_fma_f64 v[10:11], v[2:3], v[28:29], -v[10:11]
	v_mul_f64 v[2:3], v[2:3], v[30:31]
	v_fma_f64 v[4:5], v[4:5], v[28:29], v[2:3]
	v_add_f64 v[2:3], v[40:41], v[10:11]
	v_mul_f64 v[10:11], v[34:35], v[8:9]
	v_mul_f64 v[8:9], v[32:33], v[8:9]
	v_add_f64 v[4:5], v[4:5], v[42:43]
	v_fma_f64 v[10:11], v[32:33], v[6:7], -v[10:11]
	v_fma_f64 v[6:7], v[34:35], v[6:7], v[8:9]
	v_mul_f64 v[8:9], v[32:33], v[30:31]
	v_add_f64 v[10:11], v[44:45], v[10:11]
	v_add_f64 v[12:13], v[6:7], v[46:47]
	v_mul_f64 v[6:7], v[34:35], v[30:31]
	v_fma_f64 v[8:9], v[34:35], v[28:29], v[8:9]
	v_fma_f64 v[6:7], v[32:33], v[28:29], -v[6:7]
	v_add_f64 v[8:9], v[8:9], v[50:51]
	v_mov_b32_e32 v29, s9
	v_mov_b32_e32 v28, s8
	v_cmp_le_u64_e32 vcc, s[0:1], v[28:29]
	v_add_f64 v[6:7], v[48:49], v[6:7]
	s_cbranch_vccz .LBB1633_2
	s_branch .LBB1633_4
.LBB1633_3:
	v_mov_b32_e32 v14, 0
	v_mov_b32_e32 v16, 0
	;; [unrolled: 1-line block ×16, first 2 shown]
.LBB1633_4:
	v_add_u32_e32 v18, s19, v1
	v_ashrrev_i32_e32 v1, 31, v18
	v_mul_lo_u32 v1, s14, v1
	v_mul_lo_u32 v21, s15, v18
	v_mad_u64_u32 v[19:20], s[0:1], s14, v18, 0
	s_load_dword s4, s[4:5], 0x0
	v_add_u32_e32 v0, s18, v0
	v_add3_u32 v20, v20, v1, v21
	v_lshlrev_b64 v[19:20], 4, v[19:20]
	s_waitcnt lgkmcnt(0)
	v_mov_b32_e32 v1, s13
	v_add_co_u32_e32 v19, vcc, s12, v19
	v_addc_co_u32_e32 v20, vcc, v1, v20, vcc
	v_cmp_le_i32_e64 s[0:1], v18, v0
	v_cmp_gt_i32_e32 vcc, s4, v0
	s_and_b64 s[0:1], s[0:1], vcc
	s_and_saveexec_b64 s[2:3], s[0:1]
	s_cbranch_execz .LBB1633_6
; %bb.5:
	v_ashrrev_i32_e32 v1, 31, v0
	v_lshlrev_b64 v[21:22], 4, v[0:1]
	v_add_co_u32_e64 v21, s[0:1], v19, v21
	v_addc_co_u32_e64 v22, s[0:1], v20, v22, s[0:1]
	flat_store_dwordx4 v[21:22], v[14:17]
.LBB1633_6:
	s_or_b64 exec, exec, s[2:3]
	v_add_u32_e32 v14, 16, v0
	v_cmp_le_i32_e64 s[2:3], v18, v14
	v_cmp_gt_i32_e64 s[0:1], s4, v14
	s_and_b64 s[2:3], s[2:3], s[0:1]
	s_and_saveexec_b64 s[4:5], s[2:3]
	s_cbranch_execz .LBB1633_8
; %bb.7:
	v_ashrrev_i32_e32 v15, 31, v14
	v_lshlrev_b64 v[15:16], 4, v[14:15]
	v_add_co_u32_e64 v15, s[2:3], v19, v15
	v_addc_co_u32_e64 v16, s[2:3], v20, v16, s[2:3]
	flat_store_dwordx4 v[15:16], v[2:5]
.LBB1633_8:
	s_or_b64 exec, exec, s[4:5]
	v_add_u32_e32 v2, 16, v18
	v_ashrrev_i32_e32 v1, 31, v2
	v_mul_lo_u32 v5, s15, v2
	v_mad_u64_u32 v[3:4], s[2:3], s14, v2, 0
	v_mul_lo_u32 v1, s14, v1
	v_add3_u32 v4, v4, v1, v5
	v_lshlrev_b64 v[3:4], 4, v[3:4]
	v_mov_b32_e32 v1, s13
	v_add_co_u32_e64 v3, s[2:3], s12, v3
	v_addc_co_u32_e64 v4, s[2:3], v1, v4, s[2:3]
	v_cmp_le_i32_e64 s[2:3], v2, v0
	s_and_b64 s[4:5], s[2:3], vcc
	s_and_saveexec_b64 s[2:3], s[4:5]
	s_cbranch_execz .LBB1633_10
; %bb.9:
	v_ashrrev_i32_e32 v1, 31, v0
	v_lshlrev_b64 v[0:1], 4, v[0:1]
	v_add_co_u32_e32 v0, vcc, v3, v0
	v_addc_co_u32_e32 v1, vcc, v4, v1, vcc
	flat_store_dwordx4 v[0:1], v[10:13]
.LBB1633_10:
	s_or_b64 exec, exec, s[2:3]
	v_cmp_le_i32_e32 vcc, v2, v14
	s_and_b64 s[0:1], vcc, s[0:1]
	s_and_saveexec_b64 s[2:3], s[0:1]
	s_cbranch_execz .LBB1633_12
; %bb.11:
	v_ashrrev_i32_e32 v15, 31, v14
	v_lshlrev_b64 v[0:1], 4, v[14:15]
	v_add_co_u32_e32 v0, vcc, v3, v0
	v_addc_co_u32_e32 v1, vcc, v4, v1, vcc
	flat_store_dwordx4 v[0:1], v[6:9]
.LBB1633_12:
	s_endpgm
	.section	.rodata,"a",@progbits
	.p2align	6, 0x0
	.amdhsa_kernel _ZL37rocblas_syrkx_herkx_restricted_kernelIl19rocblas_complex_numIdELi16ELi32ELi8ELi1ELi0ELb0ELc78ELc76EKPKS1_KPS1_EviT_PT9_S7_lS9_S7_lPT10_S7_li
		.amdhsa_group_segment_fixed_size 8192
		.amdhsa_private_segment_fixed_size 0
		.amdhsa_kernarg_size 92
		.amdhsa_user_sgpr_count 6
		.amdhsa_user_sgpr_private_segment_buffer 1
		.amdhsa_user_sgpr_dispatch_ptr 0
		.amdhsa_user_sgpr_queue_ptr 0
		.amdhsa_user_sgpr_kernarg_segment_ptr 1
		.amdhsa_user_sgpr_dispatch_id 0
		.amdhsa_user_sgpr_flat_scratch_init 0
		.amdhsa_user_sgpr_private_segment_size 0
		.amdhsa_uses_dynamic_stack 0
		.amdhsa_system_sgpr_private_segment_wavefront_offset 0
		.amdhsa_system_sgpr_workgroup_id_x 1
		.amdhsa_system_sgpr_workgroup_id_y 1
		.amdhsa_system_sgpr_workgroup_id_z 1
		.amdhsa_system_sgpr_workgroup_info 0
		.amdhsa_system_vgpr_workitem_id 1
		.amdhsa_next_free_vgpr 54
		.amdhsa_next_free_sgpr 61
		.amdhsa_reserve_vcc 1
		.amdhsa_reserve_flat_scratch 0
		.amdhsa_float_round_mode_32 0
		.amdhsa_float_round_mode_16_64 0
		.amdhsa_float_denorm_mode_32 3
		.amdhsa_float_denorm_mode_16_64 3
		.amdhsa_dx10_clamp 1
		.amdhsa_ieee_mode 1
		.amdhsa_fp16_overflow 0
		.amdhsa_exception_fp_ieee_invalid_op 0
		.amdhsa_exception_fp_denorm_src 0
		.amdhsa_exception_fp_ieee_div_zero 0
		.amdhsa_exception_fp_ieee_overflow 0
		.amdhsa_exception_fp_ieee_underflow 0
		.amdhsa_exception_fp_ieee_inexact 0
		.amdhsa_exception_int_div_zero 0
	.end_amdhsa_kernel
	.section	.text._ZL37rocblas_syrkx_herkx_restricted_kernelIl19rocblas_complex_numIdELi16ELi32ELi8ELi1ELi0ELb0ELc78ELc76EKPKS1_KPS1_EviT_PT9_S7_lS9_S7_lPT10_S7_li,"axG",@progbits,_ZL37rocblas_syrkx_herkx_restricted_kernelIl19rocblas_complex_numIdELi16ELi32ELi8ELi1ELi0ELb0ELc78ELc76EKPKS1_KPS1_EviT_PT9_S7_lS9_S7_lPT10_S7_li,comdat
.Lfunc_end1633:
	.size	_ZL37rocblas_syrkx_herkx_restricted_kernelIl19rocblas_complex_numIdELi16ELi32ELi8ELi1ELi0ELb0ELc78ELc76EKPKS1_KPS1_EviT_PT9_S7_lS9_S7_lPT10_S7_li, .Lfunc_end1633-_ZL37rocblas_syrkx_herkx_restricted_kernelIl19rocblas_complex_numIdELi16ELi32ELi8ELi1ELi0ELb0ELc78ELc76EKPKS1_KPS1_EviT_PT9_S7_lS9_S7_lPT10_S7_li
                                        ; -- End function
	.set _ZL37rocblas_syrkx_herkx_restricted_kernelIl19rocblas_complex_numIdELi16ELi32ELi8ELi1ELi0ELb0ELc78ELc76EKPKS1_KPS1_EviT_PT9_S7_lS9_S7_lPT10_S7_li.num_vgpr, 54
	.set _ZL37rocblas_syrkx_herkx_restricted_kernelIl19rocblas_complex_numIdELi16ELi32ELi8ELi1ELi0ELb0ELc78ELc76EKPKS1_KPS1_EviT_PT9_S7_lS9_S7_lPT10_S7_li.num_agpr, 0
	.set _ZL37rocblas_syrkx_herkx_restricted_kernelIl19rocblas_complex_numIdELi16ELi32ELi8ELi1ELi0ELb0ELc78ELc76EKPKS1_KPS1_EviT_PT9_S7_lS9_S7_lPT10_S7_li.numbered_sgpr, 22
	.set _ZL37rocblas_syrkx_herkx_restricted_kernelIl19rocblas_complex_numIdELi16ELi32ELi8ELi1ELi0ELb0ELc78ELc76EKPKS1_KPS1_EviT_PT9_S7_lS9_S7_lPT10_S7_li.num_named_barrier, 0
	.set _ZL37rocblas_syrkx_herkx_restricted_kernelIl19rocblas_complex_numIdELi16ELi32ELi8ELi1ELi0ELb0ELc78ELc76EKPKS1_KPS1_EviT_PT9_S7_lS9_S7_lPT10_S7_li.private_seg_size, 0
	.set _ZL37rocblas_syrkx_herkx_restricted_kernelIl19rocblas_complex_numIdELi16ELi32ELi8ELi1ELi0ELb0ELc78ELc76EKPKS1_KPS1_EviT_PT9_S7_lS9_S7_lPT10_S7_li.uses_vcc, 1
	.set _ZL37rocblas_syrkx_herkx_restricted_kernelIl19rocblas_complex_numIdELi16ELi32ELi8ELi1ELi0ELb0ELc78ELc76EKPKS1_KPS1_EviT_PT9_S7_lS9_S7_lPT10_S7_li.uses_flat_scratch, 0
	.set _ZL37rocblas_syrkx_herkx_restricted_kernelIl19rocblas_complex_numIdELi16ELi32ELi8ELi1ELi0ELb0ELc78ELc76EKPKS1_KPS1_EviT_PT9_S7_lS9_S7_lPT10_S7_li.has_dyn_sized_stack, 0
	.set _ZL37rocblas_syrkx_herkx_restricted_kernelIl19rocblas_complex_numIdELi16ELi32ELi8ELi1ELi0ELb0ELc78ELc76EKPKS1_KPS1_EviT_PT9_S7_lS9_S7_lPT10_S7_li.has_recursion, 0
	.set _ZL37rocblas_syrkx_herkx_restricted_kernelIl19rocblas_complex_numIdELi16ELi32ELi8ELi1ELi0ELb0ELc78ELc76EKPKS1_KPS1_EviT_PT9_S7_lS9_S7_lPT10_S7_li.has_indirect_call, 0
	.section	.AMDGPU.csdata,"",@progbits
; Kernel info:
; codeLenInByte = 2792
; TotalNumSgprs: 26
; NumVgprs: 54
; ScratchSize: 0
; MemoryBound: 0
; FloatMode: 240
; IeeeMode: 1
; LDSByteSize: 8192 bytes/workgroup (compile time only)
; SGPRBlocks: 8
; VGPRBlocks: 13
; NumSGPRsForWavesPerEU: 65
; NumVGPRsForWavesPerEU: 54
; Occupancy: 4
; WaveLimiterHint : 1
; COMPUTE_PGM_RSRC2:SCRATCH_EN: 0
; COMPUTE_PGM_RSRC2:USER_SGPR: 6
; COMPUTE_PGM_RSRC2:TRAP_HANDLER: 0
; COMPUTE_PGM_RSRC2:TGID_X_EN: 1
; COMPUTE_PGM_RSRC2:TGID_Y_EN: 1
; COMPUTE_PGM_RSRC2:TGID_Z_EN: 1
; COMPUTE_PGM_RSRC2:TIDIG_COMP_CNT: 1
	.section	.text._ZL37rocblas_syrkx_herkx_restricted_kernelIl19rocblas_complex_numIdELi16ELi32ELi8ELi1ELi0ELb0ELc84ELc85EKPKS1_KPS1_EviT_PT9_S7_lS9_S7_lPT10_S7_li,"axG",@progbits,_ZL37rocblas_syrkx_herkx_restricted_kernelIl19rocblas_complex_numIdELi16ELi32ELi8ELi1ELi0ELb0ELc84ELc85EKPKS1_KPS1_EviT_PT9_S7_lS9_S7_lPT10_S7_li,comdat
	.globl	_ZL37rocblas_syrkx_herkx_restricted_kernelIl19rocblas_complex_numIdELi16ELi32ELi8ELi1ELi0ELb0ELc84ELc85EKPKS1_KPS1_EviT_PT9_S7_lS9_S7_lPT10_S7_li ; -- Begin function _ZL37rocblas_syrkx_herkx_restricted_kernelIl19rocblas_complex_numIdELi16ELi32ELi8ELi1ELi0ELb0ELc84ELc85EKPKS1_KPS1_EviT_PT9_S7_lS9_S7_lPT10_S7_li
	.p2align	8
	.type	_ZL37rocblas_syrkx_herkx_restricted_kernelIl19rocblas_complex_numIdELi16ELi32ELi8ELi1ELi0ELb0ELc84ELc85EKPKS1_KPS1_EviT_PT9_S7_lS9_S7_lPT10_S7_li,@function
_ZL37rocblas_syrkx_herkx_restricted_kernelIl19rocblas_complex_numIdELi16ELi32ELi8ELi1ELi0ELb0ELc84ELc85EKPKS1_KPS1_EviT_PT9_S7_lS9_S7_lPT10_S7_li: ; @_ZL37rocblas_syrkx_herkx_restricted_kernelIl19rocblas_complex_numIdELi16ELi32ELi8ELi1ELi0ELb0ELc84ELc85EKPKS1_KPS1_EviT_PT9_S7_lS9_S7_lPT10_S7_li
; %bb.0:
	s_load_dwordx4 s[0:3], s[4:5], 0x40
	s_load_dwordx4 s[12:15], s[4:5], 0x8
	s_mov_b32 s9, 0
	s_lshl_b64 s[10:11], s[8:9], 3
	s_waitcnt lgkmcnt(0)
	s_add_u32 s0, s0, s10
	s_addc_u32 s1, s1, s11
	s_load_dwordx2 s[8:9], s[0:1], 0x0
	v_cmp_lt_i64_e64 s[0:1], s[12:13], 1
	s_lshl_b32 s6, s6, 5
	s_lshl_b32 s7, s7, 5
	s_and_b64 vcc, exec, s[0:1]
	s_cbranch_vccnz .LBB1634_3
; %bb.1:
	s_load_dwordx2 s[0:1], s[4:5], 0x18
	s_load_dwordx4 s[16:19], s[4:5], 0x28
	v_lshl_add_u32 v6, v1, 4, v0
	v_lshrrev_b32_e32 v8, 3, v6
	v_add_u32_e32 v4, s7, v8
	v_ashrrev_i32_e32 v5, 31, v4
	v_and_b32_e32 v2, 7, v0
	v_mov_b32_e32 v3, 0
	s_waitcnt lgkmcnt(0)
	v_mul_lo_u32 v7, s18, v5
	v_mul_lo_u32 v9, s19, v4
	v_mad_u64_u32 v[4:5], s[18:19], s18, v4, v[2:3]
	s_add_u32 s14, s14, s10
	v_lshlrev_b32_e32 v2, 4, v2
	v_add3_u32 v5, v9, v5, v7
	v_and_b32_e32 v9, 31, v6
	s_addc_u32 s15, s15, s11
	v_lshl_or_b32 v2, v8, 7, v2
	v_add_u32_e32 v8, s6, v9
	s_add_u32 s10, s16, s10
	v_lshrrev_b32_e32 v6, 5, v6
	v_mov_b32_e32 v7, v3
	v_lshlrev_b32_e32 v3, 4, v9
	v_add_u32_e32 v23, 0x1000, v2
	v_ashrrev_i32_e32 v2, 31, v8
	s_addc_u32 s11, s17, s11
	v_lshl_or_b32 v22, v6, 9, v3
	v_mul_lo_u32 v9, s0, v2
	v_mad_u64_u32 v[2:3], s[16:17], s0, v8, v[6:7]
	v_mul_lo_u32 v6, s1, v8
	s_load_dwordx2 s[14:15], s[14:15], 0x0
	v_mov_b32_e32 v7, 0x1000
	s_load_dwordx2 s[10:11], s[10:11], 0x0
	v_add3_u32 v3, v6, v3, v9
	v_lshlrev_b64 v[2:3], 4, v[2:3]
	s_waitcnt lgkmcnt(0)
	v_mov_b32_e32 v6, s15
	v_add_co_u32_e32 v18, vcc, s14, v2
	v_addc_co_u32_e32 v19, vcc, v6, v3, vcc
	v_lshlrev_b64 v[2:3], 4, v[4:5]
	v_mov_b32_e32 v4, s11
	v_add_co_u32_e32 v20, vcc, s10, v2
	v_lshl_add_u32 v25, v1, 7, v7
	v_addc_co_u32_e32 v21, vcc, v4, v3, vcc
	v_mov_b32_e32 v8, 0
	v_mov_b32_e32 v6, 0
	;; [unrolled: 1-line block ×8, first 2 shown]
	v_lshlrev_b32_e32 v24, 4, v0
	v_mov_b32_e32 v9, 0
	v_mov_b32_e32 v7, 0
	;; [unrolled: 1-line block ×8, first 2 shown]
	s_mov_b64 s[0:1], 0
.LBB1634_2:                             ; =>This Inner Loop Header: Depth=1
	flat_load_dwordx4 v[26:29], v[18:19]
	s_add_u32 s0, s0, 8
	v_add_co_u32_e32 v18, vcc, 0x80, v18
	s_addc_u32 s1, s1, 0
	v_addc_co_u32_e32 v19, vcc, 0, v19, vcc
	s_waitcnt vmcnt(0) lgkmcnt(0)
	ds_write_b128 v22, v[26:29]
	flat_load_dwordx4 v[26:29], v[20:21]
	v_add_co_u32_e32 v20, vcc, 0x80, v20
	v_addc_co_u32_e32 v21, vcc, 0, v21, vcc
	s_waitcnt vmcnt(0) lgkmcnt(0)
	ds_write_b128 v23, v[26:29]
	s_waitcnt lgkmcnt(0)
	s_barrier
	ds_read_b128 v[26:29], v25
	ds_read_b128 v[30:33], v25 offset:16
	ds_read_b128 v[34:37], v25 offset:32
	;; [unrolled: 1-line block ×3, first 2 shown]
	ds_read_b128 v[42:45], v24
	s_waitcnt lgkmcnt(0)
	v_mul_f64 v[46:47], v[28:29], v[44:45]
	v_mul_f64 v[48:49], v[26:27], v[44:45]
	v_fma_f64 v[46:47], v[26:27], v[42:43], -v[46:47]
	v_fma_f64 v[48:49], v[28:29], v[42:43], v[48:49]
	v_add_f64 v[46:47], v[10:11], v[46:47]
	v_add_f64 v[48:49], v[48:49], v[12:13]
	ds_read_b128 v[10:13], v24 offset:256
	s_waitcnt lgkmcnt(0)
	v_mul_f64 v[50:51], v[28:29], v[12:13]
	v_fma_f64 v[50:51], v[26:27], v[10:11], -v[50:51]
	v_mul_f64 v[26:27], v[26:27], v[12:13]
	v_fma_f64 v[26:27], v[28:29], v[10:11], v[26:27]
	v_add_f64 v[28:29], v[2:3], v[50:51]
	v_add_f64 v[26:27], v[26:27], v[4:5]
	ds_read_b128 v[2:5], v25 offset:2048
	s_waitcnt lgkmcnt(0)
	v_mul_f64 v[50:51], v[4:5], v[44:45]
	v_mul_f64 v[44:45], v[2:3], v[44:45]
	v_fma_f64 v[50:51], v[2:3], v[42:43], -v[50:51]
	v_fma_f64 v[42:43], v[4:5], v[42:43], v[44:45]
	v_add_f64 v[14:15], v[14:15], v[50:51]
	v_add_f64 v[16:17], v[42:43], v[16:17]
	v_mul_f64 v[42:43], v[4:5], v[12:13]
	v_fma_f64 v[42:43], v[2:3], v[10:11], -v[42:43]
	v_mul_f64 v[2:3], v[2:3], v[12:13]
	v_add_f64 v[42:43], v[6:7], v[42:43]
	v_fma_f64 v[2:3], v[4:5], v[10:11], v[2:3]
	v_add_f64 v[44:45], v[2:3], v[8:9]
	ds_read_b128 v[2:5], v24 offset:512
	s_waitcnt lgkmcnt(0)
	v_mul_f64 v[6:7], v[32:33], v[4:5]
	v_mul_f64 v[8:9], v[30:31], v[4:5]
	v_fma_f64 v[6:7], v[30:31], v[2:3], -v[6:7]
	v_fma_f64 v[8:9], v[32:33], v[2:3], v[8:9]
	v_add_f64 v[46:47], v[46:47], v[6:7]
	v_add_f64 v[48:49], v[8:9], v[48:49]
	ds_read_b128 v[6:9], v24 offset:768
	s_waitcnt lgkmcnt(0)
	v_mul_f64 v[10:11], v[32:33], v[8:9]
	v_mul_f64 v[12:13], v[30:31], v[8:9]
	v_fma_f64 v[10:11], v[30:31], v[6:7], -v[10:11]
	v_fma_f64 v[12:13], v[32:33], v[6:7], v[12:13]
	v_add_f64 v[28:29], v[28:29], v[10:11]
	v_add_f64 v[26:27], v[12:13], v[26:27]
	ds_read_b128 v[10:13], v25 offset:2064
	s_waitcnt lgkmcnt(0)
	v_mul_f64 v[30:31], v[12:13], v[4:5]
	v_mul_f64 v[4:5], v[10:11], v[4:5]
	v_fma_f64 v[30:31], v[10:11], v[2:3], -v[30:31]
	v_fma_f64 v[2:3], v[12:13], v[2:3], v[4:5]
	v_mul_f64 v[4:5], v[10:11], v[8:9]
	v_add_f64 v[14:15], v[14:15], v[30:31]
	v_add_f64 v[16:17], v[2:3], v[16:17]
	v_mul_f64 v[2:3], v[12:13], v[8:9]
	v_fma_f64 v[4:5], v[12:13], v[6:7], v[4:5]
	v_fma_f64 v[2:3], v[10:11], v[6:7], -v[2:3]
	v_add_f64 v[32:33], v[4:5], v[44:45]
	v_add_f64 v[30:31], v[42:43], v[2:3]
	ds_read_b128 v[2:5], v24 offset:1024
	s_waitcnt lgkmcnt(0)
	v_mul_f64 v[6:7], v[36:37], v[4:5]
	v_mul_f64 v[8:9], v[34:35], v[4:5]
	v_fma_f64 v[6:7], v[34:35], v[2:3], -v[6:7]
	v_fma_f64 v[8:9], v[36:37], v[2:3], v[8:9]
	v_add_f64 v[42:43], v[46:47], v[6:7]
	v_add_f64 v[44:45], v[8:9], v[48:49]
	ds_read_b128 v[6:9], v24 offset:1280
	s_waitcnt lgkmcnt(0)
	v_mul_f64 v[10:11], v[36:37], v[8:9]
	v_mul_f64 v[12:13], v[34:35], v[8:9]
	v_fma_f64 v[10:11], v[34:35], v[6:7], -v[10:11]
	v_fma_f64 v[12:13], v[36:37], v[6:7], v[12:13]
	v_add_f64 v[28:29], v[28:29], v[10:11]
	v_add_f64 v[26:27], v[12:13], v[26:27]
	ds_read_b128 v[10:13], v25 offset:2080
	s_waitcnt lgkmcnt(0)
	v_mul_f64 v[34:35], v[12:13], v[4:5]
	v_mul_f64 v[4:5], v[10:11], v[4:5]
	v_fma_f64 v[34:35], v[10:11], v[2:3], -v[34:35]
	v_fma_f64 v[2:3], v[12:13], v[2:3], v[4:5]
	v_mul_f64 v[4:5], v[10:11], v[8:9]
	v_add_f64 v[14:15], v[14:15], v[34:35]
	v_add_f64 v[16:17], v[2:3], v[16:17]
	v_mul_f64 v[2:3], v[12:13], v[8:9]
	v_fma_f64 v[4:5], v[12:13], v[6:7], v[4:5]
	v_fma_f64 v[2:3], v[10:11], v[6:7], -v[2:3]
	v_add_f64 v[32:33], v[4:5], v[32:33]
	;; [unrolled: 30-line block ×3, first 2 shown]
	v_add_f64 v[30:31], v[30:31], v[2:3]
	ds_read_b128 v[2:5], v25 offset:64
	ds_read_b128 v[6:9], v24 offset:2048
	s_waitcnt lgkmcnt(0)
	v_mul_f64 v[10:11], v[4:5], v[8:9]
	v_mul_f64 v[12:13], v[2:3], v[8:9]
	v_fma_f64 v[10:11], v[2:3], v[6:7], -v[10:11]
	v_fma_f64 v[12:13], v[4:5], v[6:7], v[12:13]
	v_add_f64 v[34:35], v[34:35], v[10:11]
	v_add_f64 v[36:37], v[12:13], v[36:37]
	ds_read_b128 v[10:13], v24 offset:2304
	s_waitcnt lgkmcnt(0)
	v_mul_f64 v[38:39], v[4:5], v[12:13]
	v_fma_f64 v[38:39], v[2:3], v[10:11], -v[38:39]
	v_mul_f64 v[2:3], v[2:3], v[12:13]
	v_add_f64 v[28:29], v[28:29], v[38:39]
	v_fma_f64 v[2:3], v[4:5], v[10:11], v[2:3]
	v_add_f64 v[26:27], v[2:3], v[26:27]
	ds_read_b128 v[2:5], v25 offset:2112
	s_waitcnt lgkmcnt(0)
	v_mul_f64 v[38:39], v[4:5], v[8:9]
	v_mul_f64 v[8:9], v[2:3], v[8:9]
	v_fma_f64 v[38:39], v[2:3], v[6:7], -v[38:39]
	v_fma_f64 v[6:7], v[4:5], v[6:7], v[8:9]
	v_add_f64 v[14:15], v[14:15], v[38:39]
	v_add_f64 v[16:17], v[6:7], v[16:17]
	v_mul_f64 v[6:7], v[4:5], v[12:13]
	v_fma_f64 v[6:7], v[2:3], v[10:11], -v[6:7]
	v_mul_f64 v[2:3], v[2:3], v[12:13]
	v_add_f64 v[30:31], v[30:31], v[6:7]
	v_fma_f64 v[2:3], v[4:5], v[10:11], v[2:3]
	v_add_f64 v[32:33], v[2:3], v[32:33]
	ds_read_b128 v[2:5], v25 offset:80
	ds_read_b128 v[6:9], v24 offset:2560
	s_waitcnt lgkmcnt(0)
	v_mul_f64 v[10:11], v[4:5], v[8:9]
	v_mul_f64 v[12:13], v[2:3], v[8:9]
	v_fma_f64 v[10:11], v[2:3], v[6:7], -v[10:11]
	v_fma_f64 v[12:13], v[4:5], v[6:7], v[12:13]
	v_add_f64 v[34:35], v[34:35], v[10:11]
	v_add_f64 v[36:37], v[12:13], v[36:37]
	ds_read_b128 v[10:13], v24 offset:2816
	s_waitcnt lgkmcnt(0)
	v_mul_f64 v[38:39], v[4:5], v[12:13]
	v_fma_f64 v[38:39], v[2:3], v[10:11], -v[38:39]
	v_mul_f64 v[2:3], v[2:3], v[12:13]
	v_add_f64 v[28:29], v[28:29], v[38:39]
	v_fma_f64 v[2:3], v[4:5], v[10:11], v[2:3]
	v_add_f64 v[26:27], v[2:3], v[26:27]
	ds_read_b128 v[2:5], v25 offset:2128
	s_waitcnt lgkmcnt(0)
	v_mul_f64 v[38:39], v[4:5], v[8:9]
	v_mul_f64 v[8:9], v[2:3], v[8:9]
	v_fma_f64 v[38:39], v[2:3], v[6:7], -v[38:39]
	v_fma_f64 v[6:7], v[4:5], v[6:7], v[8:9]
	v_add_f64 v[14:15], v[14:15], v[38:39]
	v_add_f64 v[16:17], v[6:7], v[16:17]
	v_mul_f64 v[6:7], v[4:5], v[12:13]
	v_fma_f64 v[6:7], v[2:3], v[10:11], -v[6:7]
	v_mul_f64 v[2:3], v[2:3], v[12:13]
	v_add_f64 v[30:31], v[30:31], v[6:7]
	v_fma_f64 v[2:3], v[4:5], v[10:11], v[2:3]
	v_add_f64 v[32:33], v[2:3], v[32:33]
	ds_read_b128 v[2:5], v25 offset:96
	ds_read_b128 v[6:9], v24 offset:3072
	s_waitcnt lgkmcnt(0)
	v_mul_f64 v[10:11], v[4:5], v[8:9]
	v_mul_f64 v[12:13], v[2:3], v[8:9]
	v_fma_f64 v[10:11], v[2:3], v[6:7], -v[10:11]
	v_fma_f64 v[12:13], v[4:5], v[6:7], v[12:13]
	v_add_f64 v[34:35], v[34:35], v[10:11]
	v_add_f64 v[36:37], v[12:13], v[36:37]
	ds_read_b128 v[10:13], v24 offset:3328
	s_waitcnt lgkmcnt(0)
	v_mul_f64 v[38:39], v[4:5], v[12:13]
	v_fma_f64 v[38:39], v[2:3], v[10:11], -v[38:39]
	v_mul_f64 v[2:3], v[2:3], v[12:13]
	v_add_f64 v[38:39], v[28:29], v[38:39]
	v_fma_f64 v[2:3], v[4:5], v[10:11], v[2:3]
	v_add_f64 v[40:41], v[2:3], v[26:27]
	ds_read_b128 v[2:5], v25 offset:2144
	s_waitcnt lgkmcnt(0)
	v_mul_f64 v[26:27], v[4:5], v[8:9]
	v_mul_f64 v[8:9], v[2:3], v[8:9]
	v_fma_f64 v[26:27], v[2:3], v[6:7], -v[26:27]
	v_fma_f64 v[6:7], v[4:5], v[6:7], v[8:9]
	v_add_f64 v[14:15], v[14:15], v[26:27]
	v_add_f64 v[16:17], v[6:7], v[16:17]
	v_mul_f64 v[6:7], v[4:5], v[12:13]
	v_fma_f64 v[6:7], v[2:3], v[10:11], -v[6:7]
	v_mul_f64 v[2:3], v[2:3], v[12:13]
	v_add_f64 v[42:43], v[30:31], v[6:7]
	v_fma_f64 v[2:3], v[4:5], v[10:11], v[2:3]
	v_add_f64 v[44:45], v[2:3], v[32:33]
	ds_read_b128 v[2:5], v25 offset:112
	ds_read_b128 v[6:9], v24 offset:3584
	;; [unrolled: 1-line block ×3, first 2 shown]
	s_waitcnt lgkmcnt(1)
	v_mul_f64 v[10:11], v[4:5], v[8:9]
	s_waitcnt lgkmcnt(0)
	v_mul_f64 v[30:31], v[4:5], v[28:29]
	v_mul_f64 v[12:13], v[2:3], v[8:9]
	v_fma_f64 v[10:11], v[2:3], v[6:7], -v[10:11]
	v_fma_f64 v[30:31], v[2:3], v[26:27], -v[30:31]
	v_mul_f64 v[2:3], v[2:3], v[28:29]
	v_fma_f64 v[12:13], v[4:5], v[6:7], v[12:13]
	v_add_f64 v[10:11], v[34:35], v[10:11]
	v_fma_f64 v[4:5], v[4:5], v[26:27], v[2:3]
	v_add_f64 v[2:3], v[38:39], v[30:31]
	ds_read_b128 v[30:33], v25 offset:2160
	v_add_f64 v[12:13], v[12:13], v[36:37]
	s_waitcnt lgkmcnt(0)
	s_barrier
	v_mul_f64 v[34:35], v[32:33], v[8:9]
	v_mul_f64 v[8:9], v[30:31], v[8:9]
	v_add_f64 v[4:5], v[4:5], v[40:41]
	v_fma_f64 v[34:35], v[30:31], v[6:7], -v[34:35]
	v_fma_f64 v[6:7], v[32:33], v[6:7], v[8:9]
	v_mul_f64 v[8:9], v[30:31], v[28:29]
	v_add_f64 v[14:15], v[14:15], v[34:35]
	v_add_f64 v[16:17], v[6:7], v[16:17]
	v_mul_f64 v[6:7], v[32:33], v[28:29]
	v_fma_f64 v[8:9], v[32:33], v[26:27], v[8:9]
	v_fma_f64 v[6:7], v[30:31], v[26:27], -v[6:7]
	v_add_f64 v[8:9], v[8:9], v[44:45]
	v_mov_b32_e32 v27, s1
	v_mov_b32_e32 v26, s0
	v_cmp_le_u64_e32 vcc, s[12:13], v[26:27]
	v_add_f64 v[6:7], v[42:43], v[6:7]
	s_cbranch_vccz .LBB1634_2
	s_branch .LBB1634_4
.LBB1634_3:
	v_mov_b32_e32 v10, 0
	v_mov_b32_e32 v12, 0
	;; [unrolled: 1-line block ×16, first 2 shown]
.LBB1634_4:
	v_add_u32_e32 v18, s7, v1
	v_ashrrev_i32_e32 v1, 31, v18
	v_mul_lo_u32 v1, s2, v1
	v_mul_lo_u32 v21, s3, v18
	v_mad_u64_u32 v[19:20], s[0:1], s2, v18, 0
	s_load_dword s10, s[4:5], 0x0
	v_add_u32_e32 v0, s6, v0
	v_add3_u32 v20, v20, v1, v21
	v_lshlrev_b64 v[19:20], 4, v[19:20]
	s_waitcnt lgkmcnt(0)
	v_mov_b32_e32 v1, s9
	v_add_co_u32_e64 v19, s[0:1], s8, v19
	v_addc_co_u32_e64 v20, s[0:1], v1, v20, s[0:1]
	v_cmp_gt_i32_e32 vcc, s10, v18
	v_cmp_le_i32_e64 s[0:1], v0, v18
	s_and_b64 s[0:1], vcc, s[0:1]
	s_and_saveexec_b64 s[4:5], s[0:1]
	s_cbranch_execz .LBB1634_6
; %bb.5:
	v_ashrrev_i32_e32 v1, 31, v0
	v_lshlrev_b64 v[21:22], 4, v[0:1]
	v_add_co_u32_e64 v21, s[0:1], v19, v21
	v_addc_co_u32_e64 v22, s[0:1], v20, v22, s[0:1]
	flat_store_dwordx4 v[21:22], v[10:13]
.LBB1634_6:
	s_or_b64 exec, exec, s[4:5]
	v_add_u32_e32 v10, 16, v0
	v_cmp_le_i32_e64 s[0:1], v10, v18
	s_and_b64 s[4:5], vcc, s[0:1]
	s_and_saveexec_b64 s[0:1], s[4:5]
	s_cbranch_execz .LBB1634_8
; %bb.7:
	v_ashrrev_i32_e32 v11, 31, v10
	v_lshlrev_b64 v[11:12], 4, v[10:11]
	v_add_co_u32_e32 v11, vcc, v19, v11
	v_addc_co_u32_e32 v12, vcc, v20, v12, vcc
	flat_store_dwordx4 v[11:12], v[2:5]
.LBB1634_8:
	s_or_b64 exec, exec, s[0:1]
	v_add_u32_e32 v2, 16, v18
	v_ashrrev_i32_e32 v1, 31, v2
	v_mul_lo_u32 v1, s2, v1
	v_mul_lo_u32 v5, s3, v2
	v_mad_u64_u32 v[3:4], s[0:1], s2, v2, 0
	v_cmp_gt_i32_e32 vcc, s10, v2
	v_add3_u32 v4, v4, v1, v5
	v_lshlrev_b64 v[3:4], 4, v[3:4]
	v_mov_b32_e32 v1, s9
	v_add_co_u32_e64 v3, s[0:1], s8, v3
	v_addc_co_u32_e64 v4, s[0:1], v1, v4, s[0:1]
	v_cmp_le_i32_e64 s[0:1], v0, v2
	s_and_b64 s[0:1], vcc, s[0:1]
	s_and_saveexec_b64 s[2:3], s[0:1]
	s_cbranch_execz .LBB1634_10
; %bb.9:
	v_ashrrev_i32_e32 v1, 31, v0
	v_lshlrev_b64 v[0:1], 4, v[0:1]
	v_add_co_u32_e64 v0, s[0:1], v3, v0
	v_addc_co_u32_e64 v1, s[0:1], v4, v1, s[0:1]
	flat_store_dwordx4 v[0:1], v[14:17]
.LBB1634_10:
	s_or_b64 exec, exec, s[2:3]
	v_cmp_le_i32_e64 s[0:1], v10, v2
	s_and_b64 s[0:1], vcc, s[0:1]
	s_and_saveexec_b64 s[2:3], s[0:1]
	s_cbranch_execz .LBB1634_12
; %bb.11:
	v_ashrrev_i32_e32 v11, 31, v10
	v_lshlrev_b64 v[0:1], 4, v[10:11]
	v_add_co_u32_e32 v0, vcc, v3, v0
	v_addc_co_u32_e32 v1, vcc, v4, v1, vcc
	flat_store_dwordx4 v[0:1], v[6:9]
.LBB1634_12:
	s_endpgm
	.section	.rodata,"a",@progbits
	.p2align	6, 0x0
	.amdhsa_kernel _ZL37rocblas_syrkx_herkx_restricted_kernelIl19rocblas_complex_numIdELi16ELi32ELi8ELi1ELi0ELb0ELc84ELc85EKPKS1_KPS1_EviT_PT9_S7_lS9_S7_lPT10_S7_li
		.amdhsa_group_segment_fixed_size 8192
		.amdhsa_private_segment_fixed_size 0
		.amdhsa_kernarg_size 92
		.amdhsa_user_sgpr_count 6
		.amdhsa_user_sgpr_private_segment_buffer 1
		.amdhsa_user_sgpr_dispatch_ptr 0
		.amdhsa_user_sgpr_queue_ptr 0
		.amdhsa_user_sgpr_kernarg_segment_ptr 1
		.amdhsa_user_sgpr_dispatch_id 0
		.amdhsa_user_sgpr_flat_scratch_init 0
		.amdhsa_user_sgpr_private_segment_size 0
		.amdhsa_uses_dynamic_stack 0
		.amdhsa_system_sgpr_private_segment_wavefront_offset 0
		.amdhsa_system_sgpr_workgroup_id_x 1
		.amdhsa_system_sgpr_workgroup_id_y 1
		.amdhsa_system_sgpr_workgroup_id_z 1
		.amdhsa_system_sgpr_workgroup_info 0
		.amdhsa_system_vgpr_workitem_id 1
		.amdhsa_next_free_vgpr 52
		.amdhsa_next_free_sgpr 61
		.amdhsa_reserve_vcc 1
		.amdhsa_reserve_flat_scratch 0
		.amdhsa_float_round_mode_32 0
		.amdhsa_float_round_mode_16_64 0
		.amdhsa_float_denorm_mode_32 3
		.amdhsa_float_denorm_mode_16_64 3
		.amdhsa_dx10_clamp 1
		.amdhsa_ieee_mode 1
		.amdhsa_fp16_overflow 0
		.amdhsa_exception_fp_ieee_invalid_op 0
		.amdhsa_exception_fp_denorm_src 0
		.amdhsa_exception_fp_ieee_div_zero 0
		.amdhsa_exception_fp_ieee_overflow 0
		.amdhsa_exception_fp_ieee_underflow 0
		.amdhsa_exception_fp_ieee_inexact 0
		.amdhsa_exception_int_div_zero 0
	.end_amdhsa_kernel
	.section	.text._ZL37rocblas_syrkx_herkx_restricted_kernelIl19rocblas_complex_numIdELi16ELi32ELi8ELi1ELi0ELb0ELc84ELc85EKPKS1_KPS1_EviT_PT9_S7_lS9_S7_lPT10_S7_li,"axG",@progbits,_ZL37rocblas_syrkx_herkx_restricted_kernelIl19rocblas_complex_numIdELi16ELi32ELi8ELi1ELi0ELb0ELc84ELc85EKPKS1_KPS1_EviT_PT9_S7_lS9_S7_lPT10_S7_li,comdat
.Lfunc_end1634:
	.size	_ZL37rocblas_syrkx_herkx_restricted_kernelIl19rocblas_complex_numIdELi16ELi32ELi8ELi1ELi0ELb0ELc84ELc85EKPKS1_KPS1_EviT_PT9_S7_lS9_S7_lPT10_S7_li, .Lfunc_end1634-_ZL37rocblas_syrkx_herkx_restricted_kernelIl19rocblas_complex_numIdELi16ELi32ELi8ELi1ELi0ELb0ELc84ELc85EKPKS1_KPS1_EviT_PT9_S7_lS9_S7_lPT10_S7_li
                                        ; -- End function
	.set _ZL37rocblas_syrkx_herkx_restricted_kernelIl19rocblas_complex_numIdELi16ELi32ELi8ELi1ELi0ELb0ELc84ELc85EKPKS1_KPS1_EviT_PT9_S7_lS9_S7_lPT10_S7_li.num_vgpr, 52
	.set _ZL37rocblas_syrkx_herkx_restricted_kernelIl19rocblas_complex_numIdELi16ELi32ELi8ELi1ELi0ELb0ELc84ELc85EKPKS1_KPS1_EviT_PT9_S7_lS9_S7_lPT10_S7_li.num_agpr, 0
	.set _ZL37rocblas_syrkx_herkx_restricted_kernelIl19rocblas_complex_numIdELi16ELi32ELi8ELi1ELi0ELb0ELc84ELc85EKPKS1_KPS1_EviT_PT9_S7_lS9_S7_lPT10_S7_li.numbered_sgpr, 20
	.set _ZL37rocblas_syrkx_herkx_restricted_kernelIl19rocblas_complex_numIdELi16ELi32ELi8ELi1ELi0ELb0ELc84ELc85EKPKS1_KPS1_EviT_PT9_S7_lS9_S7_lPT10_S7_li.num_named_barrier, 0
	.set _ZL37rocblas_syrkx_herkx_restricted_kernelIl19rocblas_complex_numIdELi16ELi32ELi8ELi1ELi0ELb0ELc84ELc85EKPKS1_KPS1_EviT_PT9_S7_lS9_S7_lPT10_S7_li.private_seg_size, 0
	.set _ZL37rocblas_syrkx_herkx_restricted_kernelIl19rocblas_complex_numIdELi16ELi32ELi8ELi1ELi0ELb0ELc84ELc85EKPKS1_KPS1_EviT_PT9_S7_lS9_S7_lPT10_S7_li.uses_vcc, 1
	.set _ZL37rocblas_syrkx_herkx_restricted_kernelIl19rocblas_complex_numIdELi16ELi32ELi8ELi1ELi0ELb0ELc84ELc85EKPKS1_KPS1_EviT_PT9_S7_lS9_S7_lPT10_S7_li.uses_flat_scratch, 0
	.set _ZL37rocblas_syrkx_herkx_restricted_kernelIl19rocblas_complex_numIdELi16ELi32ELi8ELi1ELi0ELb0ELc84ELc85EKPKS1_KPS1_EviT_PT9_S7_lS9_S7_lPT10_S7_li.has_dyn_sized_stack, 0
	.set _ZL37rocblas_syrkx_herkx_restricted_kernelIl19rocblas_complex_numIdELi16ELi32ELi8ELi1ELi0ELb0ELc84ELc85EKPKS1_KPS1_EviT_PT9_S7_lS9_S7_lPT10_S7_li.has_recursion, 0
	.set _ZL37rocblas_syrkx_herkx_restricted_kernelIl19rocblas_complex_numIdELi16ELi32ELi8ELi1ELi0ELb0ELc84ELc85EKPKS1_KPS1_EviT_PT9_S7_lS9_S7_lPT10_S7_li.has_indirect_call, 0
	.section	.AMDGPU.csdata,"",@progbits
; Kernel info:
; codeLenInByte = 2840
; TotalNumSgprs: 24
; NumVgprs: 52
; ScratchSize: 0
; MemoryBound: 0
; FloatMode: 240
; IeeeMode: 1
; LDSByteSize: 8192 bytes/workgroup (compile time only)
; SGPRBlocks: 8
; VGPRBlocks: 12
; NumSGPRsForWavesPerEU: 65
; NumVGPRsForWavesPerEU: 52
; Occupancy: 4
; WaveLimiterHint : 1
; COMPUTE_PGM_RSRC2:SCRATCH_EN: 0
; COMPUTE_PGM_RSRC2:USER_SGPR: 6
; COMPUTE_PGM_RSRC2:TRAP_HANDLER: 0
; COMPUTE_PGM_RSRC2:TGID_X_EN: 1
; COMPUTE_PGM_RSRC2:TGID_Y_EN: 1
; COMPUTE_PGM_RSRC2:TGID_Z_EN: 1
; COMPUTE_PGM_RSRC2:TIDIG_COMP_CNT: 1
	.section	.text._ZL37rocblas_syrkx_herkx_restricted_kernelIl19rocblas_complex_numIdELi16ELi32ELi8ELi1ELi0ELb0ELc67ELc85EKPKS1_KPS1_EviT_PT9_S7_lS9_S7_lPT10_S7_li,"axG",@progbits,_ZL37rocblas_syrkx_herkx_restricted_kernelIl19rocblas_complex_numIdELi16ELi32ELi8ELi1ELi0ELb0ELc67ELc85EKPKS1_KPS1_EviT_PT9_S7_lS9_S7_lPT10_S7_li,comdat
	.globl	_ZL37rocblas_syrkx_herkx_restricted_kernelIl19rocblas_complex_numIdELi16ELi32ELi8ELi1ELi0ELb0ELc67ELc85EKPKS1_KPS1_EviT_PT9_S7_lS9_S7_lPT10_S7_li ; -- Begin function _ZL37rocblas_syrkx_herkx_restricted_kernelIl19rocblas_complex_numIdELi16ELi32ELi8ELi1ELi0ELb0ELc67ELc85EKPKS1_KPS1_EviT_PT9_S7_lS9_S7_lPT10_S7_li
	.p2align	8
	.type	_ZL37rocblas_syrkx_herkx_restricted_kernelIl19rocblas_complex_numIdELi16ELi32ELi8ELi1ELi0ELb0ELc67ELc85EKPKS1_KPS1_EviT_PT9_S7_lS9_S7_lPT10_S7_li,@function
_ZL37rocblas_syrkx_herkx_restricted_kernelIl19rocblas_complex_numIdELi16ELi32ELi8ELi1ELi0ELb0ELc67ELc85EKPKS1_KPS1_EviT_PT9_S7_lS9_S7_lPT10_S7_li: ; @_ZL37rocblas_syrkx_herkx_restricted_kernelIl19rocblas_complex_numIdELi16ELi32ELi8ELi1ELi0ELb0ELc67ELc85EKPKS1_KPS1_EviT_PT9_S7_lS9_S7_lPT10_S7_li
; %bb.0:
	s_load_dwordx4 s[0:3], s[4:5], 0x40
	s_load_dwordx4 s[12:15], s[4:5], 0x8
	s_mov_b32 s9, 0
	s_lshl_b64 s[10:11], s[8:9], 3
	s_waitcnt lgkmcnt(0)
	s_add_u32 s0, s0, s10
	s_addc_u32 s1, s1, s11
	s_load_dwordx2 s[8:9], s[0:1], 0x0
	v_cmp_lt_i64_e64 s[0:1], s[12:13], 1
	s_lshl_b32 s6, s6, 5
	s_lshl_b32 s7, s7, 5
	s_and_b64 vcc, exec, s[0:1]
	s_cbranch_vccnz .LBB1635_3
; %bb.1:
	s_load_dwordx2 s[0:1], s[4:5], 0x18
	s_load_dwordx4 s[16:19], s[4:5], 0x28
	v_lshl_add_u32 v6, v1, 4, v0
	v_lshrrev_b32_e32 v8, 3, v6
	v_add_u32_e32 v4, s7, v8
	v_ashrrev_i32_e32 v5, 31, v4
	v_and_b32_e32 v2, 7, v0
	v_mov_b32_e32 v3, 0
	s_waitcnt lgkmcnt(0)
	v_mul_lo_u32 v7, s18, v5
	v_mul_lo_u32 v9, s19, v4
	v_mad_u64_u32 v[4:5], s[18:19], s18, v4, v[2:3]
	s_add_u32 s14, s14, s10
	v_lshlrev_b32_e32 v2, 4, v2
	v_add3_u32 v5, v9, v5, v7
	v_and_b32_e32 v9, 31, v6
	s_addc_u32 s15, s15, s11
	v_lshl_or_b32 v2, v8, 7, v2
	v_add_u32_e32 v8, s6, v9
	s_add_u32 s10, s16, s10
	v_lshrrev_b32_e32 v6, 5, v6
	v_mov_b32_e32 v7, v3
	v_lshlrev_b32_e32 v3, 4, v9
	v_add_u32_e32 v23, 0x1000, v2
	v_ashrrev_i32_e32 v2, 31, v8
	s_addc_u32 s11, s17, s11
	v_lshl_or_b32 v22, v6, 9, v3
	v_mul_lo_u32 v9, s0, v2
	v_mad_u64_u32 v[2:3], s[16:17], s0, v8, v[6:7]
	v_mul_lo_u32 v6, s1, v8
	s_load_dwordx2 s[14:15], s[14:15], 0x0
	v_mov_b32_e32 v7, 0x1000
	s_load_dwordx2 s[10:11], s[10:11], 0x0
	v_add3_u32 v3, v6, v3, v9
	v_lshlrev_b64 v[2:3], 4, v[2:3]
	s_waitcnt lgkmcnt(0)
	v_mov_b32_e32 v6, s15
	v_add_co_u32_e32 v18, vcc, s14, v2
	v_addc_co_u32_e32 v19, vcc, v6, v3, vcc
	v_lshlrev_b64 v[2:3], 4, v[4:5]
	v_mov_b32_e32 v4, s11
	v_add_co_u32_e32 v20, vcc, s10, v2
	v_lshl_add_u32 v25, v1, 7, v7
	v_addc_co_u32_e32 v21, vcc, v4, v3, vcc
	v_mov_b32_e32 v8, 0
	v_mov_b32_e32 v6, 0
	;; [unrolled: 1-line block ×8, first 2 shown]
	v_lshlrev_b32_e32 v24, 4, v0
	v_mov_b32_e32 v9, 0
	v_mov_b32_e32 v7, 0
	;; [unrolled: 1-line block ×8, first 2 shown]
	s_mov_b64 s[0:1], 0
.LBB1635_2:                             ; =>This Inner Loop Header: Depth=1
	flat_load_dwordx4 v[26:29], v[18:19]
	s_add_u32 s0, s0, 8
	v_add_co_u32_e32 v18, vcc, 0x80, v18
	s_addc_u32 s1, s1, 0
	v_addc_co_u32_e32 v19, vcc, 0, v19, vcc
	s_waitcnt vmcnt(0) lgkmcnt(0)
	ds_write_b128 v22, v[26:29]
	flat_load_dwordx4 v[26:29], v[20:21]
	v_add_co_u32_e32 v20, vcc, 0x80, v20
	v_addc_co_u32_e32 v21, vcc, 0, v21, vcc
	s_waitcnt vmcnt(0) lgkmcnt(0)
	ds_write_b128 v23, v[26:29]
	s_waitcnt lgkmcnt(0)
	s_barrier
	ds_read_b128 v[26:29], v25
	ds_read_b128 v[30:33], v25 offset:16
	ds_read_b128 v[34:37], v25 offset:32
	;; [unrolled: 1-line block ×3, first 2 shown]
	ds_read_b128 v[42:45], v24
	s_waitcnt lgkmcnt(0)
	v_mul_f64 v[46:47], v[28:29], v[44:45]
	v_mul_f64 v[48:49], v[26:27], v[44:45]
	v_fma_f64 v[46:47], v[26:27], v[42:43], -v[46:47]
	v_fma_f64 v[48:49], v[28:29], v[42:43], v[48:49]
	v_add_f64 v[46:47], v[10:11], v[46:47]
	v_add_f64 v[48:49], v[48:49], v[12:13]
	ds_read_b128 v[10:13], v24 offset:256
	s_waitcnt lgkmcnt(0)
	v_mul_f64 v[50:51], v[28:29], v[12:13]
	v_fma_f64 v[50:51], v[26:27], v[10:11], -v[50:51]
	v_mul_f64 v[26:27], v[26:27], v[12:13]
	v_fma_f64 v[26:27], v[28:29], v[10:11], v[26:27]
	v_add_f64 v[28:29], v[2:3], v[50:51]
	v_add_f64 v[26:27], v[26:27], v[4:5]
	ds_read_b128 v[2:5], v25 offset:2048
	s_waitcnt lgkmcnt(0)
	v_mul_f64 v[50:51], v[4:5], v[44:45]
	v_mul_f64 v[44:45], v[2:3], v[44:45]
	v_fma_f64 v[50:51], v[2:3], v[42:43], -v[50:51]
	v_fma_f64 v[42:43], v[4:5], v[42:43], v[44:45]
	v_add_f64 v[14:15], v[14:15], v[50:51]
	v_add_f64 v[16:17], v[42:43], v[16:17]
	v_mul_f64 v[42:43], v[4:5], v[12:13]
	v_fma_f64 v[42:43], v[2:3], v[10:11], -v[42:43]
	v_mul_f64 v[2:3], v[2:3], v[12:13]
	v_add_f64 v[42:43], v[6:7], v[42:43]
	v_fma_f64 v[2:3], v[4:5], v[10:11], v[2:3]
	v_add_f64 v[44:45], v[2:3], v[8:9]
	ds_read_b128 v[2:5], v24 offset:512
	s_waitcnt lgkmcnt(0)
	v_mul_f64 v[6:7], v[32:33], v[4:5]
	v_mul_f64 v[8:9], v[30:31], v[4:5]
	v_fma_f64 v[6:7], v[30:31], v[2:3], -v[6:7]
	v_fma_f64 v[8:9], v[32:33], v[2:3], v[8:9]
	v_add_f64 v[46:47], v[46:47], v[6:7]
	v_add_f64 v[48:49], v[8:9], v[48:49]
	ds_read_b128 v[6:9], v24 offset:768
	s_waitcnt lgkmcnt(0)
	v_mul_f64 v[10:11], v[32:33], v[8:9]
	v_mul_f64 v[12:13], v[30:31], v[8:9]
	v_fma_f64 v[10:11], v[30:31], v[6:7], -v[10:11]
	v_fma_f64 v[12:13], v[32:33], v[6:7], v[12:13]
	v_add_f64 v[28:29], v[28:29], v[10:11]
	v_add_f64 v[26:27], v[12:13], v[26:27]
	ds_read_b128 v[10:13], v25 offset:2064
	s_waitcnt lgkmcnt(0)
	v_mul_f64 v[30:31], v[12:13], v[4:5]
	v_mul_f64 v[4:5], v[10:11], v[4:5]
	v_fma_f64 v[30:31], v[10:11], v[2:3], -v[30:31]
	v_fma_f64 v[2:3], v[12:13], v[2:3], v[4:5]
	v_mul_f64 v[4:5], v[10:11], v[8:9]
	v_add_f64 v[14:15], v[14:15], v[30:31]
	v_add_f64 v[16:17], v[2:3], v[16:17]
	v_mul_f64 v[2:3], v[12:13], v[8:9]
	v_fma_f64 v[4:5], v[12:13], v[6:7], v[4:5]
	v_fma_f64 v[2:3], v[10:11], v[6:7], -v[2:3]
	v_add_f64 v[32:33], v[4:5], v[44:45]
	v_add_f64 v[30:31], v[42:43], v[2:3]
	ds_read_b128 v[2:5], v24 offset:1024
	s_waitcnt lgkmcnt(0)
	v_mul_f64 v[6:7], v[36:37], v[4:5]
	v_mul_f64 v[8:9], v[34:35], v[4:5]
	v_fma_f64 v[6:7], v[34:35], v[2:3], -v[6:7]
	v_fma_f64 v[8:9], v[36:37], v[2:3], v[8:9]
	v_add_f64 v[42:43], v[46:47], v[6:7]
	v_add_f64 v[44:45], v[8:9], v[48:49]
	ds_read_b128 v[6:9], v24 offset:1280
	s_waitcnt lgkmcnt(0)
	v_mul_f64 v[10:11], v[36:37], v[8:9]
	v_mul_f64 v[12:13], v[34:35], v[8:9]
	v_fma_f64 v[10:11], v[34:35], v[6:7], -v[10:11]
	v_fma_f64 v[12:13], v[36:37], v[6:7], v[12:13]
	v_add_f64 v[28:29], v[28:29], v[10:11]
	v_add_f64 v[26:27], v[12:13], v[26:27]
	ds_read_b128 v[10:13], v25 offset:2080
	s_waitcnt lgkmcnt(0)
	v_mul_f64 v[34:35], v[12:13], v[4:5]
	v_mul_f64 v[4:5], v[10:11], v[4:5]
	v_fma_f64 v[34:35], v[10:11], v[2:3], -v[34:35]
	v_fma_f64 v[2:3], v[12:13], v[2:3], v[4:5]
	v_mul_f64 v[4:5], v[10:11], v[8:9]
	v_add_f64 v[14:15], v[14:15], v[34:35]
	v_add_f64 v[16:17], v[2:3], v[16:17]
	v_mul_f64 v[2:3], v[12:13], v[8:9]
	v_fma_f64 v[4:5], v[12:13], v[6:7], v[4:5]
	v_fma_f64 v[2:3], v[10:11], v[6:7], -v[2:3]
	v_add_f64 v[32:33], v[4:5], v[32:33]
	;; [unrolled: 30-line block ×3, first 2 shown]
	v_add_f64 v[30:31], v[30:31], v[2:3]
	ds_read_b128 v[2:5], v25 offset:64
	ds_read_b128 v[6:9], v24 offset:2048
	s_waitcnt lgkmcnt(0)
	v_mul_f64 v[10:11], v[4:5], v[8:9]
	v_mul_f64 v[12:13], v[2:3], v[8:9]
	v_fma_f64 v[10:11], v[2:3], v[6:7], -v[10:11]
	v_fma_f64 v[12:13], v[4:5], v[6:7], v[12:13]
	v_add_f64 v[34:35], v[34:35], v[10:11]
	v_add_f64 v[36:37], v[12:13], v[36:37]
	ds_read_b128 v[10:13], v24 offset:2304
	s_waitcnt lgkmcnt(0)
	v_mul_f64 v[38:39], v[4:5], v[12:13]
	v_fma_f64 v[38:39], v[2:3], v[10:11], -v[38:39]
	v_mul_f64 v[2:3], v[2:3], v[12:13]
	v_add_f64 v[28:29], v[28:29], v[38:39]
	v_fma_f64 v[2:3], v[4:5], v[10:11], v[2:3]
	v_add_f64 v[26:27], v[2:3], v[26:27]
	ds_read_b128 v[2:5], v25 offset:2112
	s_waitcnt lgkmcnt(0)
	v_mul_f64 v[38:39], v[4:5], v[8:9]
	v_mul_f64 v[8:9], v[2:3], v[8:9]
	v_fma_f64 v[38:39], v[2:3], v[6:7], -v[38:39]
	v_fma_f64 v[6:7], v[4:5], v[6:7], v[8:9]
	v_add_f64 v[14:15], v[14:15], v[38:39]
	v_add_f64 v[16:17], v[6:7], v[16:17]
	v_mul_f64 v[6:7], v[4:5], v[12:13]
	v_fma_f64 v[6:7], v[2:3], v[10:11], -v[6:7]
	v_mul_f64 v[2:3], v[2:3], v[12:13]
	v_add_f64 v[30:31], v[30:31], v[6:7]
	v_fma_f64 v[2:3], v[4:5], v[10:11], v[2:3]
	v_add_f64 v[32:33], v[2:3], v[32:33]
	ds_read_b128 v[2:5], v25 offset:80
	ds_read_b128 v[6:9], v24 offset:2560
	s_waitcnt lgkmcnt(0)
	v_mul_f64 v[10:11], v[4:5], v[8:9]
	v_mul_f64 v[12:13], v[2:3], v[8:9]
	v_fma_f64 v[10:11], v[2:3], v[6:7], -v[10:11]
	v_fma_f64 v[12:13], v[4:5], v[6:7], v[12:13]
	v_add_f64 v[34:35], v[34:35], v[10:11]
	v_add_f64 v[36:37], v[12:13], v[36:37]
	ds_read_b128 v[10:13], v24 offset:2816
	s_waitcnt lgkmcnt(0)
	v_mul_f64 v[38:39], v[4:5], v[12:13]
	v_fma_f64 v[38:39], v[2:3], v[10:11], -v[38:39]
	v_mul_f64 v[2:3], v[2:3], v[12:13]
	v_add_f64 v[28:29], v[28:29], v[38:39]
	v_fma_f64 v[2:3], v[4:5], v[10:11], v[2:3]
	v_add_f64 v[26:27], v[2:3], v[26:27]
	ds_read_b128 v[2:5], v25 offset:2128
	s_waitcnt lgkmcnt(0)
	v_mul_f64 v[38:39], v[4:5], v[8:9]
	v_mul_f64 v[8:9], v[2:3], v[8:9]
	v_fma_f64 v[38:39], v[2:3], v[6:7], -v[38:39]
	v_fma_f64 v[6:7], v[4:5], v[6:7], v[8:9]
	v_add_f64 v[14:15], v[14:15], v[38:39]
	v_add_f64 v[16:17], v[6:7], v[16:17]
	v_mul_f64 v[6:7], v[4:5], v[12:13]
	v_fma_f64 v[6:7], v[2:3], v[10:11], -v[6:7]
	v_mul_f64 v[2:3], v[2:3], v[12:13]
	v_add_f64 v[30:31], v[30:31], v[6:7]
	v_fma_f64 v[2:3], v[4:5], v[10:11], v[2:3]
	;; [unrolled: 31-line block ×3, first 2 shown]
	v_add_f64 v[44:45], v[2:3], v[32:33]
	ds_read_b128 v[2:5], v25 offset:112
	ds_read_b128 v[6:9], v24 offset:3584
	;; [unrolled: 1-line block ×3, first 2 shown]
	s_waitcnt lgkmcnt(1)
	v_mul_f64 v[10:11], v[4:5], v[8:9]
	s_waitcnt lgkmcnt(0)
	v_mul_f64 v[30:31], v[4:5], v[28:29]
	v_mul_f64 v[12:13], v[2:3], v[8:9]
	v_fma_f64 v[10:11], v[2:3], v[6:7], -v[10:11]
	v_fma_f64 v[30:31], v[2:3], v[26:27], -v[30:31]
	v_mul_f64 v[2:3], v[2:3], v[28:29]
	v_fma_f64 v[12:13], v[4:5], v[6:7], v[12:13]
	v_add_f64 v[10:11], v[34:35], v[10:11]
	v_fma_f64 v[4:5], v[4:5], v[26:27], v[2:3]
	v_add_f64 v[2:3], v[38:39], v[30:31]
	ds_read_b128 v[30:33], v25 offset:2160
	v_add_f64 v[12:13], v[12:13], v[36:37]
	s_waitcnt lgkmcnt(0)
	s_barrier
	v_mul_f64 v[34:35], v[32:33], v[8:9]
	v_mul_f64 v[8:9], v[30:31], v[8:9]
	v_add_f64 v[4:5], v[4:5], v[40:41]
	v_fma_f64 v[34:35], v[30:31], v[6:7], -v[34:35]
	v_fma_f64 v[6:7], v[32:33], v[6:7], v[8:9]
	v_mul_f64 v[8:9], v[30:31], v[28:29]
	v_add_f64 v[14:15], v[14:15], v[34:35]
	v_add_f64 v[16:17], v[6:7], v[16:17]
	v_mul_f64 v[6:7], v[32:33], v[28:29]
	v_fma_f64 v[8:9], v[32:33], v[26:27], v[8:9]
	v_fma_f64 v[6:7], v[30:31], v[26:27], -v[6:7]
	v_add_f64 v[8:9], v[8:9], v[44:45]
	v_mov_b32_e32 v27, s1
	v_mov_b32_e32 v26, s0
	v_cmp_le_u64_e32 vcc, s[12:13], v[26:27]
	v_add_f64 v[6:7], v[42:43], v[6:7]
	s_cbranch_vccz .LBB1635_2
	s_branch .LBB1635_4
.LBB1635_3:
	v_mov_b32_e32 v10, 0
	v_mov_b32_e32 v12, 0
	;; [unrolled: 1-line block ×16, first 2 shown]
.LBB1635_4:
	v_add_u32_e32 v18, s7, v1
	v_ashrrev_i32_e32 v1, 31, v18
	v_mul_lo_u32 v1, s2, v1
	v_mul_lo_u32 v21, s3, v18
	v_mad_u64_u32 v[19:20], s[0:1], s2, v18, 0
	s_load_dword s10, s[4:5], 0x0
	v_add_u32_e32 v0, s6, v0
	v_add3_u32 v20, v20, v1, v21
	v_lshlrev_b64 v[19:20], 4, v[19:20]
	s_waitcnt lgkmcnt(0)
	v_mov_b32_e32 v1, s9
	v_add_co_u32_e64 v19, s[0:1], s8, v19
	v_addc_co_u32_e64 v20, s[0:1], v1, v20, s[0:1]
	v_cmp_gt_i32_e32 vcc, s10, v18
	v_cmp_le_i32_e64 s[0:1], v0, v18
	s_and_b64 s[0:1], vcc, s[0:1]
	s_and_saveexec_b64 s[4:5], s[0:1]
	s_cbranch_execz .LBB1635_6
; %bb.5:
	v_ashrrev_i32_e32 v1, 31, v0
	v_lshlrev_b64 v[21:22], 4, v[0:1]
	v_add_co_u32_e64 v21, s[0:1], v19, v21
	v_addc_co_u32_e64 v22, s[0:1], v20, v22, s[0:1]
	flat_store_dwordx4 v[21:22], v[10:13]
.LBB1635_6:
	s_or_b64 exec, exec, s[4:5]
	v_add_u32_e32 v10, 16, v0
	v_cmp_le_i32_e64 s[0:1], v10, v18
	s_and_b64 s[4:5], vcc, s[0:1]
	s_and_saveexec_b64 s[0:1], s[4:5]
	s_cbranch_execz .LBB1635_8
; %bb.7:
	v_ashrrev_i32_e32 v11, 31, v10
	v_lshlrev_b64 v[11:12], 4, v[10:11]
	v_add_co_u32_e32 v11, vcc, v19, v11
	v_addc_co_u32_e32 v12, vcc, v20, v12, vcc
	flat_store_dwordx4 v[11:12], v[2:5]
.LBB1635_8:
	s_or_b64 exec, exec, s[0:1]
	v_add_u32_e32 v2, 16, v18
	v_ashrrev_i32_e32 v1, 31, v2
	v_mul_lo_u32 v1, s2, v1
	v_mul_lo_u32 v5, s3, v2
	v_mad_u64_u32 v[3:4], s[0:1], s2, v2, 0
	v_cmp_gt_i32_e32 vcc, s10, v2
	v_add3_u32 v4, v4, v1, v5
	v_lshlrev_b64 v[3:4], 4, v[3:4]
	v_mov_b32_e32 v1, s9
	v_add_co_u32_e64 v3, s[0:1], s8, v3
	v_addc_co_u32_e64 v4, s[0:1], v1, v4, s[0:1]
	v_cmp_le_i32_e64 s[0:1], v0, v2
	s_and_b64 s[0:1], vcc, s[0:1]
	s_and_saveexec_b64 s[2:3], s[0:1]
	s_cbranch_execz .LBB1635_10
; %bb.9:
	v_ashrrev_i32_e32 v1, 31, v0
	v_lshlrev_b64 v[0:1], 4, v[0:1]
	v_add_co_u32_e64 v0, s[0:1], v3, v0
	v_addc_co_u32_e64 v1, s[0:1], v4, v1, s[0:1]
	flat_store_dwordx4 v[0:1], v[14:17]
.LBB1635_10:
	s_or_b64 exec, exec, s[2:3]
	v_cmp_le_i32_e64 s[0:1], v10, v2
	s_and_b64 s[0:1], vcc, s[0:1]
	s_and_saveexec_b64 s[2:3], s[0:1]
	s_cbranch_execz .LBB1635_12
; %bb.11:
	v_ashrrev_i32_e32 v11, 31, v10
	v_lshlrev_b64 v[0:1], 4, v[10:11]
	v_add_co_u32_e32 v0, vcc, v3, v0
	v_addc_co_u32_e32 v1, vcc, v4, v1, vcc
	flat_store_dwordx4 v[0:1], v[6:9]
.LBB1635_12:
	s_endpgm
	.section	.rodata,"a",@progbits
	.p2align	6, 0x0
	.amdhsa_kernel _ZL37rocblas_syrkx_herkx_restricted_kernelIl19rocblas_complex_numIdELi16ELi32ELi8ELi1ELi0ELb0ELc67ELc85EKPKS1_KPS1_EviT_PT9_S7_lS9_S7_lPT10_S7_li
		.amdhsa_group_segment_fixed_size 8192
		.amdhsa_private_segment_fixed_size 0
		.amdhsa_kernarg_size 92
		.amdhsa_user_sgpr_count 6
		.amdhsa_user_sgpr_private_segment_buffer 1
		.amdhsa_user_sgpr_dispatch_ptr 0
		.amdhsa_user_sgpr_queue_ptr 0
		.amdhsa_user_sgpr_kernarg_segment_ptr 1
		.amdhsa_user_sgpr_dispatch_id 0
		.amdhsa_user_sgpr_flat_scratch_init 0
		.amdhsa_user_sgpr_private_segment_size 0
		.amdhsa_uses_dynamic_stack 0
		.amdhsa_system_sgpr_private_segment_wavefront_offset 0
		.amdhsa_system_sgpr_workgroup_id_x 1
		.amdhsa_system_sgpr_workgroup_id_y 1
		.amdhsa_system_sgpr_workgroup_id_z 1
		.amdhsa_system_sgpr_workgroup_info 0
		.amdhsa_system_vgpr_workitem_id 1
		.amdhsa_next_free_vgpr 52
		.amdhsa_next_free_sgpr 61
		.amdhsa_reserve_vcc 1
		.amdhsa_reserve_flat_scratch 0
		.amdhsa_float_round_mode_32 0
		.amdhsa_float_round_mode_16_64 0
		.amdhsa_float_denorm_mode_32 3
		.amdhsa_float_denorm_mode_16_64 3
		.amdhsa_dx10_clamp 1
		.amdhsa_ieee_mode 1
		.amdhsa_fp16_overflow 0
		.amdhsa_exception_fp_ieee_invalid_op 0
		.amdhsa_exception_fp_denorm_src 0
		.amdhsa_exception_fp_ieee_div_zero 0
		.amdhsa_exception_fp_ieee_overflow 0
		.amdhsa_exception_fp_ieee_underflow 0
		.amdhsa_exception_fp_ieee_inexact 0
		.amdhsa_exception_int_div_zero 0
	.end_amdhsa_kernel
	.section	.text._ZL37rocblas_syrkx_herkx_restricted_kernelIl19rocblas_complex_numIdELi16ELi32ELi8ELi1ELi0ELb0ELc67ELc85EKPKS1_KPS1_EviT_PT9_S7_lS9_S7_lPT10_S7_li,"axG",@progbits,_ZL37rocblas_syrkx_herkx_restricted_kernelIl19rocblas_complex_numIdELi16ELi32ELi8ELi1ELi0ELb0ELc67ELc85EKPKS1_KPS1_EviT_PT9_S7_lS9_S7_lPT10_S7_li,comdat
.Lfunc_end1635:
	.size	_ZL37rocblas_syrkx_herkx_restricted_kernelIl19rocblas_complex_numIdELi16ELi32ELi8ELi1ELi0ELb0ELc67ELc85EKPKS1_KPS1_EviT_PT9_S7_lS9_S7_lPT10_S7_li, .Lfunc_end1635-_ZL37rocblas_syrkx_herkx_restricted_kernelIl19rocblas_complex_numIdELi16ELi32ELi8ELi1ELi0ELb0ELc67ELc85EKPKS1_KPS1_EviT_PT9_S7_lS9_S7_lPT10_S7_li
                                        ; -- End function
	.set _ZL37rocblas_syrkx_herkx_restricted_kernelIl19rocblas_complex_numIdELi16ELi32ELi8ELi1ELi0ELb0ELc67ELc85EKPKS1_KPS1_EviT_PT9_S7_lS9_S7_lPT10_S7_li.num_vgpr, 52
	.set _ZL37rocblas_syrkx_herkx_restricted_kernelIl19rocblas_complex_numIdELi16ELi32ELi8ELi1ELi0ELb0ELc67ELc85EKPKS1_KPS1_EviT_PT9_S7_lS9_S7_lPT10_S7_li.num_agpr, 0
	.set _ZL37rocblas_syrkx_herkx_restricted_kernelIl19rocblas_complex_numIdELi16ELi32ELi8ELi1ELi0ELb0ELc67ELc85EKPKS1_KPS1_EviT_PT9_S7_lS9_S7_lPT10_S7_li.numbered_sgpr, 20
	.set _ZL37rocblas_syrkx_herkx_restricted_kernelIl19rocblas_complex_numIdELi16ELi32ELi8ELi1ELi0ELb0ELc67ELc85EKPKS1_KPS1_EviT_PT9_S7_lS9_S7_lPT10_S7_li.num_named_barrier, 0
	.set _ZL37rocblas_syrkx_herkx_restricted_kernelIl19rocblas_complex_numIdELi16ELi32ELi8ELi1ELi0ELb0ELc67ELc85EKPKS1_KPS1_EviT_PT9_S7_lS9_S7_lPT10_S7_li.private_seg_size, 0
	.set _ZL37rocblas_syrkx_herkx_restricted_kernelIl19rocblas_complex_numIdELi16ELi32ELi8ELi1ELi0ELb0ELc67ELc85EKPKS1_KPS1_EviT_PT9_S7_lS9_S7_lPT10_S7_li.uses_vcc, 1
	.set _ZL37rocblas_syrkx_herkx_restricted_kernelIl19rocblas_complex_numIdELi16ELi32ELi8ELi1ELi0ELb0ELc67ELc85EKPKS1_KPS1_EviT_PT9_S7_lS9_S7_lPT10_S7_li.uses_flat_scratch, 0
	.set _ZL37rocblas_syrkx_herkx_restricted_kernelIl19rocblas_complex_numIdELi16ELi32ELi8ELi1ELi0ELb0ELc67ELc85EKPKS1_KPS1_EviT_PT9_S7_lS9_S7_lPT10_S7_li.has_dyn_sized_stack, 0
	.set _ZL37rocblas_syrkx_herkx_restricted_kernelIl19rocblas_complex_numIdELi16ELi32ELi8ELi1ELi0ELb0ELc67ELc85EKPKS1_KPS1_EviT_PT9_S7_lS9_S7_lPT10_S7_li.has_recursion, 0
	.set _ZL37rocblas_syrkx_herkx_restricted_kernelIl19rocblas_complex_numIdELi16ELi32ELi8ELi1ELi0ELb0ELc67ELc85EKPKS1_KPS1_EviT_PT9_S7_lS9_S7_lPT10_S7_li.has_indirect_call, 0
	.section	.AMDGPU.csdata,"",@progbits
; Kernel info:
; codeLenInByte = 2840
; TotalNumSgprs: 24
; NumVgprs: 52
; ScratchSize: 0
; MemoryBound: 0
; FloatMode: 240
; IeeeMode: 1
; LDSByteSize: 8192 bytes/workgroup (compile time only)
; SGPRBlocks: 8
; VGPRBlocks: 12
; NumSGPRsForWavesPerEU: 65
; NumVGPRsForWavesPerEU: 52
; Occupancy: 4
; WaveLimiterHint : 1
; COMPUTE_PGM_RSRC2:SCRATCH_EN: 0
; COMPUTE_PGM_RSRC2:USER_SGPR: 6
; COMPUTE_PGM_RSRC2:TRAP_HANDLER: 0
; COMPUTE_PGM_RSRC2:TGID_X_EN: 1
; COMPUTE_PGM_RSRC2:TGID_Y_EN: 1
; COMPUTE_PGM_RSRC2:TGID_Z_EN: 1
; COMPUTE_PGM_RSRC2:TIDIG_COMP_CNT: 1
	.section	.text._ZL37rocblas_syrkx_herkx_restricted_kernelIl19rocblas_complex_numIdELi16ELi32ELi8ELi1ELi0ELb0ELc78ELc85EKPKS1_KPS1_EviT_PT9_S7_lS9_S7_lPT10_S7_li,"axG",@progbits,_ZL37rocblas_syrkx_herkx_restricted_kernelIl19rocblas_complex_numIdELi16ELi32ELi8ELi1ELi0ELb0ELc78ELc85EKPKS1_KPS1_EviT_PT9_S7_lS9_S7_lPT10_S7_li,comdat
	.globl	_ZL37rocblas_syrkx_herkx_restricted_kernelIl19rocblas_complex_numIdELi16ELi32ELi8ELi1ELi0ELb0ELc78ELc85EKPKS1_KPS1_EviT_PT9_S7_lS9_S7_lPT10_S7_li ; -- Begin function _ZL37rocblas_syrkx_herkx_restricted_kernelIl19rocblas_complex_numIdELi16ELi32ELi8ELi1ELi0ELb0ELc78ELc85EKPKS1_KPS1_EviT_PT9_S7_lS9_S7_lPT10_S7_li
	.p2align	8
	.type	_ZL37rocblas_syrkx_herkx_restricted_kernelIl19rocblas_complex_numIdELi16ELi32ELi8ELi1ELi0ELb0ELc78ELc85EKPKS1_KPS1_EviT_PT9_S7_lS9_S7_lPT10_S7_li,@function
_ZL37rocblas_syrkx_herkx_restricted_kernelIl19rocblas_complex_numIdELi16ELi32ELi8ELi1ELi0ELb0ELc78ELc85EKPKS1_KPS1_EviT_PT9_S7_lS9_S7_lPT10_S7_li: ; @_ZL37rocblas_syrkx_herkx_restricted_kernelIl19rocblas_complex_numIdELi16ELi32ELi8ELi1ELi0ELb0ELc78ELc85EKPKS1_KPS1_EviT_PT9_S7_lS9_S7_lPT10_S7_li
; %bb.0:
	s_load_dwordx4 s[0:3], s[4:5], 0x40
	s_load_dwordx4 s[12:15], s[4:5], 0x8
	s_mov_b32 s9, 0
	s_lshl_b64 s[18:19], s[8:9], 3
	s_waitcnt lgkmcnt(0)
	s_add_u32 s0, s0, s18
	s_addc_u32 s1, s1, s19
	s_load_dwordx2 s[16:17], s[0:1], 0x0
	v_cmp_lt_i64_e64 s[0:1], s[12:13], 1
	s_lshl_b32 s20, s6, 5
	s_lshl_b32 s21, s7, 5
	s_and_b64 vcc, exec, s[0:1]
	s_cbranch_vccnz .LBB1636_3
; %bb.1:
	s_load_dwordx2 s[0:1], s[4:5], 0x18
	s_load_dwordx4 s[8:11], s[4:5], 0x28
	v_lshl_add_u32 v5, v1, 4, v0
	v_lshrrev_b32_e32 v7, 3, v5
	v_add_u32_e32 v2, s21, v7
	v_and_b32_e32 v6, 7, v0
	v_ashrrev_i32_e32 v3, 31, v2
	s_waitcnt lgkmcnt(0)
	v_mad_u64_u32 v[2:3], s[6:7], s10, v6, v[2:3]
	s_add_u32 s6, s14, s18
	s_addc_u32 s7, s15, s19
	v_mad_u64_u32 v[3:4], s[14:15], s11, v6, v[3:4]
	v_and_b32_e32 v4, 31, v5
	v_lshrrev_b32_e32 v8, 5, v5
	v_lshlrev_b32_e32 v5, 4, v4
	v_add_u32_e32 v4, s20, v4
	v_lshl_or_b32 v22, v8, 9, v5
	v_ashrrev_i32_e32 v5, 31, v4
	v_mad_u64_u32 v[4:5], s[14:15], s0, v8, v[4:5]
	v_lshlrev_b32_e32 v6, 4, v6
	v_lshl_or_b32 v6, v7, 7, v6
	v_add_u32_e32 v23, 0x1000, v6
	v_mad_u64_u32 v[5:6], s[14:15], s1, v8, v[5:6]
	s_load_dwordx2 s[6:7], s[6:7], 0x0
	s_add_u32 s8, s8, s18
	s_addc_u32 s9, s9, s19
	s_load_dwordx2 s[8:9], s[8:9], 0x0
	v_lshlrev_b64 v[4:5], 4, v[4:5]
	v_mov_b32_e32 v6, 0x1000
	v_lshl_add_u32 v25, v1, 7, v6
	s_waitcnt lgkmcnt(0)
	v_mov_b32_e32 v6, s7
	v_add_co_u32_e32 v18, vcc, s6, v4
	v_lshlrev_b64 v[2:3], 4, v[2:3]
	v_addc_co_u32_e32 v19, vcc, v6, v5, vcc
	v_mov_b32_e32 v4, s9
	v_add_co_u32_e32 v20, vcc, s8, v2
	s_lshl_b64 s[0:1], s[0:1], 7
	v_addc_co_u32_e32 v21, vcc, v4, v3, vcc
	s_lshl_b64 s[6:7], s[10:11], 7
	v_mov_b32_e32 v8, 0
	v_mov_b32_e32 v6, 0
	;; [unrolled: 1-line block ×8, first 2 shown]
	v_lshlrev_b32_e32 v24, 4, v0
	v_mov_b32_e32 v9, 0
	s_mov_b64 s[8:9], 0
	v_mov_b32_e32 v26, s1
	v_mov_b32_e32 v7, 0
	;; [unrolled: 1-line block ×9, first 2 shown]
.LBB1636_2:                             ; =>This Inner Loop Header: Depth=1
	flat_load_dwordx4 v[28:31], v[18:19]
	s_add_u32 s8, s8, 8
	v_add_co_u32_e32 v18, vcc, s0, v18
	s_addc_u32 s9, s9, 0
	v_addc_co_u32_e32 v19, vcc, v19, v26, vcc
	s_waitcnt vmcnt(0) lgkmcnt(0)
	ds_write_b128 v22, v[28:31]
	flat_load_dwordx4 v[28:31], v[20:21]
	v_add_co_u32_e32 v20, vcc, s6, v20
	v_addc_co_u32_e32 v21, vcc, v21, v27, vcc
	s_waitcnt vmcnt(0) lgkmcnt(0)
	ds_write_b128 v23, v[28:31]
	s_waitcnt lgkmcnt(0)
	s_barrier
	ds_read_b128 v[28:31], v25
	ds_read_b128 v[32:35], v25 offset:16
	ds_read_b128 v[36:39], v25 offset:32
	;; [unrolled: 1-line block ×3, first 2 shown]
	ds_read_b128 v[44:47], v24
	s_waitcnt lgkmcnt(0)
	v_mul_f64 v[48:49], v[30:31], v[46:47]
	v_mul_f64 v[50:51], v[28:29], v[46:47]
	v_fma_f64 v[48:49], v[28:29], v[44:45], -v[48:49]
	v_fma_f64 v[50:51], v[30:31], v[44:45], v[50:51]
	v_add_f64 v[48:49], v[14:15], v[48:49]
	v_add_f64 v[50:51], v[50:51], v[16:17]
	ds_read_b128 v[14:17], v24 offset:256
	s_waitcnt lgkmcnt(0)
	v_mul_f64 v[52:53], v[30:31], v[16:17]
	v_fma_f64 v[52:53], v[28:29], v[14:15], -v[52:53]
	v_mul_f64 v[28:29], v[28:29], v[16:17]
	v_fma_f64 v[28:29], v[30:31], v[14:15], v[28:29]
	v_add_f64 v[30:31], v[2:3], v[52:53]
	v_add_f64 v[28:29], v[28:29], v[4:5]
	ds_read_b128 v[2:5], v25 offset:2048
	s_waitcnt lgkmcnt(0)
	v_mul_f64 v[52:53], v[4:5], v[46:47]
	v_mul_f64 v[46:47], v[2:3], v[46:47]
	v_fma_f64 v[52:53], v[2:3], v[44:45], -v[52:53]
	v_fma_f64 v[44:45], v[4:5], v[44:45], v[46:47]
	v_add_f64 v[46:47], v[10:11], v[52:53]
	v_mul_f64 v[10:11], v[4:5], v[16:17]
	v_add_f64 v[44:45], v[44:45], v[12:13]
	v_fma_f64 v[10:11], v[2:3], v[14:15], -v[10:11]
	v_mul_f64 v[2:3], v[2:3], v[16:17]
	v_fma_f64 v[2:3], v[4:5], v[14:15], v[2:3]
	v_add_f64 v[14:15], v[6:7], v[10:11]
	v_add_f64 v[16:17], v[2:3], v[8:9]
	ds_read_b128 v[2:5], v24 offset:512
	s_waitcnt lgkmcnt(0)
	v_mul_f64 v[6:7], v[34:35], v[4:5]
	v_mul_f64 v[8:9], v[32:33], v[4:5]
	v_fma_f64 v[6:7], v[32:33], v[2:3], -v[6:7]
	v_fma_f64 v[8:9], v[34:35], v[2:3], v[8:9]
	v_add_f64 v[48:49], v[48:49], v[6:7]
	v_add_f64 v[50:51], v[8:9], v[50:51]
	ds_read_b128 v[6:9], v24 offset:768
	s_waitcnt lgkmcnt(0)
	v_mul_f64 v[10:11], v[34:35], v[8:9]
	v_mul_f64 v[12:13], v[32:33], v[8:9]
	v_fma_f64 v[10:11], v[32:33], v[6:7], -v[10:11]
	;; [unrolled: 8-line block ×3, first 2 shown]
	v_fma_f64 v[2:3], v[12:13], v[2:3], v[4:5]
	v_mul_f64 v[4:5], v[10:11], v[8:9]
	v_add_f64 v[32:33], v[46:47], v[32:33]
	v_add_f64 v[34:35], v[2:3], v[44:45]
	v_mul_f64 v[2:3], v[12:13], v[8:9]
	v_fma_f64 v[4:5], v[12:13], v[6:7], v[4:5]
	v_fma_f64 v[2:3], v[10:11], v[6:7], -v[2:3]
	v_add_f64 v[16:17], v[4:5], v[16:17]
	v_add_f64 v[14:15], v[14:15], v[2:3]
	ds_read_b128 v[2:5], v24 offset:1024
	s_waitcnt lgkmcnt(0)
	v_mul_f64 v[6:7], v[38:39], v[4:5]
	v_mul_f64 v[8:9], v[36:37], v[4:5]
	v_fma_f64 v[6:7], v[36:37], v[2:3], -v[6:7]
	v_fma_f64 v[8:9], v[38:39], v[2:3], v[8:9]
	v_add_f64 v[44:45], v[48:49], v[6:7]
	v_add_f64 v[46:47], v[8:9], v[50:51]
	ds_read_b128 v[6:9], v24 offset:1280
	s_waitcnt lgkmcnt(0)
	v_mul_f64 v[10:11], v[38:39], v[8:9]
	v_mul_f64 v[12:13], v[36:37], v[8:9]
	v_fma_f64 v[10:11], v[36:37], v[6:7], -v[10:11]
	v_fma_f64 v[12:13], v[38:39], v[6:7], v[12:13]
	;; [unrolled: 8-line block ×3, first 2 shown]
	v_mul_f64 v[4:5], v[10:11], v[8:9]
	v_add_f64 v[32:33], v[32:33], v[36:37]
	v_add_f64 v[34:35], v[2:3], v[34:35]
	v_mul_f64 v[2:3], v[12:13], v[8:9]
	v_fma_f64 v[4:5], v[12:13], v[6:7], v[4:5]
	v_fma_f64 v[2:3], v[10:11], v[6:7], -v[2:3]
	v_add_f64 v[16:17], v[4:5], v[16:17]
	v_add_f64 v[14:15], v[14:15], v[2:3]
	ds_read_b128 v[2:5], v24 offset:1536
	s_waitcnt lgkmcnt(0)
	v_mul_f64 v[6:7], v[42:43], v[4:5]
	v_mul_f64 v[8:9], v[40:41], v[4:5]
	v_fma_f64 v[6:7], v[40:41], v[2:3], -v[6:7]
	v_fma_f64 v[8:9], v[42:43], v[2:3], v[8:9]
	v_add_f64 v[36:37], v[44:45], v[6:7]
	v_add_f64 v[38:39], v[8:9], v[46:47]
	ds_read_b128 v[6:9], v24 offset:1792
	s_waitcnt lgkmcnt(0)
	v_mul_f64 v[10:11], v[42:43], v[8:9]
	v_mul_f64 v[12:13], v[40:41], v[8:9]
	v_fma_f64 v[10:11], v[40:41], v[6:7], -v[10:11]
	v_fma_f64 v[12:13], v[42:43], v[6:7], v[12:13]
	;; [unrolled: 8-line block ×3, first 2 shown]
	v_mul_f64 v[4:5], v[10:11], v[8:9]
	v_add_f64 v[32:33], v[32:33], v[40:41]
	v_add_f64 v[34:35], v[2:3], v[34:35]
	v_mul_f64 v[2:3], v[12:13], v[8:9]
	v_fma_f64 v[4:5], v[12:13], v[6:7], v[4:5]
	v_fma_f64 v[2:3], v[10:11], v[6:7], -v[2:3]
	v_add_f64 v[16:17], v[4:5], v[16:17]
	v_add_f64 v[14:15], v[14:15], v[2:3]
	ds_read_b128 v[2:5], v25 offset:64
	ds_read_b128 v[6:9], v24 offset:2048
	s_waitcnt lgkmcnt(0)
	v_mul_f64 v[10:11], v[4:5], v[8:9]
	v_mul_f64 v[12:13], v[2:3], v[8:9]
	v_fma_f64 v[10:11], v[2:3], v[6:7], -v[10:11]
	v_fma_f64 v[12:13], v[4:5], v[6:7], v[12:13]
	v_add_f64 v[36:37], v[36:37], v[10:11]
	v_add_f64 v[38:39], v[12:13], v[38:39]
	ds_read_b128 v[10:13], v24 offset:2304
	s_waitcnt lgkmcnt(0)
	v_mul_f64 v[40:41], v[4:5], v[12:13]
	v_fma_f64 v[40:41], v[2:3], v[10:11], -v[40:41]
	v_mul_f64 v[2:3], v[2:3], v[12:13]
	v_add_f64 v[30:31], v[30:31], v[40:41]
	v_fma_f64 v[2:3], v[4:5], v[10:11], v[2:3]
	v_add_f64 v[28:29], v[2:3], v[28:29]
	ds_read_b128 v[2:5], v25 offset:2112
	s_waitcnt lgkmcnt(0)
	v_mul_f64 v[40:41], v[4:5], v[8:9]
	v_mul_f64 v[8:9], v[2:3], v[8:9]
	v_fma_f64 v[40:41], v[2:3], v[6:7], -v[40:41]
	v_fma_f64 v[6:7], v[4:5], v[6:7], v[8:9]
	v_add_f64 v[32:33], v[32:33], v[40:41]
	v_add_f64 v[34:35], v[6:7], v[34:35]
	v_mul_f64 v[6:7], v[4:5], v[12:13]
	v_fma_f64 v[6:7], v[2:3], v[10:11], -v[6:7]
	v_mul_f64 v[2:3], v[2:3], v[12:13]
	v_add_f64 v[14:15], v[14:15], v[6:7]
	v_fma_f64 v[2:3], v[4:5], v[10:11], v[2:3]
	v_add_f64 v[16:17], v[2:3], v[16:17]
	ds_read_b128 v[2:5], v25 offset:80
	ds_read_b128 v[6:9], v24 offset:2560
	s_waitcnt lgkmcnt(0)
	v_mul_f64 v[10:11], v[4:5], v[8:9]
	v_mul_f64 v[12:13], v[2:3], v[8:9]
	v_fma_f64 v[10:11], v[2:3], v[6:7], -v[10:11]
	v_fma_f64 v[12:13], v[4:5], v[6:7], v[12:13]
	v_add_f64 v[36:37], v[36:37], v[10:11]
	v_add_f64 v[38:39], v[12:13], v[38:39]
	ds_read_b128 v[10:13], v24 offset:2816
	s_waitcnt lgkmcnt(0)
	v_mul_f64 v[40:41], v[4:5], v[12:13]
	v_fma_f64 v[40:41], v[2:3], v[10:11], -v[40:41]
	v_mul_f64 v[2:3], v[2:3], v[12:13]
	v_add_f64 v[30:31], v[30:31], v[40:41]
	v_fma_f64 v[2:3], v[4:5], v[10:11], v[2:3]
	v_add_f64 v[28:29], v[2:3], v[28:29]
	ds_read_b128 v[2:5], v25 offset:2128
	s_waitcnt lgkmcnt(0)
	v_mul_f64 v[40:41], v[4:5], v[8:9]
	v_mul_f64 v[8:9], v[2:3], v[8:9]
	v_fma_f64 v[40:41], v[2:3], v[6:7], -v[40:41]
	v_fma_f64 v[6:7], v[4:5], v[6:7], v[8:9]
	v_add_f64 v[32:33], v[32:33], v[40:41]
	v_add_f64 v[34:35], v[6:7], v[34:35]
	v_mul_f64 v[6:7], v[4:5], v[12:13]
	v_fma_f64 v[6:7], v[2:3], v[10:11], -v[6:7]
	v_mul_f64 v[2:3], v[2:3], v[12:13]
	v_add_f64 v[14:15], v[14:15], v[6:7]
	v_fma_f64 v[2:3], v[4:5], v[10:11], v[2:3]
	v_add_f64 v[16:17], v[2:3], v[16:17]
	ds_read_b128 v[2:5], v25 offset:96
	ds_read_b128 v[6:9], v24 offset:3072
	s_waitcnt lgkmcnt(0)
	v_mul_f64 v[10:11], v[4:5], v[8:9]
	v_mul_f64 v[12:13], v[2:3], v[8:9]
	v_fma_f64 v[10:11], v[2:3], v[6:7], -v[10:11]
	v_fma_f64 v[12:13], v[4:5], v[6:7], v[12:13]
	v_add_f64 v[36:37], v[36:37], v[10:11]
	v_add_f64 v[38:39], v[12:13], v[38:39]
	ds_read_b128 v[10:13], v24 offset:3328
	s_waitcnt lgkmcnt(0)
	v_mul_f64 v[40:41], v[4:5], v[12:13]
	v_fma_f64 v[40:41], v[2:3], v[10:11], -v[40:41]
	v_mul_f64 v[2:3], v[2:3], v[12:13]
	v_add_f64 v[40:41], v[30:31], v[40:41]
	v_fma_f64 v[2:3], v[4:5], v[10:11], v[2:3]
	v_add_f64 v[42:43], v[2:3], v[28:29]
	ds_read_b128 v[2:5], v25 offset:2144
	s_waitcnt lgkmcnt(0)
	v_mul_f64 v[28:29], v[4:5], v[8:9]
	v_mul_f64 v[8:9], v[2:3], v[8:9]
	v_fma_f64 v[28:29], v[2:3], v[6:7], -v[28:29]
	v_fma_f64 v[6:7], v[4:5], v[6:7], v[8:9]
	v_add_f64 v[44:45], v[32:33], v[28:29]
	v_add_f64 v[46:47], v[6:7], v[34:35]
	v_mul_f64 v[6:7], v[4:5], v[12:13]
	v_fma_f64 v[6:7], v[2:3], v[10:11], -v[6:7]
	v_mul_f64 v[2:3], v[2:3], v[12:13]
	v_add_f64 v[48:49], v[14:15], v[6:7]
	v_fma_f64 v[2:3], v[4:5], v[10:11], v[2:3]
	v_add_f64 v[50:51], v[2:3], v[16:17]
	ds_read_b128 v[2:5], v25 offset:112
	ds_read_b128 v[6:9], v24 offset:3584
	;; [unrolled: 1-line block ×4, first 2 shown]
	s_waitcnt lgkmcnt(0)
	s_barrier
	v_mul_f64 v[10:11], v[4:5], v[8:9]
	v_mul_f64 v[12:13], v[2:3], v[8:9]
	v_fma_f64 v[10:11], v[2:3], v[6:7], -v[10:11]
	v_fma_f64 v[12:13], v[4:5], v[6:7], v[12:13]
	v_add_f64 v[14:15], v[36:37], v[10:11]
	v_mul_f64 v[10:11], v[4:5], v[30:31]
	v_add_f64 v[16:17], v[12:13], v[38:39]
	v_fma_f64 v[10:11], v[2:3], v[28:29], -v[10:11]
	v_mul_f64 v[2:3], v[2:3], v[30:31]
	v_fma_f64 v[4:5], v[4:5], v[28:29], v[2:3]
	v_add_f64 v[2:3], v[40:41], v[10:11]
	v_mul_f64 v[10:11], v[34:35], v[8:9]
	v_mul_f64 v[8:9], v[32:33], v[8:9]
	v_add_f64 v[4:5], v[4:5], v[42:43]
	v_fma_f64 v[10:11], v[32:33], v[6:7], -v[10:11]
	v_fma_f64 v[6:7], v[34:35], v[6:7], v[8:9]
	v_mul_f64 v[8:9], v[32:33], v[30:31]
	v_add_f64 v[10:11], v[44:45], v[10:11]
	v_add_f64 v[12:13], v[6:7], v[46:47]
	v_mul_f64 v[6:7], v[34:35], v[30:31]
	v_fma_f64 v[8:9], v[34:35], v[28:29], v[8:9]
	v_fma_f64 v[6:7], v[32:33], v[28:29], -v[6:7]
	v_add_f64 v[8:9], v[8:9], v[50:51]
	v_mov_b32_e32 v29, s9
	v_mov_b32_e32 v28, s8
	v_cmp_le_u64_e32 vcc, s[12:13], v[28:29]
	v_add_f64 v[6:7], v[48:49], v[6:7]
	s_cbranch_vccz .LBB1636_2
	s_branch .LBB1636_4
.LBB1636_3:
	v_mov_b32_e32 v14, 0
	v_mov_b32_e32 v16, 0
	;; [unrolled: 1-line block ×16, first 2 shown]
.LBB1636_4:
	v_add_u32_e32 v18, s21, v1
	v_ashrrev_i32_e32 v1, 31, v18
	v_mul_lo_u32 v1, s2, v1
	v_mul_lo_u32 v21, s3, v18
	v_mad_u64_u32 v[19:20], s[0:1], s2, v18, 0
	s_load_dword s6, s[4:5], 0x0
	v_add_u32_e32 v0, s20, v0
	v_add3_u32 v20, v20, v1, v21
	v_lshlrev_b64 v[19:20], 4, v[19:20]
	s_waitcnt lgkmcnt(0)
	v_mov_b32_e32 v1, s17
	v_add_co_u32_e64 v19, s[0:1], s16, v19
	v_addc_co_u32_e64 v20, s[0:1], v1, v20, s[0:1]
	v_cmp_gt_i32_e32 vcc, s6, v18
	v_cmp_le_i32_e64 s[0:1], v0, v18
	s_and_b64 s[0:1], vcc, s[0:1]
	s_and_saveexec_b64 s[4:5], s[0:1]
	s_cbranch_execz .LBB1636_6
; %bb.5:
	v_ashrrev_i32_e32 v1, 31, v0
	v_lshlrev_b64 v[21:22], 4, v[0:1]
	v_add_co_u32_e64 v21, s[0:1], v19, v21
	v_addc_co_u32_e64 v22, s[0:1], v20, v22, s[0:1]
	flat_store_dwordx4 v[21:22], v[14:17]
.LBB1636_6:
	s_or_b64 exec, exec, s[4:5]
	v_add_u32_e32 v14, 16, v0
	v_cmp_le_i32_e64 s[0:1], v14, v18
	s_and_b64 s[4:5], vcc, s[0:1]
	s_and_saveexec_b64 s[0:1], s[4:5]
	s_cbranch_execz .LBB1636_8
; %bb.7:
	v_ashrrev_i32_e32 v15, 31, v14
	v_lshlrev_b64 v[15:16], 4, v[14:15]
	v_add_co_u32_e32 v15, vcc, v19, v15
	v_addc_co_u32_e32 v16, vcc, v20, v16, vcc
	flat_store_dwordx4 v[15:16], v[2:5]
.LBB1636_8:
	s_or_b64 exec, exec, s[0:1]
	v_add_u32_e32 v2, 16, v18
	v_ashrrev_i32_e32 v1, 31, v2
	v_mul_lo_u32 v1, s2, v1
	v_mul_lo_u32 v5, s3, v2
	v_mad_u64_u32 v[3:4], s[0:1], s2, v2, 0
	v_cmp_gt_i32_e32 vcc, s6, v2
	v_add3_u32 v4, v4, v1, v5
	v_lshlrev_b64 v[3:4], 4, v[3:4]
	v_mov_b32_e32 v1, s17
	v_add_co_u32_e64 v3, s[0:1], s16, v3
	v_addc_co_u32_e64 v4, s[0:1], v1, v4, s[0:1]
	v_cmp_le_i32_e64 s[0:1], v0, v2
	s_and_b64 s[0:1], vcc, s[0:1]
	s_and_saveexec_b64 s[2:3], s[0:1]
	s_cbranch_execz .LBB1636_10
; %bb.9:
	v_ashrrev_i32_e32 v1, 31, v0
	v_lshlrev_b64 v[0:1], 4, v[0:1]
	v_add_co_u32_e64 v0, s[0:1], v3, v0
	v_addc_co_u32_e64 v1, s[0:1], v4, v1, s[0:1]
	flat_store_dwordx4 v[0:1], v[10:13]
.LBB1636_10:
	s_or_b64 exec, exec, s[2:3]
	v_cmp_le_i32_e64 s[0:1], v14, v2
	s_and_b64 s[0:1], vcc, s[0:1]
	s_and_saveexec_b64 s[2:3], s[0:1]
	s_cbranch_execz .LBB1636_12
; %bb.11:
	v_ashrrev_i32_e32 v15, 31, v14
	v_lshlrev_b64 v[0:1], 4, v[14:15]
	v_add_co_u32_e32 v0, vcc, v3, v0
	v_addc_co_u32_e32 v1, vcc, v4, v1, vcc
	flat_store_dwordx4 v[0:1], v[6:9]
.LBB1636_12:
	s_endpgm
	.section	.rodata,"a",@progbits
	.p2align	6, 0x0
	.amdhsa_kernel _ZL37rocblas_syrkx_herkx_restricted_kernelIl19rocblas_complex_numIdELi16ELi32ELi8ELi1ELi0ELb0ELc78ELc85EKPKS1_KPS1_EviT_PT9_S7_lS9_S7_lPT10_S7_li
		.amdhsa_group_segment_fixed_size 8192
		.amdhsa_private_segment_fixed_size 0
		.amdhsa_kernarg_size 92
		.amdhsa_user_sgpr_count 6
		.amdhsa_user_sgpr_private_segment_buffer 1
		.amdhsa_user_sgpr_dispatch_ptr 0
		.amdhsa_user_sgpr_queue_ptr 0
		.amdhsa_user_sgpr_kernarg_segment_ptr 1
		.amdhsa_user_sgpr_dispatch_id 0
		.amdhsa_user_sgpr_flat_scratch_init 0
		.amdhsa_user_sgpr_private_segment_size 0
		.amdhsa_uses_dynamic_stack 0
		.amdhsa_system_sgpr_private_segment_wavefront_offset 0
		.amdhsa_system_sgpr_workgroup_id_x 1
		.amdhsa_system_sgpr_workgroup_id_y 1
		.amdhsa_system_sgpr_workgroup_id_z 1
		.amdhsa_system_sgpr_workgroup_info 0
		.amdhsa_system_vgpr_workitem_id 1
		.amdhsa_next_free_vgpr 54
		.amdhsa_next_free_sgpr 61
		.amdhsa_reserve_vcc 1
		.amdhsa_reserve_flat_scratch 0
		.amdhsa_float_round_mode_32 0
		.amdhsa_float_round_mode_16_64 0
		.amdhsa_float_denorm_mode_32 3
		.amdhsa_float_denorm_mode_16_64 3
		.amdhsa_dx10_clamp 1
		.amdhsa_ieee_mode 1
		.amdhsa_fp16_overflow 0
		.amdhsa_exception_fp_ieee_invalid_op 0
		.amdhsa_exception_fp_denorm_src 0
		.amdhsa_exception_fp_ieee_div_zero 0
		.amdhsa_exception_fp_ieee_overflow 0
		.amdhsa_exception_fp_ieee_underflow 0
		.amdhsa_exception_fp_ieee_inexact 0
		.amdhsa_exception_int_div_zero 0
	.end_amdhsa_kernel
	.section	.text._ZL37rocblas_syrkx_herkx_restricted_kernelIl19rocblas_complex_numIdELi16ELi32ELi8ELi1ELi0ELb0ELc78ELc85EKPKS1_KPS1_EviT_PT9_S7_lS9_S7_lPT10_S7_li,"axG",@progbits,_ZL37rocblas_syrkx_herkx_restricted_kernelIl19rocblas_complex_numIdELi16ELi32ELi8ELi1ELi0ELb0ELc78ELc85EKPKS1_KPS1_EviT_PT9_S7_lS9_S7_lPT10_S7_li,comdat
.Lfunc_end1636:
	.size	_ZL37rocblas_syrkx_herkx_restricted_kernelIl19rocblas_complex_numIdELi16ELi32ELi8ELi1ELi0ELb0ELc78ELc85EKPKS1_KPS1_EviT_PT9_S7_lS9_S7_lPT10_S7_li, .Lfunc_end1636-_ZL37rocblas_syrkx_herkx_restricted_kernelIl19rocblas_complex_numIdELi16ELi32ELi8ELi1ELi0ELb0ELc78ELc85EKPKS1_KPS1_EviT_PT9_S7_lS9_S7_lPT10_S7_li
                                        ; -- End function
	.set _ZL37rocblas_syrkx_herkx_restricted_kernelIl19rocblas_complex_numIdELi16ELi32ELi8ELi1ELi0ELb0ELc78ELc85EKPKS1_KPS1_EviT_PT9_S7_lS9_S7_lPT10_S7_li.num_vgpr, 54
	.set _ZL37rocblas_syrkx_herkx_restricted_kernelIl19rocblas_complex_numIdELi16ELi32ELi8ELi1ELi0ELb0ELc78ELc85EKPKS1_KPS1_EviT_PT9_S7_lS9_S7_lPT10_S7_li.num_agpr, 0
	.set _ZL37rocblas_syrkx_herkx_restricted_kernelIl19rocblas_complex_numIdELi16ELi32ELi8ELi1ELi0ELb0ELc78ELc85EKPKS1_KPS1_EviT_PT9_S7_lS9_S7_lPT10_S7_li.numbered_sgpr, 22
	.set _ZL37rocblas_syrkx_herkx_restricted_kernelIl19rocblas_complex_numIdELi16ELi32ELi8ELi1ELi0ELb0ELc78ELc85EKPKS1_KPS1_EviT_PT9_S7_lS9_S7_lPT10_S7_li.num_named_barrier, 0
	.set _ZL37rocblas_syrkx_herkx_restricted_kernelIl19rocblas_complex_numIdELi16ELi32ELi8ELi1ELi0ELb0ELc78ELc85EKPKS1_KPS1_EviT_PT9_S7_lS9_S7_lPT10_S7_li.private_seg_size, 0
	.set _ZL37rocblas_syrkx_herkx_restricted_kernelIl19rocblas_complex_numIdELi16ELi32ELi8ELi1ELi0ELb0ELc78ELc85EKPKS1_KPS1_EviT_PT9_S7_lS9_S7_lPT10_S7_li.uses_vcc, 1
	.set _ZL37rocblas_syrkx_herkx_restricted_kernelIl19rocblas_complex_numIdELi16ELi32ELi8ELi1ELi0ELb0ELc78ELc85EKPKS1_KPS1_EviT_PT9_S7_lS9_S7_lPT10_S7_li.uses_flat_scratch, 0
	.set _ZL37rocblas_syrkx_herkx_restricted_kernelIl19rocblas_complex_numIdELi16ELi32ELi8ELi1ELi0ELb0ELc78ELc85EKPKS1_KPS1_EviT_PT9_S7_lS9_S7_lPT10_S7_li.has_dyn_sized_stack, 0
	.set _ZL37rocblas_syrkx_herkx_restricted_kernelIl19rocblas_complex_numIdELi16ELi32ELi8ELi1ELi0ELb0ELc78ELc85EKPKS1_KPS1_EviT_PT9_S7_lS9_S7_lPT10_S7_li.has_recursion, 0
	.set _ZL37rocblas_syrkx_herkx_restricted_kernelIl19rocblas_complex_numIdELi16ELi32ELi8ELi1ELi0ELb0ELc78ELc85EKPKS1_KPS1_EviT_PT9_S7_lS9_S7_lPT10_S7_li.has_indirect_call, 0
	.section	.AMDGPU.csdata,"",@progbits
; Kernel info:
; codeLenInByte = 2800
; TotalNumSgprs: 26
; NumVgprs: 54
; ScratchSize: 0
; MemoryBound: 0
; FloatMode: 240
; IeeeMode: 1
; LDSByteSize: 8192 bytes/workgroup (compile time only)
; SGPRBlocks: 8
; VGPRBlocks: 13
; NumSGPRsForWavesPerEU: 65
; NumVGPRsForWavesPerEU: 54
; Occupancy: 4
; WaveLimiterHint : 1
; COMPUTE_PGM_RSRC2:SCRATCH_EN: 0
; COMPUTE_PGM_RSRC2:USER_SGPR: 6
; COMPUTE_PGM_RSRC2:TRAP_HANDLER: 0
; COMPUTE_PGM_RSRC2:TGID_X_EN: 1
; COMPUTE_PGM_RSRC2:TGID_Y_EN: 1
; COMPUTE_PGM_RSRC2:TGID_Z_EN: 1
; COMPUTE_PGM_RSRC2:TIDIG_COMP_CNT: 1
	.section	.text._ZL37rocblas_syrkx_herkx_restricted_kernelIl19rocblas_complex_numIdELi16ELi32ELi8ELin1ELi0ELb0ELc84ELc76EKPKS1_KPS1_EviT_PT9_S7_lS9_S7_lPT10_S7_li,"axG",@progbits,_ZL37rocblas_syrkx_herkx_restricted_kernelIl19rocblas_complex_numIdELi16ELi32ELi8ELin1ELi0ELb0ELc84ELc76EKPKS1_KPS1_EviT_PT9_S7_lS9_S7_lPT10_S7_li,comdat
	.globl	_ZL37rocblas_syrkx_herkx_restricted_kernelIl19rocblas_complex_numIdELi16ELi32ELi8ELin1ELi0ELb0ELc84ELc76EKPKS1_KPS1_EviT_PT9_S7_lS9_S7_lPT10_S7_li ; -- Begin function _ZL37rocblas_syrkx_herkx_restricted_kernelIl19rocblas_complex_numIdELi16ELi32ELi8ELin1ELi0ELb0ELc84ELc76EKPKS1_KPS1_EviT_PT9_S7_lS9_S7_lPT10_S7_li
	.p2align	8
	.type	_ZL37rocblas_syrkx_herkx_restricted_kernelIl19rocblas_complex_numIdELi16ELi32ELi8ELin1ELi0ELb0ELc84ELc76EKPKS1_KPS1_EviT_PT9_S7_lS9_S7_lPT10_S7_li,@function
_ZL37rocblas_syrkx_herkx_restricted_kernelIl19rocblas_complex_numIdELi16ELi32ELi8ELin1ELi0ELb0ELc84ELc76EKPKS1_KPS1_EviT_PT9_S7_lS9_S7_lPT10_S7_li: ; @_ZL37rocblas_syrkx_herkx_restricted_kernelIl19rocblas_complex_numIdELi16ELi32ELi8ELin1ELi0ELb0ELc84ELc76EKPKS1_KPS1_EviT_PT9_S7_lS9_S7_lPT10_S7_li
; %bb.0:
	s_load_dwordx4 s[12:15], s[4:5], 0x40
	s_load_dwordx4 s[0:3], s[4:5], 0x8
	s_mov_b32 s9, 0
	s_lshl_b64 s[10:11], s[8:9], 3
	s_waitcnt lgkmcnt(0)
	s_add_u32 s8, s12, s10
	s_addc_u32 s9, s13, s11
	s_load_dwordx2 s[8:9], s[8:9], 0x0
	v_cmp_lt_i64_e64 s[12:13], s[0:1], 1
	s_lshl_b32 s6, s6, 5
	s_lshl_b32 s7, s7, 5
	s_and_b64 vcc, exec, s[12:13]
	s_cbranch_vccnz .LBB1637_3
; %bb.1:
	s_load_dwordx2 s[12:13], s[4:5], 0x18
	s_load_dwordx4 s[16:19], s[4:5], 0x28
	v_lshl_add_u32 v6, v1, 4, v0
	v_lshrrev_b32_e32 v8, 3, v6
	v_add_u32_e32 v4, s7, v8
	v_ashrrev_i32_e32 v5, 31, v4
	v_and_b32_e32 v2, 7, v0
	v_mov_b32_e32 v3, 0
	s_waitcnt lgkmcnt(0)
	v_mul_lo_u32 v7, s18, v5
	v_mul_lo_u32 v9, s19, v4
	v_mad_u64_u32 v[4:5], s[18:19], s18, v4, v[2:3]
	s_add_u32 s2, s2, s10
	v_lshlrev_b32_e32 v2, 4, v2
	v_add3_u32 v5, v9, v5, v7
	v_and_b32_e32 v9, 31, v6
	s_addc_u32 s3, s3, s11
	v_lshl_or_b32 v2, v8, 7, v2
	v_add_u32_e32 v8, s6, v9
	s_add_u32 s10, s16, s10
	v_lshrrev_b32_e32 v6, 5, v6
	v_mov_b32_e32 v7, v3
	v_lshlrev_b32_e32 v3, 4, v9
	v_add_u32_e32 v23, 0x1000, v2
	v_ashrrev_i32_e32 v2, 31, v8
	s_addc_u32 s11, s17, s11
	v_lshl_or_b32 v22, v6, 9, v3
	v_mul_lo_u32 v9, s12, v2
	v_mad_u64_u32 v[2:3], s[16:17], s12, v8, v[6:7]
	v_mul_lo_u32 v6, s13, v8
	s_load_dwordx2 s[2:3], s[2:3], 0x0
	v_mov_b32_e32 v7, 0x1000
	s_load_dwordx2 s[10:11], s[10:11], 0x0
	v_add3_u32 v3, v6, v3, v9
	v_lshlrev_b64 v[2:3], 4, v[2:3]
	s_waitcnt lgkmcnt(0)
	v_mov_b32_e32 v6, s3
	v_add_co_u32_e32 v18, vcc, s2, v2
	v_addc_co_u32_e32 v19, vcc, v6, v3, vcc
	v_lshlrev_b64 v[2:3], 4, v[4:5]
	v_mov_b32_e32 v4, s11
	v_add_co_u32_e32 v20, vcc, s10, v2
	v_lshl_add_u32 v25, v1, 7, v7
	v_addc_co_u32_e32 v21, vcc, v4, v3, vcc
	v_mov_b32_e32 v8, 0
	v_mov_b32_e32 v6, 0
	;; [unrolled: 1-line block ×8, first 2 shown]
	v_lshlrev_b32_e32 v24, 4, v0
	v_mov_b32_e32 v9, 0
	v_mov_b32_e32 v7, 0
	;; [unrolled: 1-line block ×8, first 2 shown]
	s_mov_b64 s[2:3], 0
.LBB1637_2:                             ; =>This Inner Loop Header: Depth=1
	flat_load_dwordx4 v[26:29], v[18:19]
	s_add_u32 s2, s2, 8
	v_add_co_u32_e32 v18, vcc, 0x80, v18
	s_addc_u32 s3, s3, 0
	v_addc_co_u32_e32 v19, vcc, 0, v19, vcc
	s_waitcnt vmcnt(0) lgkmcnt(0)
	ds_write_b128 v22, v[26:29]
	flat_load_dwordx4 v[26:29], v[20:21]
	v_add_co_u32_e32 v20, vcc, 0x80, v20
	v_addc_co_u32_e32 v21, vcc, 0, v21, vcc
	s_waitcnt vmcnt(0) lgkmcnt(0)
	ds_write_b128 v23, v[26:29]
	s_waitcnt lgkmcnt(0)
	s_barrier
	ds_read_b128 v[26:29], v25
	ds_read_b128 v[30:33], v25 offset:16
	ds_read_b128 v[34:37], v25 offset:32
	;; [unrolled: 1-line block ×3, first 2 shown]
	ds_read_b128 v[42:45], v24
	s_waitcnt lgkmcnt(0)
	v_mul_f64 v[46:47], v[28:29], v[44:45]
	v_mul_f64 v[48:49], v[26:27], v[44:45]
	v_fma_f64 v[46:47], v[26:27], v[42:43], -v[46:47]
	v_fma_f64 v[48:49], v[28:29], v[42:43], v[48:49]
	v_add_f64 v[46:47], v[10:11], v[46:47]
	v_add_f64 v[48:49], v[48:49], v[12:13]
	ds_read_b128 v[10:13], v24 offset:256
	s_waitcnt lgkmcnt(0)
	v_mul_f64 v[50:51], v[28:29], v[12:13]
	v_fma_f64 v[50:51], v[26:27], v[10:11], -v[50:51]
	v_mul_f64 v[26:27], v[26:27], v[12:13]
	v_fma_f64 v[26:27], v[28:29], v[10:11], v[26:27]
	v_add_f64 v[28:29], v[2:3], v[50:51]
	v_add_f64 v[26:27], v[26:27], v[4:5]
	ds_read_b128 v[2:5], v25 offset:2048
	s_waitcnt lgkmcnt(0)
	v_mul_f64 v[50:51], v[4:5], v[44:45]
	v_mul_f64 v[44:45], v[2:3], v[44:45]
	v_fma_f64 v[50:51], v[2:3], v[42:43], -v[50:51]
	v_fma_f64 v[42:43], v[4:5], v[42:43], v[44:45]
	v_add_f64 v[14:15], v[14:15], v[50:51]
	v_add_f64 v[16:17], v[42:43], v[16:17]
	v_mul_f64 v[42:43], v[4:5], v[12:13]
	v_fma_f64 v[42:43], v[2:3], v[10:11], -v[42:43]
	v_mul_f64 v[2:3], v[2:3], v[12:13]
	v_add_f64 v[42:43], v[6:7], v[42:43]
	v_fma_f64 v[2:3], v[4:5], v[10:11], v[2:3]
	v_add_f64 v[44:45], v[2:3], v[8:9]
	ds_read_b128 v[2:5], v24 offset:512
	s_waitcnt lgkmcnt(0)
	v_mul_f64 v[6:7], v[32:33], v[4:5]
	v_mul_f64 v[8:9], v[30:31], v[4:5]
	v_fma_f64 v[6:7], v[30:31], v[2:3], -v[6:7]
	v_fma_f64 v[8:9], v[32:33], v[2:3], v[8:9]
	v_add_f64 v[46:47], v[46:47], v[6:7]
	v_add_f64 v[48:49], v[8:9], v[48:49]
	ds_read_b128 v[6:9], v24 offset:768
	s_waitcnt lgkmcnt(0)
	v_mul_f64 v[10:11], v[32:33], v[8:9]
	v_mul_f64 v[12:13], v[30:31], v[8:9]
	v_fma_f64 v[10:11], v[30:31], v[6:7], -v[10:11]
	v_fma_f64 v[12:13], v[32:33], v[6:7], v[12:13]
	v_add_f64 v[28:29], v[28:29], v[10:11]
	v_add_f64 v[26:27], v[12:13], v[26:27]
	ds_read_b128 v[10:13], v25 offset:2064
	s_waitcnt lgkmcnt(0)
	v_mul_f64 v[30:31], v[12:13], v[4:5]
	v_mul_f64 v[4:5], v[10:11], v[4:5]
	v_fma_f64 v[30:31], v[10:11], v[2:3], -v[30:31]
	v_fma_f64 v[2:3], v[12:13], v[2:3], v[4:5]
	v_mul_f64 v[4:5], v[10:11], v[8:9]
	v_add_f64 v[14:15], v[14:15], v[30:31]
	v_add_f64 v[16:17], v[2:3], v[16:17]
	v_mul_f64 v[2:3], v[12:13], v[8:9]
	v_fma_f64 v[4:5], v[12:13], v[6:7], v[4:5]
	v_fma_f64 v[2:3], v[10:11], v[6:7], -v[2:3]
	v_add_f64 v[32:33], v[4:5], v[44:45]
	v_add_f64 v[30:31], v[42:43], v[2:3]
	ds_read_b128 v[2:5], v24 offset:1024
	s_waitcnt lgkmcnt(0)
	v_mul_f64 v[6:7], v[36:37], v[4:5]
	v_mul_f64 v[8:9], v[34:35], v[4:5]
	v_fma_f64 v[6:7], v[34:35], v[2:3], -v[6:7]
	v_fma_f64 v[8:9], v[36:37], v[2:3], v[8:9]
	v_add_f64 v[42:43], v[46:47], v[6:7]
	v_add_f64 v[44:45], v[8:9], v[48:49]
	ds_read_b128 v[6:9], v24 offset:1280
	s_waitcnt lgkmcnt(0)
	v_mul_f64 v[10:11], v[36:37], v[8:9]
	v_mul_f64 v[12:13], v[34:35], v[8:9]
	v_fma_f64 v[10:11], v[34:35], v[6:7], -v[10:11]
	v_fma_f64 v[12:13], v[36:37], v[6:7], v[12:13]
	v_add_f64 v[28:29], v[28:29], v[10:11]
	v_add_f64 v[26:27], v[12:13], v[26:27]
	ds_read_b128 v[10:13], v25 offset:2080
	s_waitcnt lgkmcnt(0)
	v_mul_f64 v[34:35], v[12:13], v[4:5]
	v_mul_f64 v[4:5], v[10:11], v[4:5]
	v_fma_f64 v[34:35], v[10:11], v[2:3], -v[34:35]
	v_fma_f64 v[2:3], v[12:13], v[2:3], v[4:5]
	v_mul_f64 v[4:5], v[10:11], v[8:9]
	v_add_f64 v[14:15], v[14:15], v[34:35]
	v_add_f64 v[16:17], v[2:3], v[16:17]
	v_mul_f64 v[2:3], v[12:13], v[8:9]
	v_fma_f64 v[4:5], v[12:13], v[6:7], v[4:5]
	v_fma_f64 v[2:3], v[10:11], v[6:7], -v[2:3]
	v_add_f64 v[32:33], v[4:5], v[32:33]
	;; [unrolled: 30-line block ×3, first 2 shown]
	v_add_f64 v[30:31], v[30:31], v[2:3]
	ds_read_b128 v[2:5], v25 offset:64
	ds_read_b128 v[6:9], v24 offset:2048
	s_waitcnt lgkmcnt(0)
	v_mul_f64 v[10:11], v[4:5], v[8:9]
	v_mul_f64 v[12:13], v[2:3], v[8:9]
	v_fma_f64 v[10:11], v[2:3], v[6:7], -v[10:11]
	v_fma_f64 v[12:13], v[4:5], v[6:7], v[12:13]
	v_add_f64 v[34:35], v[34:35], v[10:11]
	v_add_f64 v[36:37], v[12:13], v[36:37]
	ds_read_b128 v[10:13], v24 offset:2304
	s_waitcnt lgkmcnt(0)
	v_mul_f64 v[38:39], v[4:5], v[12:13]
	v_fma_f64 v[38:39], v[2:3], v[10:11], -v[38:39]
	v_mul_f64 v[2:3], v[2:3], v[12:13]
	v_add_f64 v[28:29], v[28:29], v[38:39]
	v_fma_f64 v[2:3], v[4:5], v[10:11], v[2:3]
	v_add_f64 v[26:27], v[2:3], v[26:27]
	ds_read_b128 v[2:5], v25 offset:2112
	s_waitcnt lgkmcnt(0)
	v_mul_f64 v[38:39], v[4:5], v[8:9]
	v_mul_f64 v[8:9], v[2:3], v[8:9]
	v_fma_f64 v[38:39], v[2:3], v[6:7], -v[38:39]
	v_fma_f64 v[6:7], v[4:5], v[6:7], v[8:9]
	v_add_f64 v[14:15], v[14:15], v[38:39]
	v_add_f64 v[16:17], v[6:7], v[16:17]
	v_mul_f64 v[6:7], v[4:5], v[12:13]
	v_fma_f64 v[6:7], v[2:3], v[10:11], -v[6:7]
	v_mul_f64 v[2:3], v[2:3], v[12:13]
	v_add_f64 v[30:31], v[30:31], v[6:7]
	v_fma_f64 v[2:3], v[4:5], v[10:11], v[2:3]
	v_add_f64 v[32:33], v[2:3], v[32:33]
	ds_read_b128 v[2:5], v25 offset:80
	ds_read_b128 v[6:9], v24 offset:2560
	s_waitcnt lgkmcnt(0)
	v_mul_f64 v[10:11], v[4:5], v[8:9]
	v_mul_f64 v[12:13], v[2:3], v[8:9]
	v_fma_f64 v[10:11], v[2:3], v[6:7], -v[10:11]
	v_fma_f64 v[12:13], v[4:5], v[6:7], v[12:13]
	v_add_f64 v[34:35], v[34:35], v[10:11]
	v_add_f64 v[36:37], v[12:13], v[36:37]
	ds_read_b128 v[10:13], v24 offset:2816
	s_waitcnt lgkmcnt(0)
	v_mul_f64 v[38:39], v[4:5], v[12:13]
	v_fma_f64 v[38:39], v[2:3], v[10:11], -v[38:39]
	v_mul_f64 v[2:3], v[2:3], v[12:13]
	v_add_f64 v[28:29], v[28:29], v[38:39]
	v_fma_f64 v[2:3], v[4:5], v[10:11], v[2:3]
	v_add_f64 v[26:27], v[2:3], v[26:27]
	ds_read_b128 v[2:5], v25 offset:2128
	s_waitcnt lgkmcnt(0)
	v_mul_f64 v[38:39], v[4:5], v[8:9]
	v_mul_f64 v[8:9], v[2:3], v[8:9]
	v_fma_f64 v[38:39], v[2:3], v[6:7], -v[38:39]
	v_fma_f64 v[6:7], v[4:5], v[6:7], v[8:9]
	v_add_f64 v[14:15], v[14:15], v[38:39]
	v_add_f64 v[16:17], v[6:7], v[16:17]
	v_mul_f64 v[6:7], v[4:5], v[12:13]
	v_fma_f64 v[6:7], v[2:3], v[10:11], -v[6:7]
	v_mul_f64 v[2:3], v[2:3], v[12:13]
	v_add_f64 v[30:31], v[30:31], v[6:7]
	v_fma_f64 v[2:3], v[4:5], v[10:11], v[2:3]
	;; [unrolled: 31-line block ×3, first 2 shown]
	v_add_f64 v[44:45], v[2:3], v[32:33]
	ds_read_b128 v[2:5], v25 offset:112
	ds_read_b128 v[6:9], v24 offset:3584
	;; [unrolled: 1-line block ×3, first 2 shown]
	s_waitcnt lgkmcnt(1)
	v_mul_f64 v[10:11], v[4:5], v[8:9]
	s_waitcnt lgkmcnt(0)
	v_mul_f64 v[30:31], v[4:5], v[28:29]
	v_mul_f64 v[12:13], v[2:3], v[8:9]
	v_fma_f64 v[10:11], v[2:3], v[6:7], -v[10:11]
	v_fma_f64 v[30:31], v[2:3], v[26:27], -v[30:31]
	v_mul_f64 v[2:3], v[2:3], v[28:29]
	v_fma_f64 v[12:13], v[4:5], v[6:7], v[12:13]
	v_add_f64 v[10:11], v[34:35], v[10:11]
	v_fma_f64 v[4:5], v[4:5], v[26:27], v[2:3]
	v_add_f64 v[2:3], v[38:39], v[30:31]
	ds_read_b128 v[30:33], v25 offset:2160
	v_add_f64 v[12:13], v[12:13], v[36:37]
	s_waitcnt lgkmcnt(0)
	s_barrier
	v_mul_f64 v[34:35], v[32:33], v[8:9]
	v_mul_f64 v[8:9], v[30:31], v[8:9]
	v_add_f64 v[4:5], v[4:5], v[40:41]
	v_fma_f64 v[34:35], v[30:31], v[6:7], -v[34:35]
	v_fma_f64 v[6:7], v[32:33], v[6:7], v[8:9]
	v_mul_f64 v[8:9], v[30:31], v[28:29]
	v_add_f64 v[14:15], v[14:15], v[34:35]
	v_add_f64 v[16:17], v[6:7], v[16:17]
	v_mul_f64 v[6:7], v[32:33], v[28:29]
	v_fma_f64 v[8:9], v[32:33], v[26:27], v[8:9]
	v_fma_f64 v[6:7], v[30:31], v[26:27], -v[6:7]
	v_add_f64 v[8:9], v[8:9], v[44:45]
	v_mov_b32_e32 v27, s3
	v_mov_b32_e32 v26, s2
	v_cmp_le_u64_e32 vcc, s[0:1], v[26:27]
	v_add_f64 v[6:7], v[42:43], v[6:7]
	s_cbranch_vccz .LBB1637_2
	s_branch .LBB1637_4
.LBB1637_3:
	v_mov_b32_e32 v10, 0
	v_mov_b32_e32 v12, 0
	;; [unrolled: 1-line block ×16, first 2 shown]
.LBB1637_4:
	v_add_u32_e32 v18, s7, v1
	v_ashrrev_i32_e32 v1, 31, v18
	v_mul_lo_u32 v1, s14, v1
	v_mul_lo_u32 v21, s15, v18
	v_mad_u64_u32 v[19:20], s[0:1], s14, v18, 0
	s_load_dword s4, s[4:5], 0x0
	v_add_u32_e32 v0, s6, v0
	v_add3_u32 v20, v20, v1, v21
	v_lshlrev_b64 v[19:20], 4, v[19:20]
	s_waitcnt lgkmcnt(0)
	v_mov_b32_e32 v1, s9
	v_add_co_u32_e32 v19, vcc, s8, v19
	v_addc_co_u32_e32 v20, vcc, v1, v20, vcc
	v_cmp_le_i32_e64 s[0:1], v18, v0
	v_cmp_gt_i32_e32 vcc, s4, v0
	s_and_b64 s[0:1], s[0:1], vcc
	s_and_saveexec_b64 s[2:3], s[0:1]
	s_cbranch_execz .LBB1637_6
; %bb.5:
	v_ashrrev_i32_e32 v1, 31, v0
	v_lshlrev_b64 v[21:22], 4, v[0:1]
	v_xor_b32_e32 v11, 0x80000000, v11
	v_add_co_u32_e64 v21, s[0:1], v19, v21
	v_xor_b32_e32 v13, 0x80000000, v13
	v_addc_co_u32_e64 v22, s[0:1], v20, v22, s[0:1]
	flat_store_dwordx4 v[21:22], v[10:13]
.LBB1637_6:
	s_or_b64 exec, exec, s[2:3]
	v_add_u32_e32 v10, 16, v0
	v_cmp_le_i32_e64 s[2:3], v18, v10
	v_cmp_gt_i32_e64 s[0:1], s4, v10
	s_and_b64 s[2:3], s[2:3], s[0:1]
	s_and_saveexec_b64 s[4:5], s[2:3]
	s_cbranch_execz .LBB1637_8
; %bb.7:
	v_ashrrev_i32_e32 v11, 31, v10
	v_lshlrev_b64 v[11:12], 4, v[10:11]
	v_xor_b32_e32 v3, 0x80000000, v3
	v_add_co_u32_e64 v11, s[2:3], v19, v11
	v_xor_b32_e32 v5, 0x80000000, v5
	v_addc_co_u32_e64 v12, s[2:3], v20, v12, s[2:3]
	flat_store_dwordx4 v[11:12], v[2:5]
.LBB1637_8:
	s_or_b64 exec, exec, s[4:5]
	v_add_u32_e32 v4, 16, v18
	v_ashrrev_i32_e32 v3, 31, v4
	v_mul_lo_u32 v5, s15, v4
	v_mad_u64_u32 v[1:2], s[2:3], s14, v4, 0
	v_mul_lo_u32 v3, s14, v3
	v_add3_u32 v2, v2, v3, v5
	v_lshlrev_b64 v[2:3], 4, v[1:2]
	v_mov_b32_e32 v1, s9
	v_add_co_u32_e64 v2, s[2:3], s8, v2
	v_addc_co_u32_e64 v3, s[2:3], v1, v3, s[2:3]
	v_cmp_le_i32_e64 s[2:3], v4, v0
	s_and_b64 s[4:5], s[2:3], vcc
	s_and_saveexec_b64 s[2:3], s[4:5]
	s_cbranch_execz .LBB1637_10
; %bb.9:
	v_ashrrev_i32_e32 v1, 31, v0
	v_lshlrev_b64 v[0:1], 4, v[0:1]
	v_xor_b32_e32 v15, 0x80000000, v15
	v_add_co_u32_e32 v0, vcc, v2, v0
	v_xor_b32_e32 v17, 0x80000000, v17
	v_addc_co_u32_e32 v1, vcc, v3, v1, vcc
	flat_store_dwordx4 v[0:1], v[14:17]
.LBB1637_10:
	s_or_b64 exec, exec, s[2:3]
	v_cmp_le_i32_e32 vcc, v4, v10
	s_and_b64 s[0:1], vcc, s[0:1]
	s_and_saveexec_b64 s[2:3], s[0:1]
	s_cbranch_execz .LBB1637_12
; %bb.11:
	v_ashrrev_i32_e32 v11, 31, v10
	v_lshlrev_b64 v[0:1], 4, v[10:11]
	v_xor_b32_e32 v7, 0x80000000, v7
	v_add_co_u32_e32 v0, vcc, v2, v0
	v_xor_b32_e32 v9, 0x80000000, v9
	v_addc_co_u32_e32 v1, vcc, v3, v1, vcc
	flat_store_dwordx4 v[0:1], v[6:9]
.LBB1637_12:
	s_endpgm
	.section	.rodata,"a",@progbits
	.p2align	6, 0x0
	.amdhsa_kernel _ZL37rocblas_syrkx_herkx_restricted_kernelIl19rocblas_complex_numIdELi16ELi32ELi8ELin1ELi0ELb0ELc84ELc76EKPKS1_KPS1_EviT_PT9_S7_lS9_S7_lPT10_S7_li
		.amdhsa_group_segment_fixed_size 8192
		.amdhsa_private_segment_fixed_size 0
		.amdhsa_kernarg_size 92
		.amdhsa_user_sgpr_count 6
		.amdhsa_user_sgpr_private_segment_buffer 1
		.amdhsa_user_sgpr_dispatch_ptr 0
		.amdhsa_user_sgpr_queue_ptr 0
		.amdhsa_user_sgpr_kernarg_segment_ptr 1
		.amdhsa_user_sgpr_dispatch_id 0
		.amdhsa_user_sgpr_flat_scratch_init 0
		.amdhsa_user_sgpr_private_segment_size 0
		.amdhsa_uses_dynamic_stack 0
		.amdhsa_system_sgpr_private_segment_wavefront_offset 0
		.amdhsa_system_sgpr_workgroup_id_x 1
		.amdhsa_system_sgpr_workgroup_id_y 1
		.amdhsa_system_sgpr_workgroup_id_z 1
		.amdhsa_system_sgpr_workgroup_info 0
		.amdhsa_system_vgpr_workitem_id 1
		.amdhsa_next_free_vgpr 52
		.amdhsa_next_free_sgpr 61
		.amdhsa_reserve_vcc 1
		.amdhsa_reserve_flat_scratch 0
		.amdhsa_float_round_mode_32 0
		.amdhsa_float_round_mode_16_64 0
		.amdhsa_float_denorm_mode_32 3
		.amdhsa_float_denorm_mode_16_64 3
		.amdhsa_dx10_clamp 1
		.amdhsa_ieee_mode 1
		.amdhsa_fp16_overflow 0
		.amdhsa_exception_fp_ieee_invalid_op 0
		.amdhsa_exception_fp_denorm_src 0
		.amdhsa_exception_fp_ieee_div_zero 0
		.amdhsa_exception_fp_ieee_overflow 0
		.amdhsa_exception_fp_ieee_underflow 0
		.amdhsa_exception_fp_ieee_inexact 0
		.amdhsa_exception_int_div_zero 0
	.end_amdhsa_kernel
	.section	.text._ZL37rocblas_syrkx_herkx_restricted_kernelIl19rocblas_complex_numIdELi16ELi32ELi8ELin1ELi0ELb0ELc84ELc76EKPKS1_KPS1_EviT_PT9_S7_lS9_S7_lPT10_S7_li,"axG",@progbits,_ZL37rocblas_syrkx_herkx_restricted_kernelIl19rocblas_complex_numIdELi16ELi32ELi8ELin1ELi0ELb0ELc84ELc76EKPKS1_KPS1_EviT_PT9_S7_lS9_S7_lPT10_S7_li,comdat
.Lfunc_end1637:
	.size	_ZL37rocblas_syrkx_herkx_restricted_kernelIl19rocblas_complex_numIdELi16ELi32ELi8ELin1ELi0ELb0ELc84ELc76EKPKS1_KPS1_EviT_PT9_S7_lS9_S7_lPT10_S7_li, .Lfunc_end1637-_ZL37rocblas_syrkx_herkx_restricted_kernelIl19rocblas_complex_numIdELi16ELi32ELi8ELin1ELi0ELb0ELc84ELc76EKPKS1_KPS1_EviT_PT9_S7_lS9_S7_lPT10_S7_li
                                        ; -- End function
	.set _ZL37rocblas_syrkx_herkx_restricted_kernelIl19rocblas_complex_numIdELi16ELi32ELi8ELin1ELi0ELb0ELc84ELc76EKPKS1_KPS1_EviT_PT9_S7_lS9_S7_lPT10_S7_li.num_vgpr, 52
	.set _ZL37rocblas_syrkx_herkx_restricted_kernelIl19rocblas_complex_numIdELi16ELi32ELi8ELin1ELi0ELb0ELc84ELc76EKPKS1_KPS1_EviT_PT9_S7_lS9_S7_lPT10_S7_li.num_agpr, 0
	.set _ZL37rocblas_syrkx_herkx_restricted_kernelIl19rocblas_complex_numIdELi16ELi32ELi8ELin1ELi0ELb0ELc84ELc76EKPKS1_KPS1_EviT_PT9_S7_lS9_S7_lPT10_S7_li.numbered_sgpr, 20
	.set _ZL37rocblas_syrkx_herkx_restricted_kernelIl19rocblas_complex_numIdELi16ELi32ELi8ELin1ELi0ELb0ELc84ELc76EKPKS1_KPS1_EviT_PT9_S7_lS9_S7_lPT10_S7_li.num_named_barrier, 0
	.set _ZL37rocblas_syrkx_herkx_restricted_kernelIl19rocblas_complex_numIdELi16ELi32ELi8ELin1ELi0ELb0ELc84ELc76EKPKS1_KPS1_EviT_PT9_S7_lS9_S7_lPT10_S7_li.private_seg_size, 0
	.set _ZL37rocblas_syrkx_herkx_restricted_kernelIl19rocblas_complex_numIdELi16ELi32ELi8ELin1ELi0ELb0ELc84ELc76EKPKS1_KPS1_EviT_PT9_S7_lS9_S7_lPT10_S7_li.uses_vcc, 1
	.set _ZL37rocblas_syrkx_herkx_restricted_kernelIl19rocblas_complex_numIdELi16ELi32ELi8ELin1ELi0ELb0ELc84ELc76EKPKS1_KPS1_EviT_PT9_S7_lS9_S7_lPT10_S7_li.uses_flat_scratch, 0
	.set _ZL37rocblas_syrkx_herkx_restricted_kernelIl19rocblas_complex_numIdELi16ELi32ELi8ELin1ELi0ELb0ELc84ELc76EKPKS1_KPS1_EviT_PT9_S7_lS9_S7_lPT10_S7_li.has_dyn_sized_stack, 0
	.set _ZL37rocblas_syrkx_herkx_restricted_kernelIl19rocblas_complex_numIdELi16ELi32ELi8ELin1ELi0ELb0ELc84ELc76EKPKS1_KPS1_EviT_PT9_S7_lS9_S7_lPT10_S7_li.has_recursion, 0
	.set _ZL37rocblas_syrkx_herkx_restricted_kernelIl19rocblas_complex_numIdELi16ELi32ELi8ELin1ELi0ELb0ELc84ELc76EKPKS1_KPS1_EviT_PT9_S7_lS9_S7_lPT10_S7_li.has_indirect_call, 0
	.section	.AMDGPU.csdata,"",@progbits
; Kernel info:
; codeLenInByte = 2896
; TotalNumSgprs: 24
; NumVgprs: 52
; ScratchSize: 0
; MemoryBound: 0
; FloatMode: 240
; IeeeMode: 1
; LDSByteSize: 8192 bytes/workgroup (compile time only)
; SGPRBlocks: 8
; VGPRBlocks: 12
; NumSGPRsForWavesPerEU: 65
; NumVGPRsForWavesPerEU: 52
; Occupancy: 4
; WaveLimiterHint : 1
; COMPUTE_PGM_RSRC2:SCRATCH_EN: 0
; COMPUTE_PGM_RSRC2:USER_SGPR: 6
; COMPUTE_PGM_RSRC2:TRAP_HANDLER: 0
; COMPUTE_PGM_RSRC2:TGID_X_EN: 1
; COMPUTE_PGM_RSRC2:TGID_Y_EN: 1
; COMPUTE_PGM_RSRC2:TGID_Z_EN: 1
; COMPUTE_PGM_RSRC2:TIDIG_COMP_CNT: 1
	.section	.text._ZL37rocblas_syrkx_herkx_restricted_kernelIl19rocblas_complex_numIdELi16ELi32ELi8ELin1ELi0ELb0ELc67ELc76EKPKS1_KPS1_EviT_PT9_S7_lS9_S7_lPT10_S7_li,"axG",@progbits,_ZL37rocblas_syrkx_herkx_restricted_kernelIl19rocblas_complex_numIdELi16ELi32ELi8ELin1ELi0ELb0ELc67ELc76EKPKS1_KPS1_EviT_PT9_S7_lS9_S7_lPT10_S7_li,comdat
	.globl	_ZL37rocblas_syrkx_herkx_restricted_kernelIl19rocblas_complex_numIdELi16ELi32ELi8ELin1ELi0ELb0ELc67ELc76EKPKS1_KPS1_EviT_PT9_S7_lS9_S7_lPT10_S7_li ; -- Begin function _ZL37rocblas_syrkx_herkx_restricted_kernelIl19rocblas_complex_numIdELi16ELi32ELi8ELin1ELi0ELb0ELc67ELc76EKPKS1_KPS1_EviT_PT9_S7_lS9_S7_lPT10_S7_li
	.p2align	8
	.type	_ZL37rocblas_syrkx_herkx_restricted_kernelIl19rocblas_complex_numIdELi16ELi32ELi8ELin1ELi0ELb0ELc67ELc76EKPKS1_KPS1_EviT_PT9_S7_lS9_S7_lPT10_S7_li,@function
_ZL37rocblas_syrkx_herkx_restricted_kernelIl19rocblas_complex_numIdELi16ELi32ELi8ELin1ELi0ELb0ELc67ELc76EKPKS1_KPS1_EviT_PT9_S7_lS9_S7_lPT10_S7_li: ; @_ZL37rocblas_syrkx_herkx_restricted_kernelIl19rocblas_complex_numIdELi16ELi32ELi8ELin1ELi0ELb0ELc67ELc76EKPKS1_KPS1_EviT_PT9_S7_lS9_S7_lPT10_S7_li
; %bb.0:
	s_load_dwordx4 s[12:15], s[4:5], 0x40
	s_load_dwordx4 s[0:3], s[4:5], 0x8
	s_mov_b32 s9, 0
	s_lshl_b64 s[10:11], s[8:9], 3
	s_waitcnt lgkmcnt(0)
	s_add_u32 s8, s12, s10
	s_addc_u32 s9, s13, s11
	s_load_dwordx2 s[8:9], s[8:9], 0x0
	v_cmp_lt_i64_e64 s[12:13], s[0:1], 1
	s_lshl_b32 s6, s6, 5
	s_lshl_b32 s7, s7, 5
	s_and_b64 vcc, exec, s[12:13]
	s_cbranch_vccnz .LBB1638_3
; %bb.1:
	s_load_dwordx2 s[12:13], s[4:5], 0x18
	s_load_dwordx4 s[16:19], s[4:5], 0x28
	v_lshl_add_u32 v6, v1, 4, v0
	v_lshrrev_b32_e32 v8, 3, v6
	v_add_u32_e32 v4, s7, v8
	v_ashrrev_i32_e32 v5, 31, v4
	v_and_b32_e32 v2, 7, v0
	v_mov_b32_e32 v3, 0
	s_waitcnt lgkmcnt(0)
	v_mul_lo_u32 v7, s18, v5
	v_mul_lo_u32 v9, s19, v4
	v_mad_u64_u32 v[4:5], s[18:19], s18, v4, v[2:3]
	s_add_u32 s2, s2, s10
	v_lshlrev_b32_e32 v2, 4, v2
	v_add3_u32 v5, v9, v5, v7
	v_and_b32_e32 v9, 31, v6
	s_addc_u32 s3, s3, s11
	v_lshl_or_b32 v2, v8, 7, v2
	v_add_u32_e32 v8, s6, v9
	s_add_u32 s10, s16, s10
	v_lshrrev_b32_e32 v6, 5, v6
	v_mov_b32_e32 v7, v3
	v_lshlrev_b32_e32 v3, 4, v9
	v_add_u32_e32 v23, 0x1000, v2
	v_ashrrev_i32_e32 v2, 31, v8
	s_addc_u32 s11, s17, s11
	v_lshl_or_b32 v22, v6, 9, v3
	v_mul_lo_u32 v9, s12, v2
	v_mad_u64_u32 v[2:3], s[16:17], s12, v8, v[6:7]
	v_mul_lo_u32 v6, s13, v8
	s_load_dwordx2 s[2:3], s[2:3], 0x0
	v_mov_b32_e32 v7, 0x1000
	s_load_dwordx2 s[10:11], s[10:11], 0x0
	v_add3_u32 v3, v6, v3, v9
	v_lshlrev_b64 v[2:3], 4, v[2:3]
	s_waitcnt lgkmcnt(0)
	v_mov_b32_e32 v6, s3
	v_add_co_u32_e32 v18, vcc, s2, v2
	v_addc_co_u32_e32 v19, vcc, v6, v3, vcc
	v_lshlrev_b64 v[2:3], 4, v[4:5]
	v_mov_b32_e32 v4, s11
	v_add_co_u32_e32 v20, vcc, s10, v2
	v_lshl_add_u32 v25, v1, 7, v7
	v_addc_co_u32_e32 v21, vcc, v4, v3, vcc
	v_mov_b32_e32 v8, 0
	v_mov_b32_e32 v6, 0
	;; [unrolled: 1-line block ×8, first 2 shown]
	v_lshlrev_b32_e32 v24, 4, v0
	v_mov_b32_e32 v9, 0
	v_mov_b32_e32 v7, 0
	;; [unrolled: 1-line block ×8, first 2 shown]
	s_mov_b64 s[2:3], 0
.LBB1638_2:                             ; =>This Inner Loop Header: Depth=1
	flat_load_dwordx4 v[26:29], v[18:19]
	s_add_u32 s2, s2, 8
	v_add_co_u32_e32 v18, vcc, 0x80, v18
	s_addc_u32 s3, s3, 0
	v_addc_co_u32_e32 v19, vcc, 0, v19, vcc
	s_waitcnt vmcnt(0) lgkmcnt(0)
	ds_write_b128 v22, v[26:29]
	flat_load_dwordx4 v[26:29], v[20:21]
	v_add_co_u32_e32 v20, vcc, 0x80, v20
	v_addc_co_u32_e32 v21, vcc, 0, v21, vcc
	s_waitcnt vmcnt(0) lgkmcnt(0)
	ds_write_b128 v23, v[26:29]
	s_waitcnt lgkmcnt(0)
	s_barrier
	ds_read_b128 v[26:29], v25
	ds_read_b128 v[30:33], v25 offset:16
	ds_read_b128 v[34:37], v25 offset:32
	;; [unrolled: 1-line block ×3, first 2 shown]
	ds_read_b128 v[42:45], v24
	s_waitcnt lgkmcnt(0)
	v_mul_f64 v[46:47], v[28:29], v[44:45]
	v_mul_f64 v[48:49], v[26:27], v[44:45]
	v_fma_f64 v[46:47], v[26:27], v[42:43], -v[46:47]
	v_fma_f64 v[48:49], v[28:29], v[42:43], v[48:49]
	v_add_f64 v[46:47], v[10:11], v[46:47]
	v_add_f64 v[48:49], v[48:49], v[12:13]
	ds_read_b128 v[10:13], v24 offset:256
	s_waitcnt lgkmcnt(0)
	v_mul_f64 v[50:51], v[28:29], v[12:13]
	v_fma_f64 v[50:51], v[26:27], v[10:11], -v[50:51]
	v_mul_f64 v[26:27], v[26:27], v[12:13]
	v_fma_f64 v[26:27], v[28:29], v[10:11], v[26:27]
	v_add_f64 v[28:29], v[2:3], v[50:51]
	v_add_f64 v[26:27], v[26:27], v[4:5]
	ds_read_b128 v[2:5], v25 offset:2048
	s_waitcnt lgkmcnt(0)
	v_mul_f64 v[50:51], v[4:5], v[44:45]
	v_mul_f64 v[44:45], v[2:3], v[44:45]
	v_fma_f64 v[50:51], v[2:3], v[42:43], -v[50:51]
	v_fma_f64 v[42:43], v[4:5], v[42:43], v[44:45]
	v_add_f64 v[14:15], v[14:15], v[50:51]
	v_add_f64 v[16:17], v[42:43], v[16:17]
	v_mul_f64 v[42:43], v[4:5], v[12:13]
	v_fma_f64 v[42:43], v[2:3], v[10:11], -v[42:43]
	v_mul_f64 v[2:3], v[2:3], v[12:13]
	v_add_f64 v[42:43], v[6:7], v[42:43]
	v_fma_f64 v[2:3], v[4:5], v[10:11], v[2:3]
	v_add_f64 v[44:45], v[2:3], v[8:9]
	ds_read_b128 v[2:5], v24 offset:512
	s_waitcnt lgkmcnt(0)
	v_mul_f64 v[6:7], v[32:33], v[4:5]
	v_mul_f64 v[8:9], v[30:31], v[4:5]
	v_fma_f64 v[6:7], v[30:31], v[2:3], -v[6:7]
	v_fma_f64 v[8:9], v[32:33], v[2:3], v[8:9]
	v_add_f64 v[46:47], v[46:47], v[6:7]
	v_add_f64 v[48:49], v[8:9], v[48:49]
	ds_read_b128 v[6:9], v24 offset:768
	s_waitcnt lgkmcnt(0)
	v_mul_f64 v[10:11], v[32:33], v[8:9]
	v_mul_f64 v[12:13], v[30:31], v[8:9]
	v_fma_f64 v[10:11], v[30:31], v[6:7], -v[10:11]
	v_fma_f64 v[12:13], v[32:33], v[6:7], v[12:13]
	v_add_f64 v[28:29], v[28:29], v[10:11]
	v_add_f64 v[26:27], v[12:13], v[26:27]
	ds_read_b128 v[10:13], v25 offset:2064
	s_waitcnt lgkmcnt(0)
	v_mul_f64 v[30:31], v[12:13], v[4:5]
	v_mul_f64 v[4:5], v[10:11], v[4:5]
	v_fma_f64 v[30:31], v[10:11], v[2:3], -v[30:31]
	v_fma_f64 v[2:3], v[12:13], v[2:3], v[4:5]
	v_mul_f64 v[4:5], v[10:11], v[8:9]
	v_add_f64 v[14:15], v[14:15], v[30:31]
	v_add_f64 v[16:17], v[2:3], v[16:17]
	v_mul_f64 v[2:3], v[12:13], v[8:9]
	v_fma_f64 v[4:5], v[12:13], v[6:7], v[4:5]
	v_fma_f64 v[2:3], v[10:11], v[6:7], -v[2:3]
	v_add_f64 v[32:33], v[4:5], v[44:45]
	v_add_f64 v[30:31], v[42:43], v[2:3]
	ds_read_b128 v[2:5], v24 offset:1024
	s_waitcnt lgkmcnt(0)
	v_mul_f64 v[6:7], v[36:37], v[4:5]
	v_mul_f64 v[8:9], v[34:35], v[4:5]
	v_fma_f64 v[6:7], v[34:35], v[2:3], -v[6:7]
	v_fma_f64 v[8:9], v[36:37], v[2:3], v[8:9]
	v_add_f64 v[42:43], v[46:47], v[6:7]
	v_add_f64 v[44:45], v[8:9], v[48:49]
	ds_read_b128 v[6:9], v24 offset:1280
	s_waitcnt lgkmcnt(0)
	v_mul_f64 v[10:11], v[36:37], v[8:9]
	v_mul_f64 v[12:13], v[34:35], v[8:9]
	v_fma_f64 v[10:11], v[34:35], v[6:7], -v[10:11]
	v_fma_f64 v[12:13], v[36:37], v[6:7], v[12:13]
	v_add_f64 v[28:29], v[28:29], v[10:11]
	v_add_f64 v[26:27], v[12:13], v[26:27]
	ds_read_b128 v[10:13], v25 offset:2080
	s_waitcnt lgkmcnt(0)
	v_mul_f64 v[34:35], v[12:13], v[4:5]
	v_mul_f64 v[4:5], v[10:11], v[4:5]
	v_fma_f64 v[34:35], v[10:11], v[2:3], -v[34:35]
	v_fma_f64 v[2:3], v[12:13], v[2:3], v[4:5]
	v_mul_f64 v[4:5], v[10:11], v[8:9]
	v_add_f64 v[14:15], v[14:15], v[34:35]
	v_add_f64 v[16:17], v[2:3], v[16:17]
	v_mul_f64 v[2:3], v[12:13], v[8:9]
	v_fma_f64 v[4:5], v[12:13], v[6:7], v[4:5]
	v_fma_f64 v[2:3], v[10:11], v[6:7], -v[2:3]
	v_add_f64 v[32:33], v[4:5], v[32:33]
	;; [unrolled: 30-line block ×3, first 2 shown]
	v_add_f64 v[30:31], v[30:31], v[2:3]
	ds_read_b128 v[2:5], v25 offset:64
	ds_read_b128 v[6:9], v24 offset:2048
	s_waitcnt lgkmcnt(0)
	v_mul_f64 v[10:11], v[4:5], v[8:9]
	v_mul_f64 v[12:13], v[2:3], v[8:9]
	v_fma_f64 v[10:11], v[2:3], v[6:7], -v[10:11]
	v_fma_f64 v[12:13], v[4:5], v[6:7], v[12:13]
	v_add_f64 v[34:35], v[34:35], v[10:11]
	v_add_f64 v[36:37], v[12:13], v[36:37]
	ds_read_b128 v[10:13], v24 offset:2304
	s_waitcnt lgkmcnt(0)
	v_mul_f64 v[38:39], v[4:5], v[12:13]
	v_fma_f64 v[38:39], v[2:3], v[10:11], -v[38:39]
	v_mul_f64 v[2:3], v[2:3], v[12:13]
	v_add_f64 v[28:29], v[28:29], v[38:39]
	v_fma_f64 v[2:3], v[4:5], v[10:11], v[2:3]
	v_add_f64 v[26:27], v[2:3], v[26:27]
	ds_read_b128 v[2:5], v25 offset:2112
	s_waitcnt lgkmcnt(0)
	v_mul_f64 v[38:39], v[4:5], v[8:9]
	v_mul_f64 v[8:9], v[2:3], v[8:9]
	v_fma_f64 v[38:39], v[2:3], v[6:7], -v[38:39]
	v_fma_f64 v[6:7], v[4:5], v[6:7], v[8:9]
	v_add_f64 v[14:15], v[14:15], v[38:39]
	v_add_f64 v[16:17], v[6:7], v[16:17]
	v_mul_f64 v[6:7], v[4:5], v[12:13]
	v_fma_f64 v[6:7], v[2:3], v[10:11], -v[6:7]
	v_mul_f64 v[2:3], v[2:3], v[12:13]
	v_add_f64 v[30:31], v[30:31], v[6:7]
	v_fma_f64 v[2:3], v[4:5], v[10:11], v[2:3]
	v_add_f64 v[32:33], v[2:3], v[32:33]
	ds_read_b128 v[2:5], v25 offset:80
	ds_read_b128 v[6:9], v24 offset:2560
	s_waitcnt lgkmcnt(0)
	v_mul_f64 v[10:11], v[4:5], v[8:9]
	v_mul_f64 v[12:13], v[2:3], v[8:9]
	v_fma_f64 v[10:11], v[2:3], v[6:7], -v[10:11]
	v_fma_f64 v[12:13], v[4:5], v[6:7], v[12:13]
	v_add_f64 v[34:35], v[34:35], v[10:11]
	v_add_f64 v[36:37], v[12:13], v[36:37]
	ds_read_b128 v[10:13], v24 offset:2816
	s_waitcnt lgkmcnt(0)
	v_mul_f64 v[38:39], v[4:5], v[12:13]
	v_fma_f64 v[38:39], v[2:3], v[10:11], -v[38:39]
	v_mul_f64 v[2:3], v[2:3], v[12:13]
	v_add_f64 v[28:29], v[28:29], v[38:39]
	v_fma_f64 v[2:3], v[4:5], v[10:11], v[2:3]
	v_add_f64 v[26:27], v[2:3], v[26:27]
	ds_read_b128 v[2:5], v25 offset:2128
	s_waitcnt lgkmcnt(0)
	v_mul_f64 v[38:39], v[4:5], v[8:9]
	v_mul_f64 v[8:9], v[2:3], v[8:9]
	v_fma_f64 v[38:39], v[2:3], v[6:7], -v[38:39]
	v_fma_f64 v[6:7], v[4:5], v[6:7], v[8:9]
	v_add_f64 v[14:15], v[14:15], v[38:39]
	v_add_f64 v[16:17], v[6:7], v[16:17]
	v_mul_f64 v[6:7], v[4:5], v[12:13]
	v_fma_f64 v[6:7], v[2:3], v[10:11], -v[6:7]
	v_mul_f64 v[2:3], v[2:3], v[12:13]
	v_add_f64 v[30:31], v[30:31], v[6:7]
	v_fma_f64 v[2:3], v[4:5], v[10:11], v[2:3]
	;; [unrolled: 31-line block ×3, first 2 shown]
	v_add_f64 v[44:45], v[2:3], v[32:33]
	ds_read_b128 v[2:5], v25 offset:112
	ds_read_b128 v[6:9], v24 offset:3584
	;; [unrolled: 1-line block ×3, first 2 shown]
	s_waitcnt lgkmcnt(1)
	v_mul_f64 v[10:11], v[4:5], v[8:9]
	s_waitcnt lgkmcnt(0)
	v_mul_f64 v[30:31], v[4:5], v[28:29]
	v_mul_f64 v[12:13], v[2:3], v[8:9]
	v_fma_f64 v[10:11], v[2:3], v[6:7], -v[10:11]
	v_fma_f64 v[30:31], v[2:3], v[26:27], -v[30:31]
	v_mul_f64 v[2:3], v[2:3], v[28:29]
	v_fma_f64 v[12:13], v[4:5], v[6:7], v[12:13]
	v_add_f64 v[10:11], v[34:35], v[10:11]
	v_fma_f64 v[4:5], v[4:5], v[26:27], v[2:3]
	v_add_f64 v[2:3], v[38:39], v[30:31]
	ds_read_b128 v[30:33], v25 offset:2160
	v_add_f64 v[12:13], v[12:13], v[36:37]
	s_waitcnt lgkmcnt(0)
	s_barrier
	v_mul_f64 v[34:35], v[32:33], v[8:9]
	v_mul_f64 v[8:9], v[30:31], v[8:9]
	v_add_f64 v[4:5], v[4:5], v[40:41]
	v_fma_f64 v[34:35], v[30:31], v[6:7], -v[34:35]
	v_fma_f64 v[6:7], v[32:33], v[6:7], v[8:9]
	v_mul_f64 v[8:9], v[30:31], v[28:29]
	v_add_f64 v[14:15], v[14:15], v[34:35]
	v_add_f64 v[16:17], v[6:7], v[16:17]
	v_mul_f64 v[6:7], v[32:33], v[28:29]
	v_fma_f64 v[8:9], v[32:33], v[26:27], v[8:9]
	v_fma_f64 v[6:7], v[30:31], v[26:27], -v[6:7]
	v_add_f64 v[8:9], v[8:9], v[44:45]
	v_mov_b32_e32 v27, s3
	v_mov_b32_e32 v26, s2
	v_cmp_le_u64_e32 vcc, s[0:1], v[26:27]
	v_add_f64 v[6:7], v[42:43], v[6:7]
	s_cbranch_vccz .LBB1638_2
	s_branch .LBB1638_4
.LBB1638_3:
	v_mov_b32_e32 v10, 0
	v_mov_b32_e32 v12, 0
	;; [unrolled: 1-line block ×16, first 2 shown]
.LBB1638_4:
	v_add_u32_e32 v18, s7, v1
	v_ashrrev_i32_e32 v1, 31, v18
	v_mul_lo_u32 v1, s14, v1
	v_mul_lo_u32 v21, s15, v18
	v_mad_u64_u32 v[19:20], s[0:1], s14, v18, 0
	s_load_dword s4, s[4:5], 0x0
	v_add_u32_e32 v0, s6, v0
	v_add3_u32 v20, v20, v1, v21
	v_lshlrev_b64 v[19:20], 4, v[19:20]
	s_waitcnt lgkmcnt(0)
	v_mov_b32_e32 v1, s9
	v_add_co_u32_e32 v19, vcc, s8, v19
	v_addc_co_u32_e32 v20, vcc, v1, v20, vcc
	v_cmp_le_i32_e64 s[0:1], v18, v0
	v_cmp_gt_i32_e32 vcc, s4, v0
	s_and_b64 s[0:1], s[0:1], vcc
	s_and_saveexec_b64 s[2:3], s[0:1]
	s_cbranch_execz .LBB1638_6
; %bb.5:
	v_ashrrev_i32_e32 v1, 31, v0
	v_lshlrev_b64 v[21:22], 4, v[0:1]
	v_xor_b32_e32 v11, 0x80000000, v11
	v_add_co_u32_e64 v21, s[0:1], v19, v21
	v_xor_b32_e32 v13, 0x80000000, v13
	v_addc_co_u32_e64 v22, s[0:1], v20, v22, s[0:1]
	flat_store_dwordx4 v[21:22], v[10:13]
.LBB1638_6:
	s_or_b64 exec, exec, s[2:3]
	v_add_u32_e32 v10, 16, v0
	v_cmp_le_i32_e64 s[2:3], v18, v10
	v_cmp_gt_i32_e64 s[0:1], s4, v10
	s_and_b64 s[2:3], s[2:3], s[0:1]
	s_and_saveexec_b64 s[4:5], s[2:3]
	s_cbranch_execz .LBB1638_8
; %bb.7:
	v_ashrrev_i32_e32 v11, 31, v10
	v_lshlrev_b64 v[11:12], 4, v[10:11]
	v_xor_b32_e32 v3, 0x80000000, v3
	v_add_co_u32_e64 v11, s[2:3], v19, v11
	v_xor_b32_e32 v5, 0x80000000, v5
	v_addc_co_u32_e64 v12, s[2:3], v20, v12, s[2:3]
	flat_store_dwordx4 v[11:12], v[2:5]
.LBB1638_8:
	s_or_b64 exec, exec, s[4:5]
	v_add_u32_e32 v4, 16, v18
	v_ashrrev_i32_e32 v3, 31, v4
	v_mul_lo_u32 v5, s15, v4
	v_mad_u64_u32 v[1:2], s[2:3], s14, v4, 0
	v_mul_lo_u32 v3, s14, v3
	v_add3_u32 v2, v2, v3, v5
	v_lshlrev_b64 v[2:3], 4, v[1:2]
	v_mov_b32_e32 v1, s9
	v_add_co_u32_e64 v2, s[2:3], s8, v2
	v_addc_co_u32_e64 v3, s[2:3], v1, v3, s[2:3]
	v_cmp_le_i32_e64 s[2:3], v4, v0
	s_and_b64 s[4:5], s[2:3], vcc
	s_and_saveexec_b64 s[2:3], s[4:5]
	s_cbranch_execz .LBB1638_10
; %bb.9:
	v_ashrrev_i32_e32 v1, 31, v0
	v_lshlrev_b64 v[0:1], 4, v[0:1]
	v_xor_b32_e32 v15, 0x80000000, v15
	v_add_co_u32_e32 v0, vcc, v2, v0
	v_xor_b32_e32 v17, 0x80000000, v17
	v_addc_co_u32_e32 v1, vcc, v3, v1, vcc
	flat_store_dwordx4 v[0:1], v[14:17]
.LBB1638_10:
	s_or_b64 exec, exec, s[2:3]
	v_cmp_le_i32_e32 vcc, v4, v10
	s_and_b64 s[0:1], vcc, s[0:1]
	s_and_saveexec_b64 s[2:3], s[0:1]
	s_cbranch_execz .LBB1638_12
; %bb.11:
	v_ashrrev_i32_e32 v11, 31, v10
	v_lshlrev_b64 v[0:1], 4, v[10:11]
	v_xor_b32_e32 v7, 0x80000000, v7
	v_add_co_u32_e32 v0, vcc, v2, v0
	v_xor_b32_e32 v9, 0x80000000, v9
	v_addc_co_u32_e32 v1, vcc, v3, v1, vcc
	flat_store_dwordx4 v[0:1], v[6:9]
.LBB1638_12:
	s_endpgm
	.section	.rodata,"a",@progbits
	.p2align	6, 0x0
	.amdhsa_kernel _ZL37rocblas_syrkx_herkx_restricted_kernelIl19rocblas_complex_numIdELi16ELi32ELi8ELin1ELi0ELb0ELc67ELc76EKPKS1_KPS1_EviT_PT9_S7_lS9_S7_lPT10_S7_li
		.amdhsa_group_segment_fixed_size 8192
		.amdhsa_private_segment_fixed_size 0
		.amdhsa_kernarg_size 92
		.amdhsa_user_sgpr_count 6
		.amdhsa_user_sgpr_private_segment_buffer 1
		.amdhsa_user_sgpr_dispatch_ptr 0
		.amdhsa_user_sgpr_queue_ptr 0
		.amdhsa_user_sgpr_kernarg_segment_ptr 1
		.amdhsa_user_sgpr_dispatch_id 0
		.amdhsa_user_sgpr_flat_scratch_init 0
		.amdhsa_user_sgpr_private_segment_size 0
		.amdhsa_uses_dynamic_stack 0
		.amdhsa_system_sgpr_private_segment_wavefront_offset 0
		.amdhsa_system_sgpr_workgroup_id_x 1
		.amdhsa_system_sgpr_workgroup_id_y 1
		.amdhsa_system_sgpr_workgroup_id_z 1
		.amdhsa_system_sgpr_workgroup_info 0
		.amdhsa_system_vgpr_workitem_id 1
		.amdhsa_next_free_vgpr 52
		.amdhsa_next_free_sgpr 61
		.amdhsa_reserve_vcc 1
		.amdhsa_reserve_flat_scratch 0
		.amdhsa_float_round_mode_32 0
		.amdhsa_float_round_mode_16_64 0
		.amdhsa_float_denorm_mode_32 3
		.amdhsa_float_denorm_mode_16_64 3
		.amdhsa_dx10_clamp 1
		.amdhsa_ieee_mode 1
		.amdhsa_fp16_overflow 0
		.amdhsa_exception_fp_ieee_invalid_op 0
		.amdhsa_exception_fp_denorm_src 0
		.amdhsa_exception_fp_ieee_div_zero 0
		.amdhsa_exception_fp_ieee_overflow 0
		.amdhsa_exception_fp_ieee_underflow 0
		.amdhsa_exception_fp_ieee_inexact 0
		.amdhsa_exception_int_div_zero 0
	.end_amdhsa_kernel
	.section	.text._ZL37rocblas_syrkx_herkx_restricted_kernelIl19rocblas_complex_numIdELi16ELi32ELi8ELin1ELi0ELb0ELc67ELc76EKPKS1_KPS1_EviT_PT9_S7_lS9_S7_lPT10_S7_li,"axG",@progbits,_ZL37rocblas_syrkx_herkx_restricted_kernelIl19rocblas_complex_numIdELi16ELi32ELi8ELin1ELi0ELb0ELc67ELc76EKPKS1_KPS1_EviT_PT9_S7_lS9_S7_lPT10_S7_li,comdat
.Lfunc_end1638:
	.size	_ZL37rocblas_syrkx_herkx_restricted_kernelIl19rocblas_complex_numIdELi16ELi32ELi8ELin1ELi0ELb0ELc67ELc76EKPKS1_KPS1_EviT_PT9_S7_lS9_S7_lPT10_S7_li, .Lfunc_end1638-_ZL37rocblas_syrkx_herkx_restricted_kernelIl19rocblas_complex_numIdELi16ELi32ELi8ELin1ELi0ELb0ELc67ELc76EKPKS1_KPS1_EviT_PT9_S7_lS9_S7_lPT10_S7_li
                                        ; -- End function
	.set _ZL37rocblas_syrkx_herkx_restricted_kernelIl19rocblas_complex_numIdELi16ELi32ELi8ELin1ELi0ELb0ELc67ELc76EKPKS1_KPS1_EviT_PT9_S7_lS9_S7_lPT10_S7_li.num_vgpr, 52
	.set _ZL37rocblas_syrkx_herkx_restricted_kernelIl19rocblas_complex_numIdELi16ELi32ELi8ELin1ELi0ELb0ELc67ELc76EKPKS1_KPS1_EviT_PT9_S7_lS9_S7_lPT10_S7_li.num_agpr, 0
	.set _ZL37rocblas_syrkx_herkx_restricted_kernelIl19rocblas_complex_numIdELi16ELi32ELi8ELin1ELi0ELb0ELc67ELc76EKPKS1_KPS1_EviT_PT9_S7_lS9_S7_lPT10_S7_li.numbered_sgpr, 20
	.set _ZL37rocblas_syrkx_herkx_restricted_kernelIl19rocblas_complex_numIdELi16ELi32ELi8ELin1ELi0ELb0ELc67ELc76EKPKS1_KPS1_EviT_PT9_S7_lS9_S7_lPT10_S7_li.num_named_barrier, 0
	.set _ZL37rocblas_syrkx_herkx_restricted_kernelIl19rocblas_complex_numIdELi16ELi32ELi8ELin1ELi0ELb0ELc67ELc76EKPKS1_KPS1_EviT_PT9_S7_lS9_S7_lPT10_S7_li.private_seg_size, 0
	.set _ZL37rocblas_syrkx_herkx_restricted_kernelIl19rocblas_complex_numIdELi16ELi32ELi8ELin1ELi0ELb0ELc67ELc76EKPKS1_KPS1_EviT_PT9_S7_lS9_S7_lPT10_S7_li.uses_vcc, 1
	.set _ZL37rocblas_syrkx_herkx_restricted_kernelIl19rocblas_complex_numIdELi16ELi32ELi8ELin1ELi0ELb0ELc67ELc76EKPKS1_KPS1_EviT_PT9_S7_lS9_S7_lPT10_S7_li.uses_flat_scratch, 0
	.set _ZL37rocblas_syrkx_herkx_restricted_kernelIl19rocblas_complex_numIdELi16ELi32ELi8ELin1ELi0ELb0ELc67ELc76EKPKS1_KPS1_EviT_PT9_S7_lS9_S7_lPT10_S7_li.has_dyn_sized_stack, 0
	.set _ZL37rocblas_syrkx_herkx_restricted_kernelIl19rocblas_complex_numIdELi16ELi32ELi8ELin1ELi0ELb0ELc67ELc76EKPKS1_KPS1_EviT_PT9_S7_lS9_S7_lPT10_S7_li.has_recursion, 0
	.set _ZL37rocblas_syrkx_herkx_restricted_kernelIl19rocblas_complex_numIdELi16ELi32ELi8ELin1ELi0ELb0ELc67ELc76EKPKS1_KPS1_EviT_PT9_S7_lS9_S7_lPT10_S7_li.has_indirect_call, 0
	.section	.AMDGPU.csdata,"",@progbits
; Kernel info:
; codeLenInByte = 2896
; TotalNumSgprs: 24
; NumVgprs: 52
; ScratchSize: 0
; MemoryBound: 0
; FloatMode: 240
; IeeeMode: 1
; LDSByteSize: 8192 bytes/workgroup (compile time only)
; SGPRBlocks: 8
; VGPRBlocks: 12
; NumSGPRsForWavesPerEU: 65
; NumVGPRsForWavesPerEU: 52
; Occupancy: 4
; WaveLimiterHint : 1
; COMPUTE_PGM_RSRC2:SCRATCH_EN: 0
; COMPUTE_PGM_RSRC2:USER_SGPR: 6
; COMPUTE_PGM_RSRC2:TRAP_HANDLER: 0
; COMPUTE_PGM_RSRC2:TGID_X_EN: 1
; COMPUTE_PGM_RSRC2:TGID_Y_EN: 1
; COMPUTE_PGM_RSRC2:TGID_Z_EN: 1
; COMPUTE_PGM_RSRC2:TIDIG_COMP_CNT: 1
	.section	.text._ZL37rocblas_syrkx_herkx_restricted_kernelIl19rocblas_complex_numIdELi16ELi32ELi8ELin1ELi0ELb0ELc78ELc76EKPKS1_KPS1_EviT_PT9_S7_lS9_S7_lPT10_S7_li,"axG",@progbits,_ZL37rocblas_syrkx_herkx_restricted_kernelIl19rocblas_complex_numIdELi16ELi32ELi8ELin1ELi0ELb0ELc78ELc76EKPKS1_KPS1_EviT_PT9_S7_lS9_S7_lPT10_S7_li,comdat
	.globl	_ZL37rocblas_syrkx_herkx_restricted_kernelIl19rocblas_complex_numIdELi16ELi32ELi8ELin1ELi0ELb0ELc78ELc76EKPKS1_KPS1_EviT_PT9_S7_lS9_S7_lPT10_S7_li ; -- Begin function _ZL37rocblas_syrkx_herkx_restricted_kernelIl19rocblas_complex_numIdELi16ELi32ELi8ELin1ELi0ELb0ELc78ELc76EKPKS1_KPS1_EviT_PT9_S7_lS9_S7_lPT10_S7_li
	.p2align	8
	.type	_ZL37rocblas_syrkx_herkx_restricted_kernelIl19rocblas_complex_numIdELi16ELi32ELi8ELin1ELi0ELb0ELc78ELc76EKPKS1_KPS1_EviT_PT9_S7_lS9_S7_lPT10_S7_li,@function
_ZL37rocblas_syrkx_herkx_restricted_kernelIl19rocblas_complex_numIdELi16ELi32ELi8ELin1ELi0ELb0ELc78ELc76EKPKS1_KPS1_EviT_PT9_S7_lS9_S7_lPT10_S7_li: ; @_ZL37rocblas_syrkx_herkx_restricted_kernelIl19rocblas_complex_numIdELi16ELi32ELi8ELin1ELi0ELb0ELc78ELc76EKPKS1_KPS1_EviT_PT9_S7_lS9_S7_lPT10_S7_li
; %bb.0:
	s_load_dwordx4 s[12:15], s[4:5], 0x40
	s_load_dwordx4 s[0:3], s[4:5], 0x8
	s_mov_b32 s9, 0
	s_lshl_b64 s[16:17], s[8:9], 3
	s_waitcnt lgkmcnt(0)
	s_add_u32 s8, s12, s16
	s_addc_u32 s9, s13, s17
	s_load_dwordx2 s[12:13], s[8:9], 0x0
	v_cmp_lt_i64_e64 s[8:9], s[0:1], 1
	s_lshl_b32 s18, s6, 5
	s_lshl_b32 s19, s7, 5
	s_and_b64 vcc, exec, s[8:9]
	s_cbranch_vccnz .LBB1639_3
; %bb.1:
	s_load_dwordx2 s[6:7], s[4:5], 0x18
	s_load_dwordx4 s[8:11], s[4:5], 0x28
	v_lshl_add_u32 v5, v1, 4, v0
	v_lshrrev_b32_e32 v7, 3, v5
	v_add_u32_e32 v2, s19, v7
	v_and_b32_e32 v6, 7, v0
	v_ashrrev_i32_e32 v3, 31, v2
	s_waitcnt lgkmcnt(0)
	v_mad_u64_u32 v[2:3], s[20:21], s10, v6, v[2:3]
	s_add_u32 s2, s2, s16
	s_addc_u32 s3, s3, s17
	v_mad_u64_u32 v[3:4], s[20:21], s11, v6, v[3:4]
	v_and_b32_e32 v4, 31, v5
	v_lshrrev_b32_e32 v8, 5, v5
	v_lshlrev_b32_e32 v5, 4, v4
	v_add_u32_e32 v4, s18, v4
	s_add_u32 s8, s8, s16
	v_lshl_or_b32 v22, v8, 9, v5
	v_ashrrev_i32_e32 v5, 31, v4
	s_addc_u32 s9, s9, s17
	v_mad_u64_u32 v[4:5], s[16:17], s6, v8, v[4:5]
	v_lshlrev_b32_e32 v6, 4, v6
	v_lshl_or_b32 v6, v7, 7, v6
	v_add_u32_e32 v23, 0x1000, v6
	v_mad_u64_u32 v[5:6], s[16:17], s7, v8, v[5:6]
	s_load_dwordx2 s[2:3], s[2:3], 0x0
	v_mov_b32_e32 v6, 0x1000
	s_load_dwordx2 s[8:9], s[8:9], 0x0
	v_lshlrev_b64 v[4:5], 4, v[4:5]
	v_lshl_add_u32 v25, v1, 7, v6
	s_waitcnt lgkmcnt(0)
	v_mov_b32_e32 v6, s3
	v_add_co_u32_e32 v18, vcc, s2, v4
	v_lshlrev_b64 v[2:3], 4, v[2:3]
	v_addc_co_u32_e32 v19, vcc, v6, v5, vcc
	v_mov_b32_e32 v4, s9
	v_add_co_u32_e32 v20, vcc, s8, v2
	s_lshl_b64 s[2:3], s[6:7], 7
	v_addc_co_u32_e32 v21, vcc, v4, v3, vcc
	s_lshl_b64 s[6:7], s[10:11], 7
	v_mov_b32_e32 v8, 0
	v_mov_b32_e32 v6, 0
	;; [unrolled: 1-line block ×8, first 2 shown]
	v_lshlrev_b32_e32 v24, 4, v0
	v_mov_b32_e32 v9, 0
	s_mov_b64 s[8:9], 0
	v_mov_b32_e32 v26, s3
	v_mov_b32_e32 v7, 0
	;; [unrolled: 1-line block ×9, first 2 shown]
.LBB1639_2:                             ; =>This Inner Loop Header: Depth=1
	flat_load_dwordx4 v[28:31], v[18:19]
	s_add_u32 s8, s8, 8
	v_add_co_u32_e32 v18, vcc, s2, v18
	s_addc_u32 s9, s9, 0
	v_addc_co_u32_e32 v19, vcc, v19, v26, vcc
	s_waitcnt vmcnt(0) lgkmcnt(0)
	ds_write_b128 v22, v[28:31]
	flat_load_dwordx4 v[28:31], v[20:21]
	v_add_co_u32_e32 v20, vcc, s6, v20
	v_addc_co_u32_e32 v21, vcc, v21, v27, vcc
	s_waitcnt vmcnt(0) lgkmcnt(0)
	ds_write_b128 v23, v[28:31]
	s_waitcnt lgkmcnt(0)
	s_barrier
	ds_read_b128 v[28:31], v25
	ds_read_b128 v[32:35], v25 offset:16
	ds_read_b128 v[36:39], v25 offset:32
	ds_read_b128 v[40:43], v25 offset:48
	ds_read_b128 v[44:47], v24
	s_waitcnt lgkmcnt(0)
	v_mul_f64 v[48:49], v[30:31], v[46:47]
	v_mul_f64 v[50:51], v[28:29], v[46:47]
	v_fma_f64 v[48:49], v[28:29], v[44:45], -v[48:49]
	v_fma_f64 v[50:51], v[30:31], v[44:45], v[50:51]
	v_add_f64 v[48:49], v[14:15], v[48:49]
	v_add_f64 v[50:51], v[50:51], v[16:17]
	ds_read_b128 v[14:17], v24 offset:256
	s_waitcnt lgkmcnt(0)
	v_mul_f64 v[52:53], v[30:31], v[16:17]
	v_fma_f64 v[52:53], v[28:29], v[14:15], -v[52:53]
	v_mul_f64 v[28:29], v[28:29], v[16:17]
	v_fma_f64 v[28:29], v[30:31], v[14:15], v[28:29]
	v_add_f64 v[30:31], v[2:3], v[52:53]
	v_add_f64 v[28:29], v[28:29], v[4:5]
	ds_read_b128 v[2:5], v25 offset:2048
	s_waitcnt lgkmcnt(0)
	v_mul_f64 v[52:53], v[4:5], v[46:47]
	v_mul_f64 v[46:47], v[2:3], v[46:47]
	v_fma_f64 v[52:53], v[2:3], v[44:45], -v[52:53]
	v_fma_f64 v[44:45], v[4:5], v[44:45], v[46:47]
	v_add_f64 v[46:47], v[10:11], v[52:53]
	v_mul_f64 v[10:11], v[4:5], v[16:17]
	v_add_f64 v[44:45], v[44:45], v[12:13]
	v_fma_f64 v[10:11], v[2:3], v[14:15], -v[10:11]
	v_mul_f64 v[2:3], v[2:3], v[16:17]
	v_fma_f64 v[2:3], v[4:5], v[14:15], v[2:3]
	v_add_f64 v[14:15], v[6:7], v[10:11]
	v_add_f64 v[16:17], v[2:3], v[8:9]
	ds_read_b128 v[2:5], v24 offset:512
	s_waitcnt lgkmcnt(0)
	v_mul_f64 v[6:7], v[34:35], v[4:5]
	v_mul_f64 v[8:9], v[32:33], v[4:5]
	v_fma_f64 v[6:7], v[32:33], v[2:3], -v[6:7]
	v_fma_f64 v[8:9], v[34:35], v[2:3], v[8:9]
	v_add_f64 v[48:49], v[48:49], v[6:7]
	v_add_f64 v[50:51], v[8:9], v[50:51]
	ds_read_b128 v[6:9], v24 offset:768
	s_waitcnt lgkmcnt(0)
	v_mul_f64 v[10:11], v[34:35], v[8:9]
	v_mul_f64 v[12:13], v[32:33], v[8:9]
	v_fma_f64 v[10:11], v[32:33], v[6:7], -v[10:11]
	;; [unrolled: 8-line block ×3, first 2 shown]
	v_fma_f64 v[2:3], v[12:13], v[2:3], v[4:5]
	v_mul_f64 v[4:5], v[10:11], v[8:9]
	v_add_f64 v[32:33], v[46:47], v[32:33]
	v_add_f64 v[34:35], v[2:3], v[44:45]
	v_mul_f64 v[2:3], v[12:13], v[8:9]
	v_fma_f64 v[4:5], v[12:13], v[6:7], v[4:5]
	v_fma_f64 v[2:3], v[10:11], v[6:7], -v[2:3]
	v_add_f64 v[16:17], v[4:5], v[16:17]
	v_add_f64 v[14:15], v[14:15], v[2:3]
	ds_read_b128 v[2:5], v24 offset:1024
	s_waitcnt lgkmcnt(0)
	v_mul_f64 v[6:7], v[38:39], v[4:5]
	v_mul_f64 v[8:9], v[36:37], v[4:5]
	v_fma_f64 v[6:7], v[36:37], v[2:3], -v[6:7]
	v_fma_f64 v[8:9], v[38:39], v[2:3], v[8:9]
	v_add_f64 v[44:45], v[48:49], v[6:7]
	v_add_f64 v[46:47], v[8:9], v[50:51]
	ds_read_b128 v[6:9], v24 offset:1280
	s_waitcnt lgkmcnt(0)
	v_mul_f64 v[10:11], v[38:39], v[8:9]
	v_mul_f64 v[12:13], v[36:37], v[8:9]
	v_fma_f64 v[10:11], v[36:37], v[6:7], -v[10:11]
	v_fma_f64 v[12:13], v[38:39], v[6:7], v[12:13]
	;; [unrolled: 8-line block ×3, first 2 shown]
	v_mul_f64 v[4:5], v[10:11], v[8:9]
	v_add_f64 v[32:33], v[32:33], v[36:37]
	v_add_f64 v[34:35], v[2:3], v[34:35]
	v_mul_f64 v[2:3], v[12:13], v[8:9]
	v_fma_f64 v[4:5], v[12:13], v[6:7], v[4:5]
	v_fma_f64 v[2:3], v[10:11], v[6:7], -v[2:3]
	v_add_f64 v[16:17], v[4:5], v[16:17]
	v_add_f64 v[14:15], v[14:15], v[2:3]
	ds_read_b128 v[2:5], v24 offset:1536
	s_waitcnt lgkmcnt(0)
	v_mul_f64 v[6:7], v[42:43], v[4:5]
	v_mul_f64 v[8:9], v[40:41], v[4:5]
	v_fma_f64 v[6:7], v[40:41], v[2:3], -v[6:7]
	v_fma_f64 v[8:9], v[42:43], v[2:3], v[8:9]
	v_add_f64 v[36:37], v[44:45], v[6:7]
	v_add_f64 v[38:39], v[8:9], v[46:47]
	ds_read_b128 v[6:9], v24 offset:1792
	s_waitcnt lgkmcnt(0)
	v_mul_f64 v[10:11], v[42:43], v[8:9]
	v_mul_f64 v[12:13], v[40:41], v[8:9]
	v_fma_f64 v[10:11], v[40:41], v[6:7], -v[10:11]
	v_fma_f64 v[12:13], v[42:43], v[6:7], v[12:13]
	;; [unrolled: 8-line block ×3, first 2 shown]
	v_mul_f64 v[4:5], v[10:11], v[8:9]
	v_add_f64 v[32:33], v[32:33], v[40:41]
	v_add_f64 v[34:35], v[2:3], v[34:35]
	v_mul_f64 v[2:3], v[12:13], v[8:9]
	v_fma_f64 v[4:5], v[12:13], v[6:7], v[4:5]
	v_fma_f64 v[2:3], v[10:11], v[6:7], -v[2:3]
	v_add_f64 v[16:17], v[4:5], v[16:17]
	v_add_f64 v[14:15], v[14:15], v[2:3]
	ds_read_b128 v[2:5], v25 offset:64
	ds_read_b128 v[6:9], v24 offset:2048
	s_waitcnt lgkmcnt(0)
	v_mul_f64 v[10:11], v[4:5], v[8:9]
	v_mul_f64 v[12:13], v[2:3], v[8:9]
	v_fma_f64 v[10:11], v[2:3], v[6:7], -v[10:11]
	v_fma_f64 v[12:13], v[4:5], v[6:7], v[12:13]
	v_add_f64 v[36:37], v[36:37], v[10:11]
	v_add_f64 v[38:39], v[12:13], v[38:39]
	ds_read_b128 v[10:13], v24 offset:2304
	s_waitcnt lgkmcnt(0)
	v_mul_f64 v[40:41], v[4:5], v[12:13]
	v_fma_f64 v[40:41], v[2:3], v[10:11], -v[40:41]
	v_mul_f64 v[2:3], v[2:3], v[12:13]
	v_add_f64 v[30:31], v[30:31], v[40:41]
	v_fma_f64 v[2:3], v[4:5], v[10:11], v[2:3]
	v_add_f64 v[28:29], v[2:3], v[28:29]
	ds_read_b128 v[2:5], v25 offset:2112
	s_waitcnt lgkmcnt(0)
	v_mul_f64 v[40:41], v[4:5], v[8:9]
	v_mul_f64 v[8:9], v[2:3], v[8:9]
	v_fma_f64 v[40:41], v[2:3], v[6:7], -v[40:41]
	v_fma_f64 v[6:7], v[4:5], v[6:7], v[8:9]
	v_add_f64 v[32:33], v[32:33], v[40:41]
	v_add_f64 v[34:35], v[6:7], v[34:35]
	v_mul_f64 v[6:7], v[4:5], v[12:13]
	v_fma_f64 v[6:7], v[2:3], v[10:11], -v[6:7]
	v_mul_f64 v[2:3], v[2:3], v[12:13]
	v_add_f64 v[14:15], v[14:15], v[6:7]
	v_fma_f64 v[2:3], v[4:5], v[10:11], v[2:3]
	v_add_f64 v[16:17], v[2:3], v[16:17]
	ds_read_b128 v[2:5], v25 offset:80
	ds_read_b128 v[6:9], v24 offset:2560
	s_waitcnt lgkmcnt(0)
	v_mul_f64 v[10:11], v[4:5], v[8:9]
	v_mul_f64 v[12:13], v[2:3], v[8:9]
	v_fma_f64 v[10:11], v[2:3], v[6:7], -v[10:11]
	v_fma_f64 v[12:13], v[4:5], v[6:7], v[12:13]
	v_add_f64 v[36:37], v[36:37], v[10:11]
	v_add_f64 v[38:39], v[12:13], v[38:39]
	ds_read_b128 v[10:13], v24 offset:2816
	s_waitcnt lgkmcnt(0)
	v_mul_f64 v[40:41], v[4:5], v[12:13]
	v_fma_f64 v[40:41], v[2:3], v[10:11], -v[40:41]
	v_mul_f64 v[2:3], v[2:3], v[12:13]
	v_add_f64 v[30:31], v[30:31], v[40:41]
	v_fma_f64 v[2:3], v[4:5], v[10:11], v[2:3]
	v_add_f64 v[28:29], v[2:3], v[28:29]
	ds_read_b128 v[2:5], v25 offset:2128
	s_waitcnt lgkmcnt(0)
	v_mul_f64 v[40:41], v[4:5], v[8:9]
	v_mul_f64 v[8:9], v[2:3], v[8:9]
	v_fma_f64 v[40:41], v[2:3], v[6:7], -v[40:41]
	v_fma_f64 v[6:7], v[4:5], v[6:7], v[8:9]
	v_add_f64 v[32:33], v[32:33], v[40:41]
	v_add_f64 v[34:35], v[6:7], v[34:35]
	v_mul_f64 v[6:7], v[4:5], v[12:13]
	v_fma_f64 v[6:7], v[2:3], v[10:11], -v[6:7]
	v_mul_f64 v[2:3], v[2:3], v[12:13]
	v_add_f64 v[14:15], v[14:15], v[6:7]
	v_fma_f64 v[2:3], v[4:5], v[10:11], v[2:3]
	;; [unrolled: 31-line block ×3, first 2 shown]
	v_add_f64 v[50:51], v[2:3], v[16:17]
	ds_read_b128 v[2:5], v25 offset:112
	ds_read_b128 v[6:9], v24 offset:3584
	;; [unrolled: 1-line block ×4, first 2 shown]
	s_waitcnt lgkmcnt(0)
	s_barrier
	v_mul_f64 v[10:11], v[4:5], v[8:9]
	v_mul_f64 v[12:13], v[2:3], v[8:9]
	v_fma_f64 v[10:11], v[2:3], v[6:7], -v[10:11]
	v_fma_f64 v[12:13], v[4:5], v[6:7], v[12:13]
	v_add_f64 v[14:15], v[36:37], v[10:11]
	v_mul_f64 v[10:11], v[4:5], v[30:31]
	v_add_f64 v[16:17], v[12:13], v[38:39]
	v_fma_f64 v[10:11], v[2:3], v[28:29], -v[10:11]
	v_mul_f64 v[2:3], v[2:3], v[30:31]
	v_fma_f64 v[4:5], v[4:5], v[28:29], v[2:3]
	v_add_f64 v[2:3], v[40:41], v[10:11]
	v_mul_f64 v[10:11], v[34:35], v[8:9]
	v_mul_f64 v[8:9], v[32:33], v[8:9]
	v_add_f64 v[4:5], v[4:5], v[42:43]
	v_fma_f64 v[10:11], v[32:33], v[6:7], -v[10:11]
	v_fma_f64 v[6:7], v[34:35], v[6:7], v[8:9]
	v_mul_f64 v[8:9], v[32:33], v[30:31]
	v_add_f64 v[10:11], v[44:45], v[10:11]
	v_add_f64 v[12:13], v[6:7], v[46:47]
	v_mul_f64 v[6:7], v[34:35], v[30:31]
	v_fma_f64 v[8:9], v[34:35], v[28:29], v[8:9]
	v_fma_f64 v[6:7], v[32:33], v[28:29], -v[6:7]
	v_add_f64 v[8:9], v[8:9], v[50:51]
	v_mov_b32_e32 v29, s9
	v_mov_b32_e32 v28, s8
	v_cmp_le_u64_e32 vcc, s[0:1], v[28:29]
	v_add_f64 v[6:7], v[48:49], v[6:7]
	s_cbranch_vccz .LBB1639_2
	s_branch .LBB1639_4
.LBB1639_3:
	v_mov_b32_e32 v14, 0
	v_mov_b32_e32 v16, 0
	;; [unrolled: 1-line block ×16, first 2 shown]
.LBB1639_4:
	v_add_u32_e32 v18, s19, v1
	v_ashrrev_i32_e32 v1, 31, v18
	v_mul_lo_u32 v1, s14, v1
	v_mul_lo_u32 v21, s15, v18
	v_mad_u64_u32 v[19:20], s[0:1], s14, v18, 0
	s_load_dword s4, s[4:5], 0x0
	v_add_u32_e32 v0, s18, v0
	v_add3_u32 v20, v20, v1, v21
	v_lshlrev_b64 v[19:20], 4, v[19:20]
	s_waitcnt lgkmcnt(0)
	v_mov_b32_e32 v1, s13
	v_add_co_u32_e32 v19, vcc, s12, v19
	v_addc_co_u32_e32 v20, vcc, v1, v20, vcc
	v_cmp_le_i32_e64 s[0:1], v18, v0
	v_cmp_gt_i32_e32 vcc, s4, v0
	s_and_b64 s[0:1], s[0:1], vcc
	s_and_saveexec_b64 s[2:3], s[0:1]
	s_cbranch_execz .LBB1639_6
; %bb.5:
	v_ashrrev_i32_e32 v1, 31, v0
	v_lshlrev_b64 v[21:22], 4, v[0:1]
	v_xor_b32_e32 v15, 0x80000000, v15
	v_add_co_u32_e64 v21, s[0:1], v19, v21
	v_xor_b32_e32 v17, 0x80000000, v17
	v_addc_co_u32_e64 v22, s[0:1], v20, v22, s[0:1]
	flat_store_dwordx4 v[21:22], v[14:17]
.LBB1639_6:
	s_or_b64 exec, exec, s[2:3]
	v_add_u32_e32 v14, 16, v0
	v_cmp_le_i32_e64 s[2:3], v18, v14
	v_cmp_gt_i32_e64 s[0:1], s4, v14
	s_and_b64 s[2:3], s[2:3], s[0:1]
	s_and_saveexec_b64 s[4:5], s[2:3]
	s_cbranch_execz .LBB1639_8
; %bb.7:
	v_ashrrev_i32_e32 v15, 31, v14
	v_lshlrev_b64 v[15:16], 4, v[14:15]
	v_xor_b32_e32 v3, 0x80000000, v3
	v_add_co_u32_e64 v15, s[2:3], v19, v15
	v_xor_b32_e32 v5, 0x80000000, v5
	v_addc_co_u32_e64 v16, s[2:3], v20, v16, s[2:3]
	flat_store_dwordx4 v[15:16], v[2:5]
.LBB1639_8:
	s_or_b64 exec, exec, s[4:5]
	v_add_u32_e32 v4, 16, v18
	v_ashrrev_i32_e32 v3, 31, v4
	v_mul_lo_u32 v5, s15, v4
	v_mad_u64_u32 v[1:2], s[2:3], s14, v4, 0
	v_mul_lo_u32 v3, s14, v3
	v_add3_u32 v2, v2, v3, v5
	v_lshlrev_b64 v[2:3], 4, v[1:2]
	v_mov_b32_e32 v1, s13
	v_add_co_u32_e64 v2, s[2:3], s12, v2
	v_addc_co_u32_e64 v3, s[2:3], v1, v3, s[2:3]
	v_cmp_le_i32_e64 s[2:3], v4, v0
	s_and_b64 s[4:5], s[2:3], vcc
	s_and_saveexec_b64 s[2:3], s[4:5]
	s_cbranch_execz .LBB1639_10
; %bb.9:
	v_ashrrev_i32_e32 v1, 31, v0
	v_lshlrev_b64 v[0:1], 4, v[0:1]
	v_xor_b32_e32 v11, 0x80000000, v11
	v_add_co_u32_e32 v0, vcc, v2, v0
	v_xor_b32_e32 v13, 0x80000000, v13
	v_addc_co_u32_e32 v1, vcc, v3, v1, vcc
	flat_store_dwordx4 v[0:1], v[10:13]
.LBB1639_10:
	s_or_b64 exec, exec, s[2:3]
	v_cmp_le_i32_e32 vcc, v4, v14
	s_and_b64 s[0:1], vcc, s[0:1]
	s_and_saveexec_b64 s[2:3], s[0:1]
	s_cbranch_execz .LBB1639_12
; %bb.11:
	v_ashrrev_i32_e32 v15, 31, v14
	v_lshlrev_b64 v[0:1], 4, v[14:15]
	v_xor_b32_e32 v7, 0x80000000, v7
	v_add_co_u32_e32 v0, vcc, v2, v0
	v_xor_b32_e32 v9, 0x80000000, v9
	v_addc_co_u32_e32 v1, vcc, v3, v1, vcc
	flat_store_dwordx4 v[0:1], v[6:9]
.LBB1639_12:
	s_endpgm
	.section	.rodata,"a",@progbits
	.p2align	6, 0x0
	.amdhsa_kernel _ZL37rocblas_syrkx_herkx_restricted_kernelIl19rocblas_complex_numIdELi16ELi32ELi8ELin1ELi0ELb0ELc78ELc76EKPKS1_KPS1_EviT_PT9_S7_lS9_S7_lPT10_S7_li
		.amdhsa_group_segment_fixed_size 8192
		.amdhsa_private_segment_fixed_size 0
		.amdhsa_kernarg_size 92
		.amdhsa_user_sgpr_count 6
		.amdhsa_user_sgpr_private_segment_buffer 1
		.amdhsa_user_sgpr_dispatch_ptr 0
		.amdhsa_user_sgpr_queue_ptr 0
		.amdhsa_user_sgpr_kernarg_segment_ptr 1
		.amdhsa_user_sgpr_dispatch_id 0
		.amdhsa_user_sgpr_flat_scratch_init 0
		.amdhsa_user_sgpr_private_segment_size 0
		.amdhsa_uses_dynamic_stack 0
		.amdhsa_system_sgpr_private_segment_wavefront_offset 0
		.amdhsa_system_sgpr_workgroup_id_x 1
		.amdhsa_system_sgpr_workgroup_id_y 1
		.amdhsa_system_sgpr_workgroup_id_z 1
		.amdhsa_system_sgpr_workgroup_info 0
		.amdhsa_system_vgpr_workitem_id 1
		.amdhsa_next_free_vgpr 54
		.amdhsa_next_free_sgpr 61
		.amdhsa_reserve_vcc 1
		.amdhsa_reserve_flat_scratch 0
		.amdhsa_float_round_mode_32 0
		.amdhsa_float_round_mode_16_64 0
		.amdhsa_float_denorm_mode_32 3
		.amdhsa_float_denorm_mode_16_64 3
		.amdhsa_dx10_clamp 1
		.amdhsa_ieee_mode 1
		.amdhsa_fp16_overflow 0
		.amdhsa_exception_fp_ieee_invalid_op 0
		.amdhsa_exception_fp_denorm_src 0
		.amdhsa_exception_fp_ieee_div_zero 0
		.amdhsa_exception_fp_ieee_overflow 0
		.amdhsa_exception_fp_ieee_underflow 0
		.amdhsa_exception_fp_ieee_inexact 0
		.amdhsa_exception_int_div_zero 0
	.end_amdhsa_kernel
	.section	.text._ZL37rocblas_syrkx_herkx_restricted_kernelIl19rocblas_complex_numIdELi16ELi32ELi8ELin1ELi0ELb0ELc78ELc76EKPKS1_KPS1_EviT_PT9_S7_lS9_S7_lPT10_S7_li,"axG",@progbits,_ZL37rocblas_syrkx_herkx_restricted_kernelIl19rocblas_complex_numIdELi16ELi32ELi8ELin1ELi0ELb0ELc78ELc76EKPKS1_KPS1_EviT_PT9_S7_lS9_S7_lPT10_S7_li,comdat
.Lfunc_end1639:
	.size	_ZL37rocblas_syrkx_herkx_restricted_kernelIl19rocblas_complex_numIdELi16ELi32ELi8ELin1ELi0ELb0ELc78ELc76EKPKS1_KPS1_EviT_PT9_S7_lS9_S7_lPT10_S7_li, .Lfunc_end1639-_ZL37rocblas_syrkx_herkx_restricted_kernelIl19rocblas_complex_numIdELi16ELi32ELi8ELin1ELi0ELb0ELc78ELc76EKPKS1_KPS1_EviT_PT9_S7_lS9_S7_lPT10_S7_li
                                        ; -- End function
	.set _ZL37rocblas_syrkx_herkx_restricted_kernelIl19rocblas_complex_numIdELi16ELi32ELi8ELin1ELi0ELb0ELc78ELc76EKPKS1_KPS1_EviT_PT9_S7_lS9_S7_lPT10_S7_li.num_vgpr, 54
	.set _ZL37rocblas_syrkx_herkx_restricted_kernelIl19rocblas_complex_numIdELi16ELi32ELi8ELin1ELi0ELb0ELc78ELc76EKPKS1_KPS1_EviT_PT9_S7_lS9_S7_lPT10_S7_li.num_agpr, 0
	.set _ZL37rocblas_syrkx_herkx_restricted_kernelIl19rocblas_complex_numIdELi16ELi32ELi8ELin1ELi0ELb0ELc78ELc76EKPKS1_KPS1_EviT_PT9_S7_lS9_S7_lPT10_S7_li.numbered_sgpr, 22
	.set _ZL37rocblas_syrkx_herkx_restricted_kernelIl19rocblas_complex_numIdELi16ELi32ELi8ELin1ELi0ELb0ELc78ELc76EKPKS1_KPS1_EviT_PT9_S7_lS9_S7_lPT10_S7_li.num_named_barrier, 0
	.set _ZL37rocblas_syrkx_herkx_restricted_kernelIl19rocblas_complex_numIdELi16ELi32ELi8ELin1ELi0ELb0ELc78ELc76EKPKS1_KPS1_EviT_PT9_S7_lS9_S7_lPT10_S7_li.private_seg_size, 0
	.set _ZL37rocblas_syrkx_herkx_restricted_kernelIl19rocblas_complex_numIdELi16ELi32ELi8ELin1ELi0ELb0ELc78ELc76EKPKS1_KPS1_EviT_PT9_S7_lS9_S7_lPT10_S7_li.uses_vcc, 1
	.set _ZL37rocblas_syrkx_herkx_restricted_kernelIl19rocblas_complex_numIdELi16ELi32ELi8ELin1ELi0ELb0ELc78ELc76EKPKS1_KPS1_EviT_PT9_S7_lS9_S7_lPT10_S7_li.uses_flat_scratch, 0
	.set _ZL37rocblas_syrkx_herkx_restricted_kernelIl19rocblas_complex_numIdELi16ELi32ELi8ELin1ELi0ELb0ELc78ELc76EKPKS1_KPS1_EviT_PT9_S7_lS9_S7_lPT10_S7_li.has_dyn_sized_stack, 0
	.set _ZL37rocblas_syrkx_herkx_restricted_kernelIl19rocblas_complex_numIdELi16ELi32ELi8ELin1ELi0ELb0ELc78ELc76EKPKS1_KPS1_EviT_PT9_S7_lS9_S7_lPT10_S7_li.has_recursion, 0
	.set _ZL37rocblas_syrkx_herkx_restricted_kernelIl19rocblas_complex_numIdELi16ELi32ELi8ELin1ELi0ELb0ELc78ELc76EKPKS1_KPS1_EviT_PT9_S7_lS9_S7_lPT10_S7_li.has_indirect_call, 0
	.section	.AMDGPU.csdata,"",@progbits
; Kernel info:
; codeLenInByte = 2856
; TotalNumSgprs: 26
; NumVgprs: 54
; ScratchSize: 0
; MemoryBound: 0
; FloatMode: 240
; IeeeMode: 1
; LDSByteSize: 8192 bytes/workgroup (compile time only)
; SGPRBlocks: 8
; VGPRBlocks: 13
; NumSGPRsForWavesPerEU: 65
; NumVGPRsForWavesPerEU: 54
; Occupancy: 4
; WaveLimiterHint : 1
; COMPUTE_PGM_RSRC2:SCRATCH_EN: 0
; COMPUTE_PGM_RSRC2:USER_SGPR: 6
; COMPUTE_PGM_RSRC2:TRAP_HANDLER: 0
; COMPUTE_PGM_RSRC2:TGID_X_EN: 1
; COMPUTE_PGM_RSRC2:TGID_Y_EN: 1
; COMPUTE_PGM_RSRC2:TGID_Z_EN: 1
; COMPUTE_PGM_RSRC2:TIDIG_COMP_CNT: 1
	.section	.text._ZL37rocblas_syrkx_herkx_restricted_kernelIl19rocblas_complex_numIdELi16ELi32ELi8ELin1ELi0ELb0ELc84ELc85EKPKS1_KPS1_EviT_PT9_S7_lS9_S7_lPT10_S7_li,"axG",@progbits,_ZL37rocblas_syrkx_herkx_restricted_kernelIl19rocblas_complex_numIdELi16ELi32ELi8ELin1ELi0ELb0ELc84ELc85EKPKS1_KPS1_EviT_PT9_S7_lS9_S7_lPT10_S7_li,comdat
	.globl	_ZL37rocblas_syrkx_herkx_restricted_kernelIl19rocblas_complex_numIdELi16ELi32ELi8ELin1ELi0ELb0ELc84ELc85EKPKS1_KPS1_EviT_PT9_S7_lS9_S7_lPT10_S7_li ; -- Begin function _ZL37rocblas_syrkx_herkx_restricted_kernelIl19rocblas_complex_numIdELi16ELi32ELi8ELin1ELi0ELb0ELc84ELc85EKPKS1_KPS1_EviT_PT9_S7_lS9_S7_lPT10_S7_li
	.p2align	8
	.type	_ZL37rocblas_syrkx_herkx_restricted_kernelIl19rocblas_complex_numIdELi16ELi32ELi8ELin1ELi0ELb0ELc84ELc85EKPKS1_KPS1_EviT_PT9_S7_lS9_S7_lPT10_S7_li,@function
_ZL37rocblas_syrkx_herkx_restricted_kernelIl19rocblas_complex_numIdELi16ELi32ELi8ELin1ELi0ELb0ELc84ELc85EKPKS1_KPS1_EviT_PT9_S7_lS9_S7_lPT10_S7_li: ; @_ZL37rocblas_syrkx_herkx_restricted_kernelIl19rocblas_complex_numIdELi16ELi32ELi8ELin1ELi0ELb0ELc84ELc85EKPKS1_KPS1_EviT_PT9_S7_lS9_S7_lPT10_S7_li
; %bb.0:
	s_load_dwordx4 s[0:3], s[4:5], 0x40
	s_load_dwordx4 s[12:15], s[4:5], 0x8
	s_mov_b32 s9, 0
	s_lshl_b64 s[10:11], s[8:9], 3
	s_waitcnt lgkmcnt(0)
	s_add_u32 s0, s0, s10
	s_addc_u32 s1, s1, s11
	s_load_dwordx2 s[8:9], s[0:1], 0x0
	v_cmp_lt_i64_e64 s[0:1], s[12:13], 1
	s_lshl_b32 s6, s6, 5
	s_lshl_b32 s7, s7, 5
	s_and_b64 vcc, exec, s[0:1]
	s_cbranch_vccnz .LBB1640_3
; %bb.1:
	s_load_dwordx2 s[0:1], s[4:5], 0x18
	s_load_dwordx4 s[16:19], s[4:5], 0x28
	v_lshl_add_u32 v6, v1, 4, v0
	v_lshrrev_b32_e32 v8, 3, v6
	v_add_u32_e32 v4, s7, v8
	v_ashrrev_i32_e32 v5, 31, v4
	v_and_b32_e32 v2, 7, v0
	v_mov_b32_e32 v3, 0
	s_waitcnt lgkmcnt(0)
	v_mul_lo_u32 v7, s18, v5
	v_mul_lo_u32 v9, s19, v4
	v_mad_u64_u32 v[4:5], s[18:19], s18, v4, v[2:3]
	s_add_u32 s14, s14, s10
	v_lshlrev_b32_e32 v2, 4, v2
	v_add3_u32 v5, v9, v5, v7
	v_and_b32_e32 v9, 31, v6
	s_addc_u32 s15, s15, s11
	v_lshl_or_b32 v2, v8, 7, v2
	v_add_u32_e32 v8, s6, v9
	s_add_u32 s10, s16, s10
	v_lshrrev_b32_e32 v6, 5, v6
	v_mov_b32_e32 v7, v3
	v_lshlrev_b32_e32 v3, 4, v9
	v_add_u32_e32 v23, 0x1000, v2
	v_ashrrev_i32_e32 v2, 31, v8
	s_addc_u32 s11, s17, s11
	v_lshl_or_b32 v22, v6, 9, v3
	v_mul_lo_u32 v9, s0, v2
	v_mad_u64_u32 v[2:3], s[16:17], s0, v8, v[6:7]
	v_mul_lo_u32 v6, s1, v8
	s_load_dwordx2 s[14:15], s[14:15], 0x0
	v_mov_b32_e32 v7, 0x1000
	s_load_dwordx2 s[10:11], s[10:11], 0x0
	v_add3_u32 v3, v6, v3, v9
	v_lshlrev_b64 v[2:3], 4, v[2:3]
	s_waitcnt lgkmcnt(0)
	v_mov_b32_e32 v6, s15
	v_add_co_u32_e32 v18, vcc, s14, v2
	v_addc_co_u32_e32 v19, vcc, v6, v3, vcc
	v_lshlrev_b64 v[2:3], 4, v[4:5]
	v_mov_b32_e32 v4, s11
	v_add_co_u32_e32 v20, vcc, s10, v2
	v_lshl_add_u32 v25, v1, 7, v7
	v_addc_co_u32_e32 v21, vcc, v4, v3, vcc
	v_mov_b32_e32 v8, 0
	v_mov_b32_e32 v6, 0
	;; [unrolled: 1-line block ×8, first 2 shown]
	v_lshlrev_b32_e32 v24, 4, v0
	v_mov_b32_e32 v9, 0
	v_mov_b32_e32 v7, 0
	;; [unrolled: 1-line block ×8, first 2 shown]
	s_mov_b64 s[0:1], 0
.LBB1640_2:                             ; =>This Inner Loop Header: Depth=1
	flat_load_dwordx4 v[26:29], v[18:19]
	s_add_u32 s0, s0, 8
	v_add_co_u32_e32 v18, vcc, 0x80, v18
	s_addc_u32 s1, s1, 0
	v_addc_co_u32_e32 v19, vcc, 0, v19, vcc
	s_waitcnt vmcnt(0) lgkmcnt(0)
	ds_write_b128 v22, v[26:29]
	flat_load_dwordx4 v[26:29], v[20:21]
	v_add_co_u32_e32 v20, vcc, 0x80, v20
	v_addc_co_u32_e32 v21, vcc, 0, v21, vcc
	s_waitcnt vmcnt(0) lgkmcnt(0)
	ds_write_b128 v23, v[26:29]
	s_waitcnt lgkmcnt(0)
	s_barrier
	ds_read_b128 v[26:29], v25
	ds_read_b128 v[30:33], v25 offset:16
	ds_read_b128 v[34:37], v25 offset:32
	;; [unrolled: 1-line block ×3, first 2 shown]
	ds_read_b128 v[42:45], v24
	s_waitcnt lgkmcnt(0)
	v_mul_f64 v[46:47], v[28:29], v[44:45]
	v_mul_f64 v[48:49], v[26:27], v[44:45]
	v_fma_f64 v[46:47], v[26:27], v[42:43], -v[46:47]
	v_fma_f64 v[48:49], v[28:29], v[42:43], v[48:49]
	v_add_f64 v[46:47], v[10:11], v[46:47]
	v_add_f64 v[48:49], v[48:49], v[12:13]
	ds_read_b128 v[10:13], v24 offset:256
	s_waitcnt lgkmcnt(0)
	v_mul_f64 v[50:51], v[28:29], v[12:13]
	v_fma_f64 v[50:51], v[26:27], v[10:11], -v[50:51]
	v_mul_f64 v[26:27], v[26:27], v[12:13]
	v_fma_f64 v[26:27], v[28:29], v[10:11], v[26:27]
	v_add_f64 v[28:29], v[2:3], v[50:51]
	v_add_f64 v[26:27], v[26:27], v[4:5]
	ds_read_b128 v[2:5], v25 offset:2048
	s_waitcnt lgkmcnt(0)
	v_mul_f64 v[50:51], v[4:5], v[44:45]
	v_mul_f64 v[44:45], v[2:3], v[44:45]
	v_fma_f64 v[50:51], v[2:3], v[42:43], -v[50:51]
	v_fma_f64 v[42:43], v[4:5], v[42:43], v[44:45]
	v_add_f64 v[14:15], v[14:15], v[50:51]
	v_add_f64 v[16:17], v[42:43], v[16:17]
	v_mul_f64 v[42:43], v[4:5], v[12:13]
	v_fma_f64 v[42:43], v[2:3], v[10:11], -v[42:43]
	v_mul_f64 v[2:3], v[2:3], v[12:13]
	v_add_f64 v[42:43], v[6:7], v[42:43]
	v_fma_f64 v[2:3], v[4:5], v[10:11], v[2:3]
	v_add_f64 v[44:45], v[2:3], v[8:9]
	ds_read_b128 v[2:5], v24 offset:512
	s_waitcnt lgkmcnt(0)
	v_mul_f64 v[6:7], v[32:33], v[4:5]
	v_mul_f64 v[8:9], v[30:31], v[4:5]
	v_fma_f64 v[6:7], v[30:31], v[2:3], -v[6:7]
	v_fma_f64 v[8:9], v[32:33], v[2:3], v[8:9]
	v_add_f64 v[46:47], v[46:47], v[6:7]
	v_add_f64 v[48:49], v[8:9], v[48:49]
	ds_read_b128 v[6:9], v24 offset:768
	s_waitcnt lgkmcnt(0)
	v_mul_f64 v[10:11], v[32:33], v[8:9]
	v_mul_f64 v[12:13], v[30:31], v[8:9]
	v_fma_f64 v[10:11], v[30:31], v[6:7], -v[10:11]
	v_fma_f64 v[12:13], v[32:33], v[6:7], v[12:13]
	v_add_f64 v[28:29], v[28:29], v[10:11]
	v_add_f64 v[26:27], v[12:13], v[26:27]
	ds_read_b128 v[10:13], v25 offset:2064
	s_waitcnt lgkmcnt(0)
	v_mul_f64 v[30:31], v[12:13], v[4:5]
	v_mul_f64 v[4:5], v[10:11], v[4:5]
	v_fma_f64 v[30:31], v[10:11], v[2:3], -v[30:31]
	v_fma_f64 v[2:3], v[12:13], v[2:3], v[4:5]
	v_mul_f64 v[4:5], v[10:11], v[8:9]
	v_add_f64 v[14:15], v[14:15], v[30:31]
	v_add_f64 v[16:17], v[2:3], v[16:17]
	v_mul_f64 v[2:3], v[12:13], v[8:9]
	v_fma_f64 v[4:5], v[12:13], v[6:7], v[4:5]
	v_fma_f64 v[2:3], v[10:11], v[6:7], -v[2:3]
	v_add_f64 v[32:33], v[4:5], v[44:45]
	v_add_f64 v[30:31], v[42:43], v[2:3]
	ds_read_b128 v[2:5], v24 offset:1024
	s_waitcnt lgkmcnt(0)
	v_mul_f64 v[6:7], v[36:37], v[4:5]
	v_mul_f64 v[8:9], v[34:35], v[4:5]
	v_fma_f64 v[6:7], v[34:35], v[2:3], -v[6:7]
	v_fma_f64 v[8:9], v[36:37], v[2:3], v[8:9]
	v_add_f64 v[42:43], v[46:47], v[6:7]
	v_add_f64 v[44:45], v[8:9], v[48:49]
	ds_read_b128 v[6:9], v24 offset:1280
	s_waitcnt lgkmcnt(0)
	v_mul_f64 v[10:11], v[36:37], v[8:9]
	v_mul_f64 v[12:13], v[34:35], v[8:9]
	v_fma_f64 v[10:11], v[34:35], v[6:7], -v[10:11]
	v_fma_f64 v[12:13], v[36:37], v[6:7], v[12:13]
	v_add_f64 v[28:29], v[28:29], v[10:11]
	v_add_f64 v[26:27], v[12:13], v[26:27]
	ds_read_b128 v[10:13], v25 offset:2080
	s_waitcnt lgkmcnt(0)
	v_mul_f64 v[34:35], v[12:13], v[4:5]
	v_mul_f64 v[4:5], v[10:11], v[4:5]
	v_fma_f64 v[34:35], v[10:11], v[2:3], -v[34:35]
	v_fma_f64 v[2:3], v[12:13], v[2:3], v[4:5]
	v_mul_f64 v[4:5], v[10:11], v[8:9]
	v_add_f64 v[14:15], v[14:15], v[34:35]
	v_add_f64 v[16:17], v[2:3], v[16:17]
	v_mul_f64 v[2:3], v[12:13], v[8:9]
	v_fma_f64 v[4:5], v[12:13], v[6:7], v[4:5]
	v_fma_f64 v[2:3], v[10:11], v[6:7], -v[2:3]
	v_add_f64 v[32:33], v[4:5], v[32:33]
	;; [unrolled: 30-line block ×3, first 2 shown]
	v_add_f64 v[30:31], v[30:31], v[2:3]
	ds_read_b128 v[2:5], v25 offset:64
	ds_read_b128 v[6:9], v24 offset:2048
	s_waitcnt lgkmcnt(0)
	v_mul_f64 v[10:11], v[4:5], v[8:9]
	v_mul_f64 v[12:13], v[2:3], v[8:9]
	v_fma_f64 v[10:11], v[2:3], v[6:7], -v[10:11]
	v_fma_f64 v[12:13], v[4:5], v[6:7], v[12:13]
	v_add_f64 v[34:35], v[34:35], v[10:11]
	v_add_f64 v[36:37], v[12:13], v[36:37]
	ds_read_b128 v[10:13], v24 offset:2304
	s_waitcnt lgkmcnt(0)
	v_mul_f64 v[38:39], v[4:5], v[12:13]
	v_fma_f64 v[38:39], v[2:3], v[10:11], -v[38:39]
	v_mul_f64 v[2:3], v[2:3], v[12:13]
	v_add_f64 v[28:29], v[28:29], v[38:39]
	v_fma_f64 v[2:3], v[4:5], v[10:11], v[2:3]
	v_add_f64 v[26:27], v[2:3], v[26:27]
	ds_read_b128 v[2:5], v25 offset:2112
	s_waitcnt lgkmcnt(0)
	v_mul_f64 v[38:39], v[4:5], v[8:9]
	v_mul_f64 v[8:9], v[2:3], v[8:9]
	v_fma_f64 v[38:39], v[2:3], v[6:7], -v[38:39]
	v_fma_f64 v[6:7], v[4:5], v[6:7], v[8:9]
	v_add_f64 v[14:15], v[14:15], v[38:39]
	v_add_f64 v[16:17], v[6:7], v[16:17]
	v_mul_f64 v[6:7], v[4:5], v[12:13]
	v_fma_f64 v[6:7], v[2:3], v[10:11], -v[6:7]
	v_mul_f64 v[2:3], v[2:3], v[12:13]
	v_add_f64 v[30:31], v[30:31], v[6:7]
	v_fma_f64 v[2:3], v[4:5], v[10:11], v[2:3]
	v_add_f64 v[32:33], v[2:3], v[32:33]
	ds_read_b128 v[2:5], v25 offset:80
	ds_read_b128 v[6:9], v24 offset:2560
	s_waitcnt lgkmcnt(0)
	v_mul_f64 v[10:11], v[4:5], v[8:9]
	v_mul_f64 v[12:13], v[2:3], v[8:9]
	v_fma_f64 v[10:11], v[2:3], v[6:7], -v[10:11]
	v_fma_f64 v[12:13], v[4:5], v[6:7], v[12:13]
	v_add_f64 v[34:35], v[34:35], v[10:11]
	v_add_f64 v[36:37], v[12:13], v[36:37]
	ds_read_b128 v[10:13], v24 offset:2816
	s_waitcnt lgkmcnt(0)
	v_mul_f64 v[38:39], v[4:5], v[12:13]
	v_fma_f64 v[38:39], v[2:3], v[10:11], -v[38:39]
	v_mul_f64 v[2:3], v[2:3], v[12:13]
	v_add_f64 v[28:29], v[28:29], v[38:39]
	v_fma_f64 v[2:3], v[4:5], v[10:11], v[2:3]
	v_add_f64 v[26:27], v[2:3], v[26:27]
	ds_read_b128 v[2:5], v25 offset:2128
	s_waitcnt lgkmcnt(0)
	v_mul_f64 v[38:39], v[4:5], v[8:9]
	v_mul_f64 v[8:9], v[2:3], v[8:9]
	v_fma_f64 v[38:39], v[2:3], v[6:7], -v[38:39]
	v_fma_f64 v[6:7], v[4:5], v[6:7], v[8:9]
	v_add_f64 v[14:15], v[14:15], v[38:39]
	v_add_f64 v[16:17], v[6:7], v[16:17]
	v_mul_f64 v[6:7], v[4:5], v[12:13]
	v_fma_f64 v[6:7], v[2:3], v[10:11], -v[6:7]
	v_mul_f64 v[2:3], v[2:3], v[12:13]
	v_add_f64 v[30:31], v[30:31], v[6:7]
	v_fma_f64 v[2:3], v[4:5], v[10:11], v[2:3]
	;; [unrolled: 31-line block ×3, first 2 shown]
	v_add_f64 v[44:45], v[2:3], v[32:33]
	ds_read_b128 v[2:5], v25 offset:112
	ds_read_b128 v[6:9], v24 offset:3584
	;; [unrolled: 1-line block ×3, first 2 shown]
	s_waitcnt lgkmcnt(1)
	v_mul_f64 v[10:11], v[4:5], v[8:9]
	s_waitcnt lgkmcnt(0)
	v_mul_f64 v[30:31], v[4:5], v[28:29]
	v_mul_f64 v[12:13], v[2:3], v[8:9]
	v_fma_f64 v[10:11], v[2:3], v[6:7], -v[10:11]
	v_fma_f64 v[30:31], v[2:3], v[26:27], -v[30:31]
	v_mul_f64 v[2:3], v[2:3], v[28:29]
	v_fma_f64 v[12:13], v[4:5], v[6:7], v[12:13]
	v_add_f64 v[10:11], v[34:35], v[10:11]
	v_fma_f64 v[4:5], v[4:5], v[26:27], v[2:3]
	v_add_f64 v[2:3], v[38:39], v[30:31]
	ds_read_b128 v[30:33], v25 offset:2160
	v_add_f64 v[12:13], v[12:13], v[36:37]
	s_waitcnt lgkmcnt(0)
	s_barrier
	v_mul_f64 v[34:35], v[32:33], v[8:9]
	v_mul_f64 v[8:9], v[30:31], v[8:9]
	v_add_f64 v[4:5], v[4:5], v[40:41]
	v_fma_f64 v[34:35], v[30:31], v[6:7], -v[34:35]
	v_fma_f64 v[6:7], v[32:33], v[6:7], v[8:9]
	v_mul_f64 v[8:9], v[30:31], v[28:29]
	v_add_f64 v[14:15], v[14:15], v[34:35]
	v_add_f64 v[16:17], v[6:7], v[16:17]
	v_mul_f64 v[6:7], v[32:33], v[28:29]
	v_fma_f64 v[8:9], v[32:33], v[26:27], v[8:9]
	v_fma_f64 v[6:7], v[30:31], v[26:27], -v[6:7]
	v_add_f64 v[8:9], v[8:9], v[44:45]
	v_mov_b32_e32 v27, s1
	v_mov_b32_e32 v26, s0
	v_cmp_le_u64_e32 vcc, s[12:13], v[26:27]
	v_add_f64 v[6:7], v[42:43], v[6:7]
	s_cbranch_vccz .LBB1640_2
	s_branch .LBB1640_4
.LBB1640_3:
	v_mov_b32_e32 v10, 0
	v_mov_b32_e32 v12, 0
	;; [unrolled: 1-line block ×16, first 2 shown]
.LBB1640_4:
	v_add_u32_e32 v18, s7, v1
	v_ashrrev_i32_e32 v1, 31, v18
	v_mul_lo_u32 v1, s2, v1
	v_mul_lo_u32 v21, s3, v18
	v_mad_u64_u32 v[19:20], s[0:1], s2, v18, 0
	s_load_dword s10, s[4:5], 0x0
	v_add_u32_e32 v0, s6, v0
	v_add3_u32 v20, v20, v1, v21
	v_lshlrev_b64 v[19:20], 4, v[19:20]
	s_waitcnt lgkmcnt(0)
	v_mov_b32_e32 v1, s9
	v_add_co_u32_e64 v19, s[0:1], s8, v19
	v_addc_co_u32_e64 v20, s[0:1], v1, v20, s[0:1]
	v_cmp_gt_i32_e32 vcc, s10, v18
	v_cmp_le_i32_e64 s[0:1], v0, v18
	s_and_b64 s[0:1], vcc, s[0:1]
	s_and_saveexec_b64 s[4:5], s[0:1]
	s_cbranch_execz .LBB1640_6
; %bb.5:
	v_ashrrev_i32_e32 v1, 31, v0
	v_lshlrev_b64 v[21:22], 4, v[0:1]
	v_xor_b32_e32 v11, 0x80000000, v11
	v_add_co_u32_e64 v21, s[0:1], v19, v21
	v_xor_b32_e32 v13, 0x80000000, v13
	v_addc_co_u32_e64 v22, s[0:1], v20, v22, s[0:1]
	flat_store_dwordx4 v[21:22], v[10:13]
.LBB1640_6:
	s_or_b64 exec, exec, s[4:5]
	v_add_u32_e32 v10, 16, v0
	v_cmp_le_i32_e64 s[0:1], v10, v18
	s_and_b64 s[4:5], vcc, s[0:1]
	s_and_saveexec_b64 s[0:1], s[4:5]
	s_cbranch_execz .LBB1640_8
; %bb.7:
	v_ashrrev_i32_e32 v11, 31, v10
	v_lshlrev_b64 v[11:12], 4, v[10:11]
	v_xor_b32_e32 v3, 0x80000000, v3
	v_add_co_u32_e32 v11, vcc, v19, v11
	v_xor_b32_e32 v5, 0x80000000, v5
	v_addc_co_u32_e32 v12, vcc, v20, v12, vcc
	flat_store_dwordx4 v[11:12], v[2:5]
.LBB1640_8:
	s_or_b64 exec, exec, s[0:1]
	v_add_u32_e32 v4, 16, v18
	v_ashrrev_i32_e32 v1, 31, v4
	v_mul_lo_u32 v3, s2, v1
	v_mul_lo_u32 v5, s3, v4
	v_mad_u64_u32 v[1:2], s[0:1], s2, v4, 0
	v_cmp_gt_i32_e32 vcc, s10, v4
	v_add3_u32 v2, v2, v3, v5
	v_lshlrev_b64 v[2:3], 4, v[1:2]
	v_mov_b32_e32 v1, s9
	v_add_co_u32_e64 v2, s[0:1], s8, v2
	v_addc_co_u32_e64 v3, s[0:1], v1, v3, s[0:1]
	v_cmp_le_i32_e64 s[0:1], v0, v4
	s_and_b64 s[0:1], vcc, s[0:1]
	s_and_saveexec_b64 s[2:3], s[0:1]
	s_cbranch_execz .LBB1640_10
; %bb.9:
	v_ashrrev_i32_e32 v1, 31, v0
	v_lshlrev_b64 v[0:1], 4, v[0:1]
	v_xor_b32_e32 v15, 0x80000000, v15
	v_add_co_u32_e64 v0, s[0:1], v2, v0
	v_xor_b32_e32 v17, 0x80000000, v17
	v_addc_co_u32_e64 v1, s[0:1], v3, v1, s[0:1]
	flat_store_dwordx4 v[0:1], v[14:17]
.LBB1640_10:
	s_or_b64 exec, exec, s[2:3]
	v_cmp_le_i32_e64 s[0:1], v10, v4
	s_and_b64 s[0:1], vcc, s[0:1]
	s_and_saveexec_b64 s[2:3], s[0:1]
	s_cbranch_execz .LBB1640_12
; %bb.11:
	v_ashrrev_i32_e32 v11, 31, v10
	v_lshlrev_b64 v[0:1], 4, v[10:11]
	v_xor_b32_e32 v7, 0x80000000, v7
	v_add_co_u32_e32 v0, vcc, v2, v0
	v_xor_b32_e32 v9, 0x80000000, v9
	v_addc_co_u32_e32 v1, vcc, v3, v1, vcc
	flat_store_dwordx4 v[0:1], v[6:9]
.LBB1640_12:
	s_endpgm
	.section	.rodata,"a",@progbits
	.p2align	6, 0x0
	.amdhsa_kernel _ZL37rocblas_syrkx_herkx_restricted_kernelIl19rocblas_complex_numIdELi16ELi32ELi8ELin1ELi0ELb0ELc84ELc85EKPKS1_KPS1_EviT_PT9_S7_lS9_S7_lPT10_S7_li
		.amdhsa_group_segment_fixed_size 8192
		.amdhsa_private_segment_fixed_size 0
		.amdhsa_kernarg_size 92
		.amdhsa_user_sgpr_count 6
		.amdhsa_user_sgpr_private_segment_buffer 1
		.amdhsa_user_sgpr_dispatch_ptr 0
		.amdhsa_user_sgpr_queue_ptr 0
		.amdhsa_user_sgpr_kernarg_segment_ptr 1
		.amdhsa_user_sgpr_dispatch_id 0
		.amdhsa_user_sgpr_flat_scratch_init 0
		.amdhsa_user_sgpr_private_segment_size 0
		.amdhsa_uses_dynamic_stack 0
		.amdhsa_system_sgpr_private_segment_wavefront_offset 0
		.amdhsa_system_sgpr_workgroup_id_x 1
		.amdhsa_system_sgpr_workgroup_id_y 1
		.amdhsa_system_sgpr_workgroup_id_z 1
		.amdhsa_system_sgpr_workgroup_info 0
		.amdhsa_system_vgpr_workitem_id 1
		.amdhsa_next_free_vgpr 52
		.amdhsa_next_free_sgpr 61
		.amdhsa_reserve_vcc 1
		.amdhsa_reserve_flat_scratch 0
		.amdhsa_float_round_mode_32 0
		.amdhsa_float_round_mode_16_64 0
		.amdhsa_float_denorm_mode_32 3
		.amdhsa_float_denorm_mode_16_64 3
		.amdhsa_dx10_clamp 1
		.amdhsa_ieee_mode 1
		.amdhsa_fp16_overflow 0
		.amdhsa_exception_fp_ieee_invalid_op 0
		.amdhsa_exception_fp_denorm_src 0
		.amdhsa_exception_fp_ieee_div_zero 0
		.amdhsa_exception_fp_ieee_overflow 0
		.amdhsa_exception_fp_ieee_underflow 0
		.amdhsa_exception_fp_ieee_inexact 0
		.amdhsa_exception_int_div_zero 0
	.end_amdhsa_kernel
	.section	.text._ZL37rocblas_syrkx_herkx_restricted_kernelIl19rocblas_complex_numIdELi16ELi32ELi8ELin1ELi0ELb0ELc84ELc85EKPKS1_KPS1_EviT_PT9_S7_lS9_S7_lPT10_S7_li,"axG",@progbits,_ZL37rocblas_syrkx_herkx_restricted_kernelIl19rocblas_complex_numIdELi16ELi32ELi8ELin1ELi0ELb0ELc84ELc85EKPKS1_KPS1_EviT_PT9_S7_lS9_S7_lPT10_S7_li,comdat
.Lfunc_end1640:
	.size	_ZL37rocblas_syrkx_herkx_restricted_kernelIl19rocblas_complex_numIdELi16ELi32ELi8ELin1ELi0ELb0ELc84ELc85EKPKS1_KPS1_EviT_PT9_S7_lS9_S7_lPT10_S7_li, .Lfunc_end1640-_ZL37rocblas_syrkx_herkx_restricted_kernelIl19rocblas_complex_numIdELi16ELi32ELi8ELin1ELi0ELb0ELc84ELc85EKPKS1_KPS1_EviT_PT9_S7_lS9_S7_lPT10_S7_li
                                        ; -- End function
	.set _ZL37rocblas_syrkx_herkx_restricted_kernelIl19rocblas_complex_numIdELi16ELi32ELi8ELin1ELi0ELb0ELc84ELc85EKPKS1_KPS1_EviT_PT9_S7_lS9_S7_lPT10_S7_li.num_vgpr, 52
	.set _ZL37rocblas_syrkx_herkx_restricted_kernelIl19rocblas_complex_numIdELi16ELi32ELi8ELin1ELi0ELb0ELc84ELc85EKPKS1_KPS1_EviT_PT9_S7_lS9_S7_lPT10_S7_li.num_agpr, 0
	.set _ZL37rocblas_syrkx_herkx_restricted_kernelIl19rocblas_complex_numIdELi16ELi32ELi8ELin1ELi0ELb0ELc84ELc85EKPKS1_KPS1_EviT_PT9_S7_lS9_S7_lPT10_S7_li.numbered_sgpr, 20
	.set _ZL37rocblas_syrkx_herkx_restricted_kernelIl19rocblas_complex_numIdELi16ELi32ELi8ELin1ELi0ELb0ELc84ELc85EKPKS1_KPS1_EviT_PT9_S7_lS9_S7_lPT10_S7_li.num_named_barrier, 0
	.set _ZL37rocblas_syrkx_herkx_restricted_kernelIl19rocblas_complex_numIdELi16ELi32ELi8ELin1ELi0ELb0ELc84ELc85EKPKS1_KPS1_EviT_PT9_S7_lS9_S7_lPT10_S7_li.private_seg_size, 0
	.set _ZL37rocblas_syrkx_herkx_restricted_kernelIl19rocblas_complex_numIdELi16ELi32ELi8ELin1ELi0ELb0ELc84ELc85EKPKS1_KPS1_EviT_PT9_S7_lS9_S7_lPT10_S7_li.uses_vcc, 1
	.set _ZL37rocblas_syrkx_herkx_restricted_kernelIl19rocblas_complex_numIdELi16ELi32ELi8ELin1ELi0ELb0ELc84ELc85EKPKS1_KPS1_EviT_PT9_S7_lS9_S7_lPT10_S7_li.uses_flat_scratch, 0
	.set _ZL37rocblas_syrkx_herkx_restricted_kernelIl19rocblas_complex_numIdELi16ELi32ELi8ELin1ELi0ELb0ELc84ELc85EKPKS1_KPS1_EviT_PT9_S7_lS9_S7_lPT10_S7_li.has_dyn_sized_stack, 0
	.set _ZL37rocblas_syrkx_herkx_restricted_kernelIl19rocblas_complex_numIdELi16ELi32ELi8ELin1ELi0ELb0ELc84ELc85EKPKS1_KPS1_EviT_PT9_S7_lS9_S7_lPT10_S7_li.has_recursion, 0
	.set _ZL37rocblas_syrkx_herkx_restricted_kernelIl19rocblas_complex_numIdELi16ELi32ELi8ELin1ELi0ELb0ELc84ELc85EKPKS1_KPS1_EviT_PT9_S7_lS9_S7_lPT10_S7_li.has_indirect_call, 0
	.section	.AMDGPU.csdata,"",@progbits
; Kernel info:
; codeLenInByte = 2904
; TotalNumSgprs: 24
; NumVgprs: 52
; ScratchSize: 0
; MemoryBound: 0
; FloatMode: 240
; IeeeMode: 1
; LDSByteSize: 8192 bytes/workgroup (compile time only)
; SGPRBlocks: 8
; VGPRBlocks: 12
; NumSGPRsForWavesPerEU: 65
; NumVGPRsForWavesPerEU: 52
; Occupancy: 4
; WaveLimiterHint : 1
; COMPUTE_PGM_RSRC2:SCRATCH_EN: 0
; COMPUTE_PGM_RSRC2:USER_SGPR: 6
; COMPUTE_PGM_RSRC2:TRAP_HANDLER: 0
; COMPUTE_PGM_RSRC2:TGID_X_EN: 1
; COMPUTE_PGM_RSRC2:TGID_Y_EN: 1
; COMPUTE_PGM_RSRC2:TGID_Z_EN: 1
; COMPUTE_PGM_RSRC2:TIDIG_COMP_CNT: 1
	.section	.text._ZL37rocblas_syrkx_herkx_restricted_kernelIl19rocblas_complex_numIdELi16ELi32ELi8ELin1ELi0ELb0ELc67ELc85EKPKS1_KPS1_EviT_PT9_S7_lS9_S7_lPT10_S7_li,"axG",@progbits,_ZL37rocblas_syrkx_herkx_restricted_kernelIl19rocblas_complex_numIdELi16ELi32ELi8ELin1ELi0ELb0ELc67ELc85EKPKS1_KPS1_EviT_PT9_S7_lS9_S7_lPT10_S7_li,comdat
	.globl	_ZL37rocblas_syrkx_herkx_restricted_kernelIl19rocblas_complex_numIdELi16ELi32ELi8ELin1ELi0ELb0ELc67ELc85EKPKS1_KPS1_EviT_PT9_S7_lS9_S7_lPT10_S7_li ; -- Begin function _ZL37rocblas_syrkx_herkx_restricted_kernelIl19rocblas_complex_numIdELi16ELi32ELi8ELin1ELi0ELb0ELc67ELc85EKPKS1_KPS1_EviT_PT9_S7_lS9_S7_lPT10_S7_li
	.p2align	8
	.type	_ZL37rocblas_syrkx_herkx_restricted_kernelIl19rocblas_complex_numIdELi16ELi32ELi8ELin1ELi0ELb0ELc67ELc85EKPKS1_KPS1_EviT_PT9_S7_lS9_S7_lPT10_S7_li,@function
_ZL37rocblas_syrkx_herkx_restricted_kernelIl19rocblas_complex_numIdELi16ELi32ELi8ELin1ELi0ELb0ELc67ELc85EKPKS1_KPS1_EviT_PT9_S7_lS9_S7_lPT10_S7_li: ; @_ZL37rocblas_syrkx_herkx_restricted_kernelIl19rocblas_complex_numIdELi16ELi32ELi8ELin1ELi0ELb0ELc67ELc85EKPKS1_KPS1_EviT_PT9_S7_lS9_S7_lPT10_S7_li
; %bb.0:
	s_load_dwordx4 s[0:3], s[4:5], 0x40
	s_load_dwordx4 s[12:15], s[4:5], 0x8
	s_mov_b32 s9, 0
	s_lshl_b64 s[10:11], s[8:9], 3
	s_waitcnt lgkmcnt(0)
	s_add_u32 s0, s0, s10
	s_addc_u32 s1, s1, s11
	s_load_dwordx2 s[8:9], s[0:1], 0x0
	v_cmp_lt_i64_e64 s[0:1], s[12:13], 1
	s_lshl_b32 s6, s6, 5
	s_lshl_b32 s7, s7, 5
	s_and_b64 vcc, exec, s[0:1]
	s_cbranch_vccnz .LBB1641_3
; %bb.1:
	s_load_dwordx2 s[0:1], s[4:5], 0x18
	s_load_dwordx4 s[16:19], s[4:5], 0x28
	v_lshl_add_u32 v6, v1, 4, v0
	v_lshrrev_b32_e32 v8, 3, v6
	v_add_u32_e32 v4, s7, v8
	v_ashrrev_i32_e32 v5, 31, v4
	v_and_b32_e32 v2, 7, v0
	v_mov_b32_e32 v3, 0
	s_waitcnt lgkmcnt(0)
	v_mul_lo_u32 v7, s18, v5
	v_mul_lo_u32 v9, s19, v4
	v_mad_u64_u32 v[4:5], s[18:19], s18, v4, v[2:3]
	s_add_u32 s14, s14, s10
	v_lshlrev_b32_e32 v2, 4, v2
	v_add3_u32 v5, v9, v5, v7
	v_and_b32_e32 v9, 31, v6
	s_addc_u32 s15, s15, s11
	v_lshl_or_b32 v2, v8, 7, v2
	v_add_u32_e32 v8, s6, v9
	s_add_u32 s10, s16, s10
	v_lshrrev_b32_e32 v6, 5, v6
	v_mov_b32_e32 v7, v3
	v_lshlrev_b32_e32 v3, 4, v9
	v_add_u32_e32 v23, 0x1000, v2
	v_ashrrev_i32_e32 v2, 31, v8
	s_addc_u32 s11, s17, s11
	v_lshl_or_b32 v22, v6, 9, v3
	v_mul_lo_u32 v9, s0, v2
	v_mad_u64_u32 v[2:3], s[16:17], s0, v8, v[6:7]
	v_mul_lo_u32 v6, s1, v8
	s_load_dwordx2 s[14:15], s[14:15], 0x0
	v_mov_b32_e32 v7, 0x1000
	s_load_dwordx2 s[10:11], s[10:11], 0x0
	v_add3_u32 v3, v6, v3, v9
	v_lshlrev_b64 v[2:3], 4, v[2:3]
	s_waitcnt lgkmcnt(0)
	v_mov_b32_e32 v6, s15
	v_add_co_u32_e32 v18, vcc, s14, v2
	v_addc_co_u32_e32 v19, vcc, v6, v3, vcc
	v_lshlrev_b64 v[2:3], 4, v[4:5]
	v_mov_b32_e32 v4, s11
	v_add_co_u32_e32 v20, vcc, s10, v2
	v_lshl_add_u32 v25, v1, 7, v7
	v_addc_co_u32_e32 v21, vcc, v4, v3, vcc
	v_mov_b32_e32 v8, 0
	v_mov_b32_e32 v6, 0
	;; [unrolled: 1-line block ×8, first 2 shown]
	v_lshlrev_b32_e32 v24, 4, v0
	v_mov_b32_e32 v9, 0
	v_mov_b32_e32 v7, 0
	;; [unrolled: 1-line block ×8, first 2 shown]
	s_mov_b64 s[0:1], 0
.LBB1641_2:                             ; =>This Inner Loop Header: Depth=1
	flat_load_dwordx4 v[26:29], v[18:19]
	s_add_u32 s0, s0, 8
	v_add_co_u32_e32 v18, vcc, 0x80, v18
	s_addc_u32 s1, s1, 0
	v_addc_co_u32_e32 v19, vcc, 0, v19, vcc
	s_waitcnt vmcnt(0) lgkmcnt(0)
	ds_write_b128 v22, v[26:29]
	flat_load_dwordx4 v[26:29], v[20:21]
	v_add_co_u32_e32 v20, vcc, 0x80, v20
	v_addc_co_u32_e32 v21, vcc, 0, v21, vcc
	s_waitcnt vmcnt(0) lgkmcnt(0)
	ds_write_b128 v23, v[26:29]
	s_waitcnt lgkmcnt(0)
	s_barrier
	ds_read_b128 v[26:29], v25
	ds_read_b128 v[30:33], v25 offset:16
	ds_read_b128 v[34:37], v25 offset:32
	;; [unrolled: 1-line block ×3, first 2 shown]
	ds_read_b128 v[42:45], v24
	s_waitcnt lgkmcnt(0)
	v_mul_f64 v[46:47], v[28:29], v[44:45]
	v_mul_f64 v[48:49], v[26:27], v[44:45]
	v_fma_f64 v[46:47], v[26:27], v[42:43], -v[46:47]
	v_fma_f64 v[48:49], v[28:29], v[42:43], v[48:49]
	v_add_f64 v[46:47], v[10:11], v[46:47]
	v_add_f64 v[48:49], v[48:49], v[12:13]
	ds_read_b128 v[10:13], v24 offset:256
	s_waitcnt lgkmcnt(0)
	v_mul_f64 v[50:51], v[28:29], v[12:13]
	v_fma_f64 v[50:51], v[26:27], v[10:11], -v[50:51]
	v_mul_f64 v[26:27], v[26:27], v[12:13]
	v_fma_f64 v[26:27], v[28:29], v[10:11], v[26:27]
	v_add_f64 v[28:29], v[2:3], v[50:51]
	v_add_f64 v[26:27], v[26:27], v[4:5]
	ds_read_b128 v[2:5], v25 offset:2048
	s_waitcnt lgkmcnt(0)
	v_mul_f64 v[50:51], v[4:5], v[44:45]
	v_mul_f64 v[44:45], v[2:3], v[44:45]
	v_fma_f64 v[50:51], v[2:3], v[42:43], -v[50:51]
	v_fma_f64 v[42:43], v[4:5], v[42:43], v[44:45]
	v_add_f64 v[14:15], v[14:15], v[50:51]
	v_add_f64 v[16:17], v[42:43], v[16:17]
	v_mul_f64 v[42:43], v[4:5], v[12:13]
	v_fma_f64 v[42:43], v[2:3], v[10:11], -v[42:43]
	v_mul_f64 v[2:3], v[2:3], v[12:13]
	v_add_f64 v[42:43], v[6:7], v[42:43]
	v_fma_f64 v[2:3], v[4:5], v[10:11], v[2:3]
	v_add_f64 v[44:45], v[2:3], v[8:9]
	ds_read_b128 v[2:5], v24 offset:512
	s_waitcnt lgkmcnt(0)
	v_mul_f64 v[6:7], v[32:33], v[4:5]
	v_mul_f64 v[8:9], v[30:31], v[4:5]
	v_fma_f64 v[6:7], v[30:31], v[2:3], -v[6:7]
	v_fma_f64 v[8:9], v[32:33], v[2:3], v[8:9]
	v_add_f64 v[46:47], v[46:47], v[6:7]
	v_add_f64 v[48:49], v[8:9], v[48:49]
	ds_read_b128 v[6:9], v24 offset:768
	s_waitcnt lgkmcnt(0)
	v_mul_f64 v[10:11], v[32:33], v[8:9]
	v_mul_f64 v[12:13], v[30:31], v[8:9]
	v_fma_f64 v[10:11], v[30:31], v[6:7], -v[10:11]
	v_fma_f64 v[12:13], v[32:33], v[6:7], v[12:13]
	v_add_f64 v[28:29], v[28:29], v[10:11]
	v_add_f64 v[26:27], v[12:13], v[26:27]
	ds_read_b128 v[10:13], v25 offset:2064
	s_waitcnt lgkmcnt(0)
	v_mul_f64 v[30:31], v[12:13], v[4:5]
	v_mul_f64 v[4:5], v[10:11], v[4:5]
	v_fma_f64 v[30:31], v[10:11], v[2:3], -v[30:31]
	v_fma_f64 v[2:3], v[12:13], v[2:3], v[4:5]
	v_mul_f64 v[4:5], v[10:11], v[8:9]
	v_add_f64 v[14:15], v[14:15], v[30:31]
	v_add_f64 v[16:17], v[2:3], v[16:17]
	v_mul_f64 v[2:3], v[12:13], v[8:9]
	v_fma_f64 v[4:5], v[12:13], v[6:7], v[4:5]
	v_fma_f64 v[2:3], v[10:11], v[6:7], -v[2:3]
	v_add_f64 v[32:33], v[4:5], v[44:45]
	v_add_f64 v[30:31], v[42:43], v[2:3]
	ds_read_b128 v[2:5], v24 offset:1024
	s_waitcnt lgkmcnt(0)
	v_mul_f64 v[6:7], v[36:37], v[4:5]
	v_mul_f64 v[8:9], v[34:35], v[4:5]
	v_fma_f64 v[6:7], v[34:35], v[2:3], -v[6:7]
	v_fma_f64 v[8:9], v[36:37], v[2:3], v[8:9]
	v_add_f64 v[42:43], v[46:47], v[6:7]
	v_add_f64 v[44:45], v[8:9], v[48:49]
	ds_read_b128 v[6:9], v24 offset:1280
	s_waitcnt lgkmcnt(0)
	v_mul_f64 v[10:11], v[36:37], v[8:9]
	v_mul_f64 v[12:13], v[34:35], v[8:9]
	v_fma_f64 v[10:11], v[34:35], v[6:7], -v[10:11]
	v_fma_f64 v[12:13], v[36:37], v[6:7], v[12:13]
	v_add_f64 v[28:29], v[28:29], v[10:11]
	v_add_f64 v[26:27], v[12:13], v[26:27]
	ds_read_b128 v[10:13], v25 offset:2080
	s_waitcnt lgkmcnt(0)
	v_mul_f64 v[34:35], v[12:13], v[4:5]
	v_mul_f64 v[4:5], v[10:11], v[4:5]
	v_fma_f64 v[34:35], v[10:11], v[2:3], -v[34:35]
	v_fma_f64 v[2:3], v[12:13], v[2:3], v[4:5]
	v_mul_f64 v[4:5], v[10:11], v[8:9]
	v_add_f64 v[14:15], v[14:15], v[34:35]
	v_add_f64 v[16:17], v[2:3], v[16:17]
	v_mul_f64 v[2:3], v[12:13], v[8:9]
	v_fma_f64 v[4:5], v[12:13], v[6:7], v[4:5]
	v_fma_f64 v[2:3], v[10:11], v[6:7], -v[2:3]
	v_add_f64 v[32:33], v[4:5], v[32:33]
	;; [unrolled: 30-line block ×3, first 2 shown]
	v_add_f64 v[30:31], v[30:31], v[2:3]
	ds_read_b128 v[2:5], v25 offset:64
	ds_read_b128 v[6:9], v24 offset:2048
	s_waitcnt lgkmcnt(0)
	v_mul_f64 v[10:11], v[4:5], v[8:9]
	v_mul_f64 v[12:13], v[2:3], v[8:9]
	v_fma_f64 v[10:11], v[2:3], v[6:7], -v[10:11]
	v_fma_f64 v[12:13], v[4:5], v[6:7], v[12:13]
	v_add_f64 v[34:35], v[34:35], v[10:11]
	v_add_f64 v[36:37], v[12:13], v[36:37]
	ds_read_b128 v[10:13], v24 offset:2304
	s_waitcnt lgkmcnt(0)
	v_mul_f64 v[38:39], v[4:5], v[12:13]
	v_fma_f64 v[38:39], v[2:3], v[10:11], -v[38:39]
	v_mul_f64 v[2:3], v[2:3], v[12:13]
	v_add_f64 v[28:29], v[28:29], v[38:39]
	v_fma_f64 v[2:3], v[4:5], v[10:11], v[2:3]
	v_add_f64 v[26:27], v[2:3], v[26:27]
	ds_read_b128 v[2:5], v25 offset:2112
	s_waitcnt lgkmcnt(0)
	v_mul_f64 v[38:39], v[4:5], v[8:9]
	v_mul_f64 v[8:9], v[2:3], v[8:9]
	v_fma_f64 v[38:39], v[2:3], v[6:7], -v[38:39]
	v_fma_f64 v[6:7], v[4:5], v[6:7], v[8:9]
	v_add_f64 v[14:15], v[14:15], v[38:39]
	v_add_f64 v[16:17], v[6:7], v[16:17]
	v_mul_f64 v[6:7], v[4:5], v[12:13]
	v_fma_f64 v[6:7], v[2:3], v[10:11], -v[6:7]
	v_mul_f64 v[2:3], v[2:3], v[12:13]
	v_add_f64 v[30:31], v[30:31], v[6:7]
	v_fma_f64 v[2:3], v[4:5], v[10:11], v[2:3]
	v_add_f64 v[32:33], v[2:3], v[32:33]
	ds_read_b128 v[2:5], v25 offset:80
	ds_read_b128 v[6:9], v24 offset:2560
	s_waitcnt lgkmcnt(0)
	v_mul_f64 v[10:11], v[4:5], v[8:9]
	v_mul_f64 v[12:13], v[2:3], v[8:9]
	v_fma_f64 v[10:11], v[2:3], v[6:7], -v[10:11]
	v_fma_f64 v[12:13], v[4:5], v[6:7], v[12:13]
	v_add_f64 v[34:35], v[34:35], v[10:11]
	v_add_f64 v[36:37], v[12:13], v[36:37]
	ds_read_b128 v[10:13], v24 offset:2816
	s_waitcnt lgkmcnt(0)
	v_mul_f64 v[38:39], v[4:5], v[12:13]
	v_fma_f64 v[38:39], v[2:3], v[10:11], -v[38:39]
	v_mul_f64 v[2:3], v[2:3], v[12:13]
	v_add_f64 v[28:29], v[28:29], v[38:39]
	v_fma_f64 v[2:3], v[4:5], v[10:11], v[2:3]
	v_add_f64 v[26:27], v[2:3], v[26:27]
	ds_read_b128 v[2:5], v25 offset:2128
	s_waitcnt lgkmcnt(0)
	v_mul_f64 v[38:39], v[4:5], v[8:9]
	v_mul_f64 v[8:9], v[2:3], v[8:9]
	v_fma_f64 v[38:39], v[2:3], v[6:7], -v[38:39]
	v_fma_f64 v[6:7], v[4:5], v[6:7], v[8:9]
	v_add_f64 v[14:15], v[14:15], v[38:39]
	v_add_f64 v[16:17], v[6:7], v[16:17]
	v_mul_f64 v[6:7], v[4:5], v[12:13]
	v_fma_f64 v[6:7], v[2:3], v[10:11], -v[6:7]
	v_mul_f64 v[2:3], v[2:3], v[12:13]
	v_add_f64 v[30:31], v[30:31], v[6:7]
	v_fma_f64 v[2:3], v[4:5], v[10:11], v[2:3]
	;; [unrolled: 31-line block ×3, first 2 shown]
	v_add_f64 v[44:45], v[2:3], v[32:33]
	ds_read_b128 v[2:5], v25 offset:112
	ds_read_b128 v[6:9], v24 offset:3584
	;; [unrolled: 1-line block ×3, first 2 shown]
	s_waitcnt lgkmcnt(1)
	v_mul_f64 v[10:11], v[4:5], v[8:9]
	s_waitcnt lgkmcnt(0)
	v_mul_f64 v[30:31], v[4:5], v[28:29]
	v_mul_f64 v[12:13], v[2:3], v[8:9]
	v_fma_f64 v[10:11], v[2:3], v[6:7], -v[10:11]
	v_fma_f64 v[30:31], v[2:3], v[26:27], -v[30:31]
	v_mul_f64 v[2:3], v[2:3], v[28:29]
	v_fma_f64 v[12:13], v[4:5], v[6:7], v[12:13]
	v_add_f64 v[10:11], v[34:35], v[10:11]
	v_fma_f64 v[4:5], v[4:5], v[26:27], v[2:3]
	v_add_f64 v[2:3], v[38:39], v[30:31]
	ds_read_b128 v[30:33], v25 offset:2160
	v_add_f64 v[12:13], v[12:13], v[36:37]
	s_waitcnt lgkmcnt(0)
	s_barrier
	v_mul_f64 v[34:35], v[32:33], v[8:9]
	v_mul_f64 v[8:9], v[30:31], v[8:9]
	v_add_f64 v[4:5], v[4:5], v[40:41]
	v_fma_f64 v[34:35], v[30:31], v[6:7], -v[34:35]
	v_fma_f64 v[6:7], v[32:33], v[6:7], v[8:9]
	v_mul_f64 v[8:9], v[30:31], v[28:29]
	v_add_f64 v[14:15], v[14:15], v[34:35]
	v_add_f64 v[16:17], v[6:7], v[16:17]
	v_mul_f64 v[6:7], v[32:33], v[28:29]
	v_fma_f64 v[8:9], v[32:33], v[26:27], v[8:9]
	v_fma_f64 v[6:7], v[30:31], v[26:27], -v[6:7]
	v_add_f64 v[8:9], v[8:9], v[44:45]
	v_mov_b32_e32 v27, s1
	v_mov_b32_e32 v26, s0
	v_cmp_le_u64_e32 vcc, s[12:13], v[26:27]
	v_add_f64 v[6:7], v[42:43], v[6:7]
	s_cbranch_vccz .LBB1641_2
	s_branch .LBB1641_4
.LBB1641_3:
	v_mov_b32_e32 v10, 0
	v_mov_b32_e32 v12, 0
	;; [unrolled: 1-line block ×16, first 2 shown]
.LBB1641_4:
	v_add_u32_e32 v18, s7, v1
	v_ashrrev_i32_e32 v1, 31, v18
	v_mul_lo_u32 v1, s2, v1
	v_mul_lo_u32 v21, s3, v18
	v_mad_u64_u32 v[19:20], s[0:1], s2, v18, 0
	s_load_dword s10, s[4:5], 0x0
	v_add_u32_e32 v0, s6, v0
	v_add3_u32 v20, v20, v1, v21
	v_lshlrev_b64 v[19:20], 4, v[19:20]
	s_waitcnt lgkmcnt(0)
	v_mov_b32_e32 v1, s9
	v_add_co_u32_e64 v19, s[0:1], s8, v19
	v_addc_co_u32_e64 v20, s[0:1], v1, v20, s[0:1]
	v_cmp_gt_i32_e32 vcc, s10, v18
	v_cmp_le_i32_e64 s[0:1], v0, v18
	s_and_b64 s[0:1], vcc, s[0:1]
	s_and_saveexec_b64 s[4:5], s[0:1]
	s_cbranch_execz .LBB1641_6
; %bb.5:
	v_ashrrev_i32_e32 v1, 31, v0
	v_lshlrev_b64 v[21:22], 4, v[0:1]
	v_xor_b32_e32 v11, 0x80000000, v11
	v_add_co_u32_e64 v21, s[0:1], v19, v21
	v_xor_b32_e32 v13, 0x80000000, v13
	v_addc_co_u32_e64 v22, s[0:1], v20, v22, s[0:1]
	flat_store_dwordx4 v[21:22], v[10:13]
.LBB1641_6:
	s_or_b64 exec, exec, s[4:5]
	v_add_u32_e32 v10, 16, v0
	v_cmp_le_i32_e64 s[0:1], v10, v18
	s_and_b64 s[4:5], vcc, s[0:1]
	s_and_saveexec_b64 s[0:1], s[4:5]
	s_cbranch_execz .LBB1641_8
; %bb.7:
	v_ashrrev_i32_e32 v11, 31, v10
	v_lshlrev_b64 v[11:12], 4, v[10:11]
	v_xor_b32_e32 v3, 0x80000000, v3
	v_add_co_u32_e32 v11, vcc, v19, v11
	v_xor_b32_e32 v5, 0x80000000, v5
	v_addc_co_u32_e32 v12, vcc, v20, v12, vcc
	flat_store_dwordx4 v[11:12], v[2:5]
.LBB1641_8:
	s_or_b64 exec, exec, s[0:1]
	v_add_u32_e32 v4, 16, v18
	v_ashrrev_i32_e32 v1, 31, v4
	v_mul_lo_u32 v3, s2, v1
	v_mul_lo_u32 v5, s3, v4
	v_mad_u64_u32 v[1:2], s[0:1], s2, v4, 0
	v_cmp_gt_i32_e32 vcc, s10, v4
	v_add3_u32 v2, v2, v3, v5
	v_lshlrev_b64 v[2:3], 4, v[1:2]
	v_mov_b32_e32 v1, s9
	v_add_co_u32_e64 v2, s[0:1], s8, v2
	v_addc_co_u32_e64 v3, s[0:1], v1, v3, s[0:1]
	v_cmp_le_i32_e64 s[0:1], v0, v4
	s_and_b64 s[0:1], vcc, s[0:1]
	s_and_saveexec_b64 s[2:3], s[0:1]
	s_cbranch_execz .LBB1641_10
; %bb.9:
	v_ashrrev_i32_e32 v1, 31, v0
	v_lshlrev_b64 v[0:1], 4, v[0:1]
	v_xor_b32_e32 v15, 0x80000000, v15
	v_add_co_u32_e64 v0, s[0:1], v2, v0
	v_xor_b32_e32 v17, 0x80000000, v17
	v_addc_co_u32_e64 v1, s[0:1], v3, v1, s[0:1]
	flat_store_dwordx4 v[0:1], v[14:17]
.LBB1641_10:
	s_or_b64 exec, exec, s[2:3]
	v_cmp_le_i32_e64 s[0:1], v10, v4
	s_and_b64 s[0:1], vcc, s[0:1]
	s_and_saveexec_b64 s[2:3], s[0:1]
	s_cbranch_execz .LBB1641_12
; %bb.11:
	v_ashrrev_i32_e32 v11, 31, v10
	v_lshlrev_b64 v[0:1], 4, v[10:11]
	v_xor_b32_e32 v7, 0x80000000, v7
	v_add_co_u32_e32 v0, vcc, v2, v0
	v_xor_b32_e32 v9, 0x80000000, v9
	v_addc_co_u32_e32 v1, vcc, v3, v1, vcc
	flat_store_dwordx4 v[0:1], v[6:9]
.LBB1641_12:
	s_endpgm
	.section	.rodata,"a",@progbits
	.p2align	6, 0x0
	.amdhsa_kernel _ZL37rocblas_syrkx_herkx_restricted_kernelIl19rocblas_complex_numIdELi16ELi32ELi8ELin1ELi0ELb0ELc67ELc85EKPKS1_KPS1_EviT_PT9_S7_lS9_S7_lPT10_S7_li
		.amdhsa_group_segment_fixed_size 8192
		.amdhsa_private_segment_fixed_size 0
		.amdhsa_kernarg_size 92
		.amdhsa_user_sgpr_count 6
		.amdhsa_user_sgpr_private_segment_buffer 1
		.amdhsa_user_sgpr_dispatch_ptr 0
		.amdhsa_user_sgpr_queue_ptr 0
		.amdhsa_user_sgpr_kernarg_segment_ptr 1
		.amdhsa_user_sgpr_dispatch_id 0
		.amdhsa_user_sgpr_flat_scratch_init 0
		.amdhsa_user_sgpr_private_segment_size 0
		.amdhsa_uses_dynamic_stack 0
		.amdhsa_system_sgpr_private_segment_wavefront_offset 0
		.amdhsa_system_sgpr_workgroup_id_x 1
		.amdhsa_system_sgpr_workgroup_id_y 1
		.amdhsa_system_sgpr_workgroup_id_z 1
		.amdhsa_system_sgpr_workgroup_info 0
		.amdhsa_system_vgpr_workitem_id 1
		.amdhsa_next_free_vgpr 52
		.amdhsa_next_free_sgpr 61
		.amdhsa_reserve_vcc 1
		.amdhsa_reserve_flat_scratch 0
		.amdhsa_float_round_mode_32 0
		.amdhsa_float_round_mode_16_64 0
		.amdhsa_float_denorm_mode_32 3
		.amdhsa_float_denorm_mode_16_64 3
		.amdhsa_dx10_clamp 1
		.amdhsa_ieee_mode 1
		.amdhsa_fp16_overflow 0
		.amdhsa_exception_fp_ieee_invalid_op 0
		.amdhsa_exception_fp_denorm_src 0
		.amdhsa_exception_fp_ieee_div_zero 0
		.amdhsa_exception_fp_ieee_overflow 0
		.amdhsa_exception_fp_ieee_underflow 0
		.amdhsa_exception_fp_ieee_inexact 0
		.amdhsa_exception_int_div_zero 0
	.end_amdhsa_kernel
	.section	.text._ZL37rocblas_syrkx_herkx_restricted_kernelIl19rocblas_complex_numIdELi16ELi32ELi8ELin1ELi0ELb0ELc67ELc85EKPKS1_KPS1_EviT_PT9_S7_lS9_S7_lPT10_S7_li,"axG",@progbits,_ZL37rocblas_syrkx_herkx_restricted_kernelIl19rocblas_complex_numIdELi16ELi32ELi8ELin1ELi0ELb0ELc67ELc85EKPKS1_KPS1_EviT_PT9_S7_lS9_S7_lPT10_S7_li,comdat
.Lfunc_end1641:
	.size	_ZL37rocblas_syrkx_herkx_restricted_kernelIl19rocblas_complex_numIdELi16ELi32ELi8ELin1ELi0ELb0ELc67ELc85EKPKS1_KPS1_EviT_PT9_S7_lS9_S7_lPT10_S7_li, .Lfunc_end1641-_ZL37rocblas_syrkx_herkx_restricted_kernelIl19rocblas_complex_numIdELi16ELi32ELi8ELin1ELi0ELb0ELc67ELc85EKPKS1_KPS1_EviT_PT9_S7_lS9_S7_lPT10_S7_li
                                        ; -- End function
	.set _ZL37rocblas_syrkx_herkx_restricted_kernelIl19rocblas_complex_numIdELi16ELi32ELi8ELin1ELi0ELb0ELc67ELc85EKPKS1_KPS1_EviT_PT9_S7_lS9_S7_lPT10_S7_li.num_vgpr, 52
	.set _ZL37rocblas_syrkx_herkx_restricted_kernelIl19rocblas_complex_numIdELi16ELi32ELi8ELin1ELi0ELb0ELc67ELc85EKPKS1_KPS1_EviT_PT9_S7_lS9_S7_lPT10_S7_li.num_agpr, 0
	.set _ZL37rocblas_syrkx_herkx_restricted_kernelIl19rocblas_complex_numIdELi16ELi32ELi8ELin1ELi0ELb0ELc67ELc85EKPKS1_KPS1_EviT_PT9_S7_lS9_S7_lPT10_S7_li.numbered_sgpr, 20
	.set _ZL37rocblas_syrkx_herkx_restricted_kernelIl19rocblas_complex_numIdELi16ELi32ELi8ELin1ELi0ELb0ELc67ELc85EKPKS1_KPS1_EviT_PT9_S7_lS9_S7_lPT10_S7_li.num_named_barrier, 0
	.set _ZL37rocblas_syrkx_herkx_restricted_kernelIl19rocblas_complex_numIdELi16ELi32ELi8ELin1ELi0ELb0ELc67ELc85EKPKS1_KPS1_EviT_PT9_S7_lS9_S7_lPT10_S7_li.private_seg_size, 0
	.set _ZL37rocblas_syrkx_herkx_restricted_kernelIl19rocblas_complex_numIdELi16ELi32ELi8ELin1ELi0ELb0ELc67ELc85EKPKS1_KPS1_EviT_PT9_S7_lS9_S7_lPT10_S7_li.uses_vcc, 1
	.set _ZL37rocblas_syrkx_herkx_restricted_kernelIl19rocblas_complex_numIdELi16ELi32ELi8ELin1ELi0ELb0ELc67ELc85EKPKS1_KPS1_EviT_PT9_S7_lS9_S7_lPT10_S7_li.uses_flat_scratch, 0
	.set _ZL37rocblas_syrkx_herkx_restricted_kernelIl19rocblas_complex_numIdELi16ELi32ELi8ELin1ELi0ELb0ELc67ELc85EKPKS1_KPS1_EviT_PT9_S7_lS9_S7_lPT10_S7_li.has_dyn_sized_stack, 0
	.set _ZL37rocblas_syrkx_herkx_restricted_kernelIl19rocblas_complex_numIdELi16ELi32ELi8ELin1ELi0ELb0ELc67ELc85EKPKS1_KPS1_EviT_PT9_S7_lS9_S7_lPT10_S7_li.has_recursion, 0
	.set _ZL37rocblas_syrkx_herkx_restricted_kernelIl19rocblas_complex_numIdELi16ELi32ELi8ELin1ELi0ELb0ELc67ELc85EKPKS1_KPS1_EviT_PT9_S7_lS9_S7_lPT10_S7_li.has_indirect_call, 0
	.section	.AMDGPU.csdata,"",@progbits
; Kernel info:
; codeLenInByte = 2904
; TotalNumSgprs: 24
; NumVgprs: 52
; ScratchSize: 0
; MemoryBound: 0
; FloatMode: 240
; IeeeMode: 1
; LDSByteSize: 8192 bytes/workgroup (compile time only)
; SGPRBlocks: 8
; VGPRBlocks: 12
; NumSGPRsForWavesPerEU: 65
; NumVGPRsForWavesPerEU: 52
; Occupancy: 4
; WaveLimiterHint : 1
; COMPUTE_PGM_RSRC2:SCRATCH_EN: 0
; COMPUTE_PGM_RSRC2:USER_SGPR: 6
; COMPUTE_PGM_RSRC2:TRAP_HANDLER: 0
; COMPUTE_PGM_RSRC2:TGID_X_EN: 1
; COMPUTE_PGM_RSRC2:TGID_Y_EN: 1
; COMPUTE_PGM_RSRC2:TGID_Z_EN: 1
; COMPUTE_PGM_RSRC2:TIDIG_COMP_CNT: 1
	.section	.text._ZL37rocblas_syrkx_herkx_restricted_kernelIl19rocblas_complex_numIdELi16ELi32ELi8ELin1ELi0ELb0ELc78ELc85EKPKS1_KPS1_EviT_PT9_S7_lS9_S7_lPT10_S7_li,"axG",@progbits,_ZL37rocblas_syrkx_herkx_restricted_kernelIl19rocblas_complex_numIdELi16ELi32ELi8ELin1ELi0ELb0ELc78ELc85EKPKS1_KPS1_EviT_PT9_S7_lS9_S7_lPT10_S7_li,comdat
	.globl	_ZL37rocblas_syrkx_herkx_restricted_kernelIl19rocblas_complex_numIdELi16ELi32ELi8ELin1ELi0ELb0ELc78ELc85EKPKS1_KPS1_EviT_PT9_S7_lS9_S7_lPT10_S7_li ; -- Begin function _ZL37rocblas_syrkx_herkx_restricted_kernelIl19rocblas_complex_numIdELi16ELi32ELi8ELin1ELi0ELb0ELc78ELc85EKPKS1_KPS1_EviT_PT9_S7_lS9_S7_lPT10_S7_li
	.p2align	8
	.type	_ZL37rocblas_syrkx_herkx_restricted_kernelIl19rocblas_complex_numIdELi16ELi32ELi8ELin1ELi0ELb0ELc78ELc85EKPKS1_KPS1_EviT_PT9_S7_lS9_S7_lPT10_S7_li,@function
_ZL37rocblas_syrkx_herkx_restricted_kernelIl19rocblas_complex_numIdELi16ELi32ELi8ELin1ELi0ELb0ELc78ELc85EKPKS1_KPS1_EviT_PT9_S7_lS9_S7_lPT10_S7_li: ; @_ZL37rocblas_syrkx_herkx_restricted_kernelIl19rocblas_complex_numIdELi16ELi32ELi8ELin1ELi0ELb0ELc78ELc85EKPKS1_KPS1_EviT_PT9_S7_lS9_S7_lPT10_S7_li
; %bb.0:
	s_load_dwordx4 s[0:3], s[4:5], 0x40
	s_load_dwordx4 s[12:15], s[4:5], 0x8
	s_mov_b32 s9, 0
	s_lshl_b64 s[18:19], s[8:9], 3
	s_waitcnt lgkmcnt(0)
	s_add_u32 s0, s0, s18
	s_addc_u32 s1, s1, s19
	s_load_dwordx2 s[16:17], s[0:1], 0x0
	v_cmp_lt_i64_e64 s[0:1], s[12:13], 1
	s_lshl_b32 s20, s6, 5
	s_lshl_b32 s21, s7, 5
	s_and_b64 vcc, exec, s[0:1]
	s_cbranch_vccnz .LBB1642_3
; %bb.1:
	s_load_dwordx2 s[0:1], s[4:5], 0x18
	s_load_dwordx4 s[8:11], s[4:5], 0x28
	v_lshl_add_u32 v5, v1, 4, v0
	v_lshrrev_b32_e32 v7, 3, v5
	v_add_u32_e32 v2, s21, v7
	v_and_b32_e32 v6, 7, v0
	v_ashrrev_i32_e32 v3, 31, v2
	s_waitcnt lgkmcnt(0)
	v_mad_u64_u32 v[2:3], s[6:7], s10, v6, v[2:3]
	s_add_u32 s6, s14, s18
	s_addc_u32 s7, s15, s19
	v_mad_u64_u32 v[3:4], s[14:15], s11, v6, v[3:4]
	v_and_b32_e32 v4, 31, v5
	v_lshrrev_b32_e32 v8, 5, v5
	v_lshlrev_b32_e32 v5, 4, v4
	v_add_u32_e32 v4, s20, v4
	v_lshl_or_b32 v22, v8, 9, v5
	v_ashrrev_i32_e32 v5, 31, v4
	v_mad_u64_u32 v[4:5], s[14:15], s0, v8, v[4:5]
	v_lshlrev_b32_e32 v6, 4, v6
	v_lshl_or_b32 v6, v7, 7, v6
	v_add_u32_e32 v23, 0x1000, v6
	v_mad_u64_u32 v[5:6], s[14:15], s1, v8, v[5:6]
	s_load_dwordx2 s[6:7], s[6:7], 0x0
	s_add_u32 s8, s8, s18
	s_addc_u32 s9, s9, s19
	s_load_dwordx2 s[8:9], s[8:9], 0x0
	v_lshlrev_b64 v[4:5], 4, v[4:5]
	v_mov_b32_e32 v6, 0x1000
	v_lshl_add_u32 v25, v1, 7, v6
	s_waitcnt lgkmcnt(0)
	v_mov_b32_e32 v6, s7
	v_add_co_u32_e32 v18, vcc, s6, v4
	v_lshlrev_b64 v[2:3], 4, v[2:3]
	v_addc_co_u32_e32 v19, vcc, v6, v5, vcc
	v_mov_b32_e32 v4, s9
	v_add_co_u32_e32 v20, vcc, s8, v2
	s_lshl_b64 s[0:1], s[0:1], 7
	v_addc_co_u32_e32 v21, vcc, v4, v3, vcc
	s_lshl_b64 s[6:7], s[10:11], 7
	v_mov_b32_e32 v8, 0
	v_mov_b32_e32 v6, 0
	v_mov_b32_e32 v12, 0
	v_mov_b32_e32 v10, 0
	v_mov_b32_e32 v4, 0
	v_mov_b32_e32 v2, 0
	v_mov_b32_e32 v16, 0
	v_mov_b32_e32 v14, 0
	v_lshlrev_b32_e32 v24, 4, v0
	v_mov_b32_e32 v9, 0
	s_mov_b64 s[8:9], 0
	v_mov_b32_e32 v26, s1
	v_mov_b32_e32 v7, 0
	;; [unrolled: 1-line block ×9, first 2 shown]
.LBB1642_2:                             ; =>This Inner Loop Header: Depth=1
	flat_load_dwordx4 v[28:31], v[18:19]
	s_add_u32 s8, s8, 8
	v_add_co_u32_e32 v18, vcc, s0, v18
	s_addc_u32 s9, s9, 0
	v_addc_co_u32_e32 v19, vcc, v19, v26, vcc
	s_waitcnt vmcnt(0) lgkmcnt(0)
	ds_write_b128 v22, v[28:31]
	flat_load_dwordx4 v[28:31], v[20:21]
	v_add_co_u32_e32 v20, vcc, s6, v20
	v_addc_co_u32_e32 v21, vcc, v21, v27, vcc
	s_waitcnt vmcnt(0) lgkmcnt(0)
	ds_write_b128 v23, v[28:31]
	s_waitcnt lgkmcnt(0)
	s_barrier
	ds_read_b128 v[28:31], v25
	ds_read_b128 v[32:35], v25 offset:16
	ds_read_b128 v[36:39], v25 offset:32
	;; [unrolled: 1-line block ×3, first 2 shown]
	ds_read_b128 v[44:47], v24
	s_waitcnt lgkmcnt(0)
	v_mul_f64 v[48:49], v[30:31], v[46:47]
	v_mul_f64 v[50:51], v[28:29], v[46:47]
	v_fma_f64 v[48:49], v[28:29], v[44:45], -v[48:49]
	v_fma_f64 v[50:51], v[30:31], v[44:45], v[50:51]
	v_add_f64 v[48:49], v[14:15], v[48:49]
	v_add_f64 v[50:51], v[50:51], v[16:17]
	ds_read_b128 v[14:17], v24 offset:256
	s_waitcnt lgkmcnt(0)
	v_mul_f64 v[52:53], v[30:31], v[16:17]
	v_fma_f64 v[52:53], v[28:29], v[14:15], -v[52:53]
	v_mul_f64 v[28:29], v[28:29], v[16:17]
	v_fma_f64 v[28:29], v[30:31], v[14:15], v[28:29]
	v_add_f64 v[30:31], v[2:3], v[52:53]
	v_add_f64 v[28:29], v[28:29], v[4:5]
	ds_read_b128 v[2:5], v25 offset:2048
	s_waitcnt lgkmcnt(0)
	v_mul_f64 v[52:53], v[4:5], v[46:47]
	v_mul_f64 v[46:47], v[2:3], v[46:47]
	v_fma_f64 v[52:53], v[2:3], v[44:45], -v[52:53]
	v_fma_f64 v[44:45], v[4:5], v[44:45], v[46:47]
	v_add_f64 v[46:47], v[10:11], v[52:53]
	v_mul_f64 v[10:11], v[4:5], v[16:17]
	v_add_f64 v[44:45], v[44:45], v[12:13]
	v_fma_f64 v[10:11], v[2:3], v[14:15], -v[10:11]
	v_mul_f64 v[2:3], v[2:3], v[16:17]
	v_fma_f64 v[2:3], v[4:5], v[14:15], v[2:3]
	v_add_f64 v[14:15], v[6:7], v[10:11]
	v_add_f64 v[16:17], v[2:3], v[8:9]
	ds_read_b128 v[2:5], v24 offset:512
	s_waitcnt lgkmcnt(0)
	v_mul_f64 v[6:7], v[34:35], v[4:5]
	v_mul_f64 v[8:9], v[32:33], v[4:5]
	v_fma_f64 v[6:7], v[32:33], v[2:3], -v[6:7]
	v_fma_f64 v[8:9], v[34:35], v[2:3], v[8:9]
	v_add_f64 v[48:49], v[48:49], v[6:7]
	v_add_f64 v[50:51], v[8:9], v[50:51]
	ds_read_b128 v[6:9], v24 offset:768
	s_waitcnt lgkmcnt(0)
	v_mul_f64 v[10:11], v[34:35], v[8:9]
	v_mul_f64 v[12:13], v[32:33], v[8:9]
	v_fma_f64 v[10:11], v[32:33], v[6:7], -v[10:11]
	;; [unrolled: 8-line block ×3, first 2 shown]
	v_fma_f64 v[2:3], v[12:13], v[2:3], v[4:5]
	v_mul_f64 v[4:5], v[10:11], v[8:9]
	v_add_f64 v[32:33], v[46:47], v[32:33]
	v_add_f64 v[34:35], v[2:3], v[44:45]
	v_mul_f64 v[2:3], v[12:13], v[8:9]
	v_fma_f64 v[4:5], v[12:13], v[6:7], v[4:5]
	v_fma_f64 v[2:3], v[10:11], v[6:7], -v[2:3]
	v_add_f64 v[16:17], v[4:5], v[16:17]
	v_add_f64 v[14:15], v[14:15], v[2:3]
	ds_read_b128 v[2:5], v24 offset:1024
	s_waitcnt lgkmcnt(0)
	v_mul_f64 v[6:7], v[38:39], v[4:5]
	v_mul_f64 v[8:9], v[36:37], v[4:5]
	v_fma_f64 v[6:7], v[36:37], v[2:3], -v[6:7]
	v_fma_f64 v[8:9], v[38:39], v[2:3], v[8:9]
	v_add_f64 v[44:45], v[48:49], v[6:7]
	v_add_f64 v[46:47], v[8:9], v[50:51]
	ds_read_b128 v[6:9], v24 offset:1280
	s_waitcnt lgkmcnt(0)
	v_mul_f64 v[10:11], v[38:39], v[8:9]
	v_mul_f64 v[12:13], v[36:37], v[8:9]
	v_fma_f64 v[10:11], v[36:37], v[6:7], -v[10:11]
	v_fma_f64 v[12:13], v[38:39], v[6:7], v[12:13]
	;; [unrolled: 8-line block ×3, first 2 shown]
	v_mul_f64 v[4:5], v[10:11], v[8:9]
	v_add_f64 v[32:33], v[32:33], v[36:37]
	v_add_f64 v[34:35], v[2:3], v[34:35]
	v_mul_f64 v[2:3], v[12:13], v[8:9]
	v_fma_f64 v[4:5], v[12:13], v[6:7], v[4:5]
	v_fma_f64 v[2:3], v[10:11], v[6:7], -v[2:3]
	v_add_f64 v[16:17], v[4:5], v[16:17]
	v_add_f64 v[14:15], v[14:15], v[2:3]
	ds_read_b128 v[2:5], v24 offset:1536
	s_waitcnt lgkmcnt(0)
	v_mul_f64 v[6:7], v[42:43], v[4:5]
	v_mul_f64 v[8:9], v[40:41], v[4:5]
	v_fma_f64 v[6:7], v[40:41], v[2:3], -v[6:7]
	v_fma_f64 v[8:9], v[42:43], v[2:3], v[8:9]
	v_add_f64 v[36:37], v[44:45], v[6:7]
	v_add_f64 v[38:39], v[8:9], v[46:47]
	ds_read_b128 v[6:9], v24 offset:1792
	s_waitcnt lgkmcnt(0)
	v_mul_f64 v[10:11], v[42:43], v[8:9]
	v_mul_f64 v[12:13], v[40:41], v[8:9]
	v_fma_f64 v[10:11], v[40:41], v[6:7], -v[10:11]
	v_fma_f64 v[12:13], v[42:43], v[6:7], v[12:13]
	;; [unrolled: 8-line block ×3, first 2 shown]
	v_mul_f64 v[4:5], v[10:11], v[8:9]
	v_add_f64 v[32:33], v[32:33], v[40:41]
	v_add_f64 v[34:35], v[2:3], v[34:35]
	v_mul_f64 v[2:3], v[12:13], v[8:9]
	v_fma_f64 v[4:5], v[12:13], v[6:7], v[4:5]
	v_fma_f64 v[2:3], v[10:11], v[6:7], -v[2:3]
	v_add_f64 v[16:17], v[4:5], v[16:17]
	v_add_f64 v[14:15], v[14:15], v[2:3]
	ds_read_b128 v[2:5], v25 offset:64
	ds_read_b128 v[6:9], v24 offset:2048
	s_waitcnt lgkmcnt(0)
	v_mul_f64 v[10:11], v[4:5], v[8:9]
	v_mul_f64 v[12:13], v[2:3], v[8:9]
	v_fma_f64 v[10:11], v[2:3], v[6:7], -v[10:11]
	v_fma_f64 v[12:13], v[4:5], v[6:7], v[12:13]
	v_add_f64 v[36:37], v[36:37], v[10:11]
	v_add_f64 v[38:39], v[12:13], v[38:39]
	ds_read_b128 v[10:13], v24 offset:2304
	s_waitcnt lgkmcnt(0)
	v_mul_f64 v[40:41], v[4:5], v[12:13]
	v_fma_f64 v[40:41], v[2:3], v[10:11], -v[40:41]
	v_mul_f64 v[2:3], v[2:3], v[12:13]
	v_add_f64 v[30:31], v[30:31], v[40:41]
	v_fma_f64 v[2:3], v[4:5], v[10:11], v[2:3]
	v_add_f64 v[28:29], v[2:3], v[28:29]
	ds_read_b128 v[2:5], v25 offset:2112
	s_waitcnt lgkmcnt(0)
	v_mul_f64 v[40:41], v[4:5], v[8:9]
	v_mul_f64 v[8:9], v[2:3], v[8:9]
	v_fma_f64 v[40:41], v[2:3], v[6:7], -v[40:41]
	v_fma_f64 v[6:7], v[4:5], v[6:7], v[8:9]
	v_add_f64 v[32:33], v[32:33], v[40:41]
	v_add_f64 v[34:35], v[6:7], v[34:35]
	v_mul_f64 v[6:7], v[4:5], v[12:13]
	v_fma_f64 v[6:7], v[2:3], v[10:11], -v[6:7]
	v_mul_f64 v[2:3], v[2:3], v[12:13]
	v_add_f64 v[14:15], v[14:15], v[6:7]
	v_fma_f64 v[2:3], v[4:5], v[10:11], v[2:3]
	v_add_f64 v[16:17], v[2:3], v[16:17]
	ds_read_b128 v[2:5], v25 offset:80
	ds_read_b128 v[6:9], v24 offset:2560
	s_waitcnt lgkmcnt(0)
	v_mul_f64 v[10:11], v[4:5], v[8:9]
	v_mul_f64 v[12:13], v[2:3], v[8:9]
	v_fma_f64 v[10:11], v[2:3], v[6:7], -v[10:11]
	v_fma_f64 v[12:13], v[4:5], v[6:7], v[12:13]
	v_add_f64 v[36:37], v[36:37], v[10:11]
	v_add_f64 v[38:39], v[12:13], v[38:39]
	ds_read_b128 v[10:13], v24 offset:2816
	s_waitcnt lgkmcnt(0)
	v_mul_f64 v[40:41], v[4:5], v[12:13]
	v_fma_f64 v[40:41], v[2:3], v[10:11], -v[40:41]
	v_mul_f64 v[2:3], v[2:3], v[12:13]
	v_add_f64 v[30:31], v[30:31], v[40:41]
	v_fma_f64 v[2:3], v[4:5], v[10:11], v[2:3]
	v_add_f64 v[28:29], v[2:3], v[28:29]
	ds_read_b128 v[2:5], v25 offset:2128
	s_waitcnt lgkmcnt(0)
	v_mul_f64 v[40:41], v[4:5], v[8:9]
	v_mul_f64 v[8:9], v[2:3], v[8:9]
	v_fma_f64 v[40:41], v[2:3], v[6:7], -v[40:41]
	v_fma_f64 v[6:7], v[4:5], v[6:7], v[8:9]
	v_add_f64 v[32:33], v[32:33], v[40:41]
	v_add_f64 v[34:35], v[6:7], v[34:35]
	v_mul_f64 v[6:7], v[4:5], v[12:13]
	v_fma_f64 v[6:7], v[2:3], v[10:11], -v[6:7]
	v_mul_f64 v[2:3], v[2:3], v[12:13]
	v_add_f64 v[14:15], v[14:15], v[6:7]
	v_fma_f64 v[2:3], v[4:5], v[10:11], v[2:3]
	;; [unrolled: 31-line block ×3, first 2 shown]
	v_add_f64 v[50:51], v[2:3], v[16:17]
	ds_read_b128 v[2:5], v25 offset:112
	ds_read_b128 v[6:9], v24 offset:3584
	;; [unrolled: 1-line block ×4, first 2 shown]
	s_waitcnt lgkmcnt(0)
	s_barrier
	v_mul_f64 v[10:11], v[4:5], v[8:9]
	v_mul_f64 v[12:13], v[2:3], v[8:9]
	v_fma_f64 v[10:11], v[2:3], v[6:7], -v[10:11]
	v_fma_f64 v[12:13], v[4:5], v[6:7], v[12:13]
	v_add_f64 v[14:15], v[36:37], v[10:11]
	v_mul_f64 v[10:11], v[4:5], v[30:31]
	v_add_f64 v[16:17], v[12:13], v[38:39]
	v_fma_f64 v[10:11], v[2:3], v[28:29], -v[10:11]
	v_mul_f64 v[2:3], v[2:3], v[30:31]
	v_fma_f64 v[4:5], v[4:5], v[28:29], v[2:3]
	v_add_f64 v[2:3], v[40:41], v[10:11]
	v_mul_f64 v[10:11], v[34:35], v[8:9]
	v_mul_f64 v[8:9], v[32:33], v[8:9]
	v_add_f64 v[4:5], v[4:5], v[42:43]
	v_fma_f64 v[10:11], v[32:33], v[6:7], -v[10:11]
	v_fma_f64 v[6:7], v[34:35], v[6:7], v[8:9]
	v_mul_f64 v[8:9], v[32:33], v[30:31]
	v_add_f64 v[10:11], v[44:45], v[10:11]
	v_add_f64 v[12:13], v[6:7], v[46:47]
	v_mul_f64 v[6:7], v[34:35], v[30:31]
	v_fma_f64 v[8:9], v[34:35], v[28:29], v[8:9]
	v_fma_f64 v[6:7], v[32:33], v[28:29], -v[6:7]
	v_add_f64 v[8:9], v[8:9], v[50:51]
	v_mov_b32_e32 v29, s9
	v_mov_b32_e32 v28, s8
	v_cmp_le_u64_e32 vcc, s[12:13], v[28:29]
	v_add_f64 v[6:7], v[48:49], v[6:7]
	s_cbranch_vccz .LBB1642_2
	s_branch .LBB1642_4
.LBB1642_3:
	v_mov_b32_e32 v14, 0
	v_mov_b32_e32 v16, 0
	;; [unrolled: 1-line block ×16, first 2 shown]
.LBB1642_4:
	v_add_u32_e32 v18, s21, v1
	v_ashrrev_i32_e32 v1, 31, v18
	v_mul_lo_u32 v1, s2, v1
	v_mul_lo_u32 v21, s3, v18
	v_mad_u64_u32 v[19:20], s[0:1], s2, v18, 0
	s_load_dword s6, s[4:5], 0x0
	v_add_u32_e32 v0, s20, v0
	v_add3_u32 v20, v20, v1, v21
	v_lshlrev_b64 v[19:20], 4, v[19:20]
	s_waitcnt lgkmcnt(0)
	v_mov_b32_e32 v1, s17
	v_add_co_u32_e64 v19, s[0:1], s16, v19
	v_addc_co_u32_e64 v20, s[0:1], v1, v20, s[0:1]
	v_cmp_gt_i32_e32 vcc, s6, v18
	v_cmp_le_i32_e64 s[0:1], v0, v18
	s_and_b64 s[0:1], vcc, s[0:1]
	s_and_saveexec_b64 s[4:5], s[0:1]
	s_cbranch_execz .LBB1642_6
; %bb.5:
	v_ashrrev_i32_e32 v1, 31, v0
	v_lshlrev_b64 v[21:22], 4, v[0:1]
	v_xor_b32_e32 v15, 0x80000000, v15
	v_add_co_u32_e64 v21, s[0:1], v19, v21
	v_xor_b32_e32 v17, 0x80000000, v17
	v_addc_co_u32_e64 v22, s[0:1], v20, v22, s[0:1]
	flat_store_dwordx4 v[21:22], v[14:17]
.LBB1642_6:
	s_or_b64 exec, exec, s[4:5]
	v_add_u32_e32 v14, 16, v0
	v_cmp_le_i32_e64 s[0:1], v14, v18
	s_and_b64 s[4:5], vcc, s[0:1]
	s_and_saveexec_b64 s[0:1], s[4:5]
	s_cbranch_execz .LBB1642_8
; %bb.7:
	v_ashrrev_i32_e32 v15, 31, v14
	v_lshlrev_b64 v[15:16], 4, v[14:15]
	v_xor_b32_e32 v3, 0x80000000, v3
	v_add_co_u32_e32 v15, vcc, v19, v15
	v_xor_b32_e32 v5, 0x80000000, v5
	v_addc_co_u32_e32 v16, vcc, v20, v16, vcc
	flat_store_dwordx4 v[15:16], v[2:5]
.LBB1642_8:
	s_or_b64 exec, exec, s[0:1]
	v_add_u32_e32 v4, 16, v18
	v_ashrrev_i32_e32 v1, 31, v4
	v_mul_lo_u32 v3, s2, v1
	v_mul_lo_u32 v5, s3, v4
	v_mad_u64_u32 v[1:2], s[0:1], s2, v4, 0
	v_cmp_gt_i32_e32 vcc, s6, v4
	v_add3_u32 v2, v2, v3, v5
	v_lshlrev_b64 v[2:3], 4, v[1:2]
	v_mov_b32_e32 v1, s17
	v_add_co_u32_e64 v2, s[0:1], s16, v2
	v_addc_co_u32_e64 v3, s[0:1], v1, v3, s[0:1]
	v_cmp_le_i32_e64 s[0:1], v0, v4
	s_and_b64 s[0:1], vcc, s[0:1]
	s_and_saveexec_b64 s[2:3], s[0:1]
	s_cbranch_execz .LBB1642_10
; %bb.9:
	v_ashrrev_i32_e32 v1, 31, v0
	v_lshlrev_b64 v[0:1], 4, v[0:1]
	v_xor_b32_e32 v11, 0x80000000, v11
	v_add_co_u32_e64 v0, s[0:1], v2, v0
	v_xor_b32_e32 v13, 0x80000000, v13
	v_addc_co_u32_e64 v1, s[0:1], v3, v1, s[0:1]
	flat_store_dwordx4 v[0:1], v[10:13]
.LBB1642_10:
	s_or_b64 exec, exec, s[2:3]
	v_cmp_le_i32_e64 s[0:1], v14, v4
	s_and_b64 s[0:1], vcc, s[0:1]
	s_and_saveexec_b64 s[2:3], s[0:1]
	s_cbranch_execz .LBB1642_12
; %bb.11:
	v_ashrrev_i32_e32 v15, 31, v14
	v_lshlrev_b64 v[0:1], 4, v[14:15]
	v_xor_b32_e32 v7, 0x80000000, v7
	v_add_co_u32_e32 v0, vcc, v2, v0
	v_xor_b32_e32 v9, 0x80000000, v9
	v_addc_co_u32_e32 v1, vcc, v3, v1, vcc
	flat_store_dwordx4 v[0:1], v[6:9]
.LBB1642_12:
	s_endpgm
	.section	.rodata,"a",@progbits
	.p2align	6, 0x0
	.amdhsa_kernel _ZL37rocblas_syrkx_herkx_restricted_kernelIl19rocblas_complex_numIdELi16ELi32ELi8ELin1ELi0ELb0ELc78ELc85EKPKS1_KPS1_EviT_PT9_S7_lS9_S7_lPT10_S7_li
		.amdhsa_group_segment_fixed_size 8192
		.amdhsa_private_segment_fixed_size 0
		.amdhsa_kernarg_size 92
		.amdhsa_user_sgpr_count 6
		.amdhsa_user_sgpr_private_segment_buffer 1
		.amdhsa_user_sgpr_dispatch_ptr 0
		.amdhsa_user_sgpr_queue_ptr 0
		.amdhsa_user_sgpr_kernarg_segment_ptr 1
		.amdhsa_user_sgpr_dispatch_id 0
		.amdhsa_user_sgpr_flat_scratch_init 0
		.amdhsa_user_sgpr_private_segment_size 0
		.amdhsa_uses_dynamic_stack 0
		.amdhsa_system_sgpr_private_segment_wavefront_offset 0
		.amdhsa_system_sgpr_workgroup_id_x 1
		.amdhsa_system_sgpr_workgroup_id_y 1
		.amdhsa_system_sgpr_workgroup_id_z 1
		.amdhsa_system_sgpr_workgroup_info 0
		.amdhsa_system_vgpr_workitem_id 1
		.amdhsa_next_free_vgpr 54
		.amdhsa_next_free_sgpr 61
		.amdhsa_reserve_vcc 1
		.amdhsa_reserve_flat_scratch 0
		.amdhsa_float_round_mode_32 0
		.amdhsa_float_round_mode_16_64 0
		.amdhsa_float_denorm_mode_32 3
		.amdhsa_float_denorm_mode_16_64 3
		.amdhsa_dx10_clamp 1
		.amdhsa_ieee_mode 1
		.amdhsa_fp16_overflow 0
		.amdhsa_exception_fp_ieee_invalid_op 0
		.amdhsa_exception_fp_denorm_src 0
		.amdhsa_exception_fp_ieee_div_zero 0
		.amdhsa_exception_fp_ieee_overflow 0
		.amdhsa_exception_fp_ieee_underflow 0
		.amdhsa_exception_fp_ieee_inexact 0
		.amdhsa_exception_int_div_zero 0
	.end_amdhsa_kernel
	.section	.text._ZL37rocblas_syrkx_herkx_restricted_kernelIl19rocblas_complex_numIdELi16ELi32ELi8ELin1ELi0ELb0ELc78ELc85EKPKS1_KPS1_EviT_PT9_S7_lS9_S7_lPT10_S7_li,"axG",@progbits,_ZL37rocblas_syrkx_herkx_restricted_kernelIl19rocblas_complex_numIdELi16ELi32ELi8ELin1ELi0ELb0ELc78ELc85EKPKS1_KPS1_EviT_PT9_S7_lS9_S7_lPT10_S7_li,comdat
.Lfunc_end1642:
	.size	_ZL37rocblas_syrkx_herkx_restricted_kernelIl19rocblas_complex_numIdELi16ELi32ELi8ELin1ELi0ELb0ELc78ELc85EKPKS1_KPS1_EviT_PT9_S7_lS9_S7_lPT10_S7_li, .Lfunc_end1642-_ZL37rocblas_syrkx_herkx_restricted_kernelIl19rocblas_complex_numIdELi16ELi32ELi8ELin1ELi0ELb0ELc78ELc85EKPKS1_KPS1_EviT_PT9_S7_lS9_S7_lPT10_S7_li
                                        ; -- End function
	.set _ZL37rocblas_syrkx_herkx_restricted_kernelIl19rocblas_complex_numIdELi16ELi32ELi8ELin1ELi0ELb0ELc78ELc85EKPKS1_KPS1_EviT_PT9_S7_lS9_S7_lPT10_S7_li.num_vgpr, 54
	.set _ZL37rocblas_syrkx_herkx_restricted_kernelIl19rocblas_complex_numIdELi16ELi32ELi8ELin1ELi0ELb0ELc78ELc85EKPKS1_KPS1_EviT_PT9_S7_lS9_S7_lPT10_S7_li.num_agpr, 0
	.set _ZL37rocblas_syrkx_herkx_restricted_kernelIl19rocblas_complex_numIdELi16ELi32ELi8ELin1ELi0ELb0ELc78ELc85EKPKS1_KPS1_EviT_PT9_S7_lS9_S7_lPT10_S7_li.numbered_sgpr, 22
	.set _ZL37rocblas_syrkx_herkx_restricted_kernelIl19rocblas_complex_numIdELi16ELi32ELi8ELin1ELi0ELb0ELc78ELc85EKPKS1_KPS1_EviT_PT9_S7_lS9_S7_lPT10_S7_li.num_named_barrier, 0
	.set _ZL37rocblas_syrkx_herkx_restricted_kernelIl19rocblas_complex_numIdELi16ELi32ELi8ELin1ELi0ELb0ELc78ELc85EKPKS1_KPS1_EviT_PT9_S7_lS9_S7_lPT10_S7_li.private_seg_size, 0
	.set _ZL37rocblas_syrkx_herkx_restricted_kernelIl19rocblas_complex_numIdELi16ELi32ELi8ELin1ELi0ELb0ELc78ELc85EKPKS1_KPS1_EviT_PT9_S7_lS9_S7_lPT10_S7_li.uses_vcc, 1
	.set _ZL37rocblas_syrkx_herkx_restricted_kernelIl19rocblas_complex_numIdELi16ELi32ELi8ELin1ELi0ELb0ELc78ELc85EKPKS1_KPS1_EviT_PT9_S7_lS9_S7_lPT10_S7_li.uses_flat_scratch, 0
	.set _ZL37rocblas_syrkx_herkx_restricted_kernelIl19rocblas_complex_numIdELi16ELi32ELi8ELin1ELi0ELb0ELc78ELc85EKPKS1_KPS1_EviT_PT9_S7_lS9_S7_lPT10_S7_li.has_dyn_sized_stack, 0
	.set _ZL37rocblas_syrkx_herkx_restricted_kernelIl19rocblas_complex_numIdELi16ELi32ELi8ELin1ELi0ELb0ELc78ELc85EKPKS1_KPS1_EviT_PT9_S7_lS9_S7_lPT10_S7_li.has_recursion, 0
	.set _ZL37rocblas_syrkx_herkx_restricted_kernelIl19rocblas_complex_numIdELi16ELi32ELi8ELin1ELi0ELb0ELc78ELc85EKPKS1_KPS1_EviT_PT9_S7_lS9_S7_lPT10_S7_li.has_indirect_call, 0
	.section	.AMDGPU.csdata,"",@progbits
; Kernel info:
; codeLenInByte = 2864
; TotalNumSgprs: 26
; NumVgprs: 54
; ScratchSize: 0
; MemoryBound: 0
; FloatMode: 240
; IeeeMode: 1
; LDSByteSize: 8192 bytes/workgroup (compile time only)
; SGPRBlocks: 8
; VGPRBlocks: 13
; NumSGPRsForWavesPerEU: 65
; NumVGPRsForWavesPerEU: 54
; Occupancy: 4
; WaveLimiterHint : 1
; COMPUTE_PGM_RSRC2:SCRATCH_EN: 0
; COMPUTE_PGM_RSRC2:USER_SGPR: 6
; COMPUTE_PGM_RSRC2:TRAP_HANDLER: 0
; COMPUTE_PGM_RSRC2:TGID_X_EN: 1
; COMPUTE_PGM_RSRC2:TGID_Y_EN: 1
; COMPUTE_PGM_RSRC2:TGID_Z_EN: 1
; COMPUTE_PGM_RSRC2:TIDIG_COMP_CNT: 1
	.section	.text._ZL37rocblas_syrkx_herkx_restricted_kernelIl19rocblas_complex_numIdELi16ELi32ELi8ELb1ELb0ELc84ELc76EKPKS1_KPS1_EviT_T0_PT8_S7_lSA_S7_lS8_PT9_S7_li,"axG",@progbits,_ZL37rocblas_syrkx_herkx_restricted_kernelIl19rocblas_complex_numIdELi16ELi32ELi8ELb1ELb0ELc84ELc76EKPKS1_KPS1_EviT_T0_PT8_S7_lSA_S7_lS8_PT9_S7_li,comdat
	.globl	_ZL37rocblas_syrkx_herkx_restricted_kernelIl19rocblas_complex_numIdELi16ELi32ELi8ELb1ELb0ELc84ELc76EKPKS1_KPS1_EviT_T0_PT8_S7_lSA_S7_lS8_PT9_S7_li ; -- Begin function _ZL37rocblas_syrkx_herkx_restricted_kernelIl19rocblas_complex_numIdELi16ELi32ELi8ELb1ELb0ELc84ELc76EKPKS1_KPS1_EviT_T0_PT8_S7_lSA_S7_lS8_PT9_S7_li
	.p2align	8
	.type	_ZL37rocblas_syrkx_herkx_restricted_kernelIl19rocblas_complex_numIdELi16ELi32ELi8ELb1ELb0ELc84ELc76EKPKS1_KPS1_EviT_T0_PT8_S7_lSA_S7_lS8_PT9_S7_li,@function
_ZL37rocblas_syrkx_herkx_restricted_kernelIl19rocblas_complex_numIdELi16ELi32ELi8ELb1ELb0ELc84ELc76EKPKS1_KPS1_EviT_T0_PT8_S7_lSA_S7_lS8_PT9_S7_li: ; @_ZL37rocblas_syrkx_herkx_restricted_kernelIl19rocblas_complex_numIdELi16ELi32ELi8ELb1ELb0ELc84ELc76EKPKS1_KPS1_EviT_T0_PT8_S7_lSA_S7_lS8_PT9_S7_li
; %bb.0:
	s_load_dwordx4 s[20:23], s[4:5], 0x60
	s_load_dwordx2 s[0:1], s[4:5], 0x28
	s_load_dwordx8 s[12:19], s[4:5], 0x8
	s_mov_b32 s9, 0
	s_lshl_b64 s[2:3], s[8:9], 3
	s_waitcnt lgkmcnt(0)
	s_add_u32 s8, s20, s2
	s_addc_u32 s9, s21, s3
	s_load_dwordx2 s[8:9], s[8:9], 0x0
	v_cmp_lt_i64_e64 s[10:11], s[12:13], 1
	s_lshl_b32 s6, s6, 5
	s_lshl_b32 s7, s7, 5
	s_and_b64 vcc, exec, s[10:11]
	s_cbranch_vccnz .LBB1643_3
; %bb.1:
	s_load_dwordx4 s[24:27], s[4:5], 0x38
	v_lshl_add_u32 v7, v1, 4, v0
	v_lshrrev_b32_e32 v8, 3, v7
	v_add_u32_e32 v4, s7, v8
	s_add_u32 s10, s18, s2
	v_and_b32_e32 v2, 7, v0
	v_ashrrev_i32_e32 v5, 31, v4
	v_mov_b32_e32 v3, 0
	s_addc_u32 s11, s19, s3
	s_waitcnt lgkmcnt(0)
	v_mul_lo_u32 v9, s26, v5
	v_mul_lo_u32 v10, s27, v4
	v_mad_u64_u32 v[4:5], s[18:19], s26, v4, v[2:3]
	v_and_b32_e32 v11, 31, v7
	v_lshlrev_b32_e32 v2, 4, v2
	v_lshl_or_b32 v2, v8, 7, v2
	v_add_u32_e32 v8, s6, v11
	v_lshrrev_b32_e32 v6, 5, v7
	v_mov_b32_e32 v7, v3
	v_lshlrev_b32_e32 v3, 4, v11
	v_add_u32_e32 v23, 0x1000, v2
	v_ashrrev_i32_e32 v2, 31, v8
	v_add3_u32 v5, v10, v5, v9
	v_lshl_or_b32 v22, v6, 9, v3
	v_mul_lo_u32 v9, s0, v2
	v_mad_u64_u32 v[2:3], s[18:19], s0, v8, v[6:7]
	v_mul_lo_u32 v6, s1, v8
	s_load_dwordx2 s[10:11], s[10:11], 0x0
	s_add_u32 s2, s24, s2
	s_addc_u32 s3, s25, s3
	s_load_dwordx2 s[2:3], s[2:3], 0x0
	v_add3_u32 v3, v6, v3, v9
	v_lshlrev_b64 v[2:3], 4, v[2:3]
	s_waitcnt lgkmcnt(0)
	v_mov_b32_e32 v6, s11
	v_add_co_u32_e32 v2, vcc, s10, v2
	v_lshlrev_b64 v[4:5], 4, v[4:5]
	v_addc_co_u32_e32 v3, vcc, v6, v3, vcc
	v_mov_b32_e32 v7, 0x1000
	v_mov_b32_e32 v6, s3
	v_add_co_u32_e32 v4, vcc, s2, v4
	v_lshl_add_u32 v25, v1, 7, v7
	v_addc_co_u32_e32 v5, vcc, v6, v5, vcc
	v_mov_b32_e32 v10, 0
	v_mov_b32_e32 v12, 0
	;; [unrolled: 1-line block ×8, first 2 shown]
	v_lshlrev_b32_e32 v24, 4, v0
	v_mov_b32_e32 v11, 0
	v_mov_b32_e32 v13, 0
	;; [unrolled: 1-line block ×8, first 2 shown]
	s_mov_b64 s[0:1], 0
.LBB1643_2:                             ; =>This Inner Loop Header: Depth=1
	flat_load_dwordx4 v[26:29], v[2:3]
	s_add_u32 s0, s0, 8
	v_add_co_u32_e32 v2, vcc, 0x80, v2
	s_addc_u32 s1, s1, 0
	v_addc_co_u32_e32 v3, vcc, 0, v3, vcc
	s_waitcnt vmcnt(0) lgkmcnt(0)
	ds_write_b128 v22, v[26:29]
	flat_load_dwordx4 v[26:29], v[4:5]
	v_add_co_u32_e32 v4, vcc, 0x80, v4
	v_addc_co_u32_e32 v5, vcc, 0, v5, vcc
	s_waitcnt vmcnt(0) lgkmcnt(0)
	ds_write_b128 v23, v[26:29]
	s_waitcnt lgkmcnt(0)
	s_barrier
	ds_read_b128 v[26:29], v25
	ds_read_b128 v[30:33], v25 offset:16
	ds_read_b128 v[34:37], v25 offset:32
	;; [unrolled: 1-line block ×3, first 2 shown]
	ds_read_b128 v[42:45], v24
	s_waitcnt lgkmcnt(0)
	v_mul_f64 v[46:47], v[28:29], v[44:45]
	v_mul_f64 v[48:49], v[26:27], v[44:45]
	v_fma_f64 v[46:47], v[26:27], v[42:43], -v[46:47]
	v_fma_f64 v[48:49], v[28:29], v[42:43], v[48:49]
	v_add_f64 v[46:47], v[14:15], v[46:47]
	v_add_f64 v[48:49], v[48:49], v[16:17]
	ds_read_b128 v[14:17], v24 offset:256
	s_waitcnt lgkmcnt(0)
	v_mul_f64 v[50:51], v[28:29], v[16:17]
	v_fma_f64 v[50:51], v[26:27], v[14:15], -v[50:51]
	v_mul_f64 v[26:27], v[26:27], v[16:17]
	v_fma_f64 v[26:27], v[28:29], v[14:15], v[26:27]
	v_add_f64 v[28:29], v[6:7], v[50:51]
	v_add_f64 v[26:27], v[26:27], v[8:9]
	ds_read_b128 v[6:9], v25 offset:2048
	s_waitcnt lgkmcnt(0)
	v_mul_f64 v[50:51], v[8:9], v[44:45]
	v_mul_f64 v[44:45], v[6:7], v[44:45]
	v_fma_f64 v[50:51], v[6:7], v[42:43], -v[50:51]
	v_fma_f64 v[42:43], v[8:9], v[42:43], v[44:45]
	v_add_f64 v[18:19], v[18:19], v[50:51]
	v_add_f64 v[20:21], v[42:43], v[20:21]
	v_mul_f64 v[42:43], v[8:9], v[16:17]
	v_fma_f64 v[42:43], v[6:7], v[14:15], -v[42:43]
	v_mul_f64 v[6:7], v[6:7], v[16:17]
	v_add_f64 v[42:43], v[12:13], v[42:43]
	v_fma_f64 v[6:7], v[8:9], v[14:15], v[6:7]
	v_add_f64 v[44:45], v[6:7], v[10:11]
	ds_read_b128 v[6:9], v24 offset:512
	s_waitcnt lgkmcnt(0)
	v_mul_f64 v[10:11], v[32:33], v[8:9]
	v_mul_f64 v[12:13], v[30:31], v[8:9]
	v_fma_f64 v[10:11], v[30:31], v[6:7], -v[10:11]
	v_fma_f64 v[12:13], v[32:33], v[6:7], v[12:13]
	v_add_f64 v[46:47], v[46:47], v[10:11]
	v_add_f64 v[48:49], v[12:13], v[48:49]
	ds_read_b128 v[10:13], v24 offset:768
	s_waitcnt lgkmcnt(0)
	v_mul_f64 v[14:15], v[32:33], v[12:13]
	v_mul_f64 v[16:17], v[30:31], v[12:13]
	v_fma_f64 v[14:15], v[30:31], v[10:11], -v[14:15]
	v_fma_f64 v[16:17], v[32:33], v[10:11], v[16:17]
	v_add_f64 v[28:29], v[28:29], v[14:15]
	v_add_f64 v[26:27], v[16:17], v[26:27]
	ds_read_b128 v[14:17], v25 offset:2064
	s_waitcnt lgkmcnt(0)
	v_mul_f64 v[30:31], v[16:17], v[8:9]
	v_mul_f64 v[8:9], v[14:15], v[8:9]
	v_fma_f64 v[30:31], v[14:15], v[6:7], -v[30:31]
	v_fma_f64 v[6:7], v[16:17], v[6:7], v[8:9]
	v_mul_f64 v[8:9], v[14:15], v[12:13]
	v_add_f64 v[18:19], v[18:19], v[30:31]
	v_add_f64 v[20:21], v[6:7], v[20:21]
	v_mul_f64 v[6:7], v[16:17], v[12:13]
	v_fma_f64 v[8:9], v[16:17], v[10:11], v[8:9]
	v_fma_f64 v[6:7], v[14:15], v[10:11], -v[6:7]
	v_add_f64 v[32:33], v[8:9], v[44:45]
	v_add_f64 v[30:31], v[42:43], v[6:7]
	ds_read_b128 v[6:9], v24 offset:1024
	s_waitcnt lgkmcnt(0)
	v_mul_f64 v[10:11], v[36:37], v[8:9]
	v_mul_f64 v[12:13], v[34:35], v[8:9]
	v_fma_f64 v[10:11], v[34:35], v[6:7], -v[10:11]
	v_fma_f64 v[12:13], v[36:37], v[6:7], v[12:13]
	v_add_f64 v[42:43], v[46:47], v[10:11]
	v_add_f64 v[44:45], v[12:13], v[48:49]
	ds_read_b128 v[10:13], v24 offset:1280
	s_waitcnt lgkmcnt(0)
	v_mul_f64 v[14:15], v[36:37], v[12:13]
	v_mul_f64 v[16:17], v[34:35], v[12:13]
	v_fma_f64 v[14:15], v[34:35], v[10:11], -v[14:15]
	v_fma_f64 v[16:17], v[36:37], v[10:11], v[16:17]
	v_add_f64 v[28:29], v[28:29], v[14:15]
	v_add_f64 v[26:27], v[16:17], v[26:27]
	ds_read_b128 v[14:17], v25 offset:2080
	s_waitcnt lgkmcnt(0)
	v_mul_f64 v[34:35], v[16:17], v[8:9]
	v_mul_f64 v[8:9], v[14:15], v[8:9]
	v_fma_f64 v[34:35], v[14:15], v[6:7], -v[34:35]
	v_fma_f64 v[6:7], v[16:17], v[6:7], v[8:9]
	v_mul_f64 v[8:9], v[14:15], v[12:13]
	v_add_f64 v[18:19], v[18:19], v[34:35]
	v_add_f64 v[20:21], v[6:7], v[20:21]
	v_mul_f64 v[6:7], v[16:17], v[12:13]
	v_fma_f64 v[8:9], v[16:17], v[10:11], v[8:9]
	v_fma_f64 v[6:7], v[14:15], v[10:11], -v[6:7]
	v_add_f64 v[32:33], v[8:9], v[32:33]
	;; [unrolled: 30-line block ×3, first 2 shown]
	v_add_f64 v[30:31], v[30:31], v[6:7]
	ds_read_b128 v[6:9], v25 offset:64
	ds_read_b128 v[10:13], v24 offset:2048
	s_waitcnt lgkmcnt(0)
	v_mul_f64 v[14:15], v[8:9], v[12:13]
	v_mul_f64 v[16:17], v[6:7], v[12:13]
	v_fma_f64 v[14:15], v[6:7], v[10:11], -v[14:15]
	v_fma_f64 v[16:17], v[8:9], v[10:11], v[16:17]
	v_add_f64 v[34:35], v[34:35], v[14:15]
	v_add_f64 v[36:37], v[16:17], v[36:37]
	ds_read_b128 v[14:17], v24 offset:2304
	s_waitcnt lgkmcnt(0)
	v_mul_f64 v[38:39], v[8:9], v[16:17]
	v_fma_f64 v[38:39], v[6:7], v[14:15], -v[38:39]
	v_mul_f64 v[6:7], v[6:7], v[16:17]
	v_add_f64 v[28:29], v[28:29], v[38:39]
	v_fma_f64 v[6:7], v[8:9], v[14:15], v[6:7]
	v_add_f64 v[26:27], v[6:7], v[26:27]
	ds_read_b128 v[6:9], v25 offset:2112
	s_waitcnt lgkmcnt(0)
	v_mul_f64 v[38:39], v[8:9], v[12:13]
	v_mul_f64 v[12:13], v[6:7], v[12:13]
	v_fma_f64 v[38:39], v[6:7], v[10:11], -v[38:39]
	v_fma_f64 v[10:11], v[8:9], v[10:11], v[12:13]
	v_add_f64 v[18:19], v[18:19], v[38:39]
	v_add_f64 v[20:21], v[10:11], v[20:21]
	v_mul_f64 v[10:11], v[8:9], v[16:17]
	v_fma_f64 v[10:11], v[6:7], v[14:15], -v[10:11]
	v_mul_f64 v[6:7], v[6:7], v[16:17]
	v_add_f64 v[30:31], v[30:31], v[10:11]
	v_fma_f64 v[6:7], v[8:9], v[14:15], v[6:7]
	v_add_f64 v[32:33], v[6:7], v[32:33]
	ds_read_b128 v[6:9], v25 offset:80
	ds_read_b128 v[10:13], v24 offset:2560
	s_waitcnt lgkmcnt(0)
	v_mul_f64 v[14:15], v[8:9], v[12:13]
	v_mul_f64 v[16:17], v[6:7], v[12:13]
	v_fma_f64 v[14:15], v[6:7], v[10:11], -v[14:15]
	v_fma_f64 v[16:17], v[8:9], v[10:11], v[16:17]
	v_add_f64 v[34:35], v[34:35], v[14:15]
	v_add_f64 v[36:37], v[16:17], v[36:37]
	ds_read_b128 v[14:17], v24 offset:2816
	s_waitcnt lgkmcnt(0)
	v_mul_f64 v[38:39], v[8:9], v[16:17]
	v_fma_f64 v[38:39], v[6:7], v[14:15], -v[38:39]
	v_mul_f64 v[6:7], v[6:7], v[16:17]
	v_add_f64 v[28:29], v[28:29], v[38:39]
	v_fma_f64 v[6:7], v[8:9], v[14:15], v[6:7]
	v_add_f64 v[26:27], v[6:7], v[26:27]
	ds_read_b128 v[6:9], v25 offset:2128
	s_waitcnt lgkmcnt(0)
	v_mul_f64 v[38:39], v[8:9], v[12:13]
	v_mul_f64 v[12:13], v[6:7], v[12:13]
	v_fma_f64 v[38:39], v[6:7], v[10:11], -v[38:39]
	v_fma_f64 v[10:11], v[8:9], v[10:11], v[12:13]
	v_add_f64 v[18:19], v[18:19], v[38:39]
	v_add_f64 v[20:21], v[10:11], v[20:21]
	v_mul_f64 v[10:11], v[8:9], v[16:17]
	v_fma_f64 v[10:11], v[6:7], v[14:15], -v[10:11]
	v_mul_f64 v[6:7], v[6:7], v[16:17]
	v_add_f64 v[30:31], v[30:31], v[10:11]
	v_fma_f64 v[6:7], v[8:9], v[14:15], v[6:7]
	;; [unrolled: 31-line block ×3, first 2 shown]
	v_add_f64 v[44:45], v[6:7], v[32:33]
	ds_read_b128 v[6:9], v25 offset:112
	ds_read_b128 v[10:13], v24 offset:3584
	;; [unrolled: 1-line block ×3, first 2 shown]
	s_waitcnt lgkmcnt(1)
	v_mul_f64 v[14:15], v[8:9], v[12:13]
	s_waitcnt lgkmcnt(0)
	v_mul_f64 v[30:31], v[8:9], v[28:29]
	v_mul_f64 v[16:17], v[6:7], v[12:13]
	v_fma_f64 v[14:15], v[6:7], v[10:11], -v[14:15]
	v_fma_f64 v[30:31], v[6:7], v[26:27], -v[30:31]
	v_mul_f64 v[6:7], v[6:7], v[28:29]
	v_fma_f64 v[16:17], v[8:9], v[10:11], v[16:17]
	v_add_f64 v[14:15], v[34:35], v[14:15]
	v_fma_f64 v[8:9], v[8:9], v[26:27], v[6:7]
	v_add_f64 v[6:7], v[38:39], v[30:31]
	ds_read_b128 v[30:33], v25 offset:2160
	v_add_f64 v[16:17], v[16:17], v[36:37]
	s_waitcnt lgkmcnt(0)
	s_barrier
	v_mul_f64 v[34:35], v[32:33], v[12:13]
	v_mul_f64 v[12:13], v[30:31], v[12:13]
	v_add_f64 v[8:9], v[8:9], v[40:41]
	v_fma_f64 v[34:35], v[30:31], v[10:11], -v[34:35]
	v_fma_f64 v[10:11], v[32:33], v[10:11], v[12:13]
	v_mul_f64 v[12:13], v[30:31], v[28:29]
	v_add_f64 v[18:19], v[18:19], v[34:35]
	v_add_f64 v[20:21], v[10:11], v[20:21]
	v_mul_f64 v[10:11], v[32:33], v[28:29]
	v_fma_f64 v[10:11], v[30:31], v[26:27], -v[10:11]
	v_fma_f64 v[26:27], v[32:33], v[26:27], v[12:13]
	v_add_f64 v[12:13], v[42:43], v[10:11]
	v_add_f64 v[10:11], v[26:27], v[44:45]
	v_mov_b32_e32 v27, s1
	v_mov_b32_e32 v26, s0
	v_cmp_le_u64_e32 vcc, s[12:13], v[26:27]
	s_cbranch_vccz .LBB1643_2
	s_branch .LBB1643_4
.LBB1643_3:
	v_mov_b32_e32 v14, 0
	v_mov_b32_e32 v16, 0
	;; [unrolled: 1-line block ×16, first 2 shown]
.LBB1643_4:
	v_add_u32_e32 v4, s7, v1
	v_ashrrev_i32_e32 v1, 31, v4
	v_mul_lo_u32 v3, s22, v1
	v_mul_lo_u32 v5, s23, v4
	v_mad_u64_u32 v[1:2], s[0:1], s22, v4, 0
	s_load_dword s4, s[4:5], 0x0
	v_add_u32_e32 v0, s6, v0
	v_add3_u32 v2, v2, v3, v5
	v_lshlrev_b64 v[1:2], 4, v[1:2]
	s_waitcnt lgkmcnt(0)
	v_mov_b32_e32 v3, s9
	v_add_co_u32_e32 v5, vcc, s8, v1
	v_addc_co_u32_e32 v22, vcc, v3, v2, vcc
	v_cmp_le_i32_e64 s[0:1], v4, v0
	v_cmp_gt_i32_e32 vcc, s4, v0
	s_and_b64 s[0:1], s[0:1], vcc
	s_and_saveexec_b64 s[2:3], s[0:1]
	s_cbranch_execz .LBB1643_6
; %bb.5:
	v_mul_f64 v[1:2], s[16:17], v[16:17]
	v_mul_f64 v[16:17], s[14:15], v[16:17]
	v_fma_f64 v[23:24], s[14:15], v[14:15], -v[1:2]
	v_fma_f64 v[25:26], s[16:17], v[14:15], v[16:17]
	v_ashrrev_i32_e32 v1, 31, v0
	v_lshlrev_b64 v[1:2], 4, v[0:1]
	v_add_co_u32_e64 v1, s[0:1], v5, v1
	v_addc_co_u32_e64 v2, s[0:1], v22, v2, s[0:1]
	flat_store_dwordx4 v[1:2], v[23:26]
.LBB1643_6:
	s_or_b64 exec, exec, s[2:3]
	v_add_u32_e32 v2, 16, v0
	v_cmp_le_i32_e64 s[2:3], v4, v2
	v_cmp_gt_i32_e64 s[0:1], s4, v2
	s_and_b64 s[2:3], s[2:3], s[0:1]
	s_and_saveexec_b64 s[4:5], s[2:3]
	s_cbranch_execz .LBB1643_8
; %bb.7:
	v_mul_f64 v[14:15], s[16:17], v[8:9]
	v_mul_f64 v[8:9], s[14:15], v[8:9]
	v_ashrrev_i32_e32 v3, 31, v2
	v_fma_f64 v[14:15], s[14:15], v[6:7], -v[14:15]
	v_fma_f64 v[16:17], s[16:17], v[6:7], v[8:9]
	v_lshlrev_b64 v[6:7], 4, v[2:3]
	v_add_co_u32_e64 v5, s[2:3], v5, v6
	v_addc_co_u32_e64 v6, s[2:3], v22, v7, s[2:3]
	flat_store_dwordx4 v[5:6], v[14:17]
.LBB1643_8:
	s_or_b64 exec, exec, s[4:5]
	v_add_u32_e32 v3, 16, v4
	v_ashrrev_i32_e32 v1, 31, v3
	v_mul_lo_u32 v6, s23, v3
	v_mad_u64_u32 v[4:5], s[2:3], s22, v3, 0
	v_mul_lo_u32 v1, s22, v1
	v_add3_u32 v5, v5, v1, v6
	v_lshlrev_b64 v[4:5], 4, v[4:5]
	v_mov_b32_e32 v1, s9
	v_add_co_u32_e64 v4, s[2:3], s8, v4
	v_addc_co_u32_e64 v5, s[2:3], v1, v5, s[2:3]
	v_cmp_le_i32_e64 s[2:3], v3, v0
	s_and_b64 s[4:5], s[2:3], vcc
	s_and_saveexec_b64 s[2:3], s[4:5]
	s_cbranch_execz .LBB1643_10
; %bb.9:
	v_mul_f64 v[6:7], s[16:17], v[20:21]
	v_mul_f64 v[8:9], s[14:15], v[20:21]
	v_ashrrev_i32_e32 v1, 31, v0
	v_lshlrev_b64 v[0:1], 4, v[0:1]
	v_add_co_u32_e32 v0, vcc, v4, v0
	v_addc_co_u32_e32 v1, vcc, v5, v1, vcc
	v_fma_f64 v[6:7], s[14:15], v[18:19], -v[6:7]
	v_fma_f64 v[8:9], s[16:17], v[18:19], v[8:9]
	flat_store_dwordx4 v[0:1], v[6:9]
.LBB1643_10:
	s_or_b64 exec, exec, s[2:3]
	v_cmp_le_i32_e32 vcc, v3, v2
	s_and_b64 s[0:1], vcc, s[0:1]
	s_and_saveexec_b64 s[2:3], s[0:1]
	s_cbranch_execz .LBB1643_12
; %bb.11:
	v_mul_f64 v[0:1], s[16:17], v[10:11]
	v_mul_f64 v[8:9], s[14:15], v[10:11]
	v_ashrrev_i32_e32 v3, 31, v2
	v_fma_f64 v[6:7], s[14:15], v[12:13], -v[0:1]
	v_fma_f64 v[8:9], s[16:17], v[12:13], v[8:9]
	v_lshlrev_b64 v[0:1], 4, v[2:3]
	v_add_co_u32_e32 v0, vcc, v4, v0
	v_addc_co_u32_e32 v1, vcc, v5, v1, vcc
	flat_store_dwordx4 v[0:1], v[6:9]
.LBB1643_12:
	s_endpgm
	.section	.rodata,"a",@progbits
	.p2align	6, 0x0
	.amdhsa_kernel _ZL37rocblas_syrkx_herkx_restricted_kernelIl19rocblas_complex_numIdELi16ELi32ELi8ELb1ELb0ELc84ELc76EKPKS1_KPS1_EviT_T0_PT8_S7_lSA_S7_lS8_PT9_S7_li
		.amdhsa_group_segment_fixed_size 8192
		.amdhsa_private_segment_fixed_size 0
		.amdhsa_kernarg_size 124
		.amdhsa_user_sgpr_count 6
		.amdhsa_user_sgpr_private_segment_buffer 1
		.amdhsa_user_sgpr_dispatch_ptr 0
		.amdhsa_user_sgpr_queue_ptr 0
		.amdhsa_user_sgpr_kernarg_segment_ptr 1
		.amdhsa_user_sgpr_dispatch_id 0
		.amdhsa_user_sgpr_flat_scratch_init 0
		.amdhsa_user_sgpr_private_segment_size 0
		.amdhsa_uses_dynamic_stack 0
		.amdhsa_system_sgpr_private_segment_wavefront_offset 0
		.amdhsa_system_sgpr_workgroup_id_x 1
		.amdhsa_system_sgpr_workgroup_id_y 1
		.amdhsa_system_sgpr_workgroup_id_z 1
		.amdhsa_system_sgpr_workgroup_info 0
		.amdhsa_system_vgpr_workitem_id 1
		.amdhsa_next_free_vgpr 52
		.amdhsa_next_free_sgpr 61
		.amdhsa_reserve_vcc 1
		.amdhsa_reserve_flat_scratch 0
		.amdhsa_float_round_mode_32 0
		.amdhsa_float_round_mode_16_64 0
		.amdhsa_float_denorm_mode_32 3
		.amdhsa_float_denorm_mode_16_64 3
		.amdhsa_dx10_clamp 1
		.amdhsa_ieee_mode 1
		.amdhsa_fp16_overflow 0
		.amdhsa_exception_fp_ieee_invalid_op 0
		.amdhsa_exception_fp_denorm_src 0
		.amdhsa_exception_fp_ieee_div_zero 0
		.amdhsa_exception_fp_ieee_overflow 0
		.amdhsa_exception_fp_ieee_underflow 0
		.amdhsa_exception_fp_ieee_inexact 0
		.amdhsa_exception_int_div_zero 0
	.end_amdhsa_kernel
	.section	.text._ZL37rocblas_syrkx_herkx_restricted_kernelIl19rocblas_complex_numIdELi16ELi32ELi8ELb1ELb0ELc84ELc76EKPKS1_KPS1_EviT_T0_PT8_S7_lSA_S7_lS8_PT9_S7_li,"axG",@progbits,_ZL37rocblas_syrkx_herkx_restricted_kernelIl19rocblas_complex_numIdELi16ELi32ELi8ELb1ELb0ELc84ELc76EKPKS1_KPS1_EviT_T0_PT8_S7_lSA_S7_lS8_PT9_S7_li,comdat
.Lfunc_end1643:
	.size	_ZL37rocblas_syrkx_herkx_restricted_kernelIl19rocblas_complex_numIdELi16ELi32ELi8ELb1ELb0ELc84ELc76EKPKS1_KPS1_EviT_T0_PT8_S7_lSA_S7_lS8_PT9_S7_li, .Lfunc_end1643-_ZL37rocblas_syrkx_herkx_restricted_kernelIl19rocblas_complex_numIdELi16ELi32ELi8ELb1ELb0ELc84ELc76EKPKS1_KPS1_EviT_T0_PT8_S7_lSA_S7_lS8_PT9_S7_li
                                        ; -- End function
	.set _ZL37rocblas_syrkx_herkx_restricted_kernelIl19rocblas_complex_numIdELi16ELi32ELi8ELb1ELb0ELc84ELc76EKPKS1_KPS1_EviT_T0_PT8_S7_lSA_S7_lS8_PT9_S7_li.num_vgpr, 52
	.set _ZL37rocblas_syrkx_herkx_restricted_kernelIl19rocblas_complex_numIdELi16ELi32ELi8ELb1ELb0ELc84ELc76EKPKS1_KPS1_EviT_T0_PT8_S7_lSA_S7_lS8_PT9_S7_li.num_agpr, 0
	.set _ZL37rocblas_syrkx_herkx_restricted_kernelIl19rocblas_complex_numIdELi16ELi32ELi8ELb1ELb0ELc84ELc76EKPKS1_KPS1_EviT_T0_PT8_S7_lSA_S7_lS8_PT9_S7_li.numbered_sgpr, 28
	.set _ZL37rocblas_syrkx_herkx_restricted_kernelIl19rocblas_complex_numIdELi16ELi32ELi8ELb1ELb0ELc84ELc76EKPKS1_KPS1_EviT_T0_PT8_S7_lSA_S7_lS8_PT9_S7_li.num_named_barrier, 0
	.set _ZL37rocblas_syrkx_herkx_restricted_kernelIl19rocblas_complex_numIdELi16ELi32ELi8ELb1ELb0ELc84ELc76EKPKS1_KPS1_EviT_T0_PT8_S7_lSA_S7_lS8_PT9_S7_li.private_seg_size, 0
	.set _ZL37rocblas_syrkx_herkx_restricted_kernelIl19rocblas_complex_numIdELi16ELi32ELi8ELb1ELb0ELc84ELc76EKPKS1_KPS1_EviT_T0_PT8_S7_lSA_S7_lS8_PT9_S7_li.uses_vcc, 1
	.set _ZL37rocblas_syrkx_herkx_restricted_kernelIl19rocblas_complex_numIdELi16ELi32ELi8ELb1ELb0ELc84ELc76EKPKS1_KPS1_EviT_T0_PT8_S7_lSA_S7_lS8_PT9_S7_li.uses_flat_scratch, 0
	.set _ZL37rocblas_syrkx_herkx_restricted_kernelIl19rocblas_complex_numIdELi16ELi32ELi8ELb1ELb0ELc84ELc76EKPKS1_KPS1_EviT_T0_PT8_S7_lSA_S7_lS8_PT9_S7_li.has_dyn_sized_stack, 0
	.set _ZL37rocblas_syrkx_herkx_restricted_kernelIl19rocblas_complex_numIdELi16ELi32ELi8ELb1ELb0ELc84ELc76EKPKS1_KPS1_EviT_T0_PT8_S7_lSA_S7_lS8_PT9_S7_li.has_recursion, 0
	.set _ZL37rocblas_syrkx_herkx_restricted_kernelIl19rocblas_complex_numIdELi16ELi32ELi8ELb1ELb0ELc84ELc76EKPKS1_KPS1_EviT_T0_PT8_S7_lSA_S7_lS8_PT9_S7_li.has_indirect_call, 0
	.section	.AMDGPU.csdata,"",@progbits
; Kernel info:
; codeLenInByte = 2960
; TotalNumSgprs: 32
; NumVgprs: 52
; ScratchSize: 0
; MemoryBound: 0
; FloatMode: 240
; IeeeMode: 1
; LDSByteSize: 8192 bytes/workgroup (compile time only)
; SGPRBlocks: 8
; VGPRBlocks: 12
; NumSGPRsForWavesPerEU: 65
; NumVGPRsForWavesPerEU: 52
; Occupancy: 4
; WaveLimiterHint : 1
; COMPUTE_PGM_RSRC2:SCRATCH_EN: 0
; COMPUTE_PGM_RSRC2:USER_SGPR: 6
; COMPUTE_PGM_RSRC2:TRAP_HANDLER: 0
; COMPUTE_PGM_RSRC2:TGID_X_EN: 1
; COMPUTE_PGM_RSRC2:TGID_Y_EN: 1
; COMPUTE_PGM_RSRC2:TGID_Z_EN: 1
; COMPUTE_PGM_RSRC2:TIDIG_COMP_CNT: 1
	.section	.text._ZL37rocblas_syrkx_herkx_restricted_kernelIl19rocblas_complex_numIdELi16ELi32ELi8ELb1ELb0ELc67ELc76EKPKS1_KPS1_EviT_T0_PT8_S7_lSA_S7_lS8_PT9_S7_li,"axG",@progbits,_ZL37rocblas_syrkx_herkx_restricted_kernelIl19rocblas_complex_numIdELi16ELi32ELi8ELb1ELb0ELc67ELc76EKPKS1_KPS1_EviT_T0_PT8_S7_lSA_S7_lS8_PT9_S7_li,comdat
	.globl	_ZL37rocblas_syrkx_herkx_restricted_kernelIl19rocblas_complex_numIdELi16ELi32ELi8ELb1ELb0ELc67ELc76EKPKS1_KPS1_EviT_T0_PT8_S7_lSA_S7_lS8_PT9_S7_li ; -- Begin function _ZL37rocblas_syrkx_herkx_restricted_kernelIl19rocblas_complex_numIdELi16ELi32ELi8ELb1ELb0ELc67ELc76EKPKS1_KPS1_EviT_T0_PT8_S7_lSA_S7_lS8_PT9_S7_li
	.p2align	8
	.type	_ZL37rocblas_syrkx_herkx_restricted_kernelIl19rocblas_complex_numIdELi16ELi32ELi8ELb1ELb0ELc67ELc76EKPKS1_KPS1_EviT_T0_PT8_S7_lSA_S7_lS8_PT9_S7_li,@function
_ZL37rocblas_syrkx_herkx_restricted_kernelIl19rocblas_complex_numIdELi16ELi32ELi8ELb1ELb0ELc67ELc76EKPKS1_KPS1_EviT_T0_PT8_S7_lSA_S7_lS8_PT9_S7_li: ; @_ZL37rocblas_syrkx_herkx_restricted_kernelIl19rocblas_complex_numIdELi16ELi32ELi8ELb1ELb0ELc67ELc76EKPKS1_KPS1_EviT_T0_PT8_S7_lSA_S7_lS8_PT9_S7_li
; %bb.0:
	s_load_dwordx4 s[20:23], s[4:5], 0x60
	s_load_dwordx2 s[0:1], s[4:5], 0x28
	s_load_dwordx8 s[12:19], s[4:5], 0x8
	s_mov_b32 s9, 0
	s_lshl_b64 s[2:3], s[8:9], 3
	s_waitcnt lgkmcnt(0)
	s_add_u32 s8, s20, s2
	s_addc_u32 s9, s21, s3
	s_load_dwordx2 s[8:9], s[8:9], 0x0
	v_cmp_lt_i64_e64 s[10:11], s[12:13], 1
	s_lshl_b32 s6, s6, 5
	s_lshl_b32 s7, s7, 5
	s_and_b64 vcc, exec, s[10:11]
	s_cbranch_vccnz .LBB1644_3
; %bb.1:
	s_load_dwordx4 s[24:27], s[4:5], 0x38
	v_lshl_add_u32 v7, v1, 4, v0
	v_lshrrev_b32_e32 v8, 3, v7
	v_add_u32_e32 v4, s7, v8
	s_add_u32 s10, s18, s2
	v_and_b32_e32 v2, 7, v0
	v_ashrrev_i32_e32 v5, 31, v4
	v_mov_b32_e32 v3, 0
	s_addc_u32 s11, s19, s3
	s_waitcnt lgkmcnt(0)
	v_mul_lo_u32 v9, s26, v5
	v_mul_lo_u32 v10, s27, v4
	v_mad_u64_u32 v[4:5], s[18:19], s26, v4, v[2:3]
	v_and_b32_e32 v11, 31, v7
	v_lshlrev_b32_e32 v2, 4, v2
	v_lshl_or_b32 v2, v8, 7, v2
	v_add_u32_e32 v8, s6, v11
	v_lshrrev_b32_e32 v6, 5, v7
	v_mov_b32_e32 v7, v3
	v_lshlrev_b32_e32 v3, 4, v11
	v_add_u32_e32 v23, 0x1000, v2
	v_ashrrev_i32_e32 v2, 31, v8
	v_add3_u32 v5, v10, v5, v9
	v_lshl_or_b32 v22, v6, 9, v3
	v_mul_lo_u32 v9, s0, v2
	v_mad_u64_u32 v[2:3], s[18:19], s0, v8, v[6:7]
	v_mul_lo_u32 v6, s1, v8
	s_load_dwordx2 s[10:11], s[10:11], 0x0
	s_add_u32 s2, s24, s2
	s_addc_u32 s3, s25, s3
	s_load_dwordx2 s[2:3], s[2:3], 0x0
	v_add3_u32 v3, v6, v3, v9
	v_lshlrev_b64 v[2:3], 4, v[2:3]
	s_waitcnt lgkmcnt(0)
	v_mov_b32_e32 v6, s11
	v_add_co_u32_e32 v2, vcc, s10, v2
	v_lshlrev_b64 v[4:5], 4, v[4:5]
	v_addc_co_u32_e32 v3, vcc, v6, v3, vcc
	v_mov_b32_e32 v7, 0x1000
	v_mov_b32_e32 v6, s3
	v_add_co_u32_e32 v4, vcc, s2, v4
	v_lshl_add_u32 v25, v1, 7, v7
	v_addc_co_u32_e32 v5, vcc, v6, v5, vcc
	v_mov_b32_e32 v10, 0
	v_mov_b32_e32 v12, 0
	;; [unrolled: 1-line block ×8, first 2 shown]
	v_lshlrev_b32_e32 v24, 4, v0
	v_mov_b32_e32 v11, 0
	v_mov_b32_e32 v13, 0
	;; [unrolled: 1-line block ×8, first 2 shown]
	s_mov_b64 s[0:1], 0
.LBB1644_2:                             ; =>This Inner Loop Header: Depth=1
	flat_load_dwordx4 v[26:29], v[2:3]
	s_add_u32 s0, s0, 8
	v_add_co_u32_e32 v2, vcc, 0x80, v2
	s_addc_u32 s1, s1, 0
	v_addc_co_u32_e32 v3, vcc, 0, v3, vcc
	s_waitcnt vmcnt(0) lgkmcnt(0)
	ds_write_b128 v22, v[26:29]
	flat_load_dwordx4 v[26:29], v[4:5]
	v_add_co_u32_e32 v4, vcc, 0x80, v4
	v_addc_co_u32_e32 v5, vcc, 0, v5, vcc
	s_waitcnt vmcnt(0) lgkmcnt(0)
	ds_write_b128 v23, v[26:29]
	s_waitcnt lgkmcnt(0)
	s_barrier
	ds_read_b128 v[26:29], v25
	ds_read_b128 v[30:33], v25 offset:16
	ds_read_b128 v[34:37], v25 offset:32
	;; [unrolled: 1-line block ×3, first 2 shown]
	ds_read_b128 v[42:45], v24
	s_waitcnt lgkmcnt(0)
	v_mul_f64 v[46:47], v[28:29], v[44:45]
	v_mul_f64 v[48:49], v[26:27], v[44:45]
	v_fma_f64 v[46:47], v[26:27], v[42:43], -v[46:47]
	v_fma_f64 v[48:49], v[28:29], v[42:43], v[48:49]
	v_add_f64 v[46:47], v[14:15], v[46:47]
	v_add_f64 v[48:49], v[48:49], v[16:17]
	ds_read_b128 v[14:17], v24 offset:256
	s_waitcnt lgkmcnt(0)
	v_mul_f64 v[50:51], v[28:29], v[16:17]
	v_fma_f64 v[50:51], v[26:27], v[14:15], -v[50:51]
	v_mul_f64 v[26:27], v[26:27], v[16:17]
	v_fma_f64 v[26:27], v[28:29], v[14:15], v[26:27]
	v_add_f64 v[28:29], v[6:7], v[50:51]
	v_add_f64 v[26:27], v[26:27], v[8:9]
	ds_read_b128 v[6:9], v25 offset:2048
	s_waitcnt lgkmcnt(0)
	v_mul_f64 v[50:51], v[8:9], v[44:45]
	v_mul_f64 v[44:45], v[6:7], v[44:45]
	v_fma_f64 v[50:51], v[6:7], v[42:43], -v[50:51]
	v_fma_f64 v[42:43], v[8:9], v[42:43], v[44:45]
	v_add_f64 v[18:19], v[18:19], v[50:51]
	v_add_f64 v[20:21], v[42:43], v[20:21]
	v_mul_f64 v[42:43], v[8:9], v[16:17]
	v_fma_f64 v[42:43], v[6:7], v[14:15], -v[42:43]
	v_mul_f64 v[6:7], v[6:7], v[16:17]
	v_add_f64 v[42:43], v[12:13], v[42:43]
	v_fma_f64 v[6:7], v[8:9], v[14:15], v[6:7]
	v_add_f64 v[44:45], v[6:7], v[10:11]
	ds_read_b128 v[6:9], v24 offset:512
	s_waitcnt lgkmcnt(0)
	v_mul_f64 v[10:11], v[32:33], v[8:9]
	v_mul_f64 v[12:13], v[30:31], v[8:9]
	v_fma_f64 v[10:11], v[30:31], v[6:7], -v[10:11]
	v_fma_f64 v[12:13], v[32:33], v[6:7], v[12:13]
	v_add_f64 v[46:47], v[46:47], v[10:11]
	v_add_f64 v[48:49], v[12:13], v[48:49]
	ds_read_b128 v[10:13], v24 offset:768
	s_waitcnt lgkmcnt(0)
	v_mul_f64 v[14:15], v[32:33], v[12:13]
	v_mul_f64 v[16:17], v[30:31], v[12:13]
	v_fma_f64 v[14:15], v[30:31], v[10:11], -v[14:15]
	v_fma_f64 v[16:17], v[32:33], v[10:11], v[16:17]
	v_add_f64 v[28:29], v[28:29], v[14:15]
	v_add_f64 v[26:27], v[16:17], v[26:27]
	ds_read_b128 v[14:17], v25 offset:2064
	s_waitcnt lgkmcnt(0)
	v_mul_f64 v[30:31], v[16:17], v[8:9]
	v_mul_f64 v[8:9], v[14:15], v[8:9]
	v_fma_f64 v[30:31], v[14:15], v[6:7], -v[30:31]
	v_fma_f64 v[6:7], v[16:17], v[6:7], v[8:9]
	v_mul_f64 v[8:9], v[14:15], v[12:13]
	v_add_f64 v[18:19], v[18:19], v[30:31]
	v_add_f64 v[20:21], v[6:7], v[20:21]
	v_mul_f64 v[6:7], v[16:17], v[12:13]
	v_fma_f64 v[8:9], v[16:17], v[10:11], v[8:9]
	v_fma_f64 v[6:7], v[14:15], v[10:11], -v[6:7]
	v_add_f64 v[32:33], v[8:9], v[44:45]
	v_add_f64 v[30:31], v[42:43], v[6:7]
	ds_read_b128 v[6:9], v24 offset:1024
	s_waitcnt lgkmcnt(0)
	v_mul_f64 v[10:11], v[36:37], v[8:9]
	v_mul_f64 v[12:13], v[34:35], v[8:9]
	v_fma_f64 v[10:11], v[34:35], v[6:7], -v[10:11]
	v_fma_f64 v[12:13], v[36:37], v[6:7], v[12:13]
	v_add_f64 v[42:43], v[46:47], v[10:11]
	v_add_f64 v[44:45], v[12:13], v[48:49]
	ds_read_b128 v[10:13], v24 offset:1280
	s_waitcnt lgkmcnt(0)
	v_mul_f64 v[14:15], v[36:37], v[12:13]
	v_mul_f64 v[16:17], v[34:35], v[12:13]
	v_fma_f64 v[14:15], v[34:35], v[10:11], -v[14:15]
	v_fma_f64 v[16:17], v[36:37], v[10:11], v[16:17]
	v_add_f64 v[28:29], v[28:29], v[14:15]
	v_add_f64 v[26:27], v[16:17], v[26:27]
	ds_read_b128 v[14:17], v25 offset:2080
	s_waitcnt lgkmcnt(0)
	v_mul_f64 v[34:35], v[16:17], v[8:9]
	v_mul_f64 v[8:9], v[14:15], v[8:9]
	v_fma_f64 v[34:35], v[14:15], v[6:7], -v[34:35]
	v_fma_f64 v[6:7], v[16:17], v[6:7], v[8:9]
	v_mul_f64 v[8:9], v[14:15], v[12:13]
	v_add_f64 v[18:19], v[18:19], v[34:35]
	v_add_f64 v[20:21], v[6:7], v[20:21]
	v_mul_f64 v[6:7], v[16:17], v[12:13]
	v_fma_f64 v[8:9], v[16:17], v[10:11], v[8:9]
	v_fma_f64 v[6:7], v[14:15], v[10:11], -v[6:7]
	v_add_f64 v[32:33], v[8:9], v[32:33]
	;; [unrolled: 30-line block ×3, first 2 shown]
	v_add_f64 v[30:31], v[30:31], v[6:7]
	ds_read_b128 v[6:9], v25 offset:64
	ds_read_b128 v[10:13], v24 offset:2048
	s_waitcnt lgkmcnt(0)
	v_mul_f64 v[14:15], v[8:9], v[12:13]
	v_mul_f64 v[16:17], v[6:7], v[12:13]
	v_fma_f64 v[14:15], v[6:7], v[10:11], -v[14:15]
	v_fma_f64 v[16:17], v[8:9], v[10:11], v[16:17]
	v_add_f64 v[34:35], v[34:35], v[14:15]
	v_add_f64 v[36:37], v[16:17], v[36:37]
	ds_read_b128 v[14:17], v24 offset:2304
	s_waitcnt lgkmcnt(0)
	v_mul_f64 v[38:39], v[8:9], v[16:17]
	v_fma_f64 v[38:39], v[6:7], v[14:15], -v[38:39]
	v_mul_f64 v[6:7], v[6:7], v[16:17]
	v_add_f64 v[28:29], v[28:29], v[38:39]
	v_fma_f64 v[6:7], v[8:9], v[14:15], v[6:7]
	v_add_f64 v[26:27], v[6:7], v[26:27]
	ds_read_b128 v[6:9], v25 offset:2112
	s_waitcnt lgkmcnt(0)
	v_mul_f64 v[38:39], v[8:9], v[12:13]
	v_mul_f64 v[12:13], v[6:7], v[12:13]
	v_fma_f64 v[38:39], v[6:7], v[10:11], -v[38:39]
	v_fma_f64 v[10:11], v[8:9], v[10:11], v[12:13]
	v_add_f64 v[18:19], v[18:19], v[38:39]
	v_add_f64 v[20:21], v[10:11], v[20:21]
	v_mul_f64 v[10:11], v[8:9], v[16:17]
	v_fma_f64 v[10:11], v[6:7], v[14:15], -v[10:11]
	v_mul_f64 v[6:7], v[6:7], v[16:17]
	v_add_f64 v[30:31], v[30:31], v[10:11]
	v_fma_f64 v[6:7], v[8:9], v[14:15], v[6:7]
	v_add_f64 v[32:33], v[6:7], v[32:33]
	ds_read_b128 v[6:9], v25 offset:80
	ds_read_b128 v[10:13], v24 offset:2560
	s_waitcnt lgkmcnt(0)
	v_mul_f64 v[14:15], v[8:9], v[12:13]
	v_mul_f64 v[16:17], v[6:7], v[12:13]
	v_fma_f64 v[14:15], v[6:7], v[10:11], -v[14:15]
	v_fma_f64 v[16:17], v[8:9], v[10:11], v[16:17]
	v_add_f64 v[34:35], v[34:35], v[14:15]
	v_add_f64 v[36:37], v[16:17], v[36:37]
	ds_read_b128 v[14:17], v24 offset:2816
	s_waitcnt lgkmcnt(0)
	v_mul_f64 v[38:39], v[8:9], v[16:17]
	v_fma_f64 v[38:39], v[6:7], v[14:15], -v[38:39]
	v_mul_f64 v[6:7], v[6:7], v[16:17]
	v_add_f64 v[28:29], v[28:29], v[38:39]
	v_fma_f64 v[6:7], v[8:9], v[14:15], v[6:7]
	v_add_f64 v[26:27], v[6:7], v[26:27]
	ds_read_b128 v[6:9], v25 offset:2128
	s_waitcnt lgkmcnt(0)
	v_mul_f64 v[38:39], v[8:9], v[12:13]
	v_mul_f64 v[12:13], v[6:7], v[12:13]
	v_fma_f64 v[38:39], v[6:7], v[10:11], -v[38:39]
	v_fma_f64 v[10:11], v[8:9], v[10:11], v[12:13]
	v_add_f64 v[18:19], v[18:19], v[38:39]
	v_add_f64 v[20:21], v[10:11], v[20:21]
	v_mul_f64 v[10:11], v[8:9], v[16:17]
	v_fma_f64 v[10:11], v[6:7], v[14:15], -v[10:11]
	v_mul_f64 v[6:7], v[6:7], v[16:17]
	v_add_f64 v[30:31], v[30:31], v[10:11]
	v_fma_f64 v[6:7], v[8:9], v[14:15], v[6:7]
	;; [unrolled: 31-line block ×3, first 2 shown]
	v_add_f64 v[44:45], v[6:7], v[32:33]
	ds_read_b128 v[6:9], v25 offset:112
	ds_read_b128 v[10:13], v24 offset:3584
	;; [unrolled: 1-line block ×3, first 2 shown]
	s_waitcnt lgkmcnt(1)
	v_mul_f64 v[14:15], v[8:9], v[12:13]
	s_waitcnt lgkmcnt(0)
	v_mul_f64 v[30:31], v[8:9], v[28:29]
	v_mul_f64 v[16:17], v[6:7], v[12:13]
	v_fma_f64 v[14:15], v[6:7], v[10:11], -v[14:15]
	v_fma_f64 v[30:31], v[6:7], v[26:27], -v[30:31]
	v_mul_f64 v[6:7], v[6:7], v[28:29]
	v_fma_f64 v[16:17], v[8:9], v[10:11], v[16:17]
	v_add_f64 v[14:15], v[34:35], v[14:15]
	v_fma_f64 v[8:9], v[8:9], v[26:27], v[6:7]
	v_add_f64 v[6:7], v[38:39], v[30:31]
	ds_read_b128 v[30:33], v25 offset:2160
	v_add_f64 v[16:17], v[16:17], v[36:37]
	s_waitcnt lgkmcnt(0)
	s_barrier
	v_mul_f64 v[34:35], v[32:33], v[12:13]
	v_mul_f64 v[12:13], v[30:31], v[12:13]
	v_add_f64 v[8:9], v[8:9], v[40:41]
	v_fma_f64 v[34:35], v[30:31], v[10:11], -v[34:35]
	v_fma_f64 v[10:11], v[32:33], v[10:11], v[12:13]
	v_mul_f64 v[12:13], v[30:31], v[28:29]
	v_add_f64 v[18:19], v[18:19], v[34:35]
	v_add_f64 v[20:21], v[10:11], v[20:21]
	v_mul_f64 v[10:11], v[32:33], v[28:29]
	v_fma_f64 v[10:11], v[30:31], v[26:27], -v[10:11]
	v_fma_f64 v[26:27], v[32:33], v[26:27], v[12:13]
	v_add_f64 v[12:13], v[42:43], v[10:11]
	v_add_f64 v[10:11], v[26:27], v[44:45]
	v_mov_b32_e32 v27, s1
	v_mov_b32_e32 v26, s0
	v_cmp_le_u64_e32 vcc, s[12:13], v[26:27]
	s_cbranch_vccz .LBB1644_2
	s_branch .LBB1644_4
.LBB1644_3:
	v_mov_b32_e32 v14, 0
	v_mov_b32_e32 v16, 0
	;; [unrolled: 1-line block ×16, first 2 shown]
.LBB1644_4:
	v_add_u32_e32 v4, s7, v1
	v_ashrrev_i32_e32 v1, 31, v4
	v_mul_lo_u32 v3, s22, v1
	v_mul_lo_u32 v5, s23, v4
	v_mad_u64_u32 v[1:2], s[0:1], s22, v4, 0
	s_load_dword s4, s[4:5], 0x0
	v_add_u32_e32 v0, s6, v0
	v_add3_u32 v2, v2, v3, v5
	v_lshlrev_b64 v[1:2], 4, v[1:2]
	s_waitcnt lgkmcnt(0)
	v_mov_b32_e32 v3, s9
	v_add_co_u32_e32 v5, vcc, s8, v1
	v_addc_co_u32_e32 v22, vcc, v3, v2, vcc
	v_cmp_le_i32_e64 s[0:1], v4, v0
	v_cmp_gt_i32_e32 vcc, s4, v0
	s_and_b64 s[0:1], s[0:1], vcc
	s_and_saveexec_b64 s[2:3], s[0:1]
	s_cbranch_execz .LBB1644_6
; %bb.5:
	v_mul_f64 v[1:2], s[16:17], v[16:17]
	v_mul_f64 v[16:17], s[14:15], v[16:17]
	v_fma_f64 v[23:24], s[14:15], v[14:15], -v[1:2]
	v_fma_f64 v[25:26], s[16:17], v[14:15], v[16:17]
	v_ashrrev_i32_e32 v1, 31, v0
	v_lshlrev_b64 v[1:2], 4, v[0:1]
	v_add_co_u32_e64 v1, s[0:1], v5, v1
	v_addc_co_u32_e64 v2, s[0:1], v22, v2, s[0:1]
	flat_store_dwordx4 v[1:2], v[23:26]
.LBB1644_6:
	s_or_b64 exec, exec, s[2:3]
	v_add_u32_e32 v2, 16, v0
	v_cmp_le_i32_e64 s[2:3], v4, v2
	v_cmp_gt_i32_e64 s[0:1], s4, v2
	s_and_b64 s[2:3], s[2:3], s[0:1]
	s_and_saveexec_b64 s[4:5], s[2:3]
	s_cbranch_execz .LBB1644_8
; %bb.7:
	v_mul_f64 v[14:15], s[16:17], v[8:9]
	v_mul_f64 v[8:9], s[14:15], v[8:9]
	v_ashrrev_i32_e32 v3, 31, v2
	v_fma_f64 v[14:15], s[14:15], v[6:7], -v[14:15]
	v_fma_f64 v[16:17], s[16:17], v[6:7], v[8:9]
	v_lshlrev_b64 v[6:7], 4, v[2:3]
	v_add_co_u32_e64 v5, s[2:3], v5, v6
	v_addc_co_u32_e64 v6, s[2:3], v22, v7, s[2:3]
	flat_store_dwordx4 v[5:6], v[14:17]
.LBB1644_8:
	s_or_b64 exec, exec, s[4:5]
	v_add_u32_e32 v3, 16, v4
	v_ashrrev_i32_e32 v1, 31, v3
	v_mul_lo_u32 v6, s23, v3
	v_mad_u64_u32 v[4:5], s[2:3], s22, v3, 0
	v_mul_lo_u32 v1, s22, v1
	v_add3_u32 v5, v5, v1, v6
	v_lshlrev_b64 v[4:5], 4, v[4:5]
	v_mov_b32_e32 v1, s9
	v_add_co_u32_e64 v4, s[2:3], s8, v4
	v_addc_co_u32_e64 v5, s[2:3], v1, v5, s[2:3]
	v_cmp_le_i32_e64 s[2:3], v3, v0
	s_and_b64 s[4:5], s[2:3], vcc
	s_and_saveexec_b64 s[2:3], s[4:5]
	s_cbranch_execz .LBB1644_10
; %bb.9:
	v_mul_f64 v[6:7], s[16:17], v[20:21]
	v_mul_f64 v[8:9], s[14:15], v[20:21]
	v_ashrrev_i32_e32 v1, 31, v0
	v_lshlrev_b64 v[0:1], 4, v[0:1]
	v_add_co_u32_e32 v0, vcc, v4, v0
	v_addc_co_u32_e32 v1, vcc, v5, v1, vcc
	v_fma_f64 v[6:7], s[14:15], v[18:19], -v[6:7]
	v_fma_f64 v[8:9], s[16:17], v[18:19], v[8:9]
	flat_store_dwordx4 v[0:1], v[6:9]
.LBB1644_10:
	s_or_b64 exec, exec, s[2:3]
	v_cmp_le_i32_e32 vcc, v3, v2
	s_and_b64 s[0:1], vcc, s[0:1]
	s_and_saveexec_b64 s[2:3], s[0:1]
	s_cbranch_execz .LBB1644_12
; %bb.11:
	v_mul_f64 v[0:1], s[16:17], v[10:11]
	v_mul_f64 v[8:9], s[14:15], v[10:11]
	v_ashrrev_i32_e32 v3, 31, v2
	v_fma_f64 v[6:7], s[14:15], v[12:13], -v[0:1]
	v_fma_f64 v[8:9], s[16:17], v[12:13], v[8:9]
	v_lshlrev_b64 v[0:1], 4, v[2:3]
	v_add_co_u32_e32 v0, vcc, v4, v0
	v_addc_co_u32_e32 v1, vcc, v5, v1, vcc
	flat_store_dwordx4 v[0:1], v[6:9]
.LBB1644_12:
	s_endpgm
	.section	.rodata,"a",@progbits
	.p2align	6, 0x0
	.amdhsa_kernel _ZL37rocblas_syrkx_herkx_restricted_kernelIl19rocblas_complex_numIdELi16ELi32ELi8ELb1ELb0ELc67ELc76EKPKS1_KPS1_EviT_T0_PT8_S7_lSA_S7_lS8_PT9_S7_li
		.amdhsa_group_segment_fixed_size 8192
		.amdhsa_private_segment_fixed_size 0
		.amdhsa_kernarg_size 124
		.amdhsa_user_sgpr_count 6
		.amdhsa_user_sgpr_private_segment_buffer 1
		.amdhsa_user_sgpr_dispatch_ptr 0
		.amdhsa_user_sgpr_queue_ptr 0
		.amdhsa_user_sgpr_kernarg_segment_ptr 1
		.amdhsa_user_sgpr_dispatch_id 0
		.amdhsa_user_sgpr_flat_scratch_init 0
		.amdhsa_user_sgpr_private_segment_size 0
		.amdhsa_uses_dynamic_stack 0
		.amdhsa_system_sgpr_private_segment_wavefront_offset 0
		.amdhsa_system_sgpr_workgroup_id_x 1
		.amdhsa_system_sgpr_workgroup_id_y 1
		.amdhsa_system_sgpr_workgroup_id_z 1
		.amdhsa_system_sgpr_workgroup_info 0
		.amdhsa_system_vgpr_workitem_id 1
		.amdhsa_next_free_vgpr 52
		.amdhsa_next_free_sgpr 61
		.amdhsa_reserve_vcc 1
		.amdhsa_reserve_flat_scratch 0
		.amdhsa_float_round_mode_32 0
		.amdhsa_float_round_mode_16_64 0
		.amdhsa_float_denorm_mode_32 3
		.amdhsa_float_denorm_mode_16_64 3
		.amdhsa_dx10_clamp 1
		.amdhsa_ieee_mode 1
		.amdhsa_fp16_overflow 0
		.amdhsa_exception_fp_ieee_invalid_op 0
		.amdhsa_exception_fp_denorm_src 0
		.amdhsa_exception_fp_ieee_div_zero 0
		.amdhsa_exception_fp_ieee_overflow 0
		.amdhsa_exception_fp_ieee_underflow 0
		.amdhsa_exception_fp_ieee_inexact 0
		.amdhsa_exception_int_div_zero 0
	.end_amdhsa_kernel
	.section	.text._ZL37rocblas_syrkx_herkx_restricted_kernelIl19rocblas_complex_numIdELi16ELi32ELi8ELb1ELb0ELc67ELc76EKPKS1_KPS1_EviT_T0_PT8_S7_lSA_S7_lS8_PT9_S7_li,"axG",@progbits,_ZL37rocblas_syrkx_herkx_restricted_kernelIl19rocblas_complex_numIdELi16ELi32ELi8ELb1ELb0ELc67ELc76EKPKS1_KPS1_EviT_T0_PT8_S7_lSA_S7_lS8_PT9_S7_li,comdat
.Lfunc_end1644:
	.size	_ZL37rocblas_syrkx_herkx_restricted_kernelIl19rocblas_complex_numIdELi16ELi32ELi8ELb1ELb0ELc67ELc76EKPKS1_KPS1_EviT_T0_PT8_S7_lSA_S7_lS8_PT9_S7_li, .Lfunc_end1644-_ZL37rocblas_syrkx_herkx_restricted_kernelIl19rocblas_complex_numIdELi16ELi32ELi8ELb1ELb0ELc67ELc76EKPKS1_KPS1_EviT_T0_PT8_S7_lSA_S7_lS8_PT9_S7_li
                                        ; -- End function
	.set _ZL37rocblas_syrkx_herkx_restricted_kernelIl19rocblas_complex_numIdELi16ELi32ELi8ELb1ELb0ELc67ELc76EKPKS1_KPS1_EviT_T0_PT8_S7_lSA_S7_lS8_PT9_S7_li.num_vgpr, 52
	.set _ZL37rocblas_syrkx_herkx_restricted_kernelIl19rocblas_complex_numIdELi16ELi32ELi8ELb1ELb0ELc67ELc76EKPKS1_KPS1_EviT_T0_PT8_S7_lSA_S7_lS8_PT9_S7_li.num_agpr, 0
	.set _ZL37rocblas_syrkx_herkx_restricted_kernelIl19rocblas_complex_numIdELi16ELi32ELi8ELb1ELb0ELc67ELc76EKPKS1_KPS1_EviT_T0_PT8_S7_lSA_S7_lS8_PT9_S7_li.numbered_sgpr, 28
	.set _ZL37rocblas_syrkx_herkx_restricted_kernelIl19rocblas_complex_numIdELi16ELi32ELi8ELb1ELb0ELc67ELc76EKPKS1_KPS1_EviT_T0_PT8_S7_lSA_S7_lS8_PT9_S7_li.num_named_barrier, 0
	.set _ZL37rocblas_syrkx_herkx_restricted_kernelIl19rocblas_complex_numIdELi16ELi32ELi8ELb1ELb0ELc67ELc76EKPKS1_KPS1_EviT_T0_PT8_S7_lSA_S7_lS8_PT9_S7_li.private_seg_size, 0
	.set _ZL37rocblas_syrkx_herkx_restricted_kernelIl19rocblas_complex_numIdELi16ELi32ELi8ELb1ELb0ELc67ELc76EKPKS1_KPS1_EviT_T0_PT8_S7_lSA_S7_lS8_PT9_S7_li.uses_vcc, 1
	.set _ZL37rocblas_syrkx_herkx_restricted_kernelIl19rocblas_complex_numIdELi16ELi32ELi8ELb1ELb0ELc67ELc76EKPKS1_KPS1_EviT_T0_PT8_S7_lSA_S7_lS8_PT9_S7_li.uses_flat_scratch, 0
	.set _ZL37rocblas_syrkx_herkx_restricted_kernelIl19rocblas_complex_numIdELi16ELi32ELi8ELb1ELb0ELc67ELc76EKPKS1_KPS1_EviT_T0_PT8_S7_lSA_S7_lS8_PT9_S7_li.has_dyn_sized_stack, 0
	.set _ZL37rocblas_syrkx_herkx_restricted_kernelIl19rocblas_complex_numIdELi16ELi32ELi8ELb1ELb0ELc67ELc76EKPKS1_KPS1_EviT_T0_PT8_S7_lSA_S7_lS8_PT9_S7_li.has_recursion, 0
	.set _ZL37rocblas_syrkx_herkx_restricted_kernelIl19rocblas_complex_numIdELi16ELi32ELi8ELb1ELb0ELc67ELc76EKPKS1_KPS1_EviT_T0_PT8_S7_lSA_S7_lS8_PT9_S7_li.has_indirect_call, 0
	.section	.AMDGPU.csdata,"",@progbits
; Kernel info:
; codeLenInByte = 2960
; TotalNumSgprs: 32
; NumVgprs: 52
; ScratchSize: 0
; MemoryBound: 0
; FloatMode: 240
; IeeeMode: 1
; LDSByteSize: 8192 bytes/workgroup (compile time only)
; SGPRBlocks: 8
; VGPRBlocks: 12
; NumSGPRsForWavesPerEU: 65
; NumVGPRsForWavesPerEU: 52
; Occupancy: 4
; WaveLimiterHint : 1
; COMPUTE_PGM_RSRC2:SCRATCH_EN: 0
; COMPUTE_PGM_RSRC2:USER_SGPR: 6
; COMPUTE_PGM_RSRC2:TRAP_HANDLER: 0
; COMPUTE_PGM_RSRC2:TGID_X_EN: 1
; COMPUTE_PGM_RSRC2:TGID_Y_EN: 1
; COMPUTE_PGM_RSRC2:TGID_Z_EN: 1
; COMPUTE_PGM_RSRC2:TIDIG_COMP_CNT: 1
	.section	.text._ZL37rocblas_syrkx_herkx_restricted_kernelIl19rocblas_complex_numIdELi16ELi32ELi8ELb1ELb0ELc78ELc76EKPKS1_KPS1_EviT_T0_PT8_S7_lSA_S7_lS8_PT9_S7_li,"axG",@progbits,_ZL37rocblas_syrkx_herkx_restricted_kernelIl19rocblas_complex_numIdELi16ELi32ELi8ELb1ELb0ELc78ELc76EKPKS1_KPS1_EviT_T0_PT8_S7_lSA_S7_lS8_PT9_S7_li,comdat
	.globl	_ZL37rocblas_syrkx_herkx_restricted_kernelIl19rocblas_complex_numIdELi16ELi32ELi8ELb1ELb0ELc78ELc76EKPKS1_KPS1_EviT_T0_PT8_S7_lSA_S7_lS8_PT9_S7_li ; -- Begin function _ZL37rocblas_syrkx_herkx_restricted_kernelIl19rocblas_complex_numIdELi16ELi32ELi8ELb1ELb0ELc78ELc76EKPKS1_KPS1_EviT_T0_PT8_S7_lSA_S7_lS8_PT9_S7_li
	.p2align	8
	.type	_ZL37rocblas_syrkx_herkx_restricted_kernelIl19rocblas_complex_numIdELi16ELi32ELi8ELb1ELb0ELc78ELc76EKPKS1_KPS1_EviT_T0_PT8_S7_lSA_S7_lS8_PT9_S7_li,@function
_ZL37rocblas_syrkx_herkx_restricted_kernelIl19rocblas_complex_numIdELi16ELi32ELi8ELb1ELb0ELc78ELc76EKPKS1_KPS1_EviT_T0_PT8_S7_lSA_S7_lS8_PT9_S7_li: ; @_ZL37rocblas_syrkx_herkx_restricted_kernelIl19rocblas_complex_numIdELi16ELi32ELi8ELb1ELb0ELc78ELc76EKPKS1_KPS1_EviT_T0_PT8_S7_lSA_S7_lS8_PT9_S7_li
; %bb.0:
	s_load_dwordx4 s[20:23], s[4:5], 0x60
	s_load_dwordx2 s[10:11], s[4:5], 0x28
	s_load_dwordx8 s[12:19], s[4:5], 0x8
	s_mov_b32 s9, 0
	s_lshl_b64 s[24:25], s[8:9], 3
	s_waitcnt lgkmcnt(0)
	s_add_u32 s0, s20, s24
	s_addc_u32 s1, s21, s25
	s_load_dwordx2 s[8:9], s[0:1], 0x0
	v_cmp_lt_i64_e64 s[0:1], s[12:13], 1
	s_lshl_b32 s20, s6, 5
	s_lshl_b32 s21, s7, 5
	s_and_b64 vcc, exec, s[0:1]
	s_cbranch_vccnz .LBB1645_3
; %bb.1:
	s_load_dwordx4 s[0:3], s[4:5], 0x38
	v_lshl_add_u32 v6, v1, 4, v0
	v_lshrrev_b32_e32 v7, 3, v6
	v_add_u32_e32 v2, s21, v7
	s_add_u32 s6, s18, s24
	v_and_b32_e32 v8, 7, v0
	v_ashrrev_i32_e32 v3, 31, v2
	s_addc_u32 s7, s19, s25
	s_waitcnt lgkmcnt(0)
	v_mad_u64_u32 v[4:5], s[18:19], s2, v8, v[2:3]
	v_lshrrev_b32_e32 v9, 5, v6
	s_add_u32 s0, s0, s24
	v_mov_b32_e32 v2, v5
	v_mad_u64_u32 v[2:3], s[18:19], s3, v8, v[2:3]
	v_and_b32_e32 v3, 31, v6
	s_addc_u32 s1, s1, s25
	v_mov_b32_e32 v5, v2
	v_lshlrev_b32_e32 v2, 4, v3
	v_lshl_or_b32 v22, v9, 9, v2
	v_add_u32_e32 v2, s20, v3
	v_ashrrev_i32_e32 v3, 31, v2
	s_load_dwordx2 s[18:19], s[0:1], 0x0
	v_mad_u64_u32 v[2:3], s[0:1], s10, v9, v[2:3]
	v_lshlrev_b32_e32 v6, 4, v8
	v_lshl_or_b32 v6, v7, 7, v6
	v_add_u32_e32 v23, 0x1000, v6
	v_mad_u64_u32 v[6:7], s[0:1], s11, v9, v[3:4]
	s_load_dwordx2 s[6:7], s[6:7], 0x0
	v_mov_b32_e32 v3, 0x1000
	v_lshl_add_u32 v25, v1, 7, v3
	v_mov_b32_e32 v3, v6
	v_lshlrev_b64 v[2:3], 4, v[2:3]
	s_waitcnt lgkmcnt(0)
	v_mov_b32_e32 v6, s7
	v_add_co_u32_e32 v2, vcc, s6, v2
	v_lshlrev_b64 v[4:5], 4, v[4:5]
	v_addc_co_u32_e32 v3, vcc, v6, v3, vcc
	v_mov_b32_e32 v6, s19
	v_add_co_u32_e32 v4, vcc, s18, v4
	s_lshl_b64 s[0:1], s[10:11], 7
	v_addc_co_u32_e32 v5, vcc, v6, v5, vcc
	s_lshl_b64 s[2:3], s[2:3], 7
	v_mov_b32_e32 v10, 0
	v_mov_b32_e32 v12, 0
	;; [unrolled: 1-line block ×8, first 2 shown]
	v_lshlrev_b32_e32 v24, 4, v0
	v_mov_b32_e32 v11, 0
	s_mov_b64 s[6:7], 0
	v_mov_b32_e32 v26, s1
	v_mov_b32_e32 v13, 0
	;; [unrolled: 1-line block ×9, first 2 shown]
.LBB1645_2:                             ; =>This Inner Loop Header: Depth=1
	flat_load_dwordx4 v[28:31], v[2:3]
	s_add_u32 s6, s6, 8
	v_add_co_u32_e32 v2, vcc, s0, v2
	s_addc_u32 s7, s7, 0
	v_addc_co_u32_e32 v3, vcc, v3, v26, vcc
	s_waitcnt vmcnt(0) lgkmcnt(0)
	ds_write_b128 v22, v[28:31]
	flat_load_dwordx4 v[28:31], v[4:5]
	v_add_co_u32_e32 v4, vcc, s2, v4
	v_addc_co_u32_e32 v5, vcc, v5, v27, vcc
	s_waitcnt vmcnt(0) lgkmcnt(0)
	ds_write_b128 v23, v[28:31]
	s_waitcnt lgkmcnt(0)
	s_barrier
	ds_read_b128 v[28:31], v25
	ds_read_b128 v[32:35], v25 offset:16
	ds_read_b128 v[36:39], v25 offset:32
	;; [unrolled: 1-line block ×3, first 2 shown]
	ds_read_b128 v[44:47], v24
	s_waitcnt lgkmcnt(0)
	v_mul_f64 v[48:49], v[30:31], v[46:47]
	v_mul_f64 v[50:51], v[28:29], v[46:47]
	v_fma_f64 v[48:49], v[28:29], v[44:45], -v[48:49]
	v_fma_f64 v[50:51], v[30:31], v[44:45], v[50:51]
	v_add_f64 v[48:49], v[18:19], v[48:49]
	v_add_f64 v[50:51], v[50:51], v[20:21]
	ds_read_b128 v[18:21], v24 offset:256
	s_waitcnt lgkmcnt(0)
	v_mul_f64 v[52:53], v[30:31], v[20:21]
	v_fma_f64 v[52:53], v[28:29], v[18:19], -v[52:53]
	v_mul_f64 v[28:29], v[28:29], v[20:21]
	v_fma_f64 v[28:29], v[30:31], v[18:19], v[28:29]
	v_add_f64 v[30:31], v[6:7], v[52:53]
	v_add_f64 v[28:29], v[28:29], v[8:9]
	ds_read_b128 v[6:9], v25 offset:2048
	s_waitcnt lgkmcnt(0)
	v_mul_f64 v[52:53], v[8:9], v[46:47]
	v_mul_f64 v[46:47], v[6:7], v[46:47]
	v_fma_f64 v[52:53], v[6:7], v[44:45], -v[52:53]
	v_fma_f64 v[44:45], v[8:9], v[44:45], v[46:47]
	v_add_f64 v[46:47], v[14:15], v[52:53]
	v_mul_f64 v[14:15], v[8:9], v[20:21]
	v_add_f64 v[44:45], v[44:45], v[16:17]
	v_fma_f64 v[14:15], v[6:7], v[18:19], -v[14:15]
	v_mul_f64 v[6:7], v[6:7], v[20:21]
	v_fma_f64 v[6:7], v[8:9], v[18:19], v[6:7]
	v_add_f64 v[18:19], v[12:13], v[14:15]
	v_add_f64 v[20:21], v[6:7], v[10:11]
	ds_read_b128 v[6:9], v24 offset:512
	s_waitcnt lgkmcnt(0)
	v_mul_f64 v[10:11], v[34:35], v[8:9]
	v_mul_f64 v[12:13], v[32:33], v[8:9]
	v_fma_f64 v[10:11], v[32:33], v[6:7], -v[10:11]
	v_fma_f64 v[12:13], v[34:35], v[6:7], v[12:13]
	v_add_f64 v[48:49], v[48:49], v[10:11]
	v_add_f64 v[50:51], v[12:13], v[50:51]
	ds_read_b128 v[10:13], v24 offset:768
	s_waitcnt lgkmcnt(0)
	v_mul_f64 v[14:15], v[34:35], v[12:13]
	v_mul_f64 v[16:17], v[32:33], v[12:13]
	v_fma_f64 v[14:15], v[32:33], v[10:11], -v[14:15]
	;; [unrolled: 8-line block ×3, first 2 shown]
	v_fma_f64 v[6:7], v[16:17], v[6:7], v[8:9]
	v_mul_f64 v[8:9], v[14:15], v[12:13]
	v_add_f64 v[32:33], v[46:47], v[32:33]
	v_add_f64 v[34:35], v[6:7], v[44:45]
	v_mul_f64 v[6:7], v[16:17], v[12:13]
	v_fma_f64 v[8:9], v[16:17], v[10:11], v[8:9]
	v_fma_f64 v[6:7], v[14:15], v[10:11], -v[6:7]
	v_add_f64 v[20:21], v[8:9], v[20:21]
	v_add_f64 v[18:19], v[18:19], v[6:7]
	ds_read_b128 v[6:9], v24 offset:1024
	s_waitcnt lgkmcnt(0)
	v_mul_f64 v[10:11], v[38:39], v[8:9]
	v_mul_f64 v[12:13], v[36:37], v[8:9]
	v_fma_f64 v[10:11], v[36:37], v[6:7], -v[10:11]
	v_fma_f64 v[12:13], v[38:39], v[6:7], v[12:13]
	v_add_f64 v[44:45], v[48:49], v[10:11]
	v_add_f64 v[46:47], v[12:13], v[50:51]
	ds_read_b128 v[10:13], v24 offset:1280
	s_waitcnt lgkmcnt(0)
	v_mul_f64 v[14:15], v[38:39], v[12:13]
	v_mul_f64 v[16:17], v[36:37], v[12:13]
	v_fma_f64 v[14:15], v[36:37], v[10:11], -v[14:15]
	v_fma_f64 v[16:17], v[38:39], v[10:11], v[16:17]
	;; [unrolled: 8-line block ×3, first 2 shown]
	v_mul_f64 v[8:9], v[14:15], v[12:13]
	v_add_f64 v[32:33], v[32:33], v[36:37]
	v_add_f64 v[34:35], v[6:7], v[34:35]
	v_mul_f64 v[6:7], v[16:17], v[12:13]
	v_fma_f64 v[8:9], v[16:17], v[10:11], v[8:9]
	v_fma_f64 v[6:7], v[14:15], v[10:11], -v[6:7]
	v_add_f64 v[20:21], v[8:9], v[20:21]
	v_add_f64 v[18:19], v[18:19], v[6:7]
	ds_read_b128 v[6:9], v24 offset:1536
	s_waitcnt lgkmcnt(0)
	v_mul_f64 v[10:11], v[42:43], v[8:9]
	v_mul_f64 v[12:13], v[40:41], v[8:9]
	v_fma_f64 v[10:11], v[40:41], v[6:7], -v[10:11]
	v_fma_f64 v[12:13], v[42:43], v[6:7], v[12:13]
	v_add_f64 v[36:37], v[44:45], v[10:11]
	v_add_f64 v[38:39], v[12:13], v[46:47]
	ds_read_b128 v[10:13], v24 offset:1792
	s_waitcnt lgkmcnt(0)
	v_mul_f64 v[14:15], v[42:43], v[12:13]
	v_mul_f64 v[16:17], v[40:41], v[12:13]
	v_fma_f64 v[14:15], v[40:41], v[10:11], -v[14:15]
	v_fma_f64 v[16:17], v[42:43], v[10:11], v[16:17]
	v_add_f64 v[30:31], v[30:31], v[14:15]
	v_add_f64 v[28:29], v[16:17], v[28:29]
	ds_read_b128 v[14:17], v25 offset:2096
	s_waitcnt lgkmcnt(0)
	v_mul_f64 v[40:41], v[16:17], v[8:9]
	v_mul_f64 v[8:9], v[14:15], v[8:9]
	v_fma_f64 v[40:41], v[14:15], v[6:7], -v[40:41]
	v_fma_f64 v[6:7], v[16:17], v[6:7], v[8:9]
	v_mul_f64 v[8:9], v[14:15], v[12:13]
	v_add_f64 v[32:33], v[32:33], v[40:41]
	v_add_f64 v[34:35], v[6:7], v[34:35]
	v_mul_f64 v[6:7], v[16:17], v[12:13]
	v_fma_f64 v[8:9], v[16:17], v[10:11], v[8:9]
	v_fma_f64 v[6:7], v[14:15], v[10:11], -v[6:7]
	v_add_f64 v[20:21], v[8:9], v[20:21]
	v_add_f64 v[18:19], v[18:19], v[6:7]
	ds_read_b128 v[6:9], v25 offset:64
	ds_read_b128 v[10:13], v24 offset:2048
	s_waitcnt lgkmcnt(0)
	v_mul_f64 v[14:15], v[8:9], v[12:13]
	v_mul_f64 v[16:17], v[6:7], v[12:13]
	v_fma_f64 v[14:15], v[6:7], v[10:11], -v[14:15]
	v_fma_f64 v[16:17], v[8:9], v[10:11], v[16:17]
	v_add_f64 v[36:37], v[36:37], v[14:15]
	v_add_f64 v[38:39], v[16:17], v[38:39]
	ds_read_b128 v[14:17], v24 offset:2304
	s_waitcnt lgkmcnt(0)
	v_mul_f64 v[40:41], v[8:9], v[16:17]
	v_fma_f64 v[40:41], v[6:7], v[14:15], -v[40:41]
	v_mul_f64 v[6:7], v[6:7], v[16:17]
	v_add_f64 v[30:31], v[30:31], v[40:41]
	v_fma_f64 v[6:7], v[8:9], v[14:15], v[6:7]
	v_add_f64 v[28:29], v[6:7], v[28:29]
	ds_read_b128 v[6:9], v25 offset:2112
	s_waitcnt lgkmcnt(0)
	v_mul_f64 v[40:41], v[8:9], v[12:13]
	v_mul_f64 v[12:13], v[6:7], v[12:13]
	v_fma_f64 v[40:41], v[6:7], v[10:11], -v[40:41]
	v_fma_f64 v[10:11], v[8:9], v[10:11], v[12:13]
	v_add_f64 v[32:33], v[32:33], v[40:41]
	v_add_f64 v[34:35], v[10:11], v[34:35]
	v_mul_f64 v[10:11], v[8:9], v[16:17]
	v_fma_f64 v[10:11], v[6:7], v[14:15], -v[10:11]
	v_mul_f64 v[6:7], v[6:7], v[16:17]
	v_add_f64 v[18:19], v[18:19], v[10:11]
	v_fma_f64 v[6:7], v[8:9], v[14:15], v[6:7]
	v_add_f64 v[20:21], v[6:7], v[20:21]
	ds_read_b128 v[6:9], v25 offset:80
	ds_read_b128 v[10:13], v24 offset:2560
	s_waitcnt lgkmcnt(0)
	v_mul_f64 v[14:15], v[8:9], v[12:13]
	v_mul_f64 v[16:17], v[6:7], v[12:13]
	v_fma_f64 v[14:15], v[6:7], v[10:11], -v[14:15]
	v_fma_f64 v[16:17], v[8:9], v[10:11], v[16:17]
	v_add_f64 v[36:37], v[36:37], v[14:15]
	v_add_f64 v[38:39], v[16:17], v[38:39]
	ds_read_b128 v[14:17], v24 offset:2816
	s_waitcnt lgkmcnt(0)
	v_mul_f64 v[40:41], v[8:9], v[16:17]
	v_fma_f64 v[40:41], v[6:7], v[14:15], -v[40:41]
	v_mul_f64 v[6:7], v[6:7], v[16:17]
	v_add_f64 v[30:31], v[30:31], v[40:41]
	v_fma_f64 v[6:7], v[8:9], v[14:15], v[6:7]
	v_add_f64 v[28:29], v[6:7], v[28:29]
	ds_read_b128 v[6:9], v25 offset:2128
	s_waitcnt lgkmcnt(0)
	v_mul_f64 v[40:41], v[8:9], v[12:13]
	v_mul_f64 v[12:13], v[6:7], v[12:13]
	v_fma_f64 v[40:41], v[6:7], v[10:11], -v[40:41]
	v_fma_f64 v[10:11], v[8:9], v[10:11], v[12:13]
	v_add_f64 v[32:33], v[32:33], v[40:41]
	v_add_f64 v[34:35], v[10:11], v[34:35]
	v_mul_f64 v[10:11], v[8:9], v[16:17]
	v_fma_f64 v[10:11], v[6:7], v[14:15], -v[10:11]
	v_mul_f64 v[6:7], v[6:7], v[16:17]
	v_add_f64 v[18:19], v[18:19], v[10:11]
	v_fma_f64 v[6:7], v[8:9], v[14:15], v[6:7]
	;; [unrolled: 31-line block ×3, first 2 shown]
	v_add_f64 v[50:51], v[6:7], v[20:21]
	ds_read_b128 v[6:9], v25 offset:112
	ds_read_b128 v[10:13], v24 offset:3584
	;; [unrolled: 1-line block ×4, first 2 shown]
	s_waitcnt lgkmcnt(0)
	s_barrier
	v_mul_f64 v[14:15], v[8:9], v[12:13]
	v_mul_f64 v[16:17], v[6:7], v[12:13]
	v_fma_f64 v[14:15], v[6:7], v[10:11], -v[14:15]
	v_fma_f64 v[16:17], v[8:9], v[10:11], v[16:17]
	v_add_f64 v[18:19], v[36:37], v[14:15]
	v_mul_f64 v[14:15], v[8:9], v[30:31]
	v_add_f64 v[20:21], v[16:17], v[38:39]
	v_fma_f64 v[14:15], v[6:7], v[28:29], -v[14:15]
	v_mul_f64 v[6:7], v[6:7], v[30:31]
	v_fma_f64 v[8:9], v[8:9], v[28:29], v[6:7]
	v_add_f64 v[6:7], v[40:41], v[14:15]
	v_mul_f64 v[14:15], v[34:35], v[12:13]
	v_mul_f64 v[12:13], v[32:33], v[12:13]
	v_add_f64 v[8:9], v[8:9], v[42:43]
	v_fma_f64 v[14:15], v[32:33], v[10:11], -v[14:15]
	v_fma_f64 v[10:11], v[34:35], v[10:11], v[12:13]
	v_mul_f64 v[12:13], v[32:33], v[30:31]
	v_add_f64 v[14:15], v[44:45], v[14:15]
	v_add_f64 v[16:17], v[10:11], v[46:47]
	v_mul_f64 v[10:11], v[34:35], v[30:31]
	v_fma_f64 v[10:11], v[32:33], v[28:29], -v[10:11]
	v_fma_f64 v[28:29], v[34:35], v[28:29], v[12:13]
	v_add_f64 v[12:13], v[48:49], v[10:11]
	v_add_f64 v[10:11], v[28:29], v[50:51]
	v_mov_b32_e32 v29, s7
	v_mov_b32_e32 v28, s6
	v_cmp_le_u64_e32 vcc, s[12:13], v[28:29]
	s_cbranch_vccz .LBB1645_2
	s_branch .LBB1645_4
.LBB1645_3:
	v_mov_b32_e32 v18, 0
	v_mov_b32_e32 v20, 0
	;; [unrolled: 1-line block ×16, first 2 shown]
.LBB1645_4:
	v_add_u32_e32 v4, s21, v1
	v_ashrrev_i32_e32 v1, 31, v4
	v_mul_lo_u32 v3, s22, v1
	v_mul_lo_u32 v5, s23, v4
	v_mad_u64_u32 v[1:2], s[0:1], s22, v4, 0
	s_load_dword s4, s[4:5], 0x0
	v_add_u32_e32 v0, s20, v0
	v_add3_u32 v2, v2, v3, v5
	v_lshlrev_b64 v[1:2], 4, v[1:2]
	s_waitcnt lgkmcnt(0)
	v_mov_b32_e32 v3, s9
	v_add_co_u32_e32 v5, vcc, s8, v1
	v_addc_co_u32_e32 v22, vcc, v3, v2, vcc
	v_cmp_le_i32_e64 s[0:1], v4, v0
	v_cmp_gt_i32_e32 vcc, s4, v0
	s_and_b64 s[0:1], s[0:1], vcc
	s_and_saveexec_b64 s[2:3], s[0:1]
	s_cbranch_execz .LBB1645_6
; %bb.5:
	v_mul_f64 v[1:2], s[16:17], v[20:21]
	v_mul_f64 v[20:21], s[14:15], v[20:21]
	v_fma_f64 v[23:24], s[14:15], v[18:19], -v[1:2]
	v_fma_f64 v[25:26], s[16:17], v[18:19], v[20:21]
	v_ashrrev_i32_e32 v1, 31, v0
	v_lshlrev_b64 v[1:2], 4, v[0:1]
	v_add_co_u32_e64 v1, s[0:1], v5, v1
	v_addc_co_u32_e64 v2, s[0:1], v22, v2, s[0:1]
	flat_store_dwordx4 v[1:2], v[23:26]
.LBB1645_6:
	s_or_b64 exec, exec, s[2:3]
	v_add_u32_e32 v2, 16, v0
	v_cmp_le_i32_e64 s[2:3], v4, v2
	v_cmp_gt_i32_e64 s[0:1], s4, v2
	s_and_b64 s[2:3], s[2:3], s[0:1]
	s_and_saveexec_b64 s[4:5], s[2:3]
	s_cbranch_execz .LBB1645_8
; %bb.7:
	v_mul_f64 v[18:19], s[16:17], v[8:9]
	v_mul_f64 v[8:9], s[14:15], v[8:9]
	v_ashrrev_i32_e32 v3, 31, v2
	v_fma_f64 v[18:19], s[14:15], v[6:7], -v[18:19]
	v_fma_f64 v[20:21], s[16:17], v[6:7], v[8:9]
	v_lshlrev_b64 v[6:7], 4, v[2:3]
	v_add_co_u32_e64 v5, s[2:3], v5, v6
	v_addc_co_u32_e64 v6, s[2:3], v22, v7, s[2:3]
	flat_store_dwordx4 v[5:6], v[18:21]
.LBB1645_8:
	s_or_b64 exec, exec, s[4:5]
	v_add_u32_e32 v3, 16, v4
	v_ashrrev_i32_e32 v1, 31, v3
	v_mul_lo_u32 v6, s23, v3
	v_mad_u64_u32 v[4:5], s[2:3], s22, v3, 0
	v_mul_lo_u32 v1, s22, v1
	v_add3_u32 v5, v5, v1, v6
	v_lshlrev_b64 v[4:5], 4, v[4:5]
	v_mov_b32_e32 v1, s9
	v_add_co_u32_e64 v4, s[2:3], s8, v4
	v_addc_co_u32_e64 v5, s[2:3], v1, v5, s[2:3]
	v_cmp_le_i32_e64 s[2:3], v3, v0
	s_and_b64 s[4:5], s[2:3], vcc
	s_and_saveexec_b64 s[2:3], s[4:5]
	s_cbranch_execz .LBB1645_10
; %bb.9:
	v_mul_f64 v[6:7], s[16:17], v[16:17]
	v_mul_f64 v[8:9], s[14:15], v[16:17]
	v_ashrrev_i32_e32 v1, 31, v0
	v_lshlrev_b64 v[0:1], 4, v[0:1]
	v_add_co_u32_e32 v0, vcc, v4, v0
	v_addc_co_u32_e32 v1, vcc, v5, v1, vcc
	v_fma_f64 v[6:7], s[14:15], v[14:15], -v[6:7]
	v_fma_f64 v[8:9], s[16:17], v[14:15], v[8:9]
	flat_store_dwordx4 v[0:1], v[6:9]
.LBB1645_10:
	s_or_b64 exec, exec, s[2:3]
	v_cmp_le_i32_e32 vcc, v3, v2
	s_and_b64 s[0:1], vcc, s[0:1]
	s_and_saveexec_b64 s[2:3], s[0:1]
	s_cbranch_execz .LBB1645_12
; %bb.11:
	v_mul_f64 v[0:1], s[16:17], v[10:11]
	v_mul_f64 v[8:9], s[14:15], v[10:11]
	v_ashrrev_i32_e32 v3, 31, v2
	v_fma_f64 v[6:7], s[14:15], v[12:13], -v[0:1]
	v_fma_f64 v[8:9], s[16:17], v[12:13], v[8:9]
	v_lshlrev_b64 v[0:1], 4, v[2:3]
	v_add_co_u32_e32 v0, vcc, v4, v0
	v_addc_co_u32_e32 v1, vcc, v5, v1, vcc
	flat_store_dwordx4 v[0:1], v[6:9]
.LBB1645_12:
	s_endpgm
	.section	.rodata,"a",@progbits
	.p2align	6, 0x0
	.amdhsa_kernel _ZL37rocblas_syrkx_herkx_restricted_kernelIl19rocblas_complex_numIdELi16ELi32ELi8ELb1ELb0ELc78ELc76EKPKS1_KPS1_EviT_T0_PT8_S7_lSA_S7_lS8_PT9_S7_li
		.amdhsa_group_segment_fixed_size 8192
		.amdhsa_private_segment_fixed_size 0
		.amdhsa_kernarg_size 124
		.amdhsa_user_sgpr_count 6
		.amdhsa_user_sgpr_private_segment_buffer 1
		.amdhsa_user_sgpr_dispatch_ptr 0
		.amdhsa_user_sgpr_queue_ptr 0
		.amdhsa_user_sgpr_kernarg_segment_ptr 1
		.amdhsa_user_sgpr_dispatch_id 0
		.amdhsa_user_sgpr_flat_scratch_init 0
		.amdhsa_user_sgpr_private_segment_size 0
		.amdhsa_uses_dynamic_stack 0
		.amdhsa_system_sgpr_private_segment_wavefront_offset 0
		.amdhsa_system_sgpr_workgroup_id_x 1
		.amdhsa_system_sgpr_workgroup_id_y 1
		.amdhsa_system_sgpr_workgroup_id_z 1
		.amdhsa_system_sgpr_workgroup_info 0
		.amdhsa_system_vgpr_workitem_id 1
		.amdhsa_next_free_vgpr 54
		.amdhsa_next_free_sgpr 61
		.amdhsa_reserve_vcc 1
		.amdhsa_reserve_flat_scratch 0
		.amdhsa_float_round_mode_32 0
		.amdhsa_float_round_mode_16_64 0
		.amdhsa_float_denorm_mode_32 3
		.amdhsa_float_denorm_mode_16_64 3
		.amdhsa_dx10_clamp 1
		.amdhsa_ieee_mode 1
		.amdhsa_fp16_overflow 0
		.amdhsa_exception_fp_ieee_invalid_op 0
		.amdhsa_exception_fp_denorm_src 0
		.amdhsa_exception_fp_ieee_div_zero 0
		.amdhsa_exception_fp_ieee_overflow 0
		.amdhsa_exception_fp_ieee_underflow 0
		.amdhsa_exception_fp_ieee_inexact 0
		.amdhsa_exception_int_div_zero 0
	.end_amdhsa_kernel
	.section	.text._ZL37rocblas_syrkx_herkx_restricted_kernelIl19rocblas_complex_numIdELi16ELi32ELi8ELb1ELb0ELc78ELc76EKPKS1_KPS1_EviT_T0_PT8_S7_lSA_S7_lS8_PT9_S7_li,"axG",@progbits,_ZL37rocblas_syrkx_herkx_restricted_kernelIl19rocblas_complex_numIdELi16ELi32ELi8ELb1ELb0ELc78ELc76EKPKS1_KPS1_EviT_T0_PT8_S7_lSA_S7_lS8_PT9_S7_li,comdat
.Lfunc_end1645:
	.size	_ZL37rocblas_syrkx_herkx_restricted_kernelIl19rocblas_complex_numIdELi16ELi32ELi8ELb1ELb0ELc78ELc76EKPKS1_KPS1_EviT_T0_PT8_S7_lSA_S7_lS8_PT9_S7_li, .Lfunc_end1645-_ZL37rocblas_syrkx_herkx_restricted_kernelIl19rocblas_complex_numIdELi16ELi32ELi8ELb1ELb0ELc78ELc76EKPKS1_KPS1_EviT_T0_PT8_S7_lSA_S7_lS8_PT9_S7_li
                                        ; -- End function
	.set _ZL37rocblas_syrkx_herkx_restricted_kernelIl19rocblas_complex_numIdELi16ELi32ELi8ELb1ELb0ELc78ELc76EKPKS1_KPS1_EviT_T0_PT8_S7_lSA_S7_lS8_PT9_S7_li.num_vgpr, 54
	.set _ZL37rocblas_syrkx_herkx_restricted_kernelIl19rocblas_complex_numIdELi16ELi32ELi8ELb1ELb0ELc78ELc76EKPKS1_KPS1_EviT_T0_PT8_S7_lSA_S7_lS8_PT9_S7_li.num_agpr, 0
	.set _ZL37rocblas_syrkx_herkx_restricted_kernelIl19rocblas_complex_numIdELi16ELi32ELi8ELb1ELb0ELc78ELc76EKPKS1_KPS1_EviT_T0_PT8_S7_lSA_S7_lS8_PT9_S7_li.numbered_sgpr, 26
	.set _ZL37rocblas_syrkx_herkx_restricted_kernelIl19rocblas_complex_numIdELi16ELi32ELi8ELb1ELb0ELc78ELc76EKPKS1_KPS1_EviT_T0_PT8_S7_lSA_S7_lS8_PT9_S7_li.num_named_barrier, 0
	.set _ZL37rocblas_syrkx_herkx_restricted_kernelIl19rocblas_complex_numIdELi16ELi32ELi8ELb1ELb0ELc78ELc76EKPKS1_KPS1_EviT_T0_PT8_S7_lSA_S7_lS8_PT9_S7_li.private_seg_size, 0
	.set _ZL37rocblas_syrkx_herkx_restricted_kernelIl19rocblas_complex_numIdELi16ELi32ELi8ELb1ELb0ELc78ELc76EKPKS1_KPS1_EviT_T0_PT8_S7_lSA_S7_lS8_PT9_S7_li.uses_vcc, 1
	.set _ZL37rocblas_syrkx_herkx_restricted_kernelIl19rocblas_complex_numIdELi16ELi32ELi8ELb1ELb0ELc78ELc76EKPKS1_KPS1_EviT_T0_PT8_S7_lSA_S7_lS8_PT9_S7_li.uses_flat_scratch, 0
	.set _ZL37rocblas_syrkx_herkx_restricted_kernelIl19rocblas_complex_numIdELi16ELi32ELi8ELb1ELb0ELc78ELc76EKPKS1_KPS1_EviT_T0_PT8_S7_lSA_S7_lS8_PT9_S7_li.has_dyn_sized_stack, 0
	.set _ZL37rocblas_syrkx_herkx_restricted_kernelIl19rocblas_complex_numIdELi16ELi32ELi8ELb1ELb0ELc78ELc76EKPKS1_KPS1_EviT_T0_PT8_S7_lSA_S7_lS8_PT9_S7_li.has_recursion, 0
	.set _ZL37rocblas_syrkx_herkx_restricted_kernelIl19rocblas_complex_numIdELi16ELi32ELi8ELb1ELb0ELc78ELc76EKPKS1_KPS1_EviT_T0_PT8_S7_lSA_S7_lS8_PT9_S7_li.has_indirect_call, 0
	.section	.AMDGPU.csdata,"",@progbits
; Kernel info:
; codeLenInByte = 2932
; TotalNumSgprs: 30
; NumVgprs: 54
; ScratchSize: 0
; MemoryBound: 0
; FloatMode: 240
; IeeeMode: 1
; LDSByteSize: 8192 bytes/workgroup (compile time only)
; SGPRBlocks: 8
; VGPRBlocks: 13
; NumSGPRsForWavesPerEU: 65
; NumVGPRsForWavesPerEU: 54
; Occupancy: 4
; WaveLimiterHint : 1
; COMPUTE_PGM_RSRC2:SCRATCH_EN: 0
; COMPUTE_PGM_RSRC2:USER_SGPR: 6
; COMPUTE_PGM_RSRC2:TRAP_HANDLER: 0
; COMPUTE_PGM_RSRC2:TGID_X_EN: 1
; COMPUTE_PGM_RSRC2:TGID_Y_EN: 1
; COMPUTE_PGM_RSRC2:TGID_Z_EN: 1
; COMPUTE_PGM_RSRC2:TIDIG_COMP_CNT: 1
	.section	.text._ZL37rocblas_syrkx_herkx_restricted_kernelIl19rocblas_complex_numIdELi16ELi32ELi8ELb1ELb0ELc84ELc85EKPKS1_KPS1_EviT_T0_PT8_S7_lSA_S7_lS8_PT9_S7_li,"axG",@progbits,_ZL37rocblas_syrkx_herkx_restricted_kernelIl19rocblas_complex_numIdELi16ELi32ELi8ELb1ELb0ELc84ELc85EKPKS1_KPS1_EviT_T0_PT8_S7_lSA_S7_lS8_PT9_S7_li,comdat
	.globl	_ZL37rocblas_syrkx_herkx_restricted_kernelIl19rocblas_complex_numIdELi16ELi32ELi8ELb1ELb0ELc84ELc85EKPKS1_KPS1_EviT_T0_PT8_S7_lSA_S7_lS8_PT9_S7_li ; -- Begin function _ZL37rocblas_syrkx_herkx_restricted_kernelIl19rocblas_complex_numIdELi16ELi32ELi8ELb1ELb0ELc84ELc85EKPKS1_KPS1_EviT_T0_PT8_S7_lSA_S7_lS8_PT9_S7_li
	.p2align	8
	.type	_ZL37rocblas_syrkx_herkx_restricted_kernelIl19rocblas_complex_numIdELi16ELi32ELi8ELb1ELb0ELc84ELc85EKPKS1_KPS1_EviT_T0_PT8_S7_lSA_S7_lS8_PT9_S7_li,@function
_ZL37rocblas_syrkx_herkx_restricted_kernelIl19rocblas_complex_numIdELi16ELi32ELi8ELb1ELb0ELc84ELc85EKPKS1_KPS1_EviT_T0_PT8_S7_lSA_S7_lS8_PT9_S7_li: ; @_ZL37rocblas_syrkx_herkx_restricted_kernelIl19rocblas_complex_numIdELi16ELi32ELi8ELb1ELb0ELc84ELc85EKPKS1_KPS1_EviT_T0_PT8_S7_lSA_S7_lS8_PT9_S7_li
; %bb.0:
	s_load_dwordx4 s[0:3], s[4:5], 0x60
	s_load_dwordx2 s[10:11], s[4:5], 0x28
	s_load_dwordx8 s[12:19], s[4:5], 0x8
	s_mov_b32 s9, 0
	s_lshl_b64 s[20:21], s[8:9], 3
	s_waitcnt lgkmcnt(0)
	s_add_u32 s0, s0, s20
	s_addc_u32 s1, s1, s21
	s_load_dwordx2 s[8:9], s[0:1], 0x0
	v_cmp_lt_i64_e64 s[0:1], s[12:13], 1
	s_lshl_b32 s6, s6, 5
	s_lshl_b32 s7, s7, 5
	s_and_b64 vcc, exec, s[0:1]
	s_cbranch_vccnz .LBB1646_3
; %bb.1:
	s_load_dwordx4 s[24:27], s[4:5], 0x38
	v_lshl_add_u32 v7, v1, 4, v0
	s_add_u32 s0, s18, s20
	v_lshrrev_b32_e32 v8, 3, v7
	s_addc_u32 s1, s19, s21
	v_add_u32_e32 v4, s7, v8
	s_waitcnt lgkmcnt(0)
	s_add_u32 s18, s24, s20
	v_and_b32_e32 v2, 7, v0
	v_ashrrev_i32_e32 v5, 31, v4
	v_mov_b32_e32 v3, 0
	s_addc_u32 s19, s25, s21
	v_mul_lo_u32 v9, s26, v5
	v_mul_lo_u32 v10, s27, v4
	v_mad_u64_u32 v[4:5], s[20:21], s26, v4, v[2:3]
	v_and_b32_e32 v11, 31, v7
	v_lshlrev_b32_e32 v2, 4, v2
	v_lshl_or_b32 v2, v8, 7, v2
	v_add_u32_e32 v8, s6, v11
	v_lshrrev_b32_e32 v6, 5, v7
	v_mov_b32_e32 v7, v3
	v_lshlrev_b32_e32 v3, 4, v11
	v_add_u32_e32 v23, 0x1000, v2
	v_ashrrev_i32_e32 v2, 31, v8
	v_add3_u32 v5, v10, v5, v9
	v_lshl_or_b32 v22, v6, 9, v3
	v_mul_lo_u32 v9, s10, v2
	v_mad_u64_u32 v[2:3], s[20:21], s10, v8, v[6:7]
	v_mul_lo_u32 v6, s11, v8
	s_load_dwordx2 s[0:1], s[0:1], 0x0
	v_lshlrev_b64 v[4:5], 4, v[4:5]
	s_load_dwordx2 s[18:19], s[18:19], 0x0
	v_add3_u32 v3, v6, v3, v9
	v_lshlrev_b64 v[2:3], 4, v[2:3]
	s_waitcnt lgkmcnt(0)
	v_mov_b32_e32 v6, s1
	v_add_co_u32_e32 v2, vcc, s0, v2
	v_addc_co_u32_e32 v3, vcc, v6, v3, vcc
	v_mov_b32_e32 v7, 0x1000
	v_mov_b32_e32 v6, s19
	v_add_co_u32_e32 v4, vcc, s18, v4
	v_lshl_add_u32 v25, v1, 7, v7
	v_addc_co_u32_e32 v5, vcc, v6, v5, vcc
	v_mov_b32_e32 v10, 0
	v_mov_b32_e32 v12, 0
	;; [unrolled: 1-line block ×8, first 2 shown]
	v_lshlrev_b32_e32 v24, 4, v0
	v_mov_b32_e32 v11, 0
	v_mov_b32_e32 v13, 0
	;; [unrolled: 1-line block ×8, first 2 shown]
	s_mov_b64 s[0:1], 0
.LBB1646_2:                             ; =>This Inner Loop Header: Depth=1
	flat_load_dwordx4 v[26:29], v[2:3]
	s_add_u32 s0, s0, 8
	v_add_co_u32_e32 v2, vcc, 0x80, v2
	s_addc_u32 s1, s1, 0
	v_addc_co_u32_e32 v3, vcc, 0, v3, vcc
	s_waitcnt vmcnt(0) lgkmcnt(0)
	ds_write_b128 v22, v[26:29]
	flat_load_dwordx4 v[26:29], v[4:5]
	v_add_co_u32_e32 v4, vcc, 0x80, v4
	v_addc_co_u32_e32 v5, vcc, 0, v5, vcc
	s_waitcnt vmcnt(0) lgkmcnt(0)
	ds_write_b128 v23, v[26:29]
	s_waitcnt lgkmcnt(0)
	s_barrier
	ds_read_b128 v[26:29], v25
	ds_read_b128 v[30:33], v25 offset:16
	ds_read_b128 v[34:37], v25 offset:32
	;; [unrolled: 1-line block ×3, first 2 shown]
	ds_read_b128 v[42:45], v24
	s_waitcnt lgkmcnt(0)
	v_mul_f64 v[46:47], v[28:29], v[44:45]
	v_mul_f64 v[48:49], v[26:27], v[44:45]
	v_fma_f64 v[46:47], v[26:27], v[42:43], -v[46:47]
	v_fma_f64 v[48:49], v[28:29], v[42:43], v[48:49]
	v_add_f64 v[46:47], v[14:15], v[46:47]
	v_add_f64 v[48:49], v[48:49], v[16:17]
	ds_read_b128 v[14:17], v24 offset:256
	s_waitcnt lgkmcnt(0)
	v_mul_f64 v[50:51], v[28:29], v[16:17]
	v_fma_f64 v[50:51], v[26:27], v[14:15], -v[50:51]
	v_mul_f64 v[26:27], v[26:27], v[16:17]
	v_fma_f64 v[26:27], v[28:29], v[14:15], v[26:27]
	v_add_f64 v[28:29], v[6:7], v[50:51]
	v_add_f64 v[26:27], v[26:27], v[8:9]
	ds_read_b128 v[6:9], v25 offset:2048
	s_waitcnt lgkmcnt(0)
	v_mul_f64 v[50:51], v[8:9], v[44:45]
	v_mul_f64 v[44:45], v[6:7], v[44:45]
	v_fma_f64 v[50:51], v[6:7], v[42:43], -v[50:51]
	v_fma_f64 v[42:43], v[8:9], v[42:43], v[44:45]
	v_add_f64 v[18:19], v[18:19], v[50:51]
	v_add_f64 v[20:21], v[42:43], v[20:21]
	v_mul_f64 v[42:43], v[8:9], v[16:17]
	v_fma_f64 v[42:43], v[6:7], v[14:15], -v[42:43]
	v_mul_f64 v[6:7], v[6:7], v[16:17]
	v_add_f64 v[42:43], v[12:13], v[42:43]
	v_fma_f64 v[6:7], v[8:9], v[14:15], v[6:7]
	v_add_f64 v[44:45], v[6:7], v[10:11]
	ds_read_b128 v[6:9], v24 offset:512
	s_waitcnt lgkmcnt(0)
	v_mul_f64 v[10:11], v[32:33], v[8:9]
	v_mul_f64 v[12:13], v[30:31], v[8:9]
	v_fma_f64 v[10:11], v[30:31], v[6:7], -v[10:11]
	v_fma_f64 v[12:13], v[32:33], v[6:7], v[12:13]
	v_add_f64 v[46:47], v[46:47], v[10:11]
	v_add_f64 v[48:49], v[12:13], v[48:49]
	ds_read_b128 v[10:13], v24 offset:768
	s_waitcnt lgkmcnt(0)
	v_mul_f64 v[14:15], v[32:33], v[12:13]
	v_mul_f64 v[16:17], v[30:31], v[12:13]
	v_fma_f64 v[14:15], v[30:31], v[10:11], -v[14:15]
	v_fma_f64 v[16:17], v[32:33], v[10:11], v[16:17]
	v_add_f64 v[28:29], v[28:29], v[14:15]
	v_add_f64 v[26:27], v[16:17], v[26:27]
	ds_read_b128 v[14:17], v25 offset:2064
	s_waitcnt lgkmcnt(0)
	v_mul_f64 v[30:31], v[16:17], v[8:9]
	v_mul_f64 v[8:9], v[14:15], v[8:9]
	v_fma_f64 v[30:31], v[14:15], v[6:7], -v[30:31]
	v_fma_f64 v[6:7], v[16:17], v[6:7], v[8:9]
	v_mul_f64 v[8:9], v[14:15], v[12:13]
	v_add_f64 v[18:19], v[18:19], v[30:31]
	v_add_f64 v[20:21], v[6:7], v[20:21]
	v_mul_f64 v[6:7], v[16:17], v[12:13]
	v_fma_f64 v[8:9], v[16:17], v[10:11], v[8:9]
	v_fma_f64 v[6:7], v[14:15], v[10:11], -v[6:7]
	v_add_f64 v[32:33], v[8:9], v[44:45]
	v_add_f64 v[30:31], v[42:43], v[6:7]
	ds_read_b128 v[6:9], v24 offset:1024
	s_waitcnt lgkmcnt(0)
	v_mul_f64 v[10:11], v[36:37], v[8:9]
	v_mul_f64 v[12:13], v[34:35], v[8:9]
	v_fma_f64 v[10:11], v[34:35], v[6:7], -v[10:11]
	v_fma_f64 v[12:13], v[36:37], v[6:7], v[12:13]
	v_add_f64 v[42:43], v[46:47], v[10:11]
	v_add_f64 v[44:45], v[12:13], v[48:49]
	ds_read_b128 v[10:13], v24 offset:1280
	s_waitcnt lgkmcnt(0)
	v_mul_f64 v[14:15], v[36:37], v[12:13]
	v_mul_f64 v[16:17], v[34:35], v[12:13]
	v_fma_f64 v[14:15], v[34:35], v[10:11], -v[14:15]
	v_fma_f64 v[16:17], v[36:37], v[10:11], v[16:17]
	v_add_f64 v[28:29], v[28:29], v[14:15]
	v_add_f64 v[26:27], v[16:17], v[26:27]
	ds_read_b128 v[14:17], v25 offset:2080
	s_waitcnt lgkmcnt(0)
	v_mul_f64 v[34:35], v[16:17], v[8:9]
	v_mul_f64 v[8:9], v[14:15], v[8:9]
	v_fma_f64 v[34:35], v[14:15], v[6:7], -v[34:35]
	v_fma_f64 v[6:7], v[16:17], v[6:7], v[8:9]
	v_mul_f64 v[8:9], v[14:15], v[12:13]
	v_add_f64 v[18:19], v[18:19], v[34:35]
	v_add_f64 v[20:21], v[6:7], v[20:21]
	v_mul_f64 v[6:7], v[16:17], v[12:13]
	v_fma_f64 v[8:9], v[16:17], v[10:11], v[8:9]
	v_fma_f64 v[6:7], v[14:15], v[10:11], -v[6:7]
	v_add_f64 v[32:33], v[8:9], v[32:33]
	;; [unrolled: 30-line block ×3, first 2 shown]
	v_add_f64 v[30:31], v[30:31], v[6:7]
	ds_read_b128 v[6:9], v25 offset:64
	ds_read_b128 v[10:13], v24 offset:2048
	s_waitcnt lgkmcnt(0)
	v_mul_f64 v[14:15], v[8:9], v[12:13]
	v_mul_f64 v[16:17], v[6:7], v[12:13]
	v_fma_f64 v[14:15], v[6:7], v[10:11], -v[14:15]
	v_fma_f64 v[16:17], v[8:9], v[10:11], v[16:17]
	v_add_f64 v[34:35], v[34:35], v[14:15]
	v_add_f64 v[36:37], v[16:17], v[36:37]
	ds_read_b128 v[14:17], v24 offset:2304
	s_waitcnt lgkmcnt(0)
	v_mul_f64 v[38:39], v[8:9], v[16:17]
	v_fma_f64 v[38:39], v[6:7], v[14:15], -v[38:39]
	v_mul_f64 v[6:7], v[6:7], v[16:17]
	v_add_f64 v[28:29], v[28:29], v[38:39]
	v_fma_f64 v[6:7], v[8:9], v[14:15], v[6:7]
	v_add_f64 v[26:27], v[6:7], v[26:27]
	ds_read_b128 v[6:9], v25 offset:2112
	s_waitcnt lgkmcnt(0)
	v_mul_f64 v[38:39], v[8:9], v[12:13]
	v_mul_f64 v[12:13], v[6:7], v[12:13]
	v_fma_f64 v[38:39], v[6:7], v[10:11], -v[38:39]
	v_fma_f64 v[10:11], v[8:9], v[10:11], v[12:13]
	v_add_f64 v[18:19], v[18:19], v[38:39]
	v_add_f64 v[20:21], v[10:11], v[20:21]
	v_mul_f64 v[10:11], v[8:9], v[16:17]
	v_fma_f64 v[10:11], v[6:7], v[14:15], -v[10:11]
	v_mul_f64 v[6:7], v[6:7], v[16:17]
	v_add_f64 v[30:31], v[30:31], v[10:11]
	v_fma_f64 v[6:7], v[8:9], v[14:15], v[6:7]
	v_add_f64 v[32:33], v[6:7], v[32:33]
	ds_read_b128 v[6:9], v25 offset:80
	ds_read_b128 v[10:13], v24 offset:2560
	s_waitcnt lgkmcnt(0)
	v_mul_f64 v[14:15], v[8:9], v[12:13]
	v_mul_f64 v[16:17], v[6:7], v[12:13]
	v_fma_f64 v[14:15], v[6:7], v[10:11], -v[14:15]
	v_fma_f64 v[16:17], v[8:9], v[10:11], v[16:17]
	v_add_f64 v[34:35], v[34:35], v[14:15]
	v_add_f64 v[36:37], v[16:17], v[36:37]
	ds_read_b128 v[14:17], v24 offset:2816
	s_waitcnt lgkmcnt(0)
	v_mul_f64 v[38:39], v[8:9], v[16:17]
	v_fma_f64 v[38:39], v[6:7], v[14:15], -v[38:39]
	v_mul_f64 v[6:7], v[6:7], v[16:17]
	v_add_f64 v[28:29], v[28:29], v[38:39]
	v_fma_f64 v[6:7], v[8:9], v[14:15], v[6:7]
	v_add_f64 v[26:27], v[6:7], v[26:27]
	ds_read_b128 v[6:9], v25 offset:2128
	s_waitcnt lgkmcnt(0)
	v_mul_f64 v[38:39], v[8:9], v[12:13]
	v_mul_f64 v[12:13], v[6:7], v[12:13]
	v_fma_f64 v[38:39], v[6:7], v[10:11], -v[38:39]
	v_fma_f64 v[10:11], v[8:9], v[10:11], v[12:13]
	v_add_f64 v[18:19], v[18:19], v[38:39]
	v_add_f64 v[20:21], v[10:11], v[20:21]
	v_mul_f64 v[10:11], v[8:9], v[16:17]
	v_fma_f64 v[10:11], v[6:7], v[14:15], -v[10:11]
	v_mul_f64 v[6:7], v[6:7], v[16:17]
	v_add_f64 v[30:31], v[30:31], v[10:11]
	v_fma_f64 v[6:7], v[8:9], v[14:15], v[6:7]
	;; [unrolled: 31-line block ×3, first 2 shown]
	v_add_f64 v[44:45], v[6:7], v[32:33]
	ds_read_b128 v[6:9], v25 offset:112
	ds_read_b128 v[10:13], v24 offset:3584
	;; [unrolled: 1-line block ×3, first 2 shown]
	s_waitcnt lgkmcnt(1)
	v_mul_f64 v[14:15], v[8:9], v[12:13]
	s_waitcnt lgkmcnt(0)
	v_mul_f64 v[30:31], v[8:9], v[28:29]
	v_mul_f64 v[16:17], v[6:7], v[12:13]
	v_fma_f64 v[14:15], v[6:7], v[10:11], -v[14:15]
	v_fma_f64 v[30:31], v[6:7], v[26:27], -v[30:31]
	v_mul_f64 v[6:7], v[6:7], v[28:29]
	v_fma_f64 v[16:17], v[8:9], v[10:11], v[16:17]
	v_add_f64 v[14:15], v[34:35], v[14:15]
	v_fma_f64 v[8:9], v[8:9], v[26:27], v[6:7]
	v_add_f64 v[6:7], v[38:39], v[30:31]
	ds_read_b128 v[30:33], v25 offset:2160
	v_add_f64 v[16:17], v[16:17], v[36:37]
	s_waitcnt lgkmcnt(0)
	s_barrier
	v_mul_f64 v[34:35], v[32:33], v[12:13]
	v_mul_f64 v[12:13], v[30:31], v[12:13]
	v_add_f64 v[8:9], v[8:9], v[40:41]
	v_fma_f64 v[34:35], v[30:31], v[10:11], -v[34:35]
	v_fma_f64 v[10:11], v[32:33], v[10:11], v[12:13]
	v_mul_f64 v[12:13], v[30:31], v[28:29]
	v_add_f64 v[18:19], v[18:19], v[34:35]
	v_add_f64 v[20:21], v[10:11], v[20:21]
	v_mul_f64 v[10:11], v[32:33], v[28:29]
	v_fma_f64 v[10:11], v[30:31], v[26:27], -v[10:11]
	v_fma_f64 v[26:27], v[32:33], v[26:27], v[12:13]
	v_add_f64 v[12:13], v[42:43], v[10:11]
	v_add_f64 v[10:11], v[26:27], v[44:45]
	v_mov_b32_e32 v27, s1
	v_mov_b32_e32 v26, s0
	v_cmp_le_u64_e32 vcc, s[12:13], v[26:27]
	s_cbranch_vccz .LBB1646_2
	s_branch .LBB1646_4
.LBB1646_3:
	v_mov_b32_e32 v14, 0
	v_mov_b32_e32 v16, 0
	v_mov_b32_e32 v6, 0
	v_mov_b32_e32 v8, 0
	v_mov_b32_e32 v18, 0
	v_mov_b32_e32 v20, 0
	v_mov_b32_e32 v12, 0
	v_mov_b32_e32 v10, 0
	v_mov_b32_e32 v15, 0
	v_mov_b32_e32 v17, 0
	v_mov_b32_e32 v7, 0
	v_mov_b32_e32 v9, 0
	v_mov_b32_e32 v19, 0
	v_mov_b32_e32 v21, 0
	v_mov_b32_e32 v13, 0
	v_mov_b32_e32 v11, 0
.LBB1646_4:
	v_add_u32_e32 v4, s7, v1
	v_ashrrev_i32_e32 v1, 31, v4
	v_mul_lo_u32 v3, s2, v1
	v_mul_lo_u32 v5, s3, v4
	v_mad_u64_u32 v[1:2], s[0:1], s2, v4, 0
	s_load_dword s10, s[4:5], 0x0
	v_add_u32_e32 v0, s6, v0
	v_add3_u32 v2, v2, v3, v5
	v_lshlrev_b64 v[1:2], 4, v[1:2]
	s_waitcnt lgkmcnt(0)
	v_mov_b32_e32 v3, s9
	v_add_co_u32_e64 v5, s[0:1], s8, v1
	v_addc_co_u32_e64 v22, s[0:1], v3, v2, s[0:1]
	v_cmp_gt_i32_e32 vcc, s10, v4
	v_cmp_le_i32_e64 s[0:1], v0, v4
	s_and_b64 s[0:1], vcc, s[0:1]
	s_and_saveexec_b64 s[4:5], s[0:1]
	s_cbranch_execz .LBB1646_6
; %bb.5:
	v_mul_f64 v[1:2], s[16:17], v[16:17]
	v_mul_f64 v[16:17], s[14:15], v[16:17]
	v_fma_f64 v[23:24], s[14:15], v[14:15], -v[1:2]
	v_fma_f64 v[25:26], s[16:17], v[14:15], v[16:17]
	v_ashrrev_i32_e32 v1, 31, v0
	v_lshlrev_b64 v[1:2], 4, v[0:1]
	v_add_co_u32_e64 v1, s[0:1], v5, v1
	v_addc_co_u32_e64 v2, s[0:1], v22, v2, s[0:1]
	flat_store_dwordx4 v[1:2], v[23:26]
.LBB1646_6:
	s_or_b64 exec, exec, s[4:5]
	v_add_u32_e32 v2, 16, v0
	v_cmp_le_i32_e64 s[0:1], v2, v4
	s_and_b64 s[4:5], vcc, s[0:1]
	s_and_saveexec_b64 s[0:1], s[4:5]
	s_cbranch_execz .LBB1646_8
; %bb.7:
	v_mul_f64 v[14:15], s[16:17], v[8:9]
	v_mul_f64 v[8:9], s[14:15], v[8:9]
	v_ashrrev_i32_e32 v3, 31, v2
	v_fma_f64 v[14:15], s[14:15], v[6:7], -v[14:15]
	v_fma_f64 v[16:17], s[16:17], v[6:7], v[8:9]
	v_lshlrev_b64 v[6:7], 4, v[2:3]
	v_add_co_u32_e32 v5, vcc, v5, v6
	v_addc_co_u32_e32 v6, vcc, v22, v7, vcc
	flat_store_dwordx4 v[5:6], v[14:17]
.LBB1646_8:
	s_or_b64 exec, exec, s[0:1]
	v_add_u32_e32 v3, 16, v4
	v_ashrrev_i32_e32 v1, 31, v3
	v_mul_lo_u32 v1, s2, v1
	v_mul_lo_u32 v6, s3, v3
	v_mad_u64_u32 v[4:5], s[0:1], s2, v3, 0
	v_cmp_gt_i32_e32 vcc, s10, v3
	v_add3_u32 v5, v5, v1, v6
	v_lshlrev_b64 v[4:5], 4, v[4:5]
	v_mov_b32_e32 v1, s9
	v_add_co_u32_e64 v4, s[0:1], s8, v4
	v_addc_co_u32_e64 v5, s[0:1], v1, v5, s[0:1]
	v_cmp_le_i32_e64 s[0:1], v0, v3
	s_and_b64 s[0:1], vcc, s[0:1]
	s_and_saveexec_b64 s[2:3], s[0:1]
	s_cbranch_execz .LBB1646_10
; %bb.9:
	v_mul_f64 v[6:7], s[16:17], v[20:21]
	v_mul_f64 v[8:9], s[14:15], v[20:21]
	v_ashrrev_i32_e32 v1, 31, v0
	v_lshlrev_b64 v[0:1], 4, v[0:1]
	v_add_co_u32_e64 v0, s[0:1], v4, v0
	v_addc_co_u32_e64 v1, s[0:1], v5, v1, s[0:1]
	v_fma_f64 v[6:7], s[14:15], v[18:19], -v[6:7]
	v_fma_f64 v[8:9], s[16:17], v[18:19], v[8:9]
	flat_store_dwordx4 v[0:1], v[6:9]
.LBB1646_10:
	s_or_b64 exec, exec, s[2:3]
	v_cmp_le_i32_e64 s[0:1], v2, v3
	s_and_b64 s[0:1], vcc, s[0:1]
	s_and_saveexec_b64 s[2:3], s[0:1]
	s_cbranch_execz .LBB1646_12
; %bb.11:
	v_mul_f64 v[0:1], s[16:17], v[10:11]
	v_mul_f64 v[8:9], s[14:15], v[10:11]
	v_ashrrev_i32_e32 v3, 31, v2
	v_fma_f64 v[6:7], s[14:15], v[12:13], -v[0:1]
	v_fma_f64 v[8:9], s[16:17], v[12:13], v[8:9]
	v_lshlrev_b64 v[0:1], 4, v[2:3]
	v_add_co_u32_e32 v0, vcc, v4, v0
	v_addc_co_u32_e32 v1, vcc, v5, v1, vcc
	flat_store_dwordx4 v[0:1], v[6:9]
.LBB1646_12:
	s_endpgm
	.section	.rodata,"a",@progbits
	.p2align	6, 0x0
	.amdhsa_kernel _ZL37rocblas_syrkx_herkx_restricted_kernelIl19rocblas_complex_numIdELi16ELi32ELi8ELb1ELb0ELc84ELc85EKPKS1_KPS1_EviT_T0_PT8_S7_lSA_S7_lS8_PT9_S7_li
		.amdhsa_group_segment_fixed_size 8192
		.amdhsa_private_segment_fixed_size 0
		.amdhsa_kernarg_size 124
		.amdhsa_user_sgpr_count 6
		.amdhsa_user_sgpr_private_segment_buffer 1
		.amdhsa_user_sgpr_dispatch_ptr 0
		.amdhsa_user_sgpr_queue_ptr 0
		.amdhsa_user_sgpr_kernarg_segment_ptr 1
		.amdhsa_user_sgpr_dispatch_id 0
		.amdhsa_user_sgpr_flat_scratch_init 0
		.amdhsa_user_sgpr_private_segment_size 0
		.amdhsa_uses_dynamic_stack 0
		.amdhsa_system_sgpr_private_segment_wavefront_offset 0
		.amdhsa_system_sgpr_workgroup_id_x 1
		.amdhsa_system_sgpr_workgroup_id_y 1
		.amdhsa_system_sgpr_workgroup_id_z 1
		.amdhsa_system_sgpr_workgroup_info 0
		.amdhsa_system_vgpr_workitem_id 1
		.amdhsa_next_free_vgpr 52
		.amdhsa_next_free_sgpr 61
		.amdhsa_reserve_vcc 1
		.amdhsa_reserve_flat_scratch 0
		.amdhsa_float_round_mode_32 0
		.amdhsa_float_round_mode_16_64 0
		.amdhsa_float_denorm_mode_32 3
		.amdhsa_float_denorm_mode_16_64 3
		.amdhsa_dx10_clamp 1
		.amdhsa_ieee_mode 1
		.amdhsa_fp16_overflow 0
		.amdhsa_exception_fp_ieee_invalid_op 0
		.amdhsa_exception_fp_denorm_src 0
		.amdhsa_exception_fp_ieee_div_zero 0
		.amdhsa_exception_fp_ieee_overflow 0
		.amdhsa_exception_fp_ieee_underflow 0
		.amdhsa_exception_fp_ieee_inexact 0
		.amdhsa_exception_int_div_zero 0
	.end_amdhsa_kernel
	.section	.text._ZL37rocblas_syrkx_herkx_restricted_kernelIl19rocblas_complex_numIdELi16ELi32ELi8ELb1ELb0ELc84ELc85EKPKS1_KPS1_EviT_T0_PT8_S7_lSA_S7_lS8_PT9_S7_li,"axG",@progbits,_ZL37rocblas_syrkx_herkx_restricted_kernelIl19rocblas_complex_numIdELi16ELi32ELi8ELb1ELb0ELc84ELc85EKPKS1_KPS1_EviT_T0_PT8_S7_lSA_S7_lS8_PT9_S7_li,comdat
.Lfunc_end1646:
	.size	_ZL37rocblas_syrkx_herkx_restricted_kernelIl19rocblas_complex_numIdELi16ELi32ELi8ELb1ELb0ELc84ELc85EKPKS1_KPS1_EviT_T0_PT8_S7_lSA_S7_lS8_PT9_S7_li, .Lfunc_end1646-_ZL37rocblas_syrkx_herkx_restricted_kernelIl19rocblas_complex_numIdELi16ELi32ELi8ELb1ELb0ELc84ELc85EKPKS1_KPS1_EviT_T0_PT8_S7_lSA_S7_lS8_PT9_S7_li
                                        ; -- End function
	.set _ZL37rocblas_syrkx_herkx_restricted_kernelIl19rocblas_complex_numIdELi16ELi32ELi8ELb1ELb0ELc84ELc85EKPKS1_KPS1_EviT_T0_PT8_S7_lSA_S7_lS8_PT9_S7_li.num_vgpr, 52
	.set _ZL37rocblas_syrkx_herkx_restricted_kernelIl19rocblas_complex_numIdELi16ELi32ELi8ELb1ELb0ELc84ELc85EKPKS1_KPS1_EviT_T0_PT8_S7_lSA_S7_lS8_PT9_S7_li.num_agpr, 0
	.set _ZL37rocblas_syrkx_herkx_restricted_kernelIl19rocblas_complex_numIdELi16ELi32ELi8ELb1ELb0ELc84ELc85EKPKS1_KPS1_EviT_T0_PT8_S7_lSA_S7_lS8_PT9_S7_li.numbered_sgpr, 28
	.set _ZL37rocblas_syrkx_herkx_restricted_kernelIl19rocblas_complex_numIdELi16ELi32ELi8ELb1ELb0ELc84ELc85EKPKS1_KPS1_EviT_T0_PT8_S7_lSA_S7_lS8_PT9_S7_li.num_named_barrier, 0
	.set _ZL37rocblas_syrkx_herkx_restricted_kernelIl19rocblas_complex_numIdELi16ELi32ELi8ELb1ELb0ELc84ELc85EKPKS1_KPS1_EviT_T0_PT8_S7_lSA_S7_lS8_PT9_S7_li.private_seg_size, 0
	.set _ZL37rocblas_syrkx_herkx_restricted_kernelIl19rocblas_complex_numIdELi16ELi32ELi8ELb1ELb0ELc84ELc85EKPKS1_KPS1_EviT_T0_PT8_S7_lSA_S7_lS8_PT9_S7_li.uses_vcc, 1
	.set _ZL37rocblas_syrkx_herkx_restricted_kernelIl19rocblas_complex_numIdELi16ELi32ELi8ELb1ELb0ELc84ELc85EKPKS1_KPS1_EviT_T0_PT8_S7_lSA_S7_lS8_PT9_S7_li.uses_flat_scratch, 0
	.set _ZL37rocblas_syrkx_herkx_restricted_kernelIl19rocblas_complex_numIdELi16ELi32ELi8ELb1ELb0ELc84ELc85EKPKS1_KPS1_EviT_T0_PT8_S7_lSA_S7_lS8_PT9_S7_li.has_dyn_sized_stack, 0
	.set _ZL37rocblas_syrkx_herkx_restricted_kernelIl19rocblas_complex_numIdELi16ELi32ELi8ELb1ELb0ELc84ELc85EKPKS1_KPS1_EviT_T0_PT8_S7_lSA_S7_lS8_PT9_S7_li.has_recursion, 0
	.set _ZL37rocblas_syrkx_herkx_restricted_kernelIl19rocblas_complex_numIdELi16ELi32ELi8ELb1ELb0ELc84ELc85EKPKS1_KPS1_EviT_T0_PT8_S7_lSA_S7_lS8_PT9_S7_li.has_indirect_call, 0
	.section	.AMDGPU.csdata,"",@progbits
; Kernel info:
; codeLenInByte = 2968
; TotalNumSgprs: 32
; NumVgprs: 52
; ScratchSize: 0
; MemoryBound: 0
; FloatMode: 240
; IeeeMode: 1
; LDSByteSize: 8192 bytes/workgroup (compile time only)
; SGPRBlocks: 8
; VGPRBlocks: 12
; NumSGPRsForWavesPerEU: 65
; NumVGPRsForWavesPerEU: 52
; Occupancy: 4
; WaveLimiterHint : 1
; COMPUTE_PGM_RSRC2:SCRATCH_EN: 0
; COMPUTE_PGM_RSRC2:USER_SGPR: 6
; COMPUTE_PGM_RSRC2:TRAP_HANDLER: 0
; COMPUTE_PGM_RSRC2:TGID_X_EN: 1
; COMPUTE_PGM_RSRC2:TGID_Y_EN: 1
; COMPUTE_PGM_RSRC2:TGID_Z_EN: 1
; COMPUTE_PGM_RSRC2:TIDIG_COMP_CNT: 1
	.section	.text._ZL37rocblas_syrkx_herkx_restricted_kernelIl19rocblas_complex_numIdELi16ELi32ELi8ELb1ELb0ELc67ELc85EKPKS1_KPS1_EviT_T0_PT8_S7_lSA_S7_lS8_PT9_S7_li,"axG",@progbits,_ZL37rocblas_syrkx_herkx_restricted_kernelIl19rocblas_complex_numIdELi16ELi32ELi8ELb1ELb0ELc67ELc85EKPKS1_KPS1_EviT_T0_PT8_S7_lSA_S7_lS8_PT9_S7_li,comdat
	.globl	_ZL37rocblas_syrkx_herkx_restricted_kernelIl19rocblas_complex_numIdELi16ELi32ELi8ELb1ELb0ELc67ELc85EKPKS1_KPS1_EviT_T0_PT8_S7_lSA_S7_lS8_PT9_S7_li ; -- Begin function _ZL37rocblas_syrkx_herkx_restricted_kernelIl19rocblas_complex_numIdELi16ELi32ELi8ELb1ELb0ELc67ELc85EKPKS1_KPS1_EviT_T0_PT8_S7_lSA_S7_lS8_PT9_S7_li
	.p2align	8
	.type	_ZL37rocblas_syrkx_herkx_restricted_kernelIl19rocblas_complex_numIdELi16ELi32ELi8ELb1ELb0ELc67ELc85EKPKS1_KPS1_EviT_T0_PT8_S7_lSA_S7_lS8_PT9_S7_li,@function
_ZL37rocblas_syrkx_herkx_restricted_kernelIl19rocblas_complex_numIdELi16ELi32ELi8ELb1ELb0ELc67ELc85EKPKS1_KPS1_EviT_T0_PT8_S7_lSA_S7_lS8_PT9_S7_li: ; @_ZL37rocblas_syrkx_herkx_restricted_kernelIl19rocblas_complex_numIdELi16ELi32ELi8ELb1ELb0ELc67ELc85EKPKS1_KPS1_EviT_T0_PT8_S7_lSA_S7_lS8_PT9_S7_li
; %bb.0:
	s_load_dwordx4 s[0:3], s[4:5], 0x60
	s_load_dwordx2 s[10:11], s[4:5], 0x28
	s_load_dwordx8 s[12:19], s[4:5], 0x8
	s_mov_b32 s9, 0
	s_lshl_b64 s[20:21], s[8:9], 3
	s_waitcnt lgkmcnt(0)
	s_add_u32 s0, s0, s20
	s_addc_u32 s1, s1, s21
	s_load_dwordx2 s[8:9], s[0:1], 0x0
	v_cmp_lt_i64_e64 s[0:1], s[12:13], 1
	s_lshl_b32 s6, s6, 5
	s_lshl_b32 s7, s7, 5
	s_and_b64 vcc, exec, s[0:1]
	s_cbranch_vccnz .LBB1647_3
; %bb.1:
	s_load_dwordx4 s[24:27], s[4:5], 0x38
	v_lshl_add_u32 v7, v1, 4, v0
	s_add_u32 s0, s18, s20
	v_lshrrev_b32_e32 v8, 3, v7
	s_addc_u32 s1, s19, s21
	v_add_u32_e32 v4, s7, v8
	s_waitcnt lgkmcnt(0)
	s_add_u32 s18, s24, s20
	v_and_b32_e32 v2, 7, v0
	v_ashrrev_i32_e32 v5, 31, v4
	v_mov_b32_e32 v3, 0
	s_addc_u32 s19, s25, s21
	v_mul_lo_u32 v9, s26, v5
	v_mul_lo_u32 v10, s27, v4
	v_mad_u64_u32 v[4:5], s[20:21], s26, v4, v[2:3]
	v_and_b32_e32 v11, 31, v7
	v_lshlrev_b32_e32 v2, 4, v2
	v_lshl_or_b32 v2, v8, 7, v2
	v_add_u32_e32 v8, s6, v11
	v_lshrrev_b32_e32 v6, 5, v7
	v_mov_b32_e32 v7, v3
	v_lshlrev_b32_e32 v3, 4, v11
	v_add_u32_e32 v23, 0x1000, v2
	v_ashrrev_i32_e32 v2, 31, v8
	v_add3_u32 v5, v10, v5, v9
	v_lshl_or_b32 v22, v6, 9, v3
	v_mul_lo_u32 v9, s10, v2
	v_mad_u64_u32 v[2:3], s[20:21], s10, v8, v[6:7]
	v_mul_lo_u32 v6, s11, v8
	s_load_dwordx2 s[0:1], s[0:1], 0x0
	v_lshlrev_b64 v[4:5], 4, v[4:5]
	s_load_dwordx2 s[18:19], s[18:19], 0x0
	v_add3_u32 v3, v6, v3, v9
	v_lshlrev_b64 v[2:3], 4, v[2:3]
	s_waitcnt lgkmcnt(0)
	v_mov_b32_e32 v6, s1
	v_add_co_u32_e32 v2, vcc, s0, v2
	v_addc_co_u32_e32 v3, vcc, v6, v3, vcc
	v_mov_b32_e32 v7, 0x1000
	v_mov_b32_e32 v6, s19
	v_add_co_u32_e32 v4, vcc, s18, v4
	v_lshl_add_u32 v25, v1, 7, v7
	v_addc_co_u32_e32 v5, vcc, v6, v5, vcc
	v_mov_b32_e32 v10, 0
	v_mov_b32_e32 v12, 0
	;; [unrolled: 1-line block ×8, first 2 shown]
	v_lshlrev_b32_e32 v24, 4, v0
	v_mov_b32_e32 v11, 0
	v_mov_b32_e32 v13, 0
	;; [unrolled: 1-line block ×8, first 2 shown]
	s_mov_b64 s[0:1], 0
.LBB1647_2:                             ; =>This Inner Loop Header: Depth=1
	flat_load_dwordx4 v[26:29], v[2:3]
	s_add_u32 s0, s0, 8
	v_add_co_u32_e32 v2, vcc, 0x80, v2
	s_addc_u32 s1, s1, 0
	v_addc_co_u32_e32 v3, vcc, 0, v3, vcc
	s_waitcnt vmcnt(0) lgkmcnt(0)
	ds_write_b128 v22, v[26:29]
	flat_load_dwordx4 v[26:29], v[4:5]
	v_add_co_u32_e32 v4, vcc, 0x80, v4
	v_addc_co_u32_e32 v5, vcc, 0, v5, vcc
	s_waitcnt vmcnt(0) lgkmcnt(0)
	ds_write_b128 v23, v[26:29]
	s_waitcnt lgkmcnt(0)
	s_barrier
	ds_read_b128 v[26:29], v25
	ds_read_b128 v[30:33], v25 offset:16
	ds_read_b128 v[34:37], v25 offset:32
	;; [unrolled: 1-line block ×3, first 2 shown]
	ds_read_b128 v[42:45], v24
	s_waitcnt lgkmcnt(0)
	v_mul_f64 v[46:47], v[28:29], v[44:45]
	v_mul_f64 v[48:49], v[26:27], v[44:45]
	v_fma_f64 v[46:47], v[26:27], v[42:43], -v[46:47]
	v_fma_f64 v[48:49], v[28:29], v[42:43], v[48:49]
	v_add_f64 v[46:47], v[14:15], v[46:47]
	v_add_f64 v[48:49], v[48:49], v[16:17]
	ds_read_b128 v[14:17], v24 offset:256
	s_waitcnt lgkmcnt(0)
	v_mul_f64 v[50:51], v[28:29], v[16:17]
	v_fma_f64 v[50:51], v[26:27], v[14:15], -v[50:51]
	v_mul_f64 v[26:27], v[26:27], v[16:17]
	v_fma_f64 v[26:27], v[28:29], v[14:15], v[26:27]
	v_add_f64 v[28:29], v[6:7], v[50:51]
	v_add_f64 v[26:27], v[26:27], v[8:9]
	ds_read_b128 v[6:9], v25 offset:2048
	s_waitcnt lgkmcnt(0)
	v_mul_f64 v[50:51], v[8:9], v[44:45]
	v_mul_f64 v[44:45], v[6:7], v[44:45]
	v_fma_f64 v[50:51], v[6:7], v[42:43], -v[50:51]
	v_fma_f64 v[42:43], v[8:9], v[42:43], v[44:45]
	v_add_f64 v[18:19], v[18:19], v[50:51]
	v_add_f64 v[20:21], v[42:43], v[20:21]
	v_mul_f64 v[42:43], v[8:9], v[16:17]
	v_fma_f64 v[42:43], v[6:7], v[14:15], -v[42:43]
	v_mul_f64 v[6:7], v[6:7], v[16:17]
	v_add_f64 v[42:43], v[12:13], v[42:43]
	v_fma_f64 v[6:7], v[8:9], v[14:15], v[6:7]
	v_add_f64 v[44:45], v[6:7], v[10:11]
	ds_read_b128 v[6:9], v24 offset:512
	s_waitcnt lgkmcnt(0)
	v_mul_f64 v[10:11], v[32:33], v[8:9]
	v_mul_f64 v[12:13], v[30:31], v[8:9]
	v_fma_f64 v[10:11], v[30:31], v[6:7], -v[10:11]
	v_fma_f64 v[12:13], v[32:33], v[6:7], v[12:13]
	v_add_f64 v[46:47], v[46:47], v[10:11]
	v_add_f64 v[48:49], v[12:13], v[48:49]
	ds_read_b128 v[10:13], v24 offset:768
	s_waitcnt lgkmcnt(0)
	v_mul_f64 v[14:15], v[32:33], v[12:13]
	v_mul_f64 v[16:17], v[30:31], v[12:13]
	v_fma_f64 v[14:15], v[30:31], v[10:11], -v[14:15]
	v_fma_f64 v[16:17], v[32:33], v[10:11], v[16:17]
	v_add_f64 v[28:29], v[28:29], v[14:15]
	v_add_f64 v[26:27], v[16:17], v[26:27]
	ds_read_b128 v[14:17], v25 offset:2064
	s_waitcnt lgkmcnt(0)
	v_mul_f64 v[30:31], v[16:17], v[8:9]
	v_mul_f64 v[8:9], v[14:15], v[8:9]
	v_fma_f64 v[30:31], v[14:15], v[6:7], -v[30:31]
	v_fma_f64 v[6:7], v[16:17], v[6:7], v[8:9]
	v_mul_f64 v[8:9], v[14:15], v[12:13]
	v_add_f64 v[18:19], v[18:19], v[30:31]
	v_add_f64 v[20:21], v[6:7], v[20:21]
	v_mul_f64 v[6:7], v[16:17], v[12:13]
	v_fma_f64 v[8:9], v[16:17], v[10:11], v[8:9]
	v_fma_f64 v[6:7], v[14:15], v[10:11], -v[6:7]
	v_add_f64 v[32:33], v[8:9], v[44:45]
	v_add_f64 v[30:31], v[42:43], v[6:7]
	ds_read_b128 v[6:9], v24 offset:1024
	s_waitcnt lgkmcnt(0)
	v_mul_f64 v[10:11], v[36:37], v[8:9]
	v_mul_f64 v[12:13], v[34:35], v[8:9]
	v_fma_f64 v[10:11], v[34:35], v[6:7], -v[10:11]
	v_fma_f64 v[12:13], v[36:37], v[6:7], v[12:13]
	v_add_f64 v[42:43], v[46:47], v[10:11]
	v_add_f64 v[44:45], v[12:13], v[48:49]
	ds_read_b128 v[10:13], v24 offset:1280
	s_waitcnt lgkmcnt(0)
	v_mul_f64 v[14:15], v[36:37], v[12:13]
	v_mul_f64 v[16:17], v[34:35], v[12:13]
	v_fma_f64 v[14:15], v[34:35], v[10:11], -v[14:15]
	v_fma_f64 v[16:17], v[36:37], v[10:11], v[16:17]
	v_add_f64 v[28:29], v[28:29], v[14:15]
	v_add_f64 v[26:27], v[16:17], v[26:27]
	ds_read_b128 v[14:17], v25 offset:2080
	s_waitcnt lgkmcnt(0)
	v_mul_f64 v[34:35], v[16:17], v[8:9]
	v_mul_f64 v[8:9], v[14:15], v[8:9]
	v_fma_f64 v[34:35], v[14:15], v[6:7], -v[34:35]
	v_fma_f64 v[6:7], v[16:17], v[6:7], v[8:9]
	v_mul_f64 v[8:9], v[14:15], v[12:13]
	v_add_f64 v[18:19], v[18:19], v[34:35]
	v_add_f64 v[20:21], v[6:7], v[20:21]
	v_mul_f64 v[6:7], v[16:17], v[12:13]
	v_fma_f64 v[8:9], v[16:17], v[10:11], v[8:9]
	v_fma_f64 v[6:7], v[14:15], v[10:11], -v[6:7]
	v_add_f64 v[32:33], v[8:9], v[32:33]
	;; [unrolled: 30-line block ×3, first 2 shown]
	v_add_f64 v[30:31], v[30:31], v[6:7]
	ds_read_b128 v[6:9], v25 offset:64
	ds_read_b128 v[10:13], v24 offset:2048
	s_waitcnt lgkmcnt(0)
	v_mul_f64 v[14:15], v[8:9], v[12:13]
	v_mul_f64 v[16:17], v[6:7], v[12:13]
	v_fma_f64 v[14:15], v[6:7], v[10:11], -v[14:15]
	v_fma_f64 v[16:17], v[8:9], v[10:11], v[16:17]
	v_add_f64 v[34:35], v[34:35], v[14:15]
	v_add_f64 v[36:37], v[16:17], v[36:37]
	ds_read_b128 v[14:17], v24 offset:2304
	s_waitcnt lgkmcnt(0)
	v_mul_f64 v[38:39], v[8:9], v[16:17]
	v_fma_f64 v[38:39], v[6:7], v[14:15], -v[38:39]
	v_mul_f64 v[6:7], v[6:7], v[16:17]
	v_add_f64 v[28:29], v[28:29], v[38:39]
	v_fma_f64 v[6:7], v[8:9], v[14:15], v[6:7]
	v_add_f64 v[26:27], v[6:7], v[26:27]
	ds_read_b128 v[6:9], v25 offset:2112
	s_waitcnt lgkmcnt(0)
	v_mul_f64 v[38:39], v[8:9], v[12:13]
	v_mul_f64 v[12:13], v[6:7], v[12:13]
	v_fma_f64 v[38:39], v[6:7], v[10:11], -v[38:39]
	v_fma_f64 v[10:11], v[8:9], v[10:11], v[12:13]
	v_add_f64 v[18:19], v[18:19], v[38:39]
	v_add_f64 v[20:21], v[10:11], v[20:21]
	v_mul_f64 v[10:11], v[8:9], v[16:17]
	v_fma_f64 v[10:11], v[6:7], v[14:15], -v[10:11]
	v_mul_f64 v[6:7], v[6:7], v[16:17]
	v_add_f64 v[30:31], v[30:31], v[10:11]
	v_fma_f64 v[6:7], v[8:9], v[14:15], v[6:7]
	v_add_f64 v[32:33], v[6:7], v[32:33]
	ds_read_b128 v[6:9], v25 offset:80
	ds_read_b128 v[10:13], v24 offset:2560
	s_waitcnt lgkmcnt(0)
	v_mul_f64 v[14:15], v[8:9], v[12:13]
	v_mul_f64 v[16:17], v[6:7], v[12:13]
	v_fma_f64 v[14:15], v[6:7], v[10:11], -v[14:15]
	v_fma_f64 v[16:17], v[8:9], v[10:11], v[16:17]
	v_add_f64 v[34:35], v[34:35], v[14:15]
	v_add_f64 v[36:37], v[16:17], v[36:37]
	ds_read_b128 v[14:17], v24 offset:2816
	s_waitcnt lgkmcnt(0)
	v_mul_f64 v[38:39], v[8:9], v[16:17]
	v_fma_f64 v[38:39], v[6:7], v[14:15], -v[38:39]
	v_mul_f64 v[6:7], v[6:7], v[16:17]
	v_add_f64 v[28:29], v[28:29], v[38:39]
	v_fma_f64 v[6:7], v[8:9], v[14:15], v[6:7]
	v_add_f64 v[26:27], v[6:7], v[26:27]
	ds_read_b128 v[6:9], v25 offset:2128
	s_waitcnt lgkmcnt(0)
	v_mul_f64 v[38:39], v[8:9], v[12:13]
	v_mul_f64 v[12:13], v[6:7], v[12:13]
	v_fma_f64 v[38:39], v[6:7], v[10:11], -v[38:39]
	v_fma_f64 v[10:11], v[8:9], v[10:11], v[12:13]
	v_add_f64 v[18:19], v[18:19], v[38:39]
	v_add_f64 v[20:21], v[10:11], v[20:21]
	v_mul_f64 v[10:11], v[8:9], v[16:17]
	v_fma_f64 v[10:11], v[6:7], v[14:15], -v[10:11]
	v_mul_f64 v[6:7], v[6:7], v[16:17]
	v_add_f64 v[30:31], v[30:31], v[10:11]
	v_fma_f64 v[6:7], v[8:9], v[14:15], v[6:7]
	;; [unrolled: 31-line block ×3, first 2 shown]
	v_add_f64 v[44:45], v[6:7], v[32:33]
	ds_read_b128 v[6:9], v25 offset:112
	ds_read_b128 v[10:13], v24 offset:3584
	;; [unrolled: 1-line block ×3, first 2 shown]
	s_waitcnt lgkmcnt(1)
	v_mul_f64 v[14:15], v[8:9], v[12:13]
	s_waitcnt lgkmcnt(0)
	v_mul_f64 v[30:31], v[8:9], v[28:29]
	v_mul_f64 v[16:17], v[6:7], v[12:13]
	v_fma_f64 v[14:15], v[6:7], v[10:11], -v[14:15]
	v_fma_f64 v[30:31], v[6:7], v[26:27], -v[30:31]
	v_mul_f64 v[6:7], v[6:7], v[28:29]
	v_fma_f64 v[16:17], v[8:9], v[10:11], v[16:17]
	v_add_f64 v[14:15], v[34:35], v[14:15]
	v_fma_f64 v[8:9], v[8:9], v[26:27], v[6:7]
	v_add_f64 v[6:7], v[38:39], v[30:31]
	ds_read_b128 v[30:33], v25 offset:2160
	v_add_f64 v[16:17], v[16:17], v[36:37]
	s_waitcnt lgkmcnt(0)
	s_barrier
	v_mul_f64 v[34:35], v[32:33], v[12:13]
	v_mul_f64 v[12:13], v[30:31], v[12:13]
	v_add_f64 v[8:9], v[8:9], v[40:41]
	v_fma_f64 v[34:35], v[30:31], v[10:11], -v[34:35]
	v_fma_f64 v[10:11], v[32:33], v[10:11], v[12:13]
	v_mul_f64 v[12:13], v[30:31], v[28:29]
	v_add_f64 v[18:19], v[18:19], v[34:35]
	v_add_f64 v[20:21], v[10:11], v[20:21]
	v_mul_f64 v[10:11], v[32:33], v[28:29]
	v_fma_f64 v[10:11], v[30:31], v[26:27], -v[10:11]
	v_fma_f64 v[26:27], v[32:33], v[26:27], v[12:13]
	v_add_f64 v[12:13], v[42:43], v[10:11]
	v_add_f64 v[10:11], v[26:27], v[44:45]
	v_mov_b32_e32 v27, s1
	v_mov_b32_e32 v26, s0
	v_cmp_le_u64_e32 vcc, s[12:13], v[26:27]
	s_cbranch_vccz .LBB1647_2
	s_branch .LBB1647_4
.LBB1647_3:
	v_mov_b32_e32 v14, 0
	v_mov_b32_e32 v16, 0
	;; [unrolled: 1-line block ×16, first 2 shown]
.LBB1647_4:
	v_add_u32_e32 v4, s7, v1
	v_ashrrev_i32_e32 v1, 31, v4
	v_mul_lo_u32 v3, s2, v1
	v_mul_lo_u32 v5, s3, v4
	v_mad_u64_u32 v[1:2], s[0:1], s2, v4, 0
	s_load_dword s10, s[4:5], 0x0
	v_add_u32_e32 v0, s6, v0
	v_add3_u32 v2, v2, v3, v5
	v_lshlrev_b64 v[1:2], 4, v[1:2]
	s_waitcnt lgkmcnt(0)
	v_mov_b32_e32 v3, s9
	v_add_co_u32_e64 v5, s[0:1], s8, v1
	v_addc_co_u32_e64 v22, s[0:1], v3, v2, s[0:1]
	v_cmp_gt_i32_e32 vcc, s10, v4
	v_cmp_le_i32_e64 s[0:1], v0, v4
	s_and_b64 s[0:1], vcc, s[0:1]
	s_and_saveexec_b64 s[4:5], s[0:1]
	s_cbranch_execz .LBB1647_6
; %bb.5:
	v_mul_f64 v[1:2], s[16:17], v[16:17]
	v_mul_f64 v[16:17], s[14:15], v[16:17]
	v_fma_f64 v[23:24], s[14:15], v[14:15], -v[1:2]
	v_fma_f64 v[25:26], s[16:17], v[14:15], v[16:17]
	v_ashrrev_i32_e32 v1, 31, v0
	v_lshlrev_b64 v[1:2], 4, v[0:1]
	v_add_co_u32_e64 v1, s[0:1], v5, v1
	v_addc_co_u32_e64 v2, s[0:1], v22, v2, s[0:1]
	flat_store_dwordx4 v[1:2], v[23:26]
.LBB1647_6:
	s_or_b64 exec, exec, s[4:5]
	v_add_u32_e32 v2, 16, v0
	v_cmp_le_i32_e64 s[0:1], v2, v4
	s_and_b64 s[4:5], vcc, s[0:1]
	s_and_saveexec_b64 s[0:1], s[4:5]
	s_cbranch_execz .LBB1647_8
; %bb.7:
	v_mul_f64 v[14:15], s[16:17], v[8:9]
	v_mul_f64 v[8:9], s[14:15], v[8:9]
	v_ashrrev_i32_e32 v3, 31, v2
	v_fma_f64 v[14:15], s[14:15], v[6:7], -v[14:15]
	v_fma_f64 v[16:17], s[16:17], v[6:7], v[8:9]
	v_lshlrev_b64 v[6:7], 4, v[2:3]
	v_add_co_u32_e32 v5, vcc, v5, v6
	v_addc_co_u32_e32 v6, vcc, v22, v7, vcc
	flat_store_dwordx4 v[5:6], v[14:17]
.LBB1647_8:
	s_or_b64 exec, exec, s[0:1]
	v_add_u32_e32 v3, 16, v4
	v_ashrrev_i32_e32 v1, 31, v3
	v_mul_lo_u32 v1, s2, v1
	v_mul_lo_u32 v6, s3, v3
	v_mad_u64_u32 v[4:5], s[0:1], s2, v3, 0
	v_cmp_gt_i32_e32 vcc, s10, v3
	v_add3_u32 v5, v5, v1, v6
	v_lshlrev_b64 v[4:5], 4, v[4:5]
	v_mov_b32_e32 v1, s9
	v_add_co_u32_e64 v4, s[0:1], s8, v4
	v_addc_co_u32_e64 v5, s[0:1], v1, v5, s[0:1]
	v_cmp_le_i32_e64 s[0:1], v0, v3
	s_and_b64 s[0:1], vcc, s[0:1]
	s_and_saveexec_b64 s[2:3], s[0:1]
	s_cbranch_execz .LBB1647_10
; %bb.9:
	v_mul_f64 v[6:7], s[16:17], v[20:21]
	v_mul_f64 v[8:9], s[14:15], v[20:21]
	v_ashrrev_i32_e32 v1, 31, v0
	v_lshlrev_b64 v[0:1], 4, v[0:1]
	v_add_co_u32_e64 v0, s[0:1], v4, v0
	v_addc_co_u32_e64 v1, s[0:1], v5, v1, s[0:1]
	v_fma_f64 v[6:7], s[14:15], v[18:19], -v[6:7]
	v_fma_f64 v[8:9], s[16:17], v[18:19], v[8:9]
	flat_store_dwordx4 v[0:1], v[6:9]
.LBB1647_10:
	s_or_b64 exec, exec, s[2:3]
	v_cmp_le_i32_e64 s[0:1], v2, v3
	s_and_b64 s[0:1], vcc, s[0:1]
	s_and_saveexec_b64 s[2:3], s[0:1]
	s_cbranch_execz .LBB1647_12
; %bb.11:
	v_mul_f64 v[0:1], s[16:17], v[10:11]
	v_mul_f64 v[8:9], s[14:15], v[10:11]
	v_ashrrev_i32_e32 v3, 31, v2
	v_fma_f64 v[6:7], s[14:15], v[12:13], -v[0:1]
	v_fma_f64 v[8:9], s[16:17], v[12:13], v[8:9]
	v_lshlrev_b64 v[0:1], 4, v[2:3]
	v_add_co_u32_e32 v0, vcc, v4, v0
	v_addc_co_u32_e32 v1, vcc, v5, v1, vcc
	flat_store_dwordx4 v[0:1], v[6:9]
.LBB1647_12:
	s_endpgm
	.section	.rodata,"a",@progbits
	.p2align	6, 0x0
	.amdhsa_kernel _ZL37rocblas_syrkx_herkx_restricted_kernelIl19rocblas_complex_numIdELi16ELi32ELi8ELb1ELb0ELc67ELc85EKPKS1_KPS1_EviT_T0_PT8_S7_lSA_S7_lS8_PT9_S7_li
		.amdhsa_group_segment_fixed_size 8192
		.amdhsa_private_segment_fixed_size 0
		.amdhsa_kernarg_size 124
		.amdhsa_user_sgpr_count 6
		.amdhsa_user_sgpr_private_segment_buffer 1
		.amdhsa_user_sgpr_dispatch_ptr 0
		.amdhsa_user_sgpr_queue_ptr 0
		.amdhsa_user_sgpr_kernarg_segment_ptr 1
		.amdhsa_user_sgpr_dispatch_id 0
		.amdhsa_user_sgpr_flat_scratch_init 0
		.amdhsa_user_sgpr_private_segment_size 0
		.amdhsa_uses_dynamic_stack 0
		.amdhsa_system_sgpr_private_segment_wavefront_offset 0
		.amdhsa_system_sgpr_workgroup_id_x 1
		.amdhsa_system_sgpr_workgroup_id_y 1
		.amdhsa_system_sgpr_workgroup_id_z 1
		.amdhsa_system_sgpr_workgroup_info 0
		.amdhsa_system_vgpr_workitem_id 1
		.amdhsa_next_free_vgpr 52
		.amdhsa_next_free_sgpr 61
		.amdhsa_reserve_vcc 1
		.amdhsa_reserve_flat_scratch 0
		.amdhsa_float_round_mode_32 0
		.amdhsa_float_round_mode_16_64 0
		.amdhsa_float_denorm_mode_32 3
		.amdhsa_float_denorm_mode_16_64 3
		.amdhsa_dx10_clamp 1
		.amdhsa_ieee_mode 1
		.amdhsa_fp16_overflow 0
		.amdhsa_exception_fp_ieee_invalid_op 0
		.amdhsa_exception_fp_denorm_src 0
		.amdhsa_exception_fp_ieee_div_zero 0
		.amdhsa_exception_fp_ieee_overflow 0
		.amdhsa_exception_fp_ieee_underflow 0
		.amdhsa_exception_fp_ieee_inexact 0
		.amdhsa_exception_int_div_zero 0
	.end_amdhsa_kernel
	.section	.text._ZL37rocblas_syrkx_herkx_restricted_kernelIl19rocblas_complex_numIdELi16ELi32ELi8ELb1ELb0ELc67ELc85EKPKS1_KPS1_EviT_T0_PT8_S7_lSA_S7_lS8_PT9_S7_li,"axG",@progbits,_ZL37rocblas_syrkx_herkx_restricted_kernelIl19rocblas_complex_numIdELi16ELi32ELi8ELb1ELb0ELc67ELc85EKPKS1_KPS1_EviT_T0_PT8_S7_lSA_S7_lS8_PT9_S7_li,comdat
.Lfunc_end1647:
	.size	_ZL37rocblas_syrkx_herkx_restricted_kernelIl19rocblas_complex_numIdELi16ELi32ELi8ELb1ELb0ELc67ELc85EKPKS1_KPS1_EviT_T0_PT8_S7_lSA_S7_lS8_PT9_S7_li, .Lfunc_end1647-_ZL37rocblas_syrkx_herkx_restricted_kernelIl19rocblas_complex_numIdELi16ELi32ELi8ELb1ELb0ELc67ELc85EKPKS1_KPS1_EviT_T0_PT8_S7_lSA_S7_lS8_PT9_S7_li
                                        ; -- End function
	.set _ZL37rocblas_syrkx_herkx_restricted_kernelIl19rocblas_complex_numIdELi16ELi32ELi8ELb1ELb0ELc67ELc85EKPKS1_KPS1_EviT_T0_PT8_S7_lSA_S7_lS8_PT9_S7_li.num_vgpr, 52
	.set _ZL37rocblas_syrkx_herkx_restricted_kernelIl19rocblas_complex_numIdELi16ELi32ELi8ELb1ELb0ELc67ELc85EKPKS1_KPS1_EviT_T0_PT8_S7_lSA_S7_lS8_PT9_S7_li.num_agpr, 0
	.set _ZL37rocblas_syrkx_herkx_restricted_kernelIl19rocblas_complex_numIdELi16ELi32ELi8ELb1ELb0ELc67ELc85EKPKS1_KPS1_EviT_T0_PT8_S7_lSA_S7_lS8_PT9_S7_li.numbered_sgpr, 28
	.set _ZL37rocblas_syrkx_herkx_restricted_kernelIl19rocblas_complex_numIdELi16ELi32ELi8ELb1ELb0ELc67ELc85EKPKS1_KPS1_EviT_T0_PT8_S7_lSA_S7_lS8_PT9_S7_li.num_named_barrier, 0
	.set _ZL37rocblas_syrkx_herkx_restricted_kernelIl19rocblas_complex_numIdELi16ELi32ELi8ELb1ELb0ELc67ELc85EKPKS1_KPS1_EviT_T0_PT8_S7_lSA_S7_lS8_PT9_S7_li.private_seg_size, 0
	.set _ZL37rocblas_syrkx_herkx_restricted_kernelIl19rocblas_complex_numIdELi16ELi32ELi8ELb1ELb0ELc67ELc85EKPKS1_KPS1_EviT_T0_PT8_S7_lSA_S7_lS8_PT9_S7_li.uses_vcc, 1
	.set _ZL37rocblas_syrkx_herkx_restricted_kernelIl19rocblas_complex_numIdELi16ELi32ELi8ELb1ELb0ELc67ELc85EKPKS1_KPS1_EviT_T0_PT8_S7_lSA_S7_lS8_PT9_S7_li.uses_flat_scratch, 0
	.set _ZL37rocblas_syrkx_herkx_restricted_kernelIl19rocblas_complex_numIdELi16ELi32ELi8ELb1ELb0ELc67ELc85EKPKS1_KPS1_EviT_T0_PT8_S7_lSA_S7_lS8_PT9_S7_li.has_dyn_sized_stack, 0
	.set _ZL37rocblas_syrkx_herkx_restricted_kernelIl19rocblas_complex_numIdELi16ELi32ELi8ELb1ELb0ELc67ELc85EKPKS1_KPS1_EviT_T0_PT8_S7_lSA_S7_lS8_PT9_S7_li.has_recursion, 0
	.set _ZL37rocblas_syrkx_herkx_restricted_kernelIl19rocblas_complex_numIdELi16ELi32ELi8ELb1ELb0ELc67ELc85EKPKS1_KPS1_EviT_T0_PT8_S7_lSA_S7_lS8_PT9_S7_li.has_indirect_call, 0
	.section	.AMDGPU.csdata,"",@progbits
; Kernel info:
; codeLenInByte = 2968
; TotalNumSgprs: 32
; NumVgprs: 52
; ScratchSize: 0
; MemoryBound: 0
; FloatMode: 240
; IeeeMode: 1
; LDSByteSize: 8192 bytes/workgroup (compile time only)
; SGPRBlocks: 8
; VGPRBlocks: 12
; NumSGPRsForWavesPerEU: 65
; NumVGPRsForWavesPerEU: 52
; Occupancy: 4
; WaveLimiterHint : 1
; COMPUTE_PGM_RSRC2:SCRATCH_EN: 0
; COMPUTE_PGM_RSRC2:USER_SGPR: 6
; COMPUTE_PGM_RSRC2:TRAP_HANDLER: 0
; COMPUTE_PGM_RSRC2:TGID_X_EN: 1
; COMPUTE_PGM_RSRC2:TGID_Y_EN: 1
; COMPUTE_PGM_RSRC2:TGID_Z_EN: 1
; COMPUTE_PGM_RSRC2:TIDIG_COMP_CNT: 1
	.section	.text._ZL37rocblas_syrkx_herkx_restricted_kernelIl19rocblas_complex_numIdELi16ELi32ELi8ELb1ELb0ELc78ELc85EKPKS1_KPS1_EviT_T0_PT8_S7_lSA_S7_lS8_PT9_S7_li,"axG",@progbits,_ZL37rocblas_syrkx_herkx_restricted_kernelIl19rocblas_complex_numIdELi16ELi32ELi8ELb1ELb0ELc78ELc85EKPKS1_KPS1_EviT_T0_PT8_S7_lSA_S7_lS8_PT9_S7_li,comdat
	.globl	_ZL37rocblas_syrkx_herkx_restricted_kernelIl19rocblas_complex_numIdELi16ELi32ELi8ELb1ELb0ELc78ELc85EKPKS1_KPS1_EviT_T0_PT8_S7_lSA_S7_lS8_PT9_S7_li ; -- Begin function _ZL37rocblas_syrkx_herkx_restricted_kernelIl19rocblas_complex_numIdELi16ELi32ELi8ELb1ELb0ELc78ELc85EKPKS1_KPS1_EviT_T0_PT8_S7_lSA_S7_lS8_PT9_S7_li
	.p2align	8
	.type	_ZL37rocblas_syrkx_herkx_restricted_kernelIl19rocblas_complex_numIdELi16ELi32ELi8ELb1ELb0ELc78ELc85EKPKS1_KPS1_EviT_T0_PT8_S7_lSA_S7_lS8_PT9_S7_li,@function
_ZL37rocblas_syrkx_herkx_restricted_kernelIl19rocblas_complex_numIdELi16ELi32ELi8ELb1ELb0ELc78ELc85EKPKS1_KPS1_EviT_T0_PT8_S7_lSA_S7_lS8_PT9_S7_li: ; @_ZL37rocblas_syrkx_herkx_restricted_kernelIl19rocblas_complex_numIdELi16ELi32ELi8ELb1ELb0ELc78ELc85EKPKS1_KPS1_EviT_T0_PT8_S7_lSA_S7_lS8_PT9_S7_li
; %bb.0:
	s_load_dwordx4 s[0:3], s[4:5], 0x60
	s_load_dwordx2 s[22:23], s[4:5], 0x28
	s_load_dwordx8 s[12:19], s[4:5], 0x8
	s_mov_b32 s9, 0
	s_lshl_b64 s[24:25], s[8:9], 3
	s_waitcnt lgkmcnt(0)
	s_add_u32 s0, s0, s24
	s_addc_u32 s1, s1, s25
	s_load_dwordx2 s[20:21], s[0:1], 0x0
	v_cmp_lt_i64_e64 s[0:1], s[12:13], 1
	s_lshl_b32 s26, s6, 5
	s_lshl_b32 s27, s7, 5
	s_and_b64 vcc, exec, s[0:1]
	s_cbranch_vccnz .LBB1648_3
; %bb.1:
	s_load_dwordx4 s[8:11], s[4:5], 0x38
	v_lshl_add_u32 v6, v1, 4, v0
	v_lshrrev_b32_e32 v7, 3, v6
	v_add_u32_e32 v2, s27, v7
	v_and_b32_e32 v8, 7, v0
	v_ashrrev_i32_e32 v3, 31, v2
	s_waitcnt lgkmcnt(0)
	v_mad_u64_u32 v[4:5], s[6:7], s10, v8, v[2:3]
	s_add_u32 s0, s18, s24
	s_addc_u32 s1, s19, s25
	s_add_u32 s6, s8, s24
	v_mov_b32_e32 v2, v5
	s_addc_u32 s7, s9, s25
	v_mad_u64_u32 v[2:3], s[8:9], s11, v8, v[2:3]
	v_and_b32_e32 v3, 31, v6
	v_lshrrev_b32_e32 v9, 5, v6
	v_mov_b32_e32 v5, v2
	v_lshlrev_b32_e32 v2, 4, v3
	v_lshl_or_b32 v22, v9, 9, v2
	v_add_u32_e32 v2, s26, v3
	v_ashrrev_i32_e32 v3, 31, v2
	v_mad_u64_u32 v[2:3], s[8:9], s22, v9, v[2:3]
	v_lshlrev_b32_e32 v6, 4, v8
	v_lshl_or_b32 v6, v7, 7, v6
	v_add_u32_e32 v23, 0x1000, v6
	v_mad_u64_u32 v[6:7], s[8:9], s23, v9, v[3:4]
	s_load_dwordx2 s[0:1], s[0:1], 0x0
	v_mov_b32_e32 v3, 0x1000
	s_load_dwordx2 s[6:7], s[6:7], 0x0
	v_lshl_add_u32 v25, v1, 7, v3
	v_mov_b32_e32 v3, v6
	v_lshlrev_b64 v[2:3], 4, v[2:3]
	s_waitcnt lgkmcnt(0)
	v_mov_b32_e32 v6, s1
	v_add_co_u32_e32 v2, vcc, s0, v2
	v_lshlrev_b64 v[4:5], 4, v[4:5]
	v_addc_co_u32_e32 v3, vcc, v6, v3, vcc
	v_mov_b32_e32 v6, s7
	v_add_co_u32_e32 v4, vcc, s6, v4
	s_lshl_b64 s[0:1], s[22:23], 7
	v_addc_co_u32_e32 v5, vcc, v6, v5, vcc
	s_lshl_b64 s[6:7], s[10:11], 7
	v_mov_b32_e32 v10, 0
	v_mov_b32_e32 v12, 0
	;; [unrolled: 1-line block ×8, first 2 shown]
	v_lshlrev_b32_e32 v24, 4, v0
	v_mov_b32_e32 v11, 0
	s_mov_b64 s[8:9], 0
	v_mov_b32_e32 v26, s1
	v_mov_b32_e32 v13, 0
	;; [unrolled: 1-line block ×9, first 2 shown]
.LBB1648_2:                             ; =>This Inner Loop Header: Depth=1
	flat_load_dwordx4 v[28:31], v[2:3]
	s_add_u32 s8, s8, 8
	v_add_co_u32_e32 v2, vcc, s0, v2
	s_addc_u32 s9, s9, 0
	v_addc_co_u32_e32 v3, vcc, v3, v26, vcc
	s_waitcnt vmcnt(0) lgkmcnt(0)
	ds_write_b128 v22, v[28:31]
	flat_load_dwordx4 v[28:31], v[4:5]
	v_add_co_u32_e32 v4, vcc, s6, v4
	v_addc_co_u32_e32 v5, vcc, v5, v27, vcc
	s_waitcnt vmcnt(0) lgkmcnt(0)
	ds_write_b128 v23, v[28:31]
	s_waitcnt lgkmcnt(0)
	s_barrier
	ds_read_b128 v[28:31], v25
	ds_read_b128 v[32:35], v25 offset:16
	ds_read_b128 v[36:39], v25 offset:32
	;; [unrolled: 1-line block ×3, first 2 shown]
	ds_read_b128 v[44:47], v24
	s_waitcnt lgkmcnt(0)
	v_mul_f64 v[48:49], v[30:31], v[46:47]
	v_mul_f64 v[50:51], v[28:29], v[46:47]
	v_fma_f64 v[48:49], v[28:29], v[44:45], -v[48:49]
	v_fma_f64 v[50:51], v[30:31], v[44:45], v[50:51]
	v_add_f64 v[48:49], v[18:19], v[48:49]
	v_add_f64 v[50:51], v[50:51], v[20:21]
	ds_read_b128 v[18:21], v24 offset:256
	s_waitcnt lgkmcnt(0)
	v_mul_f64 v[52:53], v[30:31], v[20:21]
	v_fma_f64 v[52:53], v[28:29], v[18:19], -v[52:53]
	v_mul_f64 v[28:29], v[28:29], v[20:21]
	v_fma_f64 v[28:29], v[30:31], v[18:19], v[28:29]
	v_add_f64 v[30:31], v[6:7], v[52:53]
	v_add_f64 v[28:29], v[28:29], v[8:9]
	ds_read_b128 v[6:9], v25 offset:2048
	s_waitcnt lgkmcnt(0)
	v_mul_f64 v[52:53], v[8:9], v[46:47]
	v_mul_f64 v[46:47], v[6:7], v[46:47]
	v_fma_f64 v[52:53], v[6:7], v[44:45], -v[52:53]
	v_fma_f64 v[44:45], v[8:9], v[44:45], v[46:47]
	v_add_f64 v[46:47], v[14:15], v[52:53]
	v_mul_f64 v[14:15], v[8:9], v[20:21]
	v_add_f64 v[44:45], v[44:45], v[16:17]
	v_fma_f64 v[14:15], v[6:7], v[18:19], -v[14:15]
	v_mul_f64 v[6:7], v[6:7], v[20:21]
	v_fma_f64 v[6:7], v[8:9], v[18:19], v[6:7]
	v_add_f64 v[18:19], v[12:13], v[14:15]
	v_add_f64 v[20:21], v[6:7], v[10:11]
	ds_read_b128 v[6:9], v24 offset:512
	s_waitcnt lgkmcnt(0)
	v_mul_f64 v[10:11], v[34:35], v[8:9]
	v_mul_f64 v[12:13], v[32:33], v[8:9]
	v_fma_f64 v[10:11], v[32:33], v[6:7], -v[10:11]
	v_fma_f64 v[12:13], v[34:35], v[6:7], v[12:13]
	v_add_f64 v[48:49], v[48:49], v[10:11]
	v_add_f64 v[50:51], v[12:13], v[50:51]
	ds_read_b128 v[10:13], v24 offset:768
	s_waitcnt lgkmcnt(0)
	v_mul_f64 v[14:15], v[34:35], v[12:13]
	v_mul_f64 v[16:17], v[32:33], v[12:13]
	v_fma_f64 v[14:15], v[32:33], v[10:11], -v[14:15]
	;; [unrolled: 8-line block ×3, first 2 shown]
	v_fma_f64 v[6:7], v[16:17], v[6:7], v[8:9]
	v_mul_f64 v[8:9], v[14:15], v[12:13]
	v_add_f64 v[32:33], v[46:47], v[32:33]
	v_add_f64 v[34:35], v[6:7], v[44:45]
	v_mul_f64 v[6:7], v[16:17], v[12:13]
	v_fma_f64 v[8:9], v[16:17], v[10:11], v[8:9]
	v_fma_f64 v[6:7], v[14:15], v[10:11], -v[6:7]
	v_add_f64 v[20:21], v[8:9], v[20:21]
	v_add_f64 v[18:19], v[18:19], v[6:7]
	ds_read_b128 v[6:9], v24 offset:1024
	s_waitcnt lgkmcnt(0)
	v_mul_f64 v[10:11], v[38:39], v[8:9]
	v_mul_f64 v[12:13], v[36:37], v[8:9]
	v_fma_f64 v[10:11], v[36:37], v[6:7], -v[10:11]
	v_fma_f64 v[12:13], v[38:39], v[6:7], v[12:13]
	v_add_f64 v[44:45], v[48:49], v[10:11]
	v_add_f64 v[46:47], v[12:13], v[50:51]
	ds_read_b128 v[10:13], v24 offset:1280
	s_waitcnt lgkmcnt(0)
	v_mul_f64 v[14:15], v[38:39], v[12:13]
	v_mul_f64 v[16:17], v[36:37], v[12:13]
	v_fma_f64 v[14:15], v[36:37], v[10:11], -v[14:15]
	v_fma_f64 v[16:17], v[38:39], v[10:11], v[16:17]
	;; [unrolled: 8-line block ×3, first 2 shown]
	v_mul_f64 v[8:9], v[14:15], v[12:13]
	v_add_f64 v[32:33], v[32:33], v[36:37]
	v_add_f64 v[34:35], v[6:7], v[34:35]
	v_mul_f64 v[6:7], v[16:17], v[12:13]
	v_fma_f64 v[8:9], v[16:17], v[10:11], v[8:9]
	v_fma_f64 v[6:7], v[14:15], v[10:11], -v[6:7]
	v_add_f64 v[20:21], v[8:9], v[20:21]
	v_add_f64 v[18:19], v[18:19], v[6:7]
	ds_read_b128 v[6:9], v24 offset:1536
	s_waitcnt lgkmcnt(0)
	v_mul_f64 v[10:11], v[42:43], v[8:9]
	v_mul_f64 v[12:13], v[40:41], v[8:9]
	v_fma_f64 v[10:11], v[40:41], v[6:7], -v[10:11]
	v_fma_f64 v[12:13], v[42:43], v[6:7], v[12:13]
	v_add_f64 v[36:37], v[44:45], v[10:11]
	v_add_f64 v[38:39], v[12:13], v[46:47]
	ds_read_b128 v[10:13], v24 offset:1792
	s_waitcnt lgkmcnt(0)
	v_mul_f64 v[14:15], v[42:43], v[12:13]
	v_mul_f64 v[16:17], v[40:41], v[12:13]
	v_fma_f64 v[14:15], v[40:41], v[10:11], -v[14:15]
	v_fma_f64 v[16:17], v[42:43], v[10:11], v[16:17]
	;; [unrolled: 8-line block ×3, first 2 shown]
	v_mul_f64 v[8:9], v[14:15], v[12:13]
	v_add_f64 v[32:33], v[32:33], v[40:41]
	v_add_f64 v[34:35], v[6:7], v[34:35]
	v_mul_f64 v[6:7], v[16:17], v[12:13]
	v_fma_f64 v[8:9], v[16:17], v[10:11], v[8:9]
	v_fma_f64 v[6:7], v[14:15], v[10:11], -v[6:7]
	v_add_f64 v[20:21], v[8:9], v[20:21]
	v_add_f64 v[18:19], v[18:19], v[6:7]
	ds_read_b128 v[6:9], v25 offset:64
	ds_read_b128 v[10:13], v24 offset:2048
	s_waitcnt lgkmcnt(0)
	v_mul_f64 v[14:15], v[8:9], v[12:13]
	v_mul_f64 v[16:17], v[6:7], v[12:13]
	v_fma_f64 v[14:15], v[6:7], v[10:11], -v[14:15]
	v_fma_f64 v[16:17], v[8:9], v[10:11], v[16:17]
	v_add_f64 v[36:37], v[36:37], v[14:15]
	v_add_f64 v[38:39], v[16:17], v[38:39]
	ds_read_b128 v[14:17], v24 offset:2304
	s_waitcnt lgkmcnt(0)
	v_mul_f64 v[40:41], v[8:9], v[16:17]
	v_fma_f64 v[40:41], v[6:7], v[14:15], -v[40:41]
	v_mul_f64 v[6:7], v[6:7], v[16:17]
	v_add_f64 v[30:31], v[30:31], v[40:41]
	v_fma_f64 v[6:7], v[8:9], v[14:15], v[6:7]
	v_add_f64 v[28:29], v[6:7], v[28:29]
	ds_read_b128 v[6:9], v25 offset:2112
	s_waitcnt lgkmcnt(0)
	v_mul_f64 v[40:41], v[8:9], v[12:13]
	v_mul_f64 v[12:13], v[6:7], v[12:13]
	v_fma_f64 v[40:41], v[6:7], v[10:11], -v[40:41]
	v_fma_f64 v[10:11], v[8:9], v[10:11], v[12:13]
	v_add_f64 v[32:33], v[32:33], v[40:41]
	v_add_f64 v[34:35], v[10:11], v[34:35]
	v_mul_f64 v[10:11], v[8:9], v[16:17]
	v_fma_f64 v[10:11], v[6:7], v[14:15], -v[10:11]
	v_mul_f64 v[6:7], v[6:7], v[16:17]
	v_add_f64 v[18:19], v[18:19], v[10:11]
	v_fma_f64 v[6:7], v[8:9], v[14:15], v[6:7]
	v_add_f64 v[20:21], v[6:7], v[20:21]
	ds_read_b128 v[6:9], v25 offset:80
	ds_read_b128 v[10:13], v24 offset:2560
	s_waitcnt lgkmcnt(0)
	v_mul_f64 v[14:15], v[8:9], v[12:13]
	v_mul_f64 v[16:17], v[6:7], v[12:13]
	v_fma_f64 v[14:15], v[6:7], v[10:11], -v[14:15]
	v_fma_f64 v[16:17], v[8:9], v[10:11], v[16:17]
	v_add_f64 v[36:37], v[36:37], v[14:15]
	v_add_f64 v[38:39], v[16:17], v[38:39]
	ds_read_b128 v[14:17], v24 offset:2816
	s_waitcnt lgkmcnt(0)
	v_mul_f64 v[40:41], v[8:9], v[16:17]
	v_fma_f64 v[40:41], v[6:7], v[14:15], -v[40:41]
	v_mul_f64 v[6:7], v[6:7], v[16:17]
	v_add_f64 v[30:31], v[30:31], v[40:41]
	v_fma_f64 v[6:7], v[8:9], v[14:15], v[6:7]
	v_add_f64 v[28:29], v[6:7], v[28:29]
	ds_read_b128 v[6:9], v25 offset:2128
	s_waitcnt lgkmcnt(0)
	v_mul_f64 v[40:41], v[8:9], v[12:13]
	v_mul_f64 v[12:13], v[6:7], v[12:13]
	v_fma_f64 v[40:41], v[6:7], v[10:11], -v[40:41]
	v_fma_f64 v[10:11], v[8:9], v[10:11], v[12:13]
	v_add_f64 v[32:33], v[32:33], v[40:41]
	v_add_f64 v[34:35], v[10:11], v[34:35]
	v_mul_f64 v[10:11], v[8:9], v[16:17]
	v_fma_f64 v[10:11], v[6:7], v[14:15], -v[10:11]
	v_mul_f64 v[6:7], v[6:7], v[16:17]
	v_add_f64 v[18:19], v[18:19], v[10:11]
	v_fma_f64 v[6:7], v[8:9], v[14:15], v[6:7]
	;; [unrolled: 31-line block ×3, first 2 shown]
	v_add_f64 v[50:51], v[6:7], v[20:21]
	ds_read_b128 v[6:9], v25 offset:112
	ds_read_b128 v[10:13], v24 offset:3584
	;; [unrolled: 1-line block ×4, first 2 shown]
	s_waitcnt lgkmcnt(0)
	s_barrier
	v_mul_f64 v[14:15], v[8:9], v[12:13]
	v_mul_f64 v[16:17], v[6:7], v[12:13]
	v_fma_f64 v[14:15], v[6:7], v[10:11], -v[14:15]
	v_fma_f64 v[16:17], v[8:9], v[10:11], v[16:17]
	v_add_f64 v[18:19], v[36:37], v[14:15]
	v_mul_f64 v[14:15], v[8:9], v[30:31]
	v_add_f64 v[20:21], v[16:17], v[38:39]
	v_fma_f64 v[14:15], v[6:7], v[28:29], -v[14:15]
	v_mul_f64 v[6:7], v[6:7], v[30:31]
	v_fma_f64 v[8:9], v[8:9], v[28:29], v[6:7]
	v_add_f64 v[6:7], v[40:41], v[14:15]
	v_mul_f64 v[14:15], v[34:35], v[12:13]
	v_mul_f64 v[12:13], v[32:33], v[12:13]
	v_add_f64 v[8:9], v[8:9], v[42:43]
	v_fma_f64 v[14:15], v[32:33], v[10:11], -v[14:15]
	v_fma_f64 v[10:11], v[34:35], v[10:11], v[12:13]
	v_mul_f64 v[12:13], v[32:33], v[30:31]
	v_add_f64 v[14:15], v[44:45], v[14:15]
	v_add_f64 v[16:17], v[10:11], v[46:47]
	v_mul_f64 v[10:11], v[34:35], v[30:31]
	v_fma_f64 v[10:11], v[32:33], v[28:29], -v[10:11]
	v_fma_f64 v[28:29], v[34:35], v[28:29], v[12:13]
	v_add_f64 v[12:13], v[48:49], v[10:11]
	v_add_f64 v[10:11], v[28:29], v[50:51]
	v_mov_b32_e32 v29, s9
	v_mov_b32_e32 v28, s8
	v_cmp_le_u64_e32 vcc, s[12:13], v[28:29]
	s_cbranch_vccz .LBB1648_2
	s_branch .LBB1648_4
.LBB1648_3:
	v_mov_b32_e32 v18, 0
	v_mov_b32_e32 v20, 0
	;; [unrolled: 1-line block ×16, first 2 shown]
.LBB1648_4:
	v_add_u32_e32 v4, s27, v1
	v_ashrrev_i32_e32 v1, 31, v4
	v_mul_lo_u32 v3, s2, v1
	v_mul_lo_u32 v5, s3, v4
	v_mad_u64_u32 v[1:2], s[0:1], s2, v4, 0
	s_load_dword s6, s[4:5], 0x0
	v_add_u32_e32 v0, s26, v0
	v_add3_u32 v2, v2, v3, v5
	v_lshlrev_b64 v[1:2], 4, v[1:2]
	s_waitcnt lgkmcnt(0)
	v_mov_b32_e32 v3, s21
	v_add_co_u32_e64 v5, s[0:1], s20, v1
	v_addc_co_u32_e64 v22, s[0:1], v3, v2, s[0:1]
	v_cmp_gt_i32_e32 vcc, s6, v4
	v_cmp_le_i32_e64 s[0:1], v0, v4
	s_and_b64 s[0:1], vcc, s[0:1]
	s_and_saveexec_b64 s[4:5], s[0:1]
	s_cbranch_execz .LBB1648_6
; %bb.5:
	v_mul_f64 v[1:2], s[16:17], v[20:21]
	v_mul_f64 v[20:21], s[14:15], v[20:21]
	v_fma_f64 v[23:24], s[14:15], v[18:19], -v[1:2]
	v_fma_f64 v[25:26], s[16:17], v[18:19], v[20:21]
	v_ashrrev_i32_e32 v1, 31, v0
	v_lshlrev_b64 v[1:2], 4, v[0:1]
	v_add_co_u32_e64 v1, s[0:1], v5, v1
	v_addc_co_u32_e64 v2, s[0:1], v22, v2, s[0:1]
	flat_store_dwordx4 v[1:2], v[23:26]
.LBB1648_6:
	s_or_b64 exec, exec, s[4:5]
	v_add_u32_e32 v2, 16, v0
	v_cmp_le_i32_e64 s[0:1], v2, v4
	s_and_b64 s[4:5], vcc, s[0:1]
	s_and_saveexec_b64 s[0:1], s[4:5]
	s_cbranch_execz .LBB1648_8
; %bb.7:
	v_mul_f64 v[18:19], s[16:17], v[8:9]
	v_mul_f64 v[8:9], s[14:15], v[8:9]
	v_ashrrev_i32_e32 v3, 31, v2
	v_fma_f64 v[18:19], s[14:15], v[6:7], -v[18:19]
	v_fma_f64 v[20:21], s[16:17], v[6:7], v[8:9]
	v_lshlrev_b64 v[6:7], 4, v[2:3]
	v_add_co_u32_e32 v5, vcc, v5, v6
	v_addc_co_u32_e32 v6, vcc, v22, v7, vcc
	flat_store_dwordx4 v[5:6], v[18:21]
.LBB1648_8:
	s_or_b64 exec, exec, s[0:1]
	v_add_u32_e32 v3, 16, v4
	v_ashrrev_i32_e32 v1, 31, v3
	v_mul_lo_u32 v1, s2, v1
	v_mul_lo_u32 v6, s3, v3
	v_mad_u64_u32 v[4:5], s[0:1], s2, v3, 0
	v_cmp_gt_i32_e32 vcc, s6, v3
	v_add3_u32 v5, v5, v1, v6
	v_lshlrev_b64 v[4:5], 4, v[4:5]
	v_mov_b32_e32 v1, s21
	v_add_co_u32_e64 v4, s[0:1], s20, v4
	v_addc_co_u32_e64 v5, s[0:1], v1, v5, s[0:1]
	v_cmp_le_i32_e64 s[0:1], v0, v3
	s_and_b64 s[0:1], vcc, s[0:1]
	s_and_saveexec_b64 s[2:3], s[0:1]
	s_cbranch_execz .LBB1648_10
; %bb.9:
	v_mul_f64 v[6:7], s[16:17], v[16:17]
	v_mul_f64 v[8:9], s[14:15], v[16:17]
	v_ashrrev_i32_e32 v1, 31, v0
	v_lshlrev_b64 v[0:1], 4, v[0:1]
	v_add_co_u32_e64 v0, s[0:1], v4, v0
	v_addc_co_u32_e64 v1, s[0:1], v5, v1, s[0:1]
	v_fma_f64 v[6:7], s[14:15], v[14:15], -v[6:7]
	v_fma_f64 v[8:9], s[16:17], v[14:15], v[8:9]
	flat_store_dwordx4 v[0:1], v[6:9]
.LBB1648_10:
	s_or_b64 exec, exec, s[2:3]
	v_cmp_le_i32_e64 s[0:1], v2, v3
	s_and_b64 s[0:1], vcc, s[0:1]
	s_and_saveexec_b64 s[2:3], s[0:1]
	s_cbranch_execz .LBB1648_12
; %bb.11:
	v_mul_f64 v[0:1], s[16:17], v[10:11]
	v_mul_f64 v[8:9], s[14:15], v[10:11]
	v_ashrrev_i32_e32 v3, 31, v2
	v_fma_f64 v[6:7], s[14:15], v[12:13], -v[0:1]
	v_fma_f64 v[8:9], s[16:17], v[12:13], v[8:9]
	v_lshlrev_b64 v[0:1], 4, v[2:3]
	v_add_co_u32_e32 v0, vcc, v4, v0
	v_addc_co_u32_e32 v1, vcc, v5, v1, vcc
	flat_store_dwordx4 v[0:1], v[6:9]
.LBB1648_12:
	s_endpgm
	.section	.rodata,"a",@progbits
	.p2align	6, 0x0
	.amdhsa_kernel _ZL37rocblas_syrkx_herkx_restricted_kernelIl19rocblas_complex_numIdELi16ELi32ELi8ELb1ELb0ELc78ELc85EKPKS1_KPS1_EviT_T0_PT8_S7_lSA_S7_lS8_PT9_S7_li
		.amdhsa_group_segment_fixed_size 8192
		.amdhsa_private_segment_fixed_size 0
		.amdhsa_kernarg_size 124
		.amdhsa_user_sgpr_count 6
		.amdhsa_user_sgpr_private_segment_buffer 1
		.amdhsa_user_sgpr_dispatch_ptr 0
		.amdhsa_user_sgpr_queue_ptr 0
		.amdhsa_user_sgpr_kernarg_segment_ptr 1
		.amdhsa_user_sgpr_dispatch_id 0
		.amdhsa_user_sgpr_flat_scratch_init 0
		.amdhsa_user_sgpr_private_segment_size 0
		.amdhsa_uses_dynamic_stack 0
		.amdhsa_system_sgpr_private_segment_wavefront_offset 0
		.amdhsa_system_sgpr_workgroup_id_x 1
		.amdhsa_system_sgpr_workgroup_id_y 1
		.amdhsa_system_sgpr_workgroup_id_z 1
		.amdhsa_system_sgpr_workgroup_info 0
		.amdhsa_system_vgpr_workitem_id 1
		.amdhsa_next_free_vgpr 54
		.amdhsa_next_free_sgpr 61
		.amdhsa_reserve_vcc 1
		.amdhsa_reserve_flat_scratch 0
		.amdhsa_float_round_mode_32 0
		.amdhsa_float_round_mode_16_64 0
		.amdhsa_float_denorm_mode_32 3
		.amdhsa_float_denorm_mode_16_64 3
		.amdhsa_dx10_clamp 1
		.amdhsa_ieee_mode 1
		.amdhsa_fp16_overflow 0
		.amdhsa_exception_fp_ieee_invalid_op 0
		.amdhsa_exception_fp_denorm_src 0
		.amdhsa_exception_fp_ieee_div_zero 0
		.amdhsa_exception_fp_ieee_overflow 0
		.amdhsa_exception_fp_ieee_underflow 0
		.amdhsa_exception_fp_ieee_inexact 0
		.amdhsa_exception_int_div_zero 0
	.end_amdhsa_kernel
	.section	.text._ZL37rocblas_syrkx_herkx_restricted_kernelIl19rocblas_complex_numIdELi16ELi32ELi8ELb1ELb0ELc78ELc85EKPKS1_KPS1_EviT_T0_PT8_S7_lSA_S7_lS8_PT9_S7_li,"axG",@progbits,_ZL37rocblas_syrkx_herkx_restricted_kernelIl19rocblas_complex_numIdELi16ELi32ELi8ELb1ELb0ELc78ELc85EKPKS1_KPS1_EviT_T0_PT8_S7_lSA_S7_lS8_PT9_S7_li,comdat
.Lfunc_end1648:
	.size	_ZL37rocblas_syrkx_herkx_restricted_kernelIl19rocblas_complex_numIdELi16ELi32ELi8ELb1ELb0ELc78ELc85EKPKS1_KPS1_EviT_T0_PT8_S7_lSA_S7_lS8_PT9_S7_li, .Lfunc_end1648-_ZL37rocblas_syrkx_herkx_restricted_kernelIl19rocblas_complex_numIdELi16ELi32ELi8ELb1ELb0ELc78ELc85EKPKS1_KPS1_EviT_T0_PT8_S7_lSA_S7_lS8_PT9_S7_li
                                        ; -- End function
	.set _ZL37rocblas_syrkx_herkx_restricted_kernelIl19rocblas_complex_numIdELi16ELi32ELi8ELb1ELb0ELc78ELc85EKPKS1_KPS1_EviT_T0_PT8_S7_lSA_S7_lS8_PT9_S7_li.num_vgpr, 54
	.set _ZL37rocblas_syrkx_herkx_restricted_kernelIl19rocblas_complex_numIdELi16ELi32ELi8ELb1ELb0ELc78ELc85EKPKS1_KPS1_EviT_T0_PT8_S7_lSA_S7_lS8_PT9_S7_li.num_agpr, 0
	.set _ZL37rocblas_syrkx_herkx_restricted_kernelIl19rocblas_complex_numIdELi16ELi32ELi8ELb1ELb0ELc78ELc85EKPKS1_KPS1_EviT_T0_PT8_S7_lSA_S7_lS8_PT9_S7_li.numbered_sgpr, 28
	.set _ZL37rocblas_syrkx_herkx_restricted_kernelIl19rocblas_complex_numIdELi16ELi32ELi8ELb1ELb0ELc78ELc85EKPKS1_KPS1_EviT_T0_PT8_S7_lSA_S7_lS8_PT9_S7_li.num_named_barrier, 0
	.set _ZL37rocblas_syrkx_herkx_restricted_kernelIl19rocblas_complex_numIdELi16ELi32ELi8ELb1ELb0ELc78ELc85EKPKS1_KPS1_EviT_T0_PT8_S7_lSA_S7_lS8_PT9_S7_li.private_seg_size, 0
	.set _ZL37rocblas_syrkx_herkx_restricted_kernelIl19rocblas_complex_numIdELi16ELi32ELi8ELb1ELb0ELc78ELc85EKPKS1_KPS1_EviT_T0_PT8_S7_lSA_S7_lS8_PT9_S7_li.uses_vcc, 1
	.set _ZL37rocblas_syrkx_herkx_restricted_kernelIl19rocblas_complex_numIdELi16ELi32ELi8ELb1ELb0ELc78ELc85EKPKS1_KPS1_EviT_T0_PT8_S7_lSA_S7_lS8_PT9_S7_li.uses_flat_scratch, 0
	.set _ZL37rocblas_syrkx_herkx_restricted_kernelIl19rocblas_complex_numIdELi16ELi32ELi8ELb1ELb0ELc78ELc85EKPKS1_KPS1_EviT_T0_PT8_S7_lSA_S7_lS8_PT9_S7_li.has_dyn_sized_stack, 0
	.set _ZL37rocblas_syrkx_herkx_restricted_kernelIl19rocblas_complex_numIdELi16ELi32ELi8ELb1ELb0ELc78ELc85EKPKS1_KPS1_EviT_T0_PT8_S7_lSA_S7_lS8_PT9_S7_li.has_recursion, 0
	.set _ZL37rocblas_syrkx_herkx_restricted_kernelIl19rocblas_complex_numIdELi16ELi32ELi8ELb1ELb0ELc78ELc85EKPKS1_KPS1_EviT_T0_PT8_S7_lSA_S7_lS8_PT9_S7_li.has_indirect_call, 0
	.section	.AMDGPU.csdata,"",@progbits
; Kernel info:
; codeLenInByte = 2940
; TotalNumSgprs: 32
; NumVgprs: 54
; ScratchSize: 0
; MemoryBound: 0
; FloatMode: 240
; IeeeMode: 1
; LDSByteSize: 8192 bytes/workgroup (compile time only)
; SGPRBlocks: 8
; VGPRBlocks: 13
; NumSGPRsForWavesPerEU: 65
; NumVGPRsForWavesPerEU: 54
; Occupancy: 4
; WaveLimiterHint : 1
; COMPUTE_PGM_RSRC2:SCRATCH_EN: 0
; COMPUTE_PGM_RSRC2:USER_SGPR: 6
; COMPUTE_PGM_RSRC2:TRAP_HANDLER: 0
; COMPUTE_PGM_RSRC2:TGID_X_EN: 1
; COMPUTE_PGM_RSRC2:TGID_Y_EN: 1
; COMPUTE_PGM_RSRC2:TGID_Z_EN: 1
; COMPUTE_PGM_RSRC2:TIDIG_COMP_CNT: 1
	.section	.text._ZL37rocblas_syrkx_herkx_restricted_kernelIl19rocblas_complex_numIdELi16ELi32ELi8ELb0ELb0ELc84ELc76EKPKS1_KPS1_EviT_T0_PT8_S7_lSA_S7_lS8_PT9_S7_li,"axG",@progbits,_ZL37rocblas_syrkx_herkx_restricted_kernelIl19rocblas_complex_numIdELi16ELi32ELi8ELb0ELb0ELc84ELc76EKPKS1_KPS1_EviT_T0_PT8_S7_lSA_S7_lS8_PT9_S7_li,comdat
	.globl	_ZL37rocblas_syrkx_herkx_restricted_kernelIl19rocblas_complex_numIdELi16ELi32ELi8ELb0ELb0ELc84ELc76EKPKS1_KPS1_EviT_T0_PT8_S7_lSA_S7_lS8_PT9_S7_li ; -- Begin function _ZL37rocblas_syrkx_herkx_restricted_kernelIl19rocblas_complex_numIdELi16ELi32ELi8ELb0ELb0ELc84ELc76EKPKS1_KPS1_EviT_T0_PT8_S7_lSA_S7_lS8_PT9_S7_li
	.p2align	8
	.type	_ZL37rocblas_syrkx_herkx_restricted_kernelIl19rocblas_complex_numIdELi16ELi32ELi8ELb0ELb0ELc84ELc76EKPKS1_KPS1_EviT_T0_PT8_S7_lSA_S7_lS8_PT9_S7_li,@function
_ZL37rocblas_syrkx_herkx_restricted_kernelIl19rocblas_complex_numIdELi16ELi32ELi8ELb0ELb0ELc84ELc76EKPKS1_KPS1_EviT_T0_PT8_S7_lSA_S7_lS8_PT9_S7_li: ; @_ZL37rocblas_syrkx_herkx_restricted_kernelIl19rocblas_complex_numIdELi16ELi32ELi8ELb0ELb0ELc84ELc76EKPKS1_KPS1_EviT_T0_PT8_S7_lSA_S7_lS8_PT9_S7_li
; %bb.0:
	s_load_dwordx8 s[12:19], s[4:5], 0x50
	s_load_dwordx8 s[20:27], s[4:5], 0x8
	s_load_dwordx2 s[0:1], s[4:5], 0x28
	s_mov_b32 s9, 0
	s_lshl_b64 s[2:3], s[8:9], 3
	s_waitcnt lgkmcnt(0)
	s_add_u32 s8, s16, s2
	s_addc_u32 s9, s17, s3
	s_load_dwordx2 s[8:9], s[8:9], 0x0
	v_cmp_lt_i64_e64 s[10:11], s[20:21], 1
	s_lshl_b32 s6, s6, 5
	s_lshl_b32 s7, s7, 5
	s_and_b64 vcc, exec, s[10:11]
	s_cbranch_vccnz .LBB1649_3
; %bb.1:
	s_load_dwordx4 s[28:31], s[4:5], 0x38
	v_lshl_add_u32 v7, v1, 4, v0
	v_lshrrev_b32_e32 v8, 3, v7
	v_add_u32_e32 v4, s7, v8
	v_and_b32_e32 v2, 7, v0
	v_ashrrev_i32_e32 v5, 31, v4
	v_mov_b32_e32 v3, 0
	s_waitcnt lgkmcnt(0)
	v_mul_lo_u32 v9, s30, v5
	v_mul_lo_u32 v10, s31, v4
	v_mad_u64_u32 v[4:5], s[16:17], s30, v4, v[2:3]
	v_and_b32_e32 v11, 31, v7
	v_lshlrev_b32_e32 v2, 4, v2
	v_lshl_or_b32 v2, v8, 7, v2
	v_add_u32_e32 v8, s6, v11
	v_lshrrev_b32_e32 v6, 5, v7
	v_mov_b32_e32 v7, v3
	v_lshlrev_b32_e32 v3, 4, v11
	v_add_u32_e32 v23, 0x1000, v2
	v_ashrrev_i32_e32 v2, 31, v8
	s_add_u32 s10, s26, s2
	v_add3_u32 v5, v10, v5, v9
	v_lshl_or_b32 v22, v6, 9, v3
	v_mul_lo_u32 v9, s0, v2
	v_mad_u64_u32 v[2:3], s[16:17], s0, v8, v[6:7]
	v_mul_lo_u32 v6, s1, v8
	s_addc_u32 s11, s27, s3
	s_load_dwordx2 s[10:11], s[10:11], 0x0
	s_add_u32 s2, s28, s2
	s_addc_u32 s3, s29, s3
	s_load_dwordx2 s[2:3], s[2:3], 0x0
	v_add3_u32 v3, v6, v3, v9
	v_lshlrev_b64 v[2:3], 4, v[2:3]
	s_waitcnt lgkmcnt(0)
	v_mov_b32_e32 v6, s11
	v_add_co_u32_e32 v2, vcc, s10, v2
	v_lshlrev_b64 v[4:5], 4, v[4:5]
	v_addc_co_u32_e32 v3, vcc, v6, v3, vcc
	v_mov_b32_e32 v7, 0x1000
	v_mov_b32_e32 v6, s3
	v_add_co_u32_e32 v4, vcc, s2, v4
	v_lshl_add_u32 v25, v1, 7, v7
	v_addc_co_u32_e32 v5, vcc, v6, v5, vcc
	v_mov_b32_e32 v12, 0
	v_mov_b32_e32 v8, 0
	;; [unrolled: 1-line block ×8, first 2 shown]
	v_lshlrev_b32_e32 v24, 4, v0
	v_mov_b32_e32 v13, 0
	v_mov_b32_e32 v9, 0
	v_mov_b32_e32 v17, 0
	v_mov_b32_e32 v15, 0
	v_mov_b32_e32 v11, 0
	v_mov_b32_e32 v7, 0
	v_mov_b32_e32 v21, 0
	v_mov_b32_e32 v19, 0
	s_mov_b64 s[0:1], 0
.LBB1649_2:                             ; =>This Inner Loop Header: Depth=1
	flat_load_dwordx4 v[26:29], v[2:3]
	s_add_u32 s0, s0, 8
	v_add_co_u32_e32 v2, vcc, 0x80, v2
	s_addc_u32 s1, s1, 0
	v_addc_co_u32_e32 v3, vcc, 0, v3, vcc
	s_waitcnt vmcnt(0) lgkmcnt(0)
	ds_write_b128 v22, v[26:29]
	flat_load_dwordx4 v[26:29], v[4:5]
	v_add_co_u32_e32 v4, vcc, 0x80, v4
	v_addc_co_u32_e32 v5, vcc, 0, v5, vcc
	s_waitcnt vmcnt(0) lgkmcnt(0)
	ds_write_b128 v23, v[26:29]
	s_waitcnt lgkmcnt(0)
	s_barrier
	ds_read_b128 v[26:29], v25
	ds_read_b128 v[30:33], v25 offset:16
	ds_read_b128 v[34:37], v25 offset:32
	;; [unrolled: 1-line block ×3, first 2 shown]
	ds_read_b128 v[42:45], v24
	s_waitcnt lgkmcnt(0)
	v_mul_f64 v[46:47], v[28:29], v[44:45]
	v_mul_f64 v[48:49], v[26:27], v[44:45]
	v_fma_f64 v[46:47], v[26:27], v[42:43], -v[46:47]
	v_fma_f64 v[48:49], v[28:29], v[42:43], v[48:49]
	v_add_f64 v[46:47], v[18:19], v[46:47]
	v_add_f64 v[48:49], v[48:49], v[20:21]
	ds_read_b128 v[18:21], v24 offset:256
	s_waitcnt lgkmcnt(0)
	v_mul_f64 v[50:51], v[28:29], v[20:21]
	v_fma_f64 v[50:51], v[26:27], v[18:19], -v[50:51]
	v_mul_f64 v[26:27], v[26:27], v[20:21]
	v_add_f64 v[50:51], v[6:7], v[50:51]
	v_fma_f64 v[26:27], v[28:29], v[18:19], v[26:27]
	v_add_f64 v[52:53], v[26:27], v[10:11]
	ds_read_b128 v[26:29], v25 offset:2048
	s_waitcnt lgkmcnt(0)
	v_mul_f64 v[6:7], v[28:29], v[44:45]
	v_mul_f64 v[10:11], v[26:27], v[44:45]
	v_fma_f64 v[6:7], v[26:27], v[42:43], -v[6:7]
	v_fma_f64 v[10:11], v[28:29], v[42:43], v[10:11]
	v_add_f64 v[42:43], v[14:15], v[6:7]
	v_mul_f64 v[6:7], v[28:29], v[20:21]
	v_add_f64 v[44:45], v[10:11], v[16:17]
	v_mul_f64 v[10:11], v[26:27], v[20:21]
	v_fma_f64 v[6:7], v[26:27], v[18:19], -v[6:7]
	v_fma_f64 v[10:11], v[28:29], v[18:19], v[10:11]
	v_add_f64 v[18:19], v[8:9], v[6:7]
	ds_read_b128 v[6:9], v24 offset:512
	v_add_f64 v[20:21], v[10:11], v[12:13]
	s_waitcnt lgkmcnt(0)
	v_mul_f64 v[10:11], v[32:33], v[8:9]
	v_mul_f64 v[12:13], v[30:31], v[8:9]
	v_fma_f64 v[10:11], v[30:31], v[6:7], -v[10:11]
	v_fma_f64 v[12:13], v[32:33], v[6:7], v[12:13]
	v_add_f64 v[26:27], v[46:47], v[10:11]
	v_add_f64 v[28:29], v[12:13], v[48:49]
	ds_read_b128 v[10:13], v24 offset:768
	s_waitcnt lgkmcnt(0)
	v_mul_f64 v[14:15], v[32:33], v[12:13]
	v_mul_f64 v[16:17], v[30:31], v[12:13]
	v_fma_f64 v[14:15], v[30:31], v[10:11], -v[14:15]
	v_fma_f64 v[16:17], v[32:33], v[10:11], v[16:17]
	v_add_f64 v[30:31], v[50:51], v[14:15]
	v_add_f64 v[32:33], v[16:17], v[52:53]
	ds_read_b128 v[14:17], v25 offset:2064
	s_waitcnt lgkmcnt(0)
	v_mul_f64 v[46:47], v[16:17], v[8:9]
	v_mul_f64 v[8:9], v[14:15], v[8:9]
	v_fma_f64 v[46:47], v[14:15], v[6:7], -v[46:47]
	v_fma_f64 v[6:7], v[16:17], v[6:7], v[8:9]
	v_mul_f64 v[8:9], v[14:15], v[12:13]
	v_add_f64 v[42:43], v[42:43], v[46:47]
	v_add_f64 v[44:45], v[6:7], v[44:45]
	v_mul_f64 v[6:7], v[16:17], v[12:13]
	v_fma_f64 v[8:9], v[16:17], v[10:11], v[8:9]
	v_fma_f64 v[6:7], v[14:15], v[10:11], -v[6:7]
	v_add_f64 v[20:21], v[8:9], v[20:21]
	v_add_f64 v[18:19], v[18:19], v[6:7]
	ds_read_b128 v[6:9], v24 offset:1024
	s_waitcnt lgkmcnt(0)
	v_mul_f64 v[10:11], v[36:37], v[8:9]
	v_mul_f64 v[12:13], v[34:35], v[8:9]
	v_fma_f64 v[10:11], v[34:35], v[6:7], -v[10:11]
	v_fma_f64 v[12:13], v[36:37], v[6:7], v[12:13]
	v_add_f64 v[26:27], v[26:27], v[10:11]
	v_add_f64 v[28:29], v[12:13], v[28:29]
	ds_read_b128 v[10:13], v24 offset:1280
	s_waitcnt lgkmcnt(0)
	v_mul_f64 v[14:15], v[36:37], v[12:13]
	v_mul_f64 v[16:17], v[34:35], v[12:13]
	v_fma_f64 v[14:15], v[34:35], v[10:11], -v[14:15]
	v_fma_f64 v[16:17], v[36:37], v[10:11], v[16:17]
	v_add_f64 v[30:31], v[30:31], v[14:15]
	v_add_f64 v[32:33], v[16:17], v[32:33]
	ds_read_b128 v[14:17], v25 offset:2080
	s_waitcnt lgkmcnt(0)
	v_mul_f64 v[34:35], v[16:17], v[8:9]
	v_mul_f64 v[8:9], v[14:15], v[8:9]
	v_fma_f64 v[34:35], v[14:15], v[6:7], -v[34:35]
	v_fma_f64 v[6:7], v[16:17], v[6:7], v[8:9]
	v_mul_f64 v[8:9], v[14:15], v[12:13]
	v_add_f64 v[34:35], v[42:43], v[34:35]
	v_add_f64 v[36:37], v[6:7], v[44:45]
	v_mul_f64 v[6:7], v[16:17], v[12:13]
	v_fma_f64 v[8:9], v[16:17], v[10:11], v[8:9]
	v_fma_f64 v[6:7], v[14:15], v[10:11], -v[6:7]
	v_add_f64 v[20:21], v[8:9], v[20:21]
	v_add_f64 v[18:19], v[18:19], v[6:7]
	ds_read_b128 v[6:9], v24 offset:1536
	;; [unrolled: 30-line block ×3, first 2 shown]
	ds_read_b128 v[10:13], v24 offset:2048
	s_waitcnt lgkmcnt(0)
	v_mul_f64 v[14:15], v[8:9], v[12:13]
	v_mul_f64 v[16:17], v[6:7], v[12:13]
	v_fma_f64 v[14:15], v[6:7], v[10:11], -v[14:15]
	v_fma_f64 v[16:17], v[8:9], v[10:11], v[16:17]
	v_add_f64 v[26:27], v[26:27], v[14:15]
	v_add_f64 v[28:29], v[16:17], v[28:29]
	ds_read_b128 v[14:17], v24 offset:2304
	s_waitcnt lgkmcnt(0)
	v_mul_f64 v[38:39], v[8:9], v[16:17]
	v_fma_f64 v[38:39], v[6:7], v[14:15], -v[38:39]
	v_mul_f64 v[6:7], v[6:7], v[16:17]
	v_add_f64 v[30:31], v[30:31], v[38:39]
	v_fma_f64 v[6:7], v[8:9], v[14:15], v[6:7]
	v_add_f64 v[32:33], v[6:7], v[32:33]
	ds_read_b128 v[6:9], v25 offset:2112
	s_waitcnt lgkmcnt(0)
	v_mul_f64 v[38:39], v[8:9], v[12:13]
	v_mul_f64 v[12:13], v[6:7], v[12:13]
	v_fma_f64 v[38:39], v[6:7], v[10:11], -v[38:39]
	v_fma_f64 v[10:11], v[8:9], v[10:11], v[12:13]
	v_add_f64 v[34:35], v[34:35], v[38:39]
	v_add_f64 v[36:37], v[10:11], v[36:37]
	v_mul_f64 v[10:11], v[8:9], v[16:17]
	v_fma_f64 v[10:11], v[6:7], v[14:15], -v[10:11]
	v_mul_f64 v[6:7], v[6:7], v[16:17]
	v_add_f64 v[18:19], v[18:19], v[10:11]
	v_fma_f64 v[6:7], v[8:9], v[14:15], v[6:7]
	v_add_f64 v[20:21], v[6:7], v[20:21]
	ds_read_b128 v[6:9], v25 offset:80
	ds_read_b128 v[10:13], v24 offset:2560
	s_waitcnt lgkmcnt(0)
	v_mul_f64 v[14:15], v[8:9], v[12:13]
	v_mul_f64 v[16:17], v[6:7], v[12:13]
	v_fma_f64 v[14:15], v[6:7], v[10:11], -v[14:15]
	v_fma_f64 v[16:17], v[8:9], v[10:11], v[16:17]
	v_add_f64 v[26:27], v[26:27], v[14:15]
	v_add_f64 v[28:29], v[16:17], v[28:29]
	ds_read_b128 v[14:17], v24 offset:2816
	s_waitcnt lgkmcnt(0)
	v_mul_f64 v[38:39], v[8:9], v[16:17]
	v_fma_f64 v[38:39], v[6:7], v[14:15], -v[38:39]
	v_mul_f64 v[6:7], v[6:7], v[16:17]
	v_add_f64 v[30:31], v[30:31], v[38:39]
	v_fma_f64 v[6:7], v[8:9], v[14:15], v[6:7]
	v_add_f64 v[32:33], v[6:7], v[32:33]
	ds_read_b128 v[6:9], v25 offset:2128
	s_waitcnt lgkmcnt(0)
	v_mul_f64 v[38:39], v[8:9], v[12:13]
	v_mul_f64 v[12:13], v[6:7], v[12:13]
	v_fma_f64 v[38:39], v[6:7], v[10:11], -v[38:39]
	v_fma_f64 v[10:11], v[8:9], v[10:11], v[12:13]
	v_add_f64 v[34:35], v[34:35], v[38:39]
	v_add_f64 v[36:37], v[10:11], v[36:37]
	v_mul_f64 v[10:11], v[8:9], v[16:17]
	v_fma_f64 v[10:11], v[6:7], v[14:15], -v[10:11]
	v_mul_f64 v[6:7], v[6:7], v[16:17]
	v_add_f64 v[18:19], v[18:19], v[10:11]
	v_fma_f64 v[6:7], v[8:9], v[14:15], v[6:7]
	v_add_f64 v[20:21], v[6:7], v[20:21]
	ds_read_b128 v[6:9], v25 offset:96
	;; [unrolled: 31-line block ×3, first 2 shown]
	ds_read_b128 v[12:15], v24 offset:3584
	s_waitcnt lgkmcnt(0)
	v_mul_f64 v[10:11], v[8:9], v[14:15]
	v_mul_f64 v[16:17], v[6:7], v[14:15]
	v_fma_f64 v[10:11], v[6:7], v[12:13], -v[10:11]
	v_fma_f64 v[16:17], v[8:9], v[12:13], v[16:17]
	v_add_f64 v[18:19], v[26:27], v[10:11]
	v_add_f64 v[20:21], v[16:17], v[28:29]
	ds_read_b128 v[26:29], v24 offset:3840
	s_waitcnt lgkmcnt(0)
	v_mul_f64 v[10:11], v[8:9], v[28:29]
	v_fma_f64 v[10:11], v[6:7], v[26:27], -v[10:11]
	v_mul_f64 v[6:7], v[6:7], v[28:29]
	v_fma_f64 v[8:9], v[8:9], v[26:27], v[6:7]
	v_add_f64 v[6:7], v[30:31], v[10:11]
	v_add_f64 v[10:11], v[8:9], v[32:33]
	ds_read_b128 v[30:33], v25 offset:2160
	s_waitcnt lgkmcnt(0)
	s_barrier
	v_mul_f64 v[8:9], v[32:33], v[14:15]
	v_mul_f64 v[14:15], v[30:31], v[14:15]
	v_fma_f64 v[8:9], v[30:31], v[12:13], -v[8:9]
	v_fma_f64 v[12:13], v[32:33], v[12:13], v[14:15]
	v_add_f64 v[14:15], v[34:35], v[8:9]
	v_add_f64 v[16:17], v[12:13], v[36:37]
	v_mul_f64 v[8:9], v[32:33], v[28:29]
	v_mul_f64 v[12:13], v[30:31], v[28:29]
	v_fma_f64 v[8:9], v[30:31], v[26:27], -v[8:9]
	v_fma_f64 v[12:13], v[32:33], v[26:27], v[12:13]
	v_mov_b32_e32 v27, s1
	v_mov_b32_e32 v26, s0
	v_cmp_le_u64_e32 vcc, s[20:21], v[26:27]
	v_add_f64 v[8:9], v[38:39], v[8:9]
	v_add_f64 v[12:13], v[12:13], v[40:41]
	s_cbranch_vccz .LBB1649_2
	s_branch .LBB1649_4
.LBB1649_3:
	v_mov_b32_e32 v18, 0
	v_mov_b32_e32 v20, 0
	;; [unrolled: 1-line block ×16, first 2 shown]
.LBB1649_4:
	v_add_u32_e32 v4, s7, v1
	v_ashrrev_i32_e32 v1, 31, v4
	v_mul_lo_u32 v3, s18, v1
	v_mul_lo_u32 v5, s19, v4
	v_mad_u64_u32 v[1:2], s[0:1], s18, v4, 0
	s_load_dword s4, s[4:5], 0x0
	v_add_u32_e32 v0, s6, v0
	v_add3_u32 v2, v2, v3, v5
	v_lshlrev_b64 v[1:2], 4, v[1:2]
	s_waitcnt lgkmcnt(0)
	v_mov_b32_e32 v3, s9
	v_add_co_u32_e32 v5, vcc, s8, v1
	v_addc_co_u32_e32 v22, vcc, v3, v2, vcc
	v_cmp_le_i32_e64 s[0:1], v4, v0
	v_cmp_gt_i32_e32 vcc, s4, v0
	s_and_b64 s[0:1], s[0:1], vcc
	s_and_saveexec_b64 s[2:3], s[0:1]
	s_cbranch_execz .LBB1649_6
; %bb.5:
	v_ashrrev_i32_e32 v1, 31, v0
	v_lshlrev_b64 v[1:2], 4, v[0:1]
	v_mul_f64 v[27:28], s[24:25], v[20:21]
	v_add_co_u32_e64 v1, s[0:1], v5, v1
	v_addc_co_u32_e64 v2, s[0:1], v22, v2, s[0:1]
	flat_load_dwordx4 v[23:26], v[1:2]
	v_mul_f64 v[20:21], s[22:23], v[20:21]
	v_fma_f64 v[27:28], s[22:23], v[18:19], -v[27:28]
	v_fma_f64 v[20:21], s[24:25], v[18:19], v[20:21]
	s_waitcnt vmcnt(0) lgkmcnt(0)
	v_mul_f64 v[29:30], s[14:15], v[25:26]
	v_mul_f64 v[25:26], s[12:13], v[25:26]
	v_fma_f64 v[18:19], s[12:13], v[23:24], -v[29:30]
	v_fma_f64 v[23:24], s[14:15], v[23:24], v[25:26]
	v_add_f64 v[18:19], v[27:28], v[18:19]
	v_add_f64 v[20:21], v[20:21], v[23:24]
	flat_store_dwordx4 v[1:2], v[18:21]
.LBB1649_6:
	s_or_b64 exec, exec, s[2:3]
	v_add_u32_e32 v2, 16, v0
	v_cmp_le_i32_e64 s[2:3], v4, v2
	v_cmp_gt_i32_e64 s[0:1], s4, v2
	s_and_b64 s[2:3], s[2:3], s[0:1]
	s_and_saveexec_b64 s[4:5], s[2:3]
	s_cbranch_execz .LBB1649_8
; %bb.7:
	v_ashrrev_i32_e32 v3, 31, v2
	v_lshlrev_b64 v[18:19], 4, v[2:3]
	v_mul_f64 v[25:26], s[24:25], v[10:11]
	v_add_co_u32_e64 v23, s[2:3], v5, v18
	v_addc_co_u32_e64 v24, s[2:3], v22, v19, s[2:3]
	flat_load_dwordx4 v[18:21], v[23:24]
	v_mul_f64 v[10:11], s[22:23], v[10:11]
	v_fma_f64 v[25:26], s[22:23], v[6:7], -v[25:26]
	v_fma_f64 v[5:6], s[24:25], v[6:7], v[10:11]
	s_waitcnt vmcnt(0) lgkmcnt(0)
	v_mul_f64 v[27:28], s[14:15], v[20:21]
	v_mul_f64 v[20:21], s[12:13], v[20:21]
	v_fma_f64 v[10:11], s[12:13], v[18:19], -v[27:28]
	v_fma_f64 v[20:21], s[14:15], v[18:19], v[20:21]
	v_add_f64 v[18:19], v[25:26], v[10:11]
	v_add_f64 v[20:21], v[5:6], v[20:21]
	flat_store_dwordx4 v[23:24], v[18:21]
.LBB1649_8:
	s_or_b64 exec, exec, s[4:5]
	v_add_u32_e32 v3, 16, v4
	v_ashrrev_i32_e32 v1, 31, v3
	v_mul_lo_u32 v6, s19, v3
	v_mad_u64_u32 v[4:5], s[2:3], s18, v3, 0
	v_mul_lo_u32 v1, s18, v1
	v_add3_u32 v5, v5, v1, v6
	v_lshlrev_b64 v[4:5], 4, v[4:5]
	v_mov_b32_e32 v1, s9
	v_add_co_u32_e64 v4, s[2:3], s8, v4
	v_addc_co_u32_e64 v5, s[2:3], v1, v5, s[2:3]
	v_cmp_le_i32_e64 s[2:3], v3, v0
	s_and_b64 s[4:5], s[2:3], vcc
	s_and_saveexec_b64 s[2:3], s[4:5]
	s_cbranch_execz .LBB1649_10
; %bb.9:
	v_ashrrev_i32_e32 v1, 31, v0
	v_lshlrev_b64 v[0:1], 4, v[0:1]
	v_mul_f64 v[6:7], s[24:25], v[16:17]
	v_add_co_u32_e32 v0, vcc, v4, v0
	v_addc_co_u32_e32 v1, vcc, v5, v1, vcc
	flat_load_dwordx4 v[18:21], v[0:1]
	v_mul_f64 v[10:11], s[22:23], v[16:17]
	v_fma_f64 v[6:7], s[22:23], v[14:15], -v[6:7]
	v_fma_f64 v[10:11], s[24:25], v[14:15], v[10:11]
	s_waitcnt vmcnt(0) lgkmcnt(0)
	v_mul_f64 v[16:17], s[14:15], v[20:21]
	v_mul_f64 v[20:21], s[12:13], v[20:21]
	v_fma_f64 v[14:15], s[12:13], v[18:19], -v[16:17]
	v_fma_f64 v[16:17], s[14:15], v[18:19], v[20:21]
	v_add_f64 v[14:15], v[6:7], v[14:15]
	v_add_f64 v[16:17], v[10:11], v[16:17]
	flat_store_dwordx4 v[0:1], v[14:17]
.LBB1649_10:
	s_or_b64 exec, exec, s[2:3]
	v_cmp_le_i32_e32 vcc, v3, v2
	s_and_b64 s[0:1], vcc, s[0:1]
	s_and_saveexec_b64 s[2:3], s[0:1]
	s_cbranch_execz .LBB1649_12
; %bb.11:
	v_ashrrev_i32_e32 v3, 31, v2
	v_lshlrev_b64 v[0:1], 4, v[2:3]
	v_mul_f64 v[6:7], s[24:25], v[12:13]
	v_add_co_u32_e32 v4, vcc, v4, v0
	v_addc_co_u32_e32 v5, vcc, v5, v1, vcc
	flat_load_dwordx4 v[0:3], v[4:5]
	v_mul_f64 v[10:11], s[22:23], v[12:13]
	v_fma_f64 v[6:7], s[22:23], v[8:9], -v[6:7]
	v_fma_f64 v[8:9], s[24:25], v[8:9], v[10:11]
	s_waitcnt vmcnt(0) lgkmcnt(0)
	v_mul_f64 v[12:13], s[14:15], v[2:3]
	v_mul_f64 v[2:3], s[12:13], v[2:3]
	v_fma_f64 v[10:11], s[12:13], v[0:1], -v[12:13]
	v_fma_f64 v[2:3], s[14:15], v[0:1], v[2:3]
	v_add_f64 v[0:1], v[6:7], v[10:11]
	v_add_f64 v[2:3], v[8:9], v[2:3]
	flat_store_dwordx4 v[4:5], v[0:3]
.LBB1649_12:
	s_endpgm
	.section	.rodata,"a",@progbits
	.p2align	6, 0x0
	.amdhsa_kernel _ZL37rocblas_syrkx_herkx_restricted_kernelIl19rocblas_complex_numIdELi16ELi32ELi8ELb0ELb0ELc84ELc76EKPKS1_KPS1_EviT_T0_PT8_S7_lSA_S7_lS8_PT9_S7_li
		.amdhsa_group_segment_fixed_size 8192
		.amdhsa_private_segment_fixed_size 0
		.amdhsa_kernarg_size 124
		.amdhsa_user_sgpr_count 6
		.amdhsa_user_sgpr_private_segment_buffer 1
		.amdhsa_user_sgpr_dispatch_ptr 0
		.amdhsa_user_sgpr_queue_ptr 0
		.amdhsa_user_sgpr_kernarg_segment_ptr 1
		.amdhsa_user_sgpr_dispatch_id 0
		.amdhsa_user_sgpr_flat_scratch_init 0
		.amdhsa_user_sgpr_private_segment_size 0
		.amdhsa_uses_dynamic_stack 0
		.amdhsa_system_sgpr_private_segment_wavefront_offset 0
		.amdhsa_system_sgpr_workgroup_id_x 1
		.amdhsa_system_sgpr_workgroup_id_y 1
		.amdhsa_system_sgpr_workgroup_id_z 1
		.amdhsa_system_sgpr_workgroup_info 0
		.amdhsa_system_vgpr_workitem_id 1
		.amdhsa_next_free_vgpr 54
		.amdhsa_next_free_sgpr 61
		.amdhsa_reserve_vcc 1
		.amdhsa_reserve_flat_scratch 0
		.amdhsa_float_round_mode_32 0
		.amdhsa_float_round_mode_16_64 0
		.amdhsa_float_denorm_mode_32 3
		.amdhsa_float_denorm_mode_16_64 3
		.amdhsa_dx10_clamp 1
		.amdhsa_ieee_mode 1
		.amdhsa_fp16_overflow 0
		.amdhsa_exception_fp_ieee_invalid_op 0
		.amdhsa_exception_fp_denorm_src 0
		.amdhsa_exception_fp_ieee_div_zero 0
		.amdhsa_exception_fp_ieee_overflow 0
		.amdhsa_exception_fp_ieee_underflow 0
		.amdhsa_exception_fp_ieee_inexact 0
		.amdhsa_exception_int_div_zero 0
	.end_amdhsa_kernel
	.section	.text._ZL37rocblas_syrkx_herkx_restricted_kernelIl19rocblas_complex_numIdELi16ELi32ELi8ELb0ELb0ELc84ELc76EKPKS1_KPS1_EviT_T0_PT8_S7_lSA_S7_lS8_PT9_S7_li,"axG",@progbits,_ZL37rocblas_syrkx_herkx_restricted_kernelIl19rocblas_complex_numIdELi16ELi32ELi8ELb0ELb0ELc84ELc76EKPKS1_KPS1_EviT_T0_PT8_S7_lSA_S7_lS8_PT9_S7_li,comdat
.Lfunc_end1649:
	.size	_ZL37rocblas_syrkx_herkx_restricted_kernelIl19rocblas_complex_numIdELi16ELi32ELi8ELb0ELb0ELc84ELc76EKPKS1_KPS1_EviT_T0_PT8_S7_lSA_S7_lS8_PT9_S7_li, .Lfunc_end1649-_ZL37rocblas_syrkx_herkx_restricted_kernelIl19rocblas_complex_numIdELi16ELi32ELi8ELb0ELb0ELc84ELc76EKPKS1_KPS1_EviT_T0_PT8_S7_lSA_S7_lS8_PT9_S7_li
                                        ; -- End function
	.set _ZL37rocblas_syrkx_herkx_restricted_kernelIl19rocblas_complex_numIdELi16ELi32ELi8ELb0ELb0ELc84ELc76EKPKS1_KPS1_EviT_T0_PT8_S7_lSA_S7_lS8_PT9_S7_li.num_vgpr, 54
	.set _ZL37rocblas_syrkx_herkx_restricted_kernelIl19rocblas_complex_numIdELi16ELi32ELi8ELb0ELb0ELc84ELc76EKPKS1_KPS1_EviT_T0_PT8_S7_lSA_S7_lS8_PT9_S7_li.num_agpr, 0
	.set _ZL37rocblas_syrkx_herkx_restricted_kernelIl19rocblas_complex_numIdELi16ELi32ELi8ELb0ELb0ELc84ELc76EKPKS1_KPS1_EviT_T0_PT8_S7_lSA_S7_lS8_PT9_S7_li.numbered_sgpr, 32
	.set _ZL37rocblas_syrkx_herkx_restricted_kernelIl19rocblas_complex_numIdELi16ELi32ELi8ELb0ELb0ELc84ELc76EKPKS1_KPS1_EviT_T0_PT8_S7_lSA_S7_lS8_PT9_S7_li.num_named_barrier, 0
	.set _ZL37rocblas_syrkx_herkx_restricted_kernelIl19rocblas_complex_numIdELi16ELi32ELi8ELb0ELb0ELc84ELc76EKPKS1_KPS1_EviT_T0_PT8_S7_lSA_S7_lS8_PT9_S7_li.private_seg_size, 0
	.set _ZL37rocblas_syrkx_herkx_restricted_kernelIl19rocblas_complex_numIdELi16ELi32ELi8ELb0ELb0ELc84ELc76EKPKS1_KPS1_EviT_T0_PT8_S7_lSA_S7_lS8_PT9_S7_li.uses_vcc, 1
	.set _ZL37rocblas_syrkx_herkx_restricted_kernelIl19rocblas_complex_numIdELi16ELi32ELi8ELb0ELb0ELc84ELc76EKPKS1_KPS1_EviT_T0_PT8_S7_lSA_S7_lS8_PT9_S7_li.uses_flat_scratch, 0
	.set _ZL37rocblas_syrkx_herkx_restricted_kernelIl19rocblas_complex_numIdELi16ELi32ELi8ELb0ELb0ELc84ELc76EKPKS1_KPS1_EviT_T0_PT8_S7_lSA_S7_lS8_PT9_S7_li.has_dyn_sized_stack, 0
	.set _ZL37rocblas_syrkx_herkx_restricted_kernelIl19rocblas_complex_numIdELi16ELi32ELi8ELb0ELb0ELc84ELc76EKPKS1_KPS1_EviT_T0_PT8_S7_lSA_S7_lS8_PT9_S7_li.has_recursion, 0
	.set _ZL37rocblas_syrkx_herkx_restricted_kernelIl19rocblas_complex_numIdELi16ELi32ELi8ELb0ELb0ELc84ELc76EKPKS1_KPS1_EviT_T0_PT8_S7_lSA_S7_lS8_PT9_S7_li.has_indirect_call, 0
	.section	.AMDGPU.csdata,"",@progbits
; Kernel info:
; codeLenInByte = 3200
; TotalNumSgprs: 36
; NumVgprs: 54
; ScratchSize: 0
; MemoryBound: 0
; FloatMode: 240
; IeeeMode: 1
; LDSByteSize: 8192 bytes/workgroup (compile time only)
; SGPRBlocks: 8
; VGPRBlocks: 13
; NumSGPRsForWavesPerEU: 65
; NumVGPRsForWavesPerEU: 54
; Occupancy: 4
; WaveLimiterHint : 1
; COMPUTE_PGM_RSRC2:SCRATCH_EN: 0
; COMPUTE_PGM_RSRC2:USER_SGPR: 6
; COMPUTE_PGM_RSRC2:TRAP_HANDLER: 0
; COMPUTE_PGM_RSRC2:TGID_X_EN: 1
; COMPUTE_PGM_RSRC2:TGID_Y_EN: 1
; COMPUTE_PGM_RSRC2:TGID_Z_EN: 1
; COMPUTE_PGM_RSRC2:TIDIG_COMP_CNT: 1
	.section	.text._ZL37rocblas_syrkx_herkx_restricted_kernelIl19rocblas_complex_numIdELi16ELi32ELi8ELb0ELb0ELc67ELc76EKPKS1_KPS1_EviT_T0_PT8_S7_lSA_S7_lS8_PT9_S7_li,"axG",@progbits,_ZL37rocblas_syrkx_herkx_restricted_kernelIl19rocblas_complex_numIdELi16ELi32ELi8ELb0ELb0ELc67ELc76EKPKS1_KPS1_EviT_T0_PT8_S7_lSA_S7_lS8_PT9_S7_li,comdat
	.globl	_ZL37rocblas_syrkx_herkx_restricted_kernelIl19rocblas_complex_numIdELi16ELi32ELi8ELb0ELb0ELc67ELc76EKPKS1_KPS1_EviT_T0_PT8_S7_lSA_S7_lS8_PT9_S7_li ; -- Begin function _ZL37rocblas_syrkx_herkx_restricted_kernelIl19rocblas_complex_numIdELi16ELi32ELi8ELb0ELb0ELc67ELc76EKPKS1_KPS1_EviT_T0_PT8_S7_lSA_S7_lS8_PT9_S7_li
	.p2align	8
	.type	_ZL37rocblas_syrkx_herkx_restricted_kernelIl19rocblas_complex_numIdELi16ELi32ELi8ELb0ELb0ELc67ELc76EKPKS1_KPS1_EviT_T0_PT8_S7_lSA_S7_lS8_PT9_S7_li,@function
_ZL37rocblas_syrkx_herkx_restricted_kernelIl19rocblas_complex_numIdELi16ELi32ELi8ELb0ELb0ELc67ELc76EKPKS1_KPS1_EviT_T0_PT8_S7_lSA_S7_lS8_PT9_S7_li: ; @_ZL37rocblas_syrkx_herkx_restricted_kernelIl19rocblas_complex_numIdELi16ELi32ELi8ELb0ELb0ELc67ELc76EKPKS1_KPS1_EviT_T0_PT8_S7_lSA_S7_lS8_PT9_S7_li
; %bb.0:
	s_load_dwordx8 s[12:19], s[4:5], 0x50
	s_load_dwordx8 s[20:27], s[4:5], 0x8
	s_load_dwordx2 s[0:1], s[4:5], 0x28
	s_mov_b32 s9, 0
	s_lshl_b64 s[2:3], s[8:9], 3
	s_waitcnt lgkmcnt(0)
	s_add_u32 s8, s16, s2
	s_addc_u32 s9, s17, s3
	s_load_dwordx2 s[8:9], s[8:9], 0x0
	v_cmp_lt_i64_e64 s[10:11], s[20:21], 1
	s_lshl_b32 s6, s6, 5
	s_lshl_b32 s7, s7, 5
	s_and_b64 vcc, exec, s[10:11]
	s_cbranch_vccnz .LBB1650_3
; %bb.1:
	s_load_dwordx4 s[28:31], s[4:5], 0x38
	v_lshl_add_u32 v7, v1, 4, v0
	v_lshrrev_b32_e32 v8, 3, v7
	v_add_u32_e32 v4, s7, v8
	v_and_b32_e32 v2, 7, v0
	v_ashrrev_i32_e32 v5, 31, v4
	v_mov_b32_e32 v3, 0
	s_waitcnt lgkmcnt(0)
	v_mul_lo_u32 v9, s30, v5
	v_mul_lo_u32 v10, s31, v4
	v_mad_u64_u32 v[4:5], s[16:17], s30, v4, v[2:3]
	v_and_b32_e32 v11, 31, v7
	v_lshlrev_b32_e32 v2, 4, v2
	v_lshl_or_b32 v2, v8, 7, v2
	v_add_u32_e32 v8, s6, v11
	v_lshrrev_b32_e32 v6, 5, v7
	v_mov_b32_e32 v7, v3
	v_lshlrev_b32_e32 v3, 4, v11
	v_add_u32_e32 v23, 0x1000, v2
	v_ashrrev_i32_e32 v2, 31, v8
	s_add_u32 s10, s26, s2
	v_add3_u32 v5, v10, v5, v9
	v_lshl_or_b32 v22, v6, 9, v3
	v_mul_lo_u32 v9, s0, v2
	v_mad_u64_u32 v[2:3], s[16:17], s0, v8, v[6:7]
	v_mul_lo_u32 v6, s1, v8
	s_addc_u32 s11, s27, s3
	s_load_dwordx2 s[10:11], s[10:11], 0x0
	s_add_u32 s2, s28, s2
	s_addc_u32 s3, s29, s3
	s_load_dwordx2 s[2:3], s[2:3], 0x0
	v_add3_u32 v3, v6, v3, v9
	v_lshlrev_b64 v[2:3], 4, v[2:3]
	s_waitcnt lgkmcnt(0)
	v_mov_b32_e32 v6, s11
	v_add_co_u32_e32 v2, vcc, s10, v2
	v_lshlrev_b64 v[4:5], 4, v[4:5]
	v_addc_co_u32_e32 v3, vcc, v6, v3, vcc
	v_mov_b32_e32 v7, 0x1000
	v_mov_b32_e32 v6, s3
	v_add_co_u32_e32 v4, vcc, s2, v4
	v_lshl_add_u32 v25, v1, 7, v7
	v_addc_co_u32_e32 v5, vcc, v6, v5, vcc
	v_mov_b32_e32 v12, 0
	v_mov_b32_e32 v8, 0
	;; [unrolled: 1-line block ×8, first 2 shown]
	v_lshlrev_b32_e32 v24, 4, v0
	v_mov_b32_e32 v13, 0
	v_mov_b32_e32 v9, 0
	;; [unrolled: 1-line block ×8, first 2 shown]
	s_mov_b64 s[0:1], 0
.LBB1650_2:                             ; =>This Inner Loop Header: Depth=1
	flat_load_dwordx4 v[26:29], v[2:3]
	s_add_u32 s0, s0, 8
	v_add_co_u32_e32 v2, vcc, 0x80, v2
	s_addc_u32 s1, s1, 0
	v_addc_co_u32_e32 v3, vcc, 0, v3, vcc
	s_waitcnt vmcnt(0) lgkmcnt(0)
	ds_write_b128 v22, v[26:29]
	flat_load_dwordx4 v[26:29], v[4:5]
	v_add_co_u32_e32 v4, vcc, 0x80, v4
	v_addc_co_u32_e32 v5, vcc, 0, v5, vcc
	s_waitcnt vmcnt(0) lgkmcnt(0)
	ds_write_b128 v23, v[26:29]
	s_waitcnt lgkmcnt(0)
	s_barrier
	ds_read_b128 v[26:29], v25
	ds_read_b128 v[30:33], v25 offset:16
	ds_read_b128 v[34:37], v25 offset:32
	;; [unrolled: 1-line block ×3, first 2 shown]
	ds_read_b128 v[42:45], v24
	s_waitcnt lgkmcnt(0)
	v_mul_f64 v[46:47], v[28:29], v[44:45]
	v_mul_f64 v[48:49], v[26:27], v[44:45]
	v_fma_f64 v[46:47], v[26:27], v[42:43], -v[46:47]
	v_fma_f64 v[48:49], v[28:29], v[42:43], v[48:49]
	v_add_f64 v[46:47], v[18:19], v[46:47]
	v_add_f64 v[48:49], v[48:49], v[20:21]
	ds_read_b128 v[18:21], v24 offset:256
	s_waitcnt lgkmcnt(0)
	v_mul_f64 v[50:51], v[28:29], v[20:21]
	v_fma_f64 v[50:51], v[26:27], v[18:19], -v[50:51]
	v_mul_f64 v[26:27], v[26:27], v[20:21]
	v_add_f64 v[50:51], v[6:7], v[50:51]
	v_fma_f64 v[26:27], v[28:29], v[18:19], v[26:27]
	v_add_f64 v[52:53], v[26:27], v[10:11]
	ds_read_b128 v[26:29], v25 offset:2048
	s_waitcnt lgkmcnt(0)
	v_mul_f64 v[6:7], v[28:29], v[44:45]
	v_mul_f64 v[10:11], v[26:27], v[44:45]
	v_fma_f64 v[6:7], v[26:27], v[42:43], -v[6:7]
	v_fma_f64 v[10:11], v[28:29], v[42:43], v[10:11]
	v_add_f64 v[42:43], v[14:15], v[6:7]
	v_mul_f64 v[6:7], v[28:29], v[20:21]
	v_add_f64 v[44:45], v[10:11], v[16:17]
	v_mul_f64 v[10:11], v[26:27], v[20:21]
	v_fma_f64 v[6:7], v[26:27], v[18:19], -v[6:7]
	v_fma_f64 v[10:11], v[28:29], v[18:19], v[10:11]
	v_add_f64 v[18:19], v[8:9], v[6:7]
	ds_read_b128 v[6:9], v24 offset:512
	v_add_f64 v[20:21], v[10:11], v[12:13]
	s_waitcnt lgkmcnt(0)
	v_mul_f64 v[10:11], v[32:33], v[8:9]
	v_mul_f64 v[12:13], v[30:31], v[8:9]
	v_fma_f64 v[10:11], v[30:31], v[6:7], -v[10:11]
	v_fma_f64 v[12:13], v[32:33], v[6:7], v[12:13]
	v_add_f64 v[26:27], v[46:47], v[10:11]
	v_add_f64 v[28:29], v[12:13], v[48:49]
	ds_read_b128 v[10:13], v24 offset:768
	s_waitcnt lgkmcnt(0)
	v_mul_f64 v[14:15], v[32:33], v[12:13]
	v_mul_f64 v[16:17], v[30:31], v[12:13]
	v_fma_f64 v[14:15], v[30:31], v[10:11], -v[14:15]
	v_fma_f64 v[16:17], v[32:33], v[10:11], v[16:17]
	v_add_f64 v[30:31], v[50:51], v[14:15]
	v_add_f64 v[32:33], v[16:17], v[52:53]
	ds_read_b128 v[14:17], v25 offset:2064
	s_waitcnt lgkmcnt(0)
	v_mul_f64 v[46:47], v[16:17], v[8:9]
	v_mul_f64 v[8:9], v[14:15], v[8:9]
	v_fma_f64 v[46:47], v[14:15], v[6:7], -v[46:47]
	v_fma_f64 v[6:7], v[16:17], v[6:7], v[8:9]
	v_mul_f64 v[8:9], v[14:15], v[12:13]
	v_add_f64 v[42:43], v[42:43], v[46:47]
	v_add_f64 v[44:45], v[6:7], v[44:45]
	v_mul_f64 v[6:7], v[16:17], v[12:13]
	v_fma_f64 v[8:9], v[16:17], v[10:11], v[8:9]
	v_fma_f64 v[6:7], v[14:15], v[10:11], -v[6:7]
	v_add_f64 v[20:21], v[8:9], v[20:21]
	v_add_f64 v[18:19], v[18:19], v[6:7]
	ds_read_b128 v[6:9], v24 offset:1024
	s_waitcnt lgkmcnt(0)
	v_mul_f64 v[10:11], v[36:37], v[8:9]
	v_mul_f64 v[12:13], v[34:35], v[8:9]
	v_fma_f64 v[10:11], v[34:35], v[6:7], -v[10:11]
	v_fma_f64 v[12:13], v[36:37], v[6:7], v[12:13]
	v_add_f64 v[26:27], v[26:27], v[10:11]
	v_add_f64 v[28:29], v[12:13], v[28:29]
	ds_read_b128 v[10:13], v24 offset:1280
	s_waitcnt lgkmcnt(0)
	v_mul_f64 v[14:15], v[36:37], v[12:13]
	v_mul_f64 v[16:17], v[34:35], v[12:13]
	v_fma_f64 v[14:15], v[34:35], v[10:11], -v[14:15]
	v_fma_f64 v[16:17], v[36:37], v[10:11], v[16:17]
	v_add_f64 v[30:31], v[30:31], v[14:15]
	v_add_f64 v[32:33], v[16:17], v[32:33]
	ds_read_b128 v[14:17], v25 offset:2080
	s_waitcnt lgkmcnt(0)
	v_mul_f64 v[34:35], v[16:17], v[8:9]
	v_mul_f64 v[8:9], v[14:15], v[8:9]
	v_fma_f64 v[34:35], v[14:15], v[6:7], -v[34:35]
	v_fma_f64 v[6:7], v[16:17], v[6:7], v[8:9]
	v_mul_f64 v[8:9], v[14:15], v[12:13]
	v_add_f64 v[34:35], v[42:43], v[34:35]
	v_add_f64 v[36:37], v[6:7], v[44:45]
	v_mul_f64 v[6:7], v[16:17], v[12:13]
	v_fma_f64 v[8:9], v[16:17], v[10:11], v[8:9]
	v_fma_f64 v[6:7], v[14:15], v[10:11], -v[6:7]
	v_add_f64 v[20:21], v[8:9], v[20:21]
	v_add_f64 v[18:19], v[18:19], v[6:7]
	ds_read_b128 v[6:9], v24 offset:1536
	;; [unrolled: 30-line block ×3, first 2 shown]
	ds_read_b128 v[10:13], v24 offset:2048
	s_waitcnt lgkmcnt(0)
	v_mul_f64 v[14:15], v[8:9], v[12:13]
	v_mul_f64 v[16:17], v[6:7], v[12:13]
	v_fma_f64 v[14:15], v[6:7], v[10:11], -v[14:15]
	v_fma_f64 v[16:17], v[8:9], v[10:11], v[16:17]
	v_add_f64 v[26:27], v[26:27], v[14:15]
	v_add_f64 v[28:29], v[16:17], v[28:29]
	ds_read_b128 v[14:17], v24 offset:2304
	s_waitcnt lgkmcnt(0)
	v_mul_f64 v[38:39], v[8:9], v[16:17]
	v_fma_f64 v[38:39], v[6:7], v[14:15], -v[38:39]
	v_mul_f64 v[6:7], v[6:7], v[16:17]
	v_add_f64 v[30:31], v[30:31], v[38:39]
	v_fma_f64 v[6:7], v[8:9], v[14:15], v[6:7]
	v_add_f64 v[32:33], v[6:7], v[32:33]
	ds_read_b128 v[6:9], v25 offset:2112
	s_waitcnt lgkmcnt(0)
	v_mul_f64 v[38:39], v[8:9], v[12:13]
	v_mul_f64 v[12:13], v[6:7], v[12:13]
	v_fma_f64 v[38:39], v[6:7], v[10:11], -v[38:39]
	v_fma_f64 v[10:11], v[8:9], v[10:11], v[12:13]
	v_add_f64 v[34:35], v[34:35], v[38:39]
	v_add_f64 v[36:37], v[10:11], v[36:37]
	v_mul_f64 v[10:11], v[8:9], v[16:17]
	v_fma_f64 v[10:11], v[6:7], v[14:15], -v[10:11]
	v_mul_f64 v[6:7], v[6:7], v[16:17]
	v_add_f64 v[18:19], v[18:19], v[10:11]
	v_fma_f64 v[6:7], v[8:9], v[14:15], v[6:7]
	v_add_f64 v[20:21], v[6:7], v[20:21]
	ds_read_b128 v[6:9], v25 offset:80
	ds_read_b128 v[10:13], v24 offset:2560
	s_waitcnt lgkmcnt(0)
	v_mul_f64 v[14:15], v[8:9], v[12:13]
	v_mul_f64 v[16:17], v[6:7], v[12:13]
	v_fma_f64 v[14:15], v[6:7], v[10:11], -v[14:15]
	v_fma_f64 v[16:17], v[8:9], v[10:11], v[16:17]
	v_add_f64 v[26:27], v[26:27], v[14:15]
	v_add_f64 v[28:29], v[16:17], v[28:29]
	ds_read_b128 v[14:17], v24 offset:2816
	s_waitcnt lgkmcnt(0)
	v_mul_f64 v[38:39], v[8:9], v[16:17]
	v_fma_f64 v[38:39], v[6:7], v[14:15], -v[38:39]
	v_mul_f64 v[6:7], v[6:7], v[16:17]
	v_add_f64 v[30:31], v[30:31], v[38:39]
	v_fma_f64 v[6:7], v[8:9], v[14:15], v[6:7]
	v_add_f64 v[32:33], v[6:7], v[32:33]
	ds_read_b128 v[6:9], v25 offset:2128
	s_waitcnt lgkmcnt(0)
	v_mul_f64 v[38:39], v[8:9], v[12:13]
	v_mul_f64 v[12:13], v[6:7], v[12:13]
	v_fma_f64 v[38:39], v[6:7], v[10:11], -v[38:39]
	v_fma_f64 v[10:11], v[8:9], v[10:11], v[12:13]
	v_add_f64 v[34:35], v[34:35], v[38:39]
	v_add_f64 v[36:37], v[10:11], v[36:37]
	v_mul_f64 v[10:11], v[8:9], v[16:17]
	v_fma_f64 v[10:11], v[6:7], v[14:15], -v[10:11]
	v_mul_f64 v[6:7], v[6:7], v[16:17]
	v_add_f64 v[18:19], v[18:19], v[10:11]
	v_fma_f64 v[6:7], v[8:9], v[14:15], v[6:7]
	v_add_f64 v[20:21], v[6:7], v[20:21]
	ds_read_b128 v[6:9], v25 offset:96
	;; [unrolled: 31-line block ×3, first 2 shown]
	ds_read_b128 v[12:15], v24 offset:3584
	s_waitcnt lgkmcnt(0)
	v_mul_f64 v[10:11], v[8:9], v[14:15]
	v_mul_f64 v[16:17], v[6:7], v[14:15]
	v_fma_f64 v[10:11], v[6:7], v[12:13], -v[10:11]
	v_fma_f64 v[16:17], v[8:9], v[12:13], v[16:17]
	v_add_f64 v[18:19], v[26:27], v[10:11]
	v_add_f64 v[20:21], v[16:17], v[28:29]
	ds_read_b128 v[26:29], v24 offset:3840
	s_waitcnt lgkmcnt(0)
	v_mul_f64 v[10:11], v[8:9], v[28:29]
	v_fma_f64 v[10:11], v[6:7], v[26:27], -v[10:11]
	v_mul_f64 v[6:7], v[6:7], v[28:29]
	v_fma_f64 v[8:9], v[8:9], v[26:27], v[6:7]
	v_add_f64 v[6:7], v[30:31], v[10:11]
	v_add_f64 v[10:11], v[8:9], v[32:33]
	ds_read_b128 v[30:33], v25 offset:2160
	s_waitcnt lgkmcnt(0)
	s_barrier
	v_mul_f64 v[8:9], v[32:33], v[14:15]
	v_mul_f64 v[14:15], v[30:31], v[14:15]
	v_fma_f64 v[8:9], v[30:31], v[12:13], -v[8:9]
	v_fma_f64 v[12:13], v[32:33], v[12:13], v[14:15]
	v_add_f64 v[14:15], v[34:35], v[8:9]
	v_add_f64 v[16:17], v[12:13], v[36:37]
	v_mul_f64 v[8:9], v[32:33], v[28:29]
	v_mul_f64 v[12:13], v[30:31], v[28:29]
	v_fma_f64 v[8:9], v[30:31], v[26:27], -v[8:9]
	v_fma_f64 v[12:13], v[32:33], v[26:27], v[12:13]
	v_mov_b32_e32 v27, s1
	v_mov_b32_e32 v26, s0
	v_cmp_le_u64_e32 vcc, s[20:21], v[26:27]
	v_add_f64 v[8:9], v[38:39], v[8:9]
	v_add_f64 v[12:13], v[12:13], v[40:41]
	s_cbranch_vccz .LBB1650_2
	s_branch .LBB1650_4
.LBB1650_3:
	v_mov_b32_e32 v18, 0
	v_mov_b32_e32 v20, 0
	;; [unrolled: 1-line block ×16, first 2 shown]
.LBB1650_4:
	v_add_u32_e32 v4, s7, v1
	v_ashrrev_i32_e32 v1, 31, v4
	v_mul_lo_u32 v3, s18, v1
	v_mul_lo_u32 v5, s19, v4
	v_mad_u64_u32 v[1:2], s[0:1], s18, v4, 0
	s_load_dword s4, s[4:5], 0x0
	v_add_u32_e32 v0, s6, v0
	v_add3_u32 v2, v2, v3, v5
	v_lshlrev_b64 v[1:2], 4, v[1:2]
	s_waitcnt lgkmcnt(0)
	v_mov_b32_e32 v3, s9
	v_add_co_u32_e32 v5, vcc, s8, v1
	v_addc_co_u32_e32 v22, vcc, v3, v2, vcc
	v_cmp_le_i32_e64 s[0:1], v4, v0
	v_cmp_gt_i32_e32 vcc, s4, v0
	s_and_b64 s[0:1], s[0:1], vcc
	s_and_saveexec_b64 s[2:3], s[0:1]
	s_cbranch_execz .LBB1650_6
; %bb.5:
	v_ashrrev_i32_e32 v1, 31, v0
	v_lshlrev_b64 v[1:2], 4, v[0:1]
	v_mul_f64 v[27:28], s[24:25], v[20:21]
	v_add_co_u32_e64 v1, s[0:1], v5, v1
	v_addc_co_u32_e64 v2, s[0:1], v22, v2, s[0:1]
	flat_load_dwordx4 v[23:26], v[1:2]
	v_mul_f64 v[20:21], s[22:23], v[20:21]
	v_fma_f64 v[27:28], s[22:23], v[18:19], -v[27:28]
	v_fma_f64 v[20:21], s[24:25], v[18:19], v[20:21]
	s_waitcnt vmcnt(0) lgkmcnt(0)
	v_mul_f64 v[29:30], s[14:15], v[25:26]
	v_mul_f64 v[25:26], s[12:13], v[25:26]
	v_fma_f64 v[18:19], s[12:13], v[23:24], -v[29:30]
	v_fma_f64 v[23:24], s[14:15], v[23:24], v[25:26]
	v_add_f64 v[18:19], v[27:28], v[18:19]
	v_add_f64 v[20:21], v[20:21], v[23:24]
	flat_store_dwordx4 v[1:2], v[18:21]
.LBB1650_6:
	s_or_b64 exec, exec, s[2:3]
	v_add_u32_e32 v2, 16, v0
	v_cmp_le_i32_e64 s[2:3], v4, v2
	v_cmp_gt_i32_e64 s[0:1], s4, v2
	s_and_b64 s[2:3], s[2:3], s[0:1]
	s_and_saveexec_b64 s[4:5], s[2:3]
	s_cbranch_execz .LBB1650_8
; %bb.7:
	v_ashrrev_i32_e32 v3, 31, v2
	v_lshlrev_b64 v[18:19], 4, v[2:3]
	v_mul_f64 v[25:26], s[24:25], v[10:11]
	v_add_co_u32_e64 v23, s[2:3], v5, v18
	v_addc_co_u32_e64 v24, s[2:3], v22, v19, s[2:3]
	flat_load_dwordx4 v[18:21], v[23:24]
	v_mul_f64 v[10:11], s[22:23], v[10:11]
	v_fma_f64 v[25:26], s[22:23], v[6:7], -v[25:26]
	v_fma_f64 v[5:6], s[24:25], v[6:7], v[10:11]
	s_waitcnt vmcnt(0) lgkmcnt(0)
	v_mul_f64 v[27:28], s[14:15], v[20:21]
	v_mul_f64 v[20:21], s[12:13], v[20:21]
	v_fma_f64 v[10:11], s[12:13], v[18:19], -v[27:28]
	v_fma_f64 v[20:21], s[14:15], v[18:19], v[20:21]
	v_add_f64 v[18:19], v[25:26], v[10:11]
	v_add_f64 v[20:21], v[5:6], v[20:21]
	flat_store_dwordx4 v[23:24], v[18:21]
.LBB1650_8:
	s_or_b64 exec, exec, s[4:5]
	v_add_u32_e32 v3, 16, v4
	v_ashrrev_i32_e32 v1, 31, v3
	v_mul_lo_u32 v6, s19, v3
	v_mad_u64_u32 v[4:5], s[2:3], s18, v3, 0
	v_mul_lo_u32 v1, s18, v1
	v_add3_u32 v5, v5, v1, v6
	v_lshlrev_b64 v[4:5], 4, v[4:5]
	v_mov_b32_e32 v1, s9
	v_add_co_u32_e64 v4, s[2:3], s8, v4
	v_addc_co_u32_e64 v5, s[2:3], v1, v5, s[2:3]
	v_cmp_le_i32_e64 s[2:3], v3, v0
	s_and_b64 s[4:5], s[2:3], vcc
	s_and_saveexec_b64 s[2:3], s[4:5]
	s_cbranch_execz .LBB1650_10
; %bb.9:
	v_ashrrev_i32_e32 v1, 31, v0
	v_lshlrev_b64 v[0:1], 4, v[0:1]
	v_mul_f64 v[6:7], s[24:25], v[16:17]
	v_add_co_u32_e32 v0, vcc, v4, v0
	v_addc_co_u32_e32 v1, vcc, v5, v1, vcc
	flat_load_dwordx4 v[18:21], v[0:1]
	v_mul_f64 v[10:11], s[22:23], v[16:17]
	v_fma_f64 v[6:7], s[22:23], v[14:15], -v[6:7]
	v_fma_f64 v[10:11], s[24:25], v[14:15], v[10:11]
	s_waitcnt vmcnt(0) lgkmcnt(0)
	v_mul_f64 v[16:17], s[14:15], v[20:21]
	v_mul_f64 v[20:21], s[12:13], v[20:21]
	v_fma_f64 v[14:15], s[12:13], v[18:19], -v[16:17]
	v_fma_f64 v[16:17], s[14:15], v[18:19], v[20:21]
	v_add_f64 v[14:15], v[6:7], v[14:15]
	v_add_f64 v[16:17], v[10:11], v[16:17]
	flat_store_dwordx4 v[0:1], v[14:17]
.LBB1650_10:
	s_or_b64 exec, exec, s[2:3]
	v_cmp_le_i32_e32 vcc, v3, v2
	s_and_b64 s[0:1], vcc, s[0:1]
	s_and_saveexec_b64 s[2:3], s[0:1]
	s_cbranch_execz .LBB1650_12
; %bb.11:
	v_ashrrev_i32_e32 v3, 31, v2
	v_lshlrev_b64 v[0:1], 4, v[2:3]
	v_mul_f64 v[6:7], s[24:25], v[12:13]
	v_add_co_u32_e32 v4, vcc, v4, v0
	v_addc_co_u32_e32 v5, vcc, v5, v1, vcc
	flat_load_dwordx4 v[0:3], v[4:5]
	v_mul_f64 v[10:11], s[22:23], v[12:13]
	v_fma_f64 v[6:7], s[22:23], v[8:9], -v[6:7]
	v_fma_f64 v[8:9], s[24:25], v[8:9], v[10:11]
	s_waitcnt vmcnt(0) lgkmcnt(0)
	v_mul_f64 v[12:13], s[14:15], v[2:3]
	v_mul_f64 v[2:3], s[12:13], v[2:3]
	v_fma_f64 v[10:11], s[12:13], v[0:1], -v[12:13]
	v_fma_f64 v[2:3], s[14:15], v[0:1], v[2:3]
	v_add_f64 v[0:1], v[6:7], v[10:11]
	v_add_f64 v[2:3], v[8:9], v[2:3]
	flat_store_dwordx4 v[4:5], v[0:3]
.LBB1650_12:
	s_endpgm
	.section	.rodata,"a",@progbits
	.p2align	6, 0x0
	.amdhsa_kernel _ZL37rocblas_syrkx_herkx_restricted_kernelIl19rocblas_complex_numIdELi16ELi32ELi8ELb0ELb0ELc67ELc76EKPKS1_KPS1_EviT_T0_PT8_S7_lSA_S7_lS8_PT9_S7_li
		.amdhsa_group_segment_fixed_size 8192
		.amdhsa_private_segment_fixed_size 0
		.amdhsa_kernarg_size 124
		.amdhsa_user_sgpr_count 6
		.amdhsa_user_sgpr_private_segment_buffer 1
		.amdhsa_user_sgpr_dispatch_ptr 0
		.amdhsa_user_sgpr_queue_ptr 0
		.amdhsa_user_sgpr_kernarg_segment_ptr 1
		.amdhsa_user_sgpr_dispatch_id 0
		.amdhsa_user_sgpr_flat_scratch_init 0
		.amdhsa_user_sgpr_private_segment_size 0
		.amdhsa_uses_dynamic_stack 0
		.amdhsa_system_sgpr_private_segment_wavefront_offset 0
		.amdhsa_system_sgpr_workgroup_id_x 1
		.amdhsa_system_sgpr_workgroup_id_y 1
		.amdhsa_system_sgpr_workgroup_id_z 1
		.amdhsa_system_sgpr_workgroup_info 0
		.amdhsa_system_vgpr_workitem_id 1
		.amdhsa_next_free_vgpr 54
		.amdhsa_next_free_sgpr 61
		.amdhsa_reserve_vcc 1
		.amdhsa_reserve_flat_scratch 0
		.amdhsa_float_round_mode_32 0
		.amdhsa_float_round_mode_16_64 0
		.amdhsa_float_denorm_mode_32 3
		.amdhsa_float_denorm_mode_16_64 3
		.amdhsa_dx10_clamp 1
		.amdhsa_ieee_mode 1
		.amdhsa_fp16_overflow 0
		.amdhsa_exception_fp_ieee_invalid_op 0
		.amdhsa_exception_fp_denorm_src 0
		.amdhsa_exception_fp_ieee_div_zero 0
		.amdhsa_exception_fp_ieee_overflow 0
		.amdhsa_exception_fp_ieee_underflow 0
		.amdhsa_exception_fp_ieee_inexact 0
		.amdhsa_exception_int_div_zero 0
	.end_amdhsa_kernel
	.section	.text._ZL37rocblas_syrkx_herkx_restricted_kernelIl19rocblas_complex_numIdELi16ELi32ELi8ELb0ELb0ELc67ELc76EKPKS1_KPS1_EviT_T0_PT8_S7_lSA_S7_lS8_PT9_S7_li,"axG",@progbits,_ZL37rocblas_syrkx_herkx_restricted_kernelIl19rocblas_complex_numIdELi16ELi32ELi8ELb0ELb0ELc67ELc76EKPKS1_KPS1_EviT_T0_PT8_S7_lSA_S7_lS8_PT9_S7_li,comdat
.Lfunc_end1650:
	.size	_ZL37rocblas_syrkx_herkx_restricted_kernelIl19rocblas_complex_numIdELi16ELi32ELi8ELb0ELb0ELc67ELc76EKPKS1_KPS1_EviT_T0_PT8_S7_lSA_S7_lS8_PT9_S7_li, .Lfunc_end1650-_ZL37rocblas_syrkx_herkx_restricted_kernelIl19rocblas_complex_numIdELi16ELi32ELi8ELb0ELb0ELc67ELc76EKPKS1_KPS1_EviT_T0_PT8_S7_lSA_S7_lS8_PT9_S7_li
                                        ; -- End function
	.set _ZL37rocblas_syrkx_herkx_restricted_kernelIl19rocblas_complex_numIdELi16ELi32ELi8ELb0ELb0ELc67ELc76EKPKS1_KPS1_EviT_T0_PT8_S7_lSA_S7_lS8_PT9_S7_li.num_vgpr, 54
	.set _ZL37rocblas_syrkx_herkx_restricted_kernelIl19rocblas_complex_numIdELi16ELi32ELi8ELb0ELb0ELc67ELc76EKPKS1_KPS1_EviT_T0_PT8_S7_lSA_S7_lS8_PT9_S7_li.num_agpr, 0
	.set _ZL37rocblas_syrkx_herkx_restricted_kernelIl19rocblas_complex_numIdELi16ELi32ELi8ELb0ELb0ELc67ELc76EKPKS1_KPS1_EviT_T0_PT8_S7_lSA_S7_lS8_PT9_S7_li.numbered_sgpr, 32
	.set _ZL37rocblas_syrkx_herkx_restricted_kernelIl19rocblas_complex_numIdELi16ELi32ELi8ELb0ELb0ELc67ELc76EKPKS1_KPS1_EviT_T0_PT8_S7_lSA_S7_lS8_PT9_S7_li.num_named_barrier, 0
	.set _ZL37rocblas_syrkx_herkx_restricted_kernelIl19rocblas_complex_numIdELi16ELi32ELi8ELb0ELb0ELc67ELc76EKPKS1_KPS1_EviT_T0_PT8_S7_lSA_S7_lS8_PT9_S7_li.private_seg_size, 0
	.set _ZL37rocblas_syrkx_herkx_restricted_kernelIl19rocblas_complex_numIdELi16ELi32ELi8ELb0ELb0ELc67ELc76EKPKS1_KPS1_EviT_T0_PT8_S7_lSA_S7_lS8_PT9_S7_li.uses_vcc, 1
	.set _ZL37rocblas_syrkx_herkx_restricted_kernelIl19rocblas_complex_numIdELi16ELi32ELi8ELb0ELb0ELc67ELc76EKPKS1_KPS1_EviT_T0_PT8_S7_lSA_S7_lS8_PT9_S7_li.uses_flat_scratch, 0
	.set _ZL37rocblas_syrkx_herkx_restricted_kernelIl19rocblas_complex_numIdELi16ELi32ELi8ELb0ELb0ELc67ELc76EKPKS1_KPS1_EviT_T0_PT8_S7_lSA_S7_lS8_PT9_S7_li.has_dyn_sized_stack, 0
	.set _ZL37rocblas_syrkx_herkx_restricted_kernelIl19rocblas_complex_numIdELi16ELi32ELi8ELb0ELb0ELc67ELc76EKPKS1_KPS1_EviT_T0_PT8_S7_lSA_S7_lS8_PT9_S7_li.has_recursion, 0
	.set _ZL37rocblas_syrkx_herkx_restricted_kernelIl19rocblas_complex_numIdELi16ELi32ELi8ELb0ELb0ELc67ELc76EKPKS1_KPS1_EviT_T0_PT8_S7_lSA_S7_lS8_PT9_S7_li.has_indirect_call, 0
	.section	.AMDGPU.csdata,"",@progbits
; Kernel info:
; codeLenInByte = 3200
; TotalNumSgprs: 36
; NumVgprs: 54
; ScratchSize: 0
; MemoryBound: 0
; FloatMode: 240
; IeeeMode: 1
; LDSByteSize: 8192 bytes/workgroup (compile time only)
; SGPRBlocks: 8
; VGPRBlocks: 13
; NumSGPRsForWavesPerEU: 65
; NumVGPRsForWavesPerEU: 54
; Occupancy: 4
; WaveLimiterHint : 1
; COMPUTE_PGM_RSRC2:SCRATCH_EN: 0
; COMPUTE_PGM_RSRC2:USER_SGPR: 6
; COMPUTE_PGM_RSRC2:TRAP_HANDLER: 0
; COMPUTE_PGM_RSRC2:TGID_X_EN: 1
; COMPUTE_PGM_RSRC2:TGID_Y_EN: 1
; COMPUTE_PGM_RSRC2:TGID_Z_EN: 1
; COMPUTE_PGM_RSRC2:TIDIG_COMP_CNT: 1
	.section	.text._ZL37rocblas_syrkx_herkx_restricted_kernelIl19rocblas_complex_numIdELi16ELi32ELi8ELb0ELb0ELc78ELc76EKPKS1_KPS1_EviT_T0_PT8_S7_lSA_S7_lS8_PT9_S7_li,"axG",@progbits,_ZL37rocblas_syrkx_herkx_restricted_kernelIl19rocblas_complex_numIdELi16ELi32ELi8ELb0ELb0ELc78ELc76EKPKS1_KPS1_EviT_T0_PT8_S7_lSA_S7_lS8_PT9_S7_li,comdat
	.globl	_ZL37rocblas_syrkx_herkx_restricted_kernelIl19rocblas_complex_numIdELi16ELi32ELi8ELb0ELb0ELc78ELc76EKPKS1_KPS1_EviT_T0_PT8_S7_lSA_S7_lS8_PT9_S7_li ; -- Begin function _ZL37rocblas_syrkx_herkx_restricted_kernelIl19rocblas_complex_numIdELi16ELi32ELi8ELb0ELb0ELc78ELc76EKPKS1_KPS1_EviT_T0_PT8_S7_lSA_S7_lS8_PT9_S7_li
	.p2align	8
	.type	_ZL37rocblas_syrkx_herkx_restricted_kernelIl19rocblas_complex_numIdELi16ELi32ELi8ELb0ELb0ELc78ELc76EKPKS1_KPS1_EviT_T0_PT8_S7_lSA_S7_lS8_PT9_S7_li,@function
_ZL37rocblas_syrkx_herkx_restricted_kernelIl19rocblas_complex_numIdELi16ELi32ELi8ELb0ELb0ELc78ELc76EKPKS1_KPS1_EviT_T0_PT8_S7_lSA_S7_lS8_PT9_S7_li: ; @_ZL37rocblas_syrkx_herkx_restricted_kernelIl19rocblas_complex_numIdELi16ELi32ELi8ELb0ELb0ELc78ELc76EKPKS1_KPS1_EviT_T0_PT8_S7_lSA_S7_lS8_PT9_S7_li
; %bb.0:
	s_load_dwordx8 s[12:19], s[4:5], 0x50
	s_load_dwordx8 s[20:27], s[4:5], 0x8
	s_load_dwordx2 s[10:11], s[4:5], 0x28
	s_mov_b32 s9, 0
	s_lshl_b64 s[28:29], s[8:9], 3
	s_waitcnt lgkmcnt(0)
	s_add_u32 s0, s16, s28
	s_addc_u32 s1, s17, s29
	s_load_dwordx2 s[8:9], s[0:1], 0x0
	v_cmp_lt_i64_e64 s[0:1], s[20:21], 1
	s_lshl_b32 s16, s6, 5
	s_lshl_b32 s17, s7, 5
	s_and_b64 vcc, exec, s[0:1]
	s_cbranch_vccnz .LBB1651_3
; %bb.1:
	s_load_dwordx4 s[0:3], s[4:5], 0x38
	v_lshl_add_u32 v6, v1, 4, v0
	v_lshrrev_b32_e32 v7, 3, v6
	v_add_u32_e32 v2, s17, v7
	s_add_u32 s6, s26, s28
	v_and_b32_e32 v8, 7, v0
	v_ashrrev_i32_e32 v3, 31, v2
	s_addc_u32 s7, s27, s29
	s_waitcnt lgkmcnt(0)
	v_mad_u64_u32 v[4:5], s[26:27], s2, v8, v[2:3]
	v_lshrrev_b32_e32 v9, 5, v6
	s_add_u32 s0, s0, s28
	v_mov_b32_e32 v2, v5
	v_mad_u64_u32 v[2:3], s[26:27], s3, v8, v[2:3]
	v_and_b32_e32 v3, 31, v6
	s_addc_u32 s1, s1, s29
	v_mov_b32_e32 v5, v2
	v_lshlrev_b32_e32 v2, 4, v3
	v_lshl_or_b32 v22, v9, 9, v2
	v_add_u32_e32 v2, s16, v3
	v_ashrrev_i32_e32 v3, 31, v2
	s_load_dwordx2 s[26:27], s[0:1], 0x0
	v_mad_u64_u32 v[2:3], s[0:1], s10, v9, v[2:3]
	v_lshlrev_b32_e32 v6, 4, v8
	v_lshl_or_b32 v6, v7, 7, v6
	v_add_u32_e32 v23, 0x1000, v6
	v_mad_u64_u32 v[6:7], s[0:1], s11, v9, v[3:4]
	s_load_dwordx2 s[6:7], s[6:7], 0x0
	v_mov_b32_e32 v3, 0x1000
	v_lshl_add_u32 v25, v1, 7, v3
	v_mov_b32_e32 v3, v6
	v_lshlrev_b64 v[2:3], 4, v[2:3]
	s_waitcnt lgkmcnt(0)
	v_mov_b32_e32 v6, s7
	v_add_co_u32_e32 v2, vcc, s6, v2
	v_lshlrev_b64 v[4:5], 4, v[4:5]
	v_addc_co_u32_e32 v3, vcc, v6, v3, vcc
	v_mov_b32_e32 v6, s27
	v_add_co_u32_e32 v4, vcc, s26, v4
	s_lshl_b64 s[0:1], s[10:11], 7
	v_addc_co_u32_e32 v5, vcc, v6, v5, vcc
	s_lshl_b64 s[2:3], s[2:3], 7
	v_mov_b32_e32 v8, 0
	v_mov_b32_e32 v6, 0
	;; [unrolled: 1-line block ×8, first 2 shown]
	v_lshlrev_b32_e32 v24, 4, v0
	v_mov_b32_e32 v9, 0
	s_mov_b64 s[6:7], 0
	v_mov_b32_e32 v26, s1
	v_mov_b32_e32 v7, 0
	;; [unrolled: 1-line block ×9, first 2 shown]
.LBB1651_2:                             ; =>This Inner Loop Header: Depth=1
	flat_load_dwordx4 v[28:31], v[2:3]
	s_add_u32 s6, s6, 8
	v_add_co_u32_e32 v2, vcc, s0, v2
	s_addc_u32 s7, s7, 0
	v_addc_co_u32_e32 v3, vcc, v3, v26, vcc
	s_waitcnt vmcnt(0) lgkmcnt(0)
	ds_write_b128 v22, v[28:31]
	flat_load_dwordx4 v[28:31], v[4:5]
	v_add_co_u32_e32 v4, vcc, s2, v4
	v_addc_co_u32_e32 v5, vcc, v5, v27, vcc
	s_waitcnt vmcnt(0) lgkmcnt(0)
	ds_write_b128 v23, v[28:31]
	s_waitcnt lgkmcnt(0)
	s_barrier
	ds_read_b128 v[28:31], v25
	ds_read_b128 v[32:35], v25 offset:16
	ds_read_b128 v[36:39], v25 offset:32
	;; [unrolled: 1-line block ×3, first 2 shown]
	ds_read_b128 v[44:47], v24
	s_waitcnt lgkmcnt(0)
	v_mul_f64 v[48:49], v[30:31], v[46:47]
	v_mul_f64 v[50:51], v[28:29], v[46:47]
	v_fma_f64 v[48:49], v[28:29], v[44:45], -v[48:49]
	v_fma_f64 v[50:51], v[30:31], v[44:45], v[50:51]
	v_add_f64 v[48:49], v[18:19], v[48:49]
	v_add_f64 v[50:51], v[50:51], v[20:21]
	ds_read_b128 v[18:21], v24 offset:256
	s_waitcnt lgkmcnt(0)
	v_mul_f64 v[52:53], v[30:31], v[20:21]
	v_fma_f64 v[52:53], v[28:29], v[18:19], -v[52:53]
	v_mul_f64 v[28:29], v[28:29], v[20:21]
	v_fma_f64 v[28:29], v[30:31], v[18:19], v[28:29]
	v_add_f64 v[30:31], v[10:11], v[52:53]
	v_add_f64 v[28:29], v[28:29], v[12:13]
	ds_read_b128 v[10:13], v25 offset:2048
	s_waitcnt lgkmcnt(0)
	v_mul_f64 v[52:53], v[12:13], v[46:47]
	v_mul_f64 v[46:47], v[10:11], v[46:47]
	v_fma_f64 v[52:53], v[10:11], v[44:45], -v[52:53]
	v_fma_f64 v[44:45], v[12:13], v[44:45], v[46:47]
	v_add_f64 v[46:47], v[14:15], v[52:53]
	v_mul_f64 v[14:15], v[12:13], v[20:21]
	v_add_f64 v[44:45], v[44:45], v[16:17]
	v_fma_f64 v[14:15], v[10:11], v[18:19], -v[14:15]
	v_mul_f64 v[10:11], v[10:11], v[20:21]
	v_fma_f64 v[10:11], v[12:13], v[18:19], v[10:11]
	v_add_f64 v[18:19], v[6:7], v[14:15]
	v_add_f64 v[20:21], v[10:11], v[8:9]
	ds_read_b128 v[6:9], v24 offset:512
	s_waitcnt lgkmcnt(0)
	v_mul_f64 v[10:11], v[34:35], v[8:9]
	v_mul_f64 v[12:13], v[32:33], v[8:9]
	v_fma_f64 v[10:11], v[32:33], v[6:7], -v[10:11]
	v_fma_f64 v[12:13], v[34:35], v[6:7], v[12:13]
	v_add_f64 v[48:49], v[48:49], v[10:11]
	v_add_f64 v[50:51], v[12:13], v[50:51]
	ds_read_b128 v[10:13], v24 offset:768
	s_waitcnt lgkmcnt(0)
	v_mul_f64 v[14:15], v[34:35], v[12:13]
	v_mul_f64 v[16:17], v[32:33], v[12:13]
	v_fma_f64 v[14:15], v[32:33], v[10:11], -v[14:15]
	;; [unrolled: 8-line block ×3, first 2 shown]
	v_fma_f64 v[6:7], v[16:17], v[6:7], v[8:9]
	v_mul_f64 v[8:9], v[14:15], v[12:13]
	v_add_f64 v[32:33], v[46:47], v[32:33]
	v_add_f64 v[34:35], v[6:7], v[44:45]
	v_mul_f64 v[6:7], v[16:17], v[12:13]
	v_fma_f64 v[8:9], v[16:17], v[10:11], v[8:9]
	v_fma_f64 v[6:7], v[14:15], v[10:11], -v[6:7]
	v_add_f64 v[20:21], v[8:9], v[20:21]
	v_add_f64 v[18:19], v[18:19], v[6:7]
	ds_read_b128 v[6:9], v24 offset:1024
	s_waitcnt lgkmcnt(0)
	v_mul_f64 v[10:11], v[38:39], v[8:9]
	v_mul_f64 v[12:13], v[36:37], v[8:9]
	v_fma_f64 v[10:11], v[36:37], v[6:7], -v[10:11]
	v_fma_f64 v[12:13], v[38:39], v[6:7], v[12:13]
	v_add_f64 v[44:45], v[48:49], v[10:11]
	v_add_f64 v[46:47], v[12:13], v[50:51]
	ds_read_b128 v[10:13], v24 offset:1280
	s_waitcnt lgkmcnt(0)
	v_mul_f64 v[14:15], v[38:39], v[12:13]
	v_mul_f64 v[16:17], v[36:37], v[12:13]
	v_fma_f64 v[14:15], v[36:37], v[10:11], -v[14:15]
	v_fma_f64 v[16:17], v[38:39], v[10:11], v[16:17]
	;; [unrolled: 8-line block ×3, first 2 shown]
	v_mul_f64 v[8:9], v[14:15], v[12:13]
	v_add_f64 v[32:33], v[32:33], v[36:37]
	v_add_f64 v[34:35], v[6:7], v[34:35]
	v_mul_f64 v[6:7], v[16:17], v[12:13]
	v_fma_f64 v[8:9], v[16:17], v[10:11], v[8:9]
	v_fma_f64 v[6:7], v[14:15], v[10:11], -v[6:7]
	v_add_f64 v[20:21], v[8:9], v[20:21]
	v_add_f64 v[18:19], v[18:19], v[6:7]
	ds_read_b128 v[6:9], v24 offset:1536
	s_waitcnt lgkmcnt(0)
	v_mul_f64 v[10:11], v[42:43], v[8:9]
	v_mul_f64 v[12:13], v[40:41], v[8:9]
	v_fma_f64 v[10:11], v[40:41], v[6:7], -v[10:11]
	v_fma_f64 v[12:13], v[42:43], v[6:7], v[12:13]
	v_add_f64 v[36:37], v[44:45], v[10:11]
	v_add_f64 v[38:39], v[12:13], v[46:47]
	ds_read_b128 v[10:13], v24 offset:1792
	s_waitcnt lgkmcnt(0)
	v_mul_f64 v[14:15], v[42:43], v[12:13]
	v_mul_f64 v[16:17], v[40:41], v[12:13]
	v_fma_f64 v[14:15], v[40:41], v[10:11], -v[14:15]
	v_fma_f64 v[16:17], v[42:43], v[10:11], v[16:17]
	;; [unrolled: 8-line block ×3, first 2 shown]
	v_mul_f64 v[8:9], v[14:15], v[12:13]
	v_add_f64 v[32:33], v[32:33], v[40:41]
	v_add_f64 v[34:35], v[6:7], v[34:35]
	v_mul_f64 v[6:7], v[16:17], v[12:13]
	v_fma_f64 v[8:9], v[16:17], v[10:11], v[8:9]
	v_fma_f64 v[6:7], v[14:15], v[10:11], -v[6:7]
	v_add_f64 v[20:21], v[8:9], v[20:21]
	v_add_f64 v[18:19], v[18:19], v[6:7]
	ds_read_b128 v[6:9], v25 offset:64
	ds_read_b128 v[10:13], v24 offset:2048
	s_waitcnt lgkmcnt(0)
	v_mul_f64 v[14:15], v[8:9], v[12:13]
	v_mul_f64 v[16:17], v[6:7], v[12:13]
	v_fma_f64 v[14:15], v[6:7], v[10:11], -v[14:15]
	v_fma_f64 v[16:17], v[8:9], v[10:11], v[16:17]
	v_add_f64 v[36:37], v[36:37], v[14:15]
	v_add_f64 v[38:39], v[16:17], v[38:39]
	ds_read_b128 v[14:17], v24 offset:2304
	s_waitcnt lgkmcnt(0)
	v_mul_f64 v[40:41], v[8:9], v[16:17]
	v_fma_f64 v[40:41], v[6:7], v[14:15], -v[40:41]
	v_mul_f64 v[6:7], v[6:7], v[16:17]
	v_add_f64 v[30:31], v[30:31], v[40:41]
	v_fma_f64 v[6:7], v[8:9], v[14:15], v[6:7]
	v_add_f64 v[28:29], v[6:7], v[28:29]
	ds_read_b128 v[6:9], v25 offset:2112
	s_waitcnt lgkmcnt(0)
	v_mul_f64 v[40:41], v[8:9], v[12:13]
	v_mul_f64 v[12:13], v[6:7], v[12:13]
	v_fma_f64 v[40:41], v[6:7], v[10:11], -v[40:41]
	v_fma_f64 v[10:11], v[8:9], v[10:11], v[12:13]
	v_add_f64 v[32:33], v[32:33], v[40:41]
	v_add_f64 v[34:35], v[10:11], v[34:35]
	v_mul_f64 v[10:11], v[8:9], v[16:17]
	v_fma_f64 v[10:11], v[6:7], v[14:15], -v[10:11]
	v_mul_f64 v[6:7], v[6:7], v[16:17]
	v_add_f64 v[18:19], v[18:19], v[10:11]
	v_fma_f64 v[6:7], v[8:9], v[14:15], v[6:7]
	v_add_f64 v[20:21], v[6:7], v[20:21]
	ds_read_b128 v[6:9], v25 offset:80
	ds_read_b128 v[10:13], v24 offset:2560
	s_waitcnt lgkmcnt(0)
	v_mul_f64 v[14:15], v[8:9], v[12:13]
	v_mul_f64 v[16:17], v[6:7], v[12:13]
	v_fma_f64 v[14:15], v[6:7], v[10:11], -v[14:15]
	v_fma_f64 v[16:17], v[8:9], v[10:11], v[16:17]
	v_add_f64 v[36:37], v[36:37], v[14:15]
	v_add_f64 v[38:39], v[16:17], v[38:39]
	ds_read_b128 v[14:17], v24 offset:2816
	s_waitcnt lgkmcnt(0)
	v_mul_f64 v[40:41], v[8:9], v[16:17]
	v_fma_f64 v[40:41], v[6:7], v[14:15], -v[40:41]
	v_mul_f64 v[6:7], v[6:7], v[16:17]
	v_add_f64 v[30:31], v[30:31], v[40:41]
	v_fma_f64 v[6:7], v[8:9], v[14:15], v[6:7]
	v_add_f64 v[28:29], v[6:7], v[28:29]
	ds_read_b128 v[6:9], v25 offset:2128
	s_waitcnt lgkmcnt(0)
	v_mul_f64 v[40:41], v[8:9], v[12:13]
	v_mul_f64 v[12:13], v[6:7], v[12:13]
	v_fma_f64 v[40:41], v[6:7], v[10:11], -v[40:41]
	v_fma_f64 v[10:11], v[8:9], v[10:11], v[12:13]
	v_add_f64 v[32:33], v[32:33], v[40:41]
	v_add_f64 v[34:35], v[10:11], v[34:35]
	v_mul_f64 v[10:11], v[8:9], v[16:17]
	v_fma_f64 v[10:11], v[6:7], v[14:15], -v[10:11]
	v_mul_f64 v[6:7], v[6:7], v[16:17]
	v_add_f64 v[18:19], v[18:19], v[10:11]
	v_fma_f64 v[6:7], v[8:9], v[14:15], v[6:7]
	;; [unrolled: 31-line block ×3, first 2 shown]
	v_add_f64 v[46:47], v[6:7], v[20:21]
	ds_read_b128 v[6:9], v25 offset:112
	ds_read_b128 v[14:17], v24 offset:3584
	;; [unrolled: 1-line block ×3, first 2 shown]
	s_waitcnt lgkmcnt(1)
	v_mul_f64 v[10:11], v[8:9], v[16:17]
	v_mul_f64 v[12:13], v[6:7], v[16:17]
	v_fma_f64 v[10:11], v[6:7], v[14:15], -v[10:11]
	v_fma_f64 v[12:13], v[8:9], v[14:15], v[12:13]
	v_add_f64 v[18:19], v[36:37], v[10:11]
	s_waitcnt lgkmcnt(0)
	v_mul_f64 v[10:11], v[8:9], v[30:31]
	v_add_f64 v[20:21], v[12:13], v[38:39]
	v_fma_f64 v[10:11], v[6:7], v[28:29], -v[10:11]
	v_mul_f64 v[6:7], v[6:7], v[30:31]
	v_add_f64 v[10:11], v[40:41], v[10:11]
	v_fma_f64 v[6:7], v[8:9], v[28:29], v[6:7]
	v_add_f64 v[12:13], v[6:7], v[42:43]
	ds_read_b128 v[6:9], v25 offset:2160
	s_waitcnt lgkmcnt(0)
	s_barrier
	v_mul_f64 v[36:37], v[8:9], v[16:17]
	v_mul_f64 v[16:17], v[6:7], v[16:17]
	v_fma_f64 v[36:37], v[6:7], v[14:15], -v[36:37]
	v_fma_f64 v[16:17], v[8:9], v[14:15], v[16:17]
	v_add_f64 v[14:15], v[32:33], v[36:37]
	v_mul_f64 v[32:33], v[8:9], v[30:31]
	v_add_f64 v[16:17], v[16:17], v[34:35]
	v_fma_f64 v[32:33], v[6:7], v[28:29], -v[32:33]
	v_mul_f64 v[6:7], v[6:7], v[30:31]
	v_fma_f64 v[8:9], v[8:9], v[28:29], v[6:7]
	v_add_f64 v[6:7], v[44:45], v[32:33]
	v_mov_b32_e32 v29, s7
	v_mov_b32_e32 v28, s6
	v_cmp_le_u64_e32 vcc, s[20:21], v[28:29]
	v_add_f64 v[8:9], v[8:9], v[46:47]
	s_cbranch_vccz .LBB1651_2
	s_branch .LBB1651_4
.LBB1651_3:
	v_mov_b32_e32 v18, 0
	v_mov_b32_e32 v20, 0
	;; [unrolled: 1-line block ×16, first 2 shown]
.LBB1651_4:
	v_add_u32_e32 v4, s17, v1
	v_ashrrev_i32_e32 v1, 31, v4
	v_mul_lo_u32 v3, s18, v1
	v_mul_lo_u32 v5, s19, v4
	v_mad_u64_u32 v[1:2], s[0:1], s18, v4, 0
	s_load_dword s4, s[4:5], 0x0
	v_add_u32_e32 v0, s16, v0
	v_add3_u32 v2, v2, v3, v5
	v_lshlrev_b64 v[1:2], 4, v[1:2]
	s_waitcnt lgkmcnt(0)
	v_mov_b32_e32 v3, s9
	v_add_co_u32_e32 v5, vcc, s8, v1
	v_addc_co_u32_e32 v22, vcc, v3, v2, vcc
	v_cmp_le_i32_e64 s[0:1], v4, v0
	v_cmp_gt_i32_e32 vcc, s4, v0
	s_and_b64 s[0:1], s[0:1], vcc
	s_and_saveexec_b64 s[2:3], s[0:1]
	s_cbranch_execz .LBB1651_6
; %bb.5:
	v_ashrrev_i32_e32 v1, 31, v0
	v_lshlrev_b64 v[1:2], 4, v[0:1]
	v_mul_f64 v[27:28], s[24:25], v[20:21]
	v_add_co_u32_e64 v1, s[0:1], v5, v1
	v_addc_co_u32_e64 v2, s[0:1], v22, v2, s[0:1]
	flat_load_dwordx4 v[23:26], v[1:2]
	v_mul_f64 v[20:21], s[22:23], v[20:21]
	v_fma_f64 v[27:28], s[22:23], v[18:19], -v[27:28]
	v_fma_f64 v[20:21], s[24:25], v[18:19], v[20:21]
	s_waitcnt vmcnt(0) lgkmcnt(0)
	v_mul_f64 v[29:30], s[14:15], v[25:26]
	v_mul_f64 v[25:26], s[12:13], v[25:26]
	v_fma_f64 v[18:19], s[12:13], v[23:24], -v[29:30]
	v_fma_f64 v[23:24], s[14:15], v[23:24], v[25:26]
	v_add_f64 v[18:19], v[27:28], v[18:19]
	v_add_f64 v[20:21], v[20:21], v[23:24]
	flat_store_dwordx4 v[1:2], v[18:21]
.LBB1651_6:
	s_or_b64 exec, exec, s[2:3]
	v_add_u32_e32 v2, 16, v0
	v_cmp_le_i32_e64 s[2:3], v4, v2
	v_cmp_gt_i32_e64 s[0:1], s4, v2
	s_and_b64 s[2:3], s[2:3], s[0:1]
	s_and_saveexec_b64 s[4:5], s[2:3]
	s_cbranch_execz .LBB1651_8
; %bb.7:
	v_ashrrev_i32_e32 v3, 31, v2
	v_lshlrev_b64 v[18:19], 4, v[2:3]
	v_mul_f64 v[25:26], s[24:25], v[12:13]
	v_add_co_u32_e64 v23, s[2:3], v5, v18
	v_addc_co_u32_e64 v24, s[2:3], v22, v19, s[2:3]
	flat_load_dwordx4 v[18:21], v[23:24]
	v_mul_f64 v[12:13], s[22:23], v[12:13]
	v_fma_f64 v[25:26], s[22:23], v[10:11], -v[25:26]
	v_fma_f64 v[12:13], s[24:25], v[10:11], v[12:13]
	s_waitcnt vmcnt(0) lgkmcnt(0)
	v_mul_f64 v[27:28], s[14:15], v[20:21]
	v_mul_f64 v[20:21], s[12:13], v[20:21]
	v_fma_f64 v[10:11], s[12:13], v[18:19], -v[27:28]
	v_fma_f64 v[18:19], s[14:15], v[18:19], v[20:21]
	v_add_f64 v[10:11], v[25:26], v[10:11]
	v_add_f64 v[12:13], v[12:13], v[18:19]
	flat_store_dwordx4 v[23:24], v[10:13]
.LBB1651_8:
	s_or_b64 exec, exec, s[4:5]
	v_add_u32_e32 v3, 16, v4
	v_ashrrev_i32_e32 v1, 31, v3
	v_mul_lo_u32 v10, s19, v3
	v_mad_u64_u32 v[4:5], s[2:3], s18, v3, 0
	v_mul_lo_u32 v1, s18, v1
	v_add3_u32 v5, v5, v1, v10
	v_lshlrev_b64 v[4:5], 4, v[4:5]
	v_mov_b32_e32 v1, s9
	v_add_co_u32_e64 v4, s[2:3], s8, v4
	v_addc_co_u32_e64 v5, s[2:3], v1, v5, s[2:3]
	v_cmp_le_i32_e64 s[2:3], v3, v0
	s_and_b64 s[4:5], s[2:3], vcc
	s_and_saveexec_b64 s[2:3], s[4:5]
	s_cbranch_execz .LBB1651_10
; %bb.9:
	v_ashrrev_i32_e32 v1, 31, v0
	v_lshlrev_b64 v[0:1], 4, v[0:1]
	v_mul_f64 v[18:19], s[24:25], v[16:17]
	v_add_co_u32_e32 v0, vcc, v4, v0
	v_addc_co_u32_e32 v1, vcc, v5, v1, vcc
	flat_load_dwordx4 v[10:13], v[0:1]
	v_mul_f64 v[16:17], s[22:23], v[16:17]
	v_fma_f64 v[18:19], s[22:23], v[14:15], -v[18:19]
	v_fma_f64 v[14:15], s[24:25], v[14:15], v[16:17]
	s_waitcnt vmcnt(0) lgkmcnt(0)
	v_mul_f64 v[20:21], s[14:15], v[12:13]
	v_mul_f64 v[12:13], s[12:13], v[12:13]
	v_fma_f64 v[16:17], s[12:13], v[10:11], -v[20:21]
	v_fma_f64 v[12:13], s[14:15], v[10:11], v[12:13]
	v_add_f64 v[10:11], v[18:19], v[16:17]
	v_add_f64 v[12:13], v[14:15], v[12:13]
	flat_store_dwordx4 v[0:1], v[10:13]
.LBB1651_10:
	s_or_b64 exec, exec, s[2:3]
	v_cmp_le_i32_e32 vcc, v3, v2
	s_and_b64 s[0:1], vcc, s[0:1]
	s_and_saveexec_b64 s[2:3], s[0:1]
	s_cbranch_execz .LBB1651_12
; %bb.11:
	v_ashrrev_i32_e32 v3, 31, v2
	v_lshlrev_b64 v[0:1], 4, v[2:3]
	v_mul_f64 v[10:11], s[24:25], v[8:9]
	v_add_co_u32_e32 v4, vcc, v4, v0
	v_addc_co_u32_e32 v5, vcc, v5, v1, vcc
	flat_load_dwordx4 v[0:3], v[4:5]
	v_mul_f64 v[8:9], s[22:23], v[8:9]
	v_fma_f64 v[10:11], s[22:23], v[6:7], -v[10:11]
	v_fma_f64 v[6:7], s[24:25], v[6:7], v[8:9]
	s_waitcnt vmcnt(0) lgkmcnt(0)
	v_mul_f64 v[12:13], s[14:15], v[2:3]
	v_mul_f64 v[2:3], s[12:13], v[2:3]
	v_fma_f64 v[8:9], s[12:13], v[0:1], -v[12:13]
	v_fma_f64 v[2:3], s[14:15], v[0:1], v[2:3]
	v_add_f64 v[0:1], v[10:11], v[8:9]
	v_add_f64 v[2:3], v[6:7], v[2:3]
	flat_store_dwordx4 v[4:5], v[0:3]
.LBB1651_12:
	s_endpgm
	.section	.rodata,"a",@progbits
	.p2align	6, 0x0
	.amdhsa_kernel _ZL37rocblas_syrkx_herkx_restricted_kernelIl19rocblas_complex_numIdELi16ELi32ELi8ELb0ELb0ELc78ELc76EKPKS1_KPS1_EviT_T0_PT8_S7_lSA_S7_lS8_PT9_S7_li
		.amdhsa_group_segment_fixed_size 8192
		.amdhsa_private_segment_fixed_size 0
		.amdhsa_kernarg_size 124
		.amdhsa_user_sgpr_count 6
		.amdhsa_user_sgpr_private_segment_buffer 1
		.amdhsa_user_sgpr_dispatch_ptr 0
		.amdhsa_user_sgpr_queue_ptr 0
		.amdhsa_user_sgpr_kernarg_segment_ptr 1
		.amdhsa_user_sgpr_dispatch_id 0
		.amdhsa_user_sgpr_flat_scratch_init 0
		.amdhsa_user_sgpr_private_segment_size 0
		.amdhsa_uses_dynamic_stack 0
		.amdhsa_system_sgpr_private_segment_wavefront_offset 0
		.amdhsa_system_sgpr_workgroup_id_x 1
		.amdhsa_system_sgpr_workgroup_id_y 1
		.amdhsa_system_sgpr_workgroup_id_z 1
		.amdhsa_system_sgpr_workgroup_info 0
		.amdhsa_system_vgpr_workitem_id 1
		.amdhsa_next_free_vgpr 54
		.amdhsa_next_free_sgpr 61
		.amdhsa_reserve_vcc 1
		.amdhsa_reserve_flat_scratch 0
		.amdhsa_float_round_mode_32 0
		.amdhsa_float_round_mode_16_64 0
		.amdhsa_float_denorm_mode_32 3
		.amdhsa_float_denorm_mode_16_64 3
		.amdhsa_dx10_clamp 1
		.amdhsa_ieee_mode 1
		.amdhsa_fp16_overflow 0
		.amdhsa_exception_fp_ieee_invalid_op 0
		.amdhsa_exception_fp_denorm_src 0
		.amdhsa_exception_fp_ieee_div_zero 0
		.amdhsa_exception_fp_ieee_overflow 0
		.amdhsa_exception_fp_ieee_underflow 0
		.amdhsa_exception_fp_ieee_inexact 0
		.amdhsa_exception_int_div_zero 0
	.end_amdhsa_kernel
	.section	.text._ZL37rocblas_syrkx_herkx_restricted_kernelIl19rocblas_complex_numIdELi16ELi32ELi8ELb0ELb0ELc78ELc76EKPKS1_KPS1_EviT_T0_PT8_S7_lSA_S7_lS8_PT9_S7_li,"axG",@progbits,_ZL37rocblas_syrkx_herkx_restricted_kernelIl19rocblas_complex_numIdELi16ELi32ELi8ELb0ELb0ELc78ELc76EKPKS1_KPS1_EviT_T0_PT8_S7_lSA_S7_lS8_PT9_S7_li,comdat
.Lfunc_end1651:
	.size	_ZL37rocblas_syrkx_herkx_restricted_kernelIl19rocblas_complex_numIdELi16ELi32ELi8ELb0ELb0ELc78ELc76EKPKS1_KPS1_EviT_T0_PT8_S7_lSA_S7_lS8_PT9_S7_li, .Lfunc_end1651-_ZL37rocblas_syrkx_herkx_restricted_kernelIl19rocblas_complex_numIdELi16ELi32ELi8ELb0ELb0ELc78ELc76EKPKS1_KPS1_EviT_T0_PT8_S7_lSA_S7_lS8_PT9_S7_li
                                        ; -- End function
	.set _ZL37rocblas_syrkx_herkx_restricted_kernelIl19rocblas_complex_numIdELi16ELi32ELi8ELb0ELb0ELc78ELc76EKPKS1_KPS1_EviT_T0_PT8_S7_lSA_S7_lS8_PT9_S7_li.num_vgpr, 54
	.set _ZL37rocblas_syrkx_herkx_restricted_kernelIl19rocblas_complex_numIdELi16ELi32ELi8ELb0ELb0ELc78ELc76EKPKS1_KPS1_EviT_T0_PT8_S7_lSA_S7_lS8_PT9_S7_li.num_agpr, 0
	.set _ZL37rocblas_syrkx_herkx_restricted_kernelIl19rocblas_complex_numIdELi16ELi32ELi8ELb0ELb0ELc78ELc76EKPKS1_KPS1_EviT_T0_PT8_S7_lSA_S7_lS8_PT9_S7_li.numbered_sgpr, 30
	.set _ZL37rocblas_syrkx_herkx_restricted_kernelIl19rocblas_complex_numIdELi16ELi32ELi8ELb0ELb0ELc78ELc76EKPKS1_KPS1_EviT_T0_PT8_S7_lSA_S7_lS8_PT9_S7_li.num_named_barrier, 0
	.set _ZL37rocblas_syrkx_herkx_restricted_kernelIl19rocblas_complex_numIdELi16ELi32ELi8ELb0ELb0ELc78ELc76EKPKS1_KPS1_EviT_T0_PT8_S7_lSA_S7_lS8_PT9_S7_li.private_seg_size, 0
	.set _ZL37rocblas_syrkx_herkx_restricted_kernelIl19rocblas_complex_numIdELi16ELi32ELi8ELb0ELb0ELc78ELc76EKPKS1_KPS1_EviT_T0_PT8_S7_lSA_S7_lS8_PT9_S7_li.uses_vcc, 1
	.set _ZL37rocblas_syrkx_herkx_restricted_kernelIl19rocblas_complex_numIdELi16ELi32ELi8ELb0ELb0ELc78ELc76EKPKS1_KPS1_EviT_T0_PT8_S7_lSA_S7_lS8_PT9_S7_li.uses_flat_scratch, 0
	.set _ZL37rocblas_syrkx_herkx_restricted_kernelIl19rocblas_complex_numIdELi16ELi32ELi8ELb0ELb0ELc78ELc76EKPKS1_KPS1_EviT_T0_PT8_S7_lSA_S7_lS8_PT9_S7_li.has_dyn_sized_stack, 0
	.set _ZL37rocblas_syrkx_herkx_restricted_kernelIl19rocblas_complex_numIdELi16ELi32ELi8ELb0ELb0ELc78ELc76EKPKS1_KPS1_EviT_T0_PT8_S7_lSA_S7_lS8_PT9_S7_li.has_recursion, 0
	.set _ZL37rocblas_syrkx_herkx_restricted_kernelIl19rocblas_complex_numIdELi16ELi32ELi8ELb0ELb0ELc78ELc76EKPKS1_KPS1_EviT_T0_PT8_S7_lSA_S7_lS8_PT9_S7_li.has_indirect_call, 0
	.section	.AMDGPU.csdata,"",@progbits
; Kernel info:
; codeLenInByte = 3180
; TotalNumSgprs: 34
; NumVgprs: 54
; ScratchSize: 0
; MemoryBound: 0
; FloatMode: 240
; IeeeMode: 1
; LDSByteSize: 8192 bytes/workgroup (compile time only)
; SGPRBlocks: 8
; VGPRBlocks: 13
; NumSGPRsForWavesPerEU: 65
; NumVGPRsForWavesPerEU: 54
; Occupancy: 4
; WaveLimiterHint : 1
; COMPUTE_PGM_RSRC2:SCRATCH_EN: 0
; COMPUTE_PGM_RSRC2:USER_SGPR: 6
; COMPUTE_PGM_RSRC2:TRAP_HANDLER: 0
; COMPUTE_PGM_RSRC2:TGID_X_EN: 1
; COMPUTE_PGM_RSRC2:TGID_Y_EN: 1
; COMPUTE_PGM_RSRC2:TGID_Z_EN: 1
; COMPUTE_PGM_RSRC2:TIDIG_COMP_CNT: 1
	.section	.text._ZL37rocblas_syrkx_herkx_restricted_kernelIl19rocblas_complex_numIdELi16ELi32ELi8ELb0ELb0ELc84ELc85EKPKS1_KPS1_EviT_T0_PT8_S7_lSA_S7_lS8_PT9_S7_li,"axG",@progbits,_ZL37rocblas_syrkx_herkx_restricted_kernelIl19rocblas_complex_numIdELi16ELi32ELi8ELb0ELb0ELc84ELc85EKPKS1_KPS1_EviT_T0_PT8_S7_lSA_S7_lS8_PT9_S7_li,comdat
	.globl	_ZL37rocblas_syrkx_herkx_restricted_kernelIl19rocblas_complex_numIdELi16ELi32ELi8ELb0ELb0ELc84ELc85EKPKS1_KPS1_EviT_T0_PT8_S7_lSA_S7_lS8_PT9_S7_li ; -- Begin function _ZL37rocblas_syrkx_herkx_restricted_kernelIl19rocblas_complex_numIdELi16ELi32ELi8ELb0ELb0ELc84ELc85EKPKS1_KPS1_EviT_T0_PT8_S7_lSA_S7_lS8_PT9_S7_li
	.p2align	8
	.type	_ZL37rocblas_syrkx_herkx_restricted_kernelIl19rocblas_complex_numIdELi16ELi32ELi8ELb0ELb0ELc84ELc85EKPKS1_KPS1_EviT_T0_PT8_S7_lSA_S7_lS8_PT9_S7_li,@function
_ZL37rocblas_syrkx_herkx_restricted_kernelIl19rocblas_complex_numIdELi16ELi32ELi8ELb0ELb0ELc84ELc85EKPKS1_KPS1_EviT_T0_PT8_S7_lSA_S7_lS8_PT9_S7_li: ; @_ZL37rocblas_syrkx_herkx_restricted_kernelIl19rocblas_complex_numIdELi16ELi32ELi8ELb0ELb0ELc84ELc85EKPKS1_KPS1_EviT_T0_PT8_S7_lSA_S7_lS8_PT9_S7_li
; %bb.0:
	s_load_dwordx8 s[12:19], s[4:5], 0x50
	s_load_dwordx8 s[20:27], s[4:5], 0x8
	s_load_dwordx2 s[0:1], s[4:5], 0x28
	s_mov_b32 s9, 0
	s_lshl_b64 s[8:9], s[8:9], 3
	s_waitcnt lgkmcnt(0)
	s_add_u32 s2, s16, s8
	s_addc_u32 s3, s17, s9
	s_load_dwordx2 s[2:3], s[2:3], 0x0
	v_cmp_lt_i64_e64 s[10:11], s[20:21], 1
	s_lshl_b32 s6, s6, 5
	s_lshl_b32 s7, s7, 5
	s_and_b64 vcc, exec, s[10:11]
	s_cbranch_vccnz .LBB1652_3
; %bb.1:
	s_load_dwordx4 s[28:31], s[4:5], 0x38
	v_lshl_add_u32 v7, v1, 4, v0
	v_lshrrev_b32_e32 v8, 3, v7
	v_add_u32_e32 v4, s7, v8
	v_and_b32_e32 v2, 7, v0
	v_ashrrev_i32_e32 v5, 31, v4
	v_mov_b32_e32 v3, 0
	s_waitcnt lgkmcnt(0)
	v_mul_lo_u32 v9, s30, v5
	v_mul_lo_u32 v10, s31, v4
	v_mad_u64_u32 v[4:5], s[16:17], s30, v4, v[2:3]
	v_and_b32_e32 v11, 31, v7
	v_lshlrev_b32_e32 v2, 4, v2
	v_lshl_or_b32 v2, v8, 7, v2
	v_add_u32_e32 v8, s6, v11
	v_lshrrev_b32_e32 v6, 5, v7
	v_mov_b32_e32 v7, v3
	v_lshlrev_b32_e32 v3, 4, v11
	v_add_u32_e32 v23, 0x1000, v2
	v_ashrrev_i32_e32 v2, 31, v8
	s_add_u32 s10, s26, s8
	v_add3_u32 v5, v10, v5, v9
	v_lshl_or_b32 v22, v6, 9, v3
	v_mul_lo_u32 v9, s0, v2
	v_mad_u64_u32 v[2:3], s[16:17], s0, v8, v[6:7]
	v_mul_lo_u32 v6, s1, v8
	s_addc_u32 s11, s27, s9
	s_load_dwordx2 s[10:11], s[10:11], 0x0
	s_add_u32 s8, s28, s8
	s_addc_u32 s9, s29, s9
	s_load_dwordx2 s[8:9], s[8:9], 0x0
	v_add3_u32 v3, v6, v3, v9
	v_lshlrev_b64 v[2:3], 4, v[2:3]
	s_waitcnt lgkmcnt(0)
	v_mov_b32_e32 v6, s11
	v_add_co_u32_e32 v2, vcc, s10, v2
	v_lshlrev_b64 v[4:5], 4, v[4:5]
	v_addc_co_u32_e32 v3, vcc, v6, v3, vcc
	v_mov_b32_e32 v7, 0x1000
	v_mov_b32_e32 v6, s9
	v_add_co_u32_e32 v4, vcc, s8, v4
	v_lshl_add_u32 v25, v1, 7, v7
	v_addc_co_u32_e32 v5, vcc, v6, v5, vcc
	v_mov_b32_e32 v12, 0
	v_mov_b32_e32 v8, 0
	;; [unrolled: 1-line block ×8, first 2 shown]
	v_lshlrev_b32_e32 v24, 4, v0
	v_mov_b32_e32 v13, 0
	v_mov_b32_e32 v9, 0
	v_mov_b32_e32 v17, 0
	v_mov_b32_e32 v15, 0
	v_mov_b32_e32 v11, 0
	v_mov_b32_e32 v7, 0
	v_mov_b32_e32 v21, 0
	v_mov_b32_e32 v19, 0
	s_mov_b64 s[0:1], 0
.LBB1652_2:                             ; =>This Inner Loop Header: Depth=1
	flat_load_dwordx4 v[26:29], v[2:3]
	s_add_u32 s0, s0, 8
	v_add_co_u32_e32 v2, vcc, 0x80, v2
	s_addc_u32 s1, s1, 0
	v_addc_co_u32_e32 v3, vcc, 0, v3, vcc
	s_waitcnt vmcnt(0) lgkmcnt(0)
	ds_write_b128 v22, v[26:29]
	flat_load_dwordx4 v[26:29], v[4:5]
	v_add_co_u32_e32 v4, vcc, 0x80, v4
	v_addc_co_u32_e32 v5, vcc, 0, v5, vcc
	s_waitcnt vmcnt(0) lgkmcnt(0)
	ds_write_b128 v23, v[26:29]
	s_waitcnt lgkmcnt(0)
	s_barrier
	ds_read_b128 v[26:29], v25
	ds_read_b128 v[30:33], v25 offset:16
	ds_read_b128 v[34:37], v25 offset:32
	;; [unrolled: 1-line block ×3, first 2 shown]
	ds_read_b128 v[42:45], v24
	s_waitcnt lgkmcnt(0)
	v_mul_f64 v[46:47], v[28:29], v[44:45]
	v_mul_f64 v[48:49], v[26:27], v[44:45]
	v_fma_f64 v[46:47], v[26:27], v[42:43], -v[46:47]
	v_fma_f64 v[48:49], v[28:29], v[42:43], v[48:49]
	v_add_f64 v[46:47], v[18:19], v[46:47]
	v_add_f64 v[48:49], v[48:49], v[20:21]
	ds_read_b128 v[18:21], v24 offset:256
	s_waitcnt lgkmcnt(0)
	v_mul_f64 v[50:51], v[28:29], v[20:21]
	v_fma_f64 v[50:51], v[26:27], v[18:19], -v[50:51]
	v_mul_f64 v[26:27], v[26:27], v[20:21]
	v_add_f64 v[50:51], v[6:7], v[50:51]
	v_fma_f64 v[26:27], v[28:29], v[18:19], v[26:27]
	v_add_f64 v[52:53], v[26:27], v[10:11]
	ds_read_b128 v[26:29], v25 offset:2048
	s_waitcnt lgkmcnt(0)
	v_mul_f64 v[6:7], v[28:29], v[44:45]
	v_mul_f64 v[10:11], v[26:27], v[44:45]
	v_fma_f64 v[6:7], v[26:27], v[42:43], -v[6:7]
	v_fma_f64 v[10:11], v[28:29], v[42:43], v[10:11]
	v_add_f64 v[42:43], v[14:15], v[6:7]
	v_mul_f64 v[6:7], v[28:29], v[20:21]
	v_add_f64 v[44:45], v[10:11], v[16:17]
	v_mul_f64 v[10:11], v[26:27], v[20:21]
	v_fma_f64 v[6:7], v[26:27], v[18:19], -v[6:7]
	v_fma_f64 v[10:11], v[28:29], v[18:19], v[10:11]
	v_add_f64 v[18:19], v[8:9], v[6:7]
	ds_read_b128 v[6:9], v24 offset:512
	v_add_f64 v[20:21], v[10:11], v[12:13]
	s_waitcnt lgkmcnt(0)
	v_mul_f64 v[10:11], v[32:33], v[8:9]
	v_mul_f64 v[12:13], v[30:31], v[8:9]
	v_fma_f64 v[10:11], v[30:31], v[6:7], -v[10:11]
	v_fma_f64 v[12:13], v[32:33], v[6:7], v[12:13]
	v_add_f64 v[26:27], v[46:47], v[10:11]
	v_add_f64 v[28:29], v[12:13], v[48:49]
	ds_read_b128 v[10:13], v24 offset:768
	s_waitcnt lgkmcnt(0)
	v_mul_f64 v[14:15], v[32:33], v[12:13]
	v_mul_f64 v[16:17], v[30:31], v[12:13]
	v_fma_f64 v[14:15], v[30:31], v[10:11], -v[14:15]
	v_fma_f64 v[16:17], v[32:33], v[10:11], v[16:17]
	v_add_f64 v[30:31], v[50:51], v[14:15]
	v_add_f64 v[32:33], v[16:17], v[52:53]
	ds_read_b128 v[14:17], v25 offset:2064
	s_waitcnt lgkmcnt(0)
	v_mul_f64 v[46:47], v[16:17], v[8:9]
	v_mul_f64 v[8:9], v[14:15], v[8:9]
	v_fma_f64 v[46:47], v[14:15], v[6:7], -v[46:47]
	v_fma_f64 v[6:7], v[16:17], v[6:7], v[8:9]
	v_mul_f64 v[8:9], v[14:15], v[12:13]
	v_add_f64 v[42:43], v[42:43], v[46:47]
	v_add_f64 v[44:45], v[6:7], v[44:45]
	v_mul_f64 v[6:7], v[16:17], v[12:13]
	v_fma_f64 v[8:9], v[16:17], v[10:11], v[8:9]
	v_fma_f64 v[6:7], v[14:15], v[10:11], -v[6:7]
	v_add_f64 v[20:21], v[8:9], v[20:21]
	v_add_f64 v[18:19], v[18:19], v[6:7]
	ds_read_b128 v[6:9], v24 offset:1024
	s_waitcnt lgkmcnt(0)
	v_mul_f64 v[10:11], v[36:37], v[8:9]
	v_mul_f64 v[12:13], v[34:35], v[8:9]
	v_fma_f64 v[10:11], v[34:35], v[6:7], -v[10:11]
	v_fma_f64 v[12:13], v[36:37], v[6:7], v[12:13]
	v_add_f64 v[26:27], v[26:27], v[10:11]
	v_add_f64 v[28:29], v[12:13], v[28:29]
	ds_read_b128 v[10:13], v24 offset:1280
	s_waitcnt lgkmcnt(0)
	v_mul_f64 v[14:15], v[36:37], v[12:13]
	v_mul_f64 v[16:17], v[34:35], v[12:13]
	v_fma_f64 v[14:15], v[34:35], v[10:11], -v[14:15]
	v_fma_f64 v[16:17], v[36:37], v[10:11], v[16:17]
	v_add_f64 v[30:31], v[30:31], v[14:15]
	v_add_f64 v[32:33], v[16:17], v[32:33]
	ds_read_b128 v[14:17], v25 offset:2080
	s_waitcnt lgkmcnt(0)
	v_mul_f64 v[34:35], v[16:17], v[8:9]
	v_mul_f64 v[8:9], v[14:15], v[8:9]
	v_fma_f64 v[34:35], v[14:15], v[6:7], -v[34:35]
	v_fma_f64 v[6:7], v[16:17], v[6:7], v[8:9]
	v_mul_f64 v[8:9], v[14:15], v[12:13]
	v_add_f64 v[34:35], v[42:43], v[34:35]
	v_add_f64 v[36:37], v[6:7], v[44:45]
	v_mul_f64 v[6:7], v[16:17], v[12:13]
	v_fma_f64 v[8:9], v[16:17], v[10:11], v[8:9]
	v_fma_f64 v[6:7], v[14:15], v[10:11], -v[6:7]
	v_add_f64 v[20:21], v[8:9], v[20:21]
	v_add_f64 v[18:19], v[18:19], v[6:7]
	ds_read_b128 v[6:9], v24 offset:1536
	;; [unrolled: 30-line block ×3, first 2 shown]
	ds_read_b128 v[10:13], v24 offset:2048
	s_waitcnt lgkmcnt(0)
	v_mul_f64 v[14:15], v[8:9], v[12:13]
	v_mul_f64 v[16:17], v[6:7], v[12:13]
	v_fma_f64 v[14:15], v[6:7], v[10:11], -v[14:15]
	v_fma_f64 v[16:17], v[8:9], v[10:11], v[16:17]
	v_add_f64 v[26:27], v[26:27], v[14:15]
	v_add_f64 v[28:29], v[16:17], v[28:29]
	ds_read_b128 v[14:17], v24 offset:2304
	s_waitcnt lgkmcnt(0)
	v_mul_f64 v[38:39], v[8:9], v[16:17]
	v_fma_f64 v[38:39], v[6:7], v[14:15], -v[38:39]
	v_mul_f64 v[6:7], v[6:7], v[16:17]
	v_add_f64 v[30:31], v[30:31], v[38:39]
	v_fma_f64 v[6:7], v[8:9], v[14:15], v[6:7]
	v_add_f64 v[32:33], v[6:7], v[32:33]
	ds_read_b128 v[6:9], v25 offset:2112
	s_waitcnt lgkmcnt(0)
	v_mul_f64 v[38:39], v[8:9], v[12:13]
	v_mul_f64 v[12:13], v[6:7], v[12:13]
	v_fma_f64 v[38:39], v[6:7], v[10:11], -v[38:39]
	v_fma_f64 v[10:11], v[8:9], v[10:11], v[12:13]
	v_add_f64 v[34:35], v[34:35], v[38:39]
	v_add_f64 v[36:37], v[10:11], v[36:37]
	v_mul_f64 v[10:11], v[8:9], v[16:17]
	v_fma_f64 v[10:11], v[6:7], v[14:15], -v[10:11]
	v_mul_f64 v[6:7], v[6:7], v[16:17]
	v_add_f64 v[18:19], v[18:19], v[10:11]
	v_fma_f64 v[6:7], v[8:9], v[14:15], v[6:7]
	v_add_f64 v[20:21], v[6:7], v[20:21]
	ds_read_b128 v[6:9], v25 offset:80
	ds_read_b128 v[10:13], v24 offset:2560
	s_waitcnt lgkmcnt(0)
	v_mul_f64 v[14:15], v[8:9], v[12:13]
	v_mul_f64 v[16:17], v[6:7], v[12:13]
	v_fma_f64 v[14:15], v[6:7], v[10:11], -v[14:15]
	v_fma_f64 v[16:17], v[8:9], v[10:11], v[16:17]
	v_add_f64 v[26:27], v[26:27], v[14:15]
	v_add_f64 v[28:29], v[16:17], v[28:29]
	ds_read_b128 v[14:17], v24 offset:2816
	s_waitcnt lgkmcnt(0)
	v_mul_f64 v[38:39], v[8:9], v[16:17]
	v_fma_f64 v[38:39], v[6:7], v[14:15], -v[38:39]
	v_mul_f64 v[6:7], v[6:7], v[16:17]
	v_add_f64 v[30:31], v[30:31], v[38:39]
	v_fma_f64 v[6:7], v[8:9], v[14:15], v[6:7]
	v_add_f64 v[32:33], v[6:7], v[32:33]
	ds_read_b128 v[6:9], v25 offset:2128
	s_waitcnt lgkmcnt(0)
	v_mul_f64 v[38:39], v[8:9], v[12:13]
	v_mul_f64 v[12:13], v[6:7], v[12:13]
	v_fma_f64 v[38:39], v[6:7], v[10:11], -v[38:39]
	v_fma_f64 v[10:11], v[8:9], v[10:11], v[12:13]
	v_add_f64 v[34:35], v[34:35], v[38:39]
	v_add_f64 v[36:37], v[10:11], v[36:37]
	v_mul_f64 v[10:11], v[8:9], v[16:17]
	v_fma_f64 v[10:11], v[6:7], v[14:15], -v[10:11]
	v_mul_f64 v[6:7], v[6:7], v[16:17]
	v_add_f64 v[18:19], v[18:19], v[10:11]
	v_fma_f64 v[6:7], v[8:9], v[14:15], v[6:7]
	v_add_f64 v[20:21], v[6:7], v[20:21]
	ds_read_b128 v[6:9], v25 offset:96
	ds_read_b128 v[10:13], v24 offset:3072
	s_waitcnt lgkmcnt(0)
	v_mul_f64 v[14:15], v[8:9], v[12:13]
	v_mul_f64 v[16:17], v[6:7], v[12:13]
	v_fma_f64 v[14:15], v[6:7], v[10:11], -v[14:15]
	v_fma_f64 v[16:17], v[8:9], v[10:11], v[16:17]
	v_add_f64 v[26:27], v[26:27], v[14:15]
	v_add_f64 v[28:29], v[16:17], v[28:29]
	ds_read_b128 v[14:17], v24 offset:3328
	s_waitcnt lgkmcnt(0)
	v_mul_f64 v[38:39], v[8:9], v[16:17]
	v_fma_f64 v[38:39], v[6:7], v[14:15], -v[38:39]
	v_mul_f64 v[6:7], v[6:7], v[16:17]
	v_add_f64 v[30:31], v[30:31], v[38:39]
	v_fma_f64 v[6:7], v[8:9], v[14:15], v[6:7]
	v_add_f64 v[32:33], v[6:7], v[32:33]
	ds_read_b128 v[6:9], v25 offset:2144
	s_waitcnt lgkmcnt(0)
	v_mul_f64 v[38:39], v[8:9], v[12:13]
	v_mul_f64 v[12:13], v[6:7], v[12:13]
	v_fma_f64 v[38:39], v[6:7], v[10:11], -v[38:39]
	v_fma_f64 v[10:11], v[8:9], v[10:11], v[12:13]
	v_add_f64 v[34:35], v[34:35], v[38:39]
	v_add_f64 v[36:37], v[10:11], v[36:37]
	v_mul_f64 v[10:11], v[8:9], v[16:17]
	v_fma_f64 v[10:11], v[6:7], v[14:15], -v[10:11]
	v_mul_f64 v[6:7], v[6:7], v[16:17]
	v_add_f64 v[38:39], v[18:19], v[10:11]
	v_fma_f64 v[6:7], v[8:9], v[14:15], v[6:7]
	v_add_f64 v[40:41], v[6:7], v[20:21]
	ds_read_b128 v[6:9], v25 offset:112
	ds_read_b128 v[12:15], v24 offset:3584
	s_waitcnt lgkmcnt(0)
	v_mul_f64 v[10:11], v[8:9], v[14:15]
	v_mul_f64 v[16:17], v[6:7], v[14:15]
	v_fma_f64 v[10:11], v[6:7], v[12:13], -v[10:11]
	v_fma_f64 v[16:17], v[8:9], v[12:13], v[16:17]
	v_add_f64 v[18:19], v[26:27], v[10:11]
	v_add_f64 v[20:21], v[16:17], v[28:29]
	ds_read_b128 v[26:29], v24 offset:3840
	s_waitcnt lgkmcnt(0)
	v_mul_f64 v[10:11], v[8:9], v[28:29]
	v_fma_f64 v[10:11], v[6:7], v[26:27], -v[10:11]
	v_mul_f64 v[6:7], v[6:7], v[28:29]
	v_fma_f64 v[8:9], v[8:9], v[26:27], v[6:7]
	v_add_f64 v[6:7], v[30:31], v[10:11]
	v_add_f64 v[10:11], v[8:9], v[32:33]
	ds_read_b128 v[30:33], v25 offset:2160
	s_waitcnt lgkmcnt(0)
	s_barrier
	v_mul_f64 v[8:9], v[32:33], v[14:15]
	v_mul_f64 v[14:15], v[30:31], v[14:15]
	v_fma_f64 v[8:9], v[30:31], v[12:13], -v[8:9]
	v_fma_f64 v[12:13], v[32:33], v[12:13], v[14:15]
	v_add_f64 v[14:15], v[34:35], v[8:9]
	v_add_f64 v[16:17], v[12:13], v[36:37]
	v_mul_f64 v[8:9], v[32:33], v[28:29]
	v_mul_f64 v[12:13], v[30:31], v[28:29]
	v_fma_f64 v[8:9], v[30:31], v[26:27], -v[8:9]
	v_fma_f64 v[12:13], v[32:33], v[26:27], v[12:13]
	v_mov_b32_e32 v27, s1
	v_mov_b32_e32 v26, s0
	v_cmp_le_u64_e32 vcc, s[20:21], v[26:27]
	v_add_f64 v[8:9], v[38:39], v[8:9]
	v_add_f64 v[12:13], v[12:13], v[40:41]
	s_cbranch_vccz .LBB1652_2
	s_branch .LBB1652_4
.LBB1652_3:
	v_mov_b32_e32 v18, 0
	v_mov_b32_e32 v20, 0
	;; [unrolled: 1-line block ×16, first 2 shown]
.LBB1652_4:
	v_add_u32_e32 v4, s7, v1
	v_ashrrev_i32_e32 v1, 31, v4
	v_mul_lo_u32 v3, s18, v1
	v_mul_lo_u32 v5, s19, v4
	v_mad_u64_u32 v[1:2], s[0:1], s18, v4, 0
	s_load_dword s8, s[4:5], 0x0
	v_add_u32_e32 v0, s6, v0
	v_add3_u32 v2, v2, v3, v5
	v_lshlrev_b64 v[1:2], 4, v[1:2]
	s_waitcnt lgkmcnt(0)
	v_mov_b32_e32 v3, s3
	v_add_co_u32_e64 v5, s[0:1], s2, v1
	v_addc_co_u32_e64 v22, s[0:1], v3, v2, s[0:1]
	v_cmp_gt_i32_e32 vcc, s8, v4
	v_cmp_le_i32_e64 s[0:1], v0, v4
	s_and_b64 s[0:1], vcc, s[0:1]
	s_and_saveexec_b64 s[4:5], s[0:1]
	s_cbranch_execz .LBB1652_6
; %bb.5:
	v_ashrrev_i32_e32 v1, 31, v0
	v_lshlrev_b64 v[1:2], 4, v[0:1]
	v_mul_f64 v[27:28], s[24:25], v[20:21]
	v_add_co_u32_e64 v1, s[0:1], v5, v1
	v_addc_co_u32_e64 v2, s[0:1], v22, v2, s[0:1]
	flat_load_dwordx4 v[23:26], v[1:2]
	v_mul_f64 v[20:21], s[22:23], v[20:21]
	v_fma_f64 v[27:28], s[22:23], v[18:19], -v[27:28]
	v_fma_f64 v[20:21], s[24:25], v[18:19], v[20:21]
	s_waitcnt vmcnt(0) lgkmcnt(0)
	v_mul_f64 v[29:30], s[14:15], v[25:26]
	v_mul_f64 v[25:26], s[12:13], v[25:26]
	v_fma_f64 v[18:19], s[12:13], v[23:24], -v[29:30]
	v_fma_f64 v[23:24], s[14:15], v[23:24], v[25:26]
	v_add_f64 v[18:19], v[27:28], v[18:19]
	v_add_f64 v[20:21], v[20:21], v[23:24]
	flat_store_dwordx4 v[1:2], v[18:21]
.LBB1652_6:
	s_or_b64 exec, exec, s[4:5]
	v_add_u32_e32 v2, 16, v0
	v_cmp_le_i32_e64 s[0:1], v2, v4
	s_and_b64 s[4:5], vcc, s[0:1]
	s_and_saveexec_b64 s[0:1], s[4:5]
	s_cbranch_execz .LBB1652_8
; %bb.7:
	v_ashrrev_i32_e32 v3, 31, v2
	v_lshlrev_b64 v[18:19], 4, v[2:3]
	v_mul_f64 v[25:26], s[24:25], v[10:11]
	v_add_co_u32_e32 v23, vcc, v5, v18
	v_addc_co_u32_e32 v24, vcc, v22, v19, vcc
	flat_load_dwordx4 v[18:21], v[23:24]
	v_mul_f64 v[10:11], s[22:23], v[10:11]
	v_fma_f64 v[25:26], s[22:23], v[6:7], -v[25:26]
	v_fma_f64 v[5:6], s[24:25], v[6:7], v[10:11]
	s_waitcnt vmcnt(0) lgkmcnt(0)
	v_mul_f64 v[27:28], s[14:15], v[20:21]
	v_mul_f64 v[20:21], s[12:13], v[20:21]
	v_fma_f64 v[10:11], s[12:13], v[18:19], -v[27:28]
	v_fma_f64 v[20:21], s[14:15], v[18:19], v[20:21]
	v_add_f64 v[18:19], v[25:26], v[10:11]
	v_add_f64 v[20:21], v[5:6], v[20:21]
	flat_store_dwordx4 v[23:24], v[18:21]
.LBB1652_8:
	s_or_b64 exec, exec, s[0:1]
	v_add_u32_e32 v3, 16, v4
	v_ashrrev_i32_e32 v1, 31, v3
	v_mul_lo_u32 v1, s18, v1
	v_mul_lo_u32 v6, s19, v3
	v_mad_u64_u32 v[4:5], s[0:1], s18, v3, 0
	v_cmp_gt_i32_e32 vcc, s8, v3
	v_add3_u32 v5, v5, v1, v6
	v_lshlrev_b64 v[4:5], 4, v[4:5]
	v_mov_b32_e32 v1, s3
	v_add_co_u32_e64 v4, s[0:1], s2, v4
	v_addc_co_u32_e64 v5, s[0:1], v1, v5, s[0:1]
	v_cmp_le_i32_e64 s[0:1], v0, v3
	s_and_b64 s[0:1], vcc, s[0:1]
	s_and_saveexec_b64 s[2:3], s[0:1]
	s_cbranch_execz .LBB1652_10
; %bb.9:
	v_ashrrev_i32_e32 v1, 31, v0
	v_lshlrev_b64 v[0:1], 4, v[0:1]
	v_mul_f64 v[6:7], s[24:25], v[16:17]
	v_add_co_u32_e64 v0, s[0:1], v4, v0
	v_addc_co_u32_e64 v1, s[0:1], v5, v1, s[0:1]
	flat_load_dwordx4 v[18:21], v[0:1]
	v_mul_f64 v[10:11], s[22:23], v[16:17]
	v_fma_f64 v[6:7], s[22:23], v[14:15], -v[6:7]
	v_fma_f64 v[10:11], s[24:25], v[14:15], v[10:11]
	s_waitcnt vmcnt(0) lgkmcnt(0)
	v_mul_f64 v[16:17], s[14:15], v[20:21]
	v_mul_f64 v[20:21], s[12:13], v[20:21]
	v_fma_f64 v[14:15], s[12:13], v[18:19], -v[16:17]
	v_fma_f64 v[16:17], s[14:15], v[18:19], v[20:21]
	v_add_f64 v[14:15], v[6:7], v[14:15]
	v_add_f64 v[16:17], v[10:11], v[16:17]
	flat_store_dwordx4 v[0:1], v[14:17]
.LBB1652_10:
	s_or_b64 exec, exec, s[2:3]
	v_cmp_le_i32_e64 s[0:1], v2, v3
	s_and_b64 s[0:1], vcc, s[0:1]
	s_and_saveexec_b64 s[2:3], s[0:1]
	s_cbranch_execz .LBB1652_12
; %bb.11:
	v_ashrrev_i32_e32 v3, 31, v2
	v_lshlrev_b64 v[0:1], 4, v[2:3]
	v_mul_f64 v[6:7], s[24:25], v[12:13]
	v_add_co_u32_e32 v4, vcc, v4, v0
	v_addc_co_u32_e32 v5, vcc, v5, v1, vcc
	flat_load_dwordx4 v[0:3], v[4:5]
	v_mul_f64 v[10:11], s[22:23], v[12:13]
	v_fma_f64 v[6:7], s[22:23], v[8:9], -v[6:7]
	v_fma_f64 v[8:9], s[24:25], v[8:9], v[10:11]
	s_waitcnt vmcnt(0) lgkmcnt(0)
	v_mul_f64 v[12:13], s[14:15], v[2:3]
	v_mul_f64 v[2:3], s[12:13], v[2:3]
	v_fma_f64 v[10:11], s[12:13], v[0:1], -v[12:13]
	v_fma_f64 v[2:3], s[14:15], v[0:1], v[2:3]
	v_add_f64 v[0:1], v[6:7], v[10:11]
	v_add_f64 v[2:3], v[8:9], v[2:3]
	flat_store_dwordx4 v[4:5], v[0:3]
.LBB1652_12:
	s_endpgm
	.section	.rodata,"a",@progbits
	.p2align	6, 0x0
	.amdhsa_kernel _ZL37rocblas_syrkx_herkx_restricted_kernelIl19rocblas_complex_numIdELi16ELi32ELi8ELb0ELb0ELc84ELc85EKPKS1_KPS1_EviT_T0_PT8_S7_lSA_S7_lS8_PT9_S7_li
		.amdhsa_group_segment_fixed_size 8192
		.amdhsa_private_segment_fixed_size 0
		.amdhsa_kernarg_size 124
		.amdhsa_user_sgpr_count 6
		.amdhsa_user_sgpr_private_segment_buffer 1
		.amdhsa_user_sgpr_dispatch_ptr 0
		.amdhsa_user_sgpr_queue_ptr 0
		.amdhsa_user_sgpr_kernarg_segment_ptr 1
		.amdhsa_user_sgpr_dispatch_id 0
		.amdhsa_user_sgpr_flat_scratch_init 0
		.amdhsa_user_sgpr_private_segment_size 0
		.amdhsa_uses_dynamic_stack 0
		.amdhsa_system_sgpr_private_segment_wavefront_offset 0
		.amdhsa_system_sgpr_workgroup_id_x 1
		.amdhsa_system_sgpr_workgroup_id_y 1
		.amdhsa_system_sgpr_workgroup_id_z 1
		.amdhsa_system_sgpr_workgroup_info 0
		.amdhsa_system_vgpr_workitem_id 1
		.amdhsa_next_free_vgpr 54
		.amdhsa_next_free_sgpr 61
		.amdhsa_reserve_vcc 1
		.amdhsa_reserve_flat_scratch 0
		.amdhsa_float_round_mode_32 0
		.amdhsa_float_round_mode_16_64 0
		.amdhsa_float_denorm_mode_32 3
		.amdhsa_float_denorm_mode_16_64 3
		.amdhsa_dx10_clamp 1
		.amdhsa_ieee_mode 1
		.amdhsa_fp16_overflow 0
		.amdhsa_exception_fp_ieee_invalid_op 0
		.amdhsa_exception_fp_denorm_src 0
		.amdhsa_exception_fp_ieee_div_zero 0
		.amdhsa_exception_fp_ieee_overflow 0
		.amdhsa_exception_fp_ieee_underflow 0
		.amdhsa_exception_fp_ieee_inexact 0
		.amdhsa_exception_int_div_zero 0
	.end_amdhsa_kernel
	.section	.text._ZL37rocblas_syrkx_herkx_restricted_kernelIl19rocblas_complex_numIdELi16ELi32ELi8ELb0ELb0ELc84ELc85EKPKS1_KPS1_EviT_T0_PT8_S7_lSA_S7_lS8_PT9_S7_li,"axG",@progbits,_ZL37rocblas_syrkx_herkx_restricted_kernelIl19rocblas_complex_numIdELi16ELi32ELi8ELb0ELb0ELc84ELc85EKPKS1_KPS1_EviT_T0_PT8_S7_lSA_S7_lS8_PT9_S7_li,comdat
.Lfunc_end1652:
	.size	_ZL37rocblas_syrkx_herkx_restricted_kernelIl19rocblas_complex_numIdELi16ELi32ELi8ELb0ELb0ELc84ELc85EKPKS1_KPS1_EviT_T0_PT8_S7_lSA_S7_lS8_PT9_S7_li, .Lfunc_end1652-_ZL37rocblas_syrkx_herkx_restricted_kernelIl19rocblas_complex_numIdELi16ELi32ELi8ELb0ELb0ELc84ELc85EKPKS1_KPS1_EviT_T0_PT8_S7_lSA_S7_lS8_PT9_S7_li
                                        ; -- End function
	.set _ZL37rocblas_syrkx_herkx_restricted_kernelIl19rocblas_complex_numIdELi16ELi32ELi8ELb0ELb0ELc84ELc85EKPKS1_KPS1_EviT_T0_PT8_S7_lSA_S7_lS8_PT9_S7_li.num_vgpr, 54
	.set _ZL37rocblas_syrkx_herkx_restricted_kernelIl19rocblas_complex_numIdELi16ELi32ELi8ELb0ELb0ELc84ELc85EKPKS1_KPS1_EviT_T0_PT8_S7_lSA_S7_lS8_PT9_S7_li.num_agpr, 0
	.set _ZL37rocblas_syrkx_herkx_restricted_kernelIl19rocblas_complex_numIdELi16ELi32ELi8ELb0ELb0ELc84ELc85EKPKS1_KPS1_EviT_T0_PT8_S7_lSA_S7_lS8_PT9_S7_li.numbered_sgpr, 32
	.set _ZL37rocblas_syrkx_herkx_restricted_kernelIl19rocblas_complex_numIdELi16ELi32ELi8ELb0ELb0ELc84ELc85EKPKS1_KPS1_EviT_T0_PT8_S7_lSA_S7_lS8_PT9_S7_li.num_named_barrier, 0
	.set _ZL37rocblas_syrkx_herkx_restricted_kernelIl19rocblas_complex_numIdELi16ELi32ELi8ELb0ELb0ELc84ELc85EKPKS1_KPS1_EviT_T0_PT8_S7_lSA_S7_lS8_PT9_S7_li.private_seg_size, 0
	.set _ZL37rocblas_syrkx_herkx_restricted_kernelIl19rocblas_complex_numIdELi16ELi32ELi8ELb0ELb0ELc84ELc85EKPKS1_KPS1_EviT_T0_PT8_S7_lSA_S7_lS8_PT9_S7_li.uses_vcc, 1
	.set _ZL37rocblas_syrkx_herkx_restricted_kernelIl19rocblas_complex_numIdELi16ELi32ELi8ELb0ELb0ELc84ELc85EKPKS1_KPS1_EviT_T0_PT8_S7_lSA_S7_lS8_PT9_S7_li.uses_flat_scratch, 0
	.set _ZL37rocblas_syrkx_herkx_restricted_kernelIl19rocblas_complex_numIdELi16ELi32ELi8ELb0ELb0ELc84ELc85EKPKS1_KPS1_EviT_T0_PT8_S7_lSA_S7_lS8_PT9_S7_li.has_dyn_sized_stack, 0
	.set _ZL37rocblas_syrkx_herkx_restricted_kernelIl19rocblas_complex_numIdELi16ELi32ELi8ELb0ELb0ELc84ELc85EKPKS1_KPS1_EviT_T0_PT8_S7_lSA_S7_lS8_PT9_S7_li.has_recursion, 0
	.set _ZL37rocblas_syrkx_herkx_restricted_kernelIl19rocblas_complex_numIdELi16ELi32ELi8ELb0ELb0ELc84ELc85EKPKS1_KPS1_EviT_T0_PT8_S7_lSA_S7_lS8_PT9_S7_li.has_indirect_call, 0
	.section	.AMDGPU.csdata,"",@progbits
; Kernel info:
; codeLenInByte = 3208
; TotalNumSgprs: 36
; NumVgprs: 54
; ScratchSize: 0
; MemoryBound: 0
; FloatMode: 240
; IeeeMode: 1
; LDSByteSize: 8192 bytes/workgroup (compile time only)
; SGPRBlocks: 8
; VGPRBlocks: 13
; NumSGPRsForWavesPerEU: 65
; NumVGPRsForWavesPerEU: 54
; Occupancy: 4
; WaveLimiterHint : 1
; COMPUTE_PGM_RSRC2:SCRATCH_EN: 0
; COMPUTE_PGM_RSRC2:USER_SGPR: 6
; COMPUTE_PGM_RSRC2:TRAP_HANDLER: 0
; COMPUTE_PGM_RSRC2:TGID_X_EN: 1
; COMPUTE_PGM_RSRC2:TGID_Y_EN: 1
; COMPUTE_PGM_RSRC2:TGID_Z_EN: 1
; COMPUTE_PGM_RSRC2:TIDIG_COMP_CNT: 1
	.section	.text._ZL37rocblas_syrkx_herkx_restricted_kernelIl19rocblas_complex_numIdELi16ELi32ELi8ELb0ELb0ELc67ELc85EKPKS1_KPS1_EviT_T0_PT8_S7_lSA_S7_lS8_PT9_S7_li,"axG",@progbits,_ZL37rocblas_syrkx_herkx_restricted_kernelIl19rocblas_complex_numIdELi16ELi32ELi8ELb0ELb0ELc67ELc85EKPKS1_KPS1_EviT_T0_PT8_S7_lSA_S7_lS8_PT9_S7_li,comdat
	.globl	_ZL37rocblas_syrkx_herkx_restricted_kernelIl19rocblas_complex_numIdELi16ELi32ELi8ELb0ELb0ELc67ELc85EKPKS1_KPS1_EviT_T0_PT8_S7_lSA_S7_lS8_PT9_S7_li ; -- Begin function _ZL37rocblas_syrkx_herkx_restricted_kernelIl19rocblas_complex_numIdELi16ELi32ELi8ELb0ELb0ELc67ELc85EKPKS1_KPS1_EviT_T0_PT8_S7_lSA_S7_lS8_PT9_S7_li
	.p2align	8
	.type	_ZL37rocblas_syrkx_herkx_restricted_kernelIl19rocblas_complex_numIdELi16ELi32ELi8ELb0ELb0ELc67ELc85EKPKS1_KPS1_EviT_T0_PT8_S7_lSA_S7_lS8_PT9_S7_li,@function
_ZL37rocblas_syrkx_herkx_restricted_kernelIl19rocblas_complex_numIdELi16ELi32ELi8ELb0ELb0ELc67ELc85EKPKS1_KPS1_EviT_T0_PT8_S7_lSA_S7_lS8_PT9_S7_li: ; @_ZL37rocblas_syrkx_herkx_restricted_kernelIl19rocblas_complex_numIdELi16ELi32ELi8ELb0ELb0ELc67ELc85EKPKS1_KPS1_EviT_T0_PT8_S7_lSA_S7_lS8_PT9_S7_li
; %bb.0:
	s_load_dwordx8 s[12:19], s[4:5], 0x50
	s_load_dwordx8 s[20:27], s[4:5], 0x8
	s_load_dwordx2 s[0:1], s[4:5], 0x28
	s_mov_b32 s9, 0
	s_lshl_b64 s[8:9], s[8:9], 3
	s_waitcnt lgkmcnt(0)
	s_add_u32 s2, s16, s8
	s_addc_u32 s3, s17, s9
	s_load_dwordx2 s[2:3], s[2:3], 0x0
	v_cmp_lt_i64_e64 s[10:11], s[20:21], 1
	s_lshl_b32 s6, s6, 5
	s_lshl_b32 s7, s7, 5
	s_and_b64 vcc, exec, s[10:11]
	s_cbranch_vccnz .LBB1653_3
; %bb.1:
	s_load_dwordx4 s[28:31], s[4:5], 0x38
	v_lshl_add_u32 v7, v1, 4, v0
	v_lshrrev_b32_e32 v8, 3, v7
	v_add_u32_e32 v4, s7, v8
	v_and_b32_e32 v2, 7, v0
	v_ashrrev_i32_e32 v5, 31, v4
	v_mov_b32_e32 v3, 0
	s_waitcnt lgkmcnt(0)
	v_mul_lo_u32 v9, s30, v5
	v_mul_lo_u32 v10, s31, v4
	v_mad_u64_u32 v[4:5], s[16:17], s30, v4, v[2:3]
	v_and_b32_e32 v11, 31, v7
	v_lshlrev_b32_e32 v2, 4, v2
	v_lshl_or_b32 v2, v8, 7, v2
	v_add_u32_e32 v8, s6, v11
	v_lshrrev_b32_e32 v6, 5, v7
	v_mov_b32_e32 v7, v3
	v_lshlrev_b32_e32 v3, 4, v11
	v_add_u32_e32 v23, 0x1000, v2
	v_ashrrev_i32_e32 v2, 31, v8
	s_add_u32 s10, s26, s8
	v_add3_u32 v5, v10, v5, v9
	v_lshl_or_b32 v22, v6, 9, v3
	v_mul_lo_u32 v9, s0, v2
	v_mad_u64_u32 v[2:3], s[16:17], s0, v8, v[6:7]
	v_mul_lo_u32 v6, s1, v8
	s_addc_u32 s11, s27, s9
	s_load_dwordx2 s[10:11], s[10:11], 0x0
	s_add_u32 s8, s28, s8
	s_addc_u32 s9, s29, s9
	s_load_dwordx2 s[8:9], s[8:9], 0x0
	v_add3_u32 v3, v6, v3, v9
	v_lshlrev_b64 v[2:3], 4, v[2:3]
	s_waitcnt lgkmcnt(0)
	v_mov_b32_e32 v6, s11
	v_add_co_u32_e32 v2, vcc, s10, v2
	v_lshlrev_b64 v[4:5], 4, v[4:5]
	v_addc_co_u32_e32 v3, vcc, v6, v3, vcc
	v_mov_b32_e32 v7, 0x1000
	v_mov_b32_e32 v6, s9
	v_add_co_u32_e32 v4, vcc, s8, v4
	v_lshl_add_u32 v25, v1, 7, v7
	v_addc_co_u32_e32 v5, vcc, v6, v5, vcc
	v_mov_b32_e32 v12, 0
	v_mov_b32_e32 v8, 0
	;; [unrolled: 1-line block ×8, first 2 shown]
	v_lshlrev_b32_e32 v24, 4, v0
	v_mov_b32_e32 v13, 0
	v_mov_b32_e32 v9, 0
	;; [unrolled: 1-line block ×8, first 2 shown]
	s_mov_b64 s[0:1], 0
.LBB1653_2:                             ; =>This Inner Loop Header: Depth=1
	flat_load_dwordx4 v[26:29], v[2:3]
	s_add_u32 s0, s0, 8
	v_add_co_u32_e32 v2, vcc, 0x80, v2
	s_addc_u32 s1, s1, 0
	v_addc_co_u32_e32 v3, vcc, 0, v3, vcc
	s_waitcnt vmcnt(0) lgkmcnt(0)
	ds_write_b128 v22, v[26:29]
	flat_load_dwordx4 v[26:29], v[4:5]
	v_add_co_u32_e32 v4, vcc, 0x80, v4
	v_addc_co_u32_e32 v5, vcc, 0, v5, vcc
	s_waitcnt vmcnt(0) lgkmcnt(0)
	ds_write_b128 v23, v[26:29]
	s_waitcnt lgkmcnt(0)
	s_barrier
	ds_read_b128 v[26:29], v25
	ds_read_b128 v[30:33], v25 offset:16
	ds_read_b128 v[34:37], v25 offset:32
	;; [unrolled: 1-line block ×3, first 2 shown]
	ds_read_b128 v[42:45], v24
	s_waitcnt lgkmcnt(0)
	v_mul_f64 v[46:47], v[28:29], v[44:45]
	v_mul_f64 v[48:49], v[26:27], v[44:45]
	v_fma_f64 v[46:47], v[26:27], v[42:43], -v[46:47]
	v_fma_f64 v[48:49], v[28:29], v[42:43], v[48:49]
	v_add_f64 v[46:47], v[18:19], v[46:47]
	v_add_f64 v[48:49], v[48:49], v[20:21]
	ds_read_b128 v[18:21], v24 offset:256
	s_waitcnt lgkmcnt(0)
	v_mul_f64 v[50:51], v[28:29], v[20:21]
	v_fma_f64 v[50:51], v[26:27], v[18:19], -v[50:51]
	v_mul_f64 v[26:27], v[26:27], v[20:21]
	v_add_f64 v[50:51], v[6:7], v[50:51]
	v_fma_f64 v[26:27], v[28:29], v[18:19], v[26:27]
	v_add_f64 v[52:53], v[26:27], v[10:11]
	ds_read_b128 v[26:29], v25 offset:2048
	s_waitcnt lgkmcnt(0)
	v_mul_f64 v[6:7], v[28:29], v[44:45]
	v_mul_f64 v[10:11], v[26:27], v[44:45]
	v_fma_f64 v[6:7], v[26:27], v[42:43], -v[6:7]
	v_fma_f64 v[10:11], v[28:29], v[42:43], v[10:11]
	v_add_f64 v[42:43], v[14:15], v[6:7]
	v_mul_f64 v[6:7], v[28:29], v[20:21]
	v_add_f64 v[44:45], v[10:11], v[16:17]
	v_mul_f64 v[10:11], v[26:27], v[20:21]
	v_fma_f64 v[6:7], v[26:27], v[18:19], -v[6:7]
	v_fma_f64 v[10:11], v[28:29], v[18:19], v[10:11]
	v_add_f64 v[18:19], v[8:9], v[6:7]
	ds_read_b128 v[6:9], v24 offset:512
	v_add_f64 v[20:21], v[10:11], v[12:13]
	s_waitcnt lgkmcnt(0)
	v_mul_f64 v[10:11], v[32:33], v[8:9]
	v_mul_f64 v[12:13], v[30:31], v[8:9]
	v_fma_f64 v[10:11], v[30:31], v[6:7], -v[10:11]
	v_fma_f64 v[12:13], v[32:33], v[6:7], v[12:13]
	v_add_f64 v[26:27], v[46:47], v[10:11]
	v_add_f64 v[28:29], v[12:13], v[48:49]
	ds_read_b128 v[10:13], v24 offset:768
	s_waitcnt lgkmcnt(0)
	v_mul_f64 v[14:15], v[32:33], v[12:13]
	v_mul_f64 v[16:17], v[30:31], v[12:13]
	v_fma_f64 v[14:15], v[30:31], v[10:11], -v[14:15]
	v_fma_f64 v[16:17], v[32:33], v[10:11], v[16:17]
	v_add_f64 v[30:31], v[50:51], v[14:15]
	v_add_f64 v[32:33], v[16:17], v[52:53]
	ds_read_b128 v[14:17], v25 offset:2064
	s_waitcnt lgkmcnt(0)
	v_mul_f64 v[46:47], v[16:17], v[8:9]
	v_mul_f64 v[8:9], v[14:15], v[8:9]
	v_fma_f64 v[46:47], v[14:15], v[6:7], -v[46:47]
	v_fma_f64 v[6:7], v[16:17], v[6:7], v[8:9]
	v_mul_f64 v[8:9], v[14:15], v[12:13]
	v_add_f64 v[42:43], v[42:43], v[46:47]
	v_add_f64 v[44:45], v[6:7], v[44:45]
	v_mul_f64 v[6:7], v[16:17], v[12:13]
	v_fma_f64 v[8:9], v[16:17], v[10:11], v[8:9]
	v_fma_f64 v[6:7], v[14:15], v[10:11], -v[6:7]
	v_add_f64 v[20:21], v[8:9], v[20:21]
	v_add_f64 v[18:19], v[18:19], v[6:7]
	ds_read_b128 v[6:9], v24 offset:1024
	s_waitcnt lgkmcnt(0)
	v_mul_f64 v[10:11], v[36:37], v[8:9]
	v_mul_f64 v[12:13], v[34:35], v[8:9]
	v_fma_f64 v[10:11], v[34:35], v[6:7], -v[10:11]
	v_fma_f64 v[12:13], v[36:37], v[6:7], v[12:13]
	v_add_f64 v[26:27], v[26:27], v[10:11]
	v_add_f64 v[28:29], v[12:13], v[28:29]
	ds_read_b128 v[10:13], v24 offset:1280
	s_waitcnt lgkmcnt(0)
	v_mul_f64 v[14:15], v[36:37], v[12:13]
	v_mul_f64 v[16:17], v[34:35], v[12:13]
	v_fma_f64 v[14:15], v[34:35], v[10:11], -v[14:15]
	v_fma_f64 v[16:17], v[36:37], v[10:11], v[16:17]
	v_add_f64 v[30:31], v[30:31], v[14:15]
	v_add_f64 v[32:33], v[16:17], v[32:33]
	ds_read_b128 v[14:17], v25 offset:2080
	s_waitcnt lgkmcnt(0)
	v_mul_f64 v[34:35], v[16:17], v[8:9]
	v_mul_f64 v[8:9], v[14:15], v[8:9]
	v_fma_f64 v[34:35], v[14:15], v[6:7], -v[34:35]
	v_fma_f64 v[6:7], v[16:17], v[6:7], v[8:9]
	v_mul_f64 v[8:9], v[14:15], v[12:13]
	v_add_f64 v[34:35], v[42:43], v[34:35]
	v_add_f64 v[36:37], v[6:7], v[44:45]
	v_mul_f64 v[6:7], v[16:17], v[12:13]
	v_fma_f64 v[8:9], v[16:17], v[10:11], v[8:9]
	v_fma_f64 v[6:7], v[14:15], v[10:11], -v[6:7]
	v_add_f64 v[20:21], v[8:9], v[20:21]
	v_add_f64 v[18:19], v[18:19], v[6:7]
	ds_read_b128 v[6:9], v24 offset:1536
	;; [unrolled: 30-line block ×3, first 2 shown]
	ds_read_b128 v[10:13], v24 offset:2048
	s_waitcnt lgkmcnt(0)
	v_mul_f64 v[14:15], v[8:9], v[12:13]
	v_mul_f64 v[16:17], v[6:7], v[12:13]
	v_fma_f64 v[14:15], v[6:7], v[10:11], -v[14:15]
	v_fma_f64 v[16:17], v[8:9], v[10:11], v[16:17]
	v_add_f64 v[26:27], v[26:27], v[14:15]
	v_add_f64 v[28:29], v[16:17], v[28:29]
	ds_read_b128 v[14:17], v24 offset:2304
	s_waitcnt lgkmcnt(0)
	v_mul_f64 v[38:39], v[8:9], v[16:17]
	v_fma_f64 v[38:39], v[6:7], v[14:15], -v[38:39]
	v_mul_f64 v[6:7], v[6:7], v[16:17]
	v_add_f64 v[30:31], v[30:31], v[38:39]
	v_fma_f64 v[6:7], v[8:9], v[14:15], v[6:7]
	v_add_f64 v[32:33], v[6:7], v[32:33]
	ds_read_b128 v[6:9], v25 offset:2112
	s_waitcnt lgkmcnt(0)
	v_mul_f64 v[38:39], v[8:9], v[12:13]
	v_mul_f64 v[12:13], v[6:7], v[12:13]
	v_fma_f64 v[38:39], v[6:7], v[10:11], -v[38:39]
	v_fma_f64 v[10:11], v[8:9], v[10:11], v[12:13]
	v_add_f64 v[34:35], v[34:35], v[38:39]
	v_add_f64 v[36:37], v[10:11], v[36:37]
	v_mul_f64 v[10:11], v[8:9], v[16:17]
	v_fma_f64 v[10:11], v[6:7], v[14:15], -v[10:11]
	v_mul_f64 v[6:7], v[6:7], v[16:17]
	v_add_f64 v[18:19], v[18:19], v[10:11]
	v_fma_f64 v[6:7], v[8:9], v[14:15], v[6:7]
	v_add_f64 v[20:21], v[6:7], v[20:21]
	ds_read_b128 v[6:9], v25 offset:80
	ds_read_b128 v[10:13], v24 offset:2560
	s_waitcnt lgkmcnt(0)
	v_mul_f64 v[14:15], v[8:9], v[12:13]
	v_mul_f64 v[16:17], v[6:7], v[12:13]
	v_fma_f64 v[14:15], v[6:7], v[10:11], -v[14:15]
	v_fma_f64 v[16:17], v[8:9], v[10:11], v[16:17]
	v_add_f64 v[26:27], v[26:27], v[14:15]
	v_add_f64 v[28:29], v[16:17], v[28:29]
	ds_read_b128 v[14:17], v24 offset:2816
	s_waitcnt lgkmcnt(0)
	v_mul_f64 v[38:39], v[8:9], v[16:17]
	v_fma_f64 v[38:39], v[6:7], v[14:15], -v[38:39]
	v_mul_f64 v[6:7], v[6:7], v[16:17]
	v_add_f64 v[30:31], v[30:31], v[38:39]
	v_fma_f64 v[6:7], v[8:9], v[14:15], v[6:7]
	v_add_f64 v[32:33], v[6:7], v[32:33]
	ds_read_b128 v[6:9], v25 offset:2128
	s_waitcnt lgkmcnt(0)
	v_mul_f64 v[38:39], v[8:9], v[12:13]
	v_mul_f64 v[12:13], v[6:7], v[12:13]
	v_fma_f64 v[38:39], v[6:7], v[10:11], -v[38:39]
	v_fma_f64 v[10:11], v[8:9], v[10:11], v[12:13]
	v_add_f64 v[34:35], v[34:35], v[38:39]
	v_add_f64 v[36:37], v[10:11], v[36:37]
	v_mul_f64 v[10:11], v[8:9], v[16:17]
	v_fma_f64 v[10:11], v[6:7], v[14:15], -v[10:11]
	v_mul_f64 v[6:7], v[6:7], v[16:17]
	v_add_f64 v[18:19], v[18:19], v[10:11]
	v_fma_f64 v[6:7], v[8:9], v[14:15], v[6:7]
	v_add_f64 v[20:21], v[6:7], v[20:21]
	ds_read_b128 v[6:9], v25 offset:96
	ds_read_b128 v[10:13], v24 offset:3072
	s_waitcnt lgkmcnt(0)
	v_mul_f64 v[14:15], v[8:9], v[12:13]
	v_mul_f64 v[16:17], v[6:7], v[12:13]
	v_fma_f64 v[14:15], v[6:7], v[10:11], -v[14:15]
	v_fma_f64 v[16:17], v[8:9], v[10:11], v[16:17]
	v_add_f64 v[26:27], v[26:27], v[14:15]
	v_add_f64 v[28:29], v[16:17], v[28:29]
	ds_read_b128 v[14:17], v24 offset:3328
	s_waitcnt lgkmcnt(0)
	v_mul_f64 v[38:39], v[8:9], v[16:17]
	v_fma_f64 v[38:39], v[6:7], v[14:15], -v[38:39]
	v_mul_f64 v[6:7], v[6:7], v[16:17]
	v_add_f64 v[30:31], v[30:31], v[38:39]
	v_fma_f64 v[6:7], v[8:9], v[14:15], v[6:7]
	v_add_f64 v[32:33], v[6:7], v[32:33]
	ds_read_b128 v[6:9], v25 offset:2144
	s_waitcnt lgkmcnt(0)
	v_mul_f64 v[38:39], v[8:9], v[12:13]
	v_mul_f64 v[12:13], v[6:7], v[12:13]
	v_fma_f64 v[38:39], v[6:7], v[10:11], -v[38:39]
	v_fma_f64 v[10:11], v[8:9], v[10:11], v[12:13]
	v_add_f64 v[34:35], v[34:35], v[38:39]
	v_add_f64 v[36:37], v[10:11], v[36:37]
	v_mul_f64 v[10:11], v[8:9], v[16:17]
	v_fma_f64 v[10:11], v[6:7], v[14:15], -v[10:11]
	v_mul_f64 v[6:7], v[6:7], v[16:17]
	v_add_f64 v[38:39], v[18:19], v[10:11]
	v_fma_f64 v[6:7], v[8:9], v[14:15], v[6:7]
	v_add_f64 v[40:41], v[6:7], v[20:21]
	ds_read_b128 v[6:9], v25 offset:112
	ds_read_b128 v[12:15], v24 offset:3584
	s_waitcnt lgkmcnt(0)
	v_mul_f64 v[10:11], v[8:9], v[14:15]
	v_mul_f64 v[16:17], v[6:7], v[14:15]
	v_fma_f64 v[10:11], v[6:7], v[12:13], -v[10:11]
	v_fma_f64 v[16:17], v[8:9], v[12:13], v[16:17]
	v_add_f64 v[18:19], v[26:27], v[10:11]
	v_add_f64 v[20:21], v[16:17], v[28:29]
	ds_read_b128 v[26:29], v24 offset:3840
	s_waitcnt lgkmcnt(0)
	v_mul_f64 v[10:11], v[8:9], v[28:29]
	v_fma_f64 v[10:11], v[6:7], v[26:27], -v[10:11]
	v_mul_f64 v[6:7], v[6:7], v[28:29]
	v_fma_f64 v[8:9], v[8:9], v[26:27], v[6:7]
	v_add_f64 v[6:7], v[30:31], v[10:11]
	v_add_f64 v[10:11], v[8:9], v[32:33]
	ds_read_b128 v[30:33], v25 offset:2160
	s_waitcnt lgkmcnt(0)
	s_barrier
	v_mul_f64 v[8:9], v[32:33], v[14:15]
	v_mul_f64 v[14:15], v[30:31], v[14:15]
	v_fma_f64 v[8:9], v[30:31], v[12:13], -v[8:9]
	v_fma_f64 v[12:13], v[32:33], v[12:13], v[14:15]
	v_add_f64 v[14:15], v[34:35], v[8:9]
	v_add_f64 v[16:17], v[12:13], v[36:37]
	v_mul_f64 v[8:9], v[32:33], v[28:29]
	v_mul_f64 v[12:13], v[30:31], v[28:29]
	v_fma_f64 v[8:9], v[30:31], v[26:27], -v[8:9]
	v_fma_f64 v[12:13], v[32:33], v[26:27], v[12:13]
	v_mov_b32_e32 v27, s1
	v_mov_b32_e32 v26, s0
	v_cmp_le_u64_e32 vcc, s[20:21], v[26:27]
	v_add_f64 v[8:9], v[38:39], v[8:9]
	v_add_f64 v[12:13], v[12:13], v[40:41]
	s_cbranch_vccz .LBB1653_2
	s_branch .LBB1653_4
.LBB1653_3:
	v_mov_b32_e32 v18, 0
	v_mov_b32_e32 v20, 0
	;; [unrolled: 1-line block ×16, first 2 shown]
.LBB1653_4:
	v_add_u32_e32 v4, s7, v1
	v_ashrrev_i32_e32 v1, 31, v4
	v_mul_lo_u32 v3, s18, v1
	v_mul_lo_u32 v5, s19, v4
	v_mad_u64_u32 v[1:2], s[0:1], s18, v4, 0
	s_load_dword s8, s[4:5], 0x0
	v_add_u32_e32 v0, s6, v0
	v_add3_u32 v2, v2, v3, v5
	v_lshlrev_b64 v[1:2], 4, v[1:2]
	s_waitcnt lgkmcnt(0)
	v_mov_b32_e32 v3, s3
	v_add_co_u32_e64 v5, s[0:1], s2, v1
	v_addc_co_u32_e64 v22, s[0:1], v3, v2, s[0:1]
	v_cmp_gt_i32_e32 vcc, s8, v4
	v_cmp_le_i32_e64 s[0:1], v0, v4
	s_and_b64 s[0:1], vcc, s[0:1]
	s_and_saveexec_b64 s[4:5], s[0:1]
	s_cbranch_execz .LBB1653_6
; %bb.5:
	v_ashrrev_i32_e32 v1, 31, v0
	v_lshlrev_b64 v[1:2], 4, v[0:1]
	v_mul_f64 v[27:28], s[24:25], v[20:21]
	v_add_co_u32_e64 v1, s[0:1], v5, v1
	v_addc_co_u32_e64 v2, s[0:1], v22, v2, s[0:1]
	flat_load_dwordx4 v[23:26], v[1:2]
	v_mul_f64 v[20:21], s[22:23], v[20:21]
	v_fma_f64 v[27:28], s[22:23], v[18:19], -v[27:28]
	v_fma_f64 v[20:21], s[24:25], v[18:19], v[20:21]
	s_waitcnt vmcnt(0) lgkmcnt(0)
	v_mul_f64 v[29:30], s[14:15], v[25:26]
	v_mul_f64 v[25:26], s[12:13], v[25:26]
	v_fma_f64 v[18:19], s[12:13], v[23:24], -v[29:30]
	v_fma_f64 v[23:24], s[14:15], v[23:24], v[25:26]
	v_add_f64 v[18:19], v[27:28], v[18:19]
	v_add_f64 v[20:21], v[20:21], v[23:24]
	flat_store_dwordx4 v[1:2], v[18:21]
.LBB1653_6:
	s_or_b64 exec, exec, s[4:5]
	v_add_u32_e32 v2, 16, v0
	v_cmp_le_i32_e64 s[0:1], v2, v4
	s_and_b64 s[4:5], vcc, s[0:1]
	s_and_saveexec_b64 s[0:1], s[4:5]
	s_cbranch_execz .LBB1653_8
; %bb.7:
	v_ashrrev_i32_e32 v3, 31, v2
	v_lshlrev_b64 v[18:19], 4, v[2:3]
	v_mul_f64 v[25:26], s[24:25], v[10:11]
	v_add_co_u32_e32 v23, vcc, v5, v18
	v_addc_co_u32_e32 v24, vcc, v22, v19, vcc
	flat_load_dwordx4 v[18:21], v[23:24]
	v_mul_f64 v[10:11], s[22:23], v[10:11]
	v_fma_f64 v[25:26], s[22:23], v[6:7], -v[25:26]
	v_fma_f64 v[5:6], s[24:25], v[6:7], v[10:11]
	s_waitcnt vmcnt(0) lgkmcnt(0)
	v_mul_f64 v[27:28], s[14:15], v[20:21]
	v_mul_f64 v[20:21], s[12:13], v[20:21]
	v_fma_f64 v[10:11], s[12:13], v[18:19], -v[27:28]
	v_fma_f64 v[20:21], s[14:15], v[18:19], v[20:21]
	v_add_f64 v[18:19], v[25:26], v[10:11]
	v_add_f64 v[20:21], v[5:6], v[20:21]
	flat_store_dwordx4 v[23:24], v[18:21]
.LBB1653_8:
	s_or_b64 exec, exec, s[0:1]
	v_add_u32_e32 v3, 16, v4
	v_ashrrev_i32_e32 v1, 31, v3
	v_mul_lo_u32 v1, s18, v1
	v_mul_lo_u32 v6, s19, v3
	v_mad_u64_u32 v[4:5], s[0:1], s18, v3, 0
	v_cmp_gt_i32_e32 vcc, s8, v3
	v_add3_u32 v5, v5, v1, v6
	v_lshlrev_b64 v[4:5], 4, v[4:5]
	v_mov_b32_e32 v1, s3
	v_add_co_u32_e64 v4, s[0:1], s2, v4
	v_addc_co_u32_e64 v5, s[0:1], v1, v5, s[0:1]
	v_cmp_le_i32_e64 s[0:1], v0, v3
	s_and_b64 s[0:1], vcc, s[0:1]
	s_and_saveexec_b64 s[2:3], s[0:1]
	s_cbranch_execz .LBB1653_10
; %bb.9:
	v_ashrrev_i32_e32 v1, 31, v0
	v_lshlrev_b64 v[0:1], 4, v[0:1]
	v_mul_f64 v[6:7], s[24:25], v[16:17]
	v_add_co_u32_e64 v0, s[0:1], v4, v0
	v_addc_co_u32_e64 v1, s[0:1], v5, v1, s[0:1]
	flat_load_dwordx4 v[18:21], v[0:1]
	v_mul_f64 v[10:11], s[22:23], v[16:17]
	v_fma_f64 v[6:7], s[22:23], v[14:15], -v[6:7]
	v_fma_f64 v[10:11], s[24:25], v[14:15], v[10:11]
	s_waitcnt vmcnt(0) lgkmcnt(0)
	v_mul_f64 v[16:17], s[14:15], v[20:21]
	v_mul_f64 v[20:21], s[12:13], v[20:21]
	v_fma_f64 v[14:15], s[12:13], v[18:19], -v[16:17]
	v_fma_f64 v[16:17], s[14:15], v[18:19], v[20:21]
	v_add_f64 v[14:15], v[6:7], v[14:15]
	v_add_f64 v[16:17], v[10:11], v[16:17]
	flat_store_dwordx4 v[0:1], v[14:17]
.LBB1653_10:
	s_or_b64 exec, exec, s[2:3]
	v_cmp_le_i32_e64 s[0:1], v2, v3
	s_and_b64 s[0:1], vcc, s[0:1]
	s_and_saveexec_b64 s[2:3], s[0:1]
	s_cbranch_execz .LBB1653_12
; %bb.11:
	v_ashrrev_i32_e32 v3, 31, v2
	v_lshlrev_b64 v[0:1], 4, v[2:3]
	v_mul_f64 v[6:7], s[24:25], v[12:13]
	v_add_co_u32_e32 v4, vcc, v4, v0
	v_addc_co_u32_e32 v5, vcc, v5, v1, vcc
	flat_load_dwordx4 v[0:3], v[4:5]
	v_mul_f64 v[10:11], s[22:23], v[12:13]
	v_fma_f64 v[6:7], s[22:23], v[8:9], -v[6:7]
	v_fma_f64 v[8:9], s[24:25], v[8:9], v[10:11]
	s_waitcnt vmcnt(0) lgkmcnt(0)
	v_mul_f64 v[12:13], s[14:15], v[2:3]
	v_mul_f64 v[2:3], s[12:13], v[2:3]
	v_fma_f64 v[10:11], s[12:13], v[0:1], -v[12:13]
	v_fma_f64 v[2:3], s[14:15], v[0:1], v[2:3]
	v_add_f64 v[0:1], v[6:7], v[10:11]
	v_add_f64 v[2:3], v[8:9], v[2:3]
	flat_store_dwordx4 v[4:5], v[0:3]
.LBB1653_12:
	s_endpgm
	.section	.rodata,"a",@progbits
	.p2align	6, 0x0
	.amdhsa_kernel _ZL37rocblas_syrkx_herkx_restricted_kernelIl19rocblas_complex_numIdELi16ELi32ELi8ELb0ELb0ELc67ELc85EKPKS1_KPS1_EviT_T0_PT8_S7_lSA_S7_lS8_PT9_S7_li
		.amdhsa_group_segment_fixed_size 8192
		.amdhsa_private_segment_fixed_size 0
		.amdhsa_kernarg_size 124
		.amdhsa_user_sgpr_count 6
		.amdhsa_user_sgpr_private_segment_buffer 1
		.amdhsa_user_sgpr_dispatch_ptr 0
		.amdhsa_user_sgpr_queue_ptr 0
		.amdhsa_user_sgpr_kernarg_segment_ptr 1
		.amdhsa_user_sgpr_dispatch_id 0
		.amdhsa_user_sgpr_flat_scratch_init 0
		.amdhsa_user_sgpr_private_segment_size 0
		.amdhsa_uses_dynamic_stack 0
		.amdhsa_system_sgpr_private_segment_wavefront_offset 0
		.amdhsa_system_sgpr_workgroup_id_x 1
		.amdhsa_system_sgpr_workgroup_id_y 1
		.amdhsa_system_sgpr_workgroup_id_z 1
		.amdhsa_system_sgpr_workgroup_info 0
		.amdhsa_system_vgpr_workitem_id 1
		.amdhsa_next_free_vgpr 54
		.amdhsa_next_free_sgpr 61
		.amdhsa_reserve_vcc 1
		.amdhsa_reserve_flat_scratch 0
		.amdhsa_float_round_mode_32 0
		.amdhsa_float_round_mode_16_64 0
		.amdhsa_float_denorm_mode_32 3
		.amdhsa_float_denorm_mode_16_64 3
		.amdhsa_dx10_clamp 1
		.amdhsa_ieee_mode 1
		.amdhsa_fp16_overflow 0
		.amdhsa_exception_fp_ieee_invalid_op 0
		.amdhsa_exception_fp_denorm_src 0
		.amdhsa_exception_fp_ieee_div_zero 0
		.amdhsa_exception_fp_ieee_overflow 0
		.amdhsa_exception_fp_ieee_underflow 0
		.amdhsa_exception_fp_ieee_inexact 0
		.amdhsa_exception_int_div_zero 0
	.end_amdhsa_kernel
	.section	.text._ZL37rocblas_syrkx_herkx_restricted_kernelIl19rocblas_complex_numIdELi16ELi32ELi8ELb0ELb0ELc67ELc85EKPKS1_KPS1_EviT_T0_PT8_S7_lSA_S7_lS8_PT9_S7_li,"axG",@progbits,_ZL37rocblas_syrkx_herkx_restricted_kernelIl19rocblas_complex_numIdELi16ELi32ELi8ELb0ELb0ELc67ELc85EKPKS1_KPS1_EviT_T0_PT8_S7_lSA_S7_lS8_PT9_S7_li,comdat
.Lfunc_end1653:
	.size	_ZL37rocblas_syrkx_herkx_restricted_kernelIl19rocblas_complex_numIdELi16ELi32ELi8ELb0ELb0ELc67ELc85EKPKS1_KPS1_EviT_T0_PT8_S7_lSA_S7_lS8_PT9_S7_li, .Lfunc_end1653-_ZL37rocblas_syrkx_herkx_restricted_kernelIl19rocblas_complex_numIdELi16ELi32ELi8ELb0ELb0ELc67ELc85EKPKS1_KPS1_EviT_T0_PT8_S7_lSA_S7_lS8_PT9_S7_li
                                        ; -- End function
	.set _ZL37rocblas_syrkx_herkx_restricted_kernelIl19rocblas_complex_numIdELi16ELi32ELi8ELb0ELb0ELc67ELc85EKPKS1_KPS1_EviT_T0_PT8_S7_lSA_S7_lS8_PT9_S7_li.num_vgpr, 54
	.set _ZL37rocblas_syrkx_herkx_restricted_kernelIl19rocblas_complex_numIdELi16ELi32ELi8ELb0ELb0ELc67ELc85EKPKS1_KPS1_EviT_T0_PT8_S7_lSA_S7_lS8_PT9_S7_li.num_agpr, 0
	.set _ZL37rocblas_syrkx_herkx_restricted_kernelIl19rocblas_complex_numIdELi16ELi32ELi8ELb0ELb0ELc67ELc85EKPKS1_KPS1_EviT_T0_PT8_S7_lSA_S7_lS8_PT9_S7_li.numbered_sgpr, 32
	.set _ZL37rocblas_syrkx_herkx_restricted_kernelIl19rocblas_complex_numIdELi16ELi32ELi8ELb0ELb0ELc67ELc85EKPKS1_KPS1_EviT_T0_PT8_S7_lSA_S7_lS8_PT9_S7_li.num_named_barrier, 0
	.set _ZL37rocblas_syrkx_herkx_restricted_kernelIl19rocblas_complex_numIdELi16ELi32ELi8ELb0ELb0ELc67ELc85EKPKS1_KPS1_EviT_T0_PT8_S7_lSA_S7_lS8_PT9_S7_li.private_seg_size, 0
	.set _ZL37rocblas_syrkx_herkx_restricted_kernelIl19rocblas_complex_numIdELi16ELi32ELi8ELb0ELb0ELc67ELc85EKPKS1_KPS1_EviT_T0_PT8_S7_lSA_S7_lS8_PT9_S7_li.uses_vcc, 1
	.set _ZL37rocblas_syrkx_herkx_restricted_kernelIl19rocblas_complex_numIdELi16ELi32ELi8ELb0ELb0ELc67ELc85EKPKS1_KPS1_EviT_T0_PT8_S7_lSA_S7_lS8_PT9_S7_li.uses_flat_scratch, 0
	.set _ZL37rocblas_syrkx_herkx_restricted_kernelIl19rocblas_complex_numIdELi16ELi32ELi8ELb0ELb0ELc67ELc85EKPKS1_KPS1_EviT_T0_PT8_S7_lSA_S7_lS8_PT9_S7_li.has_dyn_sized_stack, 0
	.set _ZL37rocblas_syrkx_herkx_restricted_kernelIl19rocblas_complex_numIdELi16ELi32ELi8ELb0ELb0ELc67ELc85EKPKS1_KPS1_EviT_T0_PT8_S7_lSA_S7_lS8_PT9_S7_li.has_recursion, 0
	.set _ZL37rocblas_syrkx_herkx_restricted_kernelIl19rocblas_complex_numIdELi16ELi32ELi8ELb0ELb0ELc67ELc85EKPKS1_KPS1_EviT_T0_PT8_S7_lSA_S7_lS8_PT9_S7_li.has_indirect_call, 0
	.section	.AMDGPU.csdata,"",@progbits
; Kernel info:
; codeLenInByte = 3208
; TotalNumSgprs: 36
; NumVgprs: 54
; ScratchSize: 0
; MemoryBound: 0
; FloatMode: 240
; IeeeMode: 1
; LDSByteSize: 8192 bytes/workgroup (compile time only)
; SGPRBlocks: 8
; VGPRBlocks: 13
; NumSGPRsForWavesPerEU: 65
; NumVGPRsForWavesPerEU: 54
; Occupancy: 4
; WaveLimiterHint : 1
; COMPUTE_PGM_RSRC2:SCRATCH_EN: 0
; COMPUTE_PGM_RSRC2:USER_SGPR: 6
; COMPUTE_PGM_RSRC2:TRAP_HANDLER: 0
; COMPUTE_PGM_RSRC2:TGID_X_EN: 1
; COMPUTE_PGM_RSRC2:TGID_Y_EN: 1
; COMPUTE_PGM_RSRC2:TGID_Z_EN: 1
; COMPUTE_PGM_RSRC2:TIDIG_COMP_CNT: 1
	.section	.text._ZL37rocblas_syrkx_herkx_restricted_kernelIl19rocblas_complex_numIdELi16ELi32ELi8ELb0ELb0ELc78ELc85EKPKS1_KPS1_EviT_T0_PT8_S7_lSA_S7_lS8_PT9_S7_li,"axG",@progbits,_ZL37rocblas_syrkx_herkx_restricted_kernelIl19rocblas_complex_numIdELi16ELi32ELi8ELb0ELb0ELc78ELc85EKPKS1_KPS1_EviT_T0_PT8_S7_lSA_S7_lS8_PT9_S7_li,comdat
	.globl	_ZL37rocblas_syrkx_herkx_restricted_kernelIl19rocblas_complex_numIdELi16ELi32ELi8ELb0ELb0ELc78ELc85EKPKS1_KPS1_EviT_T0_PT8_S7_lSA_S7_lS8_PT9_S7_li ; -- Begin function _ZL37rocblas_syrkx_herkx_restricted_kernelIl19rocblas_complex_numIdELi16ELi32ELi8ELb0ELb0ELc78ELc85EKPKS1_KPS1_EviT_T0_PT8_S7_lSA_S7_lS8_PT9_S7_li
	.p2align	8
	.type	_ZL37rocblas_syrkx_herkx_restricted_kernelIl19rocblas_complex_numIdELi16ELi32ELi8ELb0ELb0ELc78ELc85EKPKS1_KPS1_EviT_T0_PT8_S7_lSA_S7_lS8_PT9_S7_li,@function
_ZL37rocblas_syrkx_herkx_restricted_kernelIl19rocblas_complex_numIdELi16ELi32ELi8ELb0ELb0ELc78ELc85EKPKS1_KPS1_EviT_T0_PT8_S7_lSA_S7_lS8_PT9_S7_li: ; @_ZL37rocblas_syrkx_herkx_restricted_kernelIl19rocblas_complex_numIdELi16ELi32ELi8ELb0ELb0ELc78ELc85EKPKS1_KPS1_EviT_T0_PT8_S7_lSA_S7_lS8_PT9_S7_li
; %bb.0:
	s_load_dwordx8 s[12:19], s[4:5], 0x50
	s_load_dwordx8 s[20:27], s[4:5], 0x8
	s_load_dwordx2 s[10:11], s[4:5], 0x28
	s_mov_b32 s9, 0
	s_lshl_b64 s[28:29], s[8:9], 3
	s_waitcnt lgkmcnt(0)
	s_add_u32 s0, s16, s28
	s_addc_u32 s1, s17, s29
	s_load_dwordx2 s[8:9], s[0:1], 0x0
	v_cmp_lt_i64_e64 s[0:1], s[20:21], 1
	s_lshl_b32 s16, s6, 5
	s_lshl_b32 s17, s7, 5
	s_and_b64 vcc, exec, s[0:1]
	s_cbranch_vccnz .LBB1654_3
; %bb.1:
	s_load_dwordx4 s[0:3], s[4:5], 0x38
	v_lshl_add_u32 v6, v1, 4, v0
	v_lshrrev_b32_e32 v7, 3, v6
	v_add_u32_e32 v2, s17, v7
	s_add_u32 s6, s26, s28
	v_and_b32_e32 v8, 7, v0
	v_ashrrev_i32_e32 v3, 31, v2
	s_addc_u32 s7, s27, s29
	s_waitcnt lgkmcnt(0)
	v_mad_u64_u32 v[4:5], s[26:27], s2, v8, v[2:3]
	v_lshrrev_b32_e32 v9, 5, v6
	s_add_u32 s0, s0, s28
	v_mov_b32_e32 v2, v5
	v_mad_u64_u32 v[2:3], s[26:27], s3, v8, v[2:3]
	v_and_b32_e32 v3, 31, v6
	s_addc_u32 s1, s1, s29
	v_mov_b32_e32 v5, v2
	v_lshlrev_b32_e32 v2, 4, v3
	v_lshl_or_b32 v22, v9, 9, v2
	v_add_u32_e32 v2, s16, v3
	v_ashrrev_i32_e32 v3, 31, v2
	s_load_dwordx2 s[26:27], s[0:1], 0x0
	v_mad_u64_u32 v[2:3], s[0:1], s10, v9, v[2:3]
	v_lshlrev_b32_e32 v6, 4, v8
	v_lshl_or_b32 v6, v7, 7, v6
	v_add_u32_e32 v23, 0x1000, v6
	v_mad_u64_u32 v[6:7], s[0:1], s11, v9, v[3:4]
	s_load_dwordx2 s[6:7], s[6:7], 0x0
	v_mov_b32_e32 v3, 0x1000
	v_lshl_add_u32 v25, v1, 7, v3
	v_mov_b32_e32 v3, v6
	v_lshlrev_b64 v[2:3], 4, v[2:3]
	s_waitcnt lgkmcnt(0)
	v_mov_b32_e32 v6, s7
	v_add_co_u32_e32 v2, vcc, s6, v2
	v_lshlrev_b64 v[4:5], 4, v[4:5]
	v_addc_co_u32_e32 v3, vcc, v6, v3, vcc
	v_mov_b32_e32 v6, s27
	v_add_co_u32_e32 v4, vcc, s26, v4
	s_lshl_b64 s[0:1], s[10:11], 7
	v_addc_co_u32_e32 v5, vcc, v6, v5, vcc
	s_lshl_b64 s[2:3], s[2:3], 7
	v_mov_b32_e32 v8, 0
	v_mov_b32_e32 v6, 0
	;; [unrolled: 1-line block ×8, first 2 shown]
	v_lshlrev_b32_e32 v24, 4, v0
	v_mov_b32_e32 v9, 0
	s_mov_b64 s[6:7], 0
	v_mov_b32_e32 v26, s1
	v_mov_b32_e32 v7, 0
	;; [unrolled: 1-line block ×9, first 2 shown]
.LBB1654_2:                             ; =>This Inner Loop Header: Depth=1
	flat_load_dwordx4 v[28:31], v[2:3]
	s_add_u32 s6, s6, 8
	v_add_co_u32_e32 v2, vcc, s0, v2
	s_addc_u32 s7, s7, 0
	v_addc_co_u32_e32 v3, vcc, v3, v26, vcc
	s_waitcnt vmcnt(0) lgkmcnt(0)
	ds_write_b128 v22, v[28:31]
	flat_load_dwordx4 v[28:31], v[4:5]
	v_add_co_u32_e32 v4, vcc, s2, v4
	v_addc_co_u32_e32 v5, vcc, v5, v27, vcc
	s_waitcnt vmcnt(0) lgkmcnt(0)
	ds_write_b128 v23, v[28:31]
	s_waitcnt lgkmcnt(0)
	s_barrier
	ds_read_b128 v[28:31], v25
	ds_read_b128 v[32:35], v25 offset:16
	ds_read_b128 v[36:39], v25 offset:32
	;; [unrolled: 1-line block ×3, first 2 shown]
	ds_read_b128 v[44:47], v24
	s_waitcnt lgkmcnt(0)
	v_mul_f64 v[48:49], v[30:31], v[46:47]
	v_mul_f64 v[50:51], v[28:29], v[46:47]
	v_fma_f64 v[48:49], v[28:29], v[44:45], -v[48:49]
	v_fma_f64 v[50:51], v[30:31], v[44:45], v[50:51]
	v_add_f64 v[48:49], v[18:19], v[48:49]
	v_add_f64 v[50:51], v[50:51], v[20:21]
	ds_read_b128 v[18:21], v24 offset:256
	s_waitcnt lgkmcnt(0)
	v_mul_f64 v[52:53], v[30:31], v[20:21]
	v_fma_f64 v[52:53], v[28:29], v[18:19], -v[52:53]
	v_mul_f64 v[28:29], v[28:29], v[20:21]
	v_fma_f64 v[28:29], v[30:31], v[18:19], v[28:29]
	v_add_f64 v[30:31], v[10:11], v[52:53]
	v_add_f64 v[28:29], v[28:29], v[12:13]
	ds_read_b128 v[10:13], v25 offset:2048
	s_waitcnt lgkmcnt(0)
	v_mul_f64 v[52:53], v[12:13], v[46:47]
	v_mul_f64 v[46:47], v[10:11], v[46:47]
	v_fma_f64 v[52:53], v[10:11], v[44:45], -v[52:53]
	v_fma_f64 v[44:45], v[12:13], v[44:45], v[46:47]
	v_add_f64 v[46:47], v[14:15], v[52:53]
	v_mul_f64 v[14:15], v[12:13], v[20:21]
	v_add_f64 v[44:45], v[44:45], v[16:17]
	v_fma_f64 v[14:15], v[10:11], v[18:19], -v[14:15]
	v_mul_f64 v[10:11], v[10:11], v[20:21]
	v_fma_f64 v[10:11], v[12:13], v[18:19], v[10:11]
	v_add_f64 v[18:19], v[6:7], v[14:15]
	v_add_f64 v[20:21], v[10:11], v[8:9]
	ds_read_b128 v[6:9], v24 offset:512
	s_waitcnt lgkmcnt(0)
	v_mul_f64 v[10:11], v[34:35], v[8:9]
	v_mul_f64 v[12:13], v[32:33], v[8:9]
	v_fma_f64 v[10:11], v[32:33], v[6:7], -v[10:11]
	v_fma_f64 v[12:13], v[34:35], v[6:7], v[12:13]
	v_add_f64 v[48:49], v[48:49], v[10:11]
	v_add_f64 v[50:51], v[12:13], v[50:51]
	ds_read_b128 v[10:13], v24 offset:768
	s_waitcnt lgkmcnt(0)
	v_mul_f64 v[14:15], v[34:35], v[12:13]
	v_mul_f64 v[16:17], v[32:33], v[12:13]
	v_fma_f64 v[14:15], v[32:33], v[10:11], -v[14:15]
	;; [unrolled: 8-line block ×3, first 2 shown]
	v_fma_f64 v[6:7], v[16:17], v[6:7], v[8:9]
	v_mul_f64 v[8:9], v[14:15], v[12:13]
	v_add_f64 v[32:33], v[46:47], v[32:33]
	v_add_f64 v[34:35], v[6:7], v[44:45]
	v_mul_f64 v[6:7], v[16:17], v[12:13]
	v_fma_f64 v[8:9], v[16:17], v[10:11], v[8:9]
	v_fma_f64 v[6:7], v[14:15], v[10:11], -v[6:7]
	v_add_f64 v[20:21], v[8:9], v[20:21]
	v_add_f64 v[18:19], v[18:19], v[6:7]
	ds_read_b128 v[6:9], v24 offset:1024
	s_waitcnt lgkmcnt(0)
	v_mul_f64 v[10:11], v[38:39], v[8:9]
	v_mul_f64 v[12:13], v[36:37], v[8:9]
	v_fma_f64 v[10:11], v[36:37], v[6:7], -v[10:11]
	v_fma_f64 v[12:13], v[38:39], v[6:7], v[12:13]
	v_add_f64 v[44:45], v[48:49], v[10:11]
	v_add_f64 v[46:47], v[12:13], v[50:51]
	ds_read_b128 v[10:13], v24 offset:1280
	s_waitcnt lgkmcnt(0)
	v_mul_f64 v[14:15], v[38:39], v[12:13]
	v_mul_f64 v[16:17], v[36:37], v[12:13]
	v_fma_f64 v[14:15], v[36:37], v[10:11], -v[14:15]
	v_fma_f64 v[16:17], v[38:39], v[10:11], v[16:17]
	;; [unrolled: 8-line block ×3, first 2 shown]
	v_mul_f64 v[8:9], v[14:15], v[12:13]
	v_add_f64 v[32:33], v[32:33], v[36:37]
	v_add_f64 v[34:35], v[6:7], v[34:35]
	v_mul_f64 v[6:7], v[16:17], v[12:13]
	v_fma_f64 v[8:9], v[16:17], v[10:11], v[8:9]
	v_fma_f64 v[6:7], v[14:15], v[10:11], -v[6:7]
	v_add_f64 v[20:21], v[8:9], v[20:21]
	v_add_f64 v[18:19], v[18:19], v[6:7]
	ds_read_b128 v[6:9], v24 offset:1536
	s_waitcnt lgkmcnt(0)
	v_mul_f64 v[10:11], v[42:43], v[8:9]
	v_mul_f64 v[12:13], v[40:41], v[8:9]
	v_fma_f64 v[10:11], v[40:41], v[6:7], -v[10:11]
	v_fma_f64 v[12:13], v[42:43], v[6:7], v[12:13]
	v_add_f64 v[36:37], v[44:45], v[10:11]
	v_add_f64 v[38:39], v[12:13], v[46:47]
	ds_read_b128 v[10:13], v24 offset:1792
	s_waitcnt lgkmcnt(0)
	v_mul_f64 v[14:15], v[42:43], v[12:13]
	v_mul_f64 v[16:17], v[40:41], v[12:13]
	v_fma_f64 v[14:15], v[40:41], v[10:11], -v[14:15]
	v_fma_f64 v[16:17], v[42:43], v[10:11], v[16:17]
	;; [unrolled: 8-line block ×3, first 2 shown]
	v_mul_f64 v[8:9], v[14:15], v[12:13]
	v_add_f64 v[32:33], v[32:33], v[40:41]
	v_add_f64 v[34:35], v[6:7], v[34:35]
	v_mul_f64 v[6:7], v[16:17], v[12:13]
	v_fma_f64 v[8:9], v[16:17], v[10:11], v[8:9]
	v_fma_f64 v[6:7], v[14:15], v[10:11], -v[6:7]
	v_add_f64 v[20:21], v[8:9], v[20:21]
	v_add_f64 v[18:19], v[18:19], v[6:7]
	ds_read_b128 v[6:9], v25 offset:64
	ds_read_b128 v[10:13], v24 offset:2048
	s_waitcnt lgkmcnt(0)
	v_mul_f64 v[14:15], v[8:9], v[12:13]
	v_mul_f64 v[16:17], v[6:7], v[12:13]
	v_fma_f64 v[14:15], v[6:7], v[10:11], -v[14:15]
	v_fma_f64 v[16:17], v[8:9], v[10:11], v[16:17]
	v_add_f64 v[36:37], v[36:37], v[14:15]
	v_add_f64 v[38:39], v[16:17], v[38:39]
	ds_read_b128 v[14:17], v24 offset:2304
	s_waitcnt lgkmcnt(0)
	v_mul_f64 v[40:41], v[8:9], v[16:17]
	v_fma_f64 v[40:41], v[6:7], v[14:15], -v[40:41]
	v_mul_f64 v[6:7], v[6:7], v[16:17]
	v_add_f64 v[30:31], v[30:31], v[40:41]
	v_fma_f64 v[6:7], v[8:9], v[14:15], v[6:7]
	v_add_f64 v[28:29], v[6:7], v[28:29]
	ds_read_b128 v[6:9], v25 offset:2112
	s_waitcnt lgkmcnt(0)
	v_mul_f64 v[40:41], v[8:9], v[12:13]
	v_mul_f64 v[12:13], v[6:7], v[12:13]
	v_fma_f64 v[40:41], v[6:7], v[10:11], -v[40:41]
	v_fma_f64 v[10:11], v[8:9], v[10:11], v[12:13]
	v_add_f64 v[32:33], v[32:33], v[40:41]
	v_add_f64 v[34:35], v[10:11], v[34:35]
	v_mul_f64 v[10:11], v[8:9], v[16:17]
	v_fma_f64 v[10:11], v[6:7], v[14:15], -v[10:11]
	v_mul_f64 v[6:7], v[6:7], v[16:17]
	v_add_f64 v[18:19], v[18:19], v[10:11]
	v_fma_f64 v[6:7], v[8:9], v[14:15], v[6:7]
	v_add_f64 v[20:21], v[6:7], v[20:21]
	ds_read_b128 v[6:9], v25 offset:80
	ds_read_b128 v[10:13], v24 offset:2560
	s_waitcnt lgkmcnt(0)
	v_mul_f64 v[14:15], v[8:9], v[12:13]
	v_mul_f64 v[16:17], v[6:7], v[12:13]
	v_fma_f64 v[14:15], v[6:7], v[10:11], -v[14:15]
	v_fma_f64 v[16:17], v[8:9], v[10:11], v[16:17]
	v_add_f64 v[36:37], v[36:37], v[14:15]
	v_add_f64 v[38:39], v[16:17], v[38:39]
	ds_read_b128 v[14:17], v24 offset:2816
	s_waitcnt lgkmcnt(0)
	v_mul_f64 v[40:41], v[8:9], v[16:17]
	v_fma_f64 v[40:41], v[6:7], v[14:15], -v[40:41]
	v_mul_f64 v[6:7], v[6:7], v[16:17]
	v_add_f64 v[30:31], v[30:31], v[40:41]
	v_fma_f64 v[6:7], v[8:9], v[14:15], v[6:7]
	v_add_f64 v[28:29], v[6:7], v[28:29]
	ds_read_b128 v[6:9], v25 offset:2128
	s_waitcnt lgkmcnt(0)
	v_mul_f64 v[40:41], v[8:9], v[12:13]
	v_mul_f64 v[12:13], v[6:7], v[12:13]
	v_fma_f64 v[40:41], v[6:7], v[10:11], -v[40:41]
	v_fma_f64 v[10:11], v[8:9], v[10:11], v[12:13]
	v_add_f64 v[32:33], v[32:33], v[40:41]
	v_add_f64 v[34:35], v[10:11], v[34:35]
	v_mul_f64 v[10:11], v[8:9], v[16:17]
	v_fma_f64 v[10:11], v[6:7], v[14:15], -v[10:11]
	v_mul_f64 v[6:7], v[6:7], v[16:17]
	v_add_f64 v[18:19], v[18:19], v[10:11]
	v_fma_f64 v[6:7], v[8:9], v[14:15], v[6:7]
	;; [unrolled: 31-line block ×3, first 2 shown]
	v_add_f64 v[46:47], v[6:7], v[20:21]
	ds_read_b128 v[6:9], v25 offset:112
	ds_read_b128 v[14:17], v24 offset:3584
	;; [unrolled: 1-line block ×3, first 2 shown]
	s_waitcnt lgkmcnt(1)
	v_mul_f64 v[10:11], v[8:9], v[16:17]
	v_mul_f64 v[12:13], v[6:7], v[16:17]
	v_fma_f64 v[10:11], v[6:7], v[14:15], -v[10:11]
	v_fma_f64 v[12:13], v[8:9], v[14:15], v[12:13]
	v_add_f64 v[18:19], v[36:37], v[10:11]
	s_waitcnt lgkmcnt(0)
	v_mul_f64 v[10:11], v[8:9], v[30:31]
	v_add_f64 v[20:21], v[12:13], v[38:39]
	v_fma_f64 v[10:11], v[6:7], v[28:29], -v[10:11]
	v_mul_f64 v[6:7], v[6:7], v[30:31]
	v_add_f64 v[10:11], v[40:41], v[10:11]
	v_fma_f64 v[6:7], v[8:9], v[28:29], v[6:7]
	v_add_f64 v[12:13], v[6:7], v[42:43]
	ds_read_b128 v[6:9], v25 offset:2160
	s_waitcnt lgkmcnt(0)
	s_barrier
	v_mul_f64 v[36:37], v[8:9], v[16:17]
	v_mul_f64 v[16:17], v[6:7], v[16:17]
	v_fma_f64 v[36:37], v[6:7], v[14:15], -v[36:37]
	v_fma_f64 v[16:17], v[8:9], v[14:15], v[16:17]
	v_add_f64 v[14:15], v[32:33], v[36:37]
	v_mul_f64 v[32:33], v[8:9], v[30:31]
	v_add_f64 v[16:17], v[16:17], v[34:35]
	v_fma_f64 v[32:33], v[6:7], v[28:29], -v[32:33]
	v_mul_f64 v[6:7], v[6:7], v[30:31]
	v_fma_f64 v[8:9], v[8:9], v[28:29], v[6:7]
	v_add_f64 v[6:7], v[44:45], v[32:33]
	v_mov_b32_e32 v29, s7
	v_mov_b32_e32 v28, s6
	v_cmp_le_u64_e32 vcc, s[20:21], v[28:29]
	v_add_f64 v[8:9], v[8:9], v[46:47]
	s_cbranch_vccz .LBB1654_2
	s_branch .LBB1654_4
.LBB1654_3:
	v_mov_b32_e32 v18, 0
	v_mov_b32_e32 v20, 0
	;; [unrolled: 1-line block ×16, first 2 shown]
.LBB1654_4:
	v_add_u32_e32 v4, s17, v1
	v_ashrrev_i32_e32 v1, 31, v4
	v_mul_lo_u32 v3, s18, v1
	v_mul_lo_u32 v5, s19, v4
	v_mad_u64_u32 v[1:2], s[0:1], s18, v4, 0
	s_load_dword s4, s[4:5], 0x0
	v_add_u32_e32 v0, s16, v0
	v_add3_u32 v2, v2, v3, v5
	v_lshlrev_b64 v[1:2], 4, v[1:2]
	s_waitcnt lgkmcnt(0)
	v_mov_b32_e32 v3, s9
	v_add_co_u32_e64 v5, s[0:1], s8, v1
	v_addc_co_u32_e64 v22, s[0:1], v3, v2, s[0:1]
	v_cmp_gt_i32_e32 vcc, s4, v4
	v_cmp_le_i32_e64 s[0:1], v0, v4
	s_and_b64 s[0:1], vcc, s[0:1]
	s_and_saveexec_b64 s[2:3], s[0:1]
	s_cbranch_execz .LBB1654_6
; %bb.5:
	v_ashrrev_i32_e32 v1, 31, v0
	v_lshlrev_b64 v[1:2], 4, v[0:1]
	v_mul_f64 v[27:28], s[24:25], v[20:21]
	v_add_co_u32_e64 v1, s[0:1], v5, v1
	v_addc_co_u32_e64 v2, s[0:1], v22, v2, s[0:1]
	flat_load_dwordx4 v[23:26], v[1:2]
	v_mul_f64 v[20:21], s[22:23], v[20:21]
	v_fma_f64 v[27:28], s[22:23], v[18:19], -v[27:28]
	v_fma_f64 v[20:21], s[24:25], v[18:19], v[20:21]
	s_waitcnt vmcnt(0) lgkmcnt(0)
	v_mul_f64 v[29:30], s[14:15], v[25:26]
	v_mul_f64 v[25:26], s[12:13], v[25:26]
	v_fma_f64 v[18:19], s[12:13], v[23:24], -v[29:30]
	v_fma_f64 v[23:24], s[14:15], v[23:24], v[25:26]
	v_add_f64 v[18:19], v[27:28], v[18:19]
	v_add_f64 v[20:21], v[20:21], v[23:24]
	flat_store_dwordx4 v[1:2], v[18:21]
.LBB1654_6:
	s_or_b64 exec, exec, s[2:3]
	v_add_u32_e32 v2, 16, v0
	v_cmp_le_i32_e64 s[0:1], v2, v4
	s_and_b64 s[2:3], vcc, s[0:1]
	s_and_saveexec_b64 s[0:1], s[2:3]
	s_cbranch_execz .LBB1654_8
; %bb.7:
	v_ashrrev_i32_e32 v3, 31, v2
	v_lshlrev_b64 v[18:19], 4, v[2:3]
	v_mul_f64 v[25:26], s[24:25], v[12:13]
	v_add_co_u32_e32 v23, vcc, v5, v18
	v_addc_co_u32_e32 v24, vcc, v22, v19, vcc
	flat_load_dwordx4 v[18:21], v[23:24]
	v_mul_f64 v[12:13], s[22:23], v[12:13]
	v_fma_f64 v[25:26], s[22:23], v[10:11], -v[25:26]
	v_fma_f64 v[12:13], s[24:25], v[10:11], v[12:13]
	s_waitcnt vmcnt(0) lgkmcnt(0)
	v_mul_f64 v[27:28], s[14:15], v[20:21]
	v_mul_f64 v[20:21], s[12:13], v[20:21]
	v_fma_f64 v[10:11], s[12:13], v[18:19], -v[27:28]
	v_fma_f64 v[18:19], s[14:15], v[18:19], v[20:21]
	v_add_f64 v[10:11], v[25:26], v[10:11]
	v_add_f64 v[12:13], v[12:13], v[18:19]
	flat_store_dwordx4 v[23:24], v[10:13]
.LBB1654_8:
	s_or_b64 exec, exec, s[0:1]
	v_add_u32_e32 v3, 16, v4
	v_ashrrev_i32_e32 v1, 31, v3
	v_mul_lo_u32 v1, s18, v1
	v_mul_lo_u32 v10, s19, v3
	v_mad_u64_u32 v[4:5], s[0:1], s18, v3, 0
	v_cmp_gt_i32_e32 vcc, s4, v3
	v_add3_u32 v5, v5, v1, v10
	v_lshlrev_b64 v[4:5], 4, v[4:5]
	v_mov_b32_e32 v1, s9
	v_add_co_u32_e64 v4, s[0:1], s8, v4
	v_addc_co_u32_e64 v5, s[0:1], v1, v5, s[0:1]
	v_cmp_le_i32_e64 s[0:1], v0, v3
	s_and_b64 s[0:1], vcc, s[0:1]
	s_and_saveexec_b64 s[2:3], s[0:1]
	s_cbranch_execz .LBB1654_10
; %bb.9:
	v_ashrrev_i32_e32 v1, 31, v0
	v_lshlrev_b64 v[0:1], 4, v[0:1]
	v_mul_f64 v[18:19], s[24:25], v[16:17]
	v_add_co_u32_e64 v0, s[0:1], v4, v0
	v_addc_co_u32_e64 v1, s[0:1], v5, v1, s[0:1]
	flat_load_dwordx4 v[10:13], v[0:1]
	v_mul_f64 v[16:17], s[22:23], v[16:17]
	v_fma_f64 v[18:19], s[22:23], v[14:15], -v[18:19]
	v_fma_f64 v[14:15], s[24:25], v[14:15], v[16:17]
	s_waitcnt vmcnt(0) lgkmcnt(0)
	v_mul_f64 v[20:21], s[14:15], v[12:13]
	v_mul_f64 v[12:13], s[12:13], v[12:13]
	v_fma_f64 v[16:17], s[12:13], v[10:11], -v[20:21]
	v_fma_f64 v[12:13], s[14:15], v[10:11], v[12:13]
	v_add_f64 v[10:11], v[18:19], v[16:17]
	v_add_f64 v[12:13], v[14:15], v[12:13]
	flat_store_dwordx4 v[0:1], v[10:13]
.LBB1654_10:
	s_or_b64 exec, exec, s[2:3]
	v_cmp_le_i32_e64 s[0:1], v2, v3
	s_and_b64 s[0:1], vcc, s[0:1]
	s_and_saveexec_b64 s[2:3], s[0:1]
	s_cbranch_execz .LBB1654_12
; %bb.11:
	v_ashrrev_i32_e32 v3, 31, v2
	v_lshlrev_b64 v[0:1], 4, v[2:3]
	v_mul_f64 v[10:11], s[24:25], v[8:9]
	v_add_co_u32_e32 v4, vcc, v4, v0
	v_addc_co_u32_e32 v5, vcc, v5, v1, vcc
	flat_load_dwordx4 v[0:3], v[4:5]
	v_mul_f64 v[8:9], s[22:23], v[8:9]
	v_fma_f64 v[10:11], s[22:23], v[6:7], -v[10:11]
	v_fma_f64 v[6:7], s[24:25], v[6:7], v[8:9]
	s_waitcnt vmcnt(0) lgkmcnt(0)
	v_mul_f64 v[12:13], s[14:15], v[2:3]
	v_mul_f64 v[2:3], s[12:13], v[2:3]
	v_fma_f64 v[8:9], s[12:13], v[0:1], -v[12:13]
	v_fma_f64 v[2:3], s[14:15], v[0:1], v[2:3]
	v_add_f64 v[0:1], v[10:11], v[8:9]
	v_add_f64 v[2:3], v[6:7], v[2:3]
	flat_store_dwordx4 v[4:5], v[0:3]
.LBB1654_12:
	s_endpgm
	.section	.rodata,"a",@progbits
	.p2align	6, 0x0
	.amdhsa_kernel _ZL37rocblas_syrkx_herkx_restricted_kernelIl19rocblas_complex_numIdELi16ELi32ELi8ELb0ELb0ELc78ELc85EKPKS1_KPS1_EviT_T0_PT8_S7_lSA_S7_lS8_PT9_S7_li
		.amdhsa_group_segment_fixed_size 8192
		.amdhsa_private_segment_fixed_size 0
		.amdhsa_kernarg_size 124
		.amdhsa_user_sgpr_count 6
		.amdhsa_user_sgpr_private_segment_buffer 1
		.amdhsa_user_sgpr_dispatch_ptr 0
		.amdhsa_user_sgpr_queue_ptr 0
		.amdhsa_user_sgpr_kernarg_segment_ptr 1
		.amdhsa_user_sgpr_dispatch_id 0
		.amdhsa_user_sgpr_flat_scratch_init 0
		.amdhsa_user_sgpr_private_segment_size 0
		.amdhsa_uses_dynamic_stack 0
		.amdhsa_system_sgpr_private_segment_wavefront_offset 0
		.amdhsa_system_sgpr_workgroup_id_x 1
		.amdhsa_system_sgpr_workgroup_id_y 1
		.amdhsa_system_sgpr_workgroup_id_z 1
		.amdhsa_system_sgpr_workgroup_info 0
		.amdhsa_system_vgpr_workitem_id 1
		.amdhsa_next_free_vgpr 54
		.amdhsa_next_free_sgpr 61
		.amdhsa_reserve_vcc 1
		.amdhsa_reserve_flat_scratch 0
		.amdhsa_float_round_mode_32 0
		.amdhsa_float_round_mode_16_64 0
		.amdhsa_float_denorm_mode_32 3
		.amdhsa_float_denorm_mode_16_64 3
		.amdhsa_dx10_clamp 1
		.amdhsa_ieee_mode 1
		.amdhsa_fp16_overflow 0
		.amdhsa_exception_fp_ieee_invalid_op 0
		.amdhsa_exception_fp_denorm_src 0
		.amdhsa_exception_fp_ieee_div_zero 0
		.amdhsa_exception_fp_ieee_overflow 0
		.amdhsa_exception_fp_ieee_underflow 0
		.amdhsa_exception_fp_ieee_inexact 0
		.amdhsa_exception_int_div_zero 0
	.end_amdhsa_kernel
	.section	.text._ZL37rocblas_syrkx_herkx_restricted_kernelIl19rocblas_complex_numIdELi16ELi32ELi8ELb0ELb0ELc78ELc85EKPKS1_KPS1_EviT_T0_PT8_S7_lSA_S7_lS8_PT9_S7_li,"axG",@progbits,_ZL37rocblas_syrkx_herkx_restricted_kernelIl19rocblas_complex_numIdELi16ELi32ELi8ELb0ELb0ELc78ELc85EKPKS1_KPS1_EviT_T0_PT8_S7_lSA_S7_lS8_PT9_S7_li,comdat
.Lfunc_end1654:
	.size	_ZL37rocblas_syrkx_herkx_restricted_kernelIl19rocblas_complex_numIdELi16ELi32ELi8ELb0ELb0ELc78ELc85EKPKS1_KPS1_EviT_T0_PT8_S7_lSA_S7_lS8_PT9_S7_li, .Lfunc_end1654-_ZL37rocblas_syrkx_herkx_restricted_kernelIl19rocblas_complex_numIdELi16ELi32ELi8ELb0ELb0ELc78ELc85EKPKS1_KPS1_EviT_T0_PT8_S7_lSA_S7_lS8_PT9_S7_li
                                        ; -- End function
	.set _ZL37rocblas_syrkx_herkx_restricted_kernelIl19rocblas_complex_numIdELi16ELi32ELi8ELb0ELb0ELc78ELc85EKPKS1_KPS1_EviT_T0_PT8_S7_lSA_S7_lS8_PT9_S7_li.num_vgpr, 54
	.set _ZL37rocblas_syrkx_herkx_restricted_kernelIl19rocblas_complex_numIdELi16ELi32ELi8ELb0ELb0ELc78ELc85EKPKS1_KPS1_EviT_T0_PT8_S7_lSA_S7_lS8_PT9_S7_li.num_agpr, 0
	.set _ZL37rocblas_syrkx_herkx_restricted_kernelIl19rocblas_complex_numIdELi16ELi32ELi8ELb0ELb0ELc78ELc85EKPKS1_KPS1_EviT_T0_PT8_S7_lSA_S7_lS8_PT9_S7_li.numbered_sgpr, 30
	.set _ZL37rocblas_syrkx_herkx_restricted_kernelIl19rocblas_complex_numIdELi16ELi32ELi8ELb0ELb0ELc78ELc85EKPKS1_KPS1_EviT_T0_PT8_S7_lSA_S7_lS8_PT9_S7_li.num_named_barrier, 0
	.set _ZL37rocblas_syrkx_herkx_restricted_kernelIl19rocblas_complex_numIdELi16ELi32ELi8ELb0ELb0ELc78ELc85EKPKS1_KPS1_EviT_T0_PT8_S7_lSA_S7_lS8_PT9_S7_li.private_seg_size, 0
	.set _ZL37rocblas_syrkx_herkx_restricted_kernelIl19rocblas_complex_numIdELi16ELi32ELi8ELb0ELb0ELc78ELc85EKPKS1_KPS1_EviT_T0_PT8_S7_lSA_S7_lS8_PT9_S7_li.uses_vcc, 1
	.set _ZL37rocblas_syrkx_herkx_restricted_kernelIl19rocblas_complex_numIdELi16ELi32ELi8ELb0ELb0ELc78ELc85EKPKS1_KPS1_EviT_T0_PT8_S7_lSA_S7_lS8_PT9_S7_li.uses_flat_scratch, 0
	.set _ZL37rocblas_syrkx_herkx_restricted_kernelIl19rocblas_complex_numIdELi16ELi32ELi8ELb0ELb0ELc78ELc85EKPKS1_KPS1_EviT_T0_PT8_S7_lSA_S7_lS8_PT9_S7_li.has_dyn_sized_stack, 0
	.set _ZL37rocblas_syrkx_herkx_restricted_kernelIl19rocblas_complex_numIdELi16ELi32ELi8ELb0ELb0ELc78ELc85EKPKS1_KPS1_EviT_T0_PT8_S7_lSA_S7_lS8_PT9_S7_li.has_recursion, 0
	.set _ZL37rocblas_syrkx_herkx_restricted_kernelIl19rocblas_complex_numIdELi16ELi32ELi8ELb0ELb0ELc78ELc85EKPKS1_KPS1_EviT_T0_PT8_S7_lSA_S7_lS8_PT9_S7_li.has_indirect_call, 0
	.section	.AMDGPU.csdata,"",@progbits
; Kernel info:
; codeLenInByte = 3188
; TotalNumSgprs: 34
; NumVgprs: 54
; ScratchSize: 0
; MemoryBound: 0
; FloatMode: 240
; IeeeMode: 1
; LDSByteSize: 8192 bytes/workgroup (compile time only)
; SGPRBlocks: 8
; VGPRBlocks: 13
; NumSGPRsForWavesPerEU: 65
; NumVGPRsForWavesPerEU: 54
; Occupancy: 4
; WaveLimiterHint : 1
; COMPUTE_PGM_RSRC2:SCRATCH_EN: 0
; COMPUTE_PGM_RSRC2:USER_SGPR: 6
; COMPUTE_PGM_RSRC2:TRAP_HANDLER: 0
; COMPUTE_PGM_RSRC2:TGID_X_EN: 1
; COMPUTE_PGM_RSRC2:TGID_Y_EN: 1
; COMPUTE_PGM_RSRC2:TGID_Z_EN: 1
; COMPUTE_PGM_RSRC2:TIDIG_COMP_CNT: 1
	.section	.text._ZL41rocblas_syrkx_herkx_small_restrict_kernelIl19rocblas_complex_numIdELi16ELb1ELb0ELc84ELc76EKPKS1_KPS1_EviT_T0_PT6_S7_lSA_S7_lS8_PT7_S7_li,"axG",@progbits,_ZL41rocblas_syrkx_herkx_small_restrict_kernelIl19rocblas_complex_numIdELi16ELb1ELb0ELc84ELc76EKPKS1_KPS1_EviT_T0_PT6_S7_lSA_S7_lS8_PT7_S7_li,comdat
	.globl	_ZL41rocblas_syrkx_herkx_small_restrict_kernelIl19rocblas_complex_numIdELi16ELb1ELb0ELc84ELc76EKPKS1_KPS1_EviT_T0_PT6_S7_lSA_S7_lS8_PT7_S7_li ; -- Begin function _ZL41rocblas_syrkx_herkx_small_restrict_kernelIl19rocblas_complex_numIdELi16ELb1ELb0ELc84ELc76EKPKS1_KPS1_EviT_T0_PT6_S7_lSA_S7_lS8_PT7_S7_li
	.p2align	8
	.type	_ZL41rocblas_syrkx_herkx_small_restrict_kernelIl19rocblas_complex_numIdELi16ELb1ELb0ELc84ELc76EKPKS1_KPS1_EviT_T0_PT6_S7_lSA_S7_lS8_PT7_S7_li,@function
_ZL41rocblas_syrkx_herkx_small_restrict_kernelIl19rocblas_complex_numIdELi16ELb1ELb0ELc84ELc76EKPKS1_KPS1_EviT_T0_PT6_S7_lSA_S7_lS8_PT7_S7_li: ; @_ZL41rocblas_syrkx_herkx_small_restrict_kernelIl19rocblas_complex_numIdELi16ELb1ELb0ELc84ELc76EKPKS1_KPS1_EviT_T0_PT6_S7_lSA_S7_lS8_PT7_S7_li
; %bb.0:
	s_load_dwordx4 s[0:3], s[4:5], 0x60
	s_load_dwordx2 s[10:11], s[4:5], 0x28
	s_load_dwordx8 s[12:19], s[4:5], 0x8
	s_mov_b32 s9, 0
	s_lshl_b64 s[8:9], s[8:9], 3
	s_waitcnt lgkmcnt(0)
	s_add_u32 s0, s0, s8
	s_addc_u32 s1, s1, s9
	s_load_dwordx2 s[0:1], s[0:1], 0x0
	v_cmp_lt_i64_e64 s[20:21], s[12:13], 1
	v_lshl_add_u32 v2, s6, 4, v0
	v_lshl_add_u32 v12, s7, 4, v1
	s_and_b64 vcc, exec, s[20:21]
	v_ashrrev_i32_e32 v3, 31, v2
	v_ashrrev_i32_e32 v13, 31, v12
	s_cbranch_vccnz .LBB1655_6
; %bb.1:
	s_load_dwordx4 s[20:23], s[4:5], 0x38
	v_mad_u64_u32 v[4:5], s[4:5], s10, v2, 0
	v_mul_lo_u32 v6, s11, v2
	v_mul_lo_u32 v7, s10, v3
	s_waitcnt lgkmcnt(0)
	s_add_u32 s4, s20, s8
	s_addc_u32 s5, s21, s9
	s_add_u32 s6, s18, s8
	s_addc_u32 s7, s19, s9
	s_load_dwordx2 s[6:7], s[6:7], 0x0
	v_lshlrev_b32_e32 v8, 4, v1
	v_add3_u32 v5, v5, v7, v6
	v_lshlrev_b64 v[4:5], 4, v[4:5]
	s_load_dwordx2 s[4:5], s[4:5], 0x0
	s_waitcnt lgkmcnt(0)
	v_mov_b32_e32 v6, s7
	v_add_co_u32_e32 v7, vcc, s6, v8
	v_addc_co_u32_e32 v6, vcc, 0, v6, vcc
	v_add_co_u32_e32 v4, vcc, v7, v4
	v_addc_co_u32_e32 v5, vcc, v6, v5, vcc
	v_mul_lo_u32 v8, s23, v12
	v_mul_lo_u32 v9, s22, v13
	v_mad_u64_u32 v[6:7], s[6:7], s22, v12, 0
	v_lshlrev_b32_e32 v14, 4, v0
	v_mov_b32_e32 v0, s5
	v_add3_u32 v7, v7, v9, v8
	v_add_co_u32_e32 v8, vcc, s4, v14
	v_lshlrev_b32_e32 v10, 8, v1
	v_addc_co_u32_e32 v9, vcc, 0, v0, vcc
	v_lshlrev_b64 v[0:1], 4, v[6:7]
	v_add_u32_e32 v15, v14, v10
	v_add_co_u32_e32 v0, vcc, v8, v0
	v_addc_co_u32_e32 v1, vcc, v9, v1, vcc
	v_add_u32_e32 v16, 0x1000, v10
	v_mov_b32_e32 v8, 0
	v_mov_b32_e32 v10, 0
	;; [unrolled: 1-line block ×3, first 2 shown]
	v_add_u32_e32 v17, v16, v14
	v_mov_b32_e32 v9, 0
	s_mov_b64 s[4:5], 0
	v_mov_b32_e32 v11, 0
	v_mov_b32_e32 v7, s13
.LBB1655_2:                             ; =>This Inner Loop Header: Depth=1
	flat_load_dwordx4 v[18:21], v[4:5]
	s_add_u32 s4, s4, 16
	s_addc_u32 s5, s5, 0
	s_waitcnt vmcnt(0) lgkmcnt(0)
	ds_write2_b64 v15, v[18:19], v[20:21] offset1:1
	flat_load_dwordx4 v[18:21], v[0:1]
	v_add_co_u32_e32 v0, vcc, 0x100, v0
	v_addc_co_u32_e32 v1, vcc, 0, v1, vcc
	v_add_co_u32_e32 v4, vcc, 0x100, v4
	v_addc_co_u32_e32 v5, vcc, 0, v5, vcc
	v_cmp_lt_i64_e32 vcc, s[4:5], v[6:7]
	s_and_b64 vcc, exec, vcc
	s_waitcnt vmcnt(0) lgkmcnt(0)
	ds_write2_b64 v17, v[18:19], v[20:21] offset1:1
	s_waitcnt lgkmcnt(0)
	s_barrier
	ds_read_b128 v[18:21], v16
	ds_read_b128 v[22:25], v16 offset:16
	ds_read_b128 v[26:29], v16 offset:32
	;; [unrolled: 1-line block ×3, first 2 shown]
	ds_read_b128 v[34:37], v14
	s_waitcnt lgkmcnt(0)
	v_mul_f64 v[38:39], v[20:21], v[36:37]
	v_fma_f64 v[38:39], v[18:19], v[34:35], -v[38:39]
	v_mul_f64 v[18:19], v[18:19], v[36:37]
	v_fma_f64 v[18:19], v[20:21], v[34:35], v[18:19]
	v_add_f64 v[20:21], v[10:11], v[38:39]
	v_add_f64 v[18:19], v[8:9], v[18:19]
	ds_read_b128 v[8:11], v14 offset:256
	s_waitcnt lgkmcnt(0)
	v_mul_f64 v[34:35], v[24:25], v[10:11]
	v_mul_f64 v[10:11], v[22:23], v[10:11]
	v_fma_f64 v[34:35], v[22:23], v[8:9], -v[34:35]
	v_fma_f64 v[8:9], v[24:25], v[8:9], v[10:11]
	v_add_f64 v[20:21], v[20:21], v[34:35]
	v_add_f64 v[18:19], v[18:19], v[8:9]
	ds_read_b128 v[8:11], v14 offset:512
	s_waitcnt lgkmcnt(0)
	v_mul_f64 v[22:23], v[28:29], v[10:11]
	v_mul_f64 v[10:11], v[26:27], v[10:11]
	v_fma_f64 v[22:23], v[26:27], v[8:9], -v[22:23]
	;; [unrolled: 8-line block ×3, first 2 shown]
	v_fma_f64 v[8:9], v[32:33], v[8:9], v[10:11]
	v_add_f64 v[22:23], v[20:21], v[22:23]
	v_add_f64 v[24:25], v[18:19], v[8:9]
	ds_read_b128 v[8:11], v16 offset:64
	ds_read_b128 v[18:21], v14 offset:1024
	s_waitcnt lgkmcnt(0)
	v_mul_f64 v[26:27], v[10:11], v[20:21]
	v_fma_f64 v[26:27], v[8:9], v[18:19], -v[26:27]
	v_mul_f64 v[8:9], v[8:9], v[20:21]
	v_add_f64 v[22:23], v[22:23], v[26:27]
	v_fma_f64 v[8:9], v[10:11], v[18:19], v[8:9]
	v_add_f64 v[24:25], v[24:25], v[8:9]
	ds_read_b128 v[8:11], v16 offset:80
	ds_read_b128 v[18:21], v14 offset:1280
	s_waitcnt lgkmcnt(0)
	v_mul_f64 v[26:27], v[10:11], v[20:21]
	v_fma_f64 v[26:27], v[8:9], v[18:19], -v[26:27]
	v_mul_f64 v[8:9], v[8:9], v[20:21]
	v_add_f64 v[22:23], v[22:23], v[26:27]
	v_fma_f64 v[8:9], v[10:11], v[18:19], v[8:9]
	;; [unrolled: 9-line block ×11, first 2 shown]
	v_add_f64 v[24:25], v[24:25], v[8:9]
	ds_read_b128 v[8:11], v16 offset:240
	ds_read_b128 v[18:21], v14 offset:3840
	s_waitcnt lgkmcnt(0)
	s_barrier
	v_mul_f64 v[26:27], v[10:11], v[20:21]
	v_fma_f64 v[26:27], v[8:9], v[18:19], -v[26:27]
	v_mul_f64 v[8:9], v[8:9], v[20:21]
	v_fma_f64 v[8:9], v[10:11], v[18:19], v[8:9]
	v_add_f64 v[10:11], v[22:23], v[26:27]
	v_add_f64 v[8:9], v[24:25], v[8:9]
	s_cbranch_vccnz .LBB1655_2
; %bb.3:
	v_cmp_le_i32_e32 vcc, v12, v2
	s_and_saveexec_b64 s[4:5], vcc
	s_cbranch_execz .LBB1655_5
.LBB1655_4:
	v_mul_f64 v[0:1], s[16:17], v[8:9]
	v_mul_f64 v[6:7], s[14:15], v[8:9]
	v_mul_lo_u32 v4, s3, v12
	v_mul_lo_u32 v5, s2, v13
	v_mad_u64_u32 v[8:9], s[2:3], s2, v12, 0
	v_add3_u32 v9, v9, v5, v4
	v_fma_f64 v[4:5], s[14:15], v[10:11], -v[0:1]
	v_fma_f64 v[6:7], s[16:17], v[10:11], v[6:7]
	v_lshlrev_b64 v[0:1], 4, v[8:9]
	s_waitcnt lgkmcnt(0)
	v_mov_b32_e32 v8, s1
	v_add_co_u32_e32 v9, vcc, s0, v0
	v_addc_co_u32_e32 v8, vcc, v8, v1, vcc
	v_lshlrev_b64 v[0:1], 4, v[2:3]
	v_add_co_u32_e32 v0, vcc, v9, v0
	v_addc_co_u32_e32 v1, vcc, v8, v1, vcc
	flat_store_dwordx4 v[0:1], v[4:7]
.LBB1655_5:
	s_endpgm
.LBB1655_6:
	v_mov_b32_e32 v8, 0
	v_mov_b32_e32 v10, 0
	;; [unrolled: 1-line block ×4, first 2 shown]
	v_cmp_le_i32_e32 vcc, v12, v2
	s_and_saveexec_b64 s[4:5], vcc
	s_cbranch_execnz .LBB1655_4
	s_branch .LBB1655_5
	.section	.rodata,"a",@progbits
	.p2align	6, 0x0
	.amdhsa_kernel _ZL41rocblas_syrkx_herkx_small_restrict_kernelIl19rocblas_complex_numIdELi16ELb1ELb0ELc84ELc76EKPKS1_KPS1_EviT_T0_PT6_S7_lSA_S7_lS8_PT7_S7_li
		.amdhsa_group_segment_fixed_size 8192
		.amdhsa_private_segment_fixed_size 0
		.amdhsa_kernarg_size 124
		.amdhsa_user_sgpr_count 6
		.amdhsa_user_sgpr_private_segment_buffer 1
		.amdhsa_user_sgpr_dispatch_ptr 0
		.amdhsa_user_sgpr_queue_ptr 0
		.amdhsa_user_sgpr_kernarg_segment_ptr 1
		.amdhsa_user_sgpr_dispatch_id 0
		.amdhsa_user_sgpr_flat_scratch_init 0
		.amdhsa_user_sgpr_private_segment_size 0
		.amdhsa_uses_dynamic_stack 0
		.amdhsa_system_sgpr_private_segment_wavefront_offset 0
		.amdhsa_system_sgpr_workgroup_id_x 1
		.amdhsa_system_sgpr_workgroup_id_y 1
		.amdhsa_system_sgpr_workgroup_id_z 1
		.amdhsa_system_sgpr_workgroup_info 0
		.amdhsa_system_vgpr_workitem_id 1
		.amdhsa_next_free_vgpr 40
		.amdhsa_next_free_sgpr 61
		.amdhsa_reserve_vcc 1
		.amdhsa_reserve_flat_scratch 0
		.amdhsa_float_round_mode_32 0
		.amdhsa_float_round_mode_16_64 0
		.amdhsa_float_denorm_mode_32 3
		.amdhsa_float_denorm_mode_16_64 3
		.amdhsa_dx10_clamp 1
		.amdhsa_ieee_mode 1
		.amdhsa_fp16_overflow 0
		.amdhsa_exception_fp_ieee_invalid_op 0
		.amdhsa_exception_fp_denorm_src 0
		.amdhsa_exception_fp_ieee_div_zero 0
		.amdhsa_exception_fp_ieee_overflow 0
		.amdhsa_exception_fp_ieee_underflow 0
		.amdhsa_exception_fp_ieee_inexact 0
		.amdhsa_exception_int_div_zero 0
	.end_amdhsa_kernel
	.section	.text._ZL41rocblas_syrkx_herkx_small_restrict_kernelIl19rocblas_complex_numIdELi16ELb1ELb0ELc84ELc76EKPKS1_KPS1_EviT_T0_PT6_S7_lSA_S7_lS8_PT7_S7_li,"axG",@progbits,_ZL41rocblas_syrkx_herkx_small_restrict_kernelIl19rocblas_complex_numIdELi16ELb1ELb0ELc84ELc76EKPKS1_KPS1_EviT_T0_PT6_S7_lSA_S7_lS8_PT7_S7_li,comdat
.Lfunc_end1655:
	.size	_ZL41rocblas_syrkx_herkx_small_restrict_kernelIl19rocblas_complex_numIdELi16ELb1ELb0ELc84ELc76EKPKS1_KPS1_EviT_T0_PT6_S7_lSA_S7_lS8_PT7_S7_li, .Lfunc_end1655-_ZL41rocblas_syrkx_herkx_small_restrict_kernelIl19rocblas_complex_numIdELi16ELb1ELb0ELc84ELc76EKPKS1_KPS1_EviT_T0_PT6_S7_lSA_S7_lS8_PT7_S7_li
                                        ; -- End function
	.set _ZL41rocblas_syrkx_herkx_small_restrict_kernelIl19rocblas_complex_numIdELi16ELb1ELb0ELc84ELc76EKPKS1_KPS1_EviT_T0_PT6_S7_lSA_S7_lS8_PT7_S7_li.num_vgpr, 40
	.set _ZL41rocblas_syrkx_herkx_small_restrict_kernelIl19rocblas_complex_numIdELi16ELb1ELb0ELc84ELc76EKPKS1_KPS1_EviT_T0_PT6_S7_lSA_S7_lS8_PT7_S7_li.num_agpr, 0
	.set _ZL41rocblas_syrkx_herkx_small_restrict_kernelIl19rocblas_complex_numIdELi16ELb1ELb0ELc84ELc76EKPKS1_KPS1_EviT_T0_PT6_S7_lSA_S7_lS8_PT7_S7_li.numbered_sgpr, 24
	.set _ZL41rocblas_syrkx_herkx_small_restrict_kernelIl19rocblas_complex_numIdELi16ELb1ELb0ELc84ELc76EKPKS1_KPS1_EviT_T0_PT6_S7_lSA_S7_lS8_PT7_S7_li.num_named_barrier, 0
	.set _ZL41rocblas_syrkx_herkx_small_restrict_kernelIl19rocblas_complex_numIdELi16ELb1ELb0ELc84ELc76EKPKS1_KPS1_EviT_T0_PT6_S7_lSA_S7_lS8_PT7_S7_li.private_seg_size, 0
	.set _ZL41rocblas_syrkx_herkx_small_restrict_kernelIl19rocblas_complex_numIdELi16ELb1ELb0ELc84ELc76EKPKS1_KPS1_EviT_T0_PT6_S7_lSA_S7_lS8_PT7_S7_li.uses_vcc, 1
	.set _ZL41rocblas_syrkx_herkx_small_restrict_kernelIl19rocblas_complex_numIdELi16ELb1ELb0ELc84ELc76EKPKS1_KPS1_EviT_T0_PT6_S7_lSA_S7_lS8_PT7_S7_li.uses_flat_scratch, 0
	.set _ZL41rocblas_syrkx_herkx_small_restrict_kernelIl19rocblas_complex_numIdELi16ELb1ELb0ELc84ELc76EKPKS1_KPS1_EviT_T0_PT6_S7_lSA_S7_lS8_PT7_S7_li.has_dyn_sized_stack, 0
	.set _ZL41rocblas_syrkx_herkx_small_restrict_kernelIl19rocblas_complex_numIdELi16ELb1ELb0ELc84ELc76EKPKS1_KPS1_EviT_T0_PT6_S7_lSA_S7_lS8_PT7_S7_li.has_recursion, 0
	.set _ZL41rocblas_syrkx_herkx_small_restrict_kernelIl19rocblas_complex_numIdELi16ELb1ELb0ELc84ELc76EKPKS1_KPS1_EviT_T0_PT6_S7_lSA_S7_lS8_PT7_S7_li.has_indirect_call, 0
	.section	.AMDGPU.csdata,"",@progbits
; Kernel info:
; codeLenInByte = 1660
; TotalNumSgprs: 28
; NumVgprs: 40
; ScratchSize: 0
; MemoryBound: 0
; FloatMode: 240
; IeeeMode: 1
; LDSByteSize: 8192 bytes/workgroup (compile time only)
; SGPRBlocks: 8
; VGPRBlocks: 9
; NumSGPRsForWavesPerEU: 65
; NumVGPRsForWavesPerEU: 40
; Occupancy: 6
; WaveLimiterHint : 1
; COMPUTE_PGM_RSRC2:SCRATCH_EN: 0
; COMPUTE_PGM_RSRC2:USER_SGPR: 6
; COMPUTE_PGM_RSRC2:TRAP_HANDLER: 0
; COMPUTE_PGM_RSRC2:TGID_X_EN: 1
; COMPUTE_PGM_RSRC2:TGID_Y_EN: 1
; COMPUTE_PGM_RSRC2:TGID_Z_EN: 1
; COMPUTE_PGM_RSRC2:TIDIG_COMP_CNT: 1
	.section	.text._ZL41rocblas_syrkx_herkx_small_restrict_kernelIl19rocblas_complex_numIdELi16ELb1ELb0ELc67ELc76EKPKS1_KPS1_EviT_T0_PT6_S7_lSA_S7_lS8_PT7_S7_li,"axG",@progbits,_ZL41rocblas_syrkx_herkx_small_restrict_kernelIl19rocblas_complex_numIdELi16ELb1ELb0ELc67ELc76EKPKS1_KPS1_EviT_T0_PT6_S7_lSA_S7_lS8_PT7_S7_li,comdat
	.globl	_ZL41rocblas_syrkx_herkx_small_restrict_kernelIl19rocblas_complex_numIdELi16ELb1ELb0ELc67ELc76EKPKS1_KPS1_EviT_T0_PT6_S7_lSA_S7_lS8_PT7_S7_li ; -- Begin function _ZL41rocblas_syrkx_herkx_small_restrict_kernelIl19rocblas_complex_numIdELi16ELb1ELb0ELc67ELc76EKPKS1_KPS1_EviT_T0_PT6_S7_lSA_S7_lS8_PT7_S7_li
	.p2align	8
	.type	_ZL41rocblas_syrkx_herkx_small_restrict_kernelIl19rocblas_complex_numIdELi16ELb1ELb0ELc67ELc76EKPKS1_KPS1_EviT_T0_PT6_S7_lSA_S7_lS8_PT7_S7_li,@function
_ZL41rocblas_syrkx_herkx_small_restrict_kernelIl19rocblas_complex_numIdELi16ELb1ELb0ELc67ELc76EKPKS1_KPS1_EviT_T0_PT6_S7_lSA_S7_lS8_PT7_S7_li: ; @_ZL41rocblas_syrkx_herkx_small_restrict_kernelIl19rocblas_complex_numIdELi16ELb1ELb0ELc67ELc76EKPKS1_KPS1_EviT_T0_PT6_S7_lSA_S7_lS8_PT7_S7_li
; %bb.0:
	s_load_dwordx4 s[0:3], s[4:5], 0x60
	s_load_dwordx2 s[10:11], s[4:5], 0x28
	s_load_dwordx8 s[12:19], s[4:5], 0x8
	s_mov_b32 s9, 0
	s_lshl_b64 s[8:9], s[8:9], 3
	s_waitcnt lgkmcnt(0)
	s_add_u32 s0, s0, s8
	s_addc_u32 s1, s1, s9
	s_load_dwordx2 s[0:1], s[0:1], 0x0
	v_cmp_lt_i64_e64 s[20:21], s[12:13], 1
	v_lshl_add_u32 v2, s6, 4, v0
	v_lshl_add_u32 v12, s7, 4, v1
	s_and_b64 vcc, exec, s[20:21]
	v_ashrrev_i32_e32 v3, 31, v2
	v_ashrrev_i32_e32 v13, 31, v12
	s_cbranch_vccnz .LBB1656_6
; %bb.1:
	s_load_dwordx4 s[20:23], s[4:5], 0x38
	v_mad_u64_u32 v[4:5], s[4:5], s10, v2, 0
	v_mul_lo_u32 v6, s11, v2
	v_mul_lo_u32 v7, s10, v3
	s_waitcnt lgkmcnt(0)
	s_add_u32 s4, s20, s8
	s_addc_u32 s5, s21, s9
	s_add_u32 s6, s18, s8
	s_addc_u32 s7, s19, s9
	s_load_dwordx2 s[6:7], s[6:7], 0x0
	v_lshlrev_b32_e32 v8, 4, v1
	v_add3_u32 v5, v5, v7, v6
	v_lshlrev_b64 v[4:5], 4, v[4:5]
	s_load_dwordx2 s[4:5], s[4:5], 0x0
	s_waitcnt lgkmcnt(0)
	v_mov_b32_e32 v6, s7
	v_add_co_u32_e32 v7, vcc, s6, v8
	v_addc_co_u32_e32 v6, vcc, 0, v6, vcc
	v_add_co_u32_e32 v4, vcc, v7, v4
	v_addc_co_u32_e32 v5, vcc, v6, v5, vcc
	v_mul_lo_u32 v8, s23, v12
	v_mul_lo_u32 v9, s22, v13
	v_mad_u64_u32 v[6:7], s[6:7], s22, v12, 0
	v_lshlrev_b32_e32 v14, 4, v0
	v_mov_b32_e32 v0, s5
	v_add3_u32 v7, v7, v9, v8
	v_add_co_u32_e32 v8, vcc, s4, v14
	v_lshlrev_b32_e32 v10, 8, v1
	v_addc_co_u32_e32 v9, vcc, 0, v0, vcc
	v_lshlrev_b64 v[0:1], 4, v[6:7]
	v_add_u32_e32 v15, v14, v10
	v_add_co_u32_e32 v0, vcc, v8, v0
	v_addc_co_u32_e32 v1, vcc, v9, v1, vcc
	v_add_u32_e32 v16, 0x1000, v10
	v_mov_b32_e32 v8, 0
	v_mov_b32_e32 v10, 0
	;; [unrolled: 1-line block ×3, first 2 shown]
	v_add_u32_e32 v17, v16, v14
	v_mov_b32_e32 v9, 0
	s_mov_b64 s[4:5], 0
	v_mov_b32_e32 v11, 0
	v_mov_b32_e32 v7, s13
.LBB1656_2:                             ; =>This Inner Loop Header: Depth=1
	flat_load_dwordx4 v[18:21], v[4:5]
	s_add_u32 s4, s4, 16
	s_addc_u32 s5, s5, 0
	s_waitcnt vmcnt(0) lgkmcnt(0)
	ds_write_b128 v15, v[18:21]
	flat_load_dwordx4 v[18:21], v[0:1]
	v_add_co_u32_e32 v0, vcc, 0x100, v0
	v_addc_co_u32_e32 v1, vcc, 0, v1, vcc
	v_add_co_u32_e32 v4, vcc, 0x100, v4
	v_addc_co_u32_e32 v5, vcc, 0, v5, vcc
	v_cmp_lt_i64_e32 vcc, s[4:5], v[6:7]
	s_and_b64 vcc, exec, vcc
	s_waitcnt vmcnt(0) lgkmcnt(0)
	ds_write2_b64 v17, v[18:19], v[20:21] offset1:1
	s_waitcnt lgkmcnt(0)
	s_barrier
	ds_read_b128 v[18:21], v16
	ds_read_b128 v[22:25], v16 offset:16
	ds_read_b128 v[26:29], v16 offset:32
	;; [unrolled: 1-line block ×3, first 2 shown]
	ds_read_b128 v[34:37], v14
	s_waitcnt lgkmcnt(0)
	v_mul_f64 v[38:39], v[20:21], v[36:37]
	v_fma_f64 v[38:39], v[18:19], v[34:35], -v[38:39]
	v_mul_f64 v[18:19], v[18:19], v[36:37]
	v_fma_f64 v[18:19], v[20:21], v[34:35], v[18:19]
	v_add_f64 v[20:21], v[10:11], v[38:39]
	v_add_f64 v[18:19], v[8:9], v[18:19]
	ds_read_b128 v[8:11], v14 offset:256
	s_waitcnt lgkmcnt(0)
	v_mul_f64 v[34:35], v[24:25], v[10:11]
	v_mul_f64 v[10:11], v[22:23], v[10:11]
	v_fma_f64 v[34:35], v[22:23], v[8:9], -v[34:35]
	v_fma_f64 v[8:9], v[24:25], v[8:9], v[10:11]
	v_add_f64 v[20:21], v[20:21], v[34:35]
	v_add_f64 v[18:19], v[18:19], v[8:9]
	ds_read_b128 v[8:11], v14 offset:512
	s_waitcnt lgkmcnt(0)
	v_mul_f64 v[22:23], v[28:29], v[10:11]
	v_mul_f64 v[10:11], v[26:27], v[10:11]
	v_fma_f64 v[22:23], v[26:27], v[8:9], -v[22:23]
	;; [unrolled: 8-line block ×3, first 2 shown]
	v_fma_f64 v[8:9], v[32:33], v[8:9], v[10:11]
	v_add_f64 v[22:23], v[20:21], v[22:23]
	v_add_f64 v[24:25], v[18:19], v[8:9]
	ds_read_b128 v[8:11], v16 offset:64
	ds_read_b128 v[18:21], v14 offset:1024
	s_waitcnt lgkmcnt(0)
	v_mul_f64 v[26:27], v[10:11], v[20:21]
	v_fma_f64 v[26:27], v[8:9], v[18:19], -v[26:27]
	v_mul_f64 v[8:9], v[8:9], v[20:21]
	v_add_f64 v[22:23], v[22:23], v[26:27]
	v_fma_f64 v[8:9], v[10:11], v[18:19], v[8:9]
	v_add_f64 v[24:25], v[24:25], v[8:9]
	ds_read_b128 v[8:11], v16 offset:80
	ds_read_b128 v[18:21], v14 offset:1280
	s_waitcnt lgkmcnt(0)
	v_mul_f64 v[26:27], v[10:11], v[20:21]
	v_fma_f64 v[26:27], v[8:9], v[18:19], -v[26:27]
	v_mul_f64 v[8:9], v[8:9], v[20:21]
	v_add_f64 v[22:23], v[22:23], v[26:27]
	v_fma_f64 v[8:9], v[10:11], v[18:19], v[8:9]
	;; [unrolled: 9-line block ×11, first 2 shown]
	v_add_f64 v[24:25], v[24:25], v[8:9]
	ds_read_b128 v[8:11], v16 offset:240
	ds_read_b128 v[18:21], v14 offset:3840
	s_waitcnt lgkmcnt(0)
	s_barrier
	v_mul_f64 v[26:27], v[10:11], v[20:21]
	v_fma_f64 v[26:27], v[8:9], v[18:19], -v[26:27]
	v_mul_f64 v[8:9], v[8:9], v[20:21]
	v_fma_f64 v[8:9], v[10:11], v[18:19], v[8:9]
	v_add_f64 v[10:11], v[22:23], v[26:27]
	v_add_f64 v[8:9], v[24:25], v[8:9]
	s_cbranch_vccnz .LBB1656_2
; %bb.3:
	v_cmp_le_i32_e32 vcc, v12, v2
	s_and_saveexec_b64 s[4:5], vcc
	s_cbranch_execz .LBB1656_5
.LBB1656_4:
	v_mul_f64 v[0:1], s[16:17], v[8:9]
	v_mul_f64 v[6:7], s[14:15], v[8:9]
	v_mul_lo_u32 v4, s3, v12
	v_mul_lo_u32 v5, s2, v13
	v_mad_u64_u32 v[8:9], s[2:3], s2, v12, 0
	v_add3_u32 v9, v9, v5, v4
	v_fma_f64 v[4:5], s[14:15], v[10:11], -v[0:1]
	v_fma_f64 v[6:7], s[16:17], v[10:11], v[6:7]
	v_lshlrev_b64 v[0:1], 4, v[8:9]
	s_waitcnt lgkmcnt(0)
	v_mov_b32_e32 v8, s1
	v_add_co_u32_e32 v9, vcc, s0, v0
	v_addc_co_u32_e32 v8, vcc, v8, v1, vcc
	v_lshlrev_b64 v[0:1], 4, v[2:3]
	v_add_co_u32_e32 v0, vcc, v9, v0
	v_addc_co_u32_e32 v1, vcc, v8, v1, vcc
	flat_store_dwordx4 v[0:1], v[4:7]
.LBB1656_5:
	s_endpgm
.LBB1656_6:
	v_mov_b32_e32 v8, 0
	v_mov_b32_e32 v10, 0
	;; [unrolled: 1-line block ×4, first 2 shown]
	v_cmp_le_i32_e32 vcc, v12, v2
	s_and_saveexec_b64 s[4:5], vcc
	s_cbranch_execnz .LBB1656_4
	s_branch .LBB1656_5
	.section	.rodata,"a",@progbits
	.p2align	6, 0x0
	.amdhsa_kernel _ZL41rocblas_syrkx_herkx_small_restrict_kernelIl19rocblas_complex_numIdELi16ELb1ELb0ELc67ELc76EKPKS1_KPS1_EviT_T0_PT6_S7_lSA_S7_lS8_PT7_S7_li
		.amdhsa_group_segment_fixed_size 8192
		.amdhsa_private_segment_fixed_size 0
		.amdhsa_kernarg_size 124
		.amdhsa_user_sgpr_count 6
		.amdhsa_user_sgpr_private_segment_buffer 1
		.amdhsa_user_sgpr_dispatch_ptr 0
		.amdhsa_user_sgpr_queue_ptr 0
		.amdhsa_user_sgpr_kernarg_segment_ptr 1
		.amdhsa_user_sgpr_dispatch_id 0
		.amdhsa_user_sgpr_flat_scratch_init 0
		.amdhsa_user_sgpr_private_segment_size 0
		.amdhsa_uses_dynamic_stack 0
		.amdhsa_system_sgpr_private_segment_wavefront_offset 0
		.amdhsa_system_sgpr_workgroup_id_x 1
		.amdhsa_system_sgpr_workgroup_id_y 1
		.amdhsa_system_sgpr_workgroup_id_z 1
		.amdhsa_system_sgpr_workgroup_info 0
		.amdhsa_system_vgpr_workitem_id 1
		.amdhsa_next_free_vgpr 40
		.amdhsa_next_free_sgpr 61
		.amdhsa_reserve_vcc 1
		.amdhsa_reserve_flat_scratch 0
		.amdhsa_float_round_mode_32 0
		.amdhsa_float_round_mode_16_64 0
		.amdhsa_float_denorm_mode_32 3
		.amdhsa_float_denorm_mode_16_64 3
		.amdhsa_dx10_clamp 1
		.amdhsa_ieee_mode 1
		.amdhsa_fp16_overflow 0
		.amdhsa_exception_fp_ieee_invalid_op 0
		.amdhsa_exception_fp_denorm_src 0
		.amdhsa_exception_fp_ieee_div_zero 0
		.amdhsa_exception_fp_ieee_overflow 0
		.amdhsa_exception_fp_ieee_underflow 0
		.amdhsa_exception_fp_ieee_inexact 0
		.amdhsa_exception_int_div_zero 0
	.end_amdhsa_kernel
	.section	.text._ZL41rocblas_syrkx_herkx_small_restrict_kernelIl19rocblas_complex_numIdELi16ELb1ELb0ELc67ELc76EKPKS1_KPS1_EviT_T0_PT6_S7_lSA_S7_lS8_PT7_S7_li,"axG",@progbits,_ZL41rocblas_syrkx_herkx_small_restrict_kernelIl19rocblas_complex_numIdELi16ELb1ELb0ELc67ELc76EKPKS1_KPS1_EviT_T0_PT6_S7_lSA_S7_lS8_PT7_S7_li,comdat
.Lfunc_end1656:
	.size	_ZL41rocblas_syrkx_herkx_small_restrict_kernelIl19rocblas_complex_numIdELi16ELb1ELb0ELc67ELc76EKPKS1_KPS1_EviT_T0_PT6_S7_lSA_S7_lS8_PT7_S7_li, .Lfunc_end1656-_ZL41rocblas_syrkx_herkx_small_restrict_kernelIl19rocblas_complex_numIdELi16ELb1ELb0ELc67ELc76EKPKS1_KPS1_EviT_T0_PT6_S7_lSA_S7_lS8_PT7_S7_li
                                        ; -- End function
	.set _ZL41rocblas_syrkx_herkx_small_restrict_kernelIl19rocblas_complex_numIdELi16ELb1ELb0ELc67ELc76EKPKS1_KPS1_EviT_T0_PT6_S7_lSA_S7_lS8_PT7_S7_li.num_vgpr, 40
	.set _ZL41rocblas_syrkx_herkx_small_restrict_kernelIl19rocblas_complex_numIdELi16ELb1ELb0ELc67ELc76EKPKS1_KPS1_EviT_T0_PT6_S7_lSA_S7_lS8_PT7_S7_li.num_agpr, 0
	.set _ZL41rocblas_syrkx_herkx_small_restrict_kernelIl19rocblas_complex_numIdELi16ELb1ELb0ELc67ELc76EKPKS1_KPS1_EviT_T0_PT6_S7_lSA_S7_lS8_PT7_S7_li.numbered_sgpr, 24
	.set _ZL41rocblas_syrkx_herkx_small_restrict_kernelIl19rocblas_complex_numIdELi16ELb1ELb0ELc67ELc76EKPKS1_KPS1_EviT_T0_PT6_S7_lSA_S7_lS8_PT7_S7_li.num_named_barrier, 0
	.set _ZL41rocblas_syrkx_herkx_small_restrict_kernelIl19rocblas_complex_numIdELi16ELb1ELb0ELc67ELc76EKPKS1_KPS1_EviT_T0_PT6_S7_lSA_S7_lS8_PT7_S7_li.private_seg_size, 0
	.set _ZL41rocblas_syrkx_herkx_small_restrict_kernelIl19rocblas_complex_numIdELi16ELb1ELb0ELc67ELc76EKPKS1_KPS1_EviT_T0_PT6_S7_lSA_S7_lS8_PT7_S7_li.uses_vcc, 1
	.set _ZL41rocblas_syrkx_herkx_small_restrict_kernelIl19rocblas_complex_numIdELi16ELb1ELb0ELc67ELc76EKPKS1_KPS1_EviT_T0_PT6_S7_lSA_S7_lS8_PT7_S7_li.uses_flat_scratch, 0
	.set _ZL41rocblas_syrkx_herkx_small_restrict_kernelIl19rocblas_complex_numIdELi16ELb1ELb0ELc67ELc76EKPKS1_KPS1_EviT_T0_PT6_S7_lSA_S7_lS8_PT7_S7_li.has_dyn_sized_stack, 0
	.set _ZL41rocblas_syrkx_herkx_small_restrict_kernelIl19rocblas_complex_numIdELi16ELb1ELb0ELc67ELc76EKPKS1_KPS1_EviT_T0_PT6_S7_lSA_S7_lS8_PT7_S7_li.has_recursion, 0
	.set _ZL41rocblas_syrkx_herkx_small_restrict_kernelIl19rocblas_complex_numIdELi16ELb1ELb0ELc67ELc76EKPKS1_KPS1_EviT_T0_PT6_S7_lSA_S7_lS8_PT7_S7_li.has_indirect_call, 0
	.section	.AMDGPU.csdata,"",@progbits
; Kernel info:
; codeLenInByte = 1660
; TotalNumSgprs: 28
; NumVgprs: 40
; ScratchSize: 0
; MemoryBound: 0
; FloatMode: 240
; IeeeMode: 1
; LDSByteSize: 8192 bytes/workgroup (compile time only)
; SGPRBlocks: 8
; VGPRBlocks: 9
; NumSGPRsForWavesPerEU: 65
; NumVGPRsForWavesPerEU: 40
; Occupancy: 6
; WaveLimiterHint : 1
; COMPUTE_PGM_RSRC2:SCRATCH_EN: 0
; COMPUTE_PGM_RSRC2:USER_SGPR: 6
; COMPUTE_PGM_RSRC2:TRAP_HANDLER: 0
; COMPUTE_PGM_RSRC2:TGID_X_EN: 1
; COMPUTE_PGM_RSRC2:TGID_Y_EN: 1
; COMPUTE_PGM_RSRC2:TGID_Z_EN: 1
; COMPUTE_PGM_RSRC2:TIDIG_COMP_CNT: 1
	.section	.text._ZL41rocblas_syrkx_herkx_small_restrict_kernelIl19rocblas_complex_numIdELi16ELb1ELb0ELc78ELc76EKPKS1_KPS1_EviT_T0_PT6_S7_lSA_S7_lS8_PT7_S7_li,"axG",@progbits,_ZL41rocblas_syrkx_herkx_small_restrict_kernelIl19rocblas_complex_numIdELi16ELb1ELb0ELc78ELc76EKPKS1_KPS1_EviT_T0_PT6_S7_lSA_S7_lS8_PT7_S7_li,comdat
	.globl	_ZL41rocblas_syrkx_herkx_small_restrict_kernelIl19rocblas_complex_numIdELi16ELb1ELb0ELc78ELc76EKPKS1_KPS1_EviT_T0_PT6_S7_lSA_S7_lS8_PT7_S7_li ; -- Begin function _ZL41rocblas_syrkx_herkx_small_restrict_kernelIl19rocblas_complex_numIdELi16ELb1ELb0ELc78ELc76EKPKS1_KPS1_EviT_T0_PT6_S7_lSA_S7_lS8_PT7_S7_li
	.p2align	8
	.type	_ZL41rocblas_syrkx_herkx_small_restrict_kernelIl19rocblas_complex_numIdELi16ELb1ELb0ELc78ELc76EKPKS1_KPS1_EviT_T0_PT6_S7_lSA_S7_lS8_PT7_S7_li,@function
_ZL41rocblas_syrkx_herkx_small_restrict_kernelIl19rocblas_complex_numIdELi16ELb1ELb0ELc78ELc76EKPKS1_KPS1_EviT_T0_PT6_S7_lSA_S7_lS8_PT7_S7_li: ; @_ZL41rocblas_syrkx_herkx_small_restrict_kernelIl19rocblas_complex_numIdELi16ELb1ELb0ELc78ELc76EKPKS1_KPS1_EviT_T0_PT6_S7_lSA_S7_lS8_PT7_S7_li
; %bb.0:
	s_load_dwordx4 s[0:3], s[4:5], 0x60
	s_load_dwordx2 s[20:21], s[4:5], 0x28
	s_load_dwordx8 s[12:19], s[4:5], 0x8
	s_mov_b32 s9, 0
	s_lshl_b64 s[22:23], s[8:9], 3
	s_waitcnt lgkmcnt(0)
	s_add_u32 s0, s0, s22
	s_addc_u32 s1, s1, s23
	s_load_dwordx2 s[0:1], s[0:1], 0x0
	v_cmp_lt_i64_e64 s[8:9], s[12:13], 1
	v_lshl_add_u32 v2, s6, 4, v0
	v_lshl_add_u32 v4, s7, 4, v1
	s_and_b64 vcc, exec, s[8:9]
	v_ashrrev_i32_e32 v3, 31, v2
	v_ashrrev_i32_e32 v5, 31, v4
	s_cbranch_vccnz .LBB1657_6
; %bb.1:
	s_load_dwordx4 s[8:11], s[4:5], 0x38
	v_lshlrev_b32_e32 v9, 8, v1
	v_lshlrev_b32_e32 v14, 4, v0
	v_add_u32_e32 v15, v14, v9
	v_add_u32_e32 v16, 0x1000, v9
	s_waitcnt lgkmcnt(0)
	v_mad_u64_u32 v[6:7], s[6:7], s10, v0, 0
	s_add_u32 s4, s8, s22
	s_addc_u32 s5, s9, s23
	v_mad_u64_u32 v[7:8], s[8:9], s11, v0, v[7:8]
	v_mad_u64_u32 v[10:11], s[8:9], s20, v1, 0
	v_lshlrev_b64 v[6:7], 4, v[6:7]
	v_lshlrev_b64 v[8:9], 4, v[4:5]
	s_load_dwordx2 s[4:5], s[4:5], 0x0
	v_add_co_u32_e32 v8, vcc, v6, v8
	v_mov_b32_e32 v0, v11
	v_addc_co_u32_e32 v9, vcc, v7, v9, vcc
	v_mad_u64_u32 v[6:7], s[8:9], s21, v1, v[0:1]
	s_add_u32 s6, s18, s22
	s_addc_u32 s7, s19, s23
	s_load_dwordx2 s[6:7], s[6:7], 0x0
	s_waitcnt lgkmcnt(0)
	v_mov_b32_e32 v12, s5
	v_add_co_u32_e32 v0, vcc, s4, v8
	v_mov_b32_e32 v11, v6
	v_addc_co_u32_e32 v1, vcc, v12, v9, vcc
	v_lshlrev_b64 v[6:7], 4, v[10:11]
	v_lshlrev_b64 v[8:9], 4, v[2:3]
	s_lshl_b64 s[4:5], s[10:11], 8
	v_add_co_u32_e32 v6, vcc, v6, v8
	v_addc_co_u32_e32 v7, vcc, v7, v9, vcc
	v_mov_b32_e32 v8, s7
	v_add_co_u32_e32 v6, vcc, s6, v6
	v_addc_co_u32_e32 v7, vcc, v8, v7, vcc
	s_lshl_b64 s[6:7], s[20:21], 8
	v_mov_b32_e32 v10, 0
	v_mov_b32_e32 v12, 0
	;; [unrolled: 1-line block ×3, first 2 shown]
	v_add_u32_e32 v17, v16, v14
	v_mov_b32_e32 v11, 0
	s_mov_b64 s[8:9], 0
	v_mov_b32_e32 v18, s5
	v_mov_b32_e32 v19, s7
	v_mov_b32_e32 v13, 0
	v_mov_b32_e32 v9, s13
.LBB1657_2:                             ; =>This Inner Loop Header: Depth=1
	flat_load_dwordx4 v[20:23], v[6:7]
	s_add_u32 s8, s8, 16
	s_addc_u32 s9, s9, 0
	s_waitcnt vmcnt(0) lgkmcnt(0)
	ds_write2_b64 v15, v[20:21], v[22:23] offset1:1
	flat_load_dwordx4 v[20:23], v[0:1]
	v_add_co_u32_e32 v0, vcc, s4, v0
	v_addc_co_u32_e32 v1, vcc, v1, v18, vcc
	v_add_co_u32_e32 v6, vcc, s6, v6
	v_addc_co_u32_e32 v7, vcc, v7, v19, vcc
	v_cmp_lt_i64_e32 vcc, s[8:9], v[8:9]
	s_and_b64 vcc, exec, vcc
	s_waitcnt vmcnt(0) lgkmcnt(0)
	ds_write_b128 v17, v[20:23]
	s_waitcnt lgkmcnt(0)
	s_barrier
	ds_read_b128 v[20:23], v16
	ds_read_b128 v[24:27], v16 offset:16
	ds_read_b128 v[28:31], v16 offset:32
	;; [unrolled: 1-line block ×3, first 2 shown]
	ds_read_b128 v[36:39], v14
	s_waitcnt lgkmcnt(0)
	v_mul_f64 v[40:41], v[22:23], v[38:39]
	v_fma_f64 v[40:41], v[20:21], v[36:37], -v[40:41]
	v_mul_f64 v[20:21], v[20:21], v[38:39]
	v_fma_f64 v[20:21], v[22:23], v[36:37], v[20:21]
	v_add_f64 v[22:23], v[12:13], v[40:41]
	v_add_f64 v[20:21], v[10:11], v[20:21]
	ds_read_b128 v[10:13], v14 offset:256
	s_waitcnt lgkmcnt(0)
	v_mul_f64 v[36:37], v[26:27], v[12:13]
	v_mul_f64 v[12:13], v[24:25], v[12:13]
	v_fma_f64 v[36:37], v[24:25], v[10:11], -v[36:37]
	v_fma_f64 v[10:11], v[26:27], v[10:11], v[12:13]
	v_add_f64 v[22:23], v[22:23], v[36:37]
	v_add_f64 v[20:21], v[20:21], v[10:11]
	ds_read_b128 v[10:13], v14 offset:512
	s_waitcnt lgkmcnt(0)
	v_mul_f64 v[24:25], v[30:31], v[12:13]
	v_mul_f64 v[12:13], v[28:29], v[12:13]
	v_fma_f64 v[24:25], v[28:29], v[10:11], -v[24:25]
	v_fma_f64 v[10:11], v[30:31], v[10:11], v[12:13]
	v_add_f64 v[22:23], v[22:23], v[24:25]
	v_add_f64 v[20:21], v[20:21], v[10:11]
	ds_read_b128 v[10:13], v14 offset:768
	s_waitcnt lgkmcnt(0)
	v_mul_f64 v[24:25], v[34:35], v[12:13]
	v_mul_f64 v[12:13], v[32:33], v[12:13]
	v_fma_f64 v[24:25], v[32:33], v[10:11], -v[24:25]
	v_fma_f64 v[10:11], v[34:35], v[10:11], v[12:13]
	v_add_f64 v[24:25], v[22:23], v[24:25]
	v_add_f64 v[26:27], v[20:21], v[10:11]
	ds_read_b128 v[10:13], v16 offset:64
	ds_read_b128 v[20:23], v14 offset:1024
	s_waitcnt lgkmcnt(0)
	v_mul_f64 v[28:29], v[12:13], v[22:23]
	v_fma_f64 v[28:29], v[10:11], v[20:21], -v[28:29]
	v_mul_f64 v[10:11], v[10:11], v[22:23]
	v_add_f64 v[24:25], v[24:25], v[28:29]
	v_fma_f64 v[10:11], v[12:13], v[20:21], v[10:11]
	v_add_f64 v[26:27], v[26:27], v[10:11]
	ds_read_b128 v[10:13], v16 offset:80
	ds_read_b128 v[20:23], v14 offset:1280
	s_waitcnt lgkmcnt(0)
	v_mul_f64 v[28:29], v[12:13], v[22:23]
	v_fma_f64 v[28:29], v[10:11], v[20:21], -v[28:29]
	v_mul_f64 v[10:11], v[10:11], v[22:23]
	v_add_f64 v[24:25], v[24:25], v[28:29]
	v_fma_f64 v[10:11], v[12:13], v[20:21], v[10:11]
	;; [unrolled: 9-line block ×11, first 2 shown]
	v_add_f64 v[26:27], v[26:27], v[10:11]
	ds_read_b128 v[10:13], v16 offset:240
	ds_read_b128 v[20:23], v14 offset:3840
	s_waitcnt lgkmcnt(0)
	s_barrier
	v_mul_f64 v[28:29], v[12:13], v[22:23]
	v_fma_f64 v[28:29], v[10:11], v[20:21], -v[28:29]
	v_mul_f64 v[10:11], v[10:11], v[22:23]
	v_fma_f64 v[10:11], v[12:13], v[20:21], v[10:11]
	v_add_f64 v[12:13], v[24:25], v[28:29]
	v_add_f64 v[10:11], v[26:27], v[10:11]
	s_cbranch_vccnz .LBB1657_2
; %bb.3:
	v_cmp_le_i32_e32 vcc, v4, v2
	s_and_saveexec_b64 s[4:5], vcc
	s_cbranch_execz .LBB1657_5
.LBB1657_4:
	v_mul_f64 v[0:1], s[16:17], v[10:11]
	v_mul_f64 v[6:7], s[14:15], v[10:11]
	v_mul_lo_u32 v10, s3, v4
	v_mul_lo_u32 v5, s2, v5
	v_mad_u64_u32 v[8:9], s[2:3], s2, v4, 0
	v_add3_u32 v9, v9, v5, v10
	v_fma_f64 v[4:5], s[14:15], v[12:13], -v[0:1]
	v_fma_f64 v[6:7], s[16:17], v[12:13], v[6:7]
	v_lshlrev_b64 v[0:1], 4, v[8:9]
	s_waitcnt lgkmcnt(0)
	v_mov_b32_e32 v8, s1
	v_add_co_u32_e32 v9, vcc, s0, v0
	v_addc_co_u32_e32 v8, vcc, v8, v1, vcc
	v_lshlrev_b64 v[0:1], 4, v[2:3]
	v_add_co_u32_e32 v0, vcc, v9, v0
	v_addc_co_u32_e32 v1, vcc, v8, v1, vcc
	flat_store_dwordx4 v[0:1], v[4:7]
.LBB1657_5:
	s_endpgm
.LBB1657_6:
	v_mov_b32_e32 v10, 0
	v_mov_b32_e32 v12, 0
	;; [unrolled: 1-line block ×4, first 2 shown]
	v_cmp_le_i32_e32 vcc, v4, v2
	s_and_saveexec_b64 s[4:5], vcc
	s_cbranch_execnz .LBB1657_4
	s_branch .LBB1657_5
	.section	.rodata,"a",@progbits
	.p2align	6, 0x0
	.amdhsa_kernel _ZL41rocblas_syrkx_herkx_small_restrict_kernelIl19rocblas_complex_numIdELi16ELb1ELb0ELc78ELc76EKPKS1_KPS1_EviT_T0_PT6_S7_lSA_S7_lS8_PT7_S7_li
		.amdhsa_group_segment_fixed_size 8192
		.amdhsa_private_segment_fixed_size 0
		.amdhsa_kernarg_size 124
		.amdhsa_user_sgpr_count 6
		.amdhsa_user_sgpr_private_segment_buffer 1
		.amdhsa_user_sgpr_dispatch_ptr 0
		.amdhsa_user_sgpr_queue_ptr 0
		.amdhsa_user_sgpr_kernarg_segment_ptr 1
		.amdhsa_user_sgpr_dispatch_id 0
		.amdhsa_user_sgpr_flat_scratch_init 0
		.amdhsa_user_sgpr_private_segment_size 0
		.amdhsa_uses_dynamic_stack 0
		.amdhsa_system_sgpr_private_segment_wavefront_offset 0
		.amdhsa_system_sgpr_workgroup_id_x 1
		.amdhsa_system_sgpr_workgroup_id_y 1
		.amdhsa_system_sgpr_workgroup_id_z 1
		.amdhsa_system_sgpr_workgroup_info 0
		.amdhsa_system_vgpr_workitem_id 1
		.amdhsa_next_free_vgpr 42
		.amdhsa_next_free_sgpr 61
		.amdhsa_reserve_vcc 1
		.amdhsa_reserve_flat_scratch 0
		.amdhsa_float_round_mode_32 0
		.amdhsa_float_round_mode_16_64 0
		.amdhsa_float_denorm_mode_32 3
		.amdhsa_float_denorm_mode_16_64 3
		.amdhsa_dx10_clamp 1
		.amdhsa_ieee_mode 1
		.amdhsa_fp16_overflow 0
		.amdhsa_exception_fp_ieee_invalid_op 0
		.amdhsa_exception_fp_denorm_src 0
		.amdhsa_exception_fp_ieee_div_zero 0
		.amdhsa_exception_fp_ieee_overflow 0
		.amdhsa_exception_fp_ieee_underflow 0
		.amdhsa_exception_fp_ieee_inexact 0
		.amdhsa_exception_int_div_zero 0
	.end_amdhsa_kernel
	.section	.text._ZL41rocblas_syrkx_herkx_small_restrict_kernelIl19rocblas_complex_numIdELi16ELb1ELb0ELc78ELc76EKPKS1_KPS1_EviT_T0_PT6_S7_lSA_S7_lS8_PT7_S7_li,"axG",@progbits,_ZL41rocblas_syrkx_herkx_small_restrict_kernelIl19rocblas_complex_numIdELi16ELb1ELb0ELc78ELc76EKPKS1_KPS1_EviT_T0_PT6_S7_lSA_S7_lS8_PT7_S7_li,comdat
.Lfunc_end1657:
	.size	_ZL41rocblas_syrkx_herkx_small_restrict_kernelIl19rocblas_complex_numIdELi16ELb1ELb0ELc78ELc76EKPKS1_KPS1_EviT_T0_PT6_S7_lSA_S7_lS8_PT7_S7_li, .Lfunc_end1657-_ZL41rocblas_syrkx_herkx_small_restrict_kernelIl19rocblas_complex_numIdELi16ELb1ELb0ELc78ELc76EKPKS1_KPS1_EviT_T0_PT6_S7_lSA_S7_lS8_PT7_S7_li
                                        ; -- End function
	.set _ZL41rocblas_syrkx_herkx_small_restrict_kernelIl19rocblas_complex_numIdELi16ELb1ELb0ELc78ELc76EKPKS1_KPS1_EviT_T0_PT6_S7_lSA_S7_lS8_PT7_S7_li.num_vgpr, 42
	.set _ZL41rocblas_syrkx_herkx_small_restrict_kernelIl19rocblas_complex_numIdELi16ELb1ELb0ELc78ELc76EKPKS1_KPS1_EviT_T0_PT6_S7_lSA_S7_lS8_PT7_S7_li.num_agpr, 0
	.set _ZL41rocblas_syrkx_herkx_small_restrict_kernelIl19rocblas_complex_numIdELi16ELb1ELb0ELc78ELc76EKPKS1_KPS1_EviT_T0_PT6_S7_lSA_S7_lS8_PT7_S7_li.numbered_sgpr, 24
	.set _ZL41rocblas_syrkx_herkx_small_restrict_kernelIl19rocblas_complex_numIdELi16ELb1ELb0ELc78ELc76EKPKS1_KPS1_EviT_T0_PT6_S7_lSA_S7_lS8_PT7_S7_li.num_named_barrier, 0
	.set _ZL41rocblas_syrkx_herkx_small_restrict_kernelIl19rocblas_complex_numIdELi16ELb1ELb0ELc78ELc76EKPKS1_KPS1_EviT_T0_PT6_S7_lSA_S7_lS8_PT7_S7_li.private_seg_size, 0
	.set _ZL41rocblas_syrkx_herkx_small_restrict_kernelIl19rocblas_complex_numIdELi16ELb1ELb0ELc78ELc76EKPKS1_KPS1_EviT_T0_PT6_S7_lSA_S7_lS8_PT7_S7_li.uses_vcc, 1
	.set _ZL41rocblas_syrkx_herkx_small_restrict_kernelIl19rocblas_complex_numIdELi16ELb1ELb0ELc78ELc76EKPKS1_KPS1_EviT_T0_PT6_S7_lSA_S7_lS8_PT7_S7_li.uses_flat_scratch, 0
	.set _ZL41rocblas_syrkx_herkx_small_restrict_kernelIl19rocblas_complex_numIdELi16ELb1ELb0ELc78ELc76EKPKS1_KPS1_EviT_T0_PT6_S7_lSA_S7_lS8_PT7_S7_li.has_dyn_sized_stack, 0
	.set _ZL41rocblas_syrkx_herkx_small_restrict_kernelIl19rocblas_complex_numIdELi16ELb1ELb0ELc78ELc76EKPKS1_KPS1_EviT_T0_PT6_S7_lSA_S7_lS8_PT7_S7_li.has_recursion, 0
	.set _ZL41rocblas_syrkx_herkx_small_restrict_kernelIl19rocblas_complex_numIdELi16ELb1ELb0ELc78ELc76EKPKS1_KPS1_EviT_T0_PT6_S7_lSA_S7_lS8_PT7_S7_li.has_indirect_call, 0
	.section	.AMDGPU.csdata,"",@progbits
; Kernel info:
; codeLenInByte = 1656
; TotalNumSgprs: 28
; NumVgprs: 42
; ScratchSize: 0
; MemoryBound: 0
; FloatMode: 240
; IeeeMode: 1
; LDSByteSize: 8192 bytes/workgroup (compile time only)
; SGPRBlocks: 8
; VGPRBlocks: 10
; NumSGPRsForWavesPerEU: 65
; NumVGPRsForWavesPerEU: 42
; Occupancy: 5
; WaveLimiterHint : 1
; COMPUTE_PGM_RSRC2:SCRATCH_EN: 0
; COMPUTE_PGM_RSRC2:USER_SGPR: 6
; COMPUTE_PGM_RSRC2:TRAP_HANDLER: 0
; COMPUTE_PGM_RSRC2:TGID_X_EN: 1
; COMPUTE_PGM_RSRC2:TGID_Y_EN: 1
; COMPUTE_PGM_RSRC2:TGID_Z_EN: 1
; COMPUTE_PGM_RSRC2:TIDIG_COMP_CNT: 1
	.section	.text._ZL41rocblas_syrkx_herkx_small_restrict_kernelIl19rocblas_complex_numIdELi16ELb1ELb0ELc84ELc85EKPKS1_KPS1_EviT_T0_PT6_S7_lSA_S7_lS8_PT7_S7_li,"axG",@progbits,_ZL41rocblas_syrkx_herkx_small_restrict_kernelIl19rocblas_complex_numIdELi16ELb1ELb0ELc84ELc85EKPKS1_KPS1_EviT_T0_PT6_S7_lSA_S7_lS8_PT7_S7_li,comdat
	.globl	_ZL41rocblas_syrkx_herkx_small_restrict_kernelIl19rocblas_complex_numIdELi16ELb1ELb0ELc84ELc85EKPKS1_KPS1_EviT_T0_PT6_S7_lSA_S7_lS8_PT7_S7_li ; -- Begin function _ZL41rocblas_syrkx_herkx_small_restrict_kernelIl19rocblas_complex_numIdELi16ELb1ELb0ELc84ELc85EKPKS1_KPS1_EviT_T0_PT6_S7_lSA_S7_lS8_PT7_S7_li
	.p2align	8
	.type	_ZL41rocblas_syrkx_herkx_small_restrict_kernelIl19rocblas_complex_numIdELi16ELb1ELb0ELc84ELc85EKPKS1_KPS1_EviT_T0_PT6_S7_lSA_S7_lS8_PT7_S7_li,@function
_ZL41rocblas_syrkx_herkx_small_restrict_kernelIl19rocblas_complex_numIdELi16ELb1ELb0ELc84ELc85EKPKS1_KPS1_EviT_T0_PT6_S7_lSA_S7_lS8_PT7_S7_li: ; @_ZL41rocblas_syrkx_herkx_small_restrict_kernelIl19rocblas_complex_numIdELi16ELb1ELb0ELc84ELc85EKPKS1_KPS1_EviT_T0_PT6_S7_lSA_S7_lS8_PT7_S7_li
; %bb.0:
	s_load_dwordx4 s[0:3], s[4:5], 0x60
	s_load_dwordx2 s[10:11], s[4:5], 0x28
	s_load_dwordx8 s[12:19], s[4:5], 0x8
	s_mov_b32 s9, 0
	s_lshl_b64 s[8:9], s[8:9], 3
	s_waitcnt lgkmcnt(0)
	s_add_u32 s0, s0, s8
	s_addc_u32 s1, s1, s9
	s_load_dwordx2 s[0:1], s[0:1], 0x0
	v_cmp_lt_i64_e64 s[20:21], s[12:13], 1
	v_lshl_add_u32 v2, s6, 4, v0
	v_lshl_add_u32 v12, s7, 4, v1
	s_and_b64 vcc, exec, s[20:21]
	v_ashrrev_i32_e32 v3, 31, v2
	v_ashrrev_i32_e32 v13, 31, v12
	s_cbranch_vccnz .LBB1658_6
; %bb.1:
	s_load_dwordx4 s[20:23], s[4:5], 0x38
	v_mad_u64_u32 v[4:5], s[4:5], s10, v2, 0
	v_mul_lo_u32 v6, s11, v2
	v_mul_lo_u32 v7, s10, v3
	s_waitcnt lgkmcnt(0)
	s_add_u32 s4, s20, s8
	s_addc_u32 s5, s21, s9
	s_add_u32 s6, s18, s8
	s_addc_u32 s7, s19, s9
	s_load_dwordx2 s[6:7], s[6:7], 0x0
	v_lshlrev_b32_e32 v8, 4, v1
	v_add3_u32 v5, v5, v7, v6
	v_lshlrev_b64 v[4:5], 4, v[4:5]
	s_load_dwordx2 s[4:5], s[4:5], 0x0
	s_waitcnt lgkmcnt(0)
	v_mov_b32_e32 v6, s7
	v_add_co_u32_e32 v7, vcc, s6, v8
	v_addc_co_u32_e32 v6, vcc, 0, v6, vcc
	v_add_co_u32_e32 v4, vcc, v7, v4
	v_addc_co_u32_e32 v5, vcc, v6, v5, vcc
	v_mul_lo_u32 v8, s23, v12
	v_mul_lo_u32 v9, s22, v13
	v_mad_u64_u32 v[6:7], s[6:7], s22, v12, 0
	v_lshlrev_b32_e32 v14, 4, v0
	v_mov_b32_e32 v0, s5
	v_add3_u32 v7, v7, v9, v8
	v_add_co_u32_e32 v8, vcc, s4, v14
	v_lshlrev_b32_e32 v10, 8, v1
	v_addc_co_u32_e32 v9, vcc, 0, v0, vcc
	v_lshlrev_b64 v[0:1], 4, v[6:7]
	v_add_u32_e32 v15, v14, v10
	v_add_co_u32_e32 v0, vcc, v8, v0
	v_addc_co_u32_e32 v1, vcc, v9, v1, vcc
	v_add_u32_e32 v16, 0x1000, v10
	v_mov_b32_e32 v8, 0
	v_mov_b32_e32 v10, 0
	v_mov_b32_e32 v6, s12
	v_add_u32_e32 v17, v16, v14
	v_mov_b32_e32 v9, 0
	s_mov_b64 s[4:5], 0
	v_mov_b32_e32 v11, 0
	v_mov_b32_e32 v7, s13
.LBB1658_2:                             ; =>This Inner Loop Header: Depth=1
	flat_load_dwordx4 v[18:21], v[4:5]
	s_add_u32 s4, s4, 16
	s_addc_u32 s5, s5, 0
	s_waitcnt vmcnt(0) lgkmcnt(0)
	ds_write2_b64 v15, v[18:19], v[20:21] offset1:1
	flat_load_dwordx4 v[18:21], v[0:1]
	v_add_co_u32_e32 v0, vcc, 0x100, v0
	v_addc_co_u32_e32 v1, vcc, 0, v1, vcc
	v_add_co_u32_e32 v4, vcc, 0x100, v4
	v_addc_co_u32_e32 v5, vcc, 0, v5, vcc
	v_cmp_lt_i64_e32 vcc, s[4:5], v[6:7]
	s_and_b64 vcc, exec, vcc
	s_waitcnt vmcnt(0) lgkmcnt(0)
	ds_write2_b64 v17, v[18:19], v[20:21] offset1:1
	s_waitcnt lgkmcnt(0)
	s_barrier
	ds_read_b128 v[18:21], v16
	ds_read_b128 v[22:25], v16 offset:16
	ds_read_b128 v[26:29], v16 offset:32
	;; [unrolled: 1-line block ×3, first 2 shown]
	ds_read_b128 v[34:37], v14
	s_waitcnt lgkmcnt(0)
	v_mul_f64 v[38:39], v[20:21], v[36:37]
	v_fma_f64 v[38:39], v[18:19], v[34:35], -v[38:39]
	v_mul_f64 v[18:19], v[18:19], v[36:37]
	v_fma_f64 v[18:19], v[20:21], v[34:35], v[18:19]
	v_add_f64 v[20:21], v[10:11], v[38:39]
	v_add_f64 v[18:19], v[8:9], v[18:19]
	ds_read_b128 v[8:11], v14 offset:256
	s_waitcnt lgkmcnt(0)
	v_mul_f64 v[34:35], v[24:25], v[10:11]
	v_mul_f64 v[10:11], v[22:23], v[10:11]
	v_fma_f64 v[34:35], v[22:23], v[8:9], -v[34:35]
	v_fma_f64 v[8:9], v[24:25], v[8:9], v[10:11]
	v_add_f64 v[20:21], v[20:21], v[34:35]
	v_add_f64 v[18:19], v[18:19], v[8:9]
	ds_read_b128 v[8:11], v14 offset:512
	s_waitcnt lgkmcnt(0)
	v_mul_f64 v[22:23], v[28:29], v[10:11]
	v_mul_f64 v[10:11], v[26:27], v[10:11]
	v_fma_f64 v[22:23], v[26:27], v[8:9], -v[22:23]
	;; [unrolled: 8-line block ×3, first 2 shown]
	v_fma_f64 v[8:9], v[32:33], v[8:9], v[10:11]
	v_add_f64 v[22:23], v[20:21], v[22:23]
	v_add_f64 v[24:25], v[18:19], v[8:9]
	ds_read_b128 v[8:11], v16 offset:64
	ds_read_b128 v[18:21], v14 offset:1024
	s_waitcnt lgkmcnt(0)
	v_mul_f64 v[26:27], v[10:11], v[20:21]
	v_fma_f64 v[26:27], v[8:9], v[18:19], -v[26:27]
	v_mul_f64 v[8:9], v[8:9], v[20:21]
	v_add_f64 v[22:23], v[22:23], v[26:27]
	v_fma_f64 v[8:9], v[10:11], v[18:19], v[8:9]
	v_add_f64 v[24:25], v[24:25], v[8:9]
	ds_read_b128 v[8:11], v16 offset:80
	ds_read_b128 v[18:21], v14 offset:1280
	s_waitcnt lgkmcnt(0)
	v_mul_f64 v[26:27], v[10:11], v[20:21]
	v_fma_f64 v[26:27], v[8:9], v[18:19], -v[26:27]
	v_mul_f64 v[8:9], v[8:9], v[20:21]
	v_add_f64 v[22:23], v[22:23], v[26:27]
	v_fma_f64 v[8:9], v[10:11], v[18:19], v[8:9]
	;; [unrolled: 9-line block ×11, first 2 shown]
	v_add_f64 v[24:25], v[24:25], v[8:9]
	ds_read_b128 v[8:11], v16 offset:240
	ds_read_b128 v[18:21], v14 offset:3840
	s_waitcnt lgkmcnt(0)
	s_barrier
	v_mul_f64 v[26:27], v[10:11], v[20:21]
	v_fma_f64 v[26:27], v[8:9], v[18:19], -v[26:27]
	v_mul_f64 v[8:9], v[8:9], v[20:21]
	v_fma_f64 v[8:9], v[10:11], v[18:19], v[8:9]
	v_add_f64 v[10:11], v[22:23], v[26:27]
	v_add_f64 v[8:9], v[24:25], v[8:9]
	s_cbranch_vccnz .LBB1658_2
; %bb.3:
	v_cmp_le_i32_e32 vcc, v2, v12
	s_and_saveexec_b64 s[4:5], vcc
	s_cbranch_execz .LBB1658_5
.LBB1658_4:
	v_mul_f64 v[0:1], s[16:17], v[8:9]
	v_mul_f64 v[6:7], s[14:15], v[8:9]
	v_mul_lo_u32 v4, s3, v12
	v_mul_lo_u32 v5, s2, v13
	v_mad_u64_u32 v[8:9], s[2:3], s2, v12, 0
	v_add3_u32 v9, v9, v5, v4
	v_fma_f64 v[4:5], s[14:15], v[10:11], -v[0:1]
	v_fma_f64 v[6:7], s[16:17], v[10:11], v[6:7]
	v_lshlrev_b64 v[0:1], 4, v[8:9]
	s_waitcnt lgkmcnt(0)
	v_mov_b32_e32 v8, s1
	v_add_co_u32_e32 v9, vcc, s0, v0
	v_addc_co_u32_e32 v8, vcc, v8, v1, vcc
	v_lshlrev_b64 v[0:1], 4, v[2:3]
	v_add_co_u32_e32 v0, vcc, v9, v0
	v_addc_co_u32_e32 v1, vcc, v8, v1, vcc
	flat_store_dwordx4 v[0:1], v[4:7]
.LBB1658_5:
	s_endpgm
.LBB1658_6:
	v_mov_b32_e32 v8, 0
	v_mov_b32_e32 v10, 0
	;; [unrolled: 1-line block ×4, first 2 shown]
	v_cmp_le_i32_e32 vcc, v2, v12
	s_and_saveexec_b64 s[4:5], vcc
	s_cbranch_execnz .LBB1658_4
	s_branch .LBB1658_5
	.section	.rodata,"a",@progbits
	.p2align	6, 0x0
	.amdhsa_kernel _ZL41rocblas_syrkx_herkx_small_restrict_kernelIl19rocblas_complex_numIdELi16ELb1ELb0ELc84ELc85EKPKS1_KPS1_EviT_T0_PT6_S7_lSA_S7_lS8_PT7_S7_li
		.amdhsa_group_segment_fixed_size 8192
		.amdhsa_private_segment_fixed_size 0
		.amdhsa_kernarg_size 124
		.amdhsa_user_sgpr_count 6
		.amdhsa_user_sgpr_private_segment_buffer 1
		.amdhsa_user_sgpr_dispatch_ptr 0
		.amdhsa_user_sgpr_queue_ptr 0
		.amdhsa_user_sgpr_kernarg_segment_ptr 1
		.amdhsa_user_sgpr_dispatch_id 0
		.amdhsa_user_sgpr_flat_scratch_init 0
		.amdhsa_user_sgpr_private_segment_size 0
		.amdhsa_uses_dynamic_stack 0
		.amdhsa_system_sgpr_private_segment_wavefront_offset 0
		.amdhsa_system_sgpr_workgroup_id_x 1
		.amdhsa_system_sgpr_workgroup_id_y 1
		.amdhsa_system_sgpr_workgroup_id_z 1
		.amdhsa_system_sgpr_workgroup_info 0
		.amdhsa_system_vgpr_workitem_id 1
		.amdhsa_next_free_vgpr 40
		.amdhsa_next_free_sgpr 61
		.amdhsa_reserve_vcc 1
		.amdhsa_reserve_flat_scratch 0
		.amdhsa_float_round_mode_32 0
		.amdhsa_float_round_mode_16_64 0
		.amdhsa_float_denorm_mode_32 3
		.amdhsa_float_denorm_mode_16_64 3
		.amdhsa_dx10_clamp 1
		.amdhsa_ieee_mode 1
		.amdhsa_fp16_overflow 0
		.amdhsa_exception_fp_ieee_invalid_op 0
		.amdhsa_exception_fp_denorm_src 0
		.amdhsa_exception_fp_ieee_div_zero 0
		.amdhsa_exception_fp_ieee_overflow 0
		.amdhsa_exception_fp_ieee_underflow 0
		.amdhsa_exception_fp_ieee_inexact 0
		.amdhsa_exception_int_div_zero 0
	.end_amdhsa_kernel
	.section	.text._ZL41rocblas_syrkx_herkx_small_restrict_kernelIl19rocblas_complex_numIdELi16ELb1ELb0ELc84ELc85EKPKS1_KPS1_EviT_T0_PT6_S7_lSA_S7_lS8_PT7_S7_li,"axG",@progbits,_ZL41rocblas_syrkx_herkx_small_restrict_kernelIl19rocblas_complex_numIdELi16ELb1ELb0ELc84ELc85EKPKS1_KPS1_EviT_T0_PT6_S7_lSA_S7_lS8_PT7_S7_li,comdat
.Lfunc_end1658:
	.size	_ZL41rocblas_syrkx_herkx_small_restrict_kernelIl19rocblas_complex_numIdELi16ELb1ELb0ELc84ELc85EKPKS1_KPS1_EviT_T0_PT6_S7_lSA_S7_lS8_PT7_S7_li, .Lfunc_end1658-_ZL41rocblas_syrkx_herkx_small_restrict_kernelIl19rocblas_complex_numIdELi16ELb1ELb0ELc84ELc85EKPKS1_KPS1_EviT_T0_PT6_S7_lSA_S7_lS8_PT7_S7_li
                                        ; -- End function
	.set _ZL41rocblas_syrkx_herkx_small_restrict_kernelIl19rocblas_complex_numIdELi16ELb1ELb0ELc84ELc85EKPKS1_KPS1_EviT_T0_PT6_S7_lSA_S7_lS8_PT7_S7_li.num_vgpr, 40
	.set _ZL41rocblas_syrkx_herkx_small_restrict_kernelIl19rocblas_complex_numIdELi16ELb1ELb0ELc84ELc85EKPKS1_KPS1_EviT_T0_PT6_S7_lSA_S7_lS8_PT7_S7_li.num_agpr, 0
	.set _ZL41rocblas_syrkx_herkx_small_restrict_kernelIl19rocblas_complex_numIdELi16ELb1ELb0ELc84ELc85EKPKS1_KPS1_EviT_T0_PT6_S7_lSA_S7_lS8_PT7_S7_li.numbered_sgpr, 24
	.set _ZL41rocblas_syrkx_herkx_small_restrict_kernelIl19rocblas_complex_numIdELi16ELb1ELb0ELc84ELc85EKPKS1_KPS1_EviT_T0_PT6_S7_lSA_S7_lS8_PT7_S7_li.num_named_barrier, 0
	.set _ZL41rocblas_syrkx_herkx_small_restrict_kernelIl19rocblas_complex_numIdELi16ELb1ELb0ELc84ELc85EKPKS1_KPS1_EviT_T0_PT6_S7_lSA_S7_lS8_PT7_S7_li.private_seg_size, 0
	.set _ZL41rocblas_syrkx_herkx_small_restrict_kernelIl19rocblas_complex_numIdELi16ELb1ELb0ELc84ELc85EKPKS1_KPS1_EviT_T0_PT6_S7_lSA_S7_lS8_PT7_S7_li.uses_vcc, 1
	.set _ZL41rocblas_syrkx_herkx_small_restrict_kernelIl19rocblas_complex_numIdELi16ELb1ELb0ELc84ELc85EKPKS1_KPS1_EviT_T0_PT6_S7_lSA_S7_lS8_PT7_S7_li.uses_flat_scratch, 0
	.set _ZL41rocblas_syrkx_herkx_small_restrict_kernelIl19rocblas_complex_numIdELi16ELb1ELb0ELc84ELc85EKPKS1_KPS1_EviT_T0_PT6_S7_lSA_S7_lS8_PT7_S7_li.has_dyn_sized_stack, 0
	.set _ZL41rocblas_syrkx_herkx_small_restrict_kernelIl19rocblas_complex_numIdELi16ELb1ELb0ELc84ELc85EKPKS1_KPS1_EviT_T0_PT6_S7_lSA_S7_lS8_PT7_S7_li.has_recursion, 0
	.set _ZL41rocblas_syrkx_herkx_small_restrict_kernelIl19rocblas_complex_numIdELi16ELb1ELb0ELc84ELc85EKPKS1_KPS1_EviT_T0_PT6_S7_lSA_S7_lS8_PT7_S7_li.has_indirect_call, 0
	.section	.AMDGPU.csdata,"",@progbits
; Kernel info:
; codeLenInByte = 1660
; TotalNumSgprs: 28
; NumVgprs: 40
; ScratchSize: 0
; MemoryBound: 0
; FloatMode: 240
; IeeeMode: 1
; LDSByteSize: 8192 bytes/workgroup (compile time only)
; SGPRBlocks: 8
; VGPRBlocks: 9
; NumSGPRsForWavesPerEU: 65
; NumVGPRsForWavesPerEU: 40
; Occupancy: 6
; WaveLimiterHint : 1
; COMPUTE_PGM_RSRC2:SCRATCH_EN: 0
; COMPUTE_PGM_RSRC2:USER_SGPR: 6
; COMPUTE_PGM_RSRC2:TRAP_HANDLER: 0
; COMPUTE_PGM_RSRC2:TGID_X_EN: 1
; COMPUTE_PGM_RSRC2:TGID_Y_EN: 1
; COMPUTE_PGM_RSRC2:TGID_Z_EN: 1
; COMPUTE_PGM_RSRC2:TIDIG_COMP_CNT: 1
	.section	.text._ZL41rocblas_syrkx_herkx_small_restrict_kernelIl19rocblas_complex_numIdELi16ELb1ELb0ELc67ELc85EKPKS1_KPS1_EviT_T0_PT6_S7_lSA_S7_lS8_PT7_S7_li,"axG",@progbits,_ZL41rocblas_syrkx_herkx_small_restrict_kernelIl19rocblas_complex_numIdELi16ELb1ELb0ELc67ELc85EKPKS1_KPS1_EviT_T0_PT6_S7_lSA_S7_lS8_PT7_S7_li,comdat
	.globl	_ZL41rocblas_syrkx_herkx_small_restrict_kernelIl19rocblas_complex_numIdELi16ELb1ELb0ELc67ELc85EKPKS1_KPS1_EviT_T0_PT6_S7_lSA_S7_lS8_PT7_S7_li ; -- Begin function _ZL41rocblas_syrkx_herkx_small_restrict_kernelIl19rocblas_complex_numIdELi16ELb1ELb0ELc67ELc85EKPKS1_KPS1_EviT_T0_PT6_S7_lSA_S7_lS8_PT7_S7_li
	.p2align	8
	.type	_ZL41rocblas_syrkx_herkx_small_restrict_kernelIl19rocblas_complex_numIdELi16ELb1ELb0ELc67ELc85EKPKS1_KPS1_EviT_T0_PT6_S7_lSA_S7_lS8_PT7_S7_li,@function
_ZL41rocblas_syrkx_herkx_small_restrict_kernelIl19rocblas_complex_numIdELi16ELb1ELb0ELc67ELc85EKPKS1_KPS1_EviT_T0_PT6_S7_lSA_S7_lS8_PT7_S7_li: ; @_ZL41rocblas_syrkx_herkx_small_restrict_kernelIl19rocblas_complex_numIdELi16ELb1ELb0ELc67ELc85EKPKS1_KPS1_EviT_T0_PT6_S7_lSA_S7_lS8_PT7_S7_li
; %bb.0:
	s_load_dwordx4 s[0:3], s[4:5], 0x60
	s_load_dwordx2 s[10:11], s[4:5], 0x28
	s_load_dwordx8 s[12:19], s[4:5], 0x8
	s_mov_b32 s9, 0
	s_lshl_b64 s[8:9], s[8:9], 3
	s_waitcnt lgkmcnt(0)
	s_add_u32 s0, s0, s8
	s_addc_u32 s1, s1, s9
	s_load_dwordx2 s[0:1], s[0:1], 0x0
	v_cmp_lt_i64_e64 s[20:21], s[12:13], 1
	v_lshl_add_u32 v2, s6, 4, v0
	v_lshl_add_u32 v12, s7, 4, v1
	s_and_b64 vcc, exec, s[20:21]
	v_ashrrev_i32_e32 v3, 31, v2
	v_ashrrev_i32_e32 v13, 31, v12
	s_cbranch_vccnz .LBB1659_6
; %bb.1:
	s_load_dwordx4 s[20:23], s[4:5], 0x38
	v_mad_u64_u32 v[4:5], s[4:5], s10, v2, 0
	v_mul_lo_u32 v6, s11, v2
	v_mul_lo_u32 v7, s10, v3
	s_waitcnt lgkmcnt(0)
	s_add_u32 s4, s20, s8
	s_addc_u32 s5, s21, s9
	s_add_u32 s6, s18, s8
	s_addc_u32 s7, s19, s9
	s_load_dwordx2 s[6:7], s[6:7], 0x0
	v_lshlrev_b32_e32 v8, 4, v1
	v_add3_u32 v5, v5, v7, v6
	v_lshlrev_b64 v[4:5], 4, v[4:5]
	s_load_dwordx2 s[4:5], s[4:5], 0x0
	s_waitcnt lgkmcnt(0)
	v_mov_b32_e32 v6, s7
	v_add_co_u32_e32 v7, vcc, s6, v8
	v_addc_co_u32_e32 v6, vcc, 0, v6, vcc
	v_add_co_u32_e32 v4, vcc, v7, v4
	v_addc_co_u32_e32 v5, vcc, v6, v5, vcc
	v_mul_lo_u32 v8, s23, v12
	v_mul_lo_u32 v9, s22, v13
	v_mad_u64_u32 v[6:7], s[6:7], s22, v12, 0
	v_lshlrev_b32_e32 v14, 4, v0
	v_mov_b32_e32 v0, s5
	v_add3_u32 v7, v7, v9, v8
	v_add_co_u32_e32 v8, vcc, s4, v14
	v_lshlrev_b32_e32 v10, 8, v1
	v_addc_co_u32_e32 v9, vcc, 0, v0, vcc
	v_lshlrev_b64 v[0:1], 4, v[6:7]
	v_add_u32_e32 v15, v14, v10
	v_add_co_u32_e32 v0, vcc, v8, v0
	v_addc_co_u32_e32 v1, vcc, v9, v1, vcc
	v_add_u32_e32 v16, 0x1000, v10
	v_mov_b32_e32 v8, 0
	v_mov_b32_e32 v10, 0
	;; [unrolled: 1-line block ×3, first 2 shown]
	v_add_u32_e32 v17, v16, v14
	v_mov_b32_e32 v9, 0
	s_mov_b64 s[4:5], 0
	v_mov_b32_e32 v11, 0
	v_mov_b32_e32 v7, s13
.LBB1659_2:                             ; =>This Inner Loop Header: Depth=1
	flat_load_dwordx4 v[18:21], v[4:5]
	s_add_u32 s4, s4, 16
	s_addc_u32 s5, s5, 0
	s_waitcnt vmcnt(0) lgkmcnt(0)
	ds_write_b128 v15, v[18:21]
	flat_load_dwordx4 v[18:21], v[0:1]
	v_add_co_u32_e32 v0, vcc, 0x100, v0
	v_addc_co_u32_e32 v1, vcc, 0, v1, vcc
	v_add_co_u32_e32 v4, vcc, 0x100, v4
	v_addc_co_u32_e32 v5, vcc, 0, v5, vcc
	v_cmp_lt_i64_e32 vcc, s[4:5], v[6:7]
	s_and_b64 vcc, exec, vcc
	s_waitcnt vmcnt(0) lgkmcnt(0)
	ds_write2_b64 v17, v[18:19], v[20:21] offset1:1
	s_waitcnt lgkmcnt(0)
	s_barrier
	ds_read_b128 v[18:21], v16
	ds_read_b128 v[22:25], v16 offset:16
	ds_read_b128 v[26:29], v16 offset:32
	;; [unrolled: 1-line block ×3, first 2 shown]
	ds_read_b128 v[34:37], v14
	s_waitcnt lgkmcnt(0)
	v_mul_f64 v[38:39], v[20:21], v[36:37]
	v_fma_f64 v[38:39], v[18:19], v[34:35], -v[38:39]
	v_mul_f64 v[18:19], v[18:19], v[36:37]
	v_fma_f64 v[18:19], v[20:21], v[34:35], v[18:19]
	v_add_f64 v[20:21], v[10:11], v[38:39]
	v_add_f64 v[18:19], v[8:9], v[18:19]
	ds_read_b128 v[8:11], v14 offset:256
	s_waitcnt lgkmcnt(0)
	v_mul_f64 v[34:35], v[24:25], v[10:11]
	v_mul_f64 v[10:11], v[22:23], v[10:11]
	v_fma_f64 v[34:35], v[22:23], v[8:9], -v[34:35]
	v_fma_f64 v[8:9], v[24:25], v[8:9], v[10:11]
	v_add_f64 v[20:21], v[20:21], v[34:35]
	v_add_f64 v[18:19], v[18:19], v[8:9]
	ds_read_b128 v[8:11], v14 offset:512
	s_waitcnt lgkmcnt(0)
	v_mul_f64 v[22:23], v[28:29], v[10:11]
	v_mul_f64 v[10:11], v[26:27], v[10:11]
	v_fma_f64 v[22:23], v[26:27], v[8:9], -v[22:23]
	;; [unrolled: 8-line block ×3, first 2 shown]
	v_fma_f64 v[8:9], v[32:33], v[8:9], v[10:11]
	v_add_f64 v[22:23], v[20:21], v[22:23]
	v_add_f64 v[24:25], v[18:19], v[8:9]
	ds_read_b128 v[8:11], v16 offset:64
	ds_read_b128 v[18:21], v14 offset:1024
	s_waitcnt lgkmcnt(0)
	v_mul_f64 v[26:27], v[10:11], v[20:21]
	v_fma_f64 v[26:27], v[8:9], v[18:19], -v[26:27]
	v_mul_f64 v[8:9], v[8:9], v[20:21]
	v_add_f64 v[22:23], v[22:23], v[26:27]
	v_fma_f64 v[8:9], v[10:11], v[18:19], v[8:9]
	v_add_f64 v[24:25], v[24:25], v[8:9]
	ds_read_b128 v[8:11], v16 offset:80
	ds_read_b128 v[18:21], v14 offset:1280
	s_waitcnt lgkmcnt(0)
	v_mul_f64 v[26:27], v[10:11], v[20:21]
	v_fma_f64 v[26:27], v[8:9], v[18:19], -v[26:27]
	v_mul_f64 v[8:9], v[8:9], v[20:21]
	v_add_f64 v[22:23], v[22:23], v[26:27]
	v_fma_f64 v[8:9], v[10:11], v[18:19], v[8:9]
	;; [unrolled: 9-line block ×11, first 2 shown]
	v_add_f64 v[24:25], v[24:25], v[8:9]
	ds_read_b128 v[8:11], v16 offset:240
	ds_read_b128 v[18:21], v14 offset:3840
	s_waitcnt lgkmcnt(0)
	s_barrier
	v_mul_f64 v[26:27], v[10:11], v[20:21]
	v_fma_f64 v[26:27], v[8:9], v[18:19], -v[26:27]
	v_mul_f64 v[8:9], v[8:9], v[20:21]
	v_fma_f64 v[8:9], v[10:11], v[18:19], v[8:9]
	v_add_f64 v[10:11], v[22:23], v[26:27]
	v_add_f64 v[8:9], v[24:25], v[8:9]
	s_cbranch_vccnz .LBB1659_2
; %bb.3:
	v_cmp_le_i32_e32 vcc, v2, v12
	s_and_saveexec_b64 s[4:5], vcc
	s_cbranch_execz .LBB1659_5
.LBB1659_4:
	v_mul_f64 v[0:1], s[16:17], v[8:9]
	v_mul_f64 v[6:7], s[14:15], v[8:9]
	v_mul_lo_u32 v4, s3, v12
	v_mul_lo_u32 v5, s2, v13
	v_mad_u64_u32 v[8:9], s[2:3], s2, v12, 0
	v_add3_u32 v9, v9, v5, v4
	v_fma_f64 v[4:5], s[14:15], v[10:11], -v[0:1]
	v_fma_f64 v[6:7], s[16:17], v[10:11], v[6:7]
	v_lshlrev_b64 v[0:1], 4, v[8:9]
	s_waitcnt lgkmcnt(0)
	v_mov_b32_e32 v8, s1
	v_add_co_u32_e32 v9, vcc, s0, v0
	v_addc_co_u32_e32 v8, vcc, v8, v1, vcc
	v_lshlrev_b64 v[0:1], 4, v[2:3]
	v_add_co_u32_e32 v0, vcc, v9, v0
	v_addc_co_u32_e32 v1, vcc, v8, v1, vcc
	flat_store_dwordx4 v[0:1], v[4:7]
.LBB1659_5:
	s_endpgm
.LBB1659_6:
	v_mov_b32_e32 v8, 0
	v_mov_b32_e32 v10, 0
	;; [unrolled: 1-line block ×4, first 2 shown]
	v_cmp_le_i32_e32 vcc, v2, v12
	s_and_saveexec_b64 s[4:5], vcc
	s_cbranch_execnz .LBB1659_4
	s_branch .LBB1659_5
	.section	.rodata,"a",@progbits
	.p2align	6, 0x0
	.amdhsa_kernel _ZL41rocblas_syrkx_herkx_small_restrict_kernelIl19rocblas_complex_numIdELi16ELb1ELb0ELc67ELc85EKPKS1_KPS1_EviT_T0_PT6_S7_lSA_S7_lS8_PT7_S7_li
		.amdhsa_group_segment_fixed_size 8192
		.amdhsa_private_segment_fixed_size 0
		.amdhsa_kernarg_size 124
		.amdhsa_user_sgpr_count 6
		.amdhsa_user_sgpr_private_segment_buffer 1
		.amdhsa_user_sgpr_dispatch_ptr 0
		.amdhsa_user_sgpr_queue_ptr 0
		.amdhsa_user_sgpr_kernarg_segment_ptr 1
		.amdhsa_user_sgpr_dispatch_id 0
		.amdhsa_user_sgpr_flat_scratch_init 0
		.amdhsa_user_sgpr_private_segment_size 0
		.amdhsa_uses_dynamic_stack 0
		.amdhsa_system_sgpr_private_segment_wavefront_offset 0
		.amdhsa_system_sgpr_workgroup_id_x 1
		.amdhsa_system_sgpr_workgroup_id_y 1
		.amdhsa_system_sgpr_workgroup_id_z 1
		.amdhsa_system_sgpr_workgroup_info 0
		.amdhsa_system_vgpr_workitem_id 1
		.amdhsa_next_free_vgpr 40
		.amdhsa_next_free_sgpr 61
		.amdhsa_reserve_vcc 1
		.amdhsa_reserve_flat_scratch 0
		.amdhsa_float_round_mode_32 0
		.amdhsa_float_round_mode_16_64 0
		.amdhsa_float_denorm_mode_32 3
		.amdhsa_float_denorm_mode_16_64 3
		.amdhsa_dx10_clamp 1
		.amdhsa_ieee_mode 1
		.amdhsa_fp16_overflow 0
		.amdhsa_exception_fp_ieee_invalid_op 0
		.amdhsa_exception_fp_denorm_src 0
		.amdhsa_exception_fp_ieee_div_zero 0
		.amdhsa_exception_fp_ieee_overflow 0
		.amdhsa_exception_fp_ieee_underflow 0
		.amdhsa_exception_fp_ieee_inexact 0
		.amdhsa_exception_int_div_zero 0
	.end_amdhsa_kernel
	.section	.text._ZL41rocblas_syrkx_herkx_small_restrict_kernelIl19rocblas_complex_numIdELi16ELb1ELb0ELc67ELc85EKPKS1_KPS1_EviT_T0_PT6_S7_lSA_S7_lS8_PT7_S7_li,"axG",@progbits,_ZL41rocblas_syrkx_herkx_small_restrict_kernelIl19rocblas_complex_numIdELi16ELb1ELb0ELc67ELc85EKPKS1_KPS1_EviT_T0_PT6_S7_lSA_S7_lS8_PT7_S7_li,comdat
.Lfunc_end1659:
	.size	_ZL41rocblas_syrkx_herkx_small_restrict_kernelIl19rocblas_complex_numIdELi16ELb1ELb0ELc67ELc85EKPKS1_KPS1_EviT_T0_PT6_S7_lSA_S7_lS8_PT7_S7_li, .Lfunc_end1659-_ZL41rocblas_syrkx_herkx_small_restrict_kernelIl19rocblas_complex_numIdELi16ELb1ELb0ELc67ELc85EKPKS1_KPS1_EviT_T0_PT6_S7_lSA_S7_lS8_PT7_S7_li
                                        ; -- End function
	.set _ZL41rocblas_syrkx_herkx_small_restrict_kernelIl19rocblas_complex_numIdELi16ELb1ELb0ELc67ELc85EKPKS1_KPS1_EviT_T0_PT6_S7_lSA_S7_lS8_PT7_S7_li.num_vgpr, 40
	.set _ZL41rocblas_syrkx_herkx_small_restrict_kernelIl19rocblas_complex_numIdELi16ELb1ELb0ELc67ELc85EKPKS1_KPS1_EviT_T0_PT6_S7_lSA_S7_lS8_PT7_S7_li.num_agpr, 0
	.set _ZL41rocblas_syrkx_herkx_small_restrict_kernelIl19rocblas_complex_numIdELi16ELb1ELb0ELc67ELc85EKPKS1_KPS1_EviT_T0_PT6_S7_lSA_S7_lS8_PT7_S7_li.numbered_sgpr, 24
	.set _ZL41rocblas_syrkx_herkx_small_restrict_kernelIl19rocblas_complex_numIdELi16ELb1ELb0ELc67ELc85EKPKS1_KPS1_EviT_T0_PT6_S7_lSA_S7_lS8_PT7_S7_li.num_named_barrier, 0
	.set _ZL41rocblas_syrkx_herkx_small_restrict_kernelIl19rocblas_complex_numIdELi16ELb1ELb0ELc67ELc85EKPKS1_KPS1_EviT_T0_PT6_S7_lSA_S7_lS8_PT7_S7_li.private_seg_size, 0
	.set _ZL41rocblas_syrkx_herkx_small_restrict_kernelIl19rocblas_complex_numIdELi16ELb1ELb0ELc67ELc85EKPKS1_KPS1_EviT_T0_PT6_S7_lSA_S7_lS8_PT7_S7_li.uses_vcc, 1
	.set _ZL41rocblas_syrkx_herkx_small_restrict_kernelIl19rocblas_complex_numIdELi16ELb1ELb0ELc67ELc85EKPKS1_KPS1_EviT_T0_PT6_S7_lSA_S7_lS8_PT7_S7_li.uses_flat_scratch, 0
	.set _ZL41rocblas_syrkx_herkx_small_restrict_kernelIl19rocblas_complex_numIdELi16ELb1ELb0ELc67ELc85EKPKS1_KPS1_EviT_T0_PT6_S7_lSA_S7_lS8_PT7_S7_li.has_dyn_sized_stack, 0
	.set _ZL41rocblas_syrkx_herkx_small_restrict_kernelIl19rocblas_complex_numIdELi16ELb1ELb0ELc67ELc85EKPKS1_KPS1_EviT_T0_PT6_S7_lSA_S7_lS8_PT7_S7_li.has_recursion, 0
	.set _ZL41rocblas_syrkx_herkx_small_restrict_kernelIl19rocblas_complex_numIdELi16ELb1ELb0ELc67ELc85EKPKS1_KPS1_EviT_T0_PT6_S7_lSA_S7_lS8_PT7_S7_li.has_indirect_call, 0
	.section	.AMDGPU.csdata,"",@progbits
; Kernel info:
; codeLenInByte = 1660
; TotalNumSgprs: 28
; NumVgprs: 40
; ScratchSize: 0
; MemoryBound: 0
; FloatMode: 240
; IeeeMode: 1
; LDSByteSize: 8192 bytes/workgroup (compile time only)
; SGPRBlocks: 8
; VGPRBlocks: 9
; NumSGPRsForWavesPerEU: 65
; NumVGPRsForWavesPerEU: 40
; Occupancy: 6
; WaveLimiterHint : 1
; COMPUTE_PGM_RSRC2:SCRATCH_EN: 0
; COMPUTE_PGM_RSRC2:USER_SGPR: 6
; COMPUTE_PGM_RSRC2:TRAP_HANDLER: 0
; COMPUTE_PGM_RSRC2:TGID_X_EN: 1
; COMPUTE_PGM_RSRC2:TGID_Y_EN: 1
; COMPUTE_PGM_RSRC2:TGID_Z_EN: 1
; COMPUTE_PGM_RSRC2:TIDIG_COMP_CNT: 1
	.section	.text._ZL41rocblas_syrkx_herkx_small_restrict_kernelIl19rocblas_complex_numIdELi16ELb1ELb0ELc78ELc85EKPKS1_KPS1_EviT_T0_PT6_S7_lSA_S7_lS8_PT7_S7_li,"axG",@progbits,_ZL41rocblas_syrkx_herkx_small_restrict_kernelIl19rocblas_complex_numIdELi16ELb1ELb0ELc78ELc85EKPKS1_KPS1_EviT_T0_PT6_S7_lSA_S7_lS8_PT7_S7_li,comdat
	.globl	_ZL41rocblas_syrkx_herkx_small_restrict_kernelIl19rocblas_complex_numIdELi16ELb1ELb0ELc78ELc85EKPKS1_KPS1_EviT_T0_PT6_S7_lSA_S7_lS8_PT7_S7_li ; -- Begin function _ZL41rocblas_syrkx_herkx_small_restrict_kernelIl19rocblas_complex_numIdELi16ELb1ELb0ELc78ELc85EKPKS1_KPS1_EviT_T0_PT6_S7_lSA_S7_lS8_PT7_S7_li
	.p2align	8
	.type	_ZL41rocblas_syrkx_herkx_small_restrict_kernelIl19rocblas_complex_numIdELi16ELb1ELb0ELc78ELc85EKPKS1_KPS1_EviT_T0_PT6_S7_lSA_S7_lS8_PT7_S7_li,@function
_ZL41rocblas_syrkx_herkx_small_restrict_kernelIl19rocblas_complex_numIdELi16ELb1ELb0ELc78ELc85EKPKS1_KPS1_EviT_T0_PT6_S7_lSA_S7_lS8_PT7_S7_li: ; @_ZL41rocblas_syrkx_herkx_small_restrict_kernelIl19rocblas_complex_numIdELi16ELb1ELb0ELc78ELc85EKPKS1_KPS1_EviT_T0_PT6_S7_lSA_S7_lS8_PT7_S7_li
; %bb.0:
	s_load_dwordx4 s[0:3], s[4:5], 0x60
	s_load_dwordx2 s[20:21], s[4:5], 0x28
	s_load_dwordx8 s[12:19], s[4:5], 0x8
	s_mov_b32 s9, 0
	s_lshl_b64 s[22:23], s[8:9], 3
	s_waitcnt lgkmcnt(0)
	s_add_u32 s0, s0, s22
	s_addc_u32 s1, s1, s23
	s_load_dwordx2 s[0:1], s[0:1], 0x0
	v_cmp_lt_i64_e64 s[8:9], s[12:13], 1
	v_lshl_add_u32 v2, s6, 4, v0
	v_lshl_add_u32 v4, s7, 4, v1
	s_and_b64 vcc, exec, s[8:9]
	v_ashrrev_i32_e32 v3, 31, v2
	v_ashrrev_i32_e32 v5, 31, v4
	s_cbranch_vccnz .LBB1660_6
; %bb.1:
	s_load_dwordx4 s[8:11], s[4:5], 0x38
	v_lshlrev_b32_e32 v9, 8, v1
	v_lshlrev_b32_e32 v14, 4, v0
	v_add_u32_e32 v15, v14, v9
	v_add_u32_e32 v16, 0x1000, v9
	s_waitcnt lgkmcnt(0)
	v_mad_u64_u32 v[6:7], s[6:7], s10, v0, 0
	s_add_u32 s4, s8, s22
	s_addc_u32 s5, s9, s23
	v_mad_u64_u32 v[7:8], s[8:9], s11, v0, v[7:8]
	v_mad_u64_u32 v[10:11], s[8:9], s20, v1, 0
	v_lshlrev_b64 v[6:7], 4, v[6:7]
	v_lshlrev_b64 v[8:9], 4, v[4:5]
	s_load_dwordx2 s[4:5], s[4:5], 0x0
	v_add_co_u32_e32 v8, vcc, v6, v8
	v_mov_b32_e32 v0, v11
	v_addc_co_u32_e32 v9, vcc, v7, v9, vcc
	v_mad_u64_u32 v[6:7], s[8:9], s21, v1, v[0:1]
	s_add_u32 s6, s18, s22
	s_addc_u32 s7, s19, s23
	s_load_dwordx2 s[6:7], s[6:7], 0x0
	s_waitcnt lgkmcnt(0)
	v_mov_b32_e32 v12, s5
	v_add_co_u32_e32 v0, vcc, s4, v8
	v_mov_b32_e32 v11, v6
	v_addc_co_u32_e32 v1, vcc, v12, v9, vcc
	v_lshlrev_b64 v[6:7], 4, v[10:11]
	v_lshlrev_b64 v[8:9], 4, v[2:3]
	s_lshl_b64 s[4:5], s[10:11], 8
	v_add_co_u32_e32 v6, vcc, v6, v8
	v_addc_co_u32_e32 v7, vcc, v7, v9, vcc
	v_mov_b32_e32 v8, s7
	v_add_co_u32_e32 v6, vcc, s6, v6
	v_addc_co_u32_e32 v7, vcc, v8, v7, vcc
	s_lshl_b64 s[6:7], s[20:21], 8
	v_mov_b32_e32 v10, 0
	v_mov_b32_e32 v12, 0
	;; [unrolled: 1-line block ×3, first 2 shown]
	v_add_u32_e32 v17, v16, v14
	v_mov_b32_e32 v11, 0
	s_mov_b64 s[8:9], 0
	v_mov_b32_e32 v18, s5
	v_mov_b32_e32 v19, s7
	;; [unrolled: 1-line block ×4, first 2 shown]
.LBB1660_2:                             ; =>This Inner Loop Header: Depth=1
	flat_load_dwordx4 v[20:23], v[6:7]
	s_add_u32 s8, s8, 16
	s_addc_u32 s9, s9, 0
	s_waitcnt vmcnt(0) lgkmcnt(0)
	ds_write2_b64 v15, v[20:21], v[22:23] offset1:1
	flat_load_dwordx4 v[20:23], v[0:1]
	v_add_co_u32_e32 v0, vcc, s4, v0
	v_addc_co_u32_e32 v1, vcc, v1, v18, vcc
	v_add_co_u32_e32 v6, vcc, s6, v6
	v_addc_co_u32_e32 v7, vcc, v7, v19, vcc
	v_cmp_lt_i64_e32 vcc, s[8:9], v[8:9]
	s_and_b64 vcc, exec, vcc
	s_waitcnt vmcnt(0) lgkmcnt(0)
	ds_write_b128 v17, v[20:23]
	s_waitcnt lgkmcnt(0)
	s_barrier
	ds_read_b128 v[20:23], v16
	ds_read_b128 v[24:27], v16 offset:16
	ds_read_b128 v[28:31], v16 offset:32
	;; [unrolled: 1-line block ×3, first 2 shown]
	ds_read_b128 v[36:39], v14
	s_waitcnt lgkmcnt(0)
	v_mul_f64 v[40:41], v[22:23], v[38:39]
	v_fma_f64 v[40:41], v[20:21], v[36:37], -v[40:41]
	v_mul_f64 v[20:21], v[20:21], v[38:39]
	v_fma_f64 v[20:21], v[22:23], v[36:37], v[20:21]
	v_add_f64 v[22:23], v[12:13], v[40:41]
	v_add_f64 v[20:21], v[10:11], v[20:21]
	ds_read_b128 v[10:13], v14 offset:256
	s_waitcnt lgkmcnt(0)
	v_mul_f64 v[36:37], v[26:27], v[12:13]
	v_mul_f64 v[12:13], v[24:25], v[12:13]
	v_fma_f64 v[36:37], v[24:25], v[10:11], -v[36:37]
	v_fma_f64 v[10:11], v[26:27], v[10:11], v[12:13]
	v_add_f64 v[22:23], v[22:23], v[36:37]
	v_add_f64 v[20:21], v[20:21], v[10:11]
	ds_read_b128 v[10:13], v14 offset:512
	s_waitcnt lgkmcnt(0)
	v_mul_f64 v[24:25], v[30:31], v[12:13]
	v_mul_f64 v[12:13], v[28:29], v[12:13]
	v_fma_f64 v[24:25], v[28:29], v[10:11], -v[24:25]
	;; [unrolled: 8-line block ×3, first 2 shown]
	v_fma_f64 v[10:11], v[34:35], v[10:11], v[12:13]
	v_add_f64 v[24:25], v[22:23], v[24:25]
	v_add_f64 v[26:27], v[20:21], v[10:11]
	ds_read_b128 v[10:13], v16 offset:64
	ds_read_b128 v[20:23], v14 offset:1024
	s_waitcnt lgkmcnt(0)
	v_mul_f64 v[28:29], v[12:13], v[22:23]
	v_fma_f64 v[28:29], v[10:11], v[20:21], -v[28:29]
	v_mul_f64 v[10:11], v[10:11], v[22:23]
	v_add_f64 v[24:25], v[24:25], v[28:29]
	v_fma_f64 v[10:11], v[12:13], v[20:21], v[10:11]
	v_add_f64 v[26:27], v[26:27], v[10:11]
	ds_read_b128 v[10:13], v16 offset:80
	ds_read_b128 v[20:23], v14 offset:1280
	s_waitcnt lgkmcnt(0)
	v_mul_f64 v[28:29], v[12:13], v[22:23]
	v_fma_f64 v[28:29], v[10:11], v[20:21], -v[28:29]
	v_mul_f64 v[10:11], v[10:11], v[22:23]
	v_add_f64 v[24:25], v[24:25], v[28:29]
	v_fma_f64 v[10:11], v[12:13], v[20:21], v[10:11]
	;; [unrolled: 9-line block ×11, first 2 shown]
	v_add_f64 v[26:27], v[26:27], v[10:11]
	ds_read_b128 v[10:13], v16 offset:240
	ds_read_b128 v[20:23], v14 offset:3840
	s_waitcnt lgkmcnt(0)
	s_barrier
	v_mul_f64 v[28:29], v[12:13], v[22:23]
	v_fma_f64 v[28:29], v[10:11], v[20:21], -v[28:29]
	v_mul_f64 v[10:11], v[10:11], v[22:23]
	v_fma_f64 v[10:11], v[12:13], v[20:21], v[10:11]
	v_add_f64 v[12:13], v[24:25], v[28:29]
	v_add_f64 v[10:11], v[26:27], v[10:11]
	s_cbranch_vccnz .LBB1660_2
; %bb.3:
	v_cmp_le_i32_e32 vcc, v2, v4
	s_and_saveexec_b64 s[4:5], vcc
	s_cbranch_execz .LBB1660_5
.LBB1660_4:
	v_mul_f64 v[0:1], s[16:17], v[10:11]
	v_mul_f64 v[6:7], s[14:15], v[10:11]
	v_mul_lo_u32 v10, s3, v4
	v_mul_lo_u32 v5, s2, v5
	v_mad_u64_u32 v[8:9], s[2:3], s2, v4, 0
	v_add3_u32 v9, v9, v5, v10
	v_fma_f64 v[4:5], s[14:15], v[12:13], -v[0:1]
	v_fma_f64 v[6:7], s[16:17], v[12:13], v[6:7]
	v_lshlrev_b64 v[0:1], 4, v[8:9]
	s_waitcnt lgkmcnt(0)
	v_mov_b32_e32 v8, s1
	v_add_co_u32_e32 v9, vcc, s0, v0
	v_addc_co_u32_e32 v8, vcc, v8, v1, vcc
	v_lshlrev_b64 v[0:1], 4, v[2:3]
	v_add_co_u32_e32 v0, vcc, v9, v0
	v_addc_co_u32_e32 v1, vcc, v8, v1, vcc
	flat_store_dwordx4 v[0:1], v[4:7]
.LBB1660_5:
	s_endpgm
.LBB1660_6:
	v_mov_b32_e32 v10, 0
	v_mov_b32_e32 v12, 0
	;; [unrolled: 1-line block ×4, first 2 shown]
	v_cmp_le_i32_e32 vcc, v2, v4
	s_and_saveexec_b64 s[4:5], vcc
	s_cbranch_execnz .LBB1660_4
	s_branch .LBB1660_5
	.section	.rodata,"a",@progbits
	.p2align	6, 0x0
	.amdhsa_kernel _ZL41rocblas_syrkx_herkx_small_restrict_kernelIl19rocblas_complex_numIdELi16ELb1ELb0ELc78ELc85EKPKS1_KPS1_EviT_T0_PT6_S7_lSA_S7_lS8_PT7_S7_li
		.amdhsa_group_segment_fixed_size 8192
		.amdhsa_private_segment_fixed_size 0
		.amdhsa_kernarg_size 124
		.amdhsa_user_sgpr_count 6
		.amdhsa_user_sgpr_private_segment_buffer 1
		.amdhsa_user_sgpr_dispatch_ptr 0
		.amdhsa_user_sgpr_queue_ptr 0
		.amdhsa_user_sgpr_kernarg_segment_ptr 1
		.amdhsa_user_sgpr_dispatch_id 0
		.amdhsa_user_sgpr_flat_scratch_init 0
		.amdhsa_user_sgpr_private_segment_size 0
		.amdhsa_uses_dynamic_stack 0
		.amdhsa_system_sgpr_private_segment_wavefront_offset 0
		.amdhsa_system_sgpr_workgroup_id_x 1
		.amdhsa_system_sgpr_workgroup_id_y 1
		.amdhsa_system_sgpr_workgroup_id_z 1
		.amdhsa_system_sgpr_workgroup_info 0
		.amdhsa_system_vgpr_workitem_id 1
		.amdhsa_next_free_vgpr 42
		.amdhsa_next_free_sgpr 61
		.amdhsa_reserve_vcc 1
		.amdhsa_reserve_flat_scratch 0
		.amdhsa_float_round_mode_32 0
		.amdhsa_float_round_mode_16_64 0
		.amdhsa_float_denorm_mode_32 3
		.amdhsa_float_denorm_mode_16_64 3
		.amdhsa_dx10_clamp 1
		.amdhsa_ieee_mode 1
		.amdhsa_fp16_overflow 0
		.amdhsa_exception_fp_ieee_invalid_op 0
		.amdhsa_exception_fp_denorm_src 0
		.amdhsa_exception_fp_ieee_div_zero 0
		.amdhsa_exception_fp_ieee_overflow 0
		.amdhsa_exception_fp_ieee_underflow 0
		.amdhsa_exception_fp_ieee_inexact 0
		.amdhsa_exception_int_div_zero 0
	.end_amdhsa_kernel
	.section	.text._ZL41rocblas_syrkx_herkx_small_restrict_kernelIl19rocblas_complex_numIdELi16ELb1ELb0ELc78ELc85EKPKS1_KPS1_EviT_T0_PT6_S7_lSA_S7_lS8_PT7_S7_li,"axG",@progbits,_ZL41rocblas_syrkx_herkx_small_restrict_kernelIl19rocblas_complex_numIdELi16ELb1ELb0ELc78ELc85EKPKS1_KPS1_EviT_T0_PT6_S7_lSA_S7_lS8_PT7_S7_li,comdat
.Lfunc_end1660:
	.size	_ZL41rocblas_syrkx_herkx_small_restrict_kernelIl19rocblas_complex_numIdELi16ELb1ELb0ELc78ELc85EKPKS1_KPS1_EviT_T0_PT6_S7_lSA_S7_lS8_PT7_S7_li, .Lfunc_end1660-_ZL41rocblas_syrkx_herkx_small_restrict_kernelIl19rocblas_complex_numIdELi16ELb1ELb0ELc78ELc85EKPKS1_KPS1_EviT_T0_PT6_S7_lSA_S7_lS8_PT7_S7_li
                                        ; -- End function
	.set _ZL41rocblas_syrkx_herkx_small_restrict_kernelIl19rocblas_complex_numIdELi16ELb1ELb0ELc78ELc85EKPKS1_KPS1_EviT_T0_PT6_S7_lSA_S7_lS8_PT7_S7_li.num_vgpr, 42
	.set _ZL41rocblas_syrkx_herkx_small_restrict_kernelIl19rocblas_complex_numIdELi16ELb1ELb0ELc78ELc85EKPKS1_KPS1_EviT_T0_PT6_S7_lSA_S7_lS8_PT7_S7_li.num_agpr, 0
	.set _ZL41rocblas_syrkx_herkx_small_restrict_kernelIl19rocblas_complex_numIdELi16ELb1ELb0ELc78ELc85EKPKS1_KPS1_EviT_T0_PT6_S7_lSA_S7_lS8_PT7_S7_li.numbered_sgpr, 24
	.set _ZL41rocblas_syrkx_herkx_small_restrict_kernelIl19rocblas_complex_numIdELi16ELb1ELb0ELc78ELc85EKPKS1_KPS1_EviT_T0_PT6_S7_lSA_S7_lS8_PT7_S7_li.num_named_barrier, 0
	.set _ZL41rocblas_syrkx_herkx_small_restrict_kernelIl19rocblas_complex_numIdELi16ELb1ELb0ELc78ELc85EKPKS1_KPS1_EviT_T0_PT6_S7_lSA_S7_lS8_PT7_S7_li.private_seg_size, 0
	.set _ZL41rocblas_syrkx_herkx_small_restrict_kernelIl19rocblas_complex_numIdELi16ELb1ELb0ELc78ELc85EKPKS1_KPS1_EviT_T0_PT6_S7_lSA_S7_lS8_PT7_S7_li.uses_vcc, 1
	.set _ZL41rocblas_syrkx_herkx_small_restrict_kernelIl19rocblas_complex_numIdELi16ELb1ELb0ELc78ELc85EKPKS1_KPS1_EviT_T0_PT6_S7_lSA_S7_lS8_PT7_S7_li.uses_flat_scratch, 0
	.set _ZL41rocblas_syrkx_herkx_small_restrict_kernelIl19rocblas_complex_numIdELi16ELb1ELb0ELc78ELc85EKPKS1_KPS1_EviT_T0_PT6_S7_lSA_S7_lS8_PT7_S7_li.has_dyn_sized_stack, 0
	.set _ZL41rocblas_syrkx_herkx_small_restrict_kernelIl19rocblas_complex_numIdELi16ELb1ELb0ELc78ELc85EKPKS1_KPS1_EviT_T0_PT6_S7_lSA_S7_lS8_PT7_S7_li.has_recursion, 0
	.set _ZL41rocblas_syrkx_herkx_small_restrict_kernelIl19rocblas_complex_numIdELi16ELb1ELb0ELc78ELc85EKPKS1_KPS1_EviT_T0_PT6_S7_lSA_S7_lS8_PT7_S7_li.has_indirect_call, 0
	.section	.AMDGPU.csdata,"",@progbits
; Kernel info:
; codeLenInByte = 1656
; TotalNumSgprs: 28
; NumVgprs: 42
; ScratchSize: 0
; MemoryBound: 0
; FloatMode: 240
; IeeeMode: 1
; LDSByteSize: 8192 bytes/workgroup (compile time only)
; SGPRBlocks: 8
; VGPRBlocks: 10
; NumSGPRsForWavesPerEU: 65
; NumVGPRsForWavesPerEU: 42
; Occupancy: 5
; WaveLimiterHint : 1
; COMPUTE_PGM_RSRC2:SCRATCH_EN: 0
; COMPUTE_PGM_RSRC2:USER_SGPR: 6
; COMPUTE_PGM_RSRC2:TRAP_HANDLER: 0
; COMPUTE_PGM_RSRC2:TGID_X_EN: 1
; COMPUTE_PGM_RSRC2:TGID_Y_EN: 1
; COMPUTE_PGM_RSRC2:TGID_Z_EN: 1
; COMPUTE_PGM_RSRC2:TIDIG_COMP_CNT: 1
	.section	.text._ZL41rocblas_syrkx_herkx_small_restrict_kernelIl19rocblas_complex_numIdELi16ELb0ELb0ELc84ELc76EKPKS1_KPS1_EviT_T0_PT6_S7_lSA_S7_lS8_PT7_S7_li,"axG",@progbits,_ZL41rocblas_syrkx_herkx_small_restrict_kernelIl19rocblas_complex_numIdELi16ELb0ELb0ELc84ELc76EKPKS1_KPS1_EviT_T0_PT6_S7_lSA_S7_lS8_PT7_S7_li,comdat
	.globl	_ZL41rocblas_syrkx_herkx_small_restrict_kernelIl19rocblas_complex_numIdELi16ELb0ELb0ELc84ELc76EKPKS1_KPS1_EviT_T0_PT6_S7_lSA_S7_lS8_PT7_S7_li ; -- Begin function _ZL41rocblas_syrkx_herkx_small_restrict_kernelIl19rocblas_complex_numIdELi16ELb0ELb0ELc84ELc76EKPKS1_KPS1_EviT_T0_PT6_S7_lSA_S7_lS8_PT7_S7_li
	.p2align	8
	.type	_ZL41rocblas_syrkx_herkx_small_restrict_kernelIl19rocblas_complex_numIdELi16ELb0ELb0ELc84ELc76EKPKS1_KPS1_EviT_T0_PT6_S7_lSA_S7_lS8_PT7_S7_li,@function
_ZL41rocblas_syrkx_herkx_small_restrict_kernelIl19rocblas_complex_numIdELi16ELb0ELb0ELc84ELc76EKPKS1_KPS1_EviT_T0_PT6_S7_lSA_S7_lS8_PT7_S7_li: ; @_ZL41rocblas_syrkx_herkx_small_restrict_kernelIl19rocblas_complex_numIdELi16ELb0ELb0ELc84ELc76EKPKS1_KPS1_EviT_T0_PT6_S7_lSA_S7_lS8_PT7_S7_li
; %bb.0:
	s_load_dwordx8 s[12:19], s[4:5], 0x50
	s_load_dwordx8 s[20:27], s[4:5], 0x8
	s_load_dwordx2 s[2:3], s[4:5], 0x28
	s_mov_b32 s9, 0
	s_lshl_b64 s[8:9], s[8:9], 3
	s_waitcnt lgkmcnt(0)
	s_add_u32 s0, s16, s8
	s_addc_u32 s1, s17, s9
	s_load_dwordx2 s[0:1], s[0:1], 0x0
	v_cmp_lt_i64_e64 s[10:11], s[20:21], 1
	v_lshl_add_u32 v2, s6, 4, v0
	v_lshl_add_u32 v12, s7, 4, v1
	s_and_b64 vcc, exec, s[10:11]
	v_ashrrev_i32_e32 v3, 31, v2
	v_ashrrev_i32_e32 v13, 31, v12
	s_cbranch_vccnz .LBB1661_6
; %bb.1:
	s_load_dwordx4 s[28:31], s[4:5], 0x38
	v_mul_lo_u32 v6, s3, v2
	v_mul_lo_u32 v7, s2, v3
	v_mad_u64_u32 v[4:5], s[2:3], s2, v2, 0
	s_waitcnt lgkmcnt(0)
	s_add_u32 s2, s28, s8
	s_addc_u32 s3, s29, s9
	s_add_u32 s4, s26, s8
	s_addc_u32 s5, s27, s9
	s_load_dwordx2 s[4:5], s[4:5], 0x0
	v_lshlrev_b32_e32 v8, 4, v1
	v_add3_u32 v5, v5, v7, v6
	v_lshlrev_b64 v[4:5], 4, v[4:5]
	s_load_dwordx2 s[2:3], s[2:3], 0x0
	s_waitcnt lgkmcnt(0)
	v_mov_b32_e32 v6, s5
	v_add_co_u32_e32 v7, vcc, s4, v8
	v_addc_co_u32_e32 v6, vcc, 0, v6, vcc
	v_add_co_u32_e32 v4, vcc, v7, v4
	v_addc_co_u32_e32 v5, vcc, v6, v5, vcc
	v_mul_lo_u32 v8, s31, v12
	v_mul_lo_u32 v9, s30, v13
	v_mad_u64_u32 v[6:7], s[4:5], s30, v12, 0
	v_lshlrev_b32_e32 v14, 4, v0
	v_mov_b32_e32 v0, s3
	v_add3_u32 v7, v7, v9, v8
	v_add_co_u32_e32 v8, vcc, s2, v14
	v_lshlrev_b32_e32 v10, 8, v1
	v_addc_co_u32_e32 v9, vcc, 0, v0, vcc
	v_lshlrev_b64 v[0:1], 4, v[6:7]
	v_add_u32_e32 v15, v14, v10
	v_add_co_u32_e32 v0, vcc, v8, v0
	v_addc_co_u32_e32 v1, vcc, v9, v1, vcc
	v_add_u32_e32 v16, 0x1000, v10
	v_mov_b32_e32 v8, 0
	v_mov_b32_e32 v10, 0
	;; [unrolled: 1-line block ×3, first 2 shown]
	v_add_u32_e32 v17, v16, v14
	v_mov_b32_e32 v9, 0
	s_mov_b64 s[2:3], 0
	v_mov_b32_e32 v11, 0
	v_mov_b32_e32 v7, s21
.LBB1661_2:                             ; =>This Inner Loop Header: Depth=1
	flat_load_dwordx4 v[18:21], v[4:5]
	s_add_u32 s2, s2, 16
	s_addc_u32 s3, s3, 0
	s_waitcnt vmcnt(0) lgkmcnt(0)
	ds_write2_b64 v15, v[18:19], v[20:21] offset1:1
	flat_load_dwordx4 v[18:21], v[0:1]
	v_add_co_u32_e32 v0, vcc, 0x100, v0
	v_addc_co_u32_e32 v1, vcc, 0, v1, vcc
	v_add_co_u32_e32 v4, vcc, 0x100, v4
	v_addc_co_u32_e32 v5, vcc, 0, v5, vcc
	v_cmp_lt_i64_e32 vcc, s[2:3], v[6:7]
	s_and_b64 vcc, exec, vcc
	s_waitcnt vmcnt(0) lgkmcnt(0)
	ds_write2_b64 v17, v[18:19], v[20:21] offset1:1
	s_waitcnt lgkmcnt(0)
	s_barrier
	ds_read_b128 v[18:21], v16
	ds_read_b128 v[22:25], v16 offset:16
	ds_read_b128 v[26:29], v16 offset:32
	;; [unrolled: 1-line block ×3, first 2 shown]
	ds_read_b128 v[34:37], v14
	s_waitcnt lgkmcnt(0)
	v_mul_f64 v[38:39], v[20:21], v[36:37]
	v_fma_f64 v[38:39], v[18:19], v[34:35], -v[38:39]
	v_mul_f64 v[18:19], v[18:19], v[36:37]
	v_fma_f64 v[18:19], v[20:21], v[34:35], v[18:19]
	v_add_f64 v[20:21], v[10:11], v[38:39]
	v_add_f64 v[18:19], v[8:9], v[18:19]
	ds_read_b128 v[8:11], v14 offset:256
	s_waitcnt lgkmcnt(0)
	v_mul_f64 v[34:35], v[24:25], v[10:11]
	v_mul_f64 v[10:11], v[22:23], v[10:11]
	v_fma_f64 v[34:35], v[22:23], v[8:9], -v[34:35]
	v_fma_f64 v[8:9], v[24:25], v[8:9], v[10:11]
	v_add_f64 v[20:21], v[20:21], v[34:35]
	v_add_f64 v[18:19], v[18:19], v[8:9]
	ds_read_b128 v[8:11], v14 offset:512
	s_waitcnt lgkmcnt(0)
	v_mul_f64 v[22:23], v[28:29], v[10:11]
	v_mul_f64 v[10:11], v[26:27], v[10:11]
	v_fma_f64 v[22:23], v[26:27], v[8:9], -v[22:23]
	;; [unrolled: 8-line block ×3, first 2 shown]
	v_fma_f64 v[8:9], v[32:33], v[8:9], v[10:11]
	v_add_f64 v[22:23], v[20:21], v[22:23]
	v_add_f64 v[24:25], v[18:19], v[8:9]
	ds_read_b128 v[8:11], v16 offset:64
	ds_read_b128 v[18:21], v14 offset:1024
	s_waitcnt lgkmcnt(0)
	v_mul_f64 v[26:27], v[10:11], v[20:21]
	v_fma_f64 v[26:27], v[8:9], v[18:19], -v[26:27]
	v_mul_f64 v[8:9], v[8:9], v[20:21]
	v_add_f64 v[22:23], v[22:23], v[26:27]
	v_fma_f64 v[8:9], v[10:11], v[18:19], v[8:9]
	v_add_f64 v[24:25], v[24:25], v[8:9]
	ds_read_b128 v[8:11], v16 offset:80
	ds_read_b128 v[18:21], v14 offset:1280
	s_waitcnt lgkmcnt(0)
	v_mul_f64 v[26:27], v[10:11], v[20:21]
	v_fma_f64 v[26:27], v[8:9], v[18:19], -v[26:27]
	v_mul_f64 v[8:9], v[8:9], v[20:21]
	v_add_f64 v[22:23], v[22:23], v[26:27]
	v_fma_f64 v[8:9], v[10:11], v[18:19], v[8:9]
	;; [unrolled: 9-line block ×11, first 2 shown]
	v_add_f64 v[24:25], v[24:25], v[8:9]
	ds_read_b128 v[8:11], v16 offset:240
	ds_read_b128 v[18:21], v14 offset:3840
	s_waitcnt lgkmcnt(0)
	s_barrier
	v_mul_f64 v[26:27], v[10:11], v[20:21]
	v_fma_f64 v[26:27], v[8:9], v[18:19], -v[26:27]
	v_mul_f64 v[8:9], v[8:9], v[20:21]
	v_fma_f64 v[8:9], v[10:11], v[18:19], v[8:9]
	v_add_f64 v[10:11], v[22:23], v[26:27]
	v_add_f64 v[8:9], v[24:25], v[8:9]
	s_cbranch_vccnz .LBB1661_2
; %bb.3:
	v_cmp_le_i32_e32 vcc, v12, v2
	s_and_saveexec_b64 s[2:3], vcc
	s_cbranch_execz .LBB1661_5
.LBB1661_4:
	v_mul_lo_u32 v4, s19, v12
	v_mul_lo_u32 v5, s18, v13
	v_mad_u64_u32 v[0:1], s[2:3], s18, v12, 0
	v_add3_u32 v1, v1, v5, v4
	v_lshlrev_b64 v[0:1], 4, v[0:1]
	s_waitcnt lgkmcnt(0)
	v_mov_b32_e32 v4, s1
	v_add_co_u32_e32 v5, vcc, s0, v0
	v_addc_co_u32_e32 v6, vcc, v4, v1, vcc
	v_lshlrev_b64 v[0:1], 4, v[2:3]
	v_add_co_u32_e32 v4, vcc, v5, v0
	v_addc_co_u32_e32 v5, vcc, v6, v1, vcc
	flat_load_dwordx4 v[0:3], v[4:5]
	v_mul_f64 v[6:7], s[24:25], v[8:9]
	v_mul_f64 v[8:9], s[22:23], v[8:9]
	v_fma_f64 v[6:7], s[22:23], v[10:11], -v[6:7]
	v_fma_f64 v[8:9], s[24:25], v[10:11], v[8:9]
	s_waitcnt vmcnt(0) lgkmcnt(0)
	v_mul_f64 v[12:13], s[14:15], v[2:3]
	v_mul_f64 v[2:3], s[12:13], v[2:3]
	v_fma_f64 v[10:11], s[12:13], v[0:1], -v[12:13]
	v_fma_f64 v[2:3], s[14:15], v[0:1], v[2:3]
	v_add_f64 v[0:1], v[6:7], v[10:11]
	v_add_f64 v[2:3], v[8:9], v[2:3]
	flat_store_dwordx4 v[4:5], v[0:3]
.LBB1661_5:
	s_endpgm
.LBB1661_6:
	v_mov_b32_e32 v8, 0
	v_mov_b32_e32 v10, 0
	v_mov_b32_e32 v9, 0
	v_mov_b32_e32 v11, 0
	v_cmp_le_i32_e32 vcc, v12, v2
	s_and_saveexec_b64 s[2:3], vcc
	s_cbranch_execnz .LBB1661_4
	s_branch .LBB1661_5
	.section	.rodata,"a",@progbits
	.p2align	6, 0x0
	.amdhsa_kernel _ZL41rocblas_syrkx_herkx_small_restrict_kernelIl19rocblas_complex_numIdELi16ELb0ELb0ELc84ELc76EKPKS1_KPS1_EviT_T0_PT6_S7_lSA_S7_lS8_PT7_S7_li
		.amdhsa_group_segment_fixed_size 8192
		.amdhsa_private_segment_fixed_size 0
		.amdhsa_kernarg_size 124
		.amdhsa_user_sgpr_count 6
		.amdhsa_user_sgpr_private_segment_buffer 1
		.amdhsa_user_sgpr_dispatch_ptr 0
		.amdhsa_user_sgpr_queue_ptr 0
		.amdhsa_user_sgpr_kernarg_segment_ptr 1
		.amdhsa_user_sgpr_dispatch_id 0
		.amdhsa_user_sgpr_flat_scratch_init 0
		.amdhsa_user_sgpr_private_segment_size 0
		.amdhsa_uses_dynamic_stack 0
		.amdhsa_system_sgpr_private_segment_wavefront_offset 0
		.amdhsa_system_sgpr_workgroup_id_x 1
		.amdhsa_system_sgpr_workgroup_id_y 1
		.amdhsa_system_sgpr_workgroup_id_z 1
		.amdhsa_system_sgpr_workgroup_info 0
		.amdhsa_system_vgpr_workitem_id 1
		.amdhsa_next_free_vgpr 40
		.amdhsa_next_free_sgpr 61
		.amdhsa_reserve_vcc 1
		.amdhsa_reserve_flat_scratch 0
		.amdhsa_float_round_mode_32 0
		.amdhsa_float_round_mode_16_64 0
		.amdhsa_float_denorm_mode_32 3
		.amdhsa_float_denorm_mode_16_64 3
		.amdhsa_dx10_clamp 1
		.amdhsa_ieee_mode 1
		.amdhsa_fp16_overflow 0
		.amdhsa_exception_fp_ieee_invalid_op 0
		.amdhsa_exception_fp_denorm_src 0
		.amdhsa_exception_fp_ieee_div_zero 0
		.amdhsa_exception_fp_ieee_overflow 0
		.amdhsa_exception_fp_ieee_underflow 0
		.amdhsa_exception_fp_ieee_inexact 0
		.amdhsa_exception_int_div_zero 0
	.end_amdhsa_kernel
	.section	.text._ZL41rocblas_syrkx_herkx_small_restrict_kernelIl19rocblas_complex_numIdELi16ELb0ELb0ELc84ELc76EKPKS1_KPS1_EviT_T0_PT6_S7_lSA_S7_lS8_PT7_S7_li,"axG",@progbits,_ZL41rocblas_syrkx_herkx_small_restrict_kernelIl19rocblas_complex_numIdELi16ELb0ELb0ELc84ELc76EKPKS1_KPS1_EviT_T0_PT6_S7_lSA_S7_lS8_PT7_S7_li,comdat
.Lfunc_end1661:
	.size	_ZL41rocblas_syrkx_herkx_small_restrict_kernelIl19rocblas_complex_numIdELi16ELb0ELb0ELc84ELc76EKPKS1_KPS1_EviT_T0_PT6_S7_lSA_S7_lS8_PT7_S7_li, .Lfunc_end1661-_ZL41rocblas_syrkx_herkx_small_restrict_kernelIl19rocblas_complex_numIdELi16ELb0ELb0ELc84ELc76EKPKS1_KPS1_EviT_T0_PT6_S7_lSA_S7_lS8_PT7_S7_li
                                        ; -- End function
	.set _ZL41rocblas_syrkx_herkx_small_restrict_kernelIl19rocblas_complex_numIdELi16ELb0ELb0ELc84ELc76EKPKS1_KPS1_EviT_T0_PT6_S7_lSA_S7_lS8_PT7_S7_li.num_vgpr, 40
	.set _ZL41rocblas_syrkx_herkx_small_restrict_kernelIl19rocblas_complex_numIdELi16ELb0ELb0ELc84ELc76EKPKS1_KPS1_EviT_T0_PT6_S7_lSA_S7_lS8_PT7_S7_li.num_agpr, 0
	.set _ZL41rocblas_syrkx_herkx_small_restrict_kernelIl19rocblas_complex_numIdELi16ELb0ELb0ELc84ELc76EKPKS1_KPS1_EviT_T0_PT6_S7_lSA_S7_lS8_PT7_S7_li.numbered_sgpr, 32
	.set _ZL41rocblas_syrkx_herkx_small_restrict_kernelIl19rocblas_complex_numIdELi16ELb0ELb0ELc84ELc76EKPKS1_KPS1_EviT_T0_PT6_S7_lSA_S7_lS8_PT7_S7_li.num_named_barrier, 0
	.set _ZL41rocblas_syrkx_herkx_small_restrict_kernelIl19rocblas_complex_numIdELi16ELb0ELb0ELc84ELc76EKPKS1_KPS1_EviT_T0_PT6_S7_lSA_S7_lS8_PT7_S7_li.private_seg_size, 0
	.set _ZL41rocblas_syrkx_herkx_small_restrict_kernelIl19rocblas_complex_numIdELi16ELb0ELb0ELc84ELc76EKPKS1_KPS1_EviT_T0_PT6_S7_lSA_S7_lS8_PT7_S7_li.uses_vcc, 1
	.set _ZL41rocblas_syrkx_herkx_small_restrict_kernelIl19rocblas_complex_numIdELi16ELb0ELb0ELc84ELc76EKPKS1_KPS1_EviT_T0_PT6_S7_lSA_S7_lS8_PT7_S7_li.uses_flat_scratch, 0
	.set _ZL41rocblas_syrkx_herkx_small_restrict_kernelIl19rocblas_complex_numIdELi16ELb0ELb0ELc84ELc76EKPKS1_KPS1_EviT_T0_PT6_S7_lSA_S7_lS8_PT7_S7_li.has_dyn_sized_stack, 0
	.set _ZL41rocblas_syrkx_herkx_small_restrict_kernelIl19rocblas_complex_numIdELi16ELb0ELb0ELc84ELc76EKPKS1_KPS1_EviT_T0_PT6_S7_lSA_S7_lS8_PT7_S7_li.has_recursion, 0
	.set _ZL41rocblas_syrkx_herkx_small_restrict_kernelIl19rocblas_complex_numIdELi16ELb0ELb0ELc84ELc76EKPKS1_KPS1_EviT_T0_PT6_S7_lSA_S7_lS8_PT7_S7_li.has_indirect_call, 0
	.section	.AMDGPU.csdata,"",@progbits
; Kernel info:
; codeLenInByte = 1720
; TotalNumSgprs: 36
; NumVgprs: 40
; ScratchSize: 0
; MemoryBound: 0
; FloatMode: 240
; IeeeMode: 1
; LDSByteSize: 8192 bytes/workgroup (compile time only)
; SGPRBlocks: 8
; VGPRBlocks: 9
; NumSGPRsForWavesPerEU: 65
; NumVGPRsForWavesPerEU: 40
; Occupancy: 6
; WaveLimiterHint : 1
; COMPUTE_PGM_RSRC2:SCRATCH_EN: 0
; COMPUTE_PGM_RSRC2:USER_SGPR: 6
; COMPUTE_PGM_RSRC2:TRAP_HANDLER: 0
; COMPUTE_PGM_RSRC2:TGID_X_EN: 1
; COMPUTE_PGM_RSRC2:TGID_Y_EN: 1
; COMPUTE_PGM_RSRC2:TGID_Z_EN: 1
; COMPUTE_PGM_RSRC2:TIDIG_COMP_CNT: 1
	.section	.text._ZL41rocblas_syrkx_herkx_small_restrict_kernelIl19rocblas_complex_numIdELi16ELb0ELb0ELc67ELc76EKPKS1_KPS1_EviT_T0_PT6_S7_lSA_S7_lS8_PT7_S7_li,"axG",@progbits,_ZL41rocblas_syrkx_herkx_small_restrict_kernelIl19rocblas_complex_numIdELi16ELb0ELb0ELc67ELc76EKPKS1_KPS1_EviT_T0_PT6_S7_lSA_S7_lS8_PT7_S7_li,comdat
	.globl	_ZL41rocblas_syrkx_herkx_small_restrict_kernelIl19rocblas_complex_numIdELi16ELb0ELb0ELc67ELc76EKPKS1_KPS1_EviT_T0_PT6_S7_lSA_S7_lS8_PT7_S7_li ; -- Begin function _ZL41rocblas_syrkx_herkx_small_restrict_kernelIl19rocblas_complex_numIdELi16ELb0ELb0ELc67ELc76EKPKS1_KPS1_EviT_T0_PT6_S7_lSA_S7_lS8_PT7_S7_li
	.p2align	8
	.type	_ZL41rocblas_syrkx_herkx_small_restrict_kernelIl19rocblas_complex_numIdELi16ELb0ELb0ELc67ELc76EKPKS1_KPS1_EviT_T0_PT6_S7_lSA_S7_lS8_PT7_S7_li,@function
_ZL41rocblas_syrkx_herkx_small_restrict_kernelIl19rocblas_complex_numIdELi16ELb0ELb0ELc67ELc76EKPKS1_KPS1_EviT_T0_PT6_S7_lSA_S7_lS8_PT7_S7_li: ; @_ZL41rocblas_syrkx_herkx_small_restrict_kernelIl19rocblas_complex_numIdELi16ELb0ELb0ELc67ELc76EKPKS1_KPS1_EviT_T0_PT6_S7_lSA_S7_lS8_PT7_S7_li
; %bb.0:
	s_load_dwordx8 s[12:19], s[4:5], 0x50
	s_load_dwordx8 s[20:27], s[4:5], 0x8
	s_load_dwordx2 s[2:3], s[4:5], 0x28
	s_mov_b32 s9, 0
	s_lshl_b64 s[8:9], s[8:9], 3
	s_waitcnt lgkmcnt(0)
	s_add_u32 s0, s16, s8
	s_addc_u32 s1, s17, s9
	s_load_dwordx2 s[0:1], s[0:1], 0x0
	v_cmp_lt_i64_e64 s[10:11], s[20:21], 1
	v_lshl_add_u32 v2, s6, 4, v0
	v_lshl_add_u32 v12, s7, 4, v1
	s_and_b64 vcc, exec, s[10:11]
	v_ashrrev_i32_e32 v3, 31, v2
	v_ashrrev_i32_e32 v13, 31, v12
	s_cbranch_vccnz .LBB1662_6
; %bb.1:
	s_load_dwordx4 s[28:31], s[4:5], 0x38
	v_mul_lo_u32 v6, s3, v2
	v_mul_lo_u32 v7, s2, v3
	v_mad_u64_u32 v[4:5], s[2:3], s2, v2, 0
	s_waitcnt lgkmcnt(0)
	s_add_u32 s2, s28, s8
	s_addc_u32 s3, s29, s9
	s_add_u32 s4, s26, s8
	s_addc_u32 s5, s27, s9
	s_load_dwordx2 s[4:5], s[4:5], 0x0
	v_lshlrev_b32_e32 v8, 4, v1
	v_add3_u32 v5, v5, v7, v6
	v_lshlrev_b64 v[4:5], 4, v[4:5]
	s_load_dwordx2 s[2:3], s[2:3], 0x0
	s_waitcnt lgkmcnt(0)
	v_mov_b32_e32 v6, s5
	v_add_co_u32_e32 v7, vcc, s4, v8
	v_addc_co_u32_e32 v6, vcc, 0, v6, vcc
	v_add_co_u32_e32 v4, vcc, v7, v4
	v_addc_co_u32_e32 v5, vcc, v6, v5, vcc
	v_mul_lo_u32 v8, s31, v12
	v_mul_lo_u32 v9, s30, v13
	v_mad_u64_u32 v[6:7], s[4:5], s30, v12, 0
	v_lshlrev_b32_e32 v14, 4, v0
	v_mov_b32_e32 v0, s3
	v_add3_u32 v7, v7, v9, v8
	v_add_co_u32_e32 v8, vcc, s2, v14
	v_lshlrev_b32_e32 v10, 8, v1
	v_addc_co_u32_e32 v9, vcc, 0, v0, vcc
	v_lshlrev_b64 v[0:1], 4, v[6:7]
	v_add_u32_e32 v15, v14, v10
	v_add_co_u32_e32 v0, vcc, v8, v0
	v_addc_co_u32_e32 v1, vcc, v9, v1, vcc
	v_add_u32_e32 v16, 0x1000, v10
	v_mov_b32_e32 v8, 0
	v_mov_b32_e32 v10, 0
	;; [unrolled: 1-line block ×3, first 2 shown]
	v_add_u32_e32 v17, v16, v14
	v_mov_b32_e32 v9, 0
	s_mov_b64 s[2:3], 0
	v_mov_b32_e32 v11, 0
	v_mov_b32_e32 v7, s21
.LBB1662_2:                             ; =>This Inner Loop Header: Depth=1
	flat_load_dwordx4 v[18:21], v[4:5]
	s_add_u32 s2, s2, 16
	s_addc_u32 s3, s3, 0
	s_waitcnt vmcnt(0) lgkmcnt(0)
	ds_write_b128 v15, v[18:21]
	flat_load_dwordx4 v[18:21], v[0:1]
	v_add_co_u32_e32 v0, vcc, 0x100, v0
	v_addc_co_u32_e32 v1, vcc, 0, v1, vcc
	v_add_co_u32_e32 v4, vcc, 0x100, v4
	v_addc_co_u32_e32 v5, vcc, 0, v5, vcc
	v_cmp_lt_i64_e32 vcc, s[2:3], v[6:7]
	s_and_b64 vcc, exec, vcc
	s_waitcnt vmcnt(0) lgkmcnt(0)
	ds_write2_b64 v17, v[18:19], v[20:21] offset1:1
	s_waitcnt lgkmcnt(0)
	s_barrier
	ds_read_b128 v[18:21], v16
	ds_read_b128 v[22:25], v16 offset:16
	ds_read_b128 v[26:29], v16 offset:32
	;; [unrolled: 1-line block ×3, first 2 shown]
	ds_read_b128 v[34:37], v14
	s_waitcnt lgkmcnt(0)
	v_mul_f64 v[38:39], v[20:21], v[36:37]
	v_fma_f64 v[38:39], v[18:19], v[34:35], -v[38:39]
	v_mul_f64 v[18:19], v[18:19], v[36:37]
	v_fma_f64 v[18:19], v[20:21], v[34:35], v[18:19]
	v_add_f64 v[20:21], v[10:11], v[38:39]
	v_add_f64 v[18:19], v[8:9], v[18:19]
	ds_read_b128 v[8:11], v14 offset:256
	s_waitcnt lgkmcnt(0)
	v_mul_f64 v[34:35], v[24:25], v[10:11]
	v_mul_f64 v[10:11], v[22:23], v[10:11]
	v_fma_f64 v[34:35], v[22:23], v[8:9], -v[34:35]
	v_fma_f64 v[8:9], v[24:25], v[8:9], v[10:11]
	v_add_f64 v[20:21], v[20:21], v[34:35]
	v_add_f64 v[18:19], v[18:19], v[8:9]
	ds_read_b128 v[8:11], v14 offset:512
	s_waitcnt lgkmcnt(0)
	v_mul_f64 v[22:23], v[28:29], v[10:11]
	v_mul_f64 v[10:11], v[26:27], v[10:11]
	v_fma_f64 v[22:23], v[26:27], v[8:9], -v[22:23]
	;; [unrolled: 8-line block ×3, first 2 shown]
	v_fma_f64 v[8:9], v[32:33], v[8:9], v[10:11]
	v_add_f64 v[22:23], v[20:21], v[22:23]
	v_add_f64 v[24:25], v[18:19], v[8:9]
	ds_read_b128 v[8:11], v16 offset:64
	ds_read_b128 v[18:21], v14 offset:1024
	s_waitcnt lgkmcnt(0)
	v_mul_f64 v[26:27], v[10:11], v[20:21]
	v_fma_f64 v[26:27], v[8:9], v[18:19], -v[26:27]
	v_mul_f64 v[8:9], v[8:9], v[20:21]
	v_add_f64 v[22:23], v[22:23], v[26:27]
	v_fma_f64 v[8:9], v[10:11], v[18:19], v[8:9]
	v_add_f64 v[24:25], v[24:25], v[8:9]
	ds_read_b128 v[8:11], v16 offset:80
	ds_read_b128 v[18:21], v14 offset:1280
	s_waitcnt lgkmcnt(0)
	v_mul_f64 v[26:27], v[10:11], v[20:21]
	v_fma_f64 v[26:27], v[8:9], v[18:19], -v[26:27]
	v_mul_f64 v[8:9], v[8:9], v[20:21]
	v_add_f64 v[22:23], v[22:23], v[26:27]
	v_fma_f64 v[8:9], v[10:11], v[18:19], v[8:9]
	;; [unrolled: 9-line block ×11, first 2 shown]
	v_add_f64 v[24:25], v[24:25], v[8:9]
	ds_read_b128 v[8:11], v16 offset:240
	ds_read_b128 v[18:21], v14 offset:3840
	s_waitcnt lgkmcnt(0)
	s_barrier
	v_mul_f64 v[26:27], v[10:11], v[20:21]
	v_fma_f64 v[26:27], v[8:9], v[18:19], -v[26:27]
	v_mul_f64 v[8:9], v[8:9], v[20:21]
	v_fma_f64 v[8:9], v[10:11], v[18:19], v[8:9]
	v_add_f64 v[10:11], v[22:23], v[26:27]
	v_add_f64 v[8:9], v[24:25], v[8:9]
	s_cbranch_vccnz .LBB1662_2
; %bb.3:
	v_cmp_le_i32_e32 vcc, v12, v2
	s_and_saveexec_b64 s[2:3], vcc
	s_cbranch_execz .LBB1662_5
.LBB1662_4:
	v_mul_lo_u32 v4, s19, v12
	v_mul_lo_u32 v5, s18, v13
	v_mad_u64_u32 v[0:1], s[2:3], s18, v12, 0
	v_add3_u32 v1, v1, v5, v4
	v_lshlrev_b64 v[0:1], 4, v[0:1]
	s_waitcnt lgkmcnt(0)
	v_mov_b32_e32 v4, s1
	v_add_co_u32_e32 v5, vcc, s0, v0
	v_addc_co_u32_e32 v6, vcc, v4, v1, vcc
	v_lshlrev_b64 v[0:1], 4, v[2:3]
	v_add_co_u32_e32 v4, vcc, v5, v0
	v_addc_co_u32_e32 v5, vcc, v6, v1, vcc
	flat_load_dwordx4 v[0:3], v[4:5]
	v_mul_f64 v[6:7], s[24:25], v[8:9]
	v_mul_f64 v[8:9], s[22:23], v[8:9]
	v_fma_f64 v[6:7], s[22:23], v[10:11], -v[6:7]
	v_fma_f64 v[8:9], s[24:25], v[10:11], v[8:9]
	s_waitcnt vmcnt(0) lgkmcnt(0)
	v_mul_f64 v[12:13], s[14:15], v[2:3]
	v_mul_f64 v[2:3], s[12:13], v[2:3]
	v_fma_f64 v[10:11], s[12:13], v[0:1], -v[12:13]
	v_fma_f64 v[2:3], s[14:15], v[0:1], v[2:3]
	v_add_f64 v[0:1], v[6:7], v[10:11]
	v_add_f64 v[2:3], v[8:9], v[2:3]
	flat_store_dwordx4 v[4:5], v[0:3]
.LBB1662_5:
	s_endpgm
.LBB1662_6:
	v_mov_b32_e32 v8, 0
	v_mov_b32_e32 v10, 0
	;; [unrolled: 1-line block ×4, first 2 shown]
	v_cmp_le_i32_e32 vcc, v12, v2
	s_and_saveexec_b64 s[2:3], vcc
	s_cbranch_execnz .LBB1662_4
	s_branch .LBB1662_5
	.section	.rodata,"a",@progbits
	.p2align	6, 0x0
	.amdhsa_kernel _ZL41rocblas_syrkx_herkx_small_restrict_kernelIl19rocblas_complex_numIdELi16ELb0ELb0ELc67ELc76EKPKS1_KPS1_EviT_T0_PT6_S7_lSA_S7_lS8_PT7_S7_li
		.amdhsa_group_segment_fixed_size 8192
		.amdhsa_private_segment_fixed_size 0
		.amdhsa_kernarg_size 124
		.amdhsa_user_sgpr_count 6
		.amdhsa_user_sgpr_private_segment_buffer 1
		.amdhsa_user_sgpr_dispatch_ptr 0
		.amdhsa_user_sgpr_queue_ptr 0
		.amdhsa_user_sgpr_kernarg_segment_ptr 1
		.amdhsa_user_sgpr_dispatch_id 0
		.amdhsa_user_sgpr_flat_scratch_init 0
		.amdhsa_user_sgpr_private_segment_size 0
		.amdhsa_uses_dynamic_stack 0
		.amdhsa_system_sgpr_private_segment_wavefront_offset 0
		.amdhsa_system_sgpr_workgroup_id_x 1
		.amdhsa_system_sgpr_workgroup_id_y 1
		.amdhsa_system_sgpr_workgroup_id_z 1
		.amdhsa_system_sgpr_workgroup_info 0
		.amdhsa_system_vgpr_workitem_id 1
		.amdhsa_next_free_vgpr 40
		.amdhsa_next_free_sgpr 61
		.amdhsa_reserve_vcc 1
		.amdhsa_reserve_flat_scratch 0
		.amdhsa_float_round_mode_32 0
		.amdhsa_float_round_mode_16_64 0
		.amdhsa_float_denorm_mode_32 3
		.amdhsa_float_denorm_mode_16_64 3
		.amdhsa_dx10_clamp 1
		.amdhsa_ieee_mode 1
		.amdhsa_fp16_overflow 0
		.amdhsa_exception_fp_ieee_invalid_op 0
		.amdhsa_exception_fp_denorm_src 0
		.amdhsa_exception_fp_ieee_div_zero 0
		.amdhsa_exception_fp_ieee_overflow 0
		.amdhsa_exception_fp_ieee_underflow 0
		.amdhsa_exception_fp_ieee_inexact 0
		.amdhsa_exception_int_div_zero 0
	.end_amdhsa_kernel
	.section	.text._ZL41rocblas_syrkx_herkx_small_restrict_kernelIl19rocblas_complex_numIdELi16ELb0ELb0ELc67ELc76EKPKS1_KPS1_EviT_T0_PT6_S7_lSA_S7_lS8_PT7_S7_li,"axG",@progbits,_ZL41rocblas_syrkx_herkx_small_restrict_kernelIl19rocblas_complex_numIdELi16ELb0ELb0ELc67ELc76EKPKS1_KPS1_EviT_T0_PT6_S7_lSA_S7_lS8_PT7_S7_li,comdat
.Lfunc_end1662:
	.size	_ZL41rocblas_syrkx_herkx_small_restrict_kernelIl19rocblas_complex_numIdELi16ELb0ELb0ELc67ELc76EKPKS1_KPS1_EviT_T0_PT6_S7_lSA_S7_lS8_PT7_S7_li, .Lfunc_end1662-_ZL41rocblas_syrkx_herkx_small_restrict_kernelIl19rocblas_complex_numIdELi16ELb0ELb0ELc67ELc76EKPKS1_KPS1_EviT_T0_PT6_S7_lSA_S7_lS8_PT7_S7_li
                                        ; -- End function
	.set _ZL41rocblas_syrkx_herkx_small_restrict_kernelIl19rocblas_complex_numIdELi16ELb0ELb0ELc67ELc76EKPKS1_KPS1_EviT_T0_PT6_S7_lSA_S7_lS8_PT7_S7_li.num_vgpr, 40
	.set _ZL41rocblas_syrkx_herkx_small_restrict_kernelIl19rocblas_complex_numIdELi16ELb0ELb0ELc67ELc76EKPKS1_KPS1_EviT_T0_PT6_S7_lSA_S7_lS8_PT7_S7_li.num_agpr, 0
	.set _ZL41rocblas_syrkx_herkx_small_restrict_kernelIl19rocblas_complex_numIdELi16ELb0ELb0ELc67ELc76EKPKS1_KPS1_EviT_T0_PT6_S7_lSA_S7_lS8_PT7_S7_li.numbered_sgpr, 32
	.set _ZL41rocblas_syrkx_herkx_small_restrict_kernelIl19rocblas_complex_numIdELi16ELb0ELb0ELc67ELc76EKPKS1_KPS1_EviT_T0_PT6_S7_lSA_S7_lS8_PT7_S7_li.num_named_barrier, 0
	.set _ZL41rocblas_syrkx_herkx_small_restrict_kernelIl19rocblas_complex_numIdELi16ELb0ELb0ELc67ELc76EKPKS1_KPS1_EviT_T0_PT6_S7_lSA_S7_lS8_PT7_S7_li.private_seg_size, 0
	.set _ZL41rocblas_syrkx_herkx_small_restrict_kernelIl19rocblas_complex_numIdELi16ELb0ELb0ELc67ELc76EKPKS1_KPS1_EviT_T0_PT6_S7_lSA_S7_lS8_PT7_S7_li.uses_vcc, 1
	.set _ZL41rocblas_syrkx_herkx_small_restrict_kernelIl19rocblas_complex_numIdELi16ELb0ELb0ELc67ELc76EKPKS1_KPS1_EviT_T0_PT6_S7_lSA_S7_lS8_PT7_S7_li.uses_flat_scratch, 0
	.set _ZL41rocblas_syrkx_herkx_small_restrict_kernelIl19rocblas_complex_numIdELi16ELb0ELb0ELc67ELc76EKPKS1_KPS1_EviT_T0_PT6_S7_lSA_S7_lS8_PT7_S7_li.has_dyn_sized_stack, 0
	.set _ZL41rocblas_syrkx_herkx_small_restrict_kernelIl19rocblas_complex_numIdELi16ELb0ELb0ELc67ELc76EKPKS1_KPS1_EviT_T0_PT6_S7_lSA_S7_lS8_PT7_S7_li.has_recursion, 0
	.set _ZL41rocblas_syrkx_herkx_small_restrict_kernelIl19rocblas_complex_numIdELi16ELb0ELb0ELc67ELc76EKPKS1_KPS1_EviT_T0_PT6_S7_lSA_S7_lS8_PT7_S7_li.has_indirect_call, 0
	.section	.AMDGPU.csdata,"",@progbits
; Kernel info:
; codeLenInByte = 1720
; TotalNumSgprs: 36
; NumVgprs: 40
; ScratchSize: 0
; MemoryBound: 0
; FloatMode: 240
; IeeeMode: 1
; LDSByteSize: 8192 bytes/workgroup (compile time only)
; SGPRBlocks: 8
; VGPRBlocks: 9
; NumSGPRsForWavesPerEU: 65
; NumVGPRsForWavesPerEU: 40
; Occupancy: 6
; WaveLimiterHint : 1
; COMPUTE_PGM_RSRC2:SCRATCH_EN: 0
; COMPUTE_PGM_RSRC2:USER_SGPR: 6
; COMPUTE_PGM_RSRC2:TRAP_HANDLER: 0
; COMPUTE_PGM_RSRC2:TGID_X_EN: 1
; COMPUTE_PGM_RSRC2:TGID_Y_EN: 1
; COMPUTE_PGM_RSRC2:TGID_Z_EN: 1
; COMPUTE_PGM_RSRC2:TIDIG_COMP_CNT: 1
	.section	.text._ZL41rocblas_syrkx_herkx_small_restrict_kernelIl19rocblas_complex_numIdELi16ELb0ELb0ELc78ELc76EKPKS1_KPS1_EviT_T0_PT6_S7_lSA_S7_lS8_PT7_S7_li,"axG",@progbits,_ZL41rocblas_syrkx_herkx_small_restrict_kernelIl19rocblas_complex_numIdELi16ELb0ELb0ELc78ELc76EKPKS1_KPS1_EviT_T0_PT6_S7_lSA_S7_lS8_PT7_S7_li,comdat
	.globl	_ZL41rocblas_syrkx_herkx_small_restrict_kernelIl19rocblas_complex_numIdELi16ELb0ELb0ELc78ELc76EKPKS1_KPS1_EviT_T0_PT6_S7_lSA_S7_lS8_PT7_S7_li ; -- Begin function _ZL41rocblas_syrkx_herkx_small_restrict_kernelIl19rocblas_complex_numIdELi16ELb0ELb0ELc78ELc76EKPKS1_KPS1_EviT_T0_PT6_S7_lSA_S7_lS8_PT7_S7_li
	.p2align	8
	.type	_ZL41rocblas_syrkx_herkx_small_restrict_kernelIl19rocblas_complex_numIdELi16ELb0ELb0ELc78ELc76EKPKS1_KPS1_EviT_T0_PT6_S7_lSA_S7_lS8_PT7_S7_li,@function
_ZL41rocblas_syrkx_herkx_small_restrict_kernelIl19rocblas_complex_numIdELi16ELb0ELb0ELc78ELc76EKPKS1_KPS1_EviT_T0_PT6_S7_lSA_S7_lS8_PT7_S7_li: ; @_ZL41rocblas_syrkx_herkx_small_restrict_kernelIl19rocblas_complex_numIdELi16ELb0ELb0ELc78ELc76EKPKS1_KPS1_EviT_T0_PT6_S7_lSA_S7_lS8_PT7_S7_li
; %bb.0:
	s_load_dwordx8 s[12:19], s[4:5], 0x50
	s_load_dwordx8 s[20:27], s[4:5], 0x8
	s_load_dwordx2 s[10:11], s[4:5], 0x28
	s_mov_b32 s9, 0
	s_lshl_b64 s[28:29], s[8:9], 3
	s_waitcnt lgkmcnt(0)
	s_add_u32 s0, s16, s28
	s_addc_u32 s1, s17, s29
	s_load_dwordx2 s[8:9], s[0:1], 0x0
	v_cmp_lt_i64_e64 s[0:1], s[20:21], 1
	v_lshl_add_u32 v2, s6, 4, v0
	v_lshl_add_u32 v4, s7, 4, v1
	s_and_b64 vcc, exec, s[0:1]
	v_ashrrev_i32_e32 v3, 31, v2
	v_ashrrev_i32_e32 v5, 31, v4
	s_cbranch_vccnz .LBB1663_6
; %bb.1:
	s_load_dwordx4 s[0:3], s[4:5], 0x38
	v_mad_u64_u32 v[10:11], s[6:7], s10, v1, 0
	v_lshlrev_b32_e32 v9, 8, v1
	v_lshlrev_b32_e32 v14, 4, v0
	s_waitcnt lgkmcnt(0)
	v_mad_u64_u32 v[6:7], s[4:5], s2, v0, 0
	s_add_u32 s0, s0, s28
	v_add_u32_e32 v15, v14, v9
	v_mad_u64_u32 v[7:8], s[6:7], s3, v0, v[7:8]
	v_add_u32_e32 v16, 0x1000, v9
	v_lshlrev_b64 v[8:9], 4, v[4:5]
	v_lshlrev_b64 v[6:7], 4, v[6:7]
	s_addc_u32 s1, s1, s29
	s_load_dwordx2 s[0:1], s[0:1], 0x0
	v_add_co_u32_e32 v8, vcc, v6, v8
	v_mov_b32_e32 v0, v11
	v_addc_co_u32_e32 v9, vcc, v7, v9, vcc
	v_mad_u64_u32 v[6:7], s[6:7], s11, v1, v[0:1]
	s_add_u32 s4, s26, s28
	s_addc_u32 s5, s27, s29
	s_load_dwordx2 s[4:5], s[4:5], 0x0
	s_waitcnt lgkmcnt(0)
	v_mov_b32_e32 v12, s1
	v_add_co_u32_e32 v0, vcc, s0, v8
	v_mov_b32_e32 v11, v6
	v_addc_co_u32_e32 v1, vcc, v12, v9, vcc
	v_lshlrev_b64 v[6:7], 4, v[10:11]
	v_lshlrev_b64 v[8:9], 4, v[2:3]
	s_lshl_b64 s[0:1], s[2:3], 8
	v_add_co_u32_e32 v6, vcc, v6, v8
	v_addc_co_u32_e32 v7, vcc, v7, v9, vcc
	v_mov_b32_e32 v8, s5
	v_add_co_u32_e32 v6, vcc, s4, v6
	v_addc_co_u32_e32 v7, vcc, v8, v7, vcc
	s_lshl_b64 s[2:3], s[10:11], 8
	v_mov_b32_e32 v10, 0
	v_mov_b32_e32 v12, 0
	;; [unrolled: 1-line block ×3, first 2 shown]
	v_add_u32_e32 v17, v16, v14
	v_mov_b32_e32 v11, 0
	s_mov_b64 s[4:5], 0
	v_mov_b32_e32 v18, s1
	v_mov_b32_e32 v19, s3
	;; [unrolled: 1-line block ×4, first 2 shown]
.LBB1663_2:                             ; =>This Inner Loop Header: Depth=1
	flat_load_dwordx4 v[20:23], v[6:7]
	s_add_u32 s4, s4, 16
	s_addc_u32 s5, s5, 0
	s_waitcnt vmcnt(0) lgkmcnt(0)
	ds_write2_b64 v15, v[20:21], v[22:23] offset1:1
	flat_load_dwordx4 v[20:23], v[0:1]
	v_add_co_u32_e32 v0, vcc, s0, v0
	v_addc_co_u32_e32 v1, vcc, v1, v18, vcc
	v_add_co_u32_e32 v6, vcc, s2, v6
	v_addc_co_u32_e32 v7, vcc, v7, v19, vcc
	v_cmp_lt_i64_e32 vcc, s[4:5], v[8:9]
	s_and_b64 vcc, exec, vcc
	s_waitcnt vmcnt(0) lgkmcnt(0)
	ds_write_b128 v17, v[20:23]
	s_waitcnt lgkmcnt(0)
	s_barrier
	ds_read_b128 v[20:23], v16
	ds_read_b128 v[24:27], v16 offset:16
	ds_read_b128 v[28:31], v16 offset:32
	;; [unrolled: 1-line block ×3, first 2 shown]
	ds_read_b128 v[36:39], v14
	s_waitcnt lgkmcnt(0)
	v_mul_f64 v[40:41], v[22:23], v[38:39]
	v_fma_f64 v[40:41], v[20:21], v[36:37], -v[40:41]
	v_mul_f64 v[20:21], v[20:21], v[38:39]
	v_fma_f64 v[20:21], v[22:23], v[36:37], v[20:21]
	v_add_f64 v[22:23], v[12:13], v[40:41]
	v_add_f64 v[20:21], v[10:11], v[20:21]
	ds_read_b128 v[10:13], v14 offset:256
	s_waitcnt lgkmcnt(0)
	v_mul_f64 v[36:37], v[26:27], v[12:13]
	v_mul_f64 v[12:13], v[24:25], v[12:13]
	v_fma_f64 v[36:37], v[24:25], v[10:11], -v[36:37]
	v_fma_f64 v[10:11], v[26:27], v[10:11], v[12:13]
	v_add_f64 v[22:23], v[22:23], v[36:37]
	v_add_f64 v[20:21], v[20:21], v[10:11]
	ds_read_b128 v[10:13], v14 offset:512
	s_waitcnt lgkmcnt(0)
	v_mul_f64 v[24:25], v[30:31], v[12:13]
	v_mul_f64 v[12:13], v[28:29], v[12:13]
	v_fma_f64 v[24:25], v[28:29], v[10:11], -v[24:25]
	;; [unrolled: 8-line block ×3, first 2 shown]
	v_fma_f64 v[10:11], v[34:35], v[10:11], v[12:13]
	v_add_f64 v[24:25], v[22:23], v[24:25]
	v_add_f64 v[26:27], v[20:21], v[10:11]
	ds_read_b128 v[10:13], v16 offset:64
	ds_read_b128 v[20:23], v14 offset:1024
	s_waitcnt lgkmcnt(0)
	v_mul_f64 v[28:29], v[12:13], v[22:23]
	v_fma_f64 v[28:29], v[10:11], v[20:21], -v[28:29]
	v_mul_f64 v[10:11], v[10:11], v[22:23]
	v_add_f64 v[24:25], v[24:25], v[28:29]
	v_fma_f64 v[10:11], v[12:13], v[20:21], v[10:11]
	v_add_f64 v[26:27], v[26:27], v[10:11]
	ds_read_b128 v[10:13], v16 offset:80
	ds_read_b128 v[20:23], v14 offset:1280
	s_waitcnt lgkmcnt(0)
	v_mul_f64 v[28:29], v[12:13], v[22:23]
	v_fma_f64 v[28:29], v[10:11], v[20:21], -v[28:29]
	v_mul_f64 v[10:11], v[10:11], v[22:23]
	v_add_f64 v[24:25], v[24:25], v[28:29]
	v_fma_f64 v[10:11], v[12:13], v[20:21], v[10:11]
	;; [unrolled: 9-line block ×11, first 2 shown]
	v_add_f64 v[26:27], v[26:27], v[10:11]
	ds_read_b128 v[10:13], v16 offset:240
	ds_read_b128 v[20:23], v14 offset:3840
	s_waitcnt lgkmcnt(0)
	s_barrier
	v_mul_f64 v[28:29], v[12:13], v[22:23]
	v_fma_f64 v[28:29], v[10:11], v[20:21], -v[28:29]
	v_mul_f64 v[10:11], v[10:11], v[22:23]
	v_fma_f64 v[10:11], v[12:13], v[20:21], v[10:11]
	v_add_f64 v[12:13], v[24:25], v[28:29]
	v_add_f64 v[10:11], v[26:27], v[10:11]
	s_cbranch_vccnz .LBB1663_2
; %bb.3:
	v_cmp_le_i32_e32 vcc, v4, v2
	s_and_saveexec_b64 s[0:1], vcc
	s_cbranch_execz .LBB1663_5
.LBB1663_4:
	v_mul_lo_u32 v6, s19, v4
	v_mul_lo_u32 v5, s18, v5
	v_mad_u64_u32 v[0:1], s[0:1], s18, v4, 0
	s_waitcnt lgkmcnt(0)
	v_mov_b32_e32 v4, s9
	v_mul_f64 v[8:9], s[22:23], v[10:11]
	v_add3_u32 v1, v1, v5, v6
	v_lshlrev_b64 v[0:1], 4, v[0:1]
	v_add_co_u32_e32 v5, vcc, s8, v0
	v_addc_co_u32_e32 v6, vcc, v4, v1, vcc
	v_lshlrev_b64 v[0:1], 4, v[2:3]
	v_fma_f64 v[8:9], s[24:25], v[12:13], v[8:9]
	v_add_co_u32_e32 v4, vcc, v5, v0
	v_addc_co_u32_e32 v5, vcc, v6, v1, vcc
	flat_load_dwordx4 v[0:3], v[4:5]
	v_mul_f64 v[6:7], s[24:25], v[10:11]
	v_fma_f64 v[6:7], s[22:23], v[12:13], -v[6:7]
	s_waitcnt vmcnt(0) lgkmcnt(0)
	v_mul_f64 v[10:11], s[14:15], v[2:3]
	v_mul_f64 v[2:3], s[12:13], v[2:3]
	v_fma_f64 v[10:11], s[12:13], v[0:1], -v[10:11]
	v_fma_f64 v[2:3], s[14:15], v[0:1], v[2:3]
	v_add_f64 v[0:1], v[6:7], v[10:11]
	v_add_f64 v[2:3], v[8:9], v[2:3]
	flat_store_dwordx4 v[4:5], v[0:3]
.LBB1663_5:
	s_endpgm
.LBB1663_6:
	v_mov_b32_e32 v10, 0
	v_mov_b32_e32 v12, 0
	;; [unrolled: 1-line block ×4, first 2 shown]
	v_cmp_le_i32_e32 vcc, v4, v2
	s_and_saveexec_b64 s[0:1], vcc
	s_cbranch_execnz .LBB1663_4
	s_branch .LBB1663_5
	.section	.rodata,"a",@progbits
	.p2align	6, 0x0
	.amdhsa_kernel _ZL41rocblas_syrkx_herkx_small_restrict_kernelIl19rocblas_complex_numIdELi16ELb0ELb0ELc78ELc76EKPKS1_KPS1_EviT_T0_PT6_S7_lSA_S7_lS8_PT7_S7_li
		.amdhsa_group_segment_fixed_size 8192
		.amdhsa_private_segment_fixed_size 0
		.amdhsa_kernarg_size 124
		.amdhsa_user_sgpr_count 6
		.amdhsa_user_sgpr_private_segment_buffer 1
		.amdhsa_user_sgpr_dispatch_ptr 0
		.amdhsa_user_sgpr_queue_ptr 0
		.amdhsa_user_sgpr_kernarg_segment_ptr 1
		.amdhsa_user_sgpr_dispatch_id 0
		.amdhsa_user_sgpr_flat_scratch_init 0
		.amdhsa_user_sgpr_private_segment_size 0
		.amdhsa_uses_dynamic_stack 0
		.amdhsa_system_sgpr_private_segment_wavefront_offset 0
		.amdhsa_system_sgpr_workgroup_id_x 1
		.amdhsa_system_sgpr_workgroup_id_y 1
		.amdhsa_system_sgpr_workgroup_id_z 1
		.amdhsa_system_sgpr_workgroup_info 0
		.amdhsa_system_vgpr_workitem_id 1
		.amdhsa_next_free_vgpr 42
		.amdhsa_next_free_sgpr 61
		.amdhsa_reserve_vcc 1
		.amdhsa_reserve_flat_scratch 0
		.amdhsa_float_round_mode_32 0
		.amdhsa_float_round_mode_16_64 0
		.amdhsa_float_denorm_mode_32 3
		.amdhsa_float_denorm_mode_16_64 3
		.amdhsa_dx10_clamp 1
		.amdhsa_ieee_mode 1
		.amdhsa_fp16_overflow 0
		.amdhsa_exception_fp_ieee_invalid_op 0
		.amdhsa_exception_fp_denorm_src 0
		.amdhsa_exception_fp_ieee_div_zero 0
		.amdhsa_exception_fp_ieee_overflow 0
		.amdhsa_exception_fp_ieee_underflow 0
		.amdhsa_exception_fp_ieee_inexact 0
		.amdhsa_exception_int_div_zero 0
	.end_amdhsa_kernel
	.section	.text._ZL41rocblas_syrkx_herkx_small_restrict_kernelIl19rocblas_complex_numIdELi16ELb0ELb0ELc78ELc76EKPKS1_KPS1_EviT_T0_PT6_S7_lSA_S7_lS8_PT7_S7_li,"axG",@progbits,_ZL41rocblas_syrkx_herkx_small_restrict_kernelIl19rocblas_complex_numIdELi16ELb0ELb0ELc78ELc76EKPKS1_KPS1_EviT_T0_PT6_S7_lSA_S7_lS8_PT7_S7_li,comdat
.Lfunc_end1663:
	.size	_ZL41rocblas_syrkx_herkx_small_restrict_kernelIl19rocblas_complex_numIdELi16ELb0ELb0ELc78ELc76EKPKS1_KPS1_EviT_T0_PT6_S7_lSA_S7_lS8_PT7_S7_li, .Lfunc_end1663-_ZL41rocblas_syrkx_herkx_small_restrict_kernelIl19rocblas_complex_numIdELi16ELb0ELb0ELc78ELc76EKPKS1_KPS1_EviT_T0_PT6_S7_lSA_S7_lS8_PT7_S7_li
                                        ; -- End function
	.set _ZL41rocblas_syrkx_herkx_small_restrict_kernelIl19rocblas_complex_numIdELi16ELb0ELb0ELc78ELc76EKPKS1_KPS1_EviT_T0_PT6_S7_lSA_S7_lS8_PT7_S7_li.num_vgpr, 42
	.set _ZL41rocblas_syrkx_herkx_small_restrict_kernelIl19rocblas_complex_numIdELi16ELb0ELb0ELc78ELc76EKPKS1_KPS1_EviT_T0_PT6_S7_lSA_S7_lS8_PT7_S7_li.num_agpr, 0
	.set _ZL41rocblas_syrkx_herkx_small_restrict_kernelIl19rocblas_complex_numIdELi16ELb0ELb0ELc78ELc76EKPKS1_KPS1_EviT_T0_PT6_S7_lSA_S7_lS8_PT7_S7_li.numbered_sgpr, 30
	.set _ZL41rocblas_syrkx_herkx_small_restrict_kernelIl19rocblas_complex_numIdELi16ELb0ELb0ELc78ELc76EKPKS1_KPS1_EviT_T0_PT6_S7_lSA_S7_lS8_PT7_S7_li.num_named_barrier, 0
	.set _ZL41rocblas_syrkx_herkx_small_restrict_kernelIl19rocblas_complex_numIdELi16ELb0ELb0ELc78ELc76EKPKS1_KPS1_EviT_T0_PT6_S7_lSA_S7_lS8_PT7_S7_li.private_seg_size, 0
	.set _ZL41rocblas_syrkx_herkx_small_restrict_kernelIl19rocblas_complex_numIdELi16ELb0ELb0ELc78ELc76EKPKS1_KPS1_EviT_T0_PT6_S7_lSA_S7_lS8_PT7_S7_li.uses_vcc, 1
	.set _ZL41rocblas_syrkx_herkx_small_restrict_kernelIl19rocblas_complex_numIdELi16ELb0ELb0ELc78ELc76EKPKS1_KPS1_EviT_T0_PT6_S7_lSA_S7_lS8_PT7_S7_li.uses_flat_scratch, 0
	.set _ZL41rocblas_syrkx_herkx_small_restrict_kernelIl19rocblas_complex_numIdELi16ELb0ELb0ELc78ELc76EKPKS1_KPS1_EviT_T0_PT6_S7_lSA_S7_lS8_PT7_S7_li.has_dyn_sized_stack, 0
	.set _ZL41rocblas_syrkx_herkx_small_restrict_kernelIl19rocblas_complex_numIdELi16ELb0ELb0ELc78ELc76EKPKS1_KPS1_EviT_T0_PT6_S7_lSA_S7_lS8_PT7_S7_li.has_recursion, 0
	.set _ZL41rocblas_syrkx_herkx_small_restrict_kernelIl19rocblas_complex_numIdELi16ELb0ELb0ELc78ELc76EKPKS1_KPS1_EviT_T0_PT6_S7_lSA_S7_lS8_PT7_S7_li.has_indirect_call, 0
	.section	.AMDGPU.csdata,"",@progbits
; Kernel info:
; codeLenInByte = 1716
; TotalNumSgprs: 34
; NumVgprs: 42
; ScratchSize: 0
; MemoryBound: 0
; FloatMode: 240
; IeeeMode: 1
; LDSByteSize: 8192 bytes/workgroup (compile time only)
; SGPRBlocks: 8
; VGPRBlocks: 10
; NumSGPRsForWavesPerEU: 65
; NumVGPRsForWavesPerEU: 42
; Occupancy: 5
; WaveLimiterHint : 1
; COMPUTE_PGM_RSRC2:SCRATCH_EN: 0
; COMPUTE_PGM_RSRC2:USER_SGPR: 6
; COMPUTE_PGM_RSRC2:TRAP_HANDLER: 0
; COMPUTE_PGM_RSRC2:TGID_X_EN: 1
; COMPUTE_PGM_RSRC2:TGID_Y_EN: 1
; COMPUTE_PGM_RSRC2:TGID_Z_EN: 1
; COMPUTE_PGM_RSRC2:TIDIG_COMP_CNT: 1
	.section	.text._ZL41rocblas_syrkx_herkx_small_restrict_kernelIl19rocblas_complex_numIdELi16ELb0ELb0ELc84ELc85EKPKS1_KPS1_EviT_T0_PT6_S7_lSA_S7_lS8_PT7_S7_li,"axG",@progbits,_ZL41rocblas_syrkx_herkx_small_restrict_kernelIl19rocblas_complex_numIdELi16ELb0ELb0ELc84ELc85EKPKS1_KPS1_EviT_T0_PT6_S7_lSA_S7_lS8_PT7_S7_li,comdat
	.globl	_ZL41rocblas_syrkx_herkx_small_restrict_kernelIl19rocblas_complex_numIdELi16ELb0ELb0ELc84ELc85EKPKS1_KPS1_EviT_T0_PT6_S7_lSA_S7_lS8_PT7_S7_li ; -- Begin function _ZL41rocblas_syrkx_herkx_small_restrict_kernelIl19rocblas_complex_numIdELi16ELb0ELb0ELc84ELc85EKPKS1_KPS1_EviT_T0_PT6_S7_lSA_S7_lS8_PT7_S7_li
	.p2align	8
	.type	_ZL41rocblas_syrkx_herkx_small_restrict_kernelIl19rocblas_complex_numIdELi16ELb0ELb0ELc84ELc85EKPKS1_KPS1_EviT_T0_PT6_S7_lSA_S7_lS8_PT7_S7_li,@function
_ZL41rocblas_syrkx_herkx_small_restrict_kernelIl19rocblas_complex_numIdELi16ELb0ELb0ELc84ELc85EKPKS1_KPS1_EviT_T0_PT6_S7_lSA_S7_lS8_PT7_S7_li: ; @_ZL41rocblas_syrkx_herkx_small_restrict_kernelIl19rocblas_complex_numIdELi16ELb0ELb0ELc84ELc85EKPKS1_KPS1_EviT_T0_PT6_S7_lSA_S7_lS8_PT7_S7_li
; %bb.0:
	s_load_dwordx8 s[12:19], s[4:5], 0x50
	s_load_dwordx8 s[20:27], s[4:5], 0x8
	s_load_dwordx2 s[2:3], s[4:5], 0x28
	s_mov_b32 s9, 0
	s_lshl_b64 s[8:9], s[8:9], 3
	s_waitcnt lgkmcnt(0)
	s_add_u32 s0, s16, s8
	s_addc_u32 s1, s17, s9
	s_load_dwordx2 s[0:1], s[0:1], 0x0
	v_cmp_lt_i64_e64 s[10:11], s[20:21], 1
	v_lshl_add_u32 v2, s6, 4, v0
	v_lshl_add_u32 v12, s7, 4, v1
	s_and_b64 vcc, exec, s[10:11]
	v_ashrrev_i32_e32 v3, 31, v2
	v_ashrrev_i32_e32 v13, 31, v12
	s_cbranch_vccnz .LBB1664_6
; %bb.1:
	s_load_dwordx4 s[28:31], s[4:5], 0x38
	v_mul_lo_u32 v6, s3, v2
	v_mul_lo_u32 v7, s2, v3
	v_mad_u64_u32 v[4:5], s[2:3], s2, v2, 0
	s_waitcnt lgkmcnt(0)
	s_add_u32 s2, s28, s8
	s_addc_u32 s3, s29, s9
	s_add_u32 s4, s26, s8
	s_addc_u32 s5, s27, s9
	s_load_dwordx2 s[4:5], s[4:5], 0x0
	v_lshlrev_b32_e32 v8, 4, v1
	v_add3_u32 v5, v5, v7, v6
	v_lshlrev_b64 v[4:5], 4, v[4:5]
	s_load_dwordx2 s[2:3], s[2:3], 0x0
	s_waitcnt lgkmcnt(0)
	v_mov_b32_e32 v6, s5
	v_add_co_u32_e32 v7, vcc, s4, v8
	v_addc_co_u32_e32 v6, vcc, 0, v6, vcc
	v_add_co_u32_e32 v4, vcc, v7, v4
	v_addc_co_u32_e32 v5, vcc, v6, v5, vcc
	v_mul_lo_u32 v8, s31, v12
	v_mul_lo_u32 v9, s30, v13
	v_mad_u64_u32 v[6:7], s[4:5], s30, v12, 0
	v_lshlrev_b32_e32 v14, 4, v0
	v_mov_b32_e32 v0, s3
	v_add3_u32 v7, v7, v9, v8
	v_add_co_u32_e32 v8, vcc, s2, v14
	v_lshlrev_b32_e32 v10, 8, v1
	v_addc_co_u32_e32 v9, vcc, 0, v0, vcc
	v_lshlrev_b64 v[0:1], 4, v[6:7]
	v_add_u32_e32 v15, v14, v10
	v_add_co_u32_e32 v0, vcc, v8, v0
	v_addc_co_u32_e32 v1, vcc, v9, v1, vcc
	v_add_u32_e32 v16, 0x1000, v10
	v_mov_b32_e32 v8, 0
	v_mov_b32_e32 v10, 0
	;; [unrolled: 1-line block ×3, first 2 shown]
	v_add_u32_e32 v17, v16, v14
	v_mov_b32_e32 v9, 0
	s_mov_b64 s[2:3], 0
	v_mov_b32_e32 v11, 0
	v_mov_b32_e32 v7, s21
.LBB1664_2:                             ; =>This Inner Loop Header: Depth=1
	flat_load_dwordx4 v[18:21], v[4:5]
	s_add_u32 s2, s2, 16
	s_addc_u32 s3, s3, 0
	s_waitcnt vmcnt(0) lgkmcnt(0)
	ds_write2_b64 v15, v[18:19], v[20:21] offset1:1
	flat_load_dwordx4 v[18:21], v[0:1]
	v_add_co_u32_e32 v0, vcc, 0x100, v0
	v_addc_co_u32_e32 v1, vcc, 0, v1, vcc
	v_add_co_u32_e32 v4, vcc, 0x100, v4
	v_addc_co_u32_e32 v5, vcc, 0, v5, vcc
	v_cmp_lt_i64_e32 vcc, s[2:3], v[6:7]
	s_and_b64 vcc, exec, vcc
	s_waitcnt vmcnt(0) lgkmcnt(0)
	ds_write2_b64 v17, v[18:19], v[20:21] offset1:1
	s_waitcnt lgkmcnt(0)
	s_barrier
	ds_read_b128 v[18:21], v16
	ds_read_b128 v[22:25], v16 offset:16
	ds_read_b128 v[26:29], v16 offset:32
	;; [unrolled: 1-line block ×3, first 2 shown]
	ds_read_b128 v[34:37], v14
	s_waitcnt lgkmcnt(0)
	v_mul_f64 v[38:39], v[20:21], v[36:37]
	v_fma_f64 v[38:39], v[18:19], v[34:35], -v[38:39]
	v_mul_f64 v[18:19], v[18:19], v[36:37]
	v_fma_f64 v[18:19], v[20:21], v[34:35], v[18:19]
	v_add_f64 v[20:21], v[10:11], v[38:39]
	v_add_f64 v[18:19], v[8:9], v[18:19]
	ds_read_b128 v[8:11], v14 offset:256
	s_waitcnt lgkmcnt(0)
	v_mul_f64 v[34:35], v[24:25], v[10:11]
	v_mul_f64 v[10:11], v[22:23], v[10:11]
	v_fma_f64 v[34:35], v[22:23], v[8:9], -v[34:35]
	v_fma_f64 v[8:9], v[24:25], v[8:9], v[10:11]
	v_add_f64 v[20:21], v[20:21], v[34:35]
	v_add_f64 v[18:19], v[18:19], v[8:9]
	ds_read_b128 v[8:11], v14 offset:512
	s_waitcnt lgkmcnt(0)
	v_mul_f64 v[22:23], v[28:29], v[10:11]
	v_mul_f64 v[10:11], v[26:27], v[10:11]
	v_fma_f64 v[22:23], v[26:27], v[8:9], -v[22:23]
	;; [unrolled: 8-line block ×3, first 2 shown]
	v_fma_f64 v[8:9], v[32:33], v[8:9], v[10:11]
	v_add_f64 v[22:23], v[20:21], v[22:23]
	v_add_f64 v[24:25], v[18:19], v[8:9]
	ds_read_b128 v[8:11], v16 offset:64
	ds_read_b128 v[18:21], v14 offset:1024
	s_waitcnt lgkmcnt(0)
	v_mul_f64 v[26:27], v[10:11], v[20:21]
	v_fma_f64 v[26:27], v[8:9], v[18:19], -v[26:27]
	v_mul_f64 v[8:9], v[8:9], v[20:21]
	v_add_f64 v[22:23], v[22:23], v[26:27]
	v_fma_f64 v[8:9], v[10:11], v[18:19], v[8:9]
	v_add_f64 v[24:25], v[24:25], v[8:9]
	ds_read_b128 v[8:11], v16 offset:80
	ds_read_b128 v[18:21], v14 offset:1280
	s_waitcnt lgkmcnt(0)
	v_mul_f64 v[26:27], v[10:11], v[20:21]
	v_fma_f64 v[26:27], v[8:9], v[18:19], -v[26:27]
	v_mul_f64 v[8:9], v[8:9], v[20:21]
	v_add_f64 v[22:23], v[22:23], v[26:27]
	v_fma_f64 v[8:9], v[10:11], v[18:19], v[8:9]
	;; [unrolled: 9-line block ×11, first 2 shown]
	v_add_f64 v[24:25], v[24:25], v[8:9]
	ds_read_b128 v[8:11], v16 offset:240
	ds_read_b128 v[18:21], v14 offset:3840
	s_waitcnt lgkmcnt(0)
	s_barrier
	v_mul_f64 v[26:27], v[10:11], v[20:21]
	v_fma_f64 v[26:27], v[8:9], v[18:19], -v[26:27]
	v_mul_f64 v[8:9], v[8:9], v[20:21]
	v_fma_f64 v[8:9], v[10:11], v[18:19], v[8:9]
	v_add_f64 v[10:11], v[22:23], v[26:27]
	v_add_f64 v[8:9], v[24:25], v[8:9]
	s_cbranch_vccnz .LBB1664_2
; %bb.3:
	v_cmp_le_i32_e32 vcc, v2, v12
	s_and_saveexec_b64 s[2:3], vcc
	s_cbranch_execz .LBB1664_5
.LBB1664_4:
	v_mul_lo_u32 v4, s19, v12
	v_mul_lo_u32 v5, s18, v13
	v_mad_u64_u32 v[0:1], s[2:3], s18, v12, 0
	v_add3_u32 v1, v1, v5, v4
	v_lshlrev_b64 v[0:1], 4, v[0:1]
	s_waitcnt lgkmcnt(0)
	v_mov_b32_e32 v4, s1
	v_add_co_u32_e32 v5, vcc, s0, v0
	v_addc_co_u32_e32 v6, vcc, v4, v1, vcc
	v_lshlrev_b64 v[0:1], 4, v[2:3]
	v_add_co_u32_e32 v4, vcc, v5, v0
	v_addc_co_u32_e32 v5, vcc, v6, v1, vcc
	flat_load_dwordx4 v[0:3], v[4:5]
	v_mul_f64 v[6:7], s[24:25], v[8:9]
	v_mul_f64 v[8:9], s[22:23], v[8:9]
	v_fma_f64 v[6:7], s[22:23], v[10:11], -v[6:7]
	v_fma_f64 v[8:9], s[24:25], v[10:11], v[8:9]
	s_waitcnt vmcnt(0) lgkmcnt(0)
	v_mul_f64 v[12:13], s[14:15], v[2:3]
	v_mul_f64 v[2:3], s[12:13], v[2:3]
	v_fma_f64 v[10:11], s[12:13], v[0:1], -v[12:13]
	v_fma_f64 v[2:3], s[14:15], v[0:1], v[2:3]
	v_add_f64 v[0:1], v[6:7], v[10:11]
	v_add_f64 v[2:3], v[8:9], v[2:3]
	flat_store_dwordx4 v[4:5], v[0:3]
.LBB1664_5:
	s_endpgm
.LBB1664_6:
	v_mov_b32_e32 v8, 0
	v_mov_b32_e32 v10, 0
	;; [unrolled: 1-line block ×4, first 2 shown]
	v_cmp_le_i32_e32 vcc, v2, v12
	s_and_saveexec_b64 s[2:3], vcc
	s_cbranch_execnz .LBB1664_4
	s_branch .LBB1664_5
	.section	.rodata,"a",@progbits
	.p2align	6, 0x0
	.amdhsa_kernel _ZL41rocblas_syrkx_herkx_small_restrict_kernelIl19rocblas_complex_numIdELi16ELb0ELb0ELc84ELc85EKPKS1_KPS1_EviT_T0_PT6_S7_lSA_S7_lS8_PT7_S7_li
		.amdhsa_group_segment_fixed_size 8192
		.amdhsa_private_segment_fixed_size 0
		.amdhsa_kernarg_size 124
		.amdhsa_user_sgpr_count 6
		.amdhsa_user_sgpr_private_segment_buffer 1
		.amdhsa_user_sgpr_dispatch_ptr 0
		.amdhsa_user_sgpr_queue_ptr 0
		.amdhsa_user_sgpr_kernarg_segment_ptr 1
		.amdhsa_user_sgpr_dispatch_id 0
		.amdhsa_user_sgpr_flat_scratch_init 0
		.amdhsa_user_sgpr_private_segment_size 0
		.amdhsa_uses_dynamic_stack 0
		.amdhsa_system_sgpr_private_segment_wavefront_offset 0
		.amdhsa_system_sgpr_workgroup_id_x 1
		.amdhsa_system_sgpr_workgroup_id_y 1
		.amdhsa_system_sgpr_workgroup_id_z 1
		.amdhsa_system_sgpr_workgroup_info 0
		.amdhsa_system_vgpr_workitem_id 1
		.amdhsa_next_free_vgpr 40
		.amdhsa_next_free_sgpr 61
		.amdhsa_reserve_vcc 1
		.amdhsa_reserve_flat_scratch 0
		.amdhsa_float_round_mode_32 0
		.amdhsa_float_round_mode_16_64 0
		.amdhsa_float_denorm_mode_32 3
		.amdhsa_float_denorm_mode_16_64 3
		.amdhsa_dx10_clamp 1
		.amdhsa_ieee_mode 1
		.amdhsa_fp16_overflow 0
		.amdhsa_exception_fp_ieee_invalid_op 0
		.amdhsa_exception_fp_denorm_src 0
		.amdhsa_exception_fp_ieee_div_zero 0
		.amdhsa_exception_fp_ieee_overflow 0
		.amdhsa_exception_fp_ieee_underflow 0
		.amdhsa_exception_fp_ieee_inexact 0
		.amdhsa_exception_int_div_zero 0
	.end_amdhsa_kernel
	.section	.text._ZL41rocblas_syrkx_herkx_small_restrict_kernelIl19rocblas_complex_numIdELi16ELb0ELb0ELc84ELc85EKPKS1_KPS1_EviT_T0_PT6_S7_lSA_S7_lS8_PT7_S7_li,"axG",@progbits,_ZL41rocblas_syrkx_herkx_small_restrict_kernelIl19rocblas_complex_numIdELi16ELb0ELb0ELc84ELc85EKPKS1_KPS1_EviT_T0_PT6_S7_lSA_S7_lS8_PT7_S7_li,comdat
.Lfunc_end1664:
	.size	_ZL41rocblas_syrkx_herkx_small_restrict_kernelIl19rocblas_complex_numIdELi16ELb0ELb0ELc84ELc85EKPKS1_KPS1_EviT_T0_PT6_S7_lSA_S7_lS8_PT7_S7_li, .Lfunc_end1664-_ZL41rocblas_syrkx_herkx_small_restrict_kernelIl19rocblas_complex_numIdELi16ELb0ELb0ELc84ELc85EKPKS1_KPS1_EviT_T0_PT6_S7_lSA_S7_lS8_PT7_S7_li
                                        ; -- End function
	.set _ZL41rocblas_syrkx_herkx_small_restrict_kernelIl19rocblas_complex_numIdELi16ELb0ELb0ELc84ELc85EKPKS1_KPS1_EviT_T0_PT6_S7_lSA_S7_lS8_PT7_S7_li.num_vgpr, 40
	.set _ZL41rocblas_syrkx_herkx_small_restrict_kernelIl19rocblas_complex_numIdELi16ELb0ELb0ELc84ELc85EKPKS1_KPS1_EviT_T0_PT6_S7_lSA_S7_lS8_PT7_S7_li.num_agpr, 0
	.set _ZL41rocblas_syrkx_herkx_small_restrict_kernelIl19rocblas_complex_numIdELi16ELb0ELb0ELc84ELc85EKPKS1_KPS1_EviT_T0_PT6_S7_lSA_S7_lS8_PT7_S7_li.numbered_sgpr, 32
	.set _ZL41rocblas_syrkx_herkx_small_restrict_kernelIl19rocblas_complex_numIdELi16ELb0ELb0ELc84ELc85EKPKS1_KPS1_EviT_T0_PT6_S7_lSA_S7_lS8_PT7_S7_li.num_named_barrier, 0
	.set _ZL41rocblas_syrkx_herkx_small_restrict_kernelIl19rocblas_complex_numIdELi16ELb0ELb0ELc84ELc85EKPKS1_KPS1_EviT_T0_PT6_S7_lSA_S7_lS8_PT7_S7_li.private_seg_size, 0
	.set _ZL41rocblas_syrkx_herkx_small_restrict_kernelIl19rocblas_complex_numIdELi16ELb0ELb0ELc84ELc85EKPKS1_KPS1_EviT_T0_PT6_S7_lSA_S7_lS8_PT7_S7_li.uses_vcc, 1
	.set _ZL41rocblas_syrkx_herkx_small_restrict_kernelIl19rocblas_complex_numIdELi16ELb0ELb0ELc84ELc85EKPKS1_KPS1_EviT_T0_PT6_S7_lSA_S7_lS8_PT7_S7_li.uses_flat_scratch, 0
	.set _ZL41rocblas_syrkx_herkx_small_restrict_kernelIl19rocblas_complex_numIdELi16ELb0ELb0ELc84ELc85EKPKS1_KPS1_EviT_T0_PT6_S7_lSA_S7_lS8_PT7_S7_li.has_dyn_sized_stack, 0
	.set _ZL41rocblas_syrkx_herkx_small_restrict_kernelIl19rocblas_complex_numIdELi16ELb0ELb0ELc84ELc85EKPKS1_KPS1_EviT_T0_PT6_S7_lSA_S7_lS8_PT7_S7_li.has_recursion, 0
	.set _ZL41rocblas_syrkx_herkx_small_restrict_kernelIl19rocblas_complex_numIdELi16ELb0ELb0ELc84ELc85EKPKS1_KPS1_EviT_T0_PT6_S7_lSA_S7_lS8_PT7_S7_li.has_indirect_call, 0
	.section	.AMDGPU.csdata,"",@progbits
; Kernel info:
; codeLenInByte = 1720
; TotalNumSgprs: 36
; NumVgprs: 40
; ScratchSize: 0
; MemoryBound: 0
; FloatMode: 240
; IeeeMode: 1
; LDSByteSize: 8192 bytes/workgroup (compile time only)
; SGPRBlocks: 8
; VGPRBlocks: 9
; NumSGPRsForWavesPerEU: 65
; NumVGPRsForWavesPerEU: 40
; Occupancy: 6
; WaveLimiterHint : 1
; COMPUTE_PGM_RSRC2:SCRATCH_EN: 0
; COMPUTE_PGM_RSRC2:USER_SGPR: 6
; COMPUTE_PGM_RSRC2:TRAP_HANDLER: 0
; COMPUTE_PGM_RSRC2:TGID_X_EN: 1
; COMPUTE_PGM_RSRC2:TGID_Y_EN: 1
; COMPUTE_PGM_RSRC2:TGID_Z_EN: 1
; COMPUTE_PGM_RSRC2:TIDIG_COMP_CNT: 1
	.section	.text._ZL41rocblas_syrkx_herkx_small_restrict_kernelIl19rocblas_complex_numIdELi16ELb0ELb0ELc67ELc85EKPKS1_KPS1_EviT_T0_PT6_S7_lSA_S7_lS8_PT7_S7_li,"axG",@progbits,_ZL41rocblas_syrkx_herkx_small_restrict_kernelIl19rocblas_complex_numIdELi16ELb0ELb0ELc67ELc85EKPKS1_KPS1_EviT_T0_PT6_S7_lSA_S7_lS8_PT7_S7_li,comdat
	.globl	_ZL41rocblas_syrkx_herkx_small_restrict_kernelIl19rocblas_complex_numIdELi16ELb0ELb0ELc67ELc85EKPKS1_KPS1_EviT_T0_PT6_S7_lSA_S7_lS8_PT7_S7_li ; -- Begin function _ZL41rocblas_syrkx_herkx_small_restrict_kernelIl19rocblas_complex_numIdELi16ELb0ELb0ELc67ELc85EKPKS1_KPS1_EviT_T0_PT6_S7_lSA_S7_lS8_PT7_S7_li
	.p2align	8
	.type	_ZL41rocblas_syrkx_herkx_small_restrict_kernelIl19rocblas_complex_numIdELi16ELb0ELb0ELc67ELc85EKPKS1_KPS1_EviT_T0_PT6_S7_lSA_S7_lS8_PT7_S7_li,@function
_ZL41rocblas_syrkx_herkx_small_restrict_kernelIl19rocblas_complex_numIdELi16ELb0ELb0ELc67ELc85EKPKS1_KPS1_EviT_T0_PT6_S7_lSA_S7_lS8_PT7_S7_li: ; @_ZL41rocblas_syrkx_herkx_small_restrict_kernelIl19rocblas_complex_numIdELi16ELb0ELb0ELc67ELc85EKPKS1_KPS1_EviT_T0_PT6_S7_lSA_S7_lS8_PT7_S7_li
; %bb.0:
	s_load_dwordx8 s[12:19], s[4:5], 0x50
	s_load_dwordx8 s[20:27], s[4:5], 0x8
	s_load_dwordx2 s[2:3], s[4:5], 0x28
	s_mov_b32 s9, 0
	s_lshl_b64 s[8:9], s[8:9], 3
	s_waitcnt lgkmcnt(0)
	s_add_u32 s0, s16, s8
	s_addc_u32 s1, s17, s9
	s_load_dwordx2 s[0:1], s[0:1], 0x0
	v_cmp_lt_i64_e64 s[10:11], s[20:21], 1
	v_lshl_add_u32 v2, s6, 4, v0
	v_lshl_add_u32 v12, s7, 4, v1
	s_and_b64 vcc, exec, s[10:11]
	v_ashrrev_i32_e32 v3, 31, v2
	v_ashrrev_i32_e32 v13, 31, v12
	s_cbranch_vccnz .LBB1665_6
; %bb.1:
	s_load_dwordx4 s[28:31], s[4:5], 0x38
	v_mul_lo_u32 v6, s3, v2
	v_mul_lo_u32 v7, s2, v3
	v_mad_u64_u32 v[4:5], s[2:3], s2, v2, 0
	s_waitcnt lgkmcnt(0)
	s_add_u32 s2, s28, s8
	s_addc_u32 s3, s29, s9
	s_add_u32 s4, s26, s8
	s_addc_u32 s5, s27, s9
	s_load_dwordx2 s[4:5], s[4:5], 0x0
	v_lshlrev_b32_e32 v8, 4, v1
	v_add3_u32 v5, v5, v7, v6
	v_lshlrev_b64 v[4:5], 4, v[4:5]
	s_load_dwordx2 s[2:3], s[2:3], 0x0
	s_waitcnt lgkmcnt(0)
	v_mov_b32_e32 v6, s5
	v_add_co_u32_e32 v7, vcc, s4, v8
	v_addc_co_u32_e32 v6, vcc, 0, v6, vcc
	v_add_co_u32_e32 v4, vcc, v7, v4
	v_addc_co_u32_e32 v5, vcc, v6, v5, vcc
	v_mul_lo_u32 v8, s31, v12
	v_mul_lo_u32 v9, s30, v13
	v_mad_u64_u32 v[6:7], s[4:5], s30, v12, 0
	v_lshlrev_b32_e32 v14, 4, v0
	v_mov_b32_e32 v0, s3
	v_add3_u32 v7, v7, v9, v8
	v_add_co_u32_e32 v8, vcc, s2, v14
	v_lshlrev_b32_e32 v10, 8, v1
	v_addc_co_u32_e32 v9, vcc, 0, v0, vcc
	v_lshlrev_b64 v[0:1], 4, v[6:7]
	v_add_u32_e32 v15, v14, v10
	v_add_co_u32_e32 v0, vcc, v8, v0
	v_addc_co_u32_e32 v1, vcc, v9, v1, vcc
	v_add_u32_e32 v16, 0x1000, v10
	v_mov_b32_e32 v8, 0
	v_mov_b32_e32 v10, 0
	;; [unrolled: 1-line block ×3, first 2 shown]
	v_add_u32_e32 v17, v16, v14
	v_mov_b32_e32 v9, 0
	s_mov_b64 s[2:3], 0
	v_mov_b32_e32 v11, 0
	v_mov_b32_e32 v7, s21
.LBB1665_2:                             ; =>This Inner Loop Header: Depth=1
	flat_load_dwordx4 v[18:21], v[4:5]
	s_add_u32 s2, s2, 16
	s_addc_u32 s3, s3, 0
	s_waitcnt vmcnt(0) lgkmcnt(0)
	ds_write_b128 v15, v[18:21]
	flat_load_dwordx4 v[18:21], v[0:1]
	v_add_co_u32_e32 v0, vcc, 0x100, v0
	v_addc_co_u32_e32 v1, vcc, 0, v1, vcc
	v_add_co_u32_e32 v4, vcc, 0x100, v4
	v_addc_co_u32_e32 v5, vcc, 0, v5, vcc
	v_cmp_lt_i64_e32 vcc, s[2:3], v[6:7]
	s_and_b64 vcc, exec, vcc
	s_waitcnt vmcnt(0) lgkmcnt(0)
	ds_write2_b64 v17, v[18:19], v[20:21] offset1:1
	s_waitcnt lgkmcnt(0)
	s_barrier
	ds_read_b128 v[18:21], v16
	ds_read_b128 v[22:25], v16 offset:16
	ds_read_b128 v[26:29], v16 offset:32
	;; [unrolled: 1-line block ×3, first 2 shown]
	ds_read_b128 v[34:37], v14
	s_waitcnt lgkmcnt(0)
	v_mul_f64 v[38:39], v[20:21], v[36:37]
	v_fma_f64 v[38:39], v[18:19], v[34:35], -v[38:39]
	v_mul_f64 v[18:19], v[18:19], v[36:37]
	v_fma_f64 v[18:19], v[20:21], v[34:35], v[18:19]
	v_add_f64 v[20:21], v[10:11], v[38:39]
	v_add_f64 v[18:19], v[8:9], v[18:19]
	ds_read_b128 v[8:11], v14 offset:256
	s_waitcnt lgkmcnt(0)
	v_mul_f64 v[34:35], v[24:25], v[10:11]
	v_mul_f64 v[10:11], v[22:23], v[10:11]
	v_fma_f64 v[34:35], v[22:23], v[8:9], -v[34:35]
	v_fma_f64 v[8:9], v[24:25], v[8:9], v[10:11]
	v_add_f64 v[20:21], v[20:21], v[34:35]
	v_add_f64 v[18:19], v[18:19], v[8:9]
	ds_read_b128 v[8:11], v14 offset:512
	s_waitcnt lgkmcnt(0)
	v_mul_f64 v[22:23], v[28:29], v[10:11]
	v_mul_f64 v[10:11], v[26:27], v[10:11]
	v_fma_f64 v[22:23], v[26:27], v[8:9], -v[22:23]
	;; [unrolled: 8-line block ×3, first 2 shown]
	v_fma_f64 v[8:9], v[32:33], v[8:9], v[10:11]
	v_add_f64 v[22:23], v[20:21], v[22:23]
	v_add_f64 v[24:25], v[18:19], v[8:9]
	ds_read_b128 v[8:11], v16 offset:64
	ds_read_b128 v[18:21], v14 offset:1024
	s_waitcnt lgkmcnt(0)
	v_mul_f64 v[26:27], v[10:11], v[20:21]
	v_fma_f64 v[26:27], v[8:9], v[18:19], -v[26:27]
	v_mul_f64 v[8:9], v[8:9], v[20:21]
	v_add_f64 v[22:23], v[22:23], v[26:27]
	v_fma_f64 v[8:9], v[10:11], v[18:19], v[8:9]
	v_add_f64 v[24:25], v[24:25], v[8:9]
	ds_read_b128 v[8:11], v16 offset:80
	ds_read_b128 v[18:21], v14 offset:1280
	s_waitcnt lgkmcnt(0)
	v_mul_f64 v[26:27], v[10:11], v[20:21]
	v_fma_f64 v[26:27], v[8:9], v[18:19], -v[26:27]
	v_mul_f64 v[8:9], v[8:9], v[20:21]
	v_add_f64 v[22:23], v[22:23], v[26:27]
	v_fma_f64 v[8:9], v[10:11], v[18:19], v[8:9]
	;; [unrolled: 9-line block ×11, first 2 shown]
	v_add_f64 v[24:25], v[24:25], v[8:9]
	ds_read_b128 v[8:11], v16 offset:240
	ds_read_b128 v[18:21], v14 offset:3840
	s_waitcnt lgkmcnt(0)
	s_barrier
	v_mul_f64 v[26:27], v[10:11], v[20:21]
	v_fma_f64 v[26:27], v[8:9], v[18:19], -v[26:27]
	v_mul_f64 v[8:9], v[8:9], v[20:21]
	v_fma_f64 v[8:9], v[10:11], v[18:19], v[8:9]
	v_add_f64 v[10:11], v[22:23], v[26:27]
	v_add_f64 v[8:9], v[24:25], v[8:9]
	s_cbranch_vccnz .LBB1665_2
; %bb.3:
	v_cmp_le_i32_e32 vcc, v2, v12
	s_and_saveexec_b64 s[2:3], vcc
	s_cbranch_execz .LBB1665_5
.LBB1665_4:
	v_mul_lo_u32 v4, s19, v12
	v_mul_lo_u32 v5, s18, v13
	v_mad_u64_u32 v[0:1], s[2:3], s18, v12, 0
	v_add3_u32 v1, v1, v5, v4
	v_lshlrev_b64 v[0:1], 4, v[0:1]
	s_waitcnt lgkmcnt(0)
	v_mov_b32_e32 v4, s1
	v_add_co_u32_e32 v5, vcc, s0, v0
	v_addc_co_u32_e32 v6, vcc, v4, v1, vcc
	v_lshlrev_b64 v[0:1], 4, v[2:3]
	v_add_co_u32_e32 v4, vcc, v5, v0
	v_addc_co_u32_e32 v5, vcc, v6, v1, vcc
	flat_load_dwordx4 v[0:3], v[4:5]
	v_mul_f64 v[6:7], s[24:25], v[8:9]
	v_mul_f64 v[8:9], s[22:23], v[8:9]
	v_fma_f64 v[6:7], s[22:23], v[10:11], -v[6:7]
	v_fma_f64 v[8:9], s[24:25], v[10:11], v[8:9]
	s_waitcnt vmcnt(0) lgkmcnt(0)
	v_mul_f64 v[12:13], s[14:15], v[2:3]
	v_mul_f64 v[2:3], s[12:13], v[2:3]
	v_fma_f64 v[10:11], s[12:13], v[0:1], -v[12:13]
	v_fma_f64 v[2:3], s[14:15], v[0:1], v[2:3]
	v_add_f64 v[0:1], v[6:7], v[10:11]
	v_add_f64 v[2:3], v[8:9], v[2:3]
	flat_store_dwordx4 v[4:5], v[0:3]
.LBB1665_5:
	s_endpgm
.LBB1665_6:
	v_mov_b32_e32 v8, 0
	v_mov_b32_e32 v10, 0
	;; [unrolled: 1-line block ×4, first 2 shown]
	v_cmp_le_i32_e32 vcc, v2, v12
	s_and_saveexec_b64 s[2:3], vcc
	s_cbranch_execnz .LBB1665_4
	s_branch .LBB1665_5
	.section	.rodata,"a",@progbits
	.p2align	6, 0x0
	.amdhsa_kernel _ZL41rocblas_syrkx_herkx_small_restrict_kernelIl19rocblas_complex_numIdELi16ELb0ELb0ELc67ELc85EKPKS1_KPS1_EviT_T0_PT6_S7_lSA_S7_lS8_PT7_S7_li
		.amdhsa_group_segment_fixed_size 8192
		.amdhsa_private_segment_fixed_size 0
		.amdhsa_kernarg_size 124
		.amdhsa_user_sgpr_count 6
		.amdhsa_user_sgpr_private_segment_buffer 1
		.amdhsa_user_sgpr_dispatch_ptr 0
		.amdhsa_user_sgpr_queue_ptr 0
		.amdhsa_user_sgpr_kernarg_segment_ptr 1
		.amdhsa_user_sgpr_dispatch_id 0
		.amdhsa_user_sgpr_flat_scratch_init 0
		.amdhsa_user_sgpr_private_segment_size 0
		.amdhsa_uses_dynamic_stack 0
		.amdhsa_system_sgpr_private_segment_wavefront_offset 0
		.amdhsa_system_sgpr_workgroup_id_x 1
		.amdhsa_system_sgpr_workgroup_id_y 1
		.amdhsa_system_sgpr_workgroup_id_z 1
		.amdhsa_system_sgpr_workgroup_info 0
		.amdhsa_system_vgpr_workitem_id 1
		.amdhsa_next_free_vgpr 40
		.amdhsa_next_free_sgpr 61
		.amdhsa_reserve_vcc 1
		.amdhsa_reserve_flat_scratch 0
		.amdhsa_float_round_mode_32 0
		.amdhsa_float_round_mode_16_64 0
		.amdhsa_float_denorm_mode_32 3
		.amdhsa_float_denorm_mode_16_64 3
		.amdhsa_dx10_clamp 1
		.amdhsa_ieee_mode 1
		.amdhsa_fp16_overflow 0
		.amdhsa_exception_fp_ieee_invalid_op 0
		.amdhsa_exception_fp_denorm_src 0
		.amdhsa_exception_fp_ieee_div_zero 0
		.amdhsa_exception_fp_ieee_overflow 0
		.amdhsa_exception_fp_ieee_underflow 0
		.amdhsa_exception_fp_ieee_inexact 0
		.amdhsa_exception_int_div_zero 0
	.end_amdhsa_kernel
	.section	.text._ZL41rocblas_syrkx_herkx_small_restrict_kernelIl19rocblas_complex_numIdELi16ELb0ELb0ELc67ELc85EKPKS1_KPS1_EviT_T0_PT6_S7_lSA_S7_lS8_PT7_S7_li,"axG",@progbits,_ZL41rocblas_syrkx_herkx_small_restrict_kernelIl19rocblas_complex_numIdELi16ELb0ELb0ELc67ELc85EKPKS1_KPS1_EviT_T0_PT6_S7_lSA_S7_lS8_PT7_S7_li,comdat
.Lfunc_end1665:
	.size	_ZL41rocblas_syrkx_herkx_small_restrict_kernelIl19rocblas_complex_numIdELi16ELb0ELb0ELc67ELc85EKPKS1_KPS1_EviT_T0_PT6_S7_lSA_S7_lS8_PT7_S7_li, .Lfunc_end1665-_ZL41rocblas_syrkx_herkx_small_restrict_kernelIl19rocblas_complex_numIdELi16ELb0ELb0ELc67ELc85EKPKS1_KPS1_EviT_T0_PT6_S7_lSA_S7_lS8_PT7_S7_li
                                        ; -- End function
	.set _ZL41rocblas_syrkx_herkx_small_restrict_kernelIl19rocblas_complex_numIdELi16ELb0ELb0ELc67ELc85EKPKS1_KPS1_EviT_T0_PT6_S7_lSA_S7_lS8_PT7_S7_li.num_vgpr, 40
	.set _ZL41rocblas_syrkx_herkx_small_restrict_kernelIl19rocblas_complex_numIdELi16ELb0ELb0ELc67ELc85EKPKS1_KPS1_EviT_T0_PT6_S7_lSA_S7_lS8_PT7_S7_li.num_agpr, 0
	.set _ZL41rocblas_syrkx_herkx_small_restrict_kernelIl19rocblas_complex_numIdELi16ELb0ELb0ELc67ELc85EKPKS1_KPS1_EviT_T0_PT6_S7_lSA_S7_lS8_PT7_S7_li.numbered_sgpr, 32
	.set _ZL41rocblas_syrkx_herkx_small_restrict_kernelIl19rocblas_complex_numIdELi16ELb0ELb0ELc67ELc85EKPKS1_KPS1_EviT_T0_PT6_S7_lSA_S7_lS8_PT7_S7_li.num_named_barrier, 0
	.set _ZL41rocblas_syrkx_herkx_small_restrict_kernelIl19rocblas_complex_numIdELi16ELb0ELb0ELc67ELc85EKPKS1_KPS1_EviT_T0_PT6_S7_lSA_S7_lS8_PT7_S7_li.private_seg_size, 0
	.set _ZL41rocblas_syrkx_herkx_small_restrict_kernelIl19rocblas_complex_numIdELi16ELb0ELb0ELc67ELc85EKPKS1_KPS1_EviT_T0_PT6_S7_lSA_S7_lS8_PT7_S7_li.uses_vcc, 1
	.set _ZL41rocblas_syrkx_herkx_small_restrict_kernelIl19rocblas_complex_numIdELi16ELb0ELb0ELc67ELc85EKPKS1_KPS1_EviT_T0_PT6_S7_lSA_S7_lS8_PT7_S7_li.uses_flat_scratch, 0
	.set _ZL41rocblas_syrkx_herkx_small_restrict_kernelIl19rocblas_complex_numIdELi16ELb0ELb0ELc67ELc85EKPKS1_KPS1_EviT_T0_PT6_S7_lSA_S7_lS8_PT7_S7_li.has_dyn_sized_stack, 0
	.set _ZL41rocblas_syrkx_herkx_small_restrict_kernelIl19rocblas_complex_numIdELi16ELb0ELb0ELc67ELc85EKPKS1_KPS1_EviT_T0_PT6_S7_lSA_S7_lS8_PT7_S7_li.has_recursion, 0
	.set _ZL41rocblas_syrkx_herkx_small_restrict_kernelIl19rocblas_complex_numIdELi16ELb0ELb0ELc67ELc85EKPKS1_KPS1_EviT_T0_PT6_S7_lSA_S7_lS8_PT7_S7_li.has_indirect_call, 0
	.section	.AMDGPU.csdata,"",@progbits
; Kernel info:
; codeLenInByte = 1720
; TotalNumSgprs: 36
; NumVgprs: 40
; ScratchSize: 0
; MemoryBound: 0
; FloatMode: 240
; IeeeMode: 1
; LDSByteSize: 8192 bytes/workgroup (compile time only)
; SGPRBlocks: 8
; VGPRBlocks: 9
; NumSGPRsForWavesPerEU: 65
; NumVGPRsForWavesPerEU: 40
; Occupancy: 6
; WaveLimiterHint : 1
; COMPUTE_PGM_RSRC2:SCRATCH_EN: 0
; COMPUTE_PGM_RSRC2:USER_SGPR: 6
; COMPUTE_PGM_RSRC2:TRAP_HANDLER: 0
; COMPUTE_PGM_RSRC2:TGID_X_EN: 1
; COMPUTE_PGM_RSRC2:TGID_Y_EN: 1
; COMPUTE_PGM_RSRC2:TGID_Z_EN: 1
; COMPUTE_PGM_RSRC2:TIDIG_COMP_CNT: 1
	.section	.text._ZL41rocblas_syrkx_herkx_small_restrict_kernelIl19rocblas_complex_numIdELi16ELb0ELb0ELc78ELc85EKPKS1_KPS1_EviT_T0_PT6_S7_lSA_S7_lS8_PT7_S7_li,"axG",@progbits,_ZL41rocblas_syrkx_herkx_small_restrict_kernelIl19rocblas_complex_numIdELi16ELb0ELb0ELc78ELc85EKPKS1_KPS1_EviT_T0_PT6_S7_lSA_S7_lS8_PT7_S7_li,comdat
	.globl	_ZL41rocblas_syrkx_herkx_small_restrict_kernelIl19rocblas_complex_numIdELi16ELb0ELb0ELc78ELc85EKPKS1_KPS1_EviT_T0_PT6_S7_lSA_S7_lS8_PT7_S7_li ; -- Begin function _ZL41rocblas_syrkx_herkx_small_restrict_kernelIl19rocblas_complex_numIdELi16ELb0ELb0ELc78ELc85EKPKS1_KPS1_EviT_T0_PT6_S7_lSA_S7_lS8_PT7_S7_li
	.p2align	8
	.type	_ZL41rocblas_syrkx_herkx_small_restrict_kernelIl19rocblas_complex_numIdELi16ELb0ELb0ELc78ELc85EKPKS1_KPS1_EviT_T0_PT6_S7_lSA_S7_lS8_PT7_S7_li,@function
_ZL41rocblas_syrkx_herkx_small_restrict_kernelIl19rocblas_complex_numIdELi16ELb0ELb0ELc78ELc85EKPKS1_KPS1_EviT_T0_PT6_S7_lSA_S7_lS8_PT7_S7_li: ; @_ZL41rocblas_syrkx_herkx_small_restrict_kernelIl19rocblas_complex_numIdELi16ELb0ELb0ELc78ELc85EKPKS1_KPS1_EviT_T0_PT6_S7_lSA_S7_lS8_PT7_S7_li
; %bb.0:
	s_load_dwordx8 s[12:19], s[4:5], 0x50
	s_load_dwordx8 s[20:27], s[4:5], 0x8
	s_load_dwordx2 s[10:11], s[4:5], 0x28
	s_mov_b32 s9, 0
	s_lshl_b64 s[28:29], s[8:9], 3
	s_waitcnt lgkmcnt(0)
	s_add_u32 s0, s16, s28
	s_addc_u32 s1, s17, s29
	s_load_dwordx2 s[8:9], s[0:1], 0x0
	v_cmp_lt_i64_e64 s[0:1], s[20:21], 1
	v_lshl_add_u32 v2, s6, 4, v0
	v_lshl_add_u32 v4, s7, 4, v1
	s_and_b64 vcc, exec, s[0:1]
	v_ashrrev_i32_e32 v3, 31, v2
	v_ashrrev_i32_e32 v5, 31, v4
	s_cbranch_vccnz .LBB1666_6
; %bb.1:
	s_load_dwordx4 s[0:3], s[4:5], 0x38
	v_mad_u64_u32 v[10:11], s[6:7], s10, v1, 0
	v_lshlrev_b32_e32 v9, 8, v1
	v_lshlrev_b32_e32 v14, 4, v0
	s_waitcnt lgkmcnt(0)
	v_mad_u64_u32 v[6:7], s[4:5], s2, v0, 0
	s_add_u32 s0, s0, s28
	v_add_u32_e32 v15, v14, v9
	v_mad_u64_u32 v[7:8], s[6:7], s3, v0, v[7:8]
	v_add_u32_e32 v16, 0x1000, v9
	v_lshlrev_b64 v[8:9], 4, v[4:5]
	v_lshlrev_b64 v[6:7], 4, v[6:7]
	s_addc_u32 s1, s1, s29
	s_load_dwordx2 s[0:1], s[0:1], 0x0
	v_add_co_u32_e32 v8, vcc, v6, v8
	v_mov_b32_e32 v0, v11
	v_addc_co_u32_e32 v9, vcc, v7, v9, vcc
	v_mad_u64_u32 v[6:7], s[6:7], s11, v1, v[0:1]
	s_add_u32 s4, s26, s28
	s_addc_u32 s5, s27, s29
	s_load_dwordx2 s[4:5], s[4:5], 0x0
	s_waitcnt lgkmcnt(0)
	v_mov_b32_e32 v12, s1
	v_add_co_u32_e32 v0, vcc, s0, v8
	v_mov_b32_e32 v11, v6
	v_addc_co_u32_e32 v1, vcc, v12, v9, vcc
	v_lshlrev_b64 v[6:7], 4, v[10:11]
	v_lshlrev_b64 v[8:9], 4, v[2:3]
	s_lshl_b64 s[0:1], s[2:3], 8
	v_add_co_u32_e32 v6, vcc, v6, v8
	v_addc_co_u32_e32 v7, vcc, v7, v9, vcc
	v_mov_b32_e32 v8, s5
	v_add_co_u32_e32 v6, vcc, s4, v6
	v_addc_co_u32_e32 v7, vcc, v8, v7, vcc
	s_lshl_b64 s[2:3], s[10:11], 8
	v_mov_b32_e32 v10, 0
	v_mov_b32_e32 v12, 0
	;; [unrolled: 1-line block ×3, first 2 shown]
	v_add_u32_e32 v17, v16, v14
	v_mov_b32_e32 v11, 0
	s_mov_b64 s[4:5], 0
	v_mov_b32_e32 v18, s1
	v_mov_b32_e32 v19, s3
	;; [unrolled: 1-line block ×4, first 2 shown]
.LBB1666_2:                             ; =>This Inner Loop Header: Depth=1
	flat_load_dwordx4 v[20:23], v[6:7]
	s_add_u32 s4, s4, 16
	s_addc_u32 s5, s5, 0
	s_waitcnt vmcnt(0) lgkmcnt(0)
	ds_write2_b64 v15, v[20:21], v[22:23] offset1:1
	flat_load_dwordx4 v[20:23], v[0:1]
	v_add_co_u32_e32 v0, vcc, s0, v0
	v_addc_co_u32_e32 v1, vcc, v1, v18, vcc
	v_add_co_u32_e32 v6, vcc, s2, v6
	v_addc_co_u32_e32 v7, vcc, v7, v19, vcc
	v_cmp_lt_i64_e32 vcc, s[4:5], v[8:9]
	s_and_b64 vcc, exec, vcc
	s_waitcnt vmcnt(0) lgkmcnt(0)
	ds_write_b128 v17, v[20:23]
	s_waitcnt lgkmcnt(0)
	s_barrier
	ds_read_b128 v[20:23], v16
	ds_read_b128 v[24:27], v16 offset:16
	ds_read_b128 v[28:31], v16 offset:32
	;; [unrolled: 1-line block ×3, first 2 shown]
	ds_read_b128 v[36:39], v14
	s_waitcnt lgkmcnt(0)
	v_mul_f64 v[40:41], v[22:23], v[38:39]
	v_fma_f64 v[40:41], v[20:21], v[36:37], -v[40:41]
	v_mul_f64 v[20:21], v[20:21], v[38:39]
	v_fma_f64 v[20:21], v[22:23], v[36:37], v[20:21]
	v_add_f64 v[22:23], v[12:13], v[40:41]
	v_add_f64 v[20:21], v[10:11], v[20:21]
	ds_read_b128 v[10:13], v14 offset:256
	s_waitcnt lgkmcnt(0)
	v_mul_f64 v[36:37], v[26:27], v[12:13]
	v_mul_f64 v[12:13], v[24:25], v[12:13]
	v_fma_f64 v[36:37], v[24:25], v[10:11], -v[36:37]
	v_fma_f64 v[10:11], v[26:27], v[10:11], v[12:13]
	v_add_f64 v[22:23], v[22:23], v[36:37]
	v_add_f64 v[20:21], v[20:21], v[10:11]
	ds_read_b128 v[10:13], v14 offset:512
	s_waitcnt lgkmcnt(0)
	v_mul_f64 v[24:25], v[30:31], v[12:13]
	v_mul_f64 v[12:13], v[28:29], v[12:13]
	v_fma_f64 v[24:25], v[28:29], v[10:11], -v[24:25]
	;; [unrolled: 8-line block ×3, first 2 shown]
	v_fma_f64 v[10:11], v[34:35], v[10:11], v[12:13]
	v_add_f64 v[24:25], v[22:23], v[24:25]
	v_add_f64 v[26:27], v[20:21], v[10:11]
	ds_read_b128 v[10:13], v16 offset:64
	ds_read_b128 v[20:23], v14 offset:1024
	s_waitcnt lgkmcnt(0)
	v_mul_f64 v[28:29], v[12:13], v[22:23]
	v_fma_f64 v[28:29], v[10:11], v[20:21], -v[28:29]
	v_mul_f64 v[10:11], v[10:11], v[22:23]
	v_add_f64 v[24:25], v[24:25], v[28:29]
	v_fma_f64 v[10:11], v[12:13], v[20:21], v[10:11]
	v_add_f64 v[26:27], v[26:27], v[10:11]
	ds_read_b128 v[10:13], v16 offset:80
	ds_read_b128 v[20:23], v14 offset:1280
	s_waitcnt lgkmcnt(0)
	v_mul_f64 v[28:29], v[12:13], v[22:23]
	v_fma_f64 v[28:29], v[10:11], v[20:21], -v[28:29]
	v_mul_f64 v[10:11], v[10:11], v[22:23]
	v_add_f64 v[24:25], v[24:25], v[28:29]
	v_fma_f64 v[10:11], v[12:13], v[20:21], v[10:11]
	;; [unrolled: 9-line block ×11, first 2 shown]
	v_add_f64 v[26:27], v[26:27], v[10:11]
	ds_read_b128 v[10:13], v16 offset:240
	ds_read_b128 v[20:23], v14 offset:3840
	s_waitcnt lgkmcnt(0)
	s_barrier
	v_mul_f64 v[28:29], v[12:13], v[22:23]
	v_fma_f64 v[28:29], v[10:11], v[20:21], -v[28:29]
	v_mul_f64 v[10:11], v[10:11], v[22:23]
	v_fma_f64 v[10:11], v[12:13], v[20:21], v[10:11]
	v_add_f64 v[12:13], v[24:25], v[28:29]
	v_add_f64 v[10:11], v[26:27], v[10:11]
	s_cbranch_vccnz .LBB1666_2
; %bb.3:
	v_cmp_le_i32_e32 vcc, v2, v4
	s_and_saveexec_b64 s[0:1], vcc
	s_cbranch_execz .LBB1666_5
.LBB1666_4:
	v_mul_lo_u32 v6, s19, v4
	v_mul_lo_u32 v5, s18, v5
	v_mad_u64_u32 v[0:1], s[0:1], s18, v4, 0
	s_waitcnt lgkmcnt(0)
	v_mov_b32_e32 v4, s9
	v_mul_f64 v[8:9], s[22:23], v[10:11]
	v_add3_u32 v1, v1, v5, v6
	v_lshlrev_b64 v[0:1], 4, v[0:1]
	v_add_co_u32_e32 v5, vcc, s8, v0
	v_addc_co_u32_e32 v6, vcc, v4, v1, vcc
	v_lshlrev_b64 v[0:1], 4, v[2:3]
	v_fma_f64 v[8:9], s[24:25], v[12:13], v[8:9]
	v_add_co_u32_e32 v4, vcc, v5, v0
	v_addc_co_u32_e32 v5, vcc, v6, v1, vcc
	flat_load_dwordx4 v[0:3], v[4:5]
	v_mul_f64 v[6:7], s[24:25], v[10:11]
	v_fma_f64 v[6:7], s[22:23], v[12:13], -v[6:7]
	s_waitcnt vmcnt(0) lgkmcnt(0)
	v_mul_f64 v[10:11], s[14:15], v[2:3]
	v_mul_f64 v[2:3], s[12:13], v[2:3]
	v_fma_f64 v[10:11], s[12:13], v[0:1], -v[10:11]
	v_fma_f64 v[2:3], s[14:15], v[0:1], v[2:3]
	v_add_f64 v[0:1], v[6:7], v[10:11]
	v_add_f64 v[2:3], v[8:9], v[2:3]
	flat_store_dwordx4 v[4:5], v[0:3]
.LBB1666_5:
	s_endpgm
.LBB1666_6:
	v_mov_b32_e32 v10, 0
	v_mov_b32_e32 v12, 0
	;; [unrolled: 1-line block ×4, first 2 shown]
	v_cmp_le_i32_e32 vcc, v2, v4
	s_and_saveexec_b64 s[0:1], vcc
	s_cbranch_execnz .LBB1666_4
	s_branch .LBB1666_5
	.section	.rodata,"a",@progbits
	.p2align	6, 0x0
	.amdhsa_kernel _ZL41rocblas_syrkx_herkx_small_restrict_kernelIl19rocblas_complex_numIdELi16ELb0ELb0ELc78ELc85EKPKS1_KPS1_EviT_T0_PT6_S7_lSA_S7_lS8_PT7_S7_li
		.amdhsa_group_segment_fixed_size 8192
		.amdhsa_private_segment_fixed_size 0
		.amdhsa_kernarg_size 124
		.amdhsa_user_sgpr_count 6
		.amdhsa_user_sgpr_private_segment_buffer 1
		.amdhsa_user_sgpr_dispatch_ptr 0
		.amdhsa_user_sgpr_queue_ptr 0
		.amdhsa_user_sgpr_kernarg_segment_ptr 1
		.amdhsa_user_sgpr_dispatch_id 0
		.amdhsa_user_sgpr_flat_scratch_init 0
		.amdhsa_user_sgpr_private_segment_size 0
		.amdhsa_uses_dynamic_stack 0
		.amdhsa_system_sgpr_private_segment_wavefront_offset 0
		.amdhsa_system_sgpr_workgroup_id_x 1
		.amdhsa_system_sgpr_workgroup_id_y 1
		.amdhsa_system_sgpr_workgroup_id_z 1
		.amdhsa_system_sgpr_workgroup_info 0
		.amdhsa_system_vgpr_workitem_id 1
		.amdhsa_next_free_vgpr 42
		.amdhsa_next_free_sgpr 61
		.amdhsa_reserve_vcc 1
		.amdhsa_reserve_flat_scratch 0
		.amdhsa_float_round_mode_32 0
		.amdhsa_float_round_mode_16_64 0
		.amdhsa_float_denorm_mode_32 3
		.amdhsa_float_denorm_mode_16_64 3
		.amdhsa_dx10_clamp 1
		.amdhsa_ieee_mode 1
		.amdhsa_fp16_overflow 0
		.amdhsa_exception_fp_ieee_invalid_op 0
		.amdhsa_exception_fp_denorm_src 0
		.amdhsa_exception_fp_ieee_div_zero 0
		.amdhsa_exception_fp_ieee_overflow 0
		.amdhsa_exception_fp_ieee_underflow 0
		.amdhsa_exception_fp_ieee_inexact 0
		.amdhsa_exception_int_div_zero 0
	.end_amdhsa_kernel
	.section	.text._ZL41rocblas_syrkx_herkx_small_restrict_kernelIl19rocblas_complex_numIdELi16ELb0ELb0ELc78ELc85EKPKS1_KPS1_EviT_T0_PT6_S7_lSA_S7_lS8_PT7_S7_li,"axG",@progbits,_ZL41rocblas_syrkx_herkx_small_restrict_kernelIl19rocblas_complex_numIdELi16ELb0ELb0ELc78ELc85EKPKS1_KPS1_EviT_T0_PT6_S7_lSA_S7_lS8_PT7_S7_li,comdat
.Lfunc_end1666:
	.size	_ZL41rocblas_syrkx_herkx_small_restrict_kernelIl19rocblas_complex_numIdELi16ELb0ELb0ELc78ELc85EKPKS1_KPS1_EviT_T0_PT6_S7_lSA_S7_lS8_PT7_S7_li, .Lfunc_end1666-_ZL41rocblas_syrkx_herkx_small_restrict_kernelIl19rocblas_complex_numIdELi16ELb0ELb0ELc78ELc85EKPKS1_KPS1_EviT_T0_PT6_S7_lSA_S7_lS8_PT7_S7_li
                                        ; -- End function
	.set _ZL41rocblas_syrkx_herkx_small_restrict_kernelIl19rocblas_complex_numIdELi16ELb0ELb0ELc78ELc85EKPKS1_KPS1_EviT_T0_PT6_S7_lSA_S7_lS8_PT7_S7_li.num_vgpr, 42
	.set _ZL41rocblas_syrkx_herkx_small_restrict_kernelIl19rocblas_complex_numIdELi16ELb0ELb0ELc78ELc85EKPKS1_KPS1_EviT_T0_PT6_S7_lSA_S7_lS8_PT7_S7_li.num_agpr, 0
	.set _ZL41rocblas_syrkx_herkx_small_restrict_kernelIl19rocblas_complex_numIdELi16ELb0ELb0ELc78ELc85EKPKS1_KPS1_EviT_T0_PT6_S7_lSA_S7_lS8_PT7_S7_li.numbered_sgpr, 30
	.set _ZL41rocblas_syrkx_herkx_small_restrict_kernelIl19rocblas_complex_numIdELi16ELb0ELb0ELc78ELc85EKPKS1_KPS1_EviT_T0_PT6_S7_lSA_S7_lS8_PT7_S7_li.num_named_barrier, 0
	.set _ZL41rocblas_syrkx_herkx_small_restrict_kernelIl19rocblas_complex_numIdELi16ELb0ELb0ELc78ELc85EKPKS1_KPS1_EviT_T0_PT6_S7_lSA_S7_lS8_PT7_S7_li.private_seg_size, 0
	.set _ZL41rocblas_syrkx_herkx_small_restrict_kernelIl19rocblas_complex_numIdELi16ELb0ELb0ELc78ELc85EKPKS1_KPS1_EviT_T0_PT6_S7_lSA_S7_lS8_PT7_S7_li.uses_vcc, 1
	.set _ZL41rocblas_syrkx_herkx_small_restrict_kernelIl19rocblas_complex_numIdELi16ELb0ELb0ELc78ELc85EKPKS1_KPS1_EviT_T0_PT6_S7_lSA_S7_lS8_PT7_S7_li.uses_flat_scratch, 0
	.set _ZL41rocblas_syrkx_herkx_small_restrict_kernelIl19rocblas_complex_numIdELi16ELb0ELb0ELc78ELc85EKPKS1_KPS1_EviT_T0_PT6_S7_lSA_S7_lS8_PT7_S7_li.has_dyn_sized_stack, 0
	.set _ZL41rocblas_syrkx_herkx_small_restrict_kernelIl19rocblas_complex_numIdELi16ELb0ELb0ELc78ELc85EKPKS1_KPS1_EviT_T0_PT6_S7_lSA_S7_lS8_PT7_S7_li.has_recursion, 0
	.set _ZL41rocblas_syrkx_herkx_small_restrict_kernelIl19rocblas_complex_numIdELi16ELb0ELb0ELc78ELc85EKPKS1_KPS1_EviT_T0_PT6_S7_lSA_S7_lS8_PT7_S7_li.has_indirect_call, 0
	.section	.AMDGPU.csdata,"",@progbits
; Kernel info:
; codeLenInByte = 1716
; TotalNumSgprs: 34
; NumVgprs: 42
; ScratchSize: 0
; MemoryBound: 0
; FloatMode: 240
; IeeeMode: 1
; LDSByteSize: 8192 bytes/workgroup (compile time only)
; SGPRBlocks: 8
; VGPRBlocks: 10
; NumSGPRsForWavesPerEU: 65
; NumVGPRsForWavesPerEU: 42
; Occupancy: 5
; WaveLimiterHint : 1
; COMPUTE_PGM_RSRC2:SCRATCH_EN: 0
; COMPUTE_PGM_RSRC2:USER_SGPR: 6
; COMPUTE_PGM_RSRC2:TRAP_HANDLER: 0
; COMPUTE_PGM_RSRC2:TGID_X_EN: 1
; COMPUTE_PGM_RSRC2:TGID_Y_EN: 1
; COMPUTE_PGM_RSRC2:TGID_Z_EN: 1
; COMPUTE_PGM_RSRC2:TIDIG_COMP_CNT: 1
	.section	.text._ZL32rocblas_syrkx_herkx_small_kernelIl19rocblas_complex_numIdELi16ELb1ELb0ELc84ELc76EKPKS1_KPS1_EviT_T0_PT6_S7_lSA_S7_lS8_PT7_S7_li,"axG",@progbits,_ZL32rocblas_syrkx_herkx_small_kernelIl19rocblas_complex_numIdELi16ELb1ELb0ELc84ELc76EKPKS1_KPS1_EviT_T0_PT6_S7_lSA_S7_lS8_PT7_S7_li,comdat
	.globl	_ZL32rocblas_syrkx_herkx_small_kernelIl19rocblas_complex_numIdELi16ELb1ELb0ELc84ELc76EKPKS1_KPS1_EviT_T0_PT6_S7_lSA_S7_lS8_PT7_S7_li ; -- Begin function _ZL32rocblas_syrkx_herkx_small_kernelIl19rocblas_complex_numIdELi16ELb1ELb0ELc84ELc76EKPKS1_KPS1_EviT_T0_PT6_S7_lSA_S7_lS8_PT7_S7_li
	.p2align	8
	.type	_ZL32rocblas_syrkx_herkx_small_kernelIl19rocblas_complex_numIdELi16ELb1ELb0ELc84ELc76EKPKS1_KPS1_EviT_T0_PT6_S7_lSA_S7_lS8_PT7_S7_li,@function
_ZL32rocblas_syrkx_herkx_small_kernelIl19rocblas_complex_numIdELi16ELb1ELb0ELc84ELc76EKPKS1_KPS1_EviT_T0_PT6_S7_lSA_S7_lS8_PT7_S7_li: ; @_ZL32rocblas_syrkx_herkx_small_kernelIl19rocblas_complex_numIdELi16ELb1ELb0ELc84ELc76EKPKS1_KPS1_EviT_T0_PT6_S7_lSA_S7_lS8_PT7_S7_li
; %bb.0:
	s_load_dwordx2 s[10:11], s[4:5], 0x28
	s_load_dwordx4 s[20:23], s[4:5], 0x60
	s_load_dword s24, s[4:5], 0x0
	s_load_dwordx8 s[12:19], s[4:5], 0x8
	s_mov_b32 s9, 0
	s_lshl_b64 s[2:3], s[8:9], 3
	s_waitcnt lgkmcnt(0)
	s_add_u32 s0, s20, s2
	s_addc_u32 s1, s21, s3
	s_load_dwordx2 s[8:9], s[0:1], 0x0
	v_cmp_lt_i64_e64 s[0:1], s[12:13], 1
	v_lshl_add_u32 v6, s6, 4, v0
	v_lshl_add_u32 v18, s7, 4, v1
	s_and_b64 vcc, exec, s[0:1]
	v_cmp_gt_i32_e64 s[0:1], s24, v6
	v_ashrrev_i32_e32 v7, 31, v6
	v_ashrrev_i32_e32 v19, 31, v18
	s_cbranch_vccnz .LBB1667_11
; %bb.1:
	s_load_dwordx4 s[28:31], s[4:5], 0x38
	v_lshlrev_b32_e32 v5, 8, v1
	v_lshlrev_b32_e32 v20, 4, v0
	v_add_u32_e32 v21, v20, v5
	v_add_u32_e32 v22, 0x1000, v5
	s_waitcnt lgkmcnt(0)
	s_add_u32 s4, s28, s2
	s_addc_u32 s5, s29, s3
	s_add_u32 s2, s18, s2
	s_addc_u32 s3, s19, s3
	s_load_dwordx2 s[6:7], s[2:3], 0x0
	v_mul_lo_u32 v8, s31, v18
	v_mul_lo_u32 v9, s30, v19
	v_mad_u64_u32 v[3:4], s[2:3], s30, v18, 0
	s_load_dwordx2 s[4:5], s[4:5], 0x0
	v_mul_lo_u32 v11, s11, v6
	v_add3_u32 v4, v4, v9, v8
	v_lshlrev_b64 v[3:4], 4, v[3:4]
	v_mul_lo_u32 v12, s10, v7
	v_add_co_u32_e64 v5, s[2:3], v3, v20
	v_addc_co_u32_e64 v9, s[2:3], 0, v4, s[2:3]
	v_mad_u64_u32 v[3:4], s[2:3], s10, v6, 0
	s_waitcnt lgkmcnt(0)
	v_mov_b32_e32 v10, s5
	v_add_co_u32_e64 v8, s[2:3], s4, v5
	v_add3_u32 v4, v4, v12, v11
	v_lshlrev_b64 v[3:4], 4, v[3:4]
	v_addc_co_u32_e64 v9, s[2:3], v10, v9, s[2:3]
	v_lshlrev_b32_e32 v5, 4, v1
	v_add_co_u32_e64 v3, s[2:3], v3, v5
	v_addc_co_u32_e64 v4, s[2:3], 0, v4, s[2:3]
	v_mov_b32_e32 v5, s7
	v_add_co_u32_e64 v10, s[2:3], s6, v3
	v_cmp_gt_i32_e32 vcc, s24, v18
	v_addc_co_u32_e64 v11, s[2:3], v5, v4, s[2:3]
	v_mov_b32_e32 v14, 0
	v_mov_b32_e32 v16, 0
	;; [unrolled: 1-line block ×4, first 2 shown]
	v_add_u32_e32 v23, v22, v20
	v_mov_b32_e32 v15, 0
	s_mov_b64 s[2:3], 0
	s_xor_b64 s[4:5], s[0:1], -1
	s_xor_b64 s[6:7], vcc, -1
	v_mov_b32_e32 v17, 0
	v_mov_b32_e32 v13, s13
	s_branch .LBB1667_3
.LBB1667_2:                             ;   in Loop: Header=BB1667_3 Depth=1
	s_or_b64 exec, exec, s[0:1]
	s_waitcnt lgkmcnt(0)
	s_barrier
	ds_read_b128 v[24:27], v20
	ds_read_b128 v[28:31], v22
	ds_read_b128 v[32:35], v22 offset:16
	ds_read_b128 v[36:39], v20 offset:256
	s_add_u32 s2, s2, 16
	v_add_co_u32_e32 v8, vcc, 0x100, v8
	s_waitcnt lgkmcnt(2)
	v_mul_f64 v[3:4], v[30:31], v[26:27]
	v_mul_f64 v[26:27], v[28:29], v[26:27]
	s_waitcnt lgkmcnt(0)
	v_mul_f64 v[46:47], v[34:35], v[38:39]
	v_mul_f64 v[48:49], v[32:33], v[38:39]
	ds_read_b128 v[38:41], v20 offset:512
	s_addc_u32 s3, s3, 0
	v_addc_co_u32_e32 v9, vcc, 0, v9, vcc
	v_fma_f64 v[3:4], v[28:29], v[24:25], -v[3:4]
	v_fma_f64 v[50:51], v[30:31], v[24:25], v[26:27]
	ds_read_b128 v[24:27], v22 offset:32
	ds_read_b128 v[28:31], v22 offset:48
	;; [unrolled: 1-line block ×3, first 2 shown]
	v_fma_f64 v[32:33], v[32:33], v[36:37], -v[46:47]
	v_fma_f64 v[34:35], v[34:35], v[36:37], v[48:49]
	s_waitcnt lgkmcnt(2)
	v_mul_f64 v[36:37], v[26:27], v[40:41]
	v_mul_f64 v[40:41], v[24:25], v[40:41]
	s_waitcnt lgkmcnt(0)
	v_mul_f64 v[48:49], v[30:31], v[44:45]
	v_add_f64 v[3:4], v[16:17], v[3:4]
	v_add_f64 v[46:47], v[14:15], v[50:51]
	v_mul_f64 v[44:45], v[28:29], v[44:45]
	ds_read_b128 v[14:17], v20 offset:1024
	v_add_co_u32_e32 v10, vcc, 0x100, v10
	v_fma_f64 v[50:51], v[24:25], v[38:39], -v[36:37]
	v_fma_f64 v[40:41], v[26:27], v[38:39], v[40:41]
	v_add_f64 v[3:4], v[3:4], v[32:33]
	v_add_f64 v[46:47], v[46:47], v[34:35]
	ds_read_b128 v[24:27], v22 offset:64
	ds_read_b128 v[32:35], v22 offset:80
	ds_read_b128 v[36:39], v20 offset:1280
	v_fma_f64 v[48:49], v[28:29], v[42:43], -v[48:49]
	v_fma_f64 v[42:43], v[30:31], v[42:43], v[44:45]
	s_waitcnt lgkmcnt(2)
	v_mul_f64 v[44:45], v[26:27], v[16:17]
	v_mul_f64 v[16:17], v[24:25], v[16:17]
	ds_read_b128 v[28:31], v20 offset:1536
	v_add_f64 v[3:4], v[3:4], v[50:51]
	v_add_f64 v[40:41], v[46:47], v[40:41]
	s_waitcnt lgkmcnt(1)
	v_mul_f64 v[46:47], v[34:35], v[38:39]
	v_mul_f64 v[50:51], v[32:33], v[38:39]
	v_cmp_ge_i64_e64 s[0:1], s[2:3], v[12:13]
	v_fma_f64 v[44:45], v[24:25], v[14:15], -v[44:45]
	v_fma_f64 v[52:53], v[26:27], v[14:15], v[16:17]
	v_addc_co_u32_e32 v11, vcc, 0, v11, vcc
	v_add_f64 v[3:4], v[3:4], v[48:49]
	v_add_f64 v[42:43], v[40:41], v[42:43]
	ds_read_b128 v[14:17], v22 offset:96
	ds_read_b128 v[24:27], v22 offset:112
	;; [unrolled: 1-line block ×3, first 2 shown]
	v_fma_f64 v[46:47], v[32:33], v[36:37], -v[46:47]
	v_fma_f64 v[34:35], v[34:35], v[36:37], v[50:51]
	s_waitcnt lgkmcnt(2)
	v_mul_f64 v[36:37], v[16:17], v[30:31]
	v_mul_f64 v[48:49], v[14:15], v[30:31]
	s_waitcnt lgkmcnt(0)
	v_mul_f64 v[50:51], v[24:25], v[40:41]
	v_add_f64 v[3:4], v[3:4], v[44:45]
	v_add_f64 v[42:43], v[42:43], v[52:53]
	v_mul_f64 v[44:45], v[26:27], v[40:41]
	ds_read_b128 v[30:33], v20 offset:2048
	s_and_b64 vcc, exec, s[0:1]
	v_fma_f64 v[52:53], v[14:15], v[28:29], -v[36:37]
	v_fma_f64 v[28:29], v[16:17], v[28:29], v[48:49]
	v_add_f64 v[3:4], v[3:4], v[46:47]
	v_add_f64 v[46:47], v[42:43], v[34:35]
	ds_read_b128 v[14:17], v22 offset:128
	ds_read_b128 v[34:37], v22 offset:144
	ds_read_b128 v[40:43], v20 offset:2304
	v_fma_f64 v[44:45], v[24:25], v[38:39], -v[44:45]
	v_fma_f64 v[38:39], v[26:27], v[38:39], v[50:51]
	s_waitcnt lgkmcnt(2)
	v_mul_f64 v[48:49], v[16:17], v[32:33]
	v_mul_f64 v[32:33], v[14:15], v[32:33]
	s_waitcnt lgkmcnt(0)
	v_mul_f64 v[50:51], v[34:35], v[42:43]
	v_add_f64 v[3:4], v[3:4], v[52:53]
	v_add_f64 v[28:29], v[46:47], v[28:29]
	v_mul_f64 v[46:47], v[36:37], v[42:43]
	ds_read_b128 v[24:27], v20 offset:2560
	v_fma_f64 v[48:49], v[14:15], v[30:31], -v[48:49]
	v_fma_f64 v[32:33], v[16:17], v[30:31], v[32:33]
	v_fma_f64 v[36:37], v[36:37], v[40:41], v[50:51]
	v_add_f64 v[3:4], v[3:4], v[44:45]
	v_add_f64 v[38:39], v[28:29], v[38:39]
	ds_read_b128 v[14:17], v22 offset:160
	ds_read_b128 v[28:31], v22 offset:176
	;; [unrolled: 1-line block ×3, first 2 shown]
	v_fma_f64 v[46:47], v[34:35], v[40:41], -v[46:47]
	s_waitcnt lgkmcnt(2)
	v_mul_f64 v[40:41], v[16:17], v[26:27]
	v_mul_f64 v[26:27], v[14:15], v[26:27]
	v_add_f64 v[3:4], v[3:4], v[48:49]
	v_add_f64 v[38:39], v[38:39], v[32:33]
	s_waitcnt lgkmcnt(0)
	v_mul_f64 v[48:49], v[30:31], v[44:45]
	v_mul_f64 v[44:45], v[28:29], v[44:45]
	ds_read_b128 v[32:35], v20 offset:3072
	v_fma_f64 v[40:41], v[14:15], v[24:25], -v[40:41]
	v_fma_f64 v[50:51], v[16:17], v[24:25], v[26:27]
	v_add_f64 v[3:4], v[3:4], v[46:47]
	v_add_f64 v[46:47], v[38:39], v[36:37]
	ds_read_b128 v[14:17], v22 offset:192
	ds_read_b128 v[24:27], v22 offset:208
	;; [unrolled: 1-line block ×3, first 2 shown]
	v_fma_f64 v[48:49], v[28:29], v[42:43], -v[48:49]
	v_fma_f64 v[42:43], v[30:31], v[42:43], v[44:45]
	s_waitcnt lgkmcnt(2)
	v_mul_f64 v[44:45], v[16:17], v[34:35]
	v_mul_f64 v[34:35], v[14:15], v[34:35]
	ds_read_b128 v[28:31], v20 offset:3584
	v_add_f64 v[3:4], v[3:4], v[40:41]
	v_add_f64 v[40:41], v[46:47], v[50:51]
	s_waitcnt lgkmcnt(1)
	v_mul_f64 v[46:47], v[26:27], v[38:39]
	v_mul_f64 v[50:51], v[24:25], v[38:39]
	v_fma_f64 v[44:45], v[14:15], v[32:33], -v[44:45]
	v_fma_f64 v[52:53], v[16:17], v[32:33], v[34:35]
	v_add_f64 v[3:4], v[3:4], v[48:49]
	v_add_f64 v[42:43], v[40:41], v[42:43]
	ds_read_b128 v[14:17], v22 offset:224
	ds_read_b128 v[32:35], v22 offset:240
	;; [unrolled: 1-line block ×3, first 2 shown]
	v_fma_f64 v[24:25], v[24:25], v[36:37], -v[46:47]
	v_fma_f64 v[26:27], v[26:27], v[36:37], v[50:51]
	s_waitcnt lgkmcnt(2)
	v_mul_f64 v[36:37], v[16:17], v[30:31]
	v_mul_f64 v[30:31], v[14:15], v[30:31]
	s_waitcnt lgkmcnt(0)
	v_add_f64 v[3:4], v[3:4], v[44:45]
	v_add_f64 v[42:43], v[42:43], v[52:53]
	v_mul_f64 v[44:45], v[34:35], v[40:41]
	v_mul_f64 v[40:41], v[32:33], v[40:41]
	s_barrier
	v_fma_f64 v[14:15], v[14:15], v[28:29], -v[36:37]
	v_fma_f64 v[16:17], v[16:17], v[28:29], v[30:31]
	v_add_f64 v[3:4], v[3:4], v[24:25]
	v_add_f64 v[24:25], v[42:43], v[26:27]
	v_fma_f64 v[26:27], v[32:33], v[38:39], -v[44:45]
	v_fma_f64 v[28:29], v[34:35], v[38:39], v[40:41]
	v_add_f64 v[3:4], v[3:4], v[14:15]
	v_add_f64 v[14:15], v[24:25], v[16:17]
	;; [unrolled: 1-line block ×4, first 2 shown]
	s_cbranch_vccnz .LBB1667_12
.LBB1667_3:                             ; =>This Inner Loop Header: Depth=1
	v_mov_b32_e32 v4, s3
	v_add_co_u32_e32 v3, vcc, s2, v1
	v_addc_co_u32_e32 v4, vcc, 0, v4, vcc
	v_cmp_le_i64_e32 vcc, s[12:13], v[3:4]
	s_or_b64 s[0:1], s[4:5], vcc
	s_and_saveexec_b64 s[10:11], s[0:1]
	s_xor_b64 s[0:1], exec, s[10:11]
; %bb.4:                                ;   in Loop: Header=BB1667_3 Depth=1
	v_mov_b32_e32 v3, v2
	v_mov_b32_e32 v4, v2
	v_mov_b32_e32 v5, v2
	ds_write_b128 v21, v[2:5]
; %bb.5:                                ;   in Loop: Header=BB1667_3 Depth=1
	s_andn2_saveexec_b64 s[0:1], s[0:1]
	s_cbranch_execz .LBB1667_7
; %bb.6:                                ;   in Loop: Header=BB1667_3 Depth=1
	flat_load_dwordx4 v[24:27], v[10:11]
	s_waitcnt vmcnt(0) lgkmcnt(0)
	ds_write2_b64 v21, v[24:25], v[26:27] offset1:1
.LBB1667_7:                             ;   in Loop: Header=BB1667_3 Depth=1
	s_or_b64 exec, exec, s[0:1]
	v_mov_b32_e32 v4, s3
	v_add_co_u32_e32 v3, vcc, s2, v0
	v_addc_co_u32_e32 v4, vcc, 0, v4, vcc
	v_cmp_le_i64_e32 vcc, s[12:13], v[3:4]
	s_or_b64 s[0:1], s[6:7], vcc
	s_and_saveexec_b64 s[10:11], s[0:1]
	s_xor_b64 s[0:1], exec, s[10:11]
; %bb.8:                                ;   in Loop: Header=BB1667_3 Depth=1
	v_mov_b32_e32 v3, v2
	v_mov_b32_e32 v4, v2
	;; [unrolled: 1-line block ×3, first 2 shown]
	ds_write_b128 v23, v[2:5]
; %bb.9:                                ;   in Loop: Header=BB1667_3 Depth=1
	s_andn2_saveexec_b64 s[0:1], s[0:1]
	s_cbranch_execz .LBB1667_2
; %bb.10:                               ;   in Loop: Header=BB1667_3 Depth=1
	flat_load_dwordx4 v[24:27], v[8:9]
	s_waitcnt vmcnt(0) lgkmcnt(0)
	ds_write2_b64 v23, v[24:25], v[26:27] offset1:1
	s_branch .LBB1667_2
.LBB1667_11:
	v_mov_b32_e32 v14, 0
	v_mov_b32_e32 v16, 0
	;; [unrolled: 1-line block ×4, first 2 shown]
.LBB1667_12:
	v_cmp_le_i32_e32 vcc, v18, v6
	v_cmp_gt_i32_e64 s[0:1], s24, v6
	s_and_b64 s[0:1], vcc, s[0:1]
	s_and_saveexec_b64 s[2:3], s[0:1]
	s_cbranch_execz .LBB1667_14
; %bb.13:
	v_mul_f64 v[0:1], s[16:17], v[14:15]
	v_mul_f64 v[2:3], s[14:15], v[14:15]
	v_mul_lo_u32 v8, s23, v18
	v_mul_lo_u32 v9, s22, v19
	v_mad_u64_u32 v[4:5], s[0:1], s22, v18, 0
	v_add3_u32 v5, v5, v9, v8
	v_fma_f64 v[0:1], s[14:15], v[16:17], -v[0:1]
	v_fma_f64 v[2:3], s[16:17], v[16:17], v[2:3]
	v_lshlrev_b64 v[4:5], 4, v[4:5]
	s_waitcnt lgkmcnt(0)
	v_mov_b32_e32 v8, s9
	v_add_co_u32_e32 v9, vcc, s8, v4
	v_addc_co_u32_e32 v8, vcc, v8, v5, vcc
	v_lshlrev_b64 v[4:5], 4, v[6:7]
	v_add_co_u32_e32 v4, vcc, v9, v4
	v_addc_co_u32_e32 v5, vcc, v8, v5, vcc
	flat_store_dwordx4 v[4:5], v[0:3]
.LBB1667_14:
	s_endpgm
	.section	.rodata,"a",@progbits
	.p2align	6, 0x0
	.amdhsa_kernel _ZL32rocblas_syrkx_herkx_small_kernelIl19rocblas_complex_numIdELi16ELb1ELb0ELc84ELc76EKPKS1_KPS1_EviT_T0_PT6_S7_lSA_S7_lS8_PT7_S7_li
		.amdhsa_group_segment_fixed_size 8192
		.amdhsa_private_segment_fixed_size 0
		.amdhsa_kernarg_size 124
		.amdhsa_user_sgpr_count 6
		.amdhsa_user_sgpr_private_segment_buffer 1
		.amdhsa_user_sgpr_dispatch_ptr 0
		.amdhsa_user_sgpr_queue_ptr 0
		.amdhsa_user_sgpr_kernarg_segment_ptr 1
		.amdhsa_user_sgpr_dispatch_id 0
		.amdhsa_user_sgpr_flat_scratch_init 0
		.amdhsa_user_sgpr_private_segment_size 0
		.amdhsa_uses_dynamic_stack 0
		.amdhsa_system_sgpr_private_segment_wavefront_offset 0
		.amdhsa_system_sgpr_workgroup_id_x 1
		.amdhsa_system_sgpr_workgroup_id_y 1
		.amdhsa_system_sgpr_workgroup_id_z 1
		.amdhsa_system_sgpr_workgroup_info 0
		.amdhsa_system_vgpr_workitem_id 1
		.amdhsa_next_free_vgpr 54
		.amdhsa_next_free_sgpr 61
		.amdhsa_reserve_vcc 1
		.amdhsa_reserve_flat_scratch 0
		.amdhsa_float_round_mode_32 0
		.amdhsa_float_round_mode_16_64 0
		.amdhsa_float_denorm_mode_32 3
		.amdhsa_float_denorm_mode_16_64 3
		.amdhsa_dx10_clamp 1
		.amdhsa_ieee_mode 1
		.amdhsa_fp16_overflow 0
		.amdhsa_exception_fp_ieee_invalid_op 0
		.amdhsa_exception_fp_denorm_src 0
		.amdhsa_exception_fp_ieee_div_zero 0
		.amdhsa_exception_fp_ieee_overflow 0
		.amdhsa_exception_fp_ieee_underflow 0
		.amdhsa_exception_fp_ieee_inexact 0
		.amdhsa_exception_int_div_zero 0
	.end_amdhsa_kernel
	.section	.text._ZL32rocblas_syrkx_herkx_small_kernelIl19rocblas_complex_numIdELi16ELb1ELb0ELc84ELc76EKPKS1_KPS1_EviT_T0_PT6_S7_lSA_S7_lS8_PT7_S7_li,"axG",@progbits,_ZL32rocblas_syrkx_herkx_small_kernelIl19rocblas_complex_numIdELi16ELb1ELb0ELc84ELc76EKPKS1_KPS1_EviT_T0_PT6_S7_lSA_S7_lS8_PT7_S7_li,comdat
.Lfunc_end1667:
	.size	_ZL32rocblas_syrkx_herkx_small_kernelIl19rocblas_complex_numIdELi16ELb1ELb0ELc84ELc76EKPKS1_KPS1_EviT_T0_PT6_S7_lSA_S7_lS8_PT7_S7_li, .Lfunc_end1667-_ZL32rocblas_syrkx_herkx_small_kernelIl19rocblas_complex_numIdELi16ELb1ELb0ELc84ELc76EKPKS1_KPS1_EviT_T0_PT6_S7_lSA_S7_lS8_PT7_S7_li
                                        ; -- End function
	.set _ZL32rocblas_syrkx_herkx_small_kernelIl19rocblas_complex_numIdELi16ELb1ELb0ELc84ELc76EKPKS1_KPS1_EviT_T0_PT6_S7_lSA_S7_lS8_PT7_S7_li.num_vgpr, 54
	.set _ZL32rocblas_syrkx_herkx_small_kernelIl19rocblas_complex_numIdELi16ELb1ELb0ELc84ELc76EKPKS1_KPS1_EviT_T0_PT6_S7_lSA_S7_lS8_PT7_S7_li.num_agpr, 0
	.set _ZL32rocblas_syrkx_herkx_small_kernelIl19rocblas_complex_numIdELi16ELb1ELb0ELc84ELc76EKPKS1_KPS1_EviT_T0_PT6_S7_lSA_S7_lS8_PT7_S7_li.numbered_sgpr, 32
	.set _ZL32rocblas_syrkx_herkx_small_kernelIl19rocblas_complex_numIdELi16ELb1ELb0ELc84ELc76EKPKS1_KPS1_EviT_T0_PT6_S7_lSA_S7_lS8_PT7_S7_li.num_named_barrier, 0
	.set _ZL32rocblas_syrkx_herkx_small_kernelIl19rocblas_complex_numIdELi16ELb1ELb0ELc84ELc76EKPKS1_KPS1_EviT_T0_PT6_S7_lSA_S7_lS8_PT7_S7_li.private_seg_size, 0
	.set _ZL32rocblas_syrkx_herkx_small_kernelIl19rocblas_complex_numIdELi16ELb1ELb0ELc84ELc76EKPKS1_KPS1_EviT_T0_PT6_S7_lSA_S7_lS8_PT7_S7_li.uses_vcc, 1
	.set _ZL32rocblas_syrkx_herkx_small_kernelIl19rocblas_complex_numIdELi16ELb1ELb0ELc84ELc76EKPKS1_KPS1_EviT_T0_PT6_S7_lSA_S7_lS8_PT7_S7_li.uses_flat_scratch, 0
	.set _ZL32rocblas_syrkx_herkx_small_kernelIl19rocblas_complex_numIdELi16ELb1ELb0ELc84ELc76EKPKS1_KPS1_EviT_T0_PT6_S7_lSA_S7_lS8_PT7_S7_li.has_dyn_sized_stack, 0
	.set _ZL32rocblas_syrkx_herkx_small_kernelIl19rocblas_complex_numIdELi16ELb1ELb0ELc84ELc76EKPKS1_KPS1_EviT_T0_PT6_S7_lSA_S7_lS8_PT7_S7_li.has_recursion, 0
	.set _ZL32rocblas_syrkx_herkx_small_kernelIl19rocblas_complex_numIdELi16ELb1ELb0ELc84ELc76EKPKS1_KPS1_EviT_T0_PT6_S7_lSA_S7_lS8_PT7_S7_li.has_indirect_call, 0
	.section	.AMDGPU.csdata,"",@progbits
; Kernel info:
; codeLenInByte = 1852
; TotalNumSgprs: 36
; NumVgprs: 54
; ScratchSize: 0
; MemoryBound: 0
; FloatMode: 240
; IeeeMode: 1
; LDSByteSize: 8192 bytes/workgroup (compile time only)
; SGPRBlocks: 8
; VGPRBlocks: 13
; NumSGPRsForWavesPerEU: 65
; NumVGPRsForWavesPerEU: 54
; Occupancy: 4
; WaveLimiterHint : 1
; COMPUTE_PGM_RSRC2:SCRATCH_EN: 0
; COMPUTE_PGM_RSRC2:USER_SGPR: 6
; COMPUTE_PGM_RSRC2:TRAP_HANDLER: 0
; COMPUTE_PGM_RSRC2:TGID_X_EN: 1
; COMPUTE_PGM_RSRC2:TGID_Y_EN: 1
; COMPUTE_PGM_RSRC2:TGID_Z_EN: 1
; COMPUTE_PGM_RSRC2:TIDIG_COMP_CNT: 1
	.section	.text._ZL32rocblas_syrkx_herkx_small_kernelIl19rocblas_complex_numIdELi16ELb1ELb0ELc67ELc76EKPKS1_KPS1_EviT_T0_PT6_S7_lSA_S7_lS8_PT7_S7_li,"axG",@progbits,_ZL32rocblas_syrkx_herkx_small_kernelIl19rocblas_complex_numIdELi16ELb1ELb0ELc67ELc76EKPKS1_KPS1_EviT_T0_PT6_S7_lSA_S7_lS8_PT7_S7_li,comdat
	.globl	_ZL32rocblas_syrkx_herkx_small_kernelIl19rocblas_complex_numIdELi16ELb1ELb0ELc67ELc76EKPKS1_KPS1_EviT_T0_PT6_S7_lSA_S7_lS8_PT7_S7_li ; -- Begin function _ZL32rocblas_syrkx_herkx_small_kernelIl19rocblas_complex_numIdELi16ELb1ELb0ELc67ELc76EKPKS1_KPS1_EviT_T0_PT6_S7_lSA_S7_lS8_PT7_S7_li
	.p2align	8
	.type	_ZL32rocblas_syrkx_herkx_small_kernelIl19rocblas_complex_numIdELi16ELb1ELb0ELc67ELc76EKPKS1_KPS1_EviT_T0_PT6_S7_lSA_S7_lS8_PT7_S7_li,@function
_ZL32rocblas_syrkx_herkx_small_kernelIl19rocblas_complex_numIdELi16ELb1ELb0ELc67ELc76EKPKS1_KPS1_EviT_T0_PT6_S7_lSA_S7_lS8_PT7_S7_li: ; @_ZL32rocblas_syrkx_herkx_small_kernelIl19rocblas_complex_numIdELi16ELb1ELb0ELc67ELc76EKPKS1_KPS1_EviT_T0_PT6_S7_lSA_S7_lS8_PT7_S7_li
; %bb.0:
	s_load_dwordx2 s[10:11], s[4:5], 0x28
	s_load_dwordx4 s[20:23], s[4:5], 0x60
	s_load_dword s24, s[4:5], 0x0
	s_load_dwordx8 s[12:19], s[4:5], 0x8
	s_mov_b32 s9, 0
	s_lshl_b64 s[2:3], s[8:9], 3
	s_waitcnt lgkmcnt(0)
	s_add_u32 s0, s20, s2
	s_addc_u32 s1, s21, s3
	s_load_dwordx2 s[8:9], s[0:1], 0x0
	v_cmp_lt_i64_e64 s[0:1], s[12:13], 1
	v_lshl_add_u32 v7, s6, 4, v0
	v_lshl_add_u32 v19, s7, 4, v1
	s_and_b64 vcc, exec, s[0:1]
	v_cmp_gt_i32_e64 s[0:1], s24, v7
	v_ashrrev_i32_e32 v8, 31, v7
	v_ashrrev_i32_e32 v20, 31, v19
	s_cbranch_vccnz .LBB1668_9
; %bb.1:
	s_load_dwordx4 s[28:31], s[4:5], 0x38
	v_lshlrev_b32_e32 v5, 8, v1
	v_lshlrev_b32_e32 v21, 4, v0
	v_add_u32_e32 v22, v21, v5
	v_add_u32_e32 v23, 0x1000, v5
	s_waitcnt lgkmcnt(0)
	s_add_u32 s4, s28, s2
	s_addc_u32 s5, s29, s3
	s_add_u32 s2, s18, s2
	s_addc_u32 s3, s19, s3
	s_load_dwordx2 s[6:7], s[2:3], 0x0
	v_mul_lo_u32 v6, s31, v19
	v_mul_lo_u32 v9, s30, v20
	v_mad_u64_u32 v[3:4], s[2:3], s30, v19, 0
	s_load_dwordx2 s[4:5], s[4:5], 0x0
	v_mul_lo_u32 v11, s11, v7
	v_add3_u32 v4, v4, v9, v6
	v_lshlrev_b64 v[3:4], 4, v[3:4]
	v_mul_lo_u32 v12, s10, v8
	v_add_co_u32_e64 v5, s[2:3], v3, v21
	v_addc_co_u32_e64 v6, s[2:3], 0, v4, s[2:3]
	v_mad_u64_u32 v[3:4], s[2:3], s10, v7, 0
	s_waitcnt lgkmcnt(0)
	v_mov_b32_e32 v10, s5
	v_add_co_u32_e64 v9, s[2:3], s4, v5
	v_add3_u32 v4, v4, v12, v11
	v_lshlrev_b64 v[3:4], 4, v[3:4]
	v_addc_co_u32_e64 v10, s[2:3], v10, v6, s[2:3]
	v_lshlrev_b32_e32 v5, 4, v1
	v_add_co_u32_e64 v3, s[2:3], v3, v5
	v_addc_co_u32_e64 v4, s[2:3], 0, v4, s[2:3]
	v_cmp_gt_i32_e32 vcc, s24, v19
	v_mov_b32_e32 v5, s7
	v_add_co_u32_e64 v11, s[2:3], s6, v3
	v_mov_b32_e32 v15, 0
	v_mov_b32_e32 v17, 0
	;; [unrolled: 1-line block ×4, first 2 shown]
	v_add_u32_e32 v24, v23, v21
	v_addc_co_u32_e64 v12, s[2:3], v5, v4, s[2:3]
	v_mov_b32_e32 v16, 0
	s_mov_b64 s[4:5], 0
	s_xor_b64 s[6:7], vcc, -1
	v_mov_b32_e32 v18, 0
	v_mov_b32_e32 v13, s12
	s_branch .LBB1668_3
.LBB1668_2:                             ;   in Loop: Header=BB1668_3 Depth=1
	s_or_b64 exec, exec, s[2:3]
	s_waitcnt lgkmcnt(0)
	s_barrier
	ds_read_b128 v[3:6], v21
	ds_read_b128 v[25:28], v23
	ds_read_b128 v[29:32], v23 offset:16
	ds_read_b128 v[33:36], v21 offset:256
	s_add_u32 s4, s4, 16
	v_add_co_u32_e32 v9, vcc, 0x100, v9
	s_waitcnt lgkmcnt(2)
	v_mul_f64 v[39:40], v[27:28], v[5:6]
	v_mul_f64 v[5:6], v[25:26], v[5:6]
	s_waitcnt lgkmcnt(0)
	v_mul_f64 v[43:44], v[31:32], v[35:36]
	v_mul_f64 v[45:46], v[29:30], v[35:36]
	ds_read_b128 v[35:38], v21 offset:512
	s_addc_u32 s5, s5, 0
	v_addc_co_u32_e32 v10, vcc, 0, v10, vcc
	v_fma_f64 v[47:48], v[25:26], v[3:4], -v[39:40]
	v_fma_f64 v[49:50], v[27:28], v[3:4], v[5:6]
	ds_read_b128 v[3:6], v23 offset:32
	ds_read_b128 v[25:28], v23 offset:48
	;; [unrolled: 1-line block ×3, first 2 shown]
	v_fma_f64 v[29:30], v[29:30], v[33:34], -v[43:44]
	v_fma_f64 v[31:32], v[31:32], v[33:34], v[45:46]
	s_waitcnt lgkmcnt(2)
	v_mul_f64 v[33:34], v[5:6], v[37:38]
	v_mul_f64 v[37:38], v[3:4], v[37:38]
	v_add_co_u32_e32 v11, vcc, 0x100, v11
	v_add_f64 v[43:44], v[17:18], v[47:48]
	v_add_f64 v[45:46], v[15:16], v[49:50]
	s_waitcnt lgkmcnt(0)
	v_mul_f64 v[47:48], v[27:28], v[41:42]
	v_mul_f64 v[41:42], v[25:26], v[41:42]
	v_fma_f64 v[49:50], v[3:4], v[35:36], -v[33:34]
	v_fma_f64 v[37:38], v[5:6], v[35:36], v[37:38]
	ds_read_b128 v[15:18], v21 offset:1024
	v_cmp_ge_i64_e64 s[2:3], s[4:5], v[13:14]
	v_add_f64 v[43:44], v[43:44], v[29:30]
	v_add_f64 v[45:46], v[45:46], v[31:32]
	ds_read_b128 v[3:6], v23 offset:64
	ds_read_b128 v[29:32], v23 offset:80
	;; [unrolled: 1-line block ×3, first 2 shown]
	v_fma_f64 v[47:48], v[25:26], v[39:40], -v[47:48]
	v_fma_f64 v[39:40], v[27:28], v[39:40], v[41:42]
	s_waitcnt lgkmcnt(2)
	v_mul_f64 v[41:42], v[5:6], v[17:18]
	v_mul_f64 v[17:18], v[3:4], v[17:18]
	ds_read_b128 v[25:28], v21 offset:1536
	v_add_f64 v[43:44], v[43:44], v[49:50]
	v_add_f64 v[37:38], v[45:46], v[37:38]
	s_waitcnt lgkmcnt(1)
	v_mul_f64 v[45:46], v[31:32], v[35:36]
	v_mul_f64 v[49:50], v[29:30], v[35:36]
	v_addc_co_u32_e32 v12, vcc, 0, v12, vcc
	v_fma_f64 v[41:42], v[3:4], v[15:16], -v[41:42]
	v_fma_f64 v[51:52], v[5:6], v[15:16], v[17:18]
	v_add_f64 v[43:44], v[43:44], v[47:48]
	v_add_f64 v[39:40], v[37:38], v[39:40]
	ds_read_b128 v[3:6], v23 offset:96
	ds_read_b128 v[15:18], v23 offset:112
	;; [unrolled: 1-line block ×3, first 2 shown]
	v_fma_f64 v[45:46], v[29:30], v[33:34], -v[45:46]
	v_fma_f64 v[31:32], v[31:32], v[33:34], v[49:50]
	s_waitcnt lgkmcnt(2)
	v_mul_f64 v[33:34], v[5:6], v[27:28]
	v_mul_f64 v[47:48], v[3:4], v[27:28]
	s_waitcnt lgkmcnt(0)
	v_mul_f64 v[49:50], v[15:16], v[37:38]
	v_add_f64 v[41:42], v[43:44], v[41:42]
	v_add_f64 v[39:40], v[39:40], v[51:52]
	v_mul_f64 v[43:44], v[17:18], v[37:38]
	ds_read_b128 v[27:30], v21 offset:2048
	s_and_b64 vcc, exec, s[2:3]
	v_fma_f64 v[51:52], v[3:4], v[25:26], -v[33:34]
	v_fma_f64 v[25:26], v[5:6], v[25:26], v[47:48]
	v_add_f64 v[41:42], v[41:42], v[45:46]
	v_add_f64 v[45:46], v[39:40], v[31:32]
	ds_read_b128 v[3:6], v23 offset:128
	ds_read_b128 v[31:34], v23 offset:144
	;; [unrolled: 1-line block ×3, first 2 shown]
	v_fma_f64 v[43:44], v[15:16], v[35:36], -v[43:44]
	v_fma_f64 v[35:36], v[17:18], v[35:36], v[49:50]
	s_waitcnt lgkmcnt(2)
	v_mul_f64 v[47:48], v[5:6], v[29:30]
	v_mul_f64 v[29:30], v[3:4], v[29:30]
	s_waitcnt lgkmcnt(0)
	v_mul_f64 v[49:50], v[31:32], v[39:40]
	v_add_f64 v[41:42], v[41:42], v[51:52]
	v_add_f64 v[25:26], v[45:46], v[25:26]
	v_mul_f64 v[45:46], v[33:34], v[39:40]
	ds_read_b128 v[15:18], v21 offset:2560
	v_fma_f64 v[47:48], v[3:4], v[27:28], -v[47:48]
	v_fma_f64 v[29:30], v[5:6], v[27:28], v[29:30]
	v_fma_f64 v[33:34], v[33:34], v[37:38], v[49:50]
	v_add_f64 v[43:44], v[41:42], v[43:44]
	v_add_f64 v[35:36], v[25:26], v[35:36]
	ds_read_b128 v[3:6], v23 offset:160
	ds_read_b128 v[25:28], v23 offset:176
	;; [unrolled: 1-line block ×3, first 2 shown]
	v_fma_f64 v[45:46], v[31:32], v[37:38], -v[45:46]
	s_waitcnt lgkmcnt(2)
	v_mul_f64 v[37:38], v[5:6], v[17:18]
	v_mul_f64 v[17:18], v[3:4], v[17:18]
	v_add_f64 v[43:44], v[43:44], v[47:48]
	v_add_f64 v[35:36], v[35:36], v[29:30]
	s_waitcnt lgkmcnt(0)
	v_mul_f64 v[47:48], v[27:28], v[41:42]
	v_mul_f64 v[41:42], v[25:26], v[41:42]
	ds_read_b128 v[29:32], v21 offset:3072
	v_fma_f64 v[37:38], v[3:4], v[15:16], -v[37:38]
	v_fma_f64 v[49:50], v[5:6], v[15:16], v[17:18]
	v_add_f64 v[43:44], v[43:44], v[45:46]
	v_add_f64 v[45:46], v[35:36], v[33:34]
	ds_read_b128 v[3:6], v23 offset:192
	ds_read_b128 v[15:18], v23 offset:208
	;; [unrolled: 1-line block ×3, first 2 shown]
	v_fma_f64 v[47:48], v[25:26], v[39:40], -v[47:48]
	v_fma_f64 v[39:40], v[27:28], v[39:40], v[41:42]
	s_waitcnt lgkmcnt(2)
	v_mul_f64 v[41:42], v[5:6], v[31:32]
	v_mul_f64 v[31:32], v[3:4], v[31:32]
	ds_read_b128 v[25:28], v21 offset:3584
	v_add_f64 v[37:38], v[43:44], v[37:38]
	v_add_f64 v[43:44], v[45:46], v[49:50]
	s_waitcnt lgkmcnt(1)
	v_mul_f64 v[45:46], v[17:18], v[35:36]
	v_mul_f64 v[49:50], v[15:16], v[35:36]
	v_fma_f64 v[41:42], v[3:4], v[29:30], -v[41:42]
	v_fma_f64 v[51:52], v[5:6], v[29:30], v[31:32]
	v_add_f64 v[47:48], v[37:38], v[47:48]
	v_add_f64 v[39:40], v[43:44], v[39:40]
	ds_read_b128 v[3:6], v23 offset:224
	ds_read_b128 v[29:32], v23 offset:240
	;; [unrolled: 1-line block ×3, first 2 shown]
	v_fma_f64 v[15:16], v[15:16], v[33:34], -v[45:46]
	v_fma_f64 v[17:18], v[17:18], v[33:34], v[49:50]
	s_waitcnt lgkmcnt(2)
	v_mul_f64 v[33:34], v[5:6], v[27:28]
	v_mul_f64 v[27:28], v[3:4], v[27:28]
	s_waitcnt lgkmcnt(0)
	v_mul_f64 v[43:44], v[31:32], v[37:38]
	v_add_f64 v[41:42], v[47:48], v[41:42]
	v_add_f64 v[39:40], v[39:40], v[51:52]
	v_mul_f64 v[37:38], v[29:30], v[37:38]
	s_barrier
	v_fma_f64 v[3:4], v[3:4], v[25:26], -v[33:34]
	v_fma_f64 v[5:6], v[5:6], v[25:26], v[27:28]
	v_fma_f64 v[25:26], v[29:30], v[35:36], -v[43:44]
	v_add_f64 v[15:16], v[41:42], v[15:16]
	v_add_f64 v[17:18], v[39:40], v[17:18]
	v_fma_f64 v[27:28], v[31:32], v[35:36], v[37:38]
	v_add_f64 v[3:4], v[15:16], v[3:4]
	v_add_f64 v[5:6], v[17:18], v[5:6]
	;; [unrolled: 1-line block ×4, first 2 shown]
	s_cbranch_vccnz .LBB1668_10
.LBB1668_3:                             ; =>This Inner Loop Header: Depth=1
	v_mov_b32_e32 v4, s5
	v_add_co_u32_e32 v3, vcc, s4, v1
	v_addc_co_u32_e32 v4, vcc, 0, v4, vcc
	v_cmp_gt_i64_e32 vcc, s[12:13], v[3:4]
	v_mov_b32_e32 v3, 0
	v_mov_b32_e32 v5, 0
	;; [unrolled: 1-line block ×4, first 2 shown]
	s_and_b64 s[10:11], s[0:1], vcc
	s_and_saveexec_b64 s[2:3], s[10:11]
	s_cbranch_execz .LBB1668_5
; %bb.4:                                ;   in Loop: Header=BB1668_3 Depth=1
	flat_load_dwordx4 v[3:6], v[11:12]
.LBB1668_5:                             ;   in Loop: Header=BB1668_3 Depth=1
	s_or_b64 exec, exec, s[2:3]
	v_mov_b32_e32 v26, s5
	v_add_co_u32_e32 v25, vcc, s4, v0
	v_addc_co_u32_e32 v26, vcc, 0, v26, vcc
	v_cmp_le_i64_e32 vcc, s[12:13], v[25:26]
	s_waitcnt vmcnt(0) lgkmcnt(0)
	ds_write_b128 v22, v[3:6]
	s_or_b64 s[2:3], s[6:7], vcc
	s_and_saveexec_b64 s[10:11], s[2:3]
	s_xor_b64 s[2:3], exec, s[10:11]
; %bb.6:                                ;   in Loop: Header=BB1668_3 Depth=1
	v_mov_b32_e32 v3, v2
	v_mov_b32_e32 v4, v2
	v_mov_b32_e32 v5, v2
	ds_write_b128 v24, v[2:5]
; %bb.7:                                ;   in Loop: Header=BB1668_3 Depth=1
	s_andn2_saveexec_b64 s[2:3], s[2:3]
	s_cbranch_execz .LBB1668_2
; %bb.8:                                ;   in Loop: Header=BB1668_3 Depth=1
	flat_load_dwordx4 v[3:6], v[9:10]
	s_waitcnt vmcnt(0) lgkmcnt(0)
	ds_write2_b64 v24, v[3:4], v[5:6] offset1:1
	s_branch .LBB1668_2
.LBB1668_9:
	v_mov_b32_e32 v15, 0
	v_mov_b32_e32 v17, 0
	;; [unrolled: 1-line block ×4, first 2 shown]
.LBB1668_10:
	v_cmp_le_i32_e32 vcc, v19, v7
	v_cmp_gt_i32_e64 s[0:1], s24, v7
	s_and_b64 s[0:1], vcc, s[0:1]
	s_and_saveexec_b64 s[2:3], s[0:1]
	s_cbranch_execz .LBB1668_12
; %bb.11:
	v_mul_f64 v[0:1], s[16:17], v[15:16]
	v_mul_f64 v[2:3], s[14:15], v[15:16]
	v_mul_lo_u32 v6, s23, v19
	v_mul_lo_u32 v9, s22, v20
	v_mad_u64_u32 v[4:5], s[0:1], s22, v19, 0
	v_add3_u32 v5, v5, v9, v6
	v_fma_f64 v[0:1], s[14:15], v[17:18], -v[0:1]
	v_fma_f64 v[2:3], s[16:17], v[17:18], v[2:3]
	v_lshlrev_b64 v[4:5], 4, v[4:5]
	s_waitcnt lgkmcnt(0)
	v_mov_b32_e32 v6, s9
	v_add_co_u32_e32 v9, vcc, s8, v4
	v_addc_co_u32_e32 v6, vcc, v6, v5, vcc
	v_lshlrev_b64 v[4:5], 4, v[7:8]
	v_add_co_u32_e32 v4, vcc, v9, v4
	v_addc_co_u32_e32 v5, vcc, v6, v5, vcc
	flat_store_dwordx4 v[4:5], v[0:3]
.LBB1668_12:
	s_endpgm
	.section	.rodata,"a",@progbits
	.p2align	6, 0x0
	.amdhsa_kernel _ZL32rocblas_syrkx_herkx_small_kernelIl19rocblas_complex_numIdELi16ELb1ELb0ELc67ELc76EKPKS1_KPS1_EviT_T0_PT6_S7_lSA_S7_lS8_PT7_S7_li
		.amdhsa_group_segment_fixed_size 8192
		.amdhsa_private_segment_fixed_size 0
		.amdhsa_kernarg_size 124
		.amdhsa_user_sgpr_count 6
		.amdhsa_user_sgpr_private_segment_buffer 1
		.amdhsa_user_sgpr_dispatch_ptr 0
		.amdhsa_user_sgpr_queue_ptr 0
		.amdhsa_user_sgpr_kernarg_segment_ptr 1
		.amdhsa_user_sgpr_dispatch_id 0
		.amdhsa_user_sgpr_flat_scratch_init 0
		.amdhsa_user_sgpr_private_segment_size 0
		.amdhsa_uses_dynamic_stack 0
		.amdhsa_system_sgpr_private_segment_wavefront_offset 0
		.amdhsa_system_sgpr_workgroup_id_x 1
		.amdhsa_system_sgpr_workgroup_id_y 1
		.amdhsa_system_sgpr_workgroup_id_z 1
		.amdhsa_system_sgpr_workgroup_info 0
		.amdhsa_system_vgpr_workitem_id 1
		.amdhsa_next_free_vgpr 53
		.amdhsa_next_free_sgpr 61
		.amdhsa_reserve_vcc 1
		.amdhsa_reserve_flat_scratch 0
		.amdhsa_float_round_mode_32 0
		.amdhsa_float_round_mode_16_64 0
		.amdhsa_float_denorm_mode_32 3
		.amdhsa_float_denorm_mode_16_64 3
		.amdhsa_dx10_clamp 1
		.amdhsa_ieee_mode 1
		.amdhsa_fp16_overflow 0
		.amdhsa_exception_fp_ieee_invalid_op 0
		.amdhsa_exception_fp_denorm_src 0
		.amdhsa_exception_fp_ieee_div_zero 0
		.amdhsa_exception_fp_ieee_overflow 0
		.amdhsa_exception_fp_ieee_underflow 0
		.amdhsa_exception_fp_ieee_inexact 0
		.amdhsa_exception_int_div_zero 0
	.end_amdhsa_kernel
	.section	.text._ZL32rocblas_syrkx_herkx_small_kernelIl19rocblas_complex_numIdELi16ELb1ELb0ELc67ELc76EKPKS1_KPS1_EviT_T0_PT6_S7_lSA_S7_lS8_PT7_S7_li,"axG",@progbits,_ZL32rocblas_syrkx_herkx_small_kernelIl19rocblas_complex_numIdELi16ELb1ELb0ELc67ELc76EKPKS1_KPS1_EviT_T0_PT6_S7_lSA_S7_lS8_PT7_S7_li,comdat
.Lfunc_end1668:
	.size	_ZL32rocblas_syrkx_herkx_small_kernelIl19rocblas_complex_numIdELi16ELb1ELb0ELc67ELc76EKPKS1_KPS1_EviT_T0_PT6_S7_lSA_S7_lS8_PT7_S7_li, .Lfunc_end1668-_ZL32rocblas_syrkx_herkx_small_kernelIl19rocblas_complex_numIdELi16ELb1ELb0ELc67ELc76EKPKS1_KPS1_EviT_T0_PT6_S7_lSA_S7_lS8_PT7_S7_li
                                        ; -- End function
	.set _ZL32rocblas_syrkx_herkx_small_kernelIl19rocblas_complex_numIdELi16ELb1ELb0ELc67ELc76EKPKS1_KPS1_EviT_T0_PT6_S7_lSA_S7_lS8_PT7_S7_li.num_vgpr, 53
	.set _ZL32rocblas_syrkx_herkx_small_kernelIl19rocblas_complex_numIdELi16ELb1ELb0ELc67ELc76EKPKS1_KPS1_EviT_T0_PT6_S7_lSA_S7_lS8_PT7_S7_li.num_agpr, 0
	.set _ZL32rocblas_syrkx_herkx_small_kernelIl19rocblas_complex_numIdELi16ELb1ELb0ELc67ELc76EKPKS1_KPS1_EviT_T0_PT6_S7_lSA_S7_lS8_PT7_S7_li.numbered_sgpr, 32
	.set _ZL32rocblas_syrkx_herkx_small_kernelIl19rocblas_complex_numIdELi16ELb1ELb0ELc67ELc76EKPKS1_KPS1_EviT_T0_PT6_S7_lSA_S7_lS8_PT7_S7_li.num_named_barrier, 0
	.set _ZL32rocblas_syrkx_herkx_small_kernelIl19rocblas_complex_numIdELi16ELb1ELb0ELc67ELc76EKPKS1_KPS1_EviT_T0_PT6_S7_lSA_S7_lS8_PT7_S7_li.private_seg_size, 0
	.set _ZL32rocblas_syrkx_herkx_small_kernelIl19rocblas_complex_numIdELi16ELb1ELb0ELc67ELc76EKPKS1_KPS1_EviT_T0_PT6_S7_lSA_S7_lS8_PT7_S7_li.uses_vcc, 1
	.set _ZL32rocblas_syrkx_herkx_small_kernelIl19rocblas_complex_numIdELi16ELb1ELb0ELc67ELc76EKPKS1_KPS1_EviT_T0_PT6_S7_lSA_S7_lS8_PT7_S7_li.uses_flat_scratch, 0
	.set _ZL32rocblas_syrkx_herkx_small_kernelIl19rocblas_complex_numIdELi16ELb1ELb0ELc67ELc76EKPKS1_KPS1_EviT_T0_PT6_S7_lSA_S7_lS8_PT7_S7_li.has_dyn_sized_stack, 0
	.set _ZL32rocblas_syrkx_herkx_small_kernelIl19rocblas_complex_numIdELi16ELb1ELb0ELc67ELc76EKPKS1_KPS1_EviT_T0_PT6_S7_lSA_S7_lS8_PT7_S7_li.has_recursion, 0
	.set _ZL32rocblas_syrkx_herkx_small_kernelIl19rocblas_complex_numIdELi16ELb1ELb0ELc67ELc76EKPKS1_KPS1_EviT_T0_PT6_S7_lSA_S7_lS8_PT7_S7_li.has_indirect_call, 0
	.section	.AMDGPU.csdata,"",@progbits
; Kernel info:
; codeLenInByte = 1836
; TotalNumSgprs: 36
; NumVgprs: 53
; ScratchSize: 0
; MemoryBound: 1
; FloatMode: 240
; IeeeMode: 1
; LDSByteSize: 8192 bytes/workgroup (compile time only)
; SGPRBlocks: 8
; VGPRBlocks: 13
; NumSGPRsForWavesPerEU: 65
; NumVGPRsForWavesPerEU: 53
; Occupancy: 4
; WaveLimiterHint : 1
; COMPUTE_PGM_RSRC2:SCRATCH_EN: 0
; COMPUTE_PGM_RSRC2:USER_SGPR: 6
; COMPUTE_PGM_RSRC2:TRAP_HANDLER: 0
; COMPUTE_PGM_RSRC2:TGID_X_EN: 1
; COMPUTE_PGM_RSRC2:TGID_Y_EN: 1
; COMPUTE_PGM_RSRC2:TGID_Z_EN: 1
; COMPUTE_PGM_RSRC2:TIDIG_COMP_CNT: 1
	.section	.text._ZL32rocblas_syrkx_herkx_small_kernelIl19rocblas_complex_numIdELi16ELb1ELb0ELc78ELc76EKPKS1_KPS1_EviT_T0_PT6_S7_lSA_S7_lS8_PT7_S7_li,"axG",@progbits,_ZL32rocblas_syrkx_herkx_small_kernelIl19rocblas_complex_numIdELi16ELb1ELb0ELc78ELc76EKPKS1_KPS1_EviT_T0_PT6_S7_lSA_S7_lS8_PT7_S7_li,comdat
	.globl	_ZL32rocblas_syrkx_herkx_small_kernelIl19rocblas_complex_numIdELi16ELb1ELb0ELc78ELc76EKPKS1_KPS1_EviT_T0_PT6_S7_lSA_S7_lS8_PT7_S7_li ; -- Begin function _ZL32rocblas_syrkx_herkx_small_kernelIl19rocblas_complex_numIdELi16ELb1ELb0ELc78ELc76EKPKS1_KPS1_EviT_T0_PT6_S7_lSA_S7_lS8_PT7_S7_li
	.p2align	8
	.type	_ZL32rocblas_syrkx_herkx_small_kernelIl19rocblas_complex_numIdELi16ELb1ELb0ELc78ELc76EKPKS1_KPS1_EviT_T0_PT6_S7_lSA_S7_lS8_PT7_S7_li,@function
_ZL32rocblas_syrkx_herkx_small_kernelIl19rocblas_complex_numIdELi16ELb1ELb0ELc78ELc76EKPKS1_KPS1_EviT_T0_PT6_S7_lSA_S7_lS8_PT7_S7_li: ; @_ZL32rocblas_syrkx_herkx_small_kernelIl19rocblas_complex_numIdELi16ELb1ELb0ELc78ELc76EKPKS1_KPS1_EviT_T0_PT6_S7_lSA_S7_lS8_PT7_S7_li
; %bb.0:
	s_load_dwordx2 s[24:25], s[4:5], 0x28
	s_load_dwordx4 s[20:23], s[4:5], 0x60
	s_load_dword s26, s[4:5], 0x0
	s_load_dwordx8 s[12:19], s[4:5], 0x8
	s_mov_b32 s9, 0
	s_lshl_b64 s[0:1], s[8:9], 3
	s_waitcnt lgkmcnt(0)
	s_add_u32 s2, s20, s0
	s_addc_u32 s3, s21, s1
	s_load_dwordx2 s[20:21], s[2:3], 0x0
	v_cmp_lt_i64_e64 s[2:3], s[12:13], 1
	v_lshl_add_u32 v7, s6, 4, v0
	v_lshl_add_u32 v9, s7, 4, v1
	s_and_b64 vcc, exec, s[2:3]
	v_cmp_gt_i32_e64 s[2:3], s26, v7
	v_ashrrev_i32_e32 v8, 31, v7
	v_ashrrev_i32_e32 v10, 31, v9
	s_cbranch_vccnz .LBB1669_9
; %bb.1:
	s_load_dwordx4 s[8:11], s[4:5], 0x38
	v_lshlrev_b32_e32 v6, 8, v1
	v_lshlrev_b32_e32 v21, 4, v0
	v_add_u32_e32 v22, v21, v6
	v_add_u32_e32 v23, 0x1000, v6
	s_waitcnt lgkmcnt(0)
	s_add_u32 s4, s8, s0
	v_mad_u64_u32 v[3:4], s[6:7], s10, v0, 0
	s_addc_u32 s5, s9, s1
	s_add_u32 s0, s18, s0
	s_addc_u32 s1, s19, s1
	s_load_dwordx2 s[6:7], s[0:1], 0x0
	v_mad_u64_u32 v[4:5], s[0:1], s11, v0, v[4:5]
	v_mad_u64_u32 v[13:14], s[8:9], s24, v1, 0
	v_lshlrev_b64 v[3:4], 4, v[3:4]
	v_lshlrev_b64 v[5:6], 4, v[9:10]
	s_load_dwordx2 s[4:5], s[4:5], 0x0
	v_add_co_u32_e32 v5, vcc, v3, v5
	v_mov_b32_e32 v3, v14
	v_addc_co_u32_e32 v6, vcc, v4, v6, vcc
	v_mad_u64_u32 v[3:4], s[8:9], s25, v1, v[3:4]
	s_waitcnt lgkmcnt(0)
	v_mov_b32_e32 v12, s5
	v_add_co_u32_e32 v11, vcc, s4, v5
	v_mov_b32_e32 v14, v3
	v_addc_co_u32_e32 v12, vcc, v12, v6, vcc
	v_lshlrev_b64 v[3:4], 4, v[13:14]
	v_lshlrev_b64 v[5:6], 4, v[7:8]
	s_lshl_b64 s[4:5], s[10:11], 8
	v_add_co_u32_e32 v3, vcc, v3, v5
	v_addc_co_u32_e32 v4, vcc, v4, v6, vcc
	v_mov_b32_e32 v5, s7
	v_add_co_u32_e32 v13, vcc, s6, v3
	s_lshl_b64 s[6:7], s[24:25], 8
	v_mov_b32_e32 v17, 0
	v_mov_b32_e32 v19, 0
	;; [unrolled: 1-line block ×4, first 2 shown]
	v_cmp_gt_i32_e64 s[0:1], s26, v9
	v_add_u32_e32 v24, v23, v21
	v_addc_co_u32_e32 v14, vcc, v5, v4, vcc
	v_mov_b32_e32 v18, 0
	s_mov_b64 s[8:9], 0
	s_xor_b64 s[10:11], s[2:3], -1
	v_mov_b32_e32 v25, s5
	v_mov_b32_e32 v26, s7
	;; [unrolled: 1-line block ×4, first 2 shown]
	s_branch .LBB1669_3
.LBB1669_2:                             ;   in Loop: Header=BB1669_3 Depth=1
	s_or_b64 exec, exec, s[2:3]
	s_waitcnt vmcnt(0) lgkmcnt(0)
	ds_write_b128 v24, v[3:6]
	s_waitcnt lgkmcnt(0)
	s_barrier
	ds_read_b128 v[3:6], v21
	ds_read_b128 v[27:30], v23
	ds_read_b128 v[31:34], v23 offset:16
	ds_read_b128 v[35:38], v21 offset:256
	s_add_u32 s8, s8, 16
	v_add_co_u32_e32 v11, vcc, s4, v11
	s_waitcnt lgkmcnt(2)
	v_mul_f64 v[39:40], v[29:30], v[5:6]
	v_mul_f64 v[5:6], v[27:28], v[5:6]
	s_waitcnt lgkmcnt(0)
	v_mul_f64 v[41:42], v[33:34], v[37:38]
	v_mul_f64 v[43:44], v[31:32], v[37:38]
	v_addc_co_u32_e32 v12, vcc, v12, v25, vcc
	s_addc_u32 s9, s9, 0
	v_cmp_ge_i64_e32 vcc, s[8:9], v[15:16]
	v_fma_f64 v[45:46], v[27:28], v[3:4], -v[39:40]
	v_fma_f64 v[47:48], v[29:30], v[3:4], v[5:6]
	ds_read_b128 v[3:6], v21 offset:512
	ds_read_b128 v[27:30], v23 offset:32
	;; [unrolled: 1-line block ×3, first 2 shown]
	v_fma_f64 v[41:42], v[31:32], v[35:36], -v[41:42]
	v_fma_f64 v[35:36], v[33:34], v[35:36], v[43:44]
	ds_read_b128 v[31:34], v21 offset:768
	s_waitcnt lgkmcnt(2)
	v_mul_f64 v[43:44], v[29:30], v[5:6]
	v_mul_f64 v[5:6], v[27:28], v[5:6]
	v_add_f64 v[19:20], v[19:20], v[45:46]
	v_add_f64 v[17:18], v[17:18], v[47:48]
	s_waitcnt lgkmcnt(0)
	v_mul_f64 v[45:46], v[39:40], v[33:34]
	v_mul_f64 v[33:34], v[37:38], v[33:34]
	v_add_co_u32_e64 v13, s[2:3], s6, v13
	v_fma_f64 v[43:44], v[27:28], v[3:4], -v[43:44]
	v_fma_f64 v[47:48], v[29:30], v[3:4], v[5:6]
	v_add_f64 v[41:42], v[19:20], v[41:42]
	v_add_f64 v[35:36], v[17:18], v[35:36]
	ds_read_b128 v[3:6], v23 offset:64
	ds_read_b128 v[17:20], v21 offset:1024
	v_fma_f64 v[37:38], v[37:38], v[31:32], -v[45:46]
	v_fma_f64 v[39:40], v[39:40], v[31:32], v[33:34]
	ds_read_b128 v[27:30], v23 offset:80
	ds_read_b128 v[31:34], v21 offset:1280
	v_addc_co_u32_e64 v14, s[2:3], v14, v26, s[2:3]
	s_waitcnt lgkmcnt(2)
	v_mul_f64 v[45:46], v[5:6], v[19:20]
	v_mul_f64 v[19:20], v[3:4], v[19:20]
	v_add_f64 v[41:42], v[41:42], v[43:44]
	v_add_f64 v[35:36], v[35:36], v[47:48]
	s_waitcnt lgkmcnt(0)
	v_mul_f64 v[43:44], v[29:30], v[33:34]
	v_mul_f64 v[33:34], v[27:28], v[33:34]
	s_and_b64 vcc, exec, vcc
	v_fma_f64 v[45:46], v[3:4], v[17:18], -v[45:46]
	v_fma_f64 v[47:48], v[5:6], v[17:18], v[19:20]
	v_add_f64 v[37:38], v[41:42], v[37:38]
	v_add_f64 v[35:36], v[35:36], v[39:40]
	ds_read_b128 v[3:6], v23 offset:96
	ds_read_b128 v[17:20], v21 offset:1536
	v_fma_f64 v[39:40], v[27:28], v[31:32], -v[43:44]
	v_fma_f64 v[41:42], v[29:30], v[31:32], v[33:34]
	ds_read_b128 v[27:30], v23 offset:112
	ds_read_b128 v[31:34], v21 offset:1792
	s_waitcnt lgkmcnt(2)
	v_mul_f64 v[43:44], v[5:6], v[19:20]
	v_mul_f64 v[19:20], v[3:4], v[19:20]
	v_add_f64 v[37:38], v[37:38], v[45:46]
	v_add_f64 v[35:36], v[35:36], v[47:48]
	s_waitcnt lgkmcnt(0)
	v_mul_f64 v[45:46], v[29:30], v[33:34]
	v_mul_f64 v[33:34], v[27:28], v[33:34]
	v_fma_f64 v[43:44], v[3:4], v[17:18], -v[43:44]
	v_fma_f64 v[47:48], v[5:6], v[17:18], v[19:20]
	v_add_f64 v[37:38], v[37:38], v[39:40]
	v_add_f64 v[35:36], v[35:36], v[41:42]
	ds_read_b128 v[3:6], v23 offset:128
	ds_read_b128 v[17:20], v21 offset:2048
	v_fma_f64 v[39:40], v[27:28], v[31:32], -v[45:46]
	v_fma_f64 v[41:42], v[29:30], v[31:32], v[33:34]
	ds_read_b128 v[27:30], v23 offset:144
	ds_read_b128 v[31:34], v21 offset:2304
	s_waitcnt lgkmcnt(2)
	v_mul_f64 v[45:46], v[5:6], v[19:20]
	v_mul_f64 v[19:20], v[3:4], v[19:20]
	v_add_f64 v[37:38], v[37:38], v[43:44]
	v_add_f64 v[35:36], v[35:36], v[47:48]
	s_waitcnt lgkmcnt(0)
	v_mul_f64 v[43:44], v[29:30], v[33:34]
	v_mul_f64 v[33:34], v[27:28], v[33:34]
	;; [unrolled: 18-line block ×4, first 2 shown]
	v_fma_f64 v[45:46], v[3:4], v[17:18], -v[45:46]
	v_fma_f64 v[47:48], v[5:6], v[17:18], v[19:20]
	v_add_f64 v[37:38], v[37:38], v[39:40]
	v_add_f64 v[35:36], v[35:36], v[41:42]
	ds_read_b128 v[3:6], v23 offset:224
	ds_read_b128 v[17:20], v21 offset:3584
	v_fma_f64 v[39:40], v[27:28], v[31:32], -v[43:44]
	v_fma_f64 v[41:42], v[29:30], v[31:32], v[33:34]
	ds_read_b128 v[27:30], v23 offset:240
	ds_read_b128 v[31:34], v21 offset:3840
	s_waitcnt lgkmcnt(0)
	v_mul_f64 v[43:44], v[5:6], v[19:20]
	v_mul_f64 v[19:20], v[3:4], v[19:20]
	v_add_f64 v[37:38], v[37:38], v[45:46]
	v_add_f64 v[35:36], v[35:36], v[47:48]
	v_mul_f64 v[45:46], v[29:30], v[33:34]
	v_mul_f64 v[33:34], v[27:28], v[33:34]
	s_barrier
	v_fma_f64 v[3:4], v[3:4], v[17:18], -v[43:44]
	v_fma_f64 v[5:6], v[5:6], v[17:18], v[19:20]
	v_add_f64 v[17:18], v[37:38], v[39:40]
	v_add_f64 v[19:20], v[35:36], v[41:42]
	v_fma_f64 v[27:28], v[27:28], v[31:32], -v[45:46]
	v_fma_f64 v[29:30], v[29:30], v[31:32], v[33:34]
	v_add_f64 v[3:4], v[17:18], v[3:4]
	v_add_f64 v[5:6], v[19:20], v[5:6]
	;; [unrolled: 1-line block ×4, first 2 shown]
	s_cbranch_vccnz .LBB1669_10
.LBB1669_3:                             ; =>This Inner Loop Header: Depth=1
	v_mov_b32_e32 v4, s9
	v_add_co_u32_e32 v3, vcc, s8, v1
	v_addc_co_u32_e32 v4, vcc, 0, v4, vcc
	v_cmp_le_i64_e32 vcc, s[12:13], v[3:4]
	s_or_b64 s[2:3], s[10:11], vcc
	s_and_saveexec_b64 s[18:19], s[2:3]
	s_xor_b64 s[2:3], exec, s[18:19]
; %bb.4:                                ;   in Loop: Header=BB1669_3 Depth=1
	v_mov_b32_e32 v3, v2
	v_mov_b32_e32 v4, v2
	;; [unrolled: 1-line block ×3, first 2 shown]
	ds_write_b128 v22, v[2:5]
; %bb.5:                                ;   in Loop: Header=BB1669_3 Depth=1
	s_andn2_saveexec_b64 s[2:3], s[2:3]
	s_cbranch_execz .LBB1669_7
; %bb.6:                                ;   in Loop: Header=BB1669_3 Depth=1
	flat_load_dwordx4 v[3:6], v[13:14]
	s_waitcnt vmcnt(0) lgkmcnt(0)
	ds_write2_b64 v22, v[3:4], v[5:6] offset1:1
.LBB1669_7:                             ;   in Loop: Header=BB1669_3 Depth=1
	s_or_b64 exec, exec, s[2:3]
	v_mov_b32_e32 v4, s9
	v_add_co_u32_e32 v3, vcc, s8, v0
	v_addc_co_u32_e32 v4, vcc, 0, v4, vcc
	v_cmp_gt_i64_e32 vcc, s[12:13], v[3:4]
	v_mov_b32_e32 v3, 0
	v_mov_b32_e32 v5, 0
	v_mov_b32_e32 v4, 0
	v_mov_b32_e32 v6, 0
	s_and_b64 s[18:19], s[0:1], vcc
	s_and_saveexec_b64 s[2:3], s[18:19]
	s_cbranch_execz .LBB1669_2
; %bb.8:                                ;   in Loop: Header=BB1669_3 Depth=1
	flat_load_dwordx4 v[3:6], v[11:12]
	s_branch .LBB1669_2
.LBB1669_9:
	v_mov_b32_e32 v17, 0
	v_mov_b32_e32 v19, 0
	;; [unrolled: 1-line block ×4, first 2 shown]
.LBB1669_10:
	v_cmp_le_i32_e32 vcc, v9, v7
	v_cmp_gt_i32_e64 s[0:1], s26, v7
	s_and_b64 s[0:1], vcc, s[0:1]
	s_and_saveexec_b64 s[2:3], s[0:1]
	s_cbranch_execz .LBB1669_12
; %bb.11:
	v_mul_f64 v[0:1], s[16:17], v[17:18]
	v_mul_f64 v[2:3], s[14:15], v[17:18]
	v_mul_lo_u32 v6, s23, v9
	v_mul_lo_u32 v10, s22, v10
	v_mad_u64_u32 v[4:5], s[0:1], s22, v9, 0
	v_add3_u32 v5, v5, v10, v6
	v_fma_f64 v[0:1], s[14:15], v[19:20], -v[0:1]
	v_fma_f64 v[2:3], s[16:17], v[19:20], v[2:3]
	v_lshlrev_b64 v[4:5], 4, v[4:5]
	s_waitcnt lgkmcnt(0)
	v_mov_b32_e32 v6, s21
	v_add_co_u32_e32 v9, vcc, s20, v4
	v_addc_co_u32_e32 v6, vcc, v6, v5, vcc
	v_lshlrev_b64 v[4:5], 4, v[7:8]
	v_add_co_u32_e32 v4, vcc, v9, v4
	v_addc_co_u32_e32 v5, vcc, v6, v5, vcc
	flat_store_dwordx4 v[4:5], v[0:3]
.LBB1669_12:
	s_endpgm
	.section	.rodata,"a",@progbits
	.p2align	6, 0x0
	.amdhsa_kernel _ZL32rocblas_syrkx_herkx_small_kernelIl19rocblas_complex_numIdELi16ELb1ELb0ELc78ELc76EKPKS1_KPS1_EviT_T0_PT6_S7_lSA_S7_lS8_PT7_S7_li
		.amdhsa_group_segment_fixed_size 8192
		.amdhsa_private_segment_fixed_size 0
		.amdhsa_kernarg_size 124
		.amdhsa_user_sgpr_count 6
		.amdhsa_user_sgpr_private_segment_buffer 1
		.amdhsa_user_sgpr_dispatch_ptr 0
		.amdhsa_user_sgpr_queue_ptr 0
		.amdhsa_user_sgpr_kernarg_segment_ptr 1
		.amdhsa_user_sgpr_dispatch_id 0
		.amdhsa_user_sgpr_flat_scratch_init 0
		.amdhsa_user_sgpr_private_segment_size 0
		.amdhsa_uses_dynamic_stack 0
		.amdhsa_system_sgpr_private_segment_wavefront_offset 0
		.amdhsa_system_sgpr_workgroup_id_x 1
		.amdhsa_system_sgpr_workgroup_id_y 1
		.amdhsa_system_sgpr_workgroup_id_z 1
		.amdhsa_system_sgpr_workgroup_info 0
		.amdhsa_system_vgpr_workitem_id 1
		.amdhsa_next_free_vgpr 49
		.amdhsa_next_free_sgpr 61
		.amdhsa_reserve_vcc 1
		.amdhsa_reserve_flat_scratch 0
		.amdhsa_float_round_mode_32 0
		.amdhsa_float_round_mode_16_64 0
		.amdhsa_float_denorm_mode_32 3
		.amdhsa_float_denorm_mode_16_64 3
		.amdhsa_dx10_clamp 1
		.amdhsa_ieee_mode 1
		.amdhsa_fp16_overflow 0
		.amdhsa_exception_fp_ieee_invalid_op 0
		.amdhsa_exception_fp_denorm_src 0
		.amdhsa_exception_fp_ieee_div_zero 0
		.amdhsa_exception_fp_ieee_overflow 0
		.amdhsa_exception_fp_ieee_underflow 0
		.amdhsa_exception_fp_ieee_inexact 0
		.amdhsa_exception_int_div_zero 0
	.end_amdhsa_kernel
	.section	.text._ZL32rocblas_syrkx_herkx_small_kernelIl19rocblas_complex_numIdELi16ELb1ELb0ELc78ELc76EKPKS1_KPS1_EviT_T0_PT6_S7_lSA_S7_lS8_PT7_S7_li,"axG",@progbits,_ZL32rocblas_syrkx_herkx_small_kernelIl19rocblas_complex_numIdELi16ELb1ELb0ELc78ELc76EKPKS1_KPS1_EviT_T0_PT6_S7_lSA_S7_lS8_PT7_S7_li,comdat
.Lfunc_end1669:
	.size	_ZL32rocblas_syrkx_herkx_small_kernelIl19rocblas_complex_numIdELi16ELb1ELb0ELc78ELc76EKPKS1_KPS1_EviT_T0_PT6_S7_lSA_S7_lS8_PT7_S7_li, .Lfunc_end1669-_ZL32rocblas_syrkx_herkx_small_kernelIl19rocblas_complex_numIdELi16ELb1ELb0ELc78ELc76EKPKS1_KPS1_EviT_T0_PT6_S7_lSA_S7_lS8_PT7_S7_li
                                        ; -- End function
	.set _ZL32rocblas_syrkx_herkx_small_kernelIl19rocblas_complex_numIdELi16ELb1ELb0ELc78ELc76EKPKS1_KPS1_EviT_T0_PT6_S7_lSA_S7_lS8_PT7_S7_li.num_vgpr, 49
	.set _ZL32rocblas_syrkx_herkx_small_kernelIl19rocblas_complex_numIdELi16ELb1ELb0ELc78ELc76EKPKS1_KPS1_EviT_T0_PT6_S7_lSA_S7_lS8_PT7_S7_li.num_agpr, 0
	.set _ZL32rocblas_syrkx_herkx_small_kernelIl19rocblas_complex_numIdELi16ELb1ELb0ELc78ELc76EKPKS1_KPS1_EviT_T0_PT6_S7_lSA_S7_lS8_PT7_S7_li.numbered_sgpr, 27
	.set _ZL32rocblas_syrkx_herkx_small_kernelIl19rocblas_complex_numIdELi16ELb1ELb0ELc78ELc76EKPKS1_KPS1_EviT_T0_PT6_S7_lSA_S7_lS8_PT7_S7_li.num_named_barrier, 0
	.set _ZL32rocblas_syrkx_herkx_small_kernelIl19rocblas_complex_numIdELi16ELb1ELb0ELc78ELc76EKPKS1_KPS1_EviT_T0_PT6_S7_lSA_S7_lS8_PT7_S7_li.private_seg_size, 0
	.set _ZL32rocblas_syrkx_herkx_small_kernelIl19rocblas_complex_numIdELi16ELb1ELb0ELc78ELc76EKPKS1_KPS1_EviT_T0_PT6_S7_lSA_S7_lS8_PT7_S7_li.uses_vcc, 1
	.set _ZL32rocblas_syrkx_herkx_small_kernelIl19rocblas_complex_numIdELi16ELb1ELb0ELc78ELc76EKPKS1_KPS1_EviT_T0_PT6_S7_lSA_S7_lS8_PT7_S7_li.uses_flat_scratch, 0
	.set _ZL32rocblas_syrkx_herkx_small_kernelIl19rocblas_complex_numIdELi16ELb1ELb0ELc78ELc76EKPKS1_KPS1_EviT_T0_PT6_S7_lSA_S7_lS8_PT7_S7_li.has_dyn_sized_stack, 0
	.set _ZL32rocblas_syrkx_herkx_small_kernelIl19rocblas_complex_numIdELi16ELb1ELb0ELc78ELc76EKPKS1_KPS1_EviT_T0_PT6_S7_lSA_S7_lS8_PT7_S7_li.has_recursion, 0
	.set _ZL32rocblas_syrkx_herkx_small_kernelIl19rocblas_complex_numIdELi16ELb1ELb0ELc78ELc76EKPKS1_KPS1_EviT_T0_PT6_S7_lSA_S7_lS8_PT7_S7_li.has_indirect_call, 0
	.section	.AMDGPU.csdata,"",@progbits
; Kernel info:
; codeLenInByte = 1804
; TotalNumSgprs: 31
; NumVgprs: 49
; ScratchSize: 0
; MemoryBound: 1
; FloatMode: 240
; IeeeMode: 1
; LDSByteSize: 8192 bytes/workgroup (compile time only)
; SGPRBlocks: 8
; VGPRBlocks: 12
; NumSGPRsForWavesPerEU: 65
; NumVGPRsForWavesPerEU: 49
; Occupancy: 4
; WaveLimiterHint : 1
; COMPUTE_PGM_RSRC2:SCRATCH_EN: 0
; COMPUTE_PGM_RSRC2:USER_SGPR: 6
; COMPUTE_PGM_RSRC2:TRAP_HANDLER: 0
; COMPUTE_PGM_RSRC2:TGID_X_EN: 1
; COMPUTE_PGM_RSRC2:TGID_Y_EN: 1
; COMPUTE_PGM_RSRC2:TGID_Z_EN: 1
; COMPUTE_PGM_RSRC2:TIDIG_COMP_CNT: 1
	.section	.text._ZL32rocblas_syrkx_herkx_small_kernelIl19rocblas_complex_numIdELi16ELb1ELb0ELc84ELc85EKPKS1_KPS1_EviT_T0_PT6_S7_lSA_S7_lS8_PT7_S7_li,"axG",@progbits,_ZL32rocblas_syrkx_herkx_small_kernelIl19rocblas_complex_numIdELi16ELb1ELb0ELc84ELc85EKPKS1_KPS1_EviT_T0_PT6_S7_lSA_S7_lS8_PT7_S7_li,comdat
	.globl	_ZL32rocblas_syrkx_herkx_small_kernelIl19rocblas_complex_numIdELi16ELb1ELb0ELc84ELc85EKPKS1_KPS1_EviT_T0_PT6_S7_lSA_S7_lS8_PT7_S7_li ; -- Begin function _ZL32rocblas_syrkx_herkx_small_kernelIl19rocblas_complex_numIdELi16ELb1ELb0ELc84ELc85EKPKS1_KPS1_EviT_T0_PT6_S7_lSA_S7_lS8_PT7_S7_li
	.p2align	8
	.type	_ZL32rocblas_syrkx_herkx_small_kernelIl19rocblas_complex_numIdELi16ELb1ELb0ELc84ELc85EKPKS1_KPS1_EviT_T0_PT6_S7_lSA_S7_lS8_PT7_S7_li,@function
_ZL32rocblas_syrkx_herkx_small_kernelIl19rocblas_complex_numIdELi16ELb1ELb0ELc84ELc85EKPKS1_KPS1_EviT_T0_PT6_S7_lSA_S7_lS8_PT7_S7_li: ; @_ZL32rocblas_syrkx_herkx_small_kernelIl19rocblas_complex_numIdELi16ELb1ELb0ELc84ELc85EKPKS1_KPS1_EviT_T0_PT6_S7_lSA_S7_lS8_PT7_S7_li
; %bb.0:
	s_load_dwordx2 s[10:11], s[4:5], 0x28
	s_load_dwordx4 s[20:23], s[4:5], 0x60
	s_load_dword s24, s[4:5], 0x0
	s_load_dwordx8 s[12:19], s[4:5], 0x8
	s_mov_b32 s9, 0
	s_lshl_b64 s[2:3], s[8:9], 3
	s_waitcnt lgkmcnt(0)
	s_add_u32 s0, s20, s2
	s_addc_u32 s1, s21, s3
	s_load_dwordx2 s[8:9], s[0:1], 0x0
	v_cmp_lt_i64_e64 s[0:1], s[12:13], 1
	v_lshl_add_u32 v6, s6, 4, v0
	v_lshl_add_u32 v18, s7, 4, v1
	s_and_b64 vcc, exec, s[0:1]
	v_ashrrev_i32_e32 v7, 31, v6
	v_cmp_gt_i32_e64 s[0:1], s24, v18
	v_ashrrev_i32_e32 v19, 31, v18
	s_cbranch_vccnz .LBB1670_11
; %bb.1:
	s_load_dwordx4 s[28:31], s[4:5], 0x38
	v_lshlrev_b32_e32 v5, 8, v1
	v_lshlrev_b32_e32 v20, 4, v0
	v_add_u32_e32 v21, v20, v5
	v_add_u32_e32 v22, 0x1000, v5
	s_waitcnt lgkmcnt(0)
	s_add_u32 s4, s28, s2
	s_addc_u32 s5, s29, s3
	s_add_u32 s2, s18, s2
	s_addc_u32 s3, s19, s3
	s_load_dwordx2 s[6:7], s[2:3], 0x0
	v_mul_lo_u32 v8, s31, v18
	v_mul_lo_u32 v9, s30, v19
	v_mad_u64_u32 v[3:4], s[2:3], s30, v18, 0
	s_load_dwordx2 s[4:5], s[4:5], 0x0
	v_mul_lo_u32 v11, s11, v6
	v_add3_u32 v4, v4, v9, v8
	v_lshlrev_b64 v[3:4], 4, v[3:4]
	v_mul_lo_u32 v12, s10, v7
	v_add_co_u32_e64 v5, s[2:3], v3, v20
	v_addc_co_u32_e64 v9, s[2:3], 0, v4, s[2:3]
	v_mad_u64_u32 v[3:4], s[2:3], s10, v6, 0
	s_waitcnt lgkmcnt(0)
	v_mov_b32_e32 v10, s5
	v_add_co_u32_e64 v8, s[2:3], s4, v5
	v_add3_u32 v4, v4, v12, v11
	v_lshlrev_b64 v[3:4], 4, v[3:4]
	v_addc_co_u32_e64 v9, s[2:3], v10, v9, s[2:3]
	v_lshlrev_b32_e32 v5, 4, v1
	v_add_co_u32_e64 v3, s[2:3], v3, v5
	v_addc_co_u32_e64 v4, s[2:3], 0, v4, s[2:3]
	v_mov_b32_e32 v5, s7
	v_add_co_u32_e64 v10, s[2:3], s6, v3
	v_cmp_gt_i32_e32 vcc, s24, v6
	v_addc_co_u32_e64 v11, s[2:3], v5, v4, s[2:3]
	v_mov_b32_e32 v14, 0
	v_mov_b32_e32 v16, 0
	;; [unrolled: 1-line block ×4, first 2 shown]
	v_add_u32_e32 v23, v22, v20
	v_mov_b32_e32 v15, 0
	s_mov_b64 s[2:3], 0
	s_xor_b64 s[4:5], vcc, -1
	s_xor_b64 s[6:7], s[0:1], -1
	v_mov_b32_e32 v17, 0
	v_mov_b32_e32 v13, s13
	s_branch .LBB1670_3
.LBB1670_2:                             ;   in Loop: Header=BB1670_3 Depth=1
	s_or_b64 exec, exec, s[0:1]
	s_waitcnt lgkmcnt(0)
	s_barrier
	ds_read_b128 v[24:27], v20
	ds_read_b128 v[28:31], v22
	ds_read_b128 v[32:35], v22 offset:16
	ds_read_b128 v[36:39], v20 offset:256
	s_add_u32 s2, s2, 16
	v_add_co_u32_e32 v8, vcc, 0x100, v8
	s_waitcnt lgkmcnt(2)
	v_mul_f64 v[3:4], v[30:31], v[26:27]
	v_mul_f64 v[26:27], v[28:29], v[26:27]
	s_waitcnt lgkmcnt(0)
	v_mul_f64 v[46:47], v[34:35], v[38:39]
	v_mul_f64 v[48:49], v[32:33], v[38:39]
	ds_read_b128 v[38:41], v20 offset:512
	s_addc_u32 s3, s3, 0
	v_addc_co_u32_e32 v9, vcc, 0, v9, vcc
	v_fma_f64 v[3:4], v[28:29], v[24:25], -v[3:4]
	v_fma_f64 v[50:51], v[30:31], v[24:25], v[26:27]
	ds_read_b128 v[24:27], v22 offset:32
	ds_read_b128 v[28:31], v22 offset:48
	;; [unrolled: 1-line block ×3, first 2 shown]
	v_fma_f64 v[32:33], v[32:33], v[36:37], -v[46:47]
	v_fma_f64 v[34:35], v[34:35], v[36:37], v[48:49]
	s_waitcnt lgkmcnt(2)
	v_mul_f64 v[36:37], v[26:27], v[40:41]
	v_mul_f64 v[40:41], v[24:25], v[40:41]
	s_waitcnt lgkmcnt(0)
	v_mul_f64 v[48:49], v[30:31], v[44:45]
	v_add_f64 v[3:4], v[16:17], v[3:4]
	v_add_f64 v[46:47], v[14:15], v[50:51]
	v_mul_f64 v[44:45], v[28:29], v[44:45]
	ds_read_b128 v[14:17], v20 offset:1024
	v_add_co_u32_e32 v10, vcc, 0x100, v10
	v_fma_f64 v[50:51], v[24:25], v[38:39], -v[36:37]
	v_fma_f64 v[40:41], v[26:27], v[38:39], v[40:41]
	v_add_f64 v[3:4], v[3:4], v[32:33]
	v_add_f64 v[46:47], v[46:47], v[34:35]
	ds_read_b128 v[24:27], v22 offset:64
	ds_read_b128 v[32:35], v22 offset:80
	;; [unrolled: 1-line block ×3, first 2 shown]
	v_fma_f64 v[48:49], v[28:29], v[42:43], -v[48:49]
	v_fma_f64 v[42:43], v[30:31], v[42:43], v[44:45]
	s_waitcnt lgkmcnt(2)
	v_mul_f64 v[44:45], v[26:27], v[16:17]
	v_mul_f64 v[16:17], v[24:25], v[16:17]
	ds_read_b128 v[28:31], v20 offset:1536
	v_add_f64 v[3:4], v[3:4], v[50:51]
	v_add_f64 v[40:41], v[46:47], v[40:41]
	s_waitcnt lgkmcnt(1)
	v_mul_f64 v[46:47], v[34:35], v[38:39]
	v_mul_f64 v[50:51], v[32:33], v[38:39]
	v_cmp_ge_i64_e64 s[0:1], s[2:3], v[12:13]
	v_fma_f64 v[44:45], v[24:25], v[14:15], -v[44:45]
	v_fma_f64 v[52:53], v[26:27], v[14:15], v[16:17]
	v_addc_co_u32_e32 v11, vcc, 0, v11, vcc
	v_add_f64 v[3:4], v[3:4], v[48:49]
	v_add_f64 v[42:43], v[40:41], v[42:43]
	ds_read_b128 v[14:17], v22 offset:96
	ds_read_b128 v[24:27], v22 offset:112
	;; [unrolled: 1-line block ×3, first 2 shown]
	v_fma_f64 v[46:47], v[32:33], v[36:37], -v[46:47]
	v_fma_f64 v[34:35], v[34:35], v[36:37], v[50:51]
	s_waitcnt lgkmcnt(2)
	v_mul_f64 v[36:37], v[16:17], v[30:31]
	v_mul_f64 v[48:49], v[14:15], v[30:31]
	s_waitcnt lgkmcnt(0)
	v_mul_f64 v[50:51], v[24:25], v[40:41]
	v_add_f64 v[3:4], v[3:4], v[44:45]
	v_add_f64 v[42:43], v[42:43], v[52:53]
	v_mul_f64 v[44:45], v[26:27], v[40:41]
	ds_read_b128 v[30:33], v20 offset:2048
	s_and_b64 vcc, exec, s[0:1]
	v_fma_f64 v[52:53], v[14:15], v[28:29], -v[36:37]
	v_fma_f64 v[28:29], v[16:17], v[28:29], v[48:49]
	v_add_f64 v[3:4], v[3:4], v[46:47]
	v_add_f64 v[46:47], v[42:43], v[34:35]
	ds_read_b128 v[14:17], v22 offset:128
	ds_read_b128 v[34:37], v22 offset:144
	;; [unrolled: 1-line block ×3, first 2 shown]
	v_fma_f64 v[44:45], v[24:25], v[38:39], -v[44:45]
	v_fma_f64 v[38:39], v[26:27], v[38:39], v[50:51]
	s_waitcnt lgkmcnt(2)
	v_mul_f64 v[48:49], v[16:17], v[32:33]
	v_mul_f64 v[32:33], v[14:15], v[32:33]
	s_waitcnt lgkmcnt(0)
	v_mul_f64 v[50:51], v[34:35], v[42:43]
	v_add_f64 v[3:4], v[3:4], v[52:53]
	v_add_f64 v[28:29], v[46:47], v[28:29]
	v_mul_f64 v[46:47], v[36:37], v[42:43]
	ds_read_b128 v[24:27], v20 offset:2560
	v_fma_f64 v[48:49], v[14:15], v[30:31], -v[48:49]
	v_fma_f64 v[32:33], v[16:17], v[30:31], v[32:33]
	v_fma_f64 v[36:37], v[36:37], v[40:41], v[50:51]
	v_add_f64 v[3:4], v[3:4], v[44:45]
	v_add_f64 v[38:39], v[28:29], v[38:39]
	ds_read_b128 v[14:17], v22 offset:160
	ds_read_b128 v[28:31], v22 offset:176
	;; [unrolled: 1-line block ×3, first 2 shown]
	v_fma_f64 v[46:47], v[34:35], v[40:41], -v[46:47]
	s_waitcnt lgkmcnt(2)
	v_mul_f64 v[40:41], v[16:17], v[26:27]
	v_mul_f64 v[26:27], v[14:15], v[26:27]
	v_add_f64 v[3:4], v[3:4], v[48:49]
	v_add_f64 v[38:39], v[38:39], v[32:33]
	s_waitcnt lgkmcnt(0)
	v_mul_f64 v[48:49], v[30:31], v[44:45]
	v_mul_f64 v[44:45], v[28:29], v[44:45]
	ds_read_b128 v[32:35], v20 offset:3072
	v_fma_f64 v[40:41], v[14:15], v[24:25], -v[40:41]
	v_fma_f64 v[50:51], v[16:17], v[24:25], v[26:27]
	v_add_f64 v[3:4], v[3:4], v[46:47]
	v_add_f64 v[46:47], v[38:39], v[36:37]
	ds_read_b128 v[14:17], v22 offset:192
	ds_read_b128 v[24:27], v22 offset:208
	;; [unrolled: 1-line block ×3, first 2 shown]
	v_fma_f64 v[48:49], v[28:29], v[42:43], -v[48:49]
	v_fma_f64 v[42:43], v[30:31], v[42:43], v[44:45]
	s_waitcnt lgkmcnt(2)
	v_mul_f64 v[44:45], v[16:17], v[34:35]
	v_mul_f64 v[34:35], v[14:15], v[34:35]
	ds_read_b128 v[28:31], v20 offset:3584
	v_add_f64 v[3:4], v[3:4], v[40:41]
	v_add_f64 v[40:41], v[46:47], v[50:51]
	s_waitcnt lgkmcnt(1)
	v_mul_f64 v[46:47], v[26:27], v[38:39]
	v_mul_f64 v[50:51], v[24:25], v[38:39]
	v_fma_f64 v[44:45], v[14:15], v[32:33], -v[44:45]
	v_fma_f64 v[52:53], v[16:17], v[32:33], v[34:35]
	v_add_f64 v[3:4], v[3:4], v[48:49]
	v_add_f64 v[42:43], v[40:41], v[42:43]
	ds_read_b128 v[14:17], v22 offset:224
	ds_read_b128 v[32:35], v22 offset:240
	;; [unrolled: 1-line block ×3, first 2 shown]
	v_fma_f64 v[24:25], v[24:25], v[36:37], -v[46:47]
	v_fma_f64 v[26:27], v[26:27], v[36:37], v[50:51]
	s_waitcnt lgkmcnt(2)
	v_mul_f64 v[36:37], v[16:17], v[30:31]
	v_mul_f64 v[30:31], v[14:15], v[30:31]
	s_waitcnt lgkmcnt(0)
	v_add_f64 v[3:4], v[3:4], v[44:45]
	v_add_f64 v[42:43], v[42:43], v[52:53]
	v_mul_f64 v[44:45], v[34:35], v[40:41]
	v_mul_f64 v[40:41], v[32:33], v[40:41]
	s_barrier
	v_fma_f64 v[14:15], v[14:15], v[28:29], -v[36:37]
	v_fma_f64 v[16:17], v[16:17], v[28:29], v[30:31]
	v_add_f64 v[3:4], v[3:4], v[24:25]
	v_add_f64 v[24:25], v[42:43], v[26:27]
	v_fma_f64 v[26:27], v[32:33], v[38:39], -v[44:45]
	v_fma_f64 v[28:29], v[34:35], v[38:39], v[40:41]
	v_add_f64 v[3:4], v[3:4], v[14:15]
	v_add_f64 v[14:15], v[24:25], v[16:17]
	;; [unrolled: 1-line block ×4, first 2 shown]
	s_cbranch_vccnz .LBB1670_12
.LBB1670_3:                             ; =>This Inner Loop Header: Depth=1
	v_mov_b32_e32 v4, s3
	v_add_co_u32_e32 v3, vcc, s2, v1
	v_addc_co_u32_e32 v4, vcc, 0, v4, vcc
	v_cmp_le_i64_e32 vcc, s[12:13], v[3:4]
	s_or_b64 s[0:1], s[4:5], vcc
	s_and_saveexec_b64 s[10:11], s[0:1]
	s_xor_b64 s[0:1], exec, s[10:11]
; %bb.4:                                ;   in Loop: Header=BB1670_3 Depth=1
	v_mov_b32_e32 v3, v2
	v_mov_b32_e32 v4, v2
	;; [unrolled: 1-line block ×3, first 2 shown]
	ds_write_b128 v21, v[2:5]
; %bb.5:                                ;   in Loop: Header=BB1670_3 Depth=1
	s_andn2_saveexec_b64 s[0:1], s[0:1]
	s_cbranch_execz .LBB1670_7
; %bb.6:                                ;   in Loop: Header=BB1670_3 Depth=1
	flat_load_dwordx4 v[24:27], v[10:11]
	s_waitcnt vmcnt(0) lgkmcnt(0)
	ds_write2_b64 v21, v[24:25], v[26:27] offset1:1
.LBB1670_7:                             ;   in Loop: Header=BB1670_3 Depth=1
	s_or_b64 exec, exec, s[0:1]
	v_mov_b32_e32 v4, s3
	v_add_co_u32_e32 v3, vcc, s2, v0
	v_addc_co_u32_e32 v4, vcc, 0, v4, vcc
	v_cmp_le_i64_e32 vcc, s[12:13], v[3:4]
	s_or_b64 s[0:1], s[6:7], vcc
	s_and_saveexec_b64 s[10:11], s[0:1]
	s_xor_b64 s[0:1], exec, s[10:11]
; %bb.8:                                ;   in Loop: Header=BB1670_3 Depth=1
	v_mov_b32_e32 v3, v2
	v_mov_b32_e32 v4, v2
	;; [unrolled: 1-line block ×3, first 2 shown]
	ds_write_b128 v23, v[2:5]
; %bb.9:                                ;   in Loop: Header=BB1670_3 Depth=1
	s_andn2_saveexec_b64 s[0:1], s[0:1]
	s_cbranch_execz .LBB1670_2
; %bb.10:                               ;   in Loop: Header=BB1670_3 Depth=1
	flat_load_dwordx4 v[24:27], v[8:9]
	s_waitcnt vmcnt(0) lgkmcnt(0)
	ds_write2_b64 v23, v[24:25], v[26:27] offset1:1
	s_branch .LBB1670_2
.LBB1670_11:
	v_mov_b32_e32 v14, 0
	v_mov_b32_e32 v16, 0
	;; [unrolled: 1-line block ×4, first 2 shown]
.LBB1670_12:
	v_cmp_le_i32_e32 vcc, v6, v18
	v_cmp_gt_i32_e64 s[0:1], s24, v18
	s_and_b64 s[0:1], vcc, s[0:1]
	s_and_saveexec_b64 s[2:3], s[0:1]
	s_cbranch_execz .LBB1670_14
; %bb.13:
	v_mul_f64 v[0:1], s[16:17], v[14:15]
	v_mul_f64 v[2:3], s[14:15], v[14:15]
	v_mul_lo_u32 v8, s23, v18
	v_mul_lo_u32 v9, s22, v19
	v_mad_u64_u32 v[4:5], s[0:1], s22, v18, 0
	v_add3_u32 v5, v5, v9, v8
	v_fma_f64 v[0:1], s[14:15], v[16:17], -v[0:1]
	v_fma_f64 v[2:3], s[16:17], v[16:17], v[2:3]
	v_lshlrev_b64 v[4:5], 4, v[4:5]
	s_waitcnt lgkmcnt(0)
	v_mov_b32_e32 v8, s9
	v_add_co_u32_e32 v9, vcc, s8, v4
	v_addc_co_u32_e32 v8, vcc, v8, v5, vcc
	v_lshlrev_b64 v[4:5], 4, v[6:7]
	v_add_co_u32_e32 v4, vcc, v9, v4
	v_addc_co_u32_e32 v5, vcc, v8, v5, vcc
	flat_store_dwordx4 v[4:5], v[0:3]
.LBB1670_14:
	s_endpgm
	.section	.rodata,"a",@progbits
	.p2align	6, 0x0
	.amdhsa_kernel _ZL32rocblas_syrkx_herkx_small_kernelIl19rocblas_complex_numIdELi16ELb1ELb0ELc84ELc85EKPKS1_KPS1_EviT_T0_PT6_S7_lSA_S7_lS8_PT7_S7_li
		.amdhsa_group_segment_fixed_size 8192
		.amdhsa_private_segment_fixed_size 0
		.amdhsa_kernarg_size 124
		.amdhsa_user_sgpr_count 6
		.amdhsa_user_sgpr_private_segment_buffer 1
		.amdhsa_user_sgpr_dispatch_ptr 0
		.amdhsa_user_sgpr_queue_ptr 0
		.amdhsa_user_sgpr_kernarg_segment_ptr 1
		.amdhsa_user_sgpr_dispatch_id 0
		.amdhsa_user_sgpr_flat_scratch_init 0
		.amdhsa_user_sgpr_private_segment_size 0
		.amdhsa_uses_dynamic_stack 0
		.amdhsa_system_sgpr_private_segment_wavefront_offset 0
		.amdhsa_system_sgpr_workgroup_id_x 1
		.amdhsa_system_sgpr_workgroup_id_y 1
		.amdhsa_system_sgpr_workgroup_id_z 1
		.amdhsa_system_sgpr_workgroup_info 0
		.amdhsa_system_vgpr_workitem_id 1
		.amdhsa_next_free_vgpr 54
		.amdhsa_next_free_sgpr 61
		.amdhsa_reserve_vcc 1
		.amdhsa_reserve_flat_scratch 0
		.amdhsa_float_round_mode_32 0
		.amdhsa_float_round_mode_16_64 0
		.amdhsa_float_denorm_mode_32 3
		.amdhsa_float_denorm_mode_16_64 3
		.amdhsa_dx10_clamp 1
		.amdhsa_ieee_mode 1
		.amdhsa_fp16_overflow 0
		.amdhsa_exception_fp_ieee_invalid_op 0
		.amdhsa_exception_fp_denorm_src 0
		.amdhsa_exception_fp_ieee_div_zero 0
		.amdhsa_exception_fp_ieee_overflow 0
		.amdhsa_exception_fp_ieee_underflow 0
		.amdhsa_exception_fp_ieee_inexact 0
		.amdhsa_exception_int_div_zero 0
	.end_amdhsa_kernel
	.section	.text._ZL32rocblas_syrkx_herkx_small_kernelIl19rocblas_complex_numIdELi16ELb1ELb0ELc84ELc85EKPKS1_KPS1_EviT_T0_PT6_S7_lSA_S7_lS8_PT7_S7_li,"axG",@progbits,_ZL32rocblas_syrkx_herkx_small_kernelIl19rocblas_complex_numIdELi16ELb1ELb0ELc84ELc85EKPKS1_KPS1_EviT_T0_PT6_S7_lSA_S7_lS8_PT7_S7_li,comdat
.Lfunc_end1670:
	.size	_ZL32rocblas_syrkx_herkx_small_kernelIl19rocblas_complex_numIdELi16ELb1ELb0ELc84ELc85EKPKS1_KPS1_EviT_T0_PT6_S7_lSA_S7_lS8_PT7_S7_li, .Lfunc_end1670-_ZL32rocblas_syrkx_herkx_small_kernelIl19rocblas_complex_numIdELi16ELb1ELb0ELc84ELc85EKPKS1_KPS1_EviT_T0_PT6_S7_lSA_S7_lS8_PT7_S7_li
                                        ; -- End function
	.set _ZL32rocblas_syrkx_herkx_small_kernelIl19rocblas_complex_numIdELi16ELb1ELb0ELc84ELc85EKPKS1_KPS1_EviT_T0_PT6_S7_lSA_S7_lS8_PT7_S7_li.num_vgpr, 54
	.set _ZL32rocblas_syrkx_herkx_small_kernelIl19rocblas_complex_numIdELi16ELb1ELb0ELc84ELc85EKPKS1_KPS1_EviT_T0_PT6_S7_lSA_S7_lS8_PT7_S7_li.num_agpr, 0
	.set _ZL32rocblas_syrkx_herkx_small_kernelIl19rocblas_complex_numIdELi16ELb1ELb0ELc84ELc85EKPKS1_KPS1_EviT_T0_PT6_S7_lSA_S7_lS8_PT7_S7_li.numbered_sgpr, 32
	.set _ZL32rocblas_syrkx_herkx_small_kernelIl19rocblas_complex_numIdELi16ELb1ELb0ELc84ELc85EKPKS1_KPS1_EviT_T0_PT6_S7_lSA_S7_lS8_PT7_S7_li.num_named_barrier, 0
	.set _ZL32rocblas_syrkx_herkx_small_kernelIl19rocblas_complex_numIdELi16ELb1ELb0ELc84ELc85EKPKS1_KPS1_EviT_T0_PT6_S7_lSA_S7_lS8_PT7_S7_li.private_seg_size, 0
	.set _ZL32rocblas_syrkx_herkx_small_kernelIl19rocblas_complex_numIdELi16ELb1ELb0ELc84ELc85EKPKS1_KPS1_EviT_T0_PT6_S7_lSA_S7_lS8_PT7_S7_li.uses_vcc, 1
	.set _ZL32rocblas_syrkx_herkx_small_kernelIl19rocblas_complex_numIdELi16ELb1ELb0ELc84ELc85EKPKS1_KPS1_EviT_T0_PT6_S7_lSA_S7_lS8_PT7_S7_li.uses_flat_scratch, 0
	.set _ZL32rocblas_syrkx_herkx_small_kernelIl19rocblas_complex_numIdELi16ELb1ELb0ELc84ELc85EKPKS1_KPS1_EviT_T0_PT6_S7_lSA_S7_lS8_PT7_S7_li.has_dyn_sized_stack, 0
	.set _ZL32rocblas_syrkx_herkx_small_kernelIl19rocblas_complex_numIdELi16ELb1ELb0ELc84ELc85EKPKS1_KPS1_EviT_T0_PT6_S7_lSA_S7_lS8_PT7_S7_li.has_recursion, 0
	.set _ZL32rocblas_syrkx_herkx_small_kernelIl19rocblas_complex_numIdELi16ELb1ELb0ELc84ELc85EKPKS1_KPS1_EviT_T0_PT6_S7_lSA_S7_lS8_PT7_S7_li.has_indirect_call, 0
	.section	.AMDGPU.csdata,"",@progbits
; Kernel info:
; codeLenInByte = 1852
; TotalNumSgprs: 36
; NumVgprs: 54
; ScratchSize: 0
; MemoryBound: 0
; FloatMode: 240
; IeeeMode: 1
; LDSByteSize: 8192 bytes/workgroup (compile time only)
; SGPRBlocks: 8
; VGPRBlocks: 13
; NumSGPRsForWavesPerEU: 65
; NumVGPRsForWavesPerEU: 54
; Occupancy: 4
; WaveLimiterHint : 1
; COMPUTE_PGM_RSRC2:SCRATCH_EN: 0
; COMPUTE_PGM_RSRC2:USER_SGPR: 6
; COMPUTE_PGM_RSRC2:TRAP_HANDLER: 0
; COMPUTE_PGM_RSRC2:TGID_X_EN: 1
; COMPUTE_PGM_RSRC2:TGID_Y_EN: 1
; COMPUTE_PGM_RSRC2:TGID_Z_EN: 1
; COMPUTE_PGM_RSRC2:TIDIG_COMP_CNT: 1
	.section	.text._ZL32rocblas_syrkx_herkx_small_kernelIl19rocblas_complex_numIdELi16ELb1ELb0ELc67ELc85EKPKS1_KPS1_EviT_T0_PT6_S7_lSA_S7_lS8_PT7_S7_li,"axG",@progbits,_ZL32rocblas_syrkx_herkx_small_kernelIl19rocblas_complex_numIdELi16ELb1ELb0ELc67ELc85EKPKS1_KPS1_EviT_T0_PT6_S7_lSA_S7_lS8_PT7_S7_li,comdat
	.globl	_ZL32rocblas_syrkx_herkx_small_kernelIl19rocblas_complex_numIdELi16ELb1ELb0ELc67ELc85EKPKS1_KPS1_EviT_T0_PT6_S7_lSA_S7_lS8_PT7_S7_li ; -- Begin function _ZL32rocblas_syrkx_herkx_small_kernelIl19rocblas_complex_numIdELi16ELb1ELb0ELc67ELc85EKPKS1_KPS1_EviT_T0_PT6_S7_lSA_S7_lS8_PT7_S7_li
	.p2align	8
	.type	_ZL32rocblas_syrkx_herkx_small_kernelIl19rocblas_complex_numIdELi16ELb1ELb0ELc67ELc85EKPKS1_KPS1_EviT_T0_PT6_S7_lSA_S7_lS8_PT7_S7_li,@function
_ZL32rocblas_syrkx_herkx_small_kernelIl19rocblas_complex_numIdELi16ELb1ELb0ELc67ELc85EKPKS1_KPS1_EviT_T0_PT6_S7_lSA_S7_lS8_PT7_S7_li: ; @_ZL32rocblas_syrkx_herkx_small_kernelIl19rocblas_complex_numIdELi16ELb1ELb0ELc67ELc85EKPKS1_KPS1_EviT_T0_PT6_S7_lSA_S7_lS8_PT7_S7_li
; %bb.0:
	s_load_dwordx2 s[10:11], s[4:5], 0x28
	s_load_dwordx4 s[20:23], s[4:5], 0x60
	s_load_dword s26, s[4:5], 0x0
	s_load_dwordx8 s[12:19], s[4:5], 0x8
	s_mov_b32 s9, 0
	s_lshl_b64 s[24:25], s[8:9], 3
	s_waitcnt lgkmcnt(0)
	s_add_u32 s0, s20, s24
	s_addc_u32 s1, s21, s25
	s_load_dwordx2 s[8:9], s[0:1], 0x0
	v_cmp_lt_i64_e64 s[0:1], s[12:13], 1
	v_lshl_add_u32 v7, s6, 4, v0
	v_lshl_add_u32 v19, s7, 4, v1
	s_and_b64 vcc, exec, s[0:1]
	v_ashrrev_i32_e32 v8, 31, v7
	v_cmp_gt_i32_e64 s[2:3], s26, v19
	v_ashrrev_i32_e32 v20, 31, v19
	s_cbranch_vccnz .LBB1671_9
; %bb.1:
	s_load_dwordx4 s[28:31], s[4:5], 0x38
	v_lshlrev_b32_e32 v5, 8, v1
	v_lshlrev_b32_e32 v21, 4, v0
	v_add_u32_e32 v22, v21, v5
	v_add_u32_e32 v23, 0x1000, v5
	s_waitcnt lgkmcnt(0)
	s_add_u32 s4, s28, s24
	s_addc_u32 s5, s29, s25
	s_add_u32 s6, s18, s24
	s_addc_u32 s7, s19, s25
	v_mul_lo_u32 v6, s31, v19
	v_mul_lo_u32 v9, s30, v20
	v_mad_u64_u32 v[3:4], s[18:19], s30, v19, 0
	s_load_dwordx2 s[4:5], s[4:5], 0x0
	v_mul_lo_u32 v11, s11, v7
	v_add3_u32 v4, v4, v9, v6
	v_lshlrev_b64 v[3:4], 4, v[3:4]
	v_mul_lo_u32 v12, s10, v8
	v_add_co_u32_e32 v5, vcc, v3, v21
	v_addc_co_u32_e32 v6, vcc, 0, v4, vcc
	v_mad_u64_u32 v[3:4], s[10:11], s10, v7, 0
	s_load_dwordx2 s[6:7], s[6:7], 0x0
	s_waitcnt lgkmcnt(0)
	v_mov_b32_e32 v10, s5
	v_add3_u32 v4, v4, v12, v11
	v_add_co_u32_e32 v9, vcc, s4, v5
	v_lshlrev_b64 v[3:4], 4, v[3:4]
	v_addc_co_u32_e32 v10, vcc, v10, v6, vcc
	v_lshlrev_b32_e32 v5, 4, v1
	v_add_co_u32_e32 v3, vcc, v3, v5
	v_addc_co_u32_e32 v4, vcc, 0, v4, vcc
	v_mov_b32_e32 v5, s7
	v_add_co_u32_e32 v11, vcc, s6, v3
	v_mov_b32_e32 v15, 0
	v_mov_b32_e32 v17, 0
	v_mov_b32_e32 v14, s13
	v_mov_b32_e32 v2, 0
	v_cmp_gt_i32_e64 s[0:1], s26, v7
	v_add_u32_e32 v24, v23, v21
	v_addc_co_u32_e32 v12, vcc, v5, v4, vcc
	v_mov_b32_e32 v16, 0
	s_mov_b64 s[4:5], 0
	s_xor_b64 s[6:7], s[2:3], -1
	v_mov_b32_e32 v18, 0
	v_mov_b32_e32 v13, s12
	s_branch .LBB1671_3
.LBB1671_2:                             ;   in Loop: Header=BB1671_3 Depth=1
	s_or_b64 exec, exec, s[2:3]
	s_waitcnt lgkmcnt(0)
	s_barrier
	ds_read_b128 v[3:6], v21
	ds_read_b128 v[25:28], v23
	ds_read_b128 v[29:32], v23 offset:16
	ds_read_b128 v[33:36], v21 offset:256
	s_add_u32 s4, s4, 16
	v_add_co_u32_e32 v9, vcc, 0x100, v9
	s_waitcnt lgkmcnt(2)
	v_mul_f64 v[39:40], v[27:28], v[5:6]
	v_mul_f64 v[5:6], v[25:26], v[5:6]
	s_waitcnt lgkmcnt(0)
	v_mul_f64 v[43:44], v[31:32], v[35:36]
	v_mul_f64 v[45:46], v[29:30], v[35:36]
	ds_read_b128 v[35:38], v21 offset:512
	s_addc_u32 s5, s5, 0
	v_addc_co_u32_e32 v10, vcc, 0, v10, vcc
	v_fma_f64 v[47:48], v[25:26], v[3:4], -v[39:40]
	v_fma_f64 v[49:50], v[27:28], v[3:4], v[5:6]
	ds_read_b128 v[3:6], v23 offset:32
	ds_read_b128 v[25:28], v23 offset:48
	;; [unrolled: 1-line block ×3, first 2 shown]
	v_fma_f64 v[29:30], v[29:30], v[33:34], -v[43:44]
	v_fma_f64 v[31:32], v[31:32], v[33:34], v[45:46]
	s_waitcnt lgkmcnt(2)
	v_mul_f64 v[33:34], v[5:6], v[37:38]
	v_mul_f64 v[37:38], v[3:4], v[37:38]
	v_add_co_u32_e32 v11, vcc, 0x100, v11
	v_add_f64 v[43:44], v[17:18], v[47:48]
	v_add_f64 v[45:46], v[15:16], v[49:50]
	s_waitcnt lgkmcnt(0)
	v_mul_f64 v[47:48], v[27:28], v[41:42]
	v_mul_f64 v[41:42], v[25:26], v[41:42]
	v_fma_f64 v[49:50], v[3:4], v[35:36], -v[33:34]
	v_fma_f64 v[37:38], v[5:6], v[35:36], v[37:38]
	ds_read_b128 v[15:18], v21 offset:1024
	v_cmp_ge_i64_e64 s[2:3], s[4:5], v[13:14]
	v_add_f64 v[43:44], v[43:44], v[29:30]
	v_add_f64 v[45:46], v[45:46], v[31:32]
	ds_read_b128 v[3:6], v23 offset:64
	ds_read_b128 v[29:32], v23 offset:80
	;; [unrolled: 1-line block ×3, first 2 shown]
	v_fma_f64 v[47:48], v[25:26], v[39:40], -v[47:48]
	v_fma_f64 v[39:40], v[27:28], v[39:40], v[41:42]
	s_waitcnt lgkmcnt(2)
	v_mul_f64 v[41:42], v[5:6], v[17:18]
	v_mul_f64 v[17:18], v[3:4], v[17:18]
	ds_read_b128 v[25:28], v21 offset:1536
	v_add_f64 v[43:44], v[43:44], v[49:50]
	v_add_f64 v[37:38], v[45:46], v[37:38]
	s_waitcnt lgkmcnt(1)
	v_mul_f64 v[45:46], v[31:32], v[35:36]
	v_mul_f64 v[49:50], v[29:30], v[35:36]
	v_addc_co_u32_e32 v12, vcc, 0, v12, vcc
	v_fma_f64 v[41:42], v[3:4], v[15:16], -v[41:42]
	v_fma_f64 v[51:52], v[5:6], v[15:16], v[17:18]
	v_add_f64 v[43:44], v[43:44], v[47:48]
	v_add_f64 v[39:40], v[37:38], v[39:40]
	ds_read_b128 v[3:6], v23 offset:96
	ds_read_b128 v[15:18], v23 offset:112
	;; [unrolled: 1-line block ×3, first 2 shown]
	v_fma_f64 v[45:46], v[29:30], v[33:34], -v[45:46]
	v_fma_f64 v[31:32], v[31:32], v[33:34], v[49:50]
	s_waitcnt lgkmcnt(2)
	v_mul_f64 v[33:34], v[5:6], v[27:28]
	v_mul_f64 v[47:48], v[3:4], v[27:28]
	s_waitcnt lgkmcnt(0)
	v_mul_f64 v[49:50], v[15:16], v[37:38]
	v_add_f64 v[41:42], v[43:44], v[41:42]
	v_add_f64 v[39:40], v[39:40], v[51:52]
	v_mul_f64 v[43:44], v[17:18], v[37:38]
	ds_read_b128 v[27:30], v21 offset:2048
	s_and_b64 vcc, exec, s[2:3]
	v_fma_f64 v[51:52], v[3:4], v[25:26], -v[33:34]
	v_fma_f64 v[25:26], v[5:6], v[25:26], v[47:48]
	v_add_f64 v[41:42], v[41:42], v[45:46]
	v_add_f64 v[45:46], v[39:40], v[31:32]
	ds_read_b128 v[3:6], v23 offset:128
	ds_read_b128 v[31:34], v23 offset:144
	;; [unrolled: 1-line block ×3, first 2 shown]
	v_fma_f64 v[43:44], v[15:16], v[35:36], -v[43:44]
	v_fma_f64 v[35:36], v[17:18], v[35:36], v[49:50]
	s_waitcnt lgkmcnt(2)
	v_mul_f64 v[47:48], v[5:6], v[29:30]
	v_mul_f64 v[29:30], v[3:4], v[29:30]
	s_waitcnt lgkmcnt(0)
	v_mul_f64 v[49:50], v[31:32], v[39:40]
	v_add_f64 v[41:42], v[41:42], v[51:52]
	v_add_f64 v[25:26], v[45:46], v[25:26]
	v_mul_f64 v[45:46], v[33:34], v[39:40]
	ds_read_b128 v[15:18], v21 offset:2560
	v_fma_f64 v[47:48], v[3:4], v[27:28], -v[47:48]
	v_fma_f64 v[29:30], v[5:6], v[27:28], v[29:30]
	v_fma_f64 v[33:34], v[33:34], v[37:38], v[49:50]
	v_add_f64 v[43:44], v[41:42], v[43:44]
	v_add_f64 v[35:36], v[25:26], v[35:36]
	ds_read_b128 v[3:6], v23 offset:160
	ds_read_b128 v[25:28], v23 offset:176
	ds_read_b128 v[39:42], v21 offset:2816
	v_fma_f64 v[45:46], v[31:32], v[37:38], -v[45:46]
	s_waitcnt lgkmcnt(2)
	v_mul_f64 v[37:38], v[5:6], v[17:18]
	v_mul_f64 v[17:18], v[3:4], v[17:18]
	v_add_f64 v[43:44], v[43:44], v[47:48]
	v_add_f64 v[35:36], v[35:36], v[29:30]
	s_waitcnt lgkmcnt(0)
	v_mul_f64 v[47:48], v[27:28], v[41:42]
	v_mul_f64 v[41:42], v[25:26], v[41:42]
	ds_read_b128 v[29:32], v21 offset:3072
	v_fma_f64 v[37:38], v[3:4], v[15:16], -v[37:38]
	v_fma_f64 v[49:50], v[5:6], v[15:16], v[17:18]
	v_add_f64 v[43:44], v[43:44], v[45:46]
	v_add_f64 v[45:46], v[35:36], v[33:34]
	ds_read_b128 v[3:6], v23 offset:192
	ds_read_b128 v[15:18], v23 offset:208
	ds_read_b128 v[33:36], v21 offset:3328
	v_fma_f64 v[47:48], v[25:26], v[39:40], -v[47:48]
	v_fma_f64 v[39:40], v[27:28], v[39:40], v[41:42]
	s_waitcnt lgkmcnt(2)
	v_mul_f64 v[41:42], v[5:6], v[31:32]
	v_mul_f64 v[31:32], v[3:4], v[31:32]
	ds_read_b128 v[25:28], v21 offset:3584
	v_add_f64 v[37:38], v[43:44], v[37:38]
	v_add_f64 v[43:44], v[45:46], v[49:50]
	s_waitcnt lgkmcnt(1)
	v_mul_f64 v[45:46], v[17:18], v[35:36]
	v_mul_f64 v[49:50], v[15:16], v[35:36]
	v_fma_f64 v[41:42], v[3:4], v[29:30], -v[41:42]
	v_fma_f64 v[51:52], v[5:6], v[29:30], v[31:32]
	v_add_f64 v[47:48], v[37:38], v[47:48]
	v_add_f64 v[39:40], v[43:44], v[39:40]
	ds_read_b128 v[3:6], v23 offset:224
	ds_read_b128 v[29:32], v23 offset:240
	;; [unrolled: 1-line block ×3, first 2 shown]
	v_fma_f64 v[15:16], v[15:16], v[33:34], -v[45:46]
	v_fma_f64 v[17:18], v[17:18], v[33:34], v[49:50]
	s_waitcnt lgkmcnt(2)
	v_mul_f64 v[33:34], v[5:6], v[27:28]
	v_mul_f64 v[27:28], v[3:4], v[27:28]
	s_waitcnt lgkmcnt(0)
	v_mul_f64 v[43:44], v[31:32], v[37:38]
	v_add_f64 v[41:42], v[47:48], v[41:42]
	v_add_f64 v[39:40], v[39:40], v[51:52]
	v_mul_f64 v[37:38], v[29:30], v[37:38]
	s_barrier
	v_fma_f64 v[3:4], v[3:4], v[25:26], -v[33:34]
	v_fma_f64 v[5:6], v[5:6], v[25:26], v[27:28]
	v_fma_f64 v[25:26], v[29:30], v[35:36], -v[43:44]
	v_add_f64 v[15:16], v[41:42], v[15:16]
	v_add_f64 v[17:18], v[39:40], v[17:18]
	v_fma_f64 v[27:28], v[31:32], v[35:36], v[37:38]
	v_add_f64 v[3:4], v[15:16], v[3:4]
	v_add_f64 v[5:6], v[17:18], v[5:6]
	;; [unrolled: 1-line block ×4, first 2 shown]
	s_cbranch_vccnz .LBB1671_10
.LBB1671_3:                             ; =>This Inner Loop Header: Depth=1
	v_mov_b32_e32 v4, s5
	v_add_co_u32_e32 v3, vcc, s4, v1
	v_addc_co_u32_e32 v4, vcc, 0, v4, vcc
	v_cmp_gt_i64_e32 vcc, s[12:13], v[3:4]
	v_mov_b32_e32 v3, 0
	v_mov_b32_e32 v5, 0
	;; [unrolled: 1-line block ×4, first 2 shown]
	s_and_b64 s[10:11], s[0:1], vcc
	s_and_saveexec_b64 s[2:3], s[10:11]
	s_cbranch_execz .LBB1671_5
; %bb.4:                                ;   in Loop: Header=BB1671_3 Depth=1
	flat_load_dwordx4 v[3:6], v[11:12]
.LBB1671_5:                             ;   in Loop: Header=BB1671_3 Depth=1
	s_or_b64 exec, exec, s[2:3]
	v_mov_b32_e32 v26, s5
	v_add_co_u32_e32 v25, vcc, s4, v0
	v_addc_co_u32_e32 v26, vcc, 0, v26, vcc
	v_cmp_le_i64_e32 vcc, s[12:13], v[25:26]
	s_waitcnt vmcnt(0) lgkmcnt(0)
	ds_write_b128 v22, v[3:6]
	s_or_b64 s[2:3], s[6:7], vcc
	s_and_saveexec_b64 s[10:11], s[2:3]
	s_xor_b64 s[2:3], exec, s[10:11]
; %bb.6:                                ;   in Loop: Header=BB1671_3 Depth=1
	v_mov_b32_e32 v3, v2
	v_mov_b32_e32 v4, v2
	;; [unrolled: 1-line block ×3, first 2 shown]
	ds_write_b128 v24, v[2:5]
; %bb.7:                                ;   in Loop: Header=BB1671_3 Depth=1
	s_andn2_saveexec_b64 s[2:3], s[2:3]
	s_cbranch_execz .LBB1671_2
; %bb.8:                                ;   in Loop: Header=BB1671_3 Depth=1
	flat_load_dwordx4 v[3:6], v[9:10]
	s_waitcnt vmcnt(0) lgkmcnt(0)
	ds_write2_b64 v24, v[3:4], v[5:6] offset1:1
	s_branch .LBB1671_2
.LBB1671_9:
	v_mov_b32_e32 v15, 0
	v_mov_b32_e32 v17, 0
	;; [unrolled: 1-line block ×4, first 2 shown]
.LBB1671_10:
	v_cmp_le_i32_e32 vcc, v7, v19
	v_cmp_gt_i32_e64 s[0:1], s26, v19
	s_and_b64 s[0:1], vcc, s[0:1]
	s_and_saveexec_b64 s[2:3], s[0:1]
	s_cbranch_execz .LBB1671_12
; %bb.11:
	v_mul_f64 v[0:1], s[16:17], v[15:16]
	v_mul_f64 v[2:3], s[14:15], v[15:16]
	v_mul_lo_u32 v6, s23, v19
	v_mul_lo_u32 v9, s22, v20
	v_mad_u64_u32 v[4:5], s[0:1], s22, v19, 0
	v_add3_u32 v5, v5, v9, v6
	v_fma_f64 v[0:1], s[14:15], v[17:18], -v[0:1]
	v_fma_f64 v[2:3], s[16:17], v[17:18], v[2:3]
	v_lshlrev_b64 v[4:5], 4, v[4:5]
	s_waitcnt lgkmcnt(0)
	v_mov_b32_e32 v6, s9
	v_add_co_u32_e32 v9, vcc, s8, v4
	v_addc_co_u32_e32 v6, vcc, v6, v5, vcc
	v_lshlrev_b64 v[4:5], 4, v[7:8]
	v_add_co_u32_e32 v4, vcc, v9, v4
	v_addc_co_u32_e32 v5, vcc, v6, v5, vcc
	flat_store_dwordx4 v[4:5], v[0:3]
.LBB1671_12:
	s_endpgm
	.section	.rodata,"a",@progbits
	.p2align	6, 0x0
	.amdhsa_kernel _ZL32rocblas_syrkx_herkx_small_kernelIl19rocblas_complex_numIdELi16ELb1ELb0ELc67ELc85EKPKS1_KPS1_EviT_T0_PT6_S7_lSA_S7_lS8_PT7_S7_li
		.amdhsa_group_segment_fixed_size 8192
		.amdhsa_private_segment_fixed_size 0
		.amdhsa_kernarg_size 124
		.amdhsa_user_sgpr_count 6
		.amdhsa_user_sgpr_private_segment_buffer 1
		.amdhsa_user_sgpr_dispatch_ptr 0
		.amdhsa_user_sgpr_queue_ptr 0
		.amdhsa_user_sgpr_kernarg_segment_ptr 1
		.amdhsa_user_sgpr_dispatch_id 0
		.amdhsa_user_sgpr_flat_scratch_init 0
		.amdhsa_user_sgpr_private_segment_size 0
		.amdhsa_uses_dynamic_stack 0
		.amdhsa_system_sgpr_private_segment_wavefront_offset 0
		.amdhsa_system_sgpr_workgroup_id_x 1
		.amdhsa_system_sgpr_workgroup_id_y 1
		.amdhsa_system_sgpr_workgroup_id_z 1
		.amdhsa_system_sgpr_workgroup_info 0
		.amdhsa_system_vgpr_workitem_id 1
		.amdhsa_next_free_vgpr 53
		.amdhsa_next_free_sgpr 61
		.amdhsa_reserve_vcc 1
		.amdhsa_reserve_flat_scratch 0
		.amdhsa_float_round_mode_32 0
		.amdhsa_float_round_mode_16_64 0
		.amdhsa_float_denorm_mode_32 3
		.amdhsa_float_denorm_mode_16_64 3
		.amdhsa_dx10_clamp 1
		.amdhsa_ieee_mode 1
		.amdhsa_fp16_overflow 0
		.amdhsa_exception_fp_ieee_invalid_op 0
		.amdhsa_exception_fp_denorm_src 0
		.amdhsa_exception_fp_ieee_div_zero 0
		.amdhsa_exception_fp_ieee_overflow 0
		.amdhsa_exception_fp_ieee_underflow 0
		.amdhsa_exception_fp_ieee_inexact 0
		.amdhsa_exception_int_div_zero 0
	.end_amdhsa_kernel
	.section	.text._ZL32rocblas_syrkx_herkx_small_kernelIl19rocblas_complex_numIdELi16ELb1ELb0ELc67ELc85EKPKS1_KPS1_EviT_T0_PT6_S7_lSA_S7_lS8_PT7_S7_li,"axG",@progbits,_ZL32rocblas_syrkx_herkx_small_kernelIl19rocblas_complex_numIdELi16ELb1ELb0ELc67ELc85EKPKS1_KPS1_EviT_T0_PT6_S7_lSA_S7_lS8_PT7_S7_li,comdat
.Lfunc_end1671:
	.size	_ZL32rocblas_syrkx_herkx_small_kernelIl19rocblas_complex_numIdELi16ELb1ELb0ELc67ELc85EKPKS1_KPS1_EviT_T0_PT6_S7_lSA_S7_lS8_PT7_S7_li, .Lfunc_end1671-_ZL32rocblas_syrkx_herkx_small_kernelIl19rocblas_complex_numIdELi16ELb1ELb0ELc67ELc85EKPKS1_KPS1_EviT_T0_PT6_S7_lSA_S7_lS8_PT7_S7_li
                                        ; -- End function
	.set _ZL32rocblas_syrkx_herkx_small_kernelIl19rocblas_complex_numIdELi16ELb1ELb0ELc67ELc85EKPKS1_KPS1_EviT_T0_PT6_S7_lSA_S7_lS8_PT7_S7_li.num_vgpr, 53
	.set _ZL32rocblas_syrkx_herkx_small_kernelIl19rocblas_complex_numIdELi16ELb1ELb0ELc67ELc85EKPKS1_KPS1_EviT_T0_PT6_S7_lSA_S7_lS8_PT7_S7_li.num_agpr, 0
	.set _ZL32rocblas_syrkx_herkx_small_kernelIl19rocblas_complex_numIdELi16ELb1ELb0ELc67ELc85EKPKS1_KPS1_EviT_T0_PT6_S7_lSA_S7_lS8_PT7_S7_li.numbered_sgpr, 32
	.set _ZL32rocblas_syrkx_herkx_small_kernelIl19rocblas_complex_numIdELi16ELb1ELb0ELc67ELc85EKPKS1_KPS1_EviT_T0_PT6_S7_lSA_S7_lS8_PT7_S7_li.num_named_barrier, 0
	.set _ZL32rocblas_syrkx_herkx_small_kernelIl19rocblas_complex_numIdELi16ELb1ELb0ELc67ELc85EKPKS1_KPS1_EviT_T0_PT6_S7_lSA_S7_lS8_PT7_S7_li.private_seg_size, 0
	.set _ZL32rocblas_syrkx_herkx_small_kernelIl19rocblas_complex_numIdELi16ELb1ELb0ELc67ELc85EKPKS1_KPS1_EviT_T0_PT6_S7_lSA_S7_lS8_PT7_S7_li.uses_vcc, 1
	.set _ZL32rocblas_syrkx_herkx_small_kernelIl19rocblas_complex_numIdELi16ELb1ELb0ELc67ELc85EKPKS1_KPS1_EviT_T0_PT6_S7_lSA_S7_lS8_PT7_S7_li.uses_flat_scratch, 0
	.set _ZL32rocblas_syrkx_herkx_small_kernelIl19rocblas_complex_numIdELi16ELb1ELb0ELc67ELc85EKPKS1_KPS1_EviT_T0_PT6_S7_lSA_S7_lS8_PT7_S7_li.has_dyn_sized_stack, 0
	.set _ZL32rocblas_syrkx_herkx_small_kernelIl19rocblas_complex_numIdELi16ELb1ELb0ELc67ELc85EKPKS1_KPS1_EviT_T0_PT6_S7_lSA_S7_lS8_PT7_S7_li.has_recursion, 0
	.set _ZL32rocblas_syrkx_herkx_small_kernelIl19rocblas_complex_numIdELi16ELb1ELb0ELc67ELc85EKPKS1_KPS1_EviT_T0_PT6_S7_lSA_S7_lS8_PT7_S7_li.has_indirect_call, 0
	.section	.AMDGPU.csdata,"",@progbits
; Kernel info:
; codeLenInByte = 1808
; TotalNumSgprs: 36
; NumVgprs: 53
; ScratchSize: 0
; MemoryBound: 1
; FloatMode: 240
; IeeeMode: 1
; LDSByteSize: 8192 bytes/workgroup (compile time only)
; SGPRBlocks: 8
; VGPRBlocks: 13
; NumSGPRsForWavesPerEU: 65
; NumVGPRsForWavesPerEU: 53
; Occupancy: 4
; WaveLimiterHint : 1
; COMPUTE_PGM_RSRC2:SCRATCH_EN: 0
; COMPUTE_PGM_RSRC2:USER_SGPR: 6
; COMPUTE_PGM_RSRC2:TRAP_HANDLER: 0
; COMPUTE_PGM_RSRC2:TGID_X_EN: 1
; COMPUTE_PGM_RSRC2:TGID_Y_EN: 1
; COMPUTE_PGM_RSRC2:TGID_Z_EN: 1
; COMPUTE_PGM_RSRC2:TIDIG_COMP_CNT: 1
	.section	.text._ZL32rocblas_syrkx_herkx_small_kernelIl19rocblas_complex_numIdELi16ELb1ELb0ELc78ELc85EKPKS1_KPS1_EviT_T0_PT6_S7_lSA_S7_lS8_PT7_S7_li,"axG",@progbits,_ZL32rocblas_syrkx_herkx_small_kernelIl19rocblas_complex_numIdELi16ELb1ELb0ELc78ELc85EKPKS1_KPS1_EviT_T0_PT6_S7_lSA_S7_lS8_PT7_S7_li,comdat
	.globl	_ZL32rocblas_syrkx_herkx_small_kernelIl19rocblas_complex_numIdELi16ELb1ELb0ELc78ELc85EKPKS1_KPS1_EviT_T0_PT6_S7_lSA_S7_lS8_PT7_S7_li ; -- Begin function _ZL32rocblas_syrkx_herkx_small_kernelIl19rocblas_complex_numIdELi16ELb1ELb0ELc78ELc85EKPKS1_KPS1_EviT_T0_PT6_S7_lSA_S7_lS8_PT7_S7_li
	.p2align	8
	.type	_ZL32rocblas_syrkx_herkx_small_kernelIl19rocblas_complex_numIdELi16ELb1ELb0ELc78ELc85EKPKS1_KPS1_EviT_T0_PT6_S7_lSA_S7_lS8_PT7_S7_li,@function
_ZL32rocblas_syrkx_herkx_small_kernelIl19rocblas_complex_numIdELi16ELb1ELb0ELc78ELc85EKPKS1_KPS1_EviT_T0_PT6_S7_lSA_S7_lS8_PT7_S7_li: ; @_ZL32rocblas_syrkx_herkx_small_kernelIl19rocblas_complex_numIdELi16ELb1ELb0ELc78ELc85EKPKS1_KPS1_EviT_T0_PT6_S7_lSA_S7_lS8_PT7_S7_li
; %bb.0:
	s_load_dwordx2 s[24:25], s[4:5], 0x28
	s_load_dwordx4 s[20:23], s[4:5], 0x60
	s_load_dword s26, s[4:5], 0x0
	s_load_dwordx8 s[12:19], s[4:5], 0x8
	s_mov_b32 s9, 0
	s_lshl_b64 s[2:3], s[8:9], 3
	s_waitcnt lgkmcnt(0)
	s_add_u32 s0, s20, s2
	s_addc_u32 s1, s21, s3
	s_load_dwordx2 s[20:21], s[0:1], 0x0
	v_cmp_lt_i64_e64 s[0:1], s[12:13], 1
	v_lshl_add_u32 v7, s6, 4, v0
	v_lshl_add_u32 v9, s7, 4, v1
	s_and_b64 vcc, exec, s[0:1]
	v_ashrrev_i32_e32 v8, 31, v7
	v_cmp_gt_i32_e64 s[0:1], s26, v9
	v_ashrrev_i32_e32 v10, 31, v9
	s_cbranch_vccnz .LBB1672_9
; %bb.1:
	s_load_dwordx4 s[8:11], s[4:5], 0x38
	v_lshlrev_b32_e32 v6, 8, v1
	v_lshlrev_b32_e32 v21, 4, v0
	v_add_u32_e32 v22, v21, v6
	v_add_u32_e32 v23, 0x1000, v6
	s_waitcnt lgkmcnt(0)
	s_add_u32 s4, s8, s2
	v_mad_u64_u32 v[3:4], s[6:7], s10, v0, 0
	s_addc_u32 s5, s9, s3
	s_add_u32 s2, s18, s2
	s_addc_u32 s3, s19, s3
	s_load_dwordx2 s[6:7], s[2:3], 0x0
	v_mad_u64_u32 v[4:5], s[2:3], s11, v0, v[4:5]
	v_mad_u64_u32 v[13:14], s[2:3], s24, v1, 0
	v_lshlrev_b64 v[3:4], 4, v[3:4]
	v_lshlrev_b64 v[5:6], 4, v[9:10]
	s_load_dwordx2 s[4:5], s[4:5], 0x0
	v_add_co_u32_e64 v5, s[2:3], v3, v5
	v_mov_b32_e32 v3, v14
	v_addc_co_u32_e64 v6, s[2:3], v4, v6, s[2:3]
	v_mad_u64_u32 v[3:4], s[2:3], s25, v1, v[3:4]
	s_waitcnt lgkmcnt(0)
	v_mov_b32_e32 v12, s5
	v_add_co_u32_e64 v11, s[2:3], s4, v5
	v_mov_b32_e32 v14, v3
	v_addc_co_u32_e64 v12, s[2:3], v12, v6, s[2:3]
	v_lshlrev_b64 v[3:4], 4, v[13:14]
	v_lshlrev_b64 v[5:6], 4, v[7:8]
	v_cmp_gt_i32_e32 vcc, s26, v7
	v_add_co_u32_e64 v3, s[2:3], v3, v5
	v_addc_co_u32_e64 v4, s[2:3], v4, v6, s[2:3]
	s_lshl_b64 s[4:5], s[10:11], 8
	v_mov_b32_e32 v5, s7
	v_add_co_u32_e64 v13, s[2:3], s6, v3
	s_lshl_b64 s[6:7], s[24:25], 8
	v_mov_b32_e32 v17, 0
	v_mov_b32_e32 v19, 0
	;; [unrolled: 1-line block ×4, first 2 shown]
	v_add_u32_e32 v24, v23, v21
	v_addc_co_u32_e64 v14, s[2:3], v5, v4, s[2:3]
	v_mov_b32_e32 v18, 0
	s_mov_b64 s[8:9], 0
	s_xor_b64 s[10:11], vcc, -1
	v_mov_b32_e32 v25, s5
	v_mov_b32_e32 v26, s7
	;; [unrolled: 1-line block ×4, first 2 shown]
	s_branch .LBB1672_3
.LBB1672_2:                             ;   in Loop: Header=BB1672_3 Depth=1
	s_or_b64 exec, exec, s[2:3]
	s_waitcnt vmcnt(0) lgkmcnt(0)
	ds_write_b128 v24, v[3:6]
	s_waitcnt lgkmcnt(0)
	s_barrier
	ds_read_b128 v[3:6], v21
	ds_read_b128 v[27:30], v23
	ds_read_b128 v[31:34], v23 offset:16
	ds_read_b128 v[35:38], v21 offset:256
	s_add_u32 s8, s8, 16
	v_add_co_u32_e32 v11, vcc, s4, v11
	s_waitcnt lgkmcnt(2)
	v_mul_f64 v[39:40], v[29:30], v[5:6]
	v_mul_f64 v[5:6], v[27:28], v[5:6]
	s_waitcnt lgkmcnt(0)
	v_mul_f64 v[41:42], v[33:34], v[37:38]
	v_mul_f64 v[43:44], v[31:32], v[37:38]
	v_addc_co_u32_e32 v12, vcc, v12, v25, vcc
	s_addc_u32 s9, s9, 0
	v_cmp_ge_i64_e32 vcc, s[8:9], v[15:16]
	v_fma_f64 v[45:46], v[27:28], v[3:4], -v[39:40]
	v_fma_f64 v[47:48], v[29:30], v[3:4], v[5:6]
	ds_read_b128 v[3:6], v21 offset:512
	ds_read_b128 v[27:30], v23 offset:32
	;; [unrolled: 1-line block ×3, first 2 shown]
	v_fma_f64 v[41:42], v[31:32], v[35:36], -v[41:42]
	v_fma_f64 v[35:36], v[33:34], v[35:36], v[43:44]
	ds_read_b128 v[31:34], v21 offset:768
	s_waitcnt lgkmcnt(2)
	v_mul_f64 v[43:44], v[29:30], v[5:6]
	v_mul_f64 v[5:6], v[27:28], v[5:6]
	v_add_f64 v[19:20], v[19:20], v[45:46]
	v_add_f64 v[17:18], v[17:18], v[47:48]
	s_waitcnt lgkmcnt(0)
	v_mul_f64 v[45:46], v[39:40], v[33:34]
	v_mul_f64 v[33:34], v[37:38], v[33:34]
	v_add_co_u32_e64 v13, s[2:3], s6, v13
	v_fma_f64 v[43:44], v[27:28], v[3:4], -v[43:44]
	v_fma_f64 v[47:48], v[29:30], v[3:4], v[5:6]
	v_add_f64 v[41:42], v[19:20], v[41:42]
	v_add_f64 v[35:36], v[17:18], v[35:36]
	ds_read_b128 v[3:6], v23 offset:64
	ds_read_b128 v[17:20], v21 offset:1024
	v_fma_f64 v[37:38], v[37:38], v[31:32], -v[45:46]
	v_fma_f64 v[39:40], v[39:40], v[31:32], v[33:34]
	ds_read_b128 v[27:30], v23 offset:80
	ds_read_b128 v[31:34], v21 offset:1280
	v_addc_co_u32_e64 v14, s[2:3], v14, v26, s[2:3]
	s_waitcnt lgkmcnt(2)
	v_mul_f64 v[45:46], v[5:6], v[19:20]
	v_mul_f64 v[19:20], v[3:4], v[19:20]
	v_add_f64 v[41:42], v[41:42], v[43:44]
	v_add_f64 v[35:36], v[35:36], v[47:48]
	s_waitcnt lgkmcnt(0)
	v_mul_f64 v[43:44], v[29:30], v[33:34]
	v_mul_f64 v[33:34], v[27:28], v[33:34]
	s_and_b64 vcc, exec, vcc
	v_fma_f64 v[45:46], v[3:4], v[17:18], -v[45:46]
	v_fma_f64 v[47:48], v[5:6], v[17:18], v[19:20]
	v_add_f64 v[37:38], v[41:42], v[37:38]
	v_add_f64 v[35:36], v[35:36], v[39:40]
	ds_read_b128 v[3:6], v23 offset:96
	ds_read_b128 v[17:20], v21 offset:1536
	v_fma_f64 v[39:40], v[27:28], v[31:32], -v[43:44]
	v_fma_f64 v[41:42], v[29:30], v[31:32], v[33:34]
	ds_read_b128 v[27:30], v23 offset:112
	ds_read_b128 v[31:34], v21 offset:1792
	s_waitcnt lgkmcnt(2)
	v_mul_f64 v[43:44], v[5:6], v[19:20]
	v_mul_f64 v[19:20], v[3:4], v[19:20]
	v_add_f64 v[37:38], v[37:38], v[45:46]
	v_add_f64 v[35:36], v[35:36], v[47:48]
	s_waitcnt lgkmcnt(0)
	v_mul_f64 v[45:46], v[29:30], v[33:34]
	v_mul_f64 v[33:34], v[27:28], v[33:34]
	v_fma_f64 v[43:44], v[3:4], v[17:18], -v[43:44]
	v_fma_f64 v[47:48], v[5:6], v[17:18], v[19:20]
	v_add_f64 v[37:38], v[37:38], v[39:40]
	v_add_f64 v[35:36], v[35:36], v[41:42]
	ds_read_b128 v[3:6], v23 offset:128
	ds_read_b128 v[17:20], v21 offset:2048
	v_fma_f64 v[39:40], v[27:28], v[31:32], -v[45:46]
	v_fma_f64 v[41:42], v[29:30], v[31:32], v[33:34]
	ds_read_b128 v[27:30], v23 offset:144
	ds_read_b128 v[31:34], v21 offset:2304
	s_waitcnt lgkmcnt(2)
	v_mul_f64 v[45:46], v[5:6], v[19:20]
	v_mul_f64 v[19:20], v[3:4], v[19:20]
	v_add_f64 v[37:38], v[37:38], v[43:44]
	v_add_f64 v[35:36], v[35:36], v[47:48]
	s_waitcnt lgkmcnt(0)
	v_mul_f64 v[43:44], v[29:30], v[33:34]
	v_mul_f64 v[33:34], v[27:28], v[33:34]
	;; [unrolled: 18-line block ×4, first 2 shown]
	v_fma_f64 v[45:46], v[3:4], v[17:18], -v[45:46]
	v_fma_f64 v[47:48], v[5:6], v[17:18], v[19:20]
	v_add_f64 v[37:38], v[37:38], v[39:40]
	v_add_f64 v[35:36], v[35:36], v[41:42]
	ds_read_b128 v[3:6], v23 offset:224
	ds_read_b128 v[17:20], v21 offset:3584
	v_fma_f64 v[39:40], v[27:28], v[31:32], -v[43:44]
	v_fma_f64 v[41:42], v[29:30], v[31:32], v[33:34]
	ds_read_b128 v[27:30], v23 offset:240
	ds_read_b128 v[31:34], v21 offset:3840
	s_waitcnt lgkmcnt(0)
	v_mul_f64 v[43:44], v[5:6], v[19:20]
	v_mul_f64 v[19:20], v[3:4], v[19:20]
	v_add_f64 v[37:38], v[37:38], v[45:46]
	v_add_f64 v[35:36], v[35:36], v[47:48]
	v_mul_f64 v[45:46], v[29:30], v[33:34]
	v_mul_f64 v[33:34], v[27:28], v[33:34]
	s_barrier
	v_fma_f64 v[3:4], v[3:4], v[17:18], -v[43:44]
	v_fma_f64 v[5:6], v[5:6], v[17:18], v[19:20]
	v_add_f64 v[17:18], v[37:38], v[39:40]
	v_add_f64 v[19:20], v[35:36], v[41:42]
	v_fma_f64 v[27:28], v[27:28], v[31:32], -v[45:46]
	v_fma_f64 v[29:30], v[29:30], v[31:32], v[33:34]
	v_add_f64 v[3:4], v[17:18], v[3:4]
	v_add_f64 v[5:6], v[19:20], v[5:6]
	;; [unrolled: 1-line block ×4, first 2 shown]
	s_cbranch_vccnz .LBB1672_10
.LBB1672_3:                             ; =>This Inner Loop Header: Depth=1
	v_mov_b32_e32 v4, s9
	v_add_co_u32_e32 v3, vcc, s8, v1
	v_addc_co_u32_e32 v4, vcc, 0, v4, vcc
	v_cmp_le_i64_e32 vcc, s[12:13], v[3:4]
	s_or_b64 s[2:3], s[10:11], vcc
	s_and_saveexec_b64 s[18:19], s[2:3]
	s_xor_b64 s[2:3], exec, s[18:19]
; %bb.4:                                ;   in Loop: Header=BB1672_3 Depth=1
	v_mov_b32_e32 v3, v2
	v_mov_b32_e32 v4, v2
	;; [unrolled: 1-line block ×3, first 2 shown]
	ds_write_b128 v22, v[2:5]
; %bb.5:                                ;   in Loop: Header=BB1672_3 Depth=1
	s_andn2_saveexec_b64 s[2:3], s[2:3]
	s_cbranch_execz .LBB1672_7
; %bb.6:                                ;   in Loop: Header=BB1672_3 Depth=1
	flat_load_dwordx4 v[3:6], v[13:14]
	s_waitcnt vmcnt(0) lgkmcnt(0)
	ds_write2_b64 v22, v[3:4], v[5:6] offset1:1
.LBB1672_7:                             ;   in Loop: Header=BB1672_3 Depth=1
	s_or_b64 exec, exec, s[2:3]
	v_mov_b32_e32 v4, s9
	v_add_co_u32_e32 v3, vcc, s8, v0
	v_addc_co_u32_e32 v4, vcc, 0, v4, vcc
	v_cmp_gt_i64_e32 vcc, s[12:13], v[3:4]
	v_mov_b32_e32 v3, 0
	v_mov_b32_e32 v5, 0
	;; [unrolled: 1-line block ×4, first 2 shown]
	s_and_b64 s[18:19], s[0:1], vcc
	s_and_saveexec_b64 s[2:3], s[18:19]
	s_cbranch_execz .LBB1672_2
; %bb.8:                                ;   in Loop: Header=BB1672_3 Depth=1
	flat_load_dwordx4 v[3:6], v[11:12]
	s_branch .LBB1672_2
.LBB1672_9:
	v_mov_b32_e32 v17, 0
	v_mov_b32_e32 v19, 0
	;; [unrolled: 1-line block ×4, first 2 shown]
.LBB1672_10:
	v_cmp_le_i32_e32 vcc, v7, v9
	v_cmp_gt_i32_e64 s[0:1], s26, v9
	s_and_b64 s[0:1], vcc, s[0:1]
	s_and_saveexec_b64 s[2:3], s[0:1]
	s_cbranch_execz .LBB1672_12
; %bb.11:
	v_mul_f64 v[0:1], s[16:17], v[17:18]
	v_mul_f64 v[2:3], s[14:15], v[17:18]
	v_mul_lo_u32 v6, s23, v9
	v_mul_lo_u32 v10, s22, v10
	v_mad_u64_u32 v[4:5], s[0:1], s22, v9, 0
	v_add3_u32 v5, v5, v10, v6
	v_fma_f64 v[0:1], s[14:15], v[19:20], -v[0:1]
	v_fma_f64 v[2:3], s[16:17], v[19:20], v[2:3]
	v_lshlrev_b64 v[4:5], 4, v[4:5]
	s_waitcnt lgkmcnt(0)
	v_mov_b32_e32 v6, s21
	v_add_co_u32_e32 v9, vcc, s20, v4
	v_addc_co_u32_e32 v6, vcc, v6, v5, vcc
	v_lshlrev_b64 v[4:5], 4, v[7:8]
	v_add_co_u32_e32 v4, vcc, v9, v4
	v_addc_co_u32_e32 v5, vcc, v6, v5, vcc
	flat_store_dwordx4 v[4:5], v[0:3]
.LBB1672_12:
	s_endpgm
	.section	.rodata,"a",@progbits
	.p2align	6, 0x0
	.amdhsa_kernel _ZL32rocblas_syrkx_herkx_small_kernelIl19rocblas_complex_numIdELi16ELb1ELb0ELc78ELc85EKPKS1_KPS1_EviT_T0_PT6_S7_lSA_S7_lS8_PT7_S7_li
		.amdhsa_group_segment_fixed_size 8192
		.amdhsa_private_segment_fixed_size 0
		.amdhsa_kernarg_size 124
		.amdhsa_user_sgpr_count 6
		.amdhsa_user_sgpr_private_segment_buffer 1
		.amdhsa_user_sgpr_dispatch_ptr 0
		.amdhsa_user_sgpr_queue_ptr 0
		.amdhsa_user_sgpr_kernarg_segment_ptr 1
		.amdhsa_user_sgpr_dispatch_id 0
		.amdhsa_user_sgpr_flat_scratch_init 0
		.amdhsa_user_sgpr_private_segment_size 0
		.amdhsa_uses_dynamic_stack 0
		.amdhsa_system_sgpr_private_segment_wavefront_offset 0
		.amdhsa_system_sgpr_workgroup_id_x 1
		.amdhsa_system_sgpr_workgroup_id_y 1
		.amdhsa_system_sgpr_workgroup_id_z 1
		.amdhsa_system_sgpr_workgroup_info 0
		.amdhsa_system_vgpr_workitem_id 1
		.amdhsa_next_free_vgpr 49
		.amdhsa_next_free_sgpr 61
		.amdhsa_reserve_vcc 1
		.amdhsa_reserve_flat_scratch 0
		.amdhsa_float_round_mode_32 0
		.amdhsa_float_round_mode_16_64 0
		.amdhsa_float_denorm_mode_32 3
		.amdhsa_float_denorm_mode_16_64 3
		.amdhsa_dx10_clamp 1
		.amdhsa_ieee_mode 1
		.amdhsa_fp16_overflow 0
		.amdhsa_exception_fp_ieee_invalid_op 0
		.amdhsa_exception_fp_denorm_src 0
		.amdhsa_exception_fp_ieee_div_zero 0
		.amdhsa_exception_fp_ieee_overflow 0
		.amdhsa_exception_fp_ieee_underflow 0
		.amdhsa_exception_fp_ieee_inexact 0
		.amdhsa_exception_int_div_zero 0
	.end_amdhsa_kernel
	.section	.text._ZL32rocblas_syrkx_herkx_small_kernelIl19rocblas_complex_numIdELi16ELb1ELb0ELc78ELc85EKPKS1_KPS1_EviT_T0_PT6_S7_lSA_S7_lS8_PT7_S7_li,"axG",@progbits,_ZL32rocblas_syrkx_herkx_small_kernelIl19rocblas_complex_numIdELi16ELb1ELb0ELc78ELc85EKPKS1_KPS1_EviT_T0_PT6_S7_lSA_S7_lS8_PT7_S7_li,comdat
.Lfunc_end1672:
	.size	_ZL32rocblas_syrkx_herkx_small_kernelIl19rocblas_complex_numIdELi16ELb1ELb0ELc78ELc85EKPKS1_KPS1_EviT_T0_PT6_S7_lSA_S7_lS8_PT7_S7_li, .Lfunc_end1672-_ZL32rocblas_syrkx_herkx_small_kernelIl19rocblas_complex_numIdELi16ELb1ELb0ELc78ELc85EKPKS1_KPS1_EviT_T0_PT6_S7_lSA_S7_lS8_PT7_S7_li
                                        ; -- End function
	.set _ZL32rocblas_syrkx_herkx_small_kernelIl19rocblas_complex_numIdELi16ELb1ELb0ELc78ELc85EKPKS1_KPS1_EviT_T0_PT6_S7_lSA_S7_lS8_PT7_S7_li.num_vgpr, 49
	.set _ZL32rocblas_syrkx_herkx_small_kernelIl19rocblas_complex_numIdELi16ELb1ELb0ELc78ELc85EKPKS1_KPS1_EviT_T0_PT6_S7_lSA_S7_lS8_PT7_S7_li.num_agpr, 0
	.set _ZL32rocblas_syrkx_herkx_small_kernelIl19rocblas_complex_numIdELi16ELb1ELb0ELc78ELc85EKPKS1_KPS1_EviT_T0_PT6_S7_lSA_S7_lS8_PT7_S7_li.numbered_sgpr, 27
	.set _ZL32rocblas_syrkx_herkx_small_kernelIl19rocblas_complex_numIdELi16ELb1ELb0ELc78ELc85EKPKS1_KPS1_EviT_T0_PT6_S7_lSA_S7_lS8_PT7_S7_li.num_named_barrier, 0
	.set _ZL32rocblas_syrkx_herkx_small_kernelIl19rocblas_complex_numIdELi16ELb1ELb0ELc78ELc85EKPKS1_KPS1_EviT_T0_PT6_S7_lSA_S7_lS8_PT7_S7_li.private_seg_size, 0
	.set _ZL32rocblas_syrkx_herkx_small_kernelIl19rocblas_complex_numIdELi16ELb1ELb0ELc78ELc85EKPKS1_KPS1_EviT_T0_PT6_S7_lSA_S7_lS8_PT7_S7_li.uses_vcc, 1
	.set _ZL32rocblas_syrkx_herkx_small_kernelIl19rocblas_complex_numIdELi16ELb1ELb0ELc78ELc85EKPKS1_KPS1_EviT_T0_PT6_S7_lSA_S7_lS8_PT7_S7_li.uses_flat_scratch, 0
	.set _ZL32rocblas_syrkx_herkx_small_kernelIl19rocblas_complex_numIdELi16ELb1ELb0ELc78ELc85EKPKS1_KPS1_EviT_T0_PT6_S7_lSA_S7_lS8_PT7_S7_li.has_dyn_sized_stack, 0
	.set _ZL32rocblas_syrkx_herkx_small_kernelIl19rocblas_complex_numIdELi16ELb1ELb0ELc78ELc85EKPKS1_KPS1_EviT_T0_PT6_S7_lSA_S7_lS8_PT7_S7_li.has_recursion, 0
	.set _ZL32rocblas_syrkx_herkx_small_kernelIl19rocblas_complex_numIdELi16ELb1ELb0ELc78ELc85EKPKS1_KPS1_EviT_T0_PT6_S7_lSA_S7_lS8_PT7_S7_li.has_indirect_call, 0
	.section	.AMDGPU.csdata,"",@progbits
; Kernel info:
; codeLenInByte = 1832
; TotalNumSgprs: 31
; NumVgprs: 49
; ScratchSize: 0
; MemoryBound: 1
; FloatMode: 240
; IeeeMode: 1
; LDSByteSize: 8192 bytes/workgroup (compile time only)
; SGPRBlocks: 8
; VGPRBlocks: 12
; NumSGPRsForWavesPerEU: 65
; NumVGPRsForWavesPerEU: 49
; Occupancy: 4
; WaveLimiterHint : 1
; COMPUTE_PGM_RSRC2:SCRATCH_EN: 0
; COMPUTE_PGM_RSRC2:USER_SGPR: 6
; COMPUTE_PGM_RSRC2:TRAP_HANDLER: 0
; COMPUTE_PGM_RSRC2:TGID_X_EN: 1
; COMPUTE_PGM_RSRC2:TGID_Y_EN: 1
; COMPUTE_PGM_RSRC2:TGID_Z_EN: 1
; COMPUTE_PGM_RSRC2:TIDIG_COMP_CNT: 1
	.section	.text._ZL32rocblas_syrkx_herkx_small_kernelIl19rocblas_complex_numIdELi16ELb0ELb0ELc84ELc76EKPKS1_KPS1_EviT_T0_PT6_S7_lSA_S7_lS8_PT7_S7_li,"axG",@progbits,_ZL32rocblas_syrkx_herkx_small_kernelIl19rocblas_complex_numIdELi16ELb0ELb0ELc84ELc76EKPKS1_KPS1_EviT_T0_PT6_S7_lSA_S7_lS8_PT7_S7_li,comdat
	.globl	_ZL32rocblas_syrkx_herkx_small_kernelIl19rocblas_complex_numIdELi16ELb0ELb0ELc84ELc76EKPKS1_KPS1_EviT_T0_PT6_S7_lSA_S7_lS8_PT7_S7_li ; -- Begin function _ZL32rocblas_syrkx_herkx_small_kernelIl19rocblas_complex_numIdELi16ELb0ELb0ELc84ELc76EKPKS1_KPS1_EviT_T0_PT6_S7_lSA_S7_lS8_PT7_S7_li
	.p2align	8
	.type	_ZL32rocblas_syrkx_herkx_small_kernelIl19rocblas_complex_numIdELi16ELb0ELb0ELc84ELc76EKPKS1_KPS1_EviT_T0_PT6_S7_lSA_S7_lS8_PT7_S7_li,@function
_ZL32rocblas_syrkx_herkx_small_kernelIl19rocblas_complex_numIdELi16ELb0ELb0ELc84ELc76EKPKS1_KPS1_EviT_T0_PT6_S7_lSA_S7_lS8_PT7_S7_li: ; @_ZL32rocblas_syrkx_herkx_small_kernelIl19rocblas_complex_numIdELi16ELb0ELb0ELc84ELc76EKPKS1_KPS1_EviT_T0_PT6_S7_lSA_S7_lS8_PT7_S7_li
; %bb.0:
	s_load_dword s28, s[4:5], 0x0
	s_load_dwordx8 s[12:19], s[4:5], 0x50
	s_load_dwordx8 s[20:27], s[4:5], 0x8
	s_load_dwordx2 s[10:11], s[4:5], 0x28
	s_mov_b32 s9, 0
	s_lshl_b64 s[2:3], s[8:9], 3
	s_waitcnt lgkmcnt(0)
	s_add_u32 s0, s16, s2
	s_addc_u32 s1, s17, s3
	s_load_dwordx2 s[8:9], s[0:1], 0x0
	v_cmp_lt_i64_e64 s[0:1], s[20:21], 1
	v_lshl_add_u32 v6, s6, 4, v0
	v_lshl_add_u32 v18, s7, 4, v1
	s_and_b64 vcc, exec, s[0:1]
	v_cmp_gt_i32_e64 s[0:1], s28, v6
	v_ashrrev_i32_e32 v7, 31, v6
	v_ashrrev_i32_e32 v19, 31, v18
	s_cbranch_vccnz .LBB1673_11
; %bb.1:
	s_load_dwordx4 s[36:39], s[4:5], 0x38
	v_lshlrev_b32_e32 v5, 8, v1
	v_lshlrev_b32_e32 v20, 4, v0
	v_add_u32_e32 v21, v20, v5
	v_add_u32_e32 v22, 0x1000, v5
	s_waitcnt lgkmcnt(0)
	s_add_u32 s4, s36, s2
	s_addc_u32 s5, s37, s3
	s_add_u32 s2, s26, s2
	s_addc_u32 s3, s27, s3
	s_load_dwordx2 s[6:7], s[2:3], 0x0
	v_mul_lo_u32 v8, s39, v18
	v_mul_lo_u32 v9, s38, v19
	v_mad_u64_u32 v[3:4], s[2:3], s38, v18, 0
	s_load_dwordx2 s[4:5], s[4:5], 0x0
	v_mul_lo_u32 v11, s11, v6
	v_add3_u32 v4, v4, v9, v8
	v_lshlrev_b64 v[3:4], 4, v[3:4]
	v_mul_lo_u32 v12, s10, v7
	v_add_co_u32_e64 v5, s[2:3], v3, v20
	v_addc_co_u32_e64 v9, s[2:3], 0, v4, s[2:3]
	v_mad_u64_u32 v[3:4], s[2:3], s10, v6, 0
	s_waitcnt lgkmcnt(0)
	v_mov_b32_e32 v10, s5
	v_add_co_u32_e64 v8, s[2:3], s4, v5
	v_add3_u32 v4, v4, v12, v11
	v_lshlrev_b64 v[3:4], 4, v[3:4]
	v_addc_co_u32_e64 v9, s[2:3], v10, v9, s[2:3]
	v_lshlrev_b32_e32 v5, 4, v1
	v_add_co_u32_e64 v3, s[2:3], v3, v5
	v_addc_co_u32_e64 v4, s[2:3], 0, v4, s[2:3]
	v_mov_b32_e32 v5, s7
	v_add_co_u32_e64 v10, s[2:3], s6, v3
	v_cmp_gt_i32_e32 vcc, s28, v18
	v_addc_co_u32_e64 v11, s[2:3], v5, v4, s[2:3]
	v_mov_b32_e32 v14, 0
	v_mov_b32_e32 v16, 0
	;; [unrolled: 1-line block ×4, first 2 shown]
	v_add_u32_e32 v23, v22, v20
	v_mov_b32_e32 v15, 0
	s_mov_b64 s[2:3], 0
	s_xor_b64 s[4:5], s[0:1], -1
	s_xor_b64 s[6:7], vcc, -1
	v_mov_b32_e32 v17, 0
	v_mov_b32_e32 v13, s21
	s_branch .LBB1673_3
.LBB1673_2:                             ;   in Loop: Header=BB1673_3 Depth=1
	s_or_b64 exec, exec, s[0:1]
	s_waitcnt lgkmcnt(0)
	s_barrier
	ds_read_b128 v[24:27], v20
	ds_read_b128 v[28:31], v22
	ds_read_b128 v[32:35], v22 offset:16
	ds_read_b128 v[36:39], v20 offset:256
	s_add_u32 s2, s2, 16
	v_add_co_u32_e32 v8, vcc, 0x100, v8
	s_waitcnt lgkmcnt(2)
	v_mul_f64 v[3:4], v[30:31], v[26:27]
	v_mul_f64 v[26:27], v[28:29], v[26:27]
	s_waitcnt lgkmcnt(0)
	v_mul_f64 v[46:47], v[34:35], v[38:39]
	v_mul_f64 v[48:49], v[32:33], v[38:39]
	ds_read_b128 v[38:41], v20 offset:512
	s_addc_u32 s3, s3, 0
	v_addc_co_u32_e32 v9, vcc, 0, v9, vcc
	v_fma_f64 v[3:4], v[28:29], v[24:25], -v[3:4]
	v_fma_f64 v[50:51], v[30:31], v[24:25], v[26:27]
	ds_read_b128 v[24:27], v22 offset:32
	ds_read_b128 v[28:31], v22 offset:48
	;; [unrolled: 1-line block ×3, first 2 shown]
	v_fma_f64 v[32:33], v[32:33], v[36:37], -v[46:47]
	v_fma_f64 v[34:35], v[34:35], v[36:37], v[48:49]
	s_waitcnt lgkmcnt(2)
	v_mul_f64 v[36:37], v[26:27], v[40:41]
	v_mul_f64 v[40:41], v[24:25], v[40:41]
	s_waitcnt lgkmcnt(0)
	v_mul_f64 v[48:49], v[30:31], v[44:45]
	v_add_f64 v[3:4], v[16:17], v[3:4]
	v_add_f64 v[46:47], v[14:15], v[50:51]
	v_mul_f64 v[44:45], v[28:29], v[44:45]
	ds_read_b128 v[14:17], v20 offset:1024
	v_add_co_u32_e32 v10, vcc, 0x100, v10
	v_fma_f64 v[50:51], v[24:25], v[38:39], -v[36:37]
	v_fma_f64 v[40:41], v[26:27], v[38:39], v[40:41]
	v_add_f64 v[3:4], v[3:4], v[32:33]
	v_add_f64 v[46:47], v[46:47], v[34:35]
	ds_read_b128 v[24:27], v22 offset:64
	ds_read_b128 v[32:35], v22 offset:80
	;; [unrolled: 1-line block ×3, first 2 shown]
	v_fma_f64 v[48:49], v[28:29], v[42:43], -v[48:49]
	v_fma_f64 v[42:43], v[30:31], v[42:43], v[44:45]
	s_waitcnt lgkmcnt(2)
	v_mul_f64 v[44:45], v[26:27], v[16:17]
	v_mul_f64 v[16:17], v[24:25], v[16:17]
	ds_read_b128 v[28:31], v20 offset:1536
	v_add_f64 v[3:4], v[3:4], v[50:51]
	v_add_f64 v[40:41], v[46:47], v[40:41]
	s_waitcnt lgkmcnt(1)
	v_mul_f64 v[46:47], v[34:35], v[38:39]
	v_mul_f64 v[50:51], v[32:33], v[38:39]
	v_cmp_ge_i64_e64 s[0:1], s[2:3], v[12:13]
	v_fma_f64 v[44:45], v[24:25], v[14:15], -v[44:45]
	v_fma_f64 v[52:53], v[26:27], v[14:15], v[16:17]
	v_addc_co_u32_e32 v11, vcc, 0, v11, vcc
	v_add_f64 v[3:4], v[3:4], v[48:49]
	v_add_f64 v[42:43], v[40:41], v[42:43]
	ds_read_b128 v[14:17], v22 offset:96
	ds_read_b128 v[24:27], v22 offset:112
	;; [unrolled: 1-line block ×3, first 2 shown]
	v_fma_f64 v[46:47], v[32:33], v[36:37], -v[46:47]
	v_fma_f64 v[34:35], v[34:35], v[36:37], v[50:51]
	s_waitcnt lgkmcnt(2)
	v_mul_f64 v[36:37], v[16:17], v[30:31]
	v_mul_f64 v[48:49], v[14:15], v[30:31]
	s_waitcnt lgkmcnt(0)
	v_mul_f64 v[50:51], v[24:25], v[40:41]
	v_add_f64 v[3:4], v[3:4], v[44:45]
	v_add_f64 v[42:43], v[42:43], v[52:53]
	v_mul_f64 v[44:45], v[26:27], v[40:41]
	ds_read_b128 v[30:33], v20 offset:2048
	s_and_b64 vcc, exec, s[0:1]
	v_fma_f64 v[52:53], v[14:15], v[28:29], -v[36:37]
	v_fma_f64 v[28:29], v[16:17], v[28:29], v[48:49]
	v_add_f64 v[3:4], v[3:4], v[46:47]
	v_add_f64 v[46:47], v[42:43], v[34:35]
	ds_read_b128 v[14:17], v22 offset:128
	ds_read_b128 v[34:37], v22 offset:144
	;; [unrolled: 1-line block ×3, first 2 shown]
	v_fma_f64 v[44:45], v[24:25], v[38:39], -v[44:45]
	v_fma_f64 v[38:39], v[26:27], v[38:39], v[50:51]
	s_waitcnt lgkmcnt(2)
	v_mul_f64 v[48:49], v[16:17], v[32:33]
	v_mul_f64 v[32:33], v[14:15], v[32:33]
	s_waitcnt lgkmcnt(0)
	v_mul_f64 v[50:51], v[34:35], v[42:43]
	v_add_f64 v[3:4], v[3:4], v[52:53]
	v_add_f64 v[28:29], v[46:47], v[28:29]
	v_mul_f64 v[46:47], v[36:37], v[42:43]
	ds_read_b128 v[24:27], v20 offset:2560
	v_fma_f64 v[48:49], v[14:15], v[30:31], -v[48:49]
	v_fma_f64 v[32:33], v[16:17], v[30:31], v[32:33]
	v_fma_f64 v[36:37], v[36:37], v[40:41], v[50:51]
	v_add_f64 v[3:4], v[3:4], v[44:45]
	v_add_f64 v[38:39], v[28:29], v[38:39]
	ds_read_b128 v[14:17], v22 offset:160
	ds_read_b128 v[28:31], v22 offset:176
	;; [unrolled: 1-line block ×3, first 2 shown]
	v_fma_f64 v[46:47], v[34:35], v[40:41], -v[46:47]
	s_waitcnt lgkmcnt(2)
	v_mul_f64 v[40:41], v[16:17], v[26:27]
	v_mul_f64 v[26:27], v[14:15], v[26:27]
	v_add_f64 v[3:4], v[3:4], v[48:49]
	v_add_f64 v[38:39], v[38:39], v[32:33]
	s_waitcnt lgkmcnt(0)
	v_mul_f64 v[48:49], v[30:31], v[44:45]
	v_mul_f64 v[44:45], v[28:29], v[44:45]
	ds_read_b128 v[32:35], v20 offset:3072
	v_fma_f64 v[40:41], v[14:15], v[24:25], -v[40:41]
	v_fma_f64 v[50:51], v[16:17], v[24:25], v[26:27]
	v_add_f64 v[3:4], v[3:4], v[46:47]
	v_add_f64 v[46:47], v[38:39], v[36:37]
	ds_read_b128 v[14:17], v22 offset:192
	ds_read_b128 v[24:27], v22 offset:208
	;; [unrolled: 1-line block ×3, first 2 shown]
	v_fma_f64 v[48:49], v[28:29], v[42:43], -v[48:49]
	v_fma_f64 v[42:43], v[30:31], v[42:43], v[44:45]
	s_waitcnt lgkmcnt(2)
	v_mul_f64 v[44:45], v[16:17], v[34:35]
	v_mul_f64 v[34:35], v[14:15], v[34:35]
	ds_read_b128 v[28:31], v20 offset:3584
	v_add_f64 v[3:4], v[3:4], v[40:41]
	v_add_f64 v[40:41], v[46:47], v[50:51]
	s_waitcnt lgkmcnt(1)
	v_mul_f64 v[46:47], v[26:27], v[38:39]
	v_mul_f64 v[50:51], v[24:25], v[38:39]
	v_fma_f64 v[44:45], v[14:15], v[32:33], -v[44:45]
	v_fma_f64 v[52:53], v[16:17], v[32:33], v[34:35]
	v_add_f64 v[3:4], v[3:4], v[48:49]
	v_add_f64 v[42:43], v[40:41], v[42:43]
	ds_read_b128 v[14:17], v22 offset:224
	ds_read_b128 v[32:35], v22 offset:240
	;; [unrolled: 1-line block ×3, first 2 shown]
	v_fma_f64 v[24:25], v[24:25], v[36:37], -v[46:47]
	v_fma_f64 v[26:27], v[26:27], v[36:37], v[50:51]
	s_waitcnt lgkmcnt(2)
	v_mul_f64 v[36:37], v[16:17], v[30:31]
	v_mul_f64 v[30:31], v[14:15], v[30:31]
	s_waitcnt lgkmcnt(0)
	v_add_f64 v[3:4], v[3:4], v[44:45]
	v_add_f64 v[42:43], v[42:43], v[52:53]
	v_mul_f64 v[44:45], v[34:35], v[40:41]
	v_mul_f64 v[40:41], v[32:33], v[40:41]
	s_barrier
	v_fma_f64 v[14:15], v[14:15], v[28:29], -v[36:37]
	v_fma_f64 v[16:17], v[16:17], v[28:29], v[30:31]
	v_add_f64 v[3:4], v[3:4], v[24:25]
	v_add_f64 v[24:25], v[42:43], v[26:27]
	v_fma_f64 v[26:27], v[32:33], v[38:39], -v[44:45]
	v_fma_f64 v[28:29], v[34:35], v[38:39], v[40:41]
	v_add_f64 v[3:4], v[3:4], v[14:15]
	v_add_f64 v[14:15], v[24:25], v[16:17]
	;; [unrolled: 1-line block ×4, first 2 shown]
	s_cbranch_vccnz .LBB1673_12
.LBB1673_3:                             ; =>This Inner Loop Header: Depth=1
	v_mov_b32_e32 v4, s3
	v_add_co_u32_e32 v3, vcc, s2, v1
	v_addc_co_u32_e32 v4, vcc, 0, v4, vcc
	v_cmp_le_i64_e32 vcc, s[20:21], v[3:4]
	s_or_b64 s[0:1], s[4:5], vcc
	s_and_saveexec_b64 s[10:11], s[0:1]
	s_xor_b64 s[0:1], exec, s[10:11]
; %bb.4:                                ;   in Loop: Header=BB1673_3 Depth=1
	v_mov_b32_e32 v3, v2
	v_mov_b32_e32 v4, v2
	;; [unrolled: 1-line block ×3, first 2 shown]
	ds_write_b128 v21, v[2:5]
; %bb.5:                                ;   in Loop: Header=BB1673_3 Depth=1
	s_andn2_saveexec_b64 s[0:1], s[0:1]
	s_cbranch_execz .LBB1673_7
; %bb.6:                                ;   in Loop: Header=BB1673_3 Depth=1
	flat_load_dwordx4 v[24:27], v[10:11]
	s_waitcnt vmcnt(0) lgkmcnt(0)
	ds_write2_b64 v21, v[24:25], v[26:27] offset1:1
.LBB1673_7:                             ;   in Loop: Header=BB1673_3 Depth=1
	s_or_b64 exec, exec, s[0:1]
	v_mov_b32_e32 v4, s3
	v_add_co_u32_e32 v3, vcc, s2, v0
	v_addc_co_u32_e32 v4, vcc, 0, v4, vcc
	v_cmp_le_i64_e32 vcc, s[20:21], v[3:4]
	s_or_b64 s[0:1], s[6:7], vcc
	s_and_saveexec_b64 s[10:11], s[0:1]
	s_xor_b64 s[0:1], exec, s[10:11]
; %bb.8:                                ;   in Loop: Header=BB1673_3 Depth=1
	v_mov_b32_e32 v3, v2
	v_mov_b32_e32 v4, v2
	;; [unrolled: 1-line block ×3, first 2 shown]
	ds_write_b128 v23, v[2:5]
; %bb.9:                                ;   in Loop: Header=BB1673_3 Depth=1
	s_andn2_saveexec_b64 s[0:1], s[0:1]
	s_cbranch_execz .LBB1673_2
; %bb.10:                               ;   in Loop: Header=BB1673_3 Depth=1
	flat_load_dwordx4 v[24:27], v[8:9]
	s_waitcnt vmcnt(0) lgkmcnt(0)
	ds_write2_b64 v23, v[24:25], v[26:27] offset1:1
	s_branch .LBB1673_2
.LBB1673_11:
	v_mov_b32_e32 v14, 0
	v_mov_b32_e32 v16, 0
	;; [unrolled: 1-line block ×4, first 2 shown]
.LBB1673_12:
	v_cmp_le_i32_e32 vcc, v18, v6
	v_cmp_gt_i32_e64 s[0:1], s28, v6
	s_and_b64 s[0:1], vcc, s[0:1]
	s_and_saveexec_b64 s[2:3], s[0:1]
	s_cbranch_execz .LBB1673_14
; %bb.13:
	v_mul_lo_u32 v2, s19, v18
	v_mul_lo_u32 v3, s18, v19
	v_mad_u64_u32 v[0:1], s[0:1], s18, v18, 0
	v_mul_f64 v[8:9], s[22:23], v[14:15]
	v_add3_u32 v1, v1, v3, v2
	v_lshlrev_b64 v[0:1], 4, v[0:1]
	s_waitcnt lgkmcnt(0)
	v_mov_b32_e32 v2, s9
	v_add_co_u32_e32 v3, vcc, s8, v0
	v_addc_co_u32_e32 v2, vcc, v2, v1, vcc
	v_lshlrev_b64 v[0:1], 4, v[6:7]
	v_mul_f64 v[6:7], s[24:25], v[14:15]
	v_add_co_u32_e32 v4, vcc, v3, v0
	v_addc_co_u32_e32 v5, vcc, v2, v1, vcc
	flat_load_dwordx4 v[0:3], v[4:5]
	v_fma_f64 v[8:9], s[24:25], v[16:17], v[8:9]
	v_fma_f64 v[6:7], s[22:23], v[16:17], -v[6:7]
	s_waitcnt vmcnt(0) lgkmcnt(0)
	v_mul_f64 v[10:11], s[14:15], v[2:3]
	v_mul_f64 v[2:3], s[12:13], v[2:3]
	v_fma_f64 v[10:11], s[12:13], v[0:1], -v[10:11]
	v_fma_f64 v[2:3], s[14:15], v[0:1], v[2:3]
	v_add_f64 v[0:1], v[6:7], v[10:11]
	v_add_f64 v[2:3], v[8:9], v[2:3]
	flat_store_dwordx4 v[4:5], v[0:3]
.LBB1673_14:
	s_endpgm
	.section	.rodata,"a",@progbits
	.p2align	6, 0x0
	.amdhsa_kernel _ZL32rocblas_syrkx_herkx_small_kernelIl19rocblas_complex_numIdELi16ELb0ELb0ELc84ELc76EKPKS1_KPS1_EviT_T0_PT6_S7_lSA_S7_lS8_PT7_S7_li
		.amdhsa_group_segment_fixed_size 8192
		.amdhsa_private_segment_fixed_size 0
		.amdhsa_kernarg_size 124
		.amdhsa_user_sgpr_count 6
		.amdhsa_user_sgpr_private_segment_buffer 1
		.amdhsa_user_sgpr_dispatch_ptr 0
		.amdhsa_user_sgpr_queue_ptr 0
		.amdhsa_user_sgpr_kernarg_segment_ptr 1
		.amdhsa_user_sgpr_dispatch_id 0
		.amdhsa_user_sgpr_flat_scratch_init 0
		.amdhsa_user_sgpr_private_segment_size 0
		.amdhsa_uses_dynamic_stack 0
		.amdhsa_system_sgpr_private_segment_wavefront_offset 0
		.amdhsa_system_sgpr_workgroup_id_x 1
		.amdhsa_system_sgpr_workgroup_id_y 1
		.amdhsa_system_sgpr_workgroup_id_z 1
		.amdhsa_system_sgpr_workgroup_info 0
		.amdhsa_system_vgpr_workitem_id 1
		.amdhsa_next_free_vgpr 54
		.amdhsa_next_free_sgpr 61
		.amdhsa_reserve_vcc 1
		.amdhsa_reserve_flat_scratch 0
		.amdhsa_float_round_mode_32 0
		.amdhsa_float_round_mode_16_64 0
		.amdhsa_float_denorm_mode_32 3
		.amdhsa_float_denorm_mode_16_64 3
		.amdhsa_dx10_clamp 1
		.amdhsa_ieee_mode 1
		.amdhsa_fp16_overflow 0
		.amdhsa_exception_fp_ieee_invalid_op 0
		.amdhsa_exception_fp_denorm_src 0
		.amdhsa_exception_fp_ieee_div_zero 0
		.amdhsa_exception_fp_ieee_overflow 0
		.amdhsa_exception_fp_ieee_underflow 0
		.amdhsa_exception_fp_ieee_inexact 0
		.amdhsa_exception_int_div_zero 0
	.end_amdhsa_kernel
	.section	.text._ZL32rocblas_syrkx_herkx_small_kernelIl19rocblas_complex_numIdELi16ELb0ELb0ELc84ELc76EKPKS1_KPS1_EviT_T0_PT6_S7_lSA_S7_lS8_PT7_S7_li,"axG",@progbits,_ZL32rocblas_syrkx_herkx_small_kernelIl19rocblas_complex_numIdELi16ELb0ELb0ELc84ELc76EKPKS1_KPS1_EviT_T0_PT6_S7_lSA_S7_lS8_PT7_S7_li,comdat
.Lfunc_end1673:
	.size	_ZL32rocblas_syrkx_herkx_small_kernelIl19rocblas_complex_numIdELi16ELb0ELb0ELc84ELc76EKPKS1_KPS1_EviT_T0_PT6_S7_lSA_S7_lS8_PT7_S7_li, .Lfunc_end1673-_ZL32rocblas_syrkx_herkx_small_kernelIl19rocblas_complex_numIdELi16ELb0ELb0ELc84ELc76EKPKS1_KPS1_EviT_T0_PT6_S7_lSA_S7_lS8_PT7_S7_li
                                        ; -- End function
	.set _ZL32rocblas_syrkx_herkx_small_kernelIl19rocblas_complex_numIdELi16ELb0ELb0ELc84ELc76EKPKS1_KPS1_EviT_T0_PT6_S7_lSA_S7_lS8_PT7_S7_li.num_vgpr, 54
	.set _ZL32rocblas_syrkx_herkx_small_kernelIl19rocblas_complex_numIdELi16ELb0ELb0ELc84ELc76EKPKS1_KPS1_EviT_T0_PT6_S7_lSA_S7_lS8_PT7_S7_li.num_agpr, 0
	.set _ZL32rocblas_syrkx_herkx_small_kernelIl19rocblas_complex_numIdELi16ELb0ELb0ELc84ELc76EKPKS1_KPS1_EviT_T0_PT6_S7_lSA_S7_lS8_PT7_S7_li.numbered_sgpr, 40
	.set _ZL32rocblas_syrkx_herkx_small_kernelIl19rocblas_complex_numIdELi16ELb0ELb0ELc84ELc76EKPKS1_KPS1_EviT_T0_PT6_S7_lSA_S7_lS8_PT7_S7_li.num_named_barrier, 0
	.set _ZL32rocblas_syrkx_herkx_small_kernelIl19rocblas_complex_numIdELi16ELb0ELb0ELc84ELc76EKPKS1_KPS1_EviT_T0_PT6_S7_lSA_S7_lS8_PT7_S7_li.private_seg_size, 0
	.set _ZL32rocblas_syrkx_herkx_small_kernelIl19rocblas_complex_numIdELi16ELb0ELb0ELc84ELc76EKPKS1_KPS1_EviT_T0_PT6_S7_lSA_S7_lS8_PT7_S7_li.uses_vcc, 1
	.set _ZL32rocblas_syrkx_herkx_small_kernelIl19rocblas_complex_numIdELi16ELb0ELb0ELc84ELc76EKPKS1_KPS1_EviT_T0_PT6_S7_lSA_S7_lS8_PT7_S7_li.uses_flat_scratch, 0
	.set _ZL32rocblas_syrkx_herkx_small_kernelIl19rocblas_complex_numIdELi16ELb0ELb0ELc84ELc76EKPKS1_KPS1_EviT_T0_PT6_S7_lSA_S7_lS8_PT7_S7_li.has_dyn_sized_stack, 0
	.set _ZL32rocblas_syrkx_herkx_small_kernelIl19rocblas_complex_numIdELi16ELb0ELb0ELc84ELc76EKPKS1_KPS1_EviT_T0_PT6_S7_lSA_S7_lS8_PT7_S7_li.has_recursion, 0
	.set _ZL32rocblas_syrkx_herkx_small_kernelIl19rocblas_complex_numIdELi16ELb0ELb0ELc84ELc76EKPKS1_KPS1_EviT_T0_PT6_S7_lSA_S7_lS8_PT7_S7_li.has_indirect_call, 0
	.section	.AMDGPU.csdata,"",@progbits
; Kernel info:
; codeLenInByte = 1912
; TotalNumSgprs: 44
; NumVgprs: 54
; ScratchSize: 0
; MemoryBound: 0
; FloatMode: 240
; IeeeMode: 1
; LDSByteSize: 8192 bytes/workgroup (compile time only)
; SGPRBlocks: 8
; VGPRBlocks: 13
; NumSGPRsForWavesPerEU: 65
; NumVGPRsForWavesPerEU: 54
; Occupancy: 4
; WaveLimiterHint : 1
; COMPUTE_PGM_RSRC2:SCRATCH_EN: 0
; COMPUTE_PGM_RSRC2:USER_SGPR: 6
; COMPUTE_PGM_RSRC2:TRAP_HANDLER: 0
; COMPUTE_PGM_RSRC2:TGID_X_EN: 1
; COMPUTE_PGM_RSRC2:TGID_Y_EN: 1
; COMPUTE_PGM_RSRC2:TGID_Z_EN: 1
; COMPUTE_PGM_RSRC2:TIDIG_COMP_CNT: 1
	.section	.text._ZL32rocblas_syrkx_herkx_small_kernelIl19rocblas_complex_numIdELi16ELb0ELb0ELc67ELc76EKPKS1_KPS1_EviT_T0_PT6_S7_lSA_S7_lS8_PT7_S7_li,"axG",@progbits,_ZL32rocblas_syrkx_herkx_small_kernelIl19rocblas_complex_numIdELi16ELb0ELb0ELc67ELc76EKPKS1_KPS1_EviT_T0_PT6_S7_lSA_S7_lS8_PT7_S7_li,comdat
	.globl	_ZL32rocblas_syrkx_herkx_small_kernelIl19rocblas_complex_numIdELi16ELb0ELb0ELc67ELc76EKPKS1_KPS1_EviT_T0_PT6_S7_lSA_S7_lS8_PT7_S7_li ; -- Begin function _ZL32rocblas_syrkx_herkx_small_kernelIl19rocblas_complex_numIdELi16ELb0ELb0ELc67ELc76EKPKS1_KPS1_EviT_T0_PT6_S7_lSA_S7_lS8_PT7_S7_li
	.p2align	8
	.type	_ZL32rocblas_syrkx_herkx_small_kernelIl19rocblas_complex_numIdELi16ELb0ELb0ELc67ELc76EKPKS1_KPS1_EviT_T0_PT6_S7_lSA_S7_lS8_PT7_S7_li,@function
_ZL32rocblas_syrkx_herkx_small_kernelIl19rocblas_complex_numIdELi16ELb0ELb0ELc67ELc76EKPKS1_KPS1_EviT_T0_PT6_S7_lSA_S7_lS8_PT7_S7_li: ; @_ZL32rocblas_syrkx_herkx_small_kernelIl19rocblas_complex_numIdELi16ELb0ELb0ELc67ELc76EKPKS1_KPS1_EviT_T0_PT6_S7_lSA_S7_lS8_PT7_S7_li
; %bb.0:
	s_load_dword s28, s[4:5], 0x0
	s_load_dwordx8 s[12:19], s[4:5], 0x50
	s_load_dwordx8 s[20:27], s[4:5], 0x8
	s_load_dwordx2 s[10:11], s[4:5], 0x28
	s_mov_b32 s9, 0
	s_lshl_b64 s[2:3], s[8:9], 3
	s_waitcnt lgkmcnt(0)
	s_add_u32 s0, s16, s2
	s_addc_u32 s1, s17, s3
	s_load_dwordx2 s[8:9], s[0:1], 0x0
	v_cmp_lt_i64_e64 s[0:1], s[20:21], 1
	v_lshl_add_u32 v7, s6, 4, v0
	v_lshl_add_u32 v19, s7, 4, v1
	s_and_b64 vcc, exec, s[0:1]
	v_cmp_gt_i32_e64 s[0:1], s28, v7
	v_ashrrev_i32_e32 v8, 31, v7
	v_ashrrev_i32_e32 v20, 31, v19
	s_cbranch_vccnz .LBB1674_9
; %bb.1:
	s_load_dwordx4 s[36:39], s[4:5], 0x38
	v_lshlrev_b32_e32 v5, 8, v1
	v_lshlrev_b32_e32 v21, 4, v0
	v_add_u32_e32 v22, v21, v5
	v_add_u32_e32 v23, 0x1000, v5
	s_waitcnt lgkmcnt(0)
	s_add_u32 s4, s36, s2
	s_addc_u32 s5, s37, s3
	s_add_u32 s2, s26, s2
	s_addc_u32 s3, s27, s3
	s_load_dwordx2 s[6:7], s[2:3], 0x0
	v_mul_lo_u32 v6, s39, v19
	v_mul_lo_u32 v9, s38, v20
	v_mad_u64_u32 v[3:4], s[2:3], s38, v19, 0
	s_load_dwordx2 s[4:5], s[4:5], 0x0
	v_mul_lo_u32 v11, s11, v7
	v_add3_u32 v4, v4, v9, v6
	v_lshlrev_b64 v[3:4], 4, v[3:4]
	v_mul_lo_u32 v12, s10, v8
	v_add_co_u32_e64 v5, s[2:3], v3, v21
	v_addc_co_u32_e64 v6, s[2:3], 0, v4, s[2:3]
	v_mad_u64_u32 v[3:4], s[2:3], s10, v7, 0
	s_waitcnt lgkmcnt(0)
	v_mov_b32_e32 v10, s5
	v_add_co_u32_e64 v9, s[2:3], s4, v5
	v_add3_u32 v4, v4, v12, v11
	v_lshlrev_b64 v[3:4], 4, v[3:4]
	v_addc_co_u32_e64 v10, s[2:3], v10, v6, s[2:3]
	v_lshlrev_b32_e32 v5, 4, v1
	v_add_co_u32_e64 v3, s[2:3], v3, v5
	v_addc_co_u32_e64 v4, s[2:3], 0, v4, s[2:3]
	v_cmp_gt_i32_e32 vcc, s28, v19
	v_mov_b32_e32 v5, s7
	v_add_co_u32_e64 v11, s[2:3], s6, v3
	v_mov_b32_e32 v15, 0
	v_mov_b32_e32 v17, 0
	;; [unrolled: 1-line block ×4, first 2 shown]
	v_add_u32_e32 v24, v23, v21
	v_addc_co_u32_e64 v12, s[2:3], v5, v4, s[2:3]
	v_mov_b32_e32 v16, 0
	s_mov_b64 s[4:5], 0
	s_xor_b64 s[6:7], vcc, -1
	v_mov_b32_e32 v18, 0
	v_mov_b32_e32 v14, s21
	s_branch .LBB1674_3
.LBB1674_2:                             ;   in Loop: Header=BB1674_3 Depth=1
	s_or_b64 exec, exec, s[2:3]
	s_waitcnt lgkmcnt(0)
	s_barrier
	ds_read_b128 v[3:6], v21
	ds_read_b128 v[25:28], v23
	ds_read_b128 v[29:32], v23 offset:16
	ds_read_b128 v[33:36], v21 offset:256
	s_add_u32 s4, s4, 16
	v_add_co_u32_e32 v9, vcc, 0x100, v9
	s_waitcnt lgkmcnt(2)
	v_mul_f64 v[39:40], v[27:28], v[5:6]
	v_mul_f64 v[5:6], v[25:26], v[5:6]
	s_waitcnt lgkmcnt(0)
	v_mul_f64 v[43:44], v[31:32], v[35:36]
	v_mul_f64 v[45:46], v[29:30], v[35:36]
	ds_read_b128 v[35:38], v21 offset:512
	s_addc_u32 s5, s5, 0
	v_addc_co_u32_e32 v10, vcc, 0, v10, vcc
	v_fma_f64 v[47:48], v[25:26], v[3:4], -v[39:40]
	v_fma_f64 v[49:50], v[27:28], v[3:4], v[5:6]
	ds_read_b128 v[3:6], v23 offset:32
	ds_read_b128 v[25:28], v23 offset:48
	;; [unrolled: 1-line block ×3, first 2 shown]
	v_fma_f64 v[29:30], v[29:30], v[33:34], -v[43:44]
	v_fma_f64 v[31:32], v[31:32], v[33:34], v[45:46]
	s_waitcnt lgkmcnt(2)
	v_mul_f64 v[33:34], v[5:6], v[37:38]
	v_mul_f64 v[37:38], v[3:4], v[37:38]
	v_add_co_u32_e32 v11, vcc, 0x100, v11
	v_add_f64 v[43:44], v[17:18], v[47:48]
	v_add_f64 v[45:46], v[15:16], v[49:50]
	s_waitcnt lgkmcnt(0)
	v_mul_f64 v[47:48], v[27:28], v[41:42]
	v_mul_f64 v[41:42], v[25:26], v[41:42]
	v_fma_f64 v[49:50], v[3:4], v[35:36], -v[33:34]
	v_fma_f64 v[37:38], v[5:6], v[35:36], v[37:38]
	ds_read_b128 v[15:18], v21 offset:1024
	v_cmp_ge_i64_e64 s[2:3], s[4:5], v[13:14]
	v_add_f64 v[43:44], v[43:44], v[29:30]
	v_add_f64 v[45:46], v[45:46], v[31:32]
	ds_read_b128 v[3:6], v23 offset:64
	ds_read_b128 v[29:32], v23 offset:80
	;; [unrolled: 1-line block ×3, first 2 shown]
	v_fma_f64 v[47:48], v[25:26], v[39:40], -v[47:48]
	v_fma_f64 v[39:40], v[27:28], v[39:40], v[41:42]
	s_waitcnt lgkmcnt(2)
	v_mul_f64 v[41:42], v[5:6], v[17:18]
	v_mul_f64 v[17:18], v[3:4], v[17:18]
	ds_read_b128 v[25:28], v21 offset:1536
	v_add_f64 v[43:44], v[43:44], v[49:50]
	v_add_f64 v[37:38], v[45:46], v[37:38]
	s_waitcnt lgkmcnt(1)
	v_mul_f64 v[45:46], v[31:32], v[35:36]
	v_mul_f64 v[49:50], v[29:30], v[35:36]
	v_addc_co_u32_e32 v12, vcc, 0, v12, vcc
	v_fma_f64 v[41:42], v[3:4], v[15:16], -v[41:42]
	v_fma_f64 v[51:52], v[5:6], v[15:16], v[17:18]
	v_add_f64 v[43:44], v[43:44], v[47:48]
	v_add_f64 v[39:40], v[37:38], v[39:40]
	ds_read_b128 v[3:6], v23 offset:96
	ds_read_b128 v[15:18], v23 offset:112
	;; [unrolled: 1-line block ×3, first 2 shown]
	v_fma_f64 v[45:46], v[29:30], v[33:34], -v[45:46]
	v_fma_f64 v[31:32], v[31:32], v[33:34], v[49:50]
	s_waitcnt lgkmcnt(2)
	v_mul_f64 v[33:34], v[5:6], v[27:28]
	v_mul_f64 v[47:48], v[3:4], v[27:28]
	s_waitcnt lgkmcnt(0)
	v_mul_f64 v[49:50], v[15:16], v[37:38]
	v_add_f64 v[41:42], v[43:44], v[41:42]
	v_add_f64 v[39:40], v[39:40], v[51:52]
	v_mul_f64 v[43:44], v[17:18], v[37:38]
	ds_read_b128 v[27:30], v21 offset:2048
	s_and_b64 vcc, exec, s[2:3]
	v_fma_f64 v[51:52], v[3:4], v[25:26], -v[33:34]
	v_fma_f64 v[25:26], v[5:6], v[25:26], v[47:48]
	v_add_f64 v[41:42], v[41:42], v[45:46]
	v_add_f64 v[45:46], v[39:40], v[31:32]
	ds_read_b128 v[3:6], v23 offset:128
	ds_read_b128 v[31:34], v23 offset:144
	;; [unrolled: 1-line block ×3, first 2 shown]
	v_fma_f64 v[43:44], v[15:16], v[35:36], -v[43:44]
	v_fma_f64 v[35:36], v[17:18], v[35:36], v[49:50]
	s_waitcnt lgkmcnt(2)
	v_mul_f64 v[47:48], v[5:6], v[29:30]
	v_mul_f64 v[29:30], v[3:4], v[29:30]
	s_waitcnt lgkmcnt(0)
	v_mul_f64 v[49:50], v[31:32], v[39:40]
	v_add_f64 v[41:42], v[41:42], v[51:52]
	v_add_f64 v[25:26], v[45:46], v[25:26]
	v_mul_f64 v[45:46], v[33:34], v[39:40]
	ds_read_b128 v[15:18], v21 offset:2560
	v_fma_f64 v[47:48], v[3:4], v[27:28], -v[47:48]
	v_fma_f64 v[29:30], v[5:6], v[27:28], v[29:30]
	v_fma_f64 v[33:34], v[33:34], v[37:38], v[49:50]
	v_add_f64 v[43:44], v[41:42], v[43:44]
	v_add_f64 v[35:36], v[25:26], v[35:36]
	ds_read_b128 v[3:6], v23 offset:160
	ds_read_b128 v[25:28], v23 offset:176
	;; [unrolled: 1-line block ×3, first 2 shown]
	v_fma_f64 v[45:46], v[31:32], v[37:38], -v[45:46]
	s_waitcnt lgkmcnt(2)
	v_mul_f64 v[37:38], v[5:6], v[17:18]
	v_mul_f64 v[17:18], v[3:4], v[17:18]
	v_add_f64 v[43:44], v[43:44], v[47:48]
	v_add_f64 v[35:36], v[35:36], v[29:30]
	s_waitcnt lgkmcnt(0)
	v_mul_f64 v[47:48], v[27:28], v[41:42]
	v_mul_f64 v[41:42], v[25:26], v[41:42]
	ds_read_b128 v[29:32], v21 offset:3072
	v_fma_f64 v[37:38], v[3:4], v[15:16], -v[37:38]
	v_fma_f64 v[49:50], v[5:6], v[15:16], v[17:18]
	v_add_f64 v[43:44], v[43:44], v[45:46]
	v_add_f64 v[45:46], v[35:36], v[33:34]
	ds_read_b128 v[3:6], v23 offset:192
	ds_read_b128 v[15:18], v23 offset:208
	;; [unrolled: 1-line block ×3, first 2 shown]
	v_fma_f64 v[47:48], v[25:26], v[39:40], -v[47:48]
	v_fma_f64 v[39:40], v[27:28], v[39:40], v[41:42]
	s_waitcnt lgkmcnt(2)
	v_mul_f64 v[41:42], v[5:6], v[31:32]
	v_mul_f64 v[31:32], v[3:4], v[31:32]
	ds_read_b128 v[25:28], v21 offset:3584
	v_add_f64 v[37:38], v[43:44], v[37:38]
	v_add_f64 v[43:44], v[45:46], v[49:50]
	s_waitcnt lgkmcnt(1)
	v_mul_f64 v[45:46], v[17:18], v[35:36]
	v_mul_f64 v[49:50], v[15:16], v[35:36]
	v_fma_f64 v[41:42], v[3:4], v[29:30], -v[41:42]
	v_fma_f64 v[51:52], v[5:6], v[29:30], v[31:32]
	v_add_f64 v[47:48], v[37:38], v[47:48]
	v_add_f64 v[39:40], v[43:44], v[39:40]
	ds_read_b128 v[3:6], v23 offset:224
	ds_read_b128 v[29:32], v23 offset:240
	;; [unrolled: 1-line block ×3, first 2 shown]
	v_fma_f64 v[15:16], v[15:16], v[33:34], -v[45:46]
	v_fma_f64 v[17:18], v[17:18], v[33:34], v[49:50]
	s_waitcnt lgkmcnt(2)
	v_mul_f64 v[33:34], v[5:6], v[27:28]
	v_mul_f64 v[27:28], v[3:4], v[27:28]
	s_waitcnt lgkmcnt(0)
	v_mul_f64 v[43:44], v[31:32], v[37:38]
	v_add_f64 v[41:42], v[47:48], v[41:42]
	v_add_f64 v[39:40], v[39:40], v[51:52]
	v_mul_f64 v[37:38], v[29:30], v[37:38]
	s_barrier
	v_fma_f64 v[3:4], v[3:4], v[25:26], -v[33:34]
	v_fma_f64 v[5:6], v[5:6], v[25:26], v[27:28]
	v_fma_f64 v[25:26], v[29:30], v[35:36], -v[43:44]
	v_add_f64 v[15:16], v[41:42], v[15:16]
	v_add_f64 v[17:18], v[39:40], v[17:18]
	v_fma_f64 v[27:28], v[31:32], v[35:36], v[37:38]
	v_add_f64 v[3:4], v[15:16], v[3:4]
	v_add_f64 v[5:6], v[17:18], v[5:6]
	;; [unrolled: 1-line block ×4, first 2 shown]
	s_cbranch_vccnz .LBB1674_10
.LBB1674_3:                             ; =>This Inner Loop Header: Depth=1
	v_mov_b32_e32 v4, s5
	v_add_co_u32_e32 v3, vcc, s4, v1
	v_addc_co_u32_e32 v4, vcc, 0, v4, vcc
	v_cmp_gt_i64_e32 vcc, s[20:21], v[3:4]
	v_mov_b32_e32 v3, 0
	v_mov_b32_e32 v5, 0
	;; [unrolled: 1-line block ×4, first 2 shown]
	s_and_b64 s[10:11], s[0:1], vcc
	s_and_saveexec_b64 s[2:3], s[10:11]
	s_cbranch_execz .LBB1674_5
; %bb.4:                                ;   in Loop: Header=BB1674_3 Depth=1
	flat_load_dwordx4 v[3:6], v[11:12]
.LBB1674_5:                             ;   in Loop: Header=BB1674_3 Depth=1
	s_or_b64 exec, exec, s[2:3]
	v_mov_b32_e32 v26, s5
	v_add_co_u32_e32 v25, vcc, s4, v0
	v_addc_co_u32_e32 v26, vcc, 0, v26, vcc
	v_cmp_le_i64_e32 vcc, s[20:21], v[25:26]
	s_waitcnt vmcnt(0) lgkmcnt(0)
	ds_write_b128 v22, v[3:6]
	s_or_b64 s[2:3], s[6:7], vcc
	s_and_saveexec_b64 s[10:11], s[2:3]
	s_xor_b64 s[2:3], exec, s[10:11]
; %bb.6:                                ;   in Loop: Header=BB1674_3 Depth=1
	v_mov_b32_e32 v3, v2
	v_mov_b32_e32 v4, v2
	;; [unrolled: 1-line block ×3, first 2 shown]
	ds_write_b128 v24, v[2:5]
; %bb.7:                                ;   in Loop: Header=BB1674_3 Depth=1
	s_andn2_saveexec_b64 s[2:3], s[2:3]
	s_cbranch_execz .LBB1674_2
; %bb.8:                                ;   in Loop: Header=BB1674_3 Depth=1
	flat_load_dwordx4 v[3:6], v[9:10]
	s_waitcnt vmcnt(0) lgkmcnt(0)
	ds_write2_b64 v24, v[3:4], v[5:6] offset1:1
	s_branch .LBB1674_2
.LBB1674_9:
	v_mov_b32_e32 v15, 0
	v_mov_b32_e32 v17, 0
	v_mov_b32_e32 v16, 0
	v_mov_b32_e32 v18, 0
.LBB1674_10:
	v_cmp_le_i32_e32 vcc, v19, v7
	v_cmp_gt_i32_e64 s[0:1], s28, v7
	s_and_b64 s[0:1], vcc, s[0:1]
	s_and_saveexec_b64 s[2:3], s[0:1]
	s_cbranch_execz .LBB1674_12
; %bb.11:
	v_mul_lo_u32 v2, s19, v19
	v_mul_lo_u32 v3, s18, v20
	v_mad_u64_u32 v[0:1], s[0:1], s18, v19, 0
	v_add3_u32 v1, v1, v3, v2
	v_lshlrev_b64 v[0:1], 4, v[0:1]
	s_waitcnt lgkmcnt(0)
	v_mov_b32_e32 v2, s9
	v_add_co_u32_e32 v3, vcc, s8, v0
	v_addc_co_u32_e32 v2, vcc, v2, v1, vcc
	v_lshlrev_b64 v[0:1], 4, v[7:8]
	v_mul_f64 v[6:7], s[24:25], v[15:16]
	v_add_co_u32_e32 v4, vcc, v3, v0
	v_addc_co_u32_e32 v5, vcc, v2, v1, vcc
	flat_load_dwordx4 v[0:3], v[4:5]
	v_mul_f64 v[8:9], s[22:23], v[15:16]
	v_fma_f64 v[6:7], s[22:23], v[17:18], -v[6:7]
	v_fma_f64 v[8:9], s[24:25], v[17:18], v[8:9]
	s_waitcnt vmcnt(0) lgkmcnt(0)
	v_mul_f64 v[10:11], s[14:15], v[2:3]
	v_mul_f64 v[2:3], s[12:13], v[2:3]
	v_fma_f64 v[10:11], s[12:13], v[0:1], -v[10:11]
	v_fma_f64 v[2:3], s[14:15], v[0:1], v[2:3]
	v_add_f64 v[0:1], v[6:7], v[10:11]
	v_add_f64 v[2:3], v[8:9], v[2:3]
	flat_store_dwordx4 v[4:5], v[0:3]
.LBB1674_12:
	s_endpgm
	.section	.rodata,"a",@progbits
	.p2align	6, 0x0
	.amdhsa_kernel _ZL32rocblas_syrkx_herkx_small_kernelIl19rocblas_complex_numIdELi16ELb0ELb0ELc67ELc76EKPKS1_KPS1_EviT_T0_PT6_S7_lSA_S7_lS8_PT7_S7_li
		.amdhsa_group_segment_fixed_size 8192
		.amdhsa_private_segment_fixed_size 0
		.amdhsa_kernarg_size 124
		.amdhsa_user_sgpr_count 6
		.amdhsa_user_sgpr_private_segment_buffer 1
		.amdhsa_user_sgpr_dispatch_ptr 0
		.amdhsa_user_sgpr_queue_ptr 0
		.amdhsa_user_sgpr_kernarg_segment_ptr 1
		.amdhsa_user_sgpr_dispatch_id 0
		.amdhsa_user_sgpr_flat_scratch_init 0
		.amdhsa_user_sgpr_private_segment_size 0
		.amdhsa_uses_dynamic_stack 0
		.amdhsa_system_sgpr_private_segment_wavefront_offset 0
		.amdhsa_system_sgpr_workgroup_id_x 1
		.amdhsa_system_sgpr_workgroup_id_y 1
		.amdhsa_system_sgpr_workgroup_id_z 1
		.amdhsa_system_sgpr_workgroup_info 0
		.amdhsa_system_vgpr_workitem_id 1
		.amdhsa_next_free_vgpr 53
		.amdhsa_next_free_sgpr 61
		.amdhsa_reserve_vcc 1
		.amdhsa_reserve_flat_scratch 0
		.amdhsa_float_round_mode_32 0
		.amdhsa_float_round_mode_16_64 0
		.amdhsa_float_denorm_mode_32 3
		.amdhsa_float_denorm_mode_16_64 3
		.amdhsa_dx10_clamp 1
		.amdhsa_ieee_mode 1
		.amdhsa_fp16_overflow 0
		.amdhsa_exception_fp_ieee_invalid_op 0
		.amdhsa_exception_fp_denorm_src 0
		.amdhsa_exception_fp_ieee_div_zero 0
		.amdhsa_exception_fp_ieee_overflow 0
		.amdhsa_exception_fp_ieee_underflow 0
		.amdhsa_exception_fp_ieee_inexact 0
		.amdhsa_exception_int_div_zero 0
	.end_amdhsa_kernel
	.section	.text._ZL32rocblas_syrkx_herkx_small_kernelIl19rocblas_complex_numIdELi16ELb0ELb0ELc67ELc76EKPKS1_KPS1_EviT_T0_PT6_S7_lSA_S7_lS8_PT7_S7_li,"axG",@progbits,_ZL32rocblas_syrkx_herkx_small_kernelIl19rocblas_complex_numIdELi16ELb0ELb0ELc67ELc76EKPKS1_KPS1_EviT_T0_PT6_S7_lSA_S7_lS8_PT7_S7_li,comdat
.Lfunc_end1674:
	.size	_ZL32rocblas_syrkx_herkx_small_kernelIl19rocblas_complex_numIdELi16ELb0ELb0ELc67ELc76EKPKS1_KPS1_EviT_T0_PT6_S7_lSA_S7_lS8_PT7_S7_li, .Lfunc_end1674-_ZL32rocblas_syrkx_herkx_small_kernelIl19rocblas_complex_numIdELi16ELb0ELb0ELc67ELc76EKPKS1_KPS1_EviT_T0_PT6_S7_lSA_S7_lS8_PT7_S7_li
                                        ; -- End function
	.set _ZL32rocblas_syrkx_herkx_small_kernelIl19rocblas_complex_numIdELi16ELb0ELb0ELc67ELc76EKPKS1_KPS1_EviT_T0_PT6_S7_lSA_S7_lS8_PT7_S7_li.num_vgpr, 53
	.set _ZL32rocblas_syrkx_herkx_small_kernelIl19rocblas_complex_numIdELi16ELb0ELb0ELc67ELc76EKPKS1_KPS1_EviT_T0_PT6_S7_lSA_S7_lS8_PT7_S7_li.num_agpr, 0
	.set _ZL32rocblas_syrkx_herkx_small_kernelIl19rocblas_complex_numIdELi16ELb0ELb0ELc67ELc76EKPKS1_KPS1_EviT_T0_PT6_S7_lSA_S7_lS8_PT7_S7_li.numbered_sgpr, 40
	.set _ZL32rocblas_syrkx_herkx_small_kernelIl19rocblas_complex_numIdELi16ELb0ELb0ELc67ELc76EKPKS1_KPS1_EviT_T0_PT6_S7_lSA_S7_lS8_PT7_S7_li.num_named_barrier, 0
	.set _ZL32rocblas_syrkx_herkx_small_kernelIl19rocblas_complex_numIdELi16ELb0ELb0ELc67ELc76EKPKS1_KPS1_EviT_T0_PT6_S7_lSA_S7_lS8_PT7_S7_li.private_seg_size, 0
	.set _ZL32rocblas_syrkx_herkx_small_kernelIl19rocblas_complex_numIdELi16ELb0ELb0ELc67ELc76EKPKS1_KPS1_EviT_T0_PT6_S7_lSA_S7_lS8_PT7_S7_li.uses_vcc, 1
	.set _ZL32rocblas_syrkx_herkx_small_kernelIl19rocblas_complex_numIdELi16ELb0ELb0ELc67ELc76EKPKS1_KPS1_EviT_T0_PT6_S7_lSA_S7_lS8_PT7_S7_li.uses_flat_scratch, 0
	.set _ZL32rocblas_syrkx_herkx_small_kernelIl19rocblas_complex_numIdELi16ELb0ELb0ELc67ELc76EKPKS1_KPS1_EviT_T0_PT6_S7_lSA_S7_lS8_PT7_S7_li.has_dyn_sized_stack, 0
	.set _ZL32rocblas_syrkx_herkx_small_kernelIl19rocblas_complex_numIdELi16ELb0ELb0ELc67ELc76EKPKS1_KPS1_EviT_T0_PT6_S7_lSA_S7_lS8_PT7_S7_li.has_recursion, 0
	.set _ZL32rocblas_syrkx_herkx_small_kernelIl19rocblas_complex_numIdELi16ELb0ELb0ELc67ELc76EKPKS1_KPS1_EviT_T0_PT6_S7_lSA_S7_lS8_PT7_S7_li.has_indirect_call, 0
	.section	.AMDGPU.csdata,"",@progbits
; Kernel info:
; codeLenInByte = 1896
; TotalNumSgprs: 44
; NumVgprs: 53
; ScratchSize: 0
; MemoryBound: 1
; FloatMode: 240
; IeeeMode: 1
; LDSByteSize: 8192 bytes/workgroup (compile time only)
; SGPRBlocks: 8
; VGPRBlocks: 13
; NumSGPRsForWavesPerEU: 65
; NumVGPRsForWavesPerEU: 53
; Occupancy: 4
; WaveLimiterHint : 1
; COMPUTE_PGM_RSRC2:SCRATCH_EN: 0
; COMPUTE_PGM_RSRC2:USER_SGPR: 6
; COMPUTE_PGM_RSRC2:TRAP_HANDLER: 0
; COMPUTE_PGM_RSRC2:TGID_X_EN: 1
; COMPUTE_PGM_RSRC2:TGID_Y_EN: 1
; COMPUTE_PGM_RSRC2:TGID_Z_EN: 1
; COMPUTE_PGM_RSRC2:TIDIG_COMP_CNT: 1
	.section	.text._ZL32rocblas_syrkx_herkx_small_kernelIl19rocblas_complex_numIdELi16ELb0ELb0ELc78ELc76EKPKS1_KPS1_EviT_T0_PT6_S7_lSA_S7_lS8_PT7_S7_li,"axG",@progbits,_ZL32rocblas_syrkx_herkx_small_kernelIl19rocblas_complex_numIdELi16ELb0ELb0ELc78ELc76EKPKS1_KPS1_EviT_T0_PT6_S7_lSA_S7_lS8_PT7_S7_li,comdat
	.globl	_ZL32rocblas_syrkx_herkx_small_kernelIl19rocblas_complex_numIdELi16ELb0ELb0ELc78ELc76EKPKS1_KPS1_EviT_T0_PT6_S7_lSA_S7_lS8_PT7_S7_li ; -- Begin function _ZL32rocblas_syrkx_herkx_small_kernelIl19rocblas_complex_numIdELi16ELb0ELb0ELc78ELc76EKPKS1_KPS1_EviT_T0_PT6_S7_lSA_S7_lS8_PT7_S7_li
	.p2align	8
	.type	_ZL32rocblas_syrkx_herkx_small_kernelIl19rocblas_complex_numIdELi16ELb0ELb0ELc78ELc76EKPKS1_KPS1_EviT_T0_PT6_S7_lSA_S7_lS8_PT7_S7_li,@function
_ZL32rocblas_syrkx_herkx_small_kernelIl19rocblas_complex_numIdELi16ELb0ELb0ELc78ELc76EKPKS1_KPS1_EviT_T0_PT6_S7_lSA_S7_lS8_PT7_S7_li: ; @_ZL32rocblas_syrkx_herkx_small_kernelIl19rocblas_complex_numIdELi16ELb0ELb0ELc78ELc76EKPKS1_KPS1_EviT_T0_PT6_S7_lSA_S7_lS8_PT7_S7_li
; %bb.0:
	s_load_dword s30, s[4:5], 0x0
	s_load_dwordx8 s[12:19], s[4:5], 0x50
	s_load_dwordx8 s[20:27], s[4:5], 0x8
	s_load_dwordx2 s[28:29], s[4:5], 0x28
	s_mov_b32 s9, 0
	s_lshl_b64 s[0:1], s[8:9], 3
	s_waitcnt lgkmcnt(0)
	s_add_u32 s2, s16, s0
	s_addc_u32 s3, s17, s1
	s_load_dwordx2 s[16:17], s[2:3], 0x0
	v_cmp_lt_i64_e64 s[2:3], s[20:21], 1
	v_lshl_add_u32 v7, s6, 4, v0
	v_lshl_add_u32 v9, s7, 4, v1
	s_and_b64 vcc, exec, s[2:3]
	v_cmp_gt_i32_e64 s[2:3], s30, v7
	v_ashrrev_i32_e32 v8, 31, v7
	v_ashrrev_i32_e32 v10, 31, v9
	s_cbranch_vccnz .LBB1675_9
; %bb.1:
	s_load_dwordx4 s[8:11], s[4:5], 0x38
	v_lshlrev_b32_e32 v6, 8, v1
	v_lshlrev_b32_e32 v21, 4, v0
	v_add_u32_e32 v22, v21, v6
	v_add_u32_e32 v23, 0x1000, v6
	s_waitcnt lgkmcnt(0)
	s_add_u32 s4, s8, s0
	v_mad_u64_u32 v[3:4], s[6:7], s10, v0, 0
	s_addc_u32 s5, s9, s1
	s_add_u32 s0, s26, s0
	s_addc_u32 s1, s27, s1
	s_load_dwordx2 s[6:7], s[0:1], 0x0
	v_mad_u64_u32 v[4:5], s[0:1], s11, v0, v[4:5]
	v_mad_u64_u32 v[13:14], s[8:9], s28, v1, 0
	v_lshlrev_b64 v[3:4], 4, v[3:4]
	v_lshlrev_b64 v[5:6], 4, v[9:10]
	s_load_dwordx2 s[4:5], s[4:5], 0x0
	v_add_co_u32_e32 v5, vcc, v3, v5
	v_mov_b32_e32 v3, v14
	v_addc_co_u32_e32 v6, vcc, v4, v6, vcc
	v_mad_u64_u32 v[3:4], s[8:9], s29, v1, v[3:4]
	s_waitcnt lgkmcnt(0)
	v_mov_b32_e32 v12, s5
	v_add_co_u32_e32 v11, vcc, s4, v5
	v_mov_b32_e32 v14, v3
	v_addc_co_u32_e32 v12, vcc, v12, v6, vcc
	v_lshlrev_b64 v[3:4], 4, v[13:14]
	v_lshlrev_b64 v[5:6], 4, v[7:8]
	s_lshl_b64 s[4:5], s[10:11], 8
	v_add_co_u32_e32 v3, vcc, v3, v5
	v_addc_co_u32_e32 v4, vcc, v4, v6, vcc
	v_mov_b32_e32 v5, s7
	v_add_co_u32_e32 v13, vcc, s6, v3
	s_lshl_b64 s[6:7], s[28:29], 8
	v_mov_b32_e32 v17, 0
	v_mov_b32_e32 v19, 0
	;; [unrolled: 1-line block ×4, first 2 shown]
	v_cmp_gt_i32_e64 s[0:1], s30, v9
	v_add_u32_e32 v24, v23, v21
	v_addc_co_u32_e32 v14, vcc, v5, v4, vcc
	v_mov_b32_e32 v18, 0
	s_mov_b64 s[8:9], 0
	s_xor_b64 s[10:11], s[2:3], -1
	v_mov_b32_e32 v25, s5
	v_mov_b32_e32 v26, s7
	;; [unrolled: 1-line block ×4, first 2 shown]
	s_branch .LBB1675_3
.LBB1675_2:                             ;   in Loop: Header=BB1675_3 Depth=1
	s_or_b64 exec, exec, s[2:3]
	s_waitcnt vmcnt(0) lgkmcnt(0)
	ds_write_b128 v24, v[3:6]
	s_waitcnt lgkmcnt(0)
	s_barrier
	ds_read_b128 v[3:6], v21
	ds_read_b128 v[27:30], v23
	ds_read_b128 v[31:34], v23 offset:16
	ds_read_b128 v[35:38], v21 offset:256
	s_add_u32 s8, s8, 16
	v_add_co_u32_e32 v11, vcc, s4, v11
	s_waitcnt lgkmcnt(2)
	v_mul_f64 v[39:40], v[29:30], v[5:6]
	v_mul_f64 v[5:6], v[27:28], v[5:6]
	s_waitcnt lgkmcnt(0)
	v_mul_f64 v[41:42], v[33:34], v[37:38]
	v_mul_f64 v[43:44], v[31:32], v[37:38]
	v_addc_co_u32_e32 v12, vcc, v12, v25, vcc
	s_addc_u32 s9, s9, 0
	v_cmp_ge_i64_e32 vcc, s[8:9], v[15:16]
	v_fma_f64 v[45:46], v[27:28], v[3:4], -v[39:40]
	v_fma_f64 v[47:48], v[29:30], v[3:4], v[5:6]
	ds_read_b128 v[3:6], v21 offset:512
	ds_read_b128 v[27:30], v23 offset:32
	;; [unrolled: 1-line block ×3, first 2 shown]
	v_fma_f64 v[41:42], v[31:32], v[35:36], -v[41:42]
	v_fma_f64 v[35:36], v[33:34], v[35:36], v[43:44]
	ds_read_b128 v[31:34], v21 offset:768
	s_waitcnt lgkmcnt(2)
	v_mul_f64 v[43:44], v[29:30], v[5:6]
	v_mul_f64 v[5:6], v[27:28], v[5:6]
	v_add_f64 v[19:20], v[19:20], v[45:46]
	v_add_f64 v[17:18], v[17:18], v[47:48]
	s_waitcnt lgkmcnt(0)
	v_mul_f64 v[45:46], v[39:40], v[33:34]
	v_mul_f64 v[33:34], v[37:38], v[33:34]
	v_add_co_u32_e64 v13, s[2:3], s6, v13
	v_fma_f64 v[43:44], v[27:28], v[3:4], -v[43:44]
	v_fma_f64 v[47:48], v[29:30], v[3:4], v[5:6]
	v_add_f64 v[41:42], v[19:20], v[41:42]
	v_add_f64 v[35:36], v[17:18], v[35:36]
	ds_read_b128 v[3:6], v23 offset:64
	ds_read_b128 v[17:20], v21 offset:1024
	v_fma_f64 v[37:38], v[37:38], v[31:32], -v[45:46]
	v_fma_f64 v[39:40], v[39:40], v[31:32], v[33:34]
	ds_read_b128 v[27:30], v23 offset:80
	ds_read_b128 v[31:34], v21 offset:1280
	v_addc_co_u32_e64 v14, s[2:3], v14, v26, s[2:3]
	s_waitcnt lgkmcnt(2)
	v_mul_f64 v[45:46], v[5:6], v[19:20]
	v_mul_f64 v[19:20], v[3:4], v[19:20]
	v_add_f64 v[41:42], v[41:42], v[43:44]
	v_add_f64 v[35:36], v[35:36], v[47:48]
	s_waitcnt lgkmcnt(0)
	v_mul_f64 v[43:44], v[29:30], v[33:34]
	v_mul_f64 v[33:34], v[27:28], v[33:34]
	s_and_b64 vcc, exec, vcc
	v_fma_f64 v[45:46], v[3:4], v[17:18], -v[45:46]
	v_fma_f64 v[47:48], v[5:6], v[17:18], v[19:20]
	v_add_f64 v[37:38], v[41:42], v[37:38]
	v_add_f64 v[35:36], v[35:36], v[39:40]
	ds_read_b128 v[3:6], v23 offset:96
	ds_read_b128 v[17:20], v21 offset:1536
	v_fma_f64 v[39:40], v[27:28], v[31:32], -v[43:44]
	v_fma_f64 v[41:42], v[29:30], v[31:32], v[33:34]
	ds_read_b128 v[27:30], v23 offset:112
	ds_read_b128 v[31:34], v21 offset:1792
	s_waitcnt lgkmcnt(2)
	v_mul_f64 v[43:44], v[5:6], v[19:20]
	v_mul_f64 v[19:20], v[3:4], v[19:20]
	v_add_f64 v[37:38], v[37:38], v[45:46]
	v_add_f64 v[35:36], v[35:36], v[47:48]
	s_waitcnt lgkmcnt(0)
	v_mul_f64 v[45:46], v[29:30], v[33:34]
	v_mul_f64 v[33:34], v[27:28], v[33:34]
	v_fma_f64 v[43:44], v[3:4], v[17:18], -v[43:44]
	v_fma_f64 v[47:48], v[5:6], v[17:18], v[19:20]
	v_add_f64 v[37:38], v[37:38], v[39:40]
	v_add_f64 v[35:36], v[35:36], v[41:42]
	ds_read_b128 v[3:6], v23 offset:128
	ds_read_b128 v[17:20], v21 offset:2048
	v_fma_f64 v[39:40], v[27:28], v[31:32], -v[45:46]
	v_fma_f64 v[41:42], v[29:30], v[31:32], v[33:34]
	ds_read_b128 v[27:30], v23 offset:144
	ds_read_b128 v[31:34], v21 offset:2304
	s_waitcnt lgkmcnt(2)
	v_mul_f64 v[45:46], v[5:6], v[19:20]
	v_mul_f64 v[19:20], v[3:4], v[19:20]
	v_add_f64 v[37:38], v[37:38], v[43:44]
	v_add_f64 v[35:36], v[35:36], v[47:48]
	s_waitcnt lgkmcnt(0)
	v_mul_f64 v[43:44], v[29:30], v[33:34]
	v_mul_f64 v[33:34], v[27:28], v[33:34]
	;; [unrolled: 18-line block ×4, first 2 shown]
	v_fma_f64 v[45:46], v[3:4], v[17:18], -v[45:46]
	v_fma_f64 v[47:48], v[5:6], v[17:18], v[19:20]
	v_add_f64 v[37:38], v[37:38], v[39:40]
	v_add_f64 v[35:36], v[35:36], v[41:42]
	ds_read_b128 v[3:6], v23 offset:224
	ds_read_b128 v[17:20], v21 offset:3584
	v_fma_f64 v[39:40], v[27:28], v[31:32], -v[43:44]
	v_fma_f64 v[41:42], v[29:30], v[31:32], v[33:34]
	ds_read_b128 v[27:30], v23 offset:240
	ds_read_b128 v[31:34], v21 offset:3840
	s_waitcnt lgkmcnt(0)
	v_mul_f64 v[43:44], v[5:6], v[19:20]
	v_mul_f64 v[19:20], v[3:4], v[19:20]
	v_add_f64 v[37:38], v[37:38], v[45:46]
	v_add_f64 v[35:36], v[35:36], v[47:48]
	v_mul_f64 v[45:46], v[29:30], v[33:34]
	v_mul_f64 v[33:34], v[27:28], v[33:34]
	s_barrier
	v_fma_f64 v[3:4], v[3:4], v[17:18], -v[43:44]
	v_fma_f64 v[5:6], v[5:6], v[17:18], v[19:20]
	v_add_f64 v[17:18], v[37:38], v[39:40]
	v_add_f64 v[19:20], v[35:36], v[41:42]
	v_fma_f64 v[27:28], v[27:28], v[31:32], -v[45:46]
	v_fma_f64 v[29:30], v[29:30], v[31:32], v[33:34]
	v_add_f64 v[3:4], v[17:18], v[3:4]
	v_add_f64 v[5:6], v[19:20], v[5:6]
	;; [unrolled: 1-line block ×4, first 2 shown]
	s_cbranch_vccnz .LBB1675_10
.LBB1675_3:                             ; =>This Inner Loop Header: Depth=1
	v_mov_b32_e32 v4, s9
	v_add_co_u32_e32 v3, vcc, s8, v1
	v_addc_co_u32_e32 v4, vcc, 0, v4, vcc
	v_cmp_le_i64_e32 vcc, s[20:21], v[3:4]
	s_or_b64 s[2:3], s[10:11], vcc
	s_and_saveexec_b64 s[26:27], s[2:3]
	s_xor_b64 s[2:3], exec, s[26:27]
; %bb.4:                                ;   in Loop: Header=BB1675_3 Depth=1
	v_mov_b32_e32 v3, v2
	v_mov_b32_e32 v4, v2
	;; [unrolled: 1-line block ×3, first 2 shown]
	ds_write_b128 v22, v[2:5]
; %bb.5:                                ;   in Loop: Header=BB1675_3 Depth=1
	s_andn2_saveexec_b64 s[2:3], s[2:3]
	s_cbranch_execz .LBB1675_7
; %bb.6:                                ;   in Loop: Header=BB1675_3 Depth=1
	flat_load_dwordx4 v[3:6], v[13:14]
	s_waitcnt vmcnt(0) lgkmcnt(0)
	ds_write2_b64 v22, v[3:4], v[5:6] offset1:1
.LBB1675_7:                             ;   in Loop: Header=BB1675_3 Depth=1
	s_or_b64 exec, exec, s[2:3]
	v_mov_b32_e32 v4, s9
	v_add_co_u32_e32 v3, vcc, s8, v0
	v_addc_co_u32_e32 v4, vcc, 0, v4, vcc
	v_cmp_gt_i64_e32 vcc, s[20:21], v[3:4]
	v_mov_b32_e32 v3, 0
	v_mov_b32_e32 v5, 0
	;; [unrolled: 1-line block ×4, first 2 shown]
	s_and_b64 s[26:27], s[0:1], vcc
	s_and_saveexec_b64 s[2:3], s[26:27]
	s_cbranch_execz .LBB1675_2
; %bb.8:                                ;   in Loop: Header=BB1675_3 Depth=1
	flat_load_dwordx4 v[3:6], v[11:12]
	s_branch .LBB1675_2
.LBB1675_9:
	v_mov_b32_e32 v17, 0
	v_mov_b32_e32 v19, 0
	;; [unrolled: 1-line block ×4, first 2 shown]
.LBB1675_10:
	v_cmp_le_i32_e32 vcc, v9, v7
	v_cmp_gt_i32_e64 s[0:1], s30, v7
	s_and_b64 s[0:1], vcc, s[0:1]
	s_and_saveexec_b64 s[2:3], s[0:1]
	s_cbranch_execz .LBB1675_12
; %bb.11:
	v_mul_lo_u32 v2, s19, v9
	v_mul_lo_u32 v3, s18, v10
	v_mad_u64_u32 v[0:1], s[0:1], s18, v9, 0
	v_add3_u32 v1, v1, v3, v2
	v_lshlrev_b64 v[0:1], 4, v[0:1]
	s_waitcnt lgkmcnt(0)
	v_mov_b32_e32 v2, s17
	v_add_co_u32_e32 v3, vcc, s16, v0
	v_addc_co_u32_e32 v2, vcc, v2, v1, vcc
	v_lshlrev_b64 v[0:1], 4, v[7:8]
	v_mul_f64 v[6:7], s[24:25], v[17:18]
	v_add_co_u32_e32 v4, vcc, v3, v0
	v_addc_co_u32_e32 v5, vcc, v2, v1, vcc
	flat_load_dwordx4 v[0:3], v[4:5]
	v_mul_f64 v[8:9], s[22:23], v[17:18]
	v_fma_f64 v[6:7], s[22:23], v[19:20], -v[6:7]
	v_fma_f64 v[8:9], s[24:25], v[19:20], v[8:9]
	s_waitcnt vmcnt(0) lgkmcnt(0)
	v_mul_f64 v[10:11], s[14:15], v[2:3]
	v_mul_f64 v[2:3], s[12:13], v[2:3]
	v_fma_f64 v[10:11], s[12:13], v[0:1], -v[10:11]
	v_fma_f64 v[2:3], s[14:15], v[0:1], v[2:3]
	v_add_f64 v[0:1], v[6:7], v[10:11]
	v_add_f64 v[2:3], v[8:9], v[2:3]
	flat_store_dwordx4 v[4:5], v[0:3]
.LBB1675_12:
	s_endpgm
	.section	.rodata,"a",@progbits
	.p2align	6, 0x0
	.amdhsa_kernel _ZL32rocblas_syrkx_herkx_small_kernelIl19rocblas_complex_numIdELi16ELb0ELb0ELc78ELc76EKPKS1_KPS1_EviT_T0_PT6_S7_lSA_S7_lS8_PT7_S7_li
		.amdhsa_group_segment_fixed_size 8192
		.amdhsa_private_segment_fixed_size 0
		.amdhsa_kernarg_size 124
		.amdhsa_user_sgpr_count 6
		.amdhsa_user_sgpr_private_segment_buffer 1
		.amdhsa_user_sgpr_dispatch_ptr 0
		.amdhsa_user_sgpr_queue_ptr 0
		.amdhsa_user_sgpr_kernarg_segment_ptr 1
		.amdhsa_user_sgpr_dispatch_id 0
		.amdhsa_user_sgpr_flat_scratch_init 0
		.amdhsa_user_sgpr_private_segment_size 0
		.amdhsa_uses_dynamic_stack 0
		.amdhsa_system_sgpr_private_segment_wavefront_offset 0
		.amdhsa_system_sgpr_workgroup_id_x 1
		.amdhsa_system_sgpr_workgroup_id_y 1
		.amdhsa_system_sgpr_workgroup_id_z 1
		.amdhsa_system_sgpr_workgroup_info 0
		.amdhsa_system_vgpr_workitem_id 1
		.amdhsa_next_free_vgpr 49
		.amdhsa_next_free_sgpr 61
		.amdhsa_reserve_vcc 1
		.amdhsa_reserve_flat_scratch 0
		.amdhsa_float_round_mode_32 0
		.amdhsa_float_round_mode_16_64 0
		.amdhsa_float_denorm_mode_32 3
		.amdhsa_float_denorm_mode_16_64 3
		.amdhsa_dx10_clamp 1
		.amdhsa_ieee_mode 1
		.amdhsa_fp16_overflow 0
		.amdhsa_exception_fp_ieee_invalid_op 0
		.amdhsa_exception_fp_denorm_src 0
		.amdhsa_exception_fp_ieee_div_zero 0
		.amdhsa_exception_fp_ieee_overflow 0
		.amdhsa_exception_fp_ieee_underflow 0
		.amdhsa_exception_fp_ieee_inexact 0
		.amdhsa_exception_int_div_zero 0
	.end_amdhsa_kernel
	.section	.text._ZL32rocblas_syrkx_herkx_small_kernelIl19rocblas_complex_numIdELi16ELb0ELb0ELc78ELc76EKPKS1_KPS1_EviT_T0_PT6_S7_lSA_S7_lS8_PT7_S7_li,"axG",@progbits,_ZL32rocblas_syrkx_herkx_small_kernelIl19rocblas_complex_numIdELi16ELb0ELb0ELc78ELc76EKPKS1_KPS1_EviT_T0_PT6_S7_lSA_S7_lS8_PT7_S7_li,comdat
.Lfunc_end1675:
	.size	_ZL32rocblas_syrkx_herkx_small_kernelIl19rocblas_complex_numIdELi16ELb0ELb0ELc78ELc76EKPKS1_KPS1_EviT_T0_PT6_S7_lSA_S7_lS8_PT7_S7_li, .Lfunc_end1675-_ZL32rocblas_syrkx_herkx_small_kernelIl19rocblas_complex_numIdELi16ELb0ELb0ELc78ELc76EKPKS1_KPS1_EviT_T0_PT6_S7_lSA_S7_lS8_PT7_S7_li
                                        ; -- End function
	.set _ZL32rocblas_syrkx_herkx_small_kernelIl19rocblas_complex_numIdELi16ELb0ELb0ELc78ELc76EKPKS1_KPS1_EviT_T0_PT6_S7_lSA_S7_lS8_PT7_S7_li.num_vgpr, 49
	.set _ZL32rocblas_syrkx_herkx_small_kernelIl19rocblas_complex_numIdELi16ELb0ELb0ELc78ELc76EKPKS1_KPS1_EviT_T0_PT6_S7_lSA_S7_lS8_PT7_S7_li.num_agpr, 0
	.set _ZL32rocblas_syrkx_herkx_small_kernelIl19rocblas_complex_numIdELi16ELb0ELb0ELc78ELc76EKPKS1_KPS1_EviT_T0_PT6_S7_lSA_S7_lS8_PT7_S7_li.numbered_sgpr, 31
	.set _ZL32rocblas_syrkx_herkx_small_kernelIl19rocblas_complex_numIdELi16ELb0ELb0ELc78ELc76EKPKS1_KPS1_EviT_T0_PT6_S7_lSA_S7_lS8_PT7_S7_li.num_named_barrier, 0
	.set _ZL32rocblas_syrkx_herkx_small_kernelIl19rocblas_complex_numIdELi16ELb0ELb0ELc78ELc76EKPKS1_KPS1_EviT_T0_PT6_S7_lSA_S7_lS8_PT7_S7_li.private_seg_size, 0
	.set _ZL32rocblas_syrkx_herkx_small_kernelIl19rocblas_complex_numIdELi16ELb0ELb0ELc78ELc76EKPKS1_KPS1_EviT_T0_PT6_S7_lSA_S7_lS8_PT7_S7_li.uses_vcc, 1
	.set _ZL32rocblas_syrkx_herkx_small_kernelIl19rocblas_complex_numIdELi16ELb0ELb0ELc78ELc76EKPKS1_KPS1_EviT_T0_PT6_S7_lSA_S7_lS8_PT7_S7_li.uses_flat_scratch, 0
	.set _ZL32rocblas_syrkx_herkx_small_kernelIl19rocblas_complex_numIdELi16ELb0ELb0ELc78ELc76EKPKS1_KPS1_EviT_T0_PT6_S7_lSA_S7_lS8_PT7_S7_li.has_dyn_sized_stack, 0
	.set _ZL32rocblas_syrkx_herkx_small_kernelIl19rocblas_complex_numIdELi16ELb0ELb0ELc78ELc76EKPKS1_KPS1_EviT_T0_PT6_S7_lSA_S7_lS8_PT7_S7_li.has_recursion, 0
	.set _ZL32rocblas_syrkx_herkx_small_kernelIl19rocblas_complex_numIdELi16ELb0ELb0ELc78ELc76EKPKS1_KPS1_EviT_T0_PT6_S7_lSA_S7_lS8_PT7_S7_li.has_indirect_call, 0
	.section	.AMDGPU.csdata,"",@progbits
; Kernel info:
; codeLenInByte = 1864
; TotalNumSgprs: 35
; NumVgprs: 49
; ScratchSize: 0
; MemoryBound: 1
; FloatMode: 240
; IeeeMode: 1
; LDSByteSize: 8192 bytes/workgroup (compile time only)
; SGPRBlocks: 8
; VGPRBlocks: 12
; NumSGPRsForWavesPerEU: 65
; NumVGPRsForWavesPerEU: 49
; Occupancy: 4
; WaveLimiterHint : 1
; COMPUTE_PGM_RSRC2:SCRATCH_EN: 0
; COMPUTE_PGM_RSRC2:USER_SGPR: 6
; COMPUTE_PGM_RSRC2:TRAP_HANDLER: 0
; COMPUTE_PGM_RSRC2:TGID_X_EN: 1
; COMPUTE_PGM_RSRC2:TGID_Y_EN: 1
; COMPUTE_PGM_RSRC2:TGID_Z_EN: 1
; COMPUTE_PGM_RSRC2:TIDIG_COMP_CNT: 1
	.section	.text._ZL32rocblas_syrkx_herkx_small_kernelIl19rocblas_complex_numIdELi16ELb0ELb0ELc84ELc85EKPKS1_KPS1_EviT_T0_PT6_S7_lSA_S7_lS8_PT7_S7_li,"axG",@progbits,_ZL32rocblas_syrkx_herkx_small_kernelIl19rocblas_complex_numIdELi16ELb0ELb0ELc84ELc85EKPKS1_KPS1_EviT_T0_PT6_S7_lSA_S7_lS8_PT7_S7_li,comdat
	.globl	_ZL32rocblas_syrkx_herkx_small_kernelIl19rocblas_complex_numIdELi16ELb0ELb0ELc84ELc85EKPKS1_KPS1_EviT_T0_PT6_S7_lSA_S7_lS8_PT7_S7_li ; -- Begin function _ZL32rocblas_syrkx_herkx_small_kernelIl19rocblas_complex_numIdELi16ELb0ELb0ELc84ELc85EKPKS1_KPS1_EviT_T0_PT6_S7_lSA_S7_lS8_PT7_S7_li
	.p2align	8
	.type	_ZL32rocblas_syrkx_herkx_small_kernelIl19rocblas_complex_numIdELi16ELb0ELb0ELc84ELc85EKPKS1_KPS1_EviT_T0_PT6_S7_lSA_S7_lS8_PT7_S7_li,@function
_ZL32rocblas_syrkx_herkx_small_kernelIl19rocblas_complex_numIdELi16ELb0ELb0ELc84ELc85EKPKS1_KPS1_EviT_T0_PT6_S7_lSA_S7_lS8_PT7_S7_li: ; @_ZL32rocblas_syrkx_herkx_small_kernelIl19rocblas_complex_numIdELi16ELb0ELb0ELc84ELc85EKPKS1_KPS1_EviT_T0_PT6_S7_lSA_S7_lS8_PT7_S7_li
; %bb.0:
	s_load_dword s28, s[4:5], 0x0
	s_load_dwordx8 s[12:19], s[4:5], 0x50
	s_load_dwordx8 s[20:27], s[4:5], 0x8
	s_load_dwordx2 s[10:11], s[4:5], 0x28
	s_mov_b32 s9, 0
	s_lshl_b64 s[2:3], s[8:9], 3
	s_waitcnt lgkmcnt(0)
	s_add_u32 s0, s16, s2
	s_addc_u32 s1, s17, s3
	s_load_dwordx2 s[8:9], s[0:1], 0x0
	v_cmp_lt_i64_e64 s[0:1], s[20:21], 1
	v_lshl_add_u32 v6, s6, 4, v0
	v_lshl_add_u32 v18, s7, 4, v1
	s_and_b64 vcc, exec, s[0:1]
	v_ashrrev_i32_e32 v7, 31, v6
	v_cmp_gt_i32_e64 s[0:1], s28, v18
	v_ashrrev_i32_e32 v19, 31, v18
	s_cbranch_vccnz .LBB1676_11
; %bb.1:
	s_load_dwordx4 s[36:39], s[4:5], 0x38
	v_lshlrev_b32_e32 v5, 8, v1
	v_lshlrev_b32_e32 v20, 4, v0
	v_add_u32_e32 v21, v20, v5
	v_add_u32_e32 v22, 0x1000, v5
	s_waitcnt lgkmcnt(0)
	s_add_u32 s4, s36, s2
	s_addc_u32 s5, s37, s3
	s_add_u32 s2, s26, s2
	s_addc_u32 s3, s27, s3
	s_load_dwordx2 s[6:7], s[2:3], 0x0
	v_mul_lo_u32 v8, s39, v18
	v_mul_lo_u32 v9, s38, v19
	v_mad_u64_u32 v[3:4], s[2:3], s38, v18, 0
	s_load_dwordx2 s[4:5], s[4:5], 0x0
	v_mul_lo_u32 v11, s11, v6
	v_add3_u32 v4, v4, v9, v8
	v_lshlrev_b64 v[3:4], 4, v[3:4]
	v_mul_lo_u32 v12, s10, v7
	v_add_co_u32_e64 v5, s[2:3], v3, v20
	v_addc_co_u32_e64 v9, s[2:3], 0, v4, s[2:3]
	v_mad_u64_u32 v[3:4], s[2:3], s10, v6, 0
	s_waitcnt lgkmcnt(0)
	v_mov_b32_e32 v10, s5
	v_add_co_u32_e64 v8, s[2:3], s4, v5
	v_add3_u32 v4, v4, v12, v11
	v_lshlrev_b64 v[3:4], 4, v[3:4]
	v_addc_co_u32_e64 v9, s[2:3], v10, v9, s[2:3]
	v_lshlrev_b32_e32 v5, 4, v1
	v_add_co_u32_e64 v3, s[2:3], v3, v5
	v_addc_co_u32_e64 v4, s[2:3], 0, v4, s[2:3]
	v_mov_b32_e32 v5, s7
	v_add_co_u32_e64 v10, s[2:3], s6, v3
	v_cmp_gt_i32_e32 vcc, s28, v6
	v_addc_co_u32_e64 v11, s[2:3], v5, v4, s[2:3]
	v_mov_b32_e32 v14, 0
	v_mov_b32_e32 v16, 0
	;; [unrolled: 1-line block ×4, first 2 shown]
	v_add_u32_e32 v23, v22, v20
	v_mov_b32_e32 v15, 0
	s_mov_b64 s[2:3], 0
	s_xor_b64 s[4:5], vcc, -1
	s_xor_b64 s[6:7], s[0:1], -1
	v_mov_b32_e32 v17, 0
	v_mov_b32_e32 v13, s21
	s_branch .LBB1676_3
.LBB1676_2:                             ;   in Loop: Header=BB1676_3 Depth=1
	s_or_b64 exec, exec, s[0:1]
	s_waitcnt lgkmcnt(0)
	s_barrier
	ds_read_b128 v[24:27], v20
	ds_read_b128 v[28:31], v22
	ds_read_b128 v[32:35], v22 offset:16
	ds_read_b128 v[36:39], v20 offset:256
	s_add_u32 s2, s2, 16
	v_add_co_u32_e32 v8, vcc, 0x100, v8
	s_waitcnt lgkmcnt(2)
	v_mul_f64 v[3:4], v[30:31], v[26:27]
	v_mul_f64 v[26:27], v[28:29], v[26:27]
	s_waitcnt lgkmcnt(0)
	v_mul_f64 v[46:47], v[34:35], v[38:39]
	v_mul_f64 v[48:49], v[32:33], v[38:39]
	ds_read_b128 v[38:41], v20 offset:512
	s_addc_u32 s3, s3, 0
	v_addc_co_u32_e32 v9, vcc, 0, v9, vcc
	v_fma_f64 v[3:4], v[28:29], v[24:25], -v[3:4]
	v_fma_f64 v[50:51], v[30:31], v[24:25], v[26:27]
	ds_read_b128 v[24:27], v22 offset:32
	ds_read_b128 v[28:31], v22 offset:48
	;; [unrolled: 1-line block ×3, first 2 shown]
	v_fma_f64 v[32:33], v[32:33], v[36:37], -v[46:47]
	v_fma_f64 v[34:35], v[34:35], v[36:37], v[48:49]
	s_waitcnt lgkmcnt(2)
	v_mul_f64 v[36:37], v[26:27], v[40:41]
	v_mul_f64 v[40:41], v[24:25], v[40:41]
	s_waitcnt lgkmcnt(0)
	v_mul_f64 v[48:49], v[30:31], v[44:45]
	v_add_f64 v[3:4], v[16:17], v[3:4]
	v_add_f64 v[46:47], v[14:15], v[50:51]
	v_mul_f64 v[44:45], v[28:29], v[44:45]
	ds_read_b128 v[14:17], v20 offset:1024
	v_add_co_u32_e32 v10, vcc, 0x100, v10
	v_fma_f64 v[50:51], v[24:25], v[38:39], -v[36:37]
	v_fma_f64 v[40:41], v[26:27], v[38:39], v[40:41]
	v_add_f64 v[3:4], v[3:4], v[32:33]
	v_add_f64 v[46:47], v[46:47], v[34:35]
	ds_read_b128 v[24:27], v22 offset:64
	ds_read_b128 v[32:35], v22 offset:80
	;; [unrolled: 1-line block ×3, first 2 shown]
	v_fma_f64 v[48:49], v[28:29], v[42:43], -v[48:49]
	v_fma_f64 v[42:43], v[30:31], v[42:43], v[44:45]
	s_waitcnt lgkmcnt(2)
	v_mul_f64 v[44:45], v[26:27], v[16:17]
	v_mul_f64 v[16:17], v[24:25], v[16:17]
	ds_read_b128 v[28:31], v20 offset:1536
	v_add_f64 v[3:4], v[3:4], v[50:51]
	v_add_f64 v[40:41], v[46:47], v[40:41]
	s_waitcnt lgkmcnt(1)
	v_mul_f64 v[46:47], v[34:35], v[38:39]
	v_mul_f64 v[50:51], v[32:33], v[38:39]
	v_cmp_ge_i64_e64 s[0:1], s[2:3], v[12:13]
	v_fma_f64 v[44:45], v[24:25], v[14:15], -v[44:45]
	v_fma_f64 v[52:53], v[26:27], v[14:15], v[16:17]
	v_addc_co_u32_e32 v11, vcc, 0, v11, vcc
	v_add_f64 v[3:4], v[3:4], v[48:49]
	v_add_f64 v[42:43], v[40:41], v[42:43]
	ds_read_b128 v[14:17], v22 offset:96
	ds_read_b128 v[24:27], v22 offset:112
	;; [unrolled: 1-line block ×3, first 2 shown]
	v_fma_f64 v[46:47], v[32:33], v[36:37], -v[46:47]
	v_fma_f64 v[34:35], v[34:35], v[36:37], v[50:51]
	s_waitcnt lgkmcnt(2)
	v_mul_f64 v[36:37], v[16:17], v[30:31]
	v_mul_f64 v[48:49], v[14:15], v[30:31]
	s_waitcnt lgkmcnt(0)
	v_mul_f64 v[50:51], v[24:25], v[40:41]
	v_add_f64 v[3:4], v[3:4], v[44:45]
	v_add_f64 v[42:43], v[42:43], v[52:53]
	v_mul_f64 v[44:45], v[26:27], v[40:41]
	ds_read_b128 v[30:33], v20 offset:2048
	s_and_b64 vcc, exec, s[0:1]
	v_fma_f64 v[52:53], v[14:15], v[28:29], -v[36:37]
	v_fma_f64 v[28:29], v[16:17], v[28:29], v[48:49]
	v_add_f64 v[3:4], v[3:4], v[46:47]
	v_add_f64 v[46:47], v[42:43], v[34:35]
	ds_read_b128 v[14:17], v22 offset:128
	ds_read_b128 v[34:37], v22 offset:144
	;; [unrolled: 1-line block ×3, first 2 shown]
	v_fma_f64 v[44:45], v[24:25], v[38:39], -v[44:45]
	v_fma_f64 v[38:39], v[26:27], v[38:39], v[50:51]
	s_waitcnt lgkmcnt(2)
	v_mul_f64 v[48:49], v[16:17], v[32:33]
	v_mul_f64 v[32:33], v[14:15], v[32:33]
	s_waitcnt lgkmcnt(0)
	v_mul_f64 v[50:51], v[34:35], v[42:43]
	v_add_f64 v[3:4], v[3:4], v[52:53]
	v_add_f64 v[28:29], v[46:47], v[28:29]
	v_mul_f64 v[46:47], v[36:37], v[42:43]
	ds_read_b128 v[24:27], v20 offset:2560
	v_fma_f64 v[48:49], v[14:15], v[30:31], -v[48:49]
	v_fma_f64 v[32:33], v[16:17], v[30:31], v[32:33]
	v_fma_f64 v[36:37], v[36:37], v[40:41], v[50:51]
	v_add_f64 v[3:4], v[3:4], v[44:45]
	v_add_f64 v[38:39], v[28:29], v[38:39]
	ds_read_b128 v[14:17], v22 offset:160
	ds_read_b128 v[28:31], v22 offset:176
	;; [unrolled: 1-line block ×3, first 2 shown]
	v_fma_f64 v[46:47], v[34:35], v[40:41], -v[46:47]
	s_waitcnt lgkmcnt(2)
	v_mul_f64 v[40:41], v[16:17], v[26:27]
	v_mul_f64 v[26:27], v[14:15], v[26:27]
	v_add_f64 v[3:4], v[3:4], v[48:49]
	v_add_f64 v[38:39], v[38:39], v[32:33]
	s_waitcnt lgkmcnt(0)
	v_mul_f64 v[48:49], v[30:31], v[44:45]
	v_mul_f64 v[44:45], v[28:29], v[44:45]
	ds_read_b128 v[32:35], v20 offset:3072
	v_fma_f64 v[40:41], v[14:15], v[24:25], -v[40:41]
	v_fma_f64 v[50:51], v[16:17], v[24:25], v[26:27]
	v_add_f64 v[3:4], v[3:4], v[46:47]
	v_add_f64 v[46:47], v[38:39], v[36:37]
	ds_read_b128 v[14:17], v22 offset:192
	ds_read_b128 v[24:27], v22 offset:208
	;; [unrolled: 1-line block ×3, first 2 shown]
	v_fma_f64 v[48:49], v[28:29], v[42:43], -v[48:49]
	v_fma_f64 v[42:43], v[30:31], v[42:43], v[44:45]
	s_waitcnt lgkmcnt(2)
	v_mul_f64 v[44:45], v[16:17], v[34:35]
	v_mul_f64 v[34:35], v[14:15], v[34:35]
	ds_read_b128 v[28:31], v20 offset:3584
	v_add_f64 v[3:4], v[3:4], v[40:41]
	v_add_f64 v[40:41], v[46:47], v[50:51]
	s_waitcnt lgkmcnt(1)
	v_mul_f64 v[46:47], v[26:27], v[38:39]
	v_mul_f64 v[50:51], v[24:25], v[38:39]
	v_fma_f64 v[44:45], v[14:15], v[32:33], -v[44:45]
	v_fma_f64 v[52:53], v[16:17], v[32:33], v[34:35]
	v_add_f64 v[3:4], v[3:4], v[48:49]
	v_add_f64 v[42:43], v[40:41], v[42:43]
	ds_read_b128 v[14:17], v22 offset:224
	ds_read_b128 v[32:35], v22 offset:240
	;; [unrolled: 1-line block ×3, first 2 shown]
	v_fma_f64 v[24:25], v[24:25], v[36:37], -v[46:47]
	v_fma_f64 v[26:27], v[26:27], v[36:37], v[50:51]
	s_waitcnt lgkmcnt(2)
	v_mul_f64 v[36:37], v[16:17], v[30:31]
	v_mul_f64 v[30:31], v[14:15], v[30:31]
	s_waitcnt lgkmcnt(0)
	v_add_f64 v[3:4], v[3:4], v[44:45]
	v_add_f64 v[42:43], v[42:43], v[52:53]
	v_mul_f64 v[44:45], v[34:35], v[40:41]
	v_mul_f64 v[40:41], v[32:33], v[40:41]
	s_barrier
	v_fma_f64 v[14:15], v[14:15], v[28:29], -v[36:37]
	v_fma_f64 v[16:17], v[16:17], v[28:29], v[30:31]
	v_add_f64 v[3:4], v[3:4], v[24:25]
	v_add_f64 v[24:25], v[42:43], v[26:27]
	v_fma_f64 v[26:27], v[32:33], v[38:39], -v[44:45]
	v_fma_f64 v[28:29], v[34:35], v[38:39], v[40:41]
	v_add_f64 v[3:4], v[3:4], v[14:15]
	v_add_f64 v[14:15], v[24:25], v[16:17]
	;; [unrolled: 1-line block ×4, first 2 shown]
	s_cbranch_vccnz .LBB1676_12
.LBB1676_3:                             ; =>This Inner Loop Header: Depth=1
	v_mov_b32_e32 v4, s3
	v_add_co_u32_e32 v3, vcc, s2, v1
	v_addc_co_u32_e32 v4, vcc, 0, v4, vcc
	v_cmp_le_i64_e32 vcc, s[20:21], v[3:4]
	s_or_b64 s[0:1], s[4:5], vcc
	s_and_saveexec_b64 s[10:11], s[0:1]
	s_xor_b64 s[0:1], exec, s[10:11]
; %bb.4:                                ;   in Loop: Header=BB1676_3 Depth=1
	v_mov_b32_e32 v3, v2
	v_mov_b32_e32 v4, v2
	;; [unrolled: 1-line block ×3, first 2 shown]
	ds_write_b128 v21, v[2:5]
; %bb.5:                                ;   in Loop: Header=BB1676_3 Depth=1
	s_andn2_saveexec_b64 s[0:1], s[0:1]
	s_cbranch_execz .LBB1676_7
; %bb.6:                                ;   in Loop: Header=BB1676_3 Depth=1
	flat_load_dwordx4 v[24:27], v[10:11]
	s_waitcnt vmcnt(0) lgkmcnt(0)
	ds_write2_b64 v21, v[24:25], v[26:27] offset1:1
.LBB1676_7:                             ;   in Loop: Header=BB1676_3 Depth=1
	s_or_b64 exec, exec, s[0:1]
	v_mov_b32_e32 v4, s3
	v_add_co_u32_e32 v3, vcc, s2, v0
	v_addc_co_u32_e32 v4, vcc, 0, v4, vcc
	v_cmp_le_i64_e32 vcc, s[20:21], v[3:4]
	s_or_b64 s[0:1], s[6:7], vcc
	s_and_saveexec_b64 s[10:11], s[0:1]
	s_xor_b64 s[0:1], exec, s[10:11]
; %bb.8:                                ;   in Loop: Header=BB1676_3 Depth=1
	v_mov_b32_e32 v3, v2
	v_mov_b32_e32 v4, v2
	;; [unrolled: 1-line block ×3, first 2 shown]
	ds_write_b128 v23, v[2:5]
; %bb.9:                                ;   in Loop: Header=BB1676_3 Depth=1
	s_andn2_saveexec_b64 s[0:1], s[0:1]
	s_cbranch_execz .LBB1676_2
; %bb.10:                               ;   in Loop: Header=BB1676_3 Depth=1
	flat_load_dwordx4 v[24:27], v[8:9]
	s_waitcnt vmcnt(0) lgkmcnt(0)
	ds_write2_b64 v23, v[24:25], v[26:27] offset1:1
	s_branch .LBB1676_2
.LBB1676_11:
	v_mov_b32_e32 v14, 0
	v_mov_b32_e32 v16, 0
	v_mov_b32_e32 v15, 0
	v_mov_b32_e32 v17, 0
.LBB1676_12:
	v_cmp_le_i32_e32 vcc, v6, v18
	v_cmp_gt_i32_e64 s[0:1], s28, v18
	s_and_b64 s[0:1], vcc, s[0:1]
	s_and_saveexec_b64 s[2:3], s[0:1]
	s_cbranch_execz .LBB1676_14
; %bb.13:
	v_mul_lo_u32 v2, s19, v18
	v_mul_lo_u32 v3, s18, v19
	v_mad_u64_u32 v[0:1], s[0:1], s18, v18, 0
	v_mul_f64 v[8:9], s[22:23], v[14:15]
	v_add3_u32 v1, v1, v3, v2
	v_lshlrev_b64 v[0:1], 4, v[0:1]
	s_waitcnt lgkmcnt(0)
	v_mov_b32_e32 v2, s9
	v_add_co_u32_e32 v3, vcc, s8, v0
	v_addc_co_u32_e32 v2, vcc, v2, v1, vcc
	v_lshlrev_b64 v[0:1], 4, v[6:7]
	v_mul_f64 v[6:7], s[24:25], v[14:15]
	v_add_co_u32_e32 v4, vcc, v3, v0
	v_addc_co_u32_e32 v5, vcc, v2, v1, vcc
	flat_load_dwordx4 v[0:3], v[4:5]
	v_fma_f64 v[8:9], s[24:25], v[16:17], v[8:9]
	v_fma_f64 v[6:7], s[22:23], v[16:17], -v[6:7]
	s_waitcnt vmcnt(0) lgkmcnt(0)
	v_mul_f64 v[10:11], s[14:15], v[2:3]
	v_mul_f64 v[2:3], s[12:13], v[2:3]
	v_fma_f64 v[10:11], s[12:13], v[0:1], -v[10:11]
	v_fma_f64 v[2:3], s[14:15], v[0:1], v[2:3]
	v_add_f64 v[0:1], v[6:7], v[10:11]
	v_add_f64 v[2:3], v[8:9], v[2:3]
	flat_store_dwordx4 v[4:5], v[0:3]
.LBB1676_14:
	s_endpgm
	.section	.rodata,"a",@progbits
	.p2align	6, 0x0
	.amdhsa_kernel _ZL32rocblas_syrkx_herkx_small_kernelIl19rocblas_complex_numIdELi16ELb0ELb0ELc84ELc85EKPKS1_KPS1_EviT_T0_PT6_S7_lSA_S7_lS8_PT7_S7_li
		.amdhsa_group_segment_fixed_size 8192
		.amdhsa_private_segment_fixed_size 0
		.amdhsa_kernarg_size 124
		.amdhsa_user_sgpr_count 6
		.amdhsa_user_sgpr_private_segment_buffer 1
		.amdhsa_user_sgpr_dispatch_ptr 0
		.amdhsa_user_sgpr_queue_ptr 0
		.amdhsa_user_sgpr_kernarg_segment_ptr 1
		.amdhsa_user_sgpr_dispatch_id 0
		.amdhsa_user_sgpr_flat_scratch_init 0
		.amdhsa_user_sgpr_private_segment_size 0
		.amdhsa_uses_dynamic_stack 0
		.amdhsa_system_sgpr_private_segment_wavefront_offset 0
		.amdhsa_system_sgpr_workgroup_id_x 1
		.amdhsa_system_sgpr_workgroup_id_y 1
		.amdhsa_system_sgpr_workgroup_id_z 1
		.amdhsa_system_sgpr_workgroup_info 0
		.amdhsa_system_vgpr_workitem_id 1
		.amdhsa_next_free_vgpr 54
		.amdhsa_next_free_sgpr 61
		.amdhsa_reserve_vcc 1
		.amdhsa_reserve_flat_scratch 0
		.amdhsa_float_round_mode_32 0
		.amdhsa_float_round_mode_16_64 0
		.amdhsa_float_denorm_mode_32 3
		.amdhsa_float_denorm_mode_16_64 3
		.amdhsa_dx10_clamp 1
		.amdhsa_ieee_mode 1
		.amdhsa_fp16_overflow 0
		.amdhsa_exception_fp_ieee_invalid_op 0
		.amdhsa_exception_fp_denorm_src 0
		.amdhsa_exception_fp_ieee_div_zero 0
		.amdhsa_exception_fp_ieee_overflow 0
		.amdhsa_exception_fp_ieee_underflow 0
		.amdhsa_exception_fp_ieee_inexact 0
		.amdhsa_exception_int_div_zero 0
	.end_amdhsa_kernel
	.section	.text._ZL32rocblas_syrkx_herkx_small_kernelIl19rocblas_complex_numIdELi16ELb0ELb0ELc84ELc85EKPKS1_KPS1_EviT_T0_PT6_S7_lSA_S7_lS8_PT7_S7_li,"axG",@progbits,_ZL32rocblas_syrkx_herkx_small_kernelIl19rocblas_complex_numIdELi16ELb0ELb0ELc84ELc85EKPKS1_KPS1_EviT_T0_PT6_S7_lSA_S7_lS8_PT7_S7_li,comdat
.Lfunc_end1676:
	.size	_ZL32rocblas_syrkx_herkx_small_kernelIl19rocblas_complex_numIdELi16ELb0ELb0ELc84ELc85EKPKS1_KPS1_EviT_T0_PT6_S7_lSA_S7_lS8_PT7_S7_li, .Lfunc_end1676-_ZL32rocblas_syrkx_herkx_small_kernelIl19rocblas_complex_numIdELi16ELb0ELb0ELc84ELc85EKPKS1_KPS1_EviT_T0_PT6_S7_lSA_S7_lS8_PT7_S7_li
                                        ; -- End function
	.set _ZL32rocblas_syrkx_herkx_small_kernelIl19rocblas_complex_numIdELi16ELb0ELb0ELc84ELc85EKPKS1_KPS1_EviT_T0_PT6_S7_lSA_S7_lS8_PT7_S7_li.num_vgpr, 54
	.set _ZL32rocblas_syrkx_herkx_small_kernelIl19rocblas_complex_numIdELi16ELb0ELb0ELc84ELc85EKPKS1_KPS1_EviT_T0_PT6_S7_lSA_S7_lS8_PT7_S7_li.num_agpr, 0
	.set _ZL32rocblas_syrkx_herkx_small_kernelIl19rocblas_complex_numIdELi16ELb0ELb0ELc84ELc85EKPKS1_KPS1_EviT_T0_PT6_S7_lSA_S7_lS8_PT7_S7_li.numbered_sgpr, 40
	.set _ZL32rocblas_syrkx_herkx_small_kernelIl19rocblas_complex_numIdELi16ELb0ELb0ELc84ELc85EKPKS1_KPS1_EviT_T0_PT6_S7_lSA_S7_lS8_PT7_S7_li.num_named_barrier, 0
	.set _ZL32rocblas_syrkx_herkx_small_kernelIl19rocblas_complex_numIdELi16ELb0ELb0ELc84ELc85EKPKS1_KPS1_EviT_T0_PT6_S7_lSA_S7_lS8_PT7_S7_li.private_seg_size, 0
	.set _ZL32rocblas_syrkx_herkx_small_kernelIl19rocblas_complex_numIdELi16ELb0ELb0ELc84ELc85EKPKS1_KPS1_EviT_T0_PT6_S7_lSA_S7_lS8_PT7_S7_li.uses_vcc, 1
	.set _ZL32rocblas_syrkx_herkx_small_kernelIl19rocblas_complex_numIdELi16ELb0ELb0ELc84ELc85EKPKS1_KPS1_EviT_T0_PT6_S7_lSA_S7_lS8_PT7_S7_li.uses_flat_scratch, 0
	.set _ZL32rocblas_syrkx_herkx_small_kernelIl19rocblas_complex_numIdELi16ELb0ELb0ELc84ELc85EKPKS1_KPS1_EviT_T0_PT6_S7_lSA_S7_lS8_PT7_S7_li.has_dyn_sized_stack, 0
	.set _ZL32rocblas_syrkx_herkx_small_kernelIl19rocblas_complex_numIdELi16ELb0ELb0ELc84ELc85EKPKS1_KPS1_EviT_T0_PT6_S7_lSA_S7_lS8_PT7_S7_li.has_recursion, 0
	.set _ZL32rocblas_syrkx_herkx_small_kernelIl19rocblas_complex_numIdELi16ELb0ELb0ELc84ELc85EKPKS1_KPS1_EviT_T0_PT6_S7_lSA_S7_lS8_PT7_S7_li.has_indirect_call, 0
	.section	.AMDGPU.csdata,"",@progbits
; Kernel info:
; codeLenInByte = 1912
; TotalNumSgprs: 44
; NumVgprs: 54
; ScratchSize: 0
; MemoryBound: 0
; FloatMode: 240
; IeeeMode: 1
; LDSByteSize: 8192 bytes/workgroup (compile time only)
; SGPRBlocks: 8
; VGPRBlocks: 13
; NumSGPRsForWavesPerEU: 65
; NumVGPRsForWavesPerEU: 54
; Occupancy: 4
; WaveLimiterHint : 1
; COMPUTE_PGM_RSRC2:SCRATCH_EN: 0
; COMPUTE_PGM_RSRC2:USER_SGPR: 6
; COMPUTE_PGM_RSRC2:TRAP_HANDLER: 0
; COMPUTE_PGM_RSRC2:TGID_X_EN: 1
; COMPUTE_PGM_RSRC2:TGID_Y_EN: 1
; COMPUTE_PGM_RSRC2:TGID_Z_EN: 1
; COMPUTE_PGM_RSRC2:TIDIG_COMP_CNT: 1
	.section	.text._ZL32rocblas_syrkx_herkx_small_kernelIl19rocblas_complex_numIdELi16ELb0ELb0ELc67ELc85EKPKS1_KPS1_EviT_T0_PT6_S7_lSA_S7_lS8_PT7_S7_li,"axG",@progbits,_ZL32rocblas_syrkx_herkx_small_kernelIl19rocblas_complex_numIdELi16ELb0ELb0ELc67ELc85EKPKS1_KPS1_EviT_T0_PT6_S7_lSA_S7_lS8_PT7_S7_li,comdat
	.globl	_ZL32rocblas_syrkx_herkx_small_kernelIl19rocblas_complex_numIdELi16ELb0ELb0ELc67ELc85EKPKS1_KPS1_EviT_T0_PT6_S7_lSA_S7_lS8_PT7_S7_li ; -- Begin function _ZL32rocblas_syrkx_herkx_small_kernelIl19rocblas_complex_numIdELi16ELb0ELb0ELc67ELc85EKPKS1_KPS1_EviT_T0_PT6_S7_lSA_S7_lS8_PT7_S7_li
	.p2align	8
	.type	_ZL32rocblas_syrkx_herkx_small_kernelIl19rocblas_complex_numIdELi16ELb0ELb0ELc67ELc85EKPKS1_KPS1_EviT_T0_PT6_S7_lSA_S7_lS8_PT7_S7_li,@function
_ZL32rocblas_syrkx_herkx_small_kernelIl19rocblas_complex_numIdELi16ELb0ELb0ELc67ELc85EKPKS1_KPS1_EviT_T0_PT6_S7_lSA_S7_lS8_PT7_S7_li: ; @_ZL32rocblas_syrkx_herkx_small_kernelIl19rocblas_complex_numIdELi16ELb0ELb0ELc67ELc85EKPKS1_KPS1_EviT_T0_PT6_S7_lSA_S7_lS8_PT7_S7_li
; %bb.0:
	s_load_dword s30, s[4:5], 0x0
	s_load_dwordx8 s[12:19], s[4:5], 0x50
	s_load_dwordx8 s[20:27], s[4:5], 0x8
	s_load_dwordx2 s[10:11], s[4:5], 0x28
	s_mov_b32 s9, 0
	s_lshl_b64 s[28:29], s[8:9], 3
	s_waitcnt lgkmcnt(0)
	s_add_u32 s0, s16, s28
	s_addc_u32 s1, s17, s29
	s_load_dwordx2 s[8:9], s[0:1], 0x0
	v_cmp_lt_i64_e64 s[0:1], s[20:21], 1
	v_lshl_add_u32 v7, s6, 4, v0
	v_lshl_add_u32 v19, s7, 4, v1
	s_and_b64 vcc, exec, s[0:1]
	v_ashrrev_i32_e32 v8, 31, v7
	v_cmp_gt_i32_e64 s[2:3], s30, v19
	v_ashrrev_i32_e32 v20, 31, v19
	s_cbranch_vccnz .LBB1677_9
; %bb.1:
	s_load_dwordx4 s[36:39], s[4:5], 0x38
	v_lshlrev_b32_e32 v5, 8, v1
	v_lshlrev_b32_e32 v21, 4, v0
	v_add_u32_e32 v22, v21, v5
	v_add_u32_e32 v23, 0x1000, v5
	s_waitcnt lgkmcnt(0)
	v_mul_lo_u32 v6, s39, v19
	v_mul_lo_u32 v9, s38, v20
	v_mad_u64_u32 v[3:4], s[16:17], s38, v19, 0
	s_add_u32 s4, s36, s28
	s_addc_u32 s5, s37, s29
	v_add3_u32 v4, v4, v9, v6
	v_lshlrev_b64 v[3:4], 4, v[3:4]
	s_load_dwordx2 s[4:5], s[4:5], 0x0
	v_add_co_u32_e32 v5, vcc, v3, v21
	v_addc_co_u32_e32 v6, vcc, 0, v4, vcc
	v_mul_lo_u32 v11, s11, v7
	v_mul_lo_u32 v12, s10, v8
	v_mad_u64_u32 v[3:4], s[10:11], s10, v7, 0
	s_add_u32 s6, s26, s28
	s_addc_u32 s7, s27, s29
	s_load_dwordx2 s[6:7], s[6:7], 0x0
	v_add3_u32 v4, v4, v12, v11
	s_waitcnt lgkmcnt(0)
	v_mov_b32_e32 v10, s5
	v_add_co_u32_e32 v9, vcc, s4, v5
	v_lshlrev_b64 v[3:4], 4, v[3:4]
	v_addc_co_u32_e32 v10, vcc, v10, v6, vcc
	v_lshlrev_b32_e32 v5, 4, v1
	v_add_co_u32_e32 v3, vcc, v3, v5
	v_addc_co_u32_e32 v4, vcc, 0, v4, vcc
	v_mov_b32_e32 v5, s7
	v_add_co_u32_e32 v11, vcc, s6, v3
	v_mov_b32_e32 v15, 0
	v_mov_b32_e32 v17, 0
	;; [unrolled: 1-line block ×4, first 2 shown]
	v_cmp_gt_i32_e64 s[0:1], s30, v7
	v_add_u32_e32 v24, v23, v21
	v_addc_co_u32_e32 v12, vcc, v5, v4, vcc
	v_mov_b32_e32 v16, 0
	s_mov_b64 s[4:5], 0
	s_xor_b64 s[6:7], s[2:3], -1
	v_mov_b32_e32 v18, 0
	v_mov_b32_e32 v14, s21
	s_branch .LBB1677_3
.LBB1677_2:                             ;   in Loop: Header=BB1677_3 Depth=1
	s_or_b64 exec, exec, s[2:3]
	s_waitcnt lgkmcnt(0)
	s_barrier
	ds_read_b128 v[3:6], v21
	ds_read_b128 v[25:28], v23
	ds_read_b128 v[29:32], v23 offset:16
	ds_read_b128 v[33:36], v21 offset:256
	s_add_u32 s4, s4, 16
	v_add_co_u32_e32 v9, vcc, 0x100, v9
	s_waitcnt lgkmcnt(2)
	v_mul_f64 v[39:40], v[27:28], v[5:6]
	v_mul_f64 v[5:6], v[25:26], v[5:6]
	s_waitcnt lgkmcnt(0)
	v_mul_f64 v[43:44], v[31:32], v[35:36]
	v_mul_f64 v[45:46], v[29:30], v[35:36]
	ds_read_b128 v[35:38], v21 offset:512
	s_addc_u32 s5, s5, 0
	v_addc_co_u32_e32 v10, vcc, 0, v10, vcc
	v_fma_f64 v[47:48], v[25:26], v[3:4], -v[39:40]
	v_fma_f64 v[49:50], v[27:28], v[3:4], v[5:6]
	ds_read_b128 v[3:6], v23 offset:32
	ds_read_b128 v[25:28], v23 offset:48
	;; [unrolled: 1-line block ×3, first 2 shown]
	v_fma_f64 v[29:30], v[29:30], v[33:34], -v[43:44]
	v_fma_f64 v[31:32], v[31:32], v[33:34], v[45:46]
	s_waitcnt lgkmcnt(2)
	v_mul_f64 v[33:34], v[5:6], v[37:38]
	v_mul_f64 v[37:38], v[3:4], v[37:38]
	v_add_co_u32_e32 v11, vcc, 0x100, v11
	v_add_f64 v[43:44], v[17:18], v[47:48]
	v_add_f64 v[45:46], v[15:16], v[49:50]
	s_waitcnt lgkmcnt(0)
	v_mul_f64 v[47:48], v[27:28], v[41:42]
	v_mul_f64 v[41:42], v[25:26], v[41:42]
	v_fma_f64 v[49:50], v[3:4], v[35:36], -v[33:34]
	v_fma_f64 v[37:38], v[5:6], v[35:36], v[37:38]
	ds_read_b128 v[15:18], v21 offset:1024
	v_cmp_ge_i64_e64 s[2:3], s[4:5], v[13:14]
	v_add_f64 v[43:44], v[43:44], v[29:30]
	v_add_f64 v[45:46], v[45:46], v[31:32]
	ds_read_b128 v[3:6], v23 offset:64
	ds_read_b128 v[29:32], v23 offset:80
	;; [unrolled: 1-line block ×3, first 2 shown]
	v_fma_f64 v[47:48], v[25:26], v[39:40], -v[47:48]
	v_fma_f64 v[39:40], v[27:28], v[39:40], v[41:42]
	s_waitcnt lgkmcnt(2)
	v_mul_f64 v[41:42], v[5:6], v[17:18]
	v_mul_f64 v[17:18], v[3:4], v[17:18]
	ds_read_b128 v[25:28], v21 offset:1536
	v_add_f64 v[43:44], v[43:44], v[49:50]
	v_add_f64 v[37:38], v[45:46], v[37:38]
	s_waitcnt lgkmcnt(1)
	v_mul_f64 v[45:46], v[31:32], v[35:36]
	v_mul_f64 v[49:50], v[29:30], v[35:36]
	v_addc_co_u32_e32 v12, vcc, 0, v12, vcc
	v_fma_f64 v[41:42], v[3:4], v[15:16], -v[41:42]
	v_fma_f64 v[51:52], v[5:6], v[15:16], v[17:18]
	v_add_f64 v[43:44], v[43:44], v[47:48]
	v_add_f64 v[39:40], v[37:38], v[39:40]
	ds_read_b128 v[3:6], v23 offset:96
	ds_read_b128 v[15:18], v23 offset:112
	;; [unrolled: 1-line block ×3, first 2 shown]
	v_fma_f64 v[45:46], v[29:30], v[33:34], -v[45:46]
	v_fma_f64 v[31:32], v[31:32], v[33:34], v[49:50]
	s_waitcnt lgkmcnt(2)
	v_mul_f64 v[33:34], v[5:6], v[27:28]
	v_mul_f64 v[47:48], v[3:4], v[27:28]
	s_waitcnt lgkmcnt(0)
	v_mul_f64 v[49:50], v[15:16], v[37:38]
	v_add_f64 v[41:42], v[43:44], v[41:42]
	v_add_f64 v[39:40], v[39:40], v[51:52]
	v_mul_f64 v[43:44], v[17:18], v[37:38]
	ds_read_b128 v[27:30], v21 offset:2048
	s_and_b64 vcc, exec, s[2:3]
	v_fma_f64 v[51:52], v[3:4], v[25:26], -v[33:34]
	v_fma_f64 v[25:26], v[5:6], v[25:26], v[47:48]
	v_add_f64 v[41:42], v[41:42], v[45:46]
	v_add_f64 v[45:46], v[39:40], v[31:32]
	ds_read_b128 v[3:6], v23 offset:128
	ds_read_b128 v[31:34], v23 offset:144
	;; [unrolled: 1-line block ×3, first 2 shown]
	v_fma_f64 v[43:44], v[15:16], v[35:36], -v[43:44]
	v_fma_f64 v[35:36], v[17:18], v[35:36], v[49:50]
	s_waitcnt lgkmcnt(2)
	v_mul_f64 v[47:48], v[5:6], v[29:30]
	v_mul_f64 v[29:30], v[3:4], v[29:30]
	s_waitcnt lgkmcnt(0)
	v_mul_f64 v[49:50], v[31:32], v[39:40]
	v_add_f64 v[41:42], v[41:42], v[51:52]
	v_add_f64 v[25:26], v[45:46], v[25:26]
	v_mul_f64 v[45:46], v[33:34], v[39:40]
	ds_read_b128 v[15:18], v21 offset:2560
	v_fma_f64 v[47:48], v[3:4], v[27:28], -v[47:48]
	v_fma_f64 v[29:30], v[5:6], v[27:28], v[29:30]
	v_fma_f64 v[33:34], v[33:34], v[37:38], v[49:50]
	v_add_f64 v[43:44], v[41:42], v[43:44]
	v_add_f64 v[35:36], v[25:26], v[35:36]
	ds_read_b128 v[3:6], v23 offset:160
	ds_read_b128 v[25:28], v23 offset:176
	;; [unrolled: 1-line block ×3, first 2 shown]
	v_fma_f64 v[45:46], v[31:32], v[37:38], -v[45:46]
	s_waitcnt lgkmcnt(2)
	v_mul_f64 v[37:38], v[5:6], v[17:18]
	v_mul_f64 v[17:18], v[3:4], v[17:18]
	v_add_f64 v[43:44], v[43:44], v[47:48]
	v_add_f64 v[35:36], v[35:36], v[29:30]
	s_waitcnt lgkmcnt(0)
	v_mul_f64 v[47:48], v[27:28], v[41:42]
	v_mul_f64 v[41:42], v[25:26], v[41:42]
	ds_read_b128 v[29:32], v21 offset:3072
	v_fma_f64 v[37:38], v[3:4], v[15:16], -v[37:38]
	v_fma_f64 v[49:50], v[5:6], v[15:16], v[17:18]
	v_add_f64 v[43:44], v[43:44], v[45:46]
	v_add_f64 v[45:46], v[35:36], v[33:34]
	ds_read_b128 v[3:6], v23 offset:192
	ds_read_b128 v[15:18], v23 offset:208
	;; [unrolled: 1-line block ×3, first 2 shown]
	v_fma_f64 v[47:48], v[25:26], v[39:40], -v[47:48]
	v_fma_f64 v[39:40], v[27:28], v[39:40], v[41:42]
	s_waitcnt lgkmcnt(2)
	v_mul_f64 v[41:42], v[5:6], v[31:32]
	v_mul_f64 v[31:32], v[3:4], v[31:32]
	ds_read_b128 v[25:28], v21 offset:3584
	v_add_f64 v[37:38], v[43:44], v[37:38]
	v_add_f64 v[43:44], v[45:46], v[49:50]
	s_waitcnt lgkmcnt(1)
	v_mul_f64 v[45:46], v[17:18], v[35:36]
	v_mul_f64 v[49:50], v[15:16], v[35:36]
	v_fma_f64 v[41:42], v[3:4], v[29:30], -v[41:42]
	v_fma_f64 v[51:52], v[5:6], v[29:30], v[31:32]
	v_add_f64 v[47:48], v[37:38], v[47:48]
	v_add_f64 v[39:40], v[43:44], v[39:40]
	ds_read_b128 v[3:6], v23 offset:224
	ds_read_b128 v[29:32], v23 offset:240
	;; [unrolled: 1-line block ×3, first 2 shown]
	v_fma_f64 v[15:16], v[15:16], v[33:34], -v[45:46]
	v_fma_f64 v[17:18], v[17:18], v[33:34], v[49:50]
	s_waitcnt lgkmcnt(2)
	v_mul_f64 v[33:34], v[5:6], v[27:28]
	v_mul_f64 v[27:28], v[3:4], v[27:28]
	s_waitcnt lgkmcnt(0)
	v_mul_f64 v[43:44], v[31:32], v[37:38]
	v_add_f64 v[41:42], v[47:48], v[41:42]
	v_add_f64 v[39:40], v[39:40], v[51:52]
	v_mul_f64 v[37:38], v[29:30], v[37:38]
	s_barrier
	v_fma_f64 v[3:4], v[3:4], v[25:26], -v[33:34]
	v_fma_f64 v[5:6], v[5:6], v[25:26], v[27:28]
	v_fma_f64 v[25:26], v[29:30], v[35:36], -v[43:44]
	v_add_f64 v[15:16], v[41:42], v[15:16]
	v_add_f64 v[17:18], v[39:40], v[17:18]
	v_fma_f64 v[27:28], v[31:32], v[35:36], v[37:38]
	v_add_f64 v[3:4], v[15:16], v[3:4]
	v_add_f64 v[5:6], v[17:18], v[5:6]
	;; [unrolled: 1-line block ×4, first 2 shown]
	s_cbranch_vccnz .LBB1677_10
.LBB1677_3:                             ; =>This Inner Loop Header: Depth=1
	v_mov_b32_e32 v4, s5
	v_add_co_u32_e32 v3, vcc, s4, v1
	v_addc_co_u32_e32 v4, vcc, 0, v4, vcc
	v_cmp_gt_i64_e32 vcc, s[20:21], v[3:4]
	v_mov_b32_e32 v3, 0
	v_mov_b32_e32 v5, 0
	;; [unrolled: 1-line block ×4, first 2 shown]
	s_and_b64 s[10:11], s[0:1], vcc
	s_and_saveexec_b64 s[2:3], s[10:11]
	s_cbranch_execz .LBB1677_5
; %bb.4:                                ;   in Loop: Header=BB1677_3 Depth=1
	flat_load_dwordx4 v[3:6], v[11:12]
.LBB1677_5:                             ;   in Loop: Header=BB1677_3 Depth=1
	s_or_b64 exec, exec, s[2:3]
	v_mov_b32_e32 v26, s5
	v_add_co_u32_e32 v25, vcc, s4, v0
	v_addc_co_u32_e32 v26, vcc, 0, v26, vcc
	v_cmp_le_i64_e32 vcc, s[20:21], v[25:26]
	s_waitcnt vmcnt(0) lgkmcnt(0)
	ds_write_b128 v22, v[3:6]
	s_or_b64 s[2:3], s[6:7], vcc
	s_and_saveexec_b64 s[10:11], s[2:3]
	s_xor_b64 s[2:3], exec, s[10:11]
; %bb.6:                                ;   in Loop: Header=BB1677_3 Depth=1
	v_mov_b32_e32 v3, v2
	v_mov_b32_e32 v4, v2
	;; [unrolled: 1-line block ×3, first 2 shown]
	ds_write_b128 v24, v[2:5]
; %bb.7:                                ;   in Loop: Header=BB1677_3 Depth=1
	s_andn2_saveexec_b64 s[2:3], s[2:3]
	s_cbranch_execz .LBB1677_2
; %bb.8:                                ;   in Loop: Header=BB1677_3 Depth=1
	flat_load_dwordx4 v[3:6], v[9:10]
	s_waitcnt vmcnt(0) lgkmcnt(0)
	ds_write2_b64 v24, v[3:4], v[5:6] offset1:1
	s_branch .LBB1677_2
.LBB1677_9:
	v_mov_b32_e32 v15, 0
	v_mov_b32_e32 v17, 0
	v_mov_b32_e32 v16, 0
	v_mov_b32_e32 v18, 0
.LBB1677_10:
	v_cmp_le_i32_e32 vcc, v7, v19
	v_cmp_gt_i32_e64 s[0:1], s30, v19
	s_and_b64 s[0:1], vcc, s[0:1]
	s_and_saveexec_b64 s[2:3], s[0:1]
	s_cbranch_execz .LBB1677_12
; %bb.11:
	v_mul_lo_u32 v2, s19, v19
	v_mul_lo_u32 v3, s18, v20
	v_mad_u64_u32 v[0:1], s[0:1], s18, v19, 0
	v_add3_u32 v1, v1, v3, v2
	v_lshlrev_b64 v[0:1], 4, v[0:1]
	s_waitcnt lgkmcnt(0)
	v_mov_b32_e32 v2, s9
	v_add_co_u32_e32 v3, vcc, s8, v0
	v_addc_co_u32_e32 v2, vcc, v2, v1, vcc
	v_lshlrev_b64 v[0:1], 4, v[7:8]
	v_mul_f64 v[6:7], s[24:25], v[15:16]
	v_add_co_u32_e32 v4, vcc, v3, v0
	v_addc_co_u32_e32 v5, vcc, v2, v1, vcc
	flat_load_dwordx4 v[0:3], v[4:5]
	v_mul_f64 v[8:9], s[22:23], v[15:16]
	v_fma_f64 v[6:7], s[22:23], v[17:18], -v[6:7]
	v_fma_f64 v[8:9], s[24:25], v[17:18], v[8:9]
	s_waitcnt vmcnt(0) lgkmcnt(0)
	v_mul_f64 v[10:11], s[14:15], v[2:3]
	v_mul_f64 v[2:3], s[12:13], v[2:3]
	v_fma_f64 v[10:11], s[12:13], v[0:1], -v[10:11]
	v_fma_f64 v[2:3], s[14:15], v[0:1], v[2:3]
	v_add_f64 v[0:1], v[6:7], v[10:11]
	v_add_f64 v[2:3], v[8:9], v[2:3]
	flat_store_dwordx4 v[4:5], v[0:3]
.LBB1677_12:
	s_endpgm
	.section	.rodata,"a",@progbits
	.p2align	6, 0x0
	.amdhsa_kernel _ZL32rocblas_syrkx_herkx_small_kernelIl19rocblas_complex_numIdELi16ELb0ELb0ELc67ELc85EKPKS1_KPS1_EviT_T0_PT6_S7_lSA_S7_lS8_PT7_S7_li
		.amdhsa_group_segment_fixed_size 8192
		.amdhsa_private_segment_fixed_size 0
		.amdhsa_kernarg_size 124
		.amdhsa_user_sgpr_count 6
		.amdhsa_user_sgpr_private_segment_buffer 1
		.amdhsa_user_sgpr_dispatch_ptr 0
		.amdhsa_user_sgpr_queue_ptr 0
		.amdhsa_user_sgpr_kernarg_segment_ptr 1
		.amdhsa_user_sgpr_dispatch_id 0
		.amdhsa_user_sgpr_flat_scratch_init 0
		.amdhsa_user_sgpr_private_segment_size 0
		.amdhsa_uses_dynamic_stack 0
		.amdhsa_system_sgpr_private_segment_wavefront_offset 0
		.amdhsa_system_sgpr_workgroup_id_x 1
		.amdhsa_system_sgpr_workgroup_id_y 1
		.amdhsa_system_sgpr_workgroup_id_z 1
		.amdhsa_system_sgpr_workgroup_info 0
		.amdhsa_system_vgpr_workitem_id 1
		.amdhsa_next_free_vgpr 53
		.amdhsa_next_free_sgpr 61
		.amdhsa_reserve_vcc 1
		.amdhsa_reserve_flat_scratch 0
		.amdhsa_float_round_mode_32 0
		.amdhsa_float_round_mode_16_64 0
		.amdhsa_float_denorm_mode_32 3
		.amdhsa_float_denorm_mode_16_64 3
		.amdhsa_dx10_clamp 1
		.amdhsa_ieee_mode 1
		.amdhsa_fp16_overflow 0
		.amdhsa_exception_fp_ieee_invalid_op 0
		.amdhsa_exception_fp_denorm_src 0
		.amdhsa_exception_fp_ieee_div_zero 0
		.amdhsa_exception_fp_ieee_overflow 0
		.amdhsa_exception_fp_ieee_underflow 0
		.amdhsa_exception_fp_ieee_inexact 0
		.amdhsa_exception_int_div_zero 0
	.end_amdhsa_kernel
	.section	.text._ZL32rocblas_syrkx_herkx_small_kernelIl19rocblas_complex_numIdELi16ELb0ELb0ELc67ELc85EKPKS1_KPS1_EviT_T0_PT6_S7_lSA_S7_lS8_PT7_S7_li,"axG",@progbits,_ZL32rocblas_syrkx_herkx_small_kernelIl19rocblas_complex_numIdELi16ELb0ELb0ELc67ELc85EKPKS1_KPS1_EviT_T0_PT6_S7_lSA_S7_lS8_PT7_S7_li,comdat
.Lfunc_end1677:
	.size	_ZL32rocblas_syrkx_herkx_small_kernelIl19rocblas_complex_numIdELi16ELb0ELb0ELc67ELc85EKPKS1_KPS1_EviT_T0_PT6_S7_lSA_S7_lS8_PT7_S7_li, .Lfunc_end1677-_ZL32rocblas_syrkx_herkx_small_kernelIl19rocblas_complex_numIdELi16ELb0ELb0ELc67ELc85EKPKS1_KPS1_EviT_T0_PT6_S7_lSA_S7_lS8_PT7_S7_li
                                        ; -- End function
	.set _ZL32rocblas_syrkx_herkx_small_kernelIl19rocblas_complex_numIdELi16ELb0ELb0ELc67ELc85EKPKS1_KPS1_EviT_T0_PT6_S7_lSA_S7_lS8_PT7_S7_li.num_vgpr, 53
	.set _ZL32rocblas_syrkx_herkx_small_kernelIl19rocblas_complex_numIdELi16ELb0ELb0ELc67ELc85EKPKS1_KPS1_EviT_T0_PT6_S7_lSA_S7_lS8_PT7_S7_li.num_agpr, 0
	.set _ZL32rocblas_syrkx_herkx_small_kernelIl19rocblas_complex_numIdELi16ELb0ELb0ELc67ELc85EKPKS1_KPS1_EviT_T0_PT6_S7_lSA_S7_lS8_PT7_S7_li.numbered_sgpr, 40
	.set _ZL32rocblas_syrkx_herkx_small_kernelIl19rocblas_complex_numIdELi16ELb0ELb0ELc67ELc85EKPKS1_KPS1_EviT_T0_PT6_S7_lSA_S7_lS8_PT7_S7_li.num_named_barrier, 0
	.set _ZL32rocblas_syrkx_herkx_small_kernelIl19rocblas_complex_numIdELi16ELb0ELb0ELc67ELc85EKPKS1_KPS1_EviT_T0_PT6_S7_lSA_S7_lS8_PT7_S7_li.private_seg_size, 0
	.set _ZL32rocblas_syrkx_herkx_small_kernelIl19rocblas_complex_numIdELi16ELb0ELb0ELc67ELc85EKPKS1_KPS1_EviT_T0_PT6_S7_lSA_S7_lS8_PT7_S7_li.uses_vcc, 1
	.set _ZL32rocblas_syrkx_herkx_small_kernelIl19rocblas_complex_numIdELi16ELb0ELb0ELc67ELc85EKPKS1_KPS1_EviT_T0_PT6_S7_lSA_S7_lS8_PT7_S7_li.uses_flat_scratch, 0
	.set _ZL32rocblas_syrkx_herkx_small_kernelIl19rocblas_complex_numIdELi16ELb0ELb0ELc67ELc85EKPKS1_KPS1_EviT_T0_PT6_S7_lSA_S7_lS8_PT7_S7_li.has_dyn_sized_stack, 0
	.set _ZL32rocblas_syrkx_herkx_small_kernelIl19rocblas_complex_numIdELi16ELb0ELb0ELc67ELc85EKPKS1_KPS1_EviT_T0_PT6_S7_lSA_S7_lS8_PT7_S7_li.has_recursion, 0
	.set _ZL32rocblas_syrkx_herkx_small_kernelIl19rocblas_complex_numIdELi16ELb0ELb0ELc67ELc85EKPKS1_KPS1_EviT_T0_PT6_S7_lSA_S7_lS8_PT7_S7_li.has_indirect_call, 0
	.section	.AMDGPU.csdata,"",@progbits
; Kernel info:
; codeLenInByte = 1868
; TotalNumSgprs: 44
; NumVgprs: 53
; ScratchSize: 0
; MemoryBound: 1
; FloatMode: 240
; IeeeMode: 1
; LDSByteSize: 8192 bytes/workgroup (compile time only)
; SGPRBlocks: 8
; VGPRBlocks: 13
; NumSGPRsForWavesPerEU: 65
; NumVGPRsForWavesPerEU: 53
; Occupancy: 4
; WaveLimiterHint : 1
; COMPUTE_PGM_RSRC2:SCRATCH_EN: 0
; COMPUTE_PGM_RSRC2:USER_SGPR: 6
; COMPUTE_PGM_RSRC2:TRAP_HANDLER: 0
; COMPUTE_PGM_RSRC2:TGID_X_EN: 1
; COMPUTE_PGM_RSRC2:TGID_Y_EN: 1
; COMPUTE_PGM_RSRC2:TGID_Z_EN: 1
; COMPUTE_PGM_RSRC2:TIDIG_COMP_CNT: 1
	.section	.text._ZL32rocblas_syrkx_herkx_small_kernelIl19rocblas_complex_numIdELi16ELb0ELb0ELc78ELc85EKPKS1_KPS1_EviT_T0_PT6_S7_lSA_S7_lS8_PT7_S7_li,"axG",@progbits,_ZL32rocblas_syrkx_herkx_small_kernelIl19rocblas_complex_numIdELi16ELb0ELb0ELc78ELc85EKPKS1_KPS1_EviT_T0_PT6_S7_lSA_S7_lS8_PT7_S7_li,comdat
	.globl	_ZL32rocblas_syrkx_herkx_small_kernelIl19rocblas_complex_numIdELi16ELb0ELb0ELc78ELc85EKPKS1_KPS1_EviT_T0_PT6_S7_lSA_S7_lS8_PT7_S7_li ; -- Begin function _ZL32rocblas_syrkx_herkx_small_kernelIl19rocblas_complex_numIdELi16ELb0ELb0ELc78ELc85EKPKS1_KPS1_EviT_T0_PT6_S7_lSA_S7_lS8_PT7_S7_li
	.p2align	8
	.type	_ZL32rocblas_syrkx_herkx_small_kernelIl19rocblas_complex_numIdELi16ELb0ELb0ELc78ELc85EKPKS1_KPS1_EviT_T0_PT6_S7_lSA_S7_lS8_PT7_S7_li,@function
_ZL32rocblas_syrkx_herkx_small_kernelIl19rocblas_complex_numIdELi16ELb0ELb0ELc78ELc85EKPKS1_KPS1_EviT_T0_PT6_S7_lSA_S7_lS8_PT7_S7_li: ; @_ZL32rocblas_syrkx_herkx_small_kernelIl19rocblas_complex_numIdELi16ELb0ELb0ELc78ELc85EKPKS1_KPS1_EviT_T0_PT6_S7_lSA_S7_lS8_PT7_S7_li
; %bb.0:
	s_load_dword s30, s[4:5], 0x0
	s_load_dwordx8 s[12:19], s[4:5], 0x50
	s_load_dwordx8 s[20:27], s[4:5], 0x8
	s_load_dwordx2 s[28:29], s[4:5], 0x28
	s_mov_b32 s9, 0
	s_lshl_b64 s[2:3], s[8:9], 3
	s_waitcnt lgkmcnt(0)
	s_add_u32 s0, s16, s2
	s_addc_u32 s1, s17, s3
	s_load_dwordx2 s[16:17], s[0:1], 0x0
	v_cmp_lt_i64_e64 s[0:1], s[20:21], 1
	v_lshl_add_u32 v7, s6, 4, v0
	v_lshl_add_u32 v9, s7, 4, v1
	s_and_b64 vcc, exec, s[0:1]
	v_ashrrev_i32_e32 v8, 31, v7
	v_cmp_gt_i32_e64 s[0:1], s30, v9
	v_ashrrev_i32_e32 v10, 31, v9
	s_cbranch_vccnz .LBB1678_9
; %bb.1:
	s_load_dwordx4 s[8:11], s[4:5], 0x38
	v_lshlrev_b32_e32 v6, 8, v1
	v_lshlrev_b32_e32 v21, 4, v0
	v_add_u32_e32 v22, v21, v6
	v_add_u32_e32 v23, 0x1000, v6
	s_waitcnt lgkmcnt(0)
	s_add_u32 s4, s8, s2
	v_mad_u64_u32 v[3:4], s[6:7], s10, v0, 0
	s_addc_u32 s5, s9, s3
	s_add_u32 s2, s26, s2
	s_addc_u32 s3, s27, s3
	s_load_dwordx2 s[6:7], s[2:3], 0x0
	v_mad_u64_u32 v[4:5], s[2:3], s11, v0, v[4:5]
	v_mad_u64_u32 v[13:14], s[2:3], s28, v1, 0
	v_lshlrev_b64 v[3:4], 4, v[3:4]
	v_lshlrev_b64 v[5:6], 4, v[9:10]
	s_load_dwordx2 s[4:5], s[4:5], 0x0
	v_add_co_u32_e64 v5, s[2:3], v3, v5
	v_mov_b32_e32 v3, v14
	v_addc_co_u32_e64 v6, s[2:3], v4, v6, s[2:3]
	v_mad_u64_u32 v[3:4], s[2:3], s29, v1, v[3:4]
	s_waitcnt lgkmcnt(0)
	v_mov_b32_e32 v12, s5
	v_add_co_u32_e64 v11, s[2:3], s4, v5
	v_mov_b32_e32 v14, v3
	v_addc_co_u32_e64 v12, s[2:3], v12, v6, s[2:3]
	v_lshlrev_b64 v[3:4], 4, v[13:14]
	v_lshlrev_b64 v[5:6], 4, v[7:8]
	v_cmp_gt_i32_e32 vcc, s30, v7
	v_add_co_u32_e64 v3, s[2:3], v3, v5
	v_addc_co_u32_e64 v4, s[2:3], v4, v6, s[2:3]
	s_lshl_b64 s[4:5], s[10:11], 8
	v_mov_b32_e32 v5, s7
	v_add_co_u32_e64 v13, s[2:3], s6, v3
	s_lshl_b64 s[6:7], s[28:29], 8
	v_mov_b32_e32 v17, 0
	v_mov_b32_e32 v19, 0
	;; [unrolled: 1-line block ×4, first 2 shown]
	v_add_u32_e32 v24, v23, v21
	v_addc_co_u32_e64 v14, s[2:3], v5, v4, s[2:3]
	v_mov_b32_e32 v18, 0
	s_mov_b64 s[8:9], 0
	s_xor_b64 s[10:11], vcc, -1
	v_mov_b32_e32 v25, s5
	v_mov_b32_e32 v26, s7
	;; [unrolled: 1-line block ×4, first 2 shown]
	s_branch .LBB1678_3
.LBB1678_2:                             ;   in Loop: Header=BB1678_3 Depth=1
	s_or_b64 exec, exec, s[2:3]
	s_waitcnt vmcnt(0) lgkmcnt(0)
	ds_write_b128 v24, v[3:6]
	s_waitcnt lgkmcnt(0)
	s_barrier
	ds_read_b128 v[3:6], v21
	ds_read_b128 v[27:30], v23
	ds_read_b128 v[31:34], v23 offset:16
	ds_read_b128 v[35:38], v21 offset:256
	s_add_u32 s8, s8, 16
	v_add_co_u32_e32 v11, vcc, s4, v11
	s_waitcnt lgkmcnt(2)
	v_mul_f64 v[39:40], v[29:30], v[5:6]
	v_mul_f64 v[5:6], v[27:28], v[5:6]
	s_waitcnt lgkmcnt(0)
	v_mul_f64 v[41:42], v[33:34], v[37:38]
	v_mul_f64 v[43:44], v[31:32], v[37:38]
	v_addc_co_u32_e32 v12, vcc, v12, v25, vcc
	s_addc_u32 s9, s9, 0
	v_cmp_ge_i64_e32 vcc, s[8:9], v[15:16]
	v_fma_f64 v[45:46], v[27:28], v[3:4], -v[39:40]
	v_fma_f64 v[47:48], v[29:30], v[3:4], v[5:6]
	ds_read_b128 v[3:6], v21 offset:512
	ds_read_b128 v[27:30], v23 offset:32
	;; [unrolled: 1-line block ×3, first 2 shown]
	v_fma_f64 v[41:42], v[31:32], v[35:36], -v[41:42]
	v_fma_f64 v[35:36], v[33:34], v[35:36], v[43:44]
	ds_read_b128 v[31:34], v21 offset:768
	s_waitcnt lgkmcnt(2)
	v_mul_f64 v[43:44], v[29:30], v[5:6]
	v_mul_f64 v[5:6], v[27:28], v[5:6]
	v_add_f64 v[19:20], v[19:20], v[45:46]
	v_add_f64 v[17:18], v[17:18], v[47:48]
	s_waitcnt lgkmcnt(0)
	v_mul_f64 v[45:46], v[39:40], v[33:34]
	v_mul_f64 v[33:34], v[37:38], v[33:34]
	v_add_co_u32_e64 v13, s[2:3], s6, v13
	v_fma_f64 v[43:44], v[27:28], v[3:4], -v[43:44]
	v_fma_f64 v[47:48], v[29:30], v[3:4], v[5:6]
	v_add_f64 v[41:42], v[19:20], v[41:42]
	v_add_f64 v[35:36], v[17:18], v[35:36]
	ds_read_b128 v[3:6], v23 offset:64
	ds_read_b128 v[17:20], v21 offset:1024
	v_fma_f64 v[37:38], v[37:38], v[31:32], -v[45:46]
	v_fma_f64 v[39:40], v[39:40], v[31:32], v[33:34]
	ds_read_b128 v[27:30], v23 offset:80
	ds_read_b128 v[31:34], v21 offset:1280
	v_addc_co_u32_e64 v14, s[2:3], v14, v26, s[2:3]
	s_waitcnt lgkmcnt(2)
	v_mul_f64 v[45:46], v[5:6], v[19:20]
	v_mul_f64 v[19:20], v[3:4], v[19:20]
	v_add_f64 v[41:42], v[41:42], v[43:44]
	v_add_f64 v[35:36], v[35:36], v[47:48]
	s_waitcnt lgkmcnt(0)
	v_mul_f64 v[43:44], v[29:30], v[33:34]
	v_mul_f64 v[33:34], v[27:28], v[33:34]
	s_and_b64 vcc, exec, vcc
	v_fma_f64 v[45:46], v[3:4], v[17:18], -v[45:46]
	v_fma_f64 v[47:48], v[5:6], v[17:18], v[19:20]
	v_add_f64 v[37:38], v[41:42], v[37:38]
	v_add_f64 v[35:36], v[35:36], v[39:40]
	ds_read_b128 v[3:6], v23 offset:96
	ds_read_b128 v[17:20], v21 offset:1536
	v_fma_f64 v[39:40], v[27:28], v[31:32], -v[43:44]
	v_fma_f64 v[41:42], v[29:30], v[31:32], v[33:34]
	ds_read_b128 v[27:30], v23 offset:112
	ds_read_b128 v[31:34], v21 offset:1792
	s_waitcnt lgkmcnt(2)
	v_mul_f64 v[43:44], v[5:6], v[19:20]
	v_mul_f64 v[19:20], v[3:4], v[19:20]
	v_add_f64 v[37:38], v[37:38], v[45:46]
	v_add_f64 v[35:36], v[35:36], v[47:48]
	s_waitcnt lgkmcnt(0)
	v_mul_f64 v[45:46], v[29:30], v[33:34]
	v_mul_f64 v[33:34], v[27:28], v[33:34]
	v_fma_f64 v[43:44], v[3:4], v[17:18], -v[43:44]
	v_fma_f64 v[47:48], v[5:6], v[17:18], v[19:20]
	v_add_f64 v[37:38], v[37:38], v[39:40]
	v_add_f64 v[35:36], v[35:36], v[41:42]
	ds_read_b128 v[3:6], v23 offset:128
	ds_read_b128 v[17:20], v21 offset:2048
	v_fma_f64 v[39:40], v[27:28], v[31:32], -v[45:46]
	v_fma_f64 v[41:42], v[29:30], v[31:32], v[33:34]
	ds_read_b128 v[27:30], v23 offset:144
	ds_read_b128 v[31:34], v21 offset:2304
	s_waitcnt lgkmcnt(2)
	v_mul_f64 v[45:46], v[5:6], v[19:20]
	v_mul_f64 v[19:20], v[3:4], v[19:20]
	v_add_f64 v[37:38], v[37:38], v[43:44]
	v_add_f64 v[35:36], v[35:36], v[47:48]
	s_waitcnt lgkmcnt(0)
	v_mul_f64 v[43:44], v[29:30], v[33:34]
	v_mul_f64 v[33:34], v[27:28], v[33:34]
	v_fma_f64 v[45:46], v[3:4], v[17:18], -v[45:46]
	v_fma_f64 v[47:48], v[5:6], v[17:18], v[19:20]
	v_add_f64 v[37:38], v[37:38], v[39:40]
	v_add_f64 v[35:36], v[35:36], v[41:42]
	ds_read_b128 v[3:6], v23 offset:160
	ds_read_b128 v[17:20], v21 offset:2560
	v_fma_f64 v[39:40], v[27:28], v[31:32], -v[43:44]
	v_fma_f64 v[41:42], v[29:30], v[31:32], v[33:34]
	ds_read_b128 v[27:30], v23 offset:176
	ds_read_b128 v[31:34], v21 offset:2816
	s_waitcnt lgkmcnt(2)
	v_mul_f64 v[43:44], v[5:6], v[19:20]
	v_mul_f64 v[19:20], v[3:4], v[19:20]
	v_add_f64 v[37:38], v[37:38], v[45:46]
	v_add_f64 v[35:36], v[35:36], v[47:48]
	s_waitcnt lgkmcnt(0)
	v_mul_f64 v[45:46], v[29:30], v[33:34]
	v_mul_f64 v[33:34], v[27:28], v[33:34]
	v_fma_f64 v[43:44], v[3:4], v[17:18], -v[43:44]
	v_fma_f64 v[47:48], v[5:6], v[17:18], v[19:20]
	v_add_f64 v[37:38], v[37:38], v[39:40]
	v_add_f64 v[35:36], v[35:36], v[41:42]
	ds_read_b128 v[3:6], v23 offset:192
	ds_read_b128 v[17:20], v21 offset:3072
	v_fma_f64 v[39:40], v[27:28], v[31:32], -v[45:46]
	v_fma_f64 v[41:42], v[29:30], v[31:32], v[33:34]
	ds_read_b128 v[27:30], v23 offset:208
	ds_read_b128 v[31:34], v21 offset:3328
	s_waitcnt lgkmcnt(2)
	v_mul_f64 v[45:46], v[5:6], v[19:20]
	v_mul_f64 v[19:20], v[3:4], v[19:20]
	v_add_f64 v[37:38], v[37:38], v[43:44]
	v_add_f64 v[35:36], v[35:36], v[47:48]
	s_waitcnt lgkmcnt(0)
	v_mul_f64 v[43:44], v[29:30], v[33:34]
	v_mul_f64 v[33:34], v[27:28], v[33:34]
	v_fma_f64 v[45:46], v[3:4], v[17:18], -v[45:46]
	v_fma_f64 v[47:48], v[5:6], v[17:18], v[19:20]
	v_add_f64 v[37:38], v[37:38], v[39:40]
	v_add_f64 v[35:36], v[35:36], v[41:42]
	ds_read_b128 v[3:6], v23 offset:224
	ds_read_b128 v[17:20], v21 offset:3584
	v_fma_f64 v[39:40], v[27:28], v[31:32], -v[43:44]
	v_fma_f64 v[41:42], v[29:30], v[31:32], v[33:34]
	ds_read_b128 v[27:30], v23 offset:240
	ds_read_b128 v[31:34], v21 offset:3840
	s_waitcnt lgkmcnt(0)
	v_mul_f64 v[43:44], v[5:6], v[19:20]
	v_mul_f64 v[19:20], v[3:4], v[19:20]
	v_add_f64 v[37:38], v[37:38], v[45:46]
	v_add_f64 v[35:36], v[35:36], v[47:48]
	v_mul_f64 v[45:46], v[29:30], v[33:34]
	v_mul_f64 v[33:34], v[27:28], v[33:34]
	s_barrier
	v_fma_f64 v[3:4], v[3:4], v[17:18], -v[43:44]
	v_fma_f64 v[5:6], v[5:6], v[17:18], v[19:20]
	v_add_f64 v[17:18], v[37:38], v[39:40]
	v_add_f64 v[19:20], v[35:36], v[41:42]
	v_fma_f64 v[27:28], v[27:28], v[31:32], -v[45:46]
	v_fma_f64 v[29:30], v[29:30], v[31:32], v[33:34]
	v_add_f64 v[3:4], v[17:18], v[3:4]
	v_add_f64 v[5:6], v[19:20], v[5:6]
	;; [unrolled: 1-line block ×4, first 2 shown]
	s_cbranch_vccnz .LBB1678_10
.LBB1678_3:                             ; =>This Inner Loop Header: Depth=1
	v_mov_b32_e32 v4, s9
	v_add_co_u32_e32 v3, vcc, s8, v1
	v_addc_co_u32_e32 v4, vcc, 0, v4, vcc
	v_cmp_le_i64_e32 vcc, s[20:21], v[3:4]
	s_or_b64 s[2:3], s[10:11], vcc
	s_and_saveexec_b64 s[26:27], s[2:3]
	s_xor_b64 s[2:3], exec, s[26:27]
; %bb.4:                                ;   in Loop: Header=BB1678_3 Depth=1
	v_mov_b32_e32 v3, v2
	v_mov_b32_e32 v4, v2
	;; [unrolled: 1-line block ×3, first 2 shown]
	ds_write_b128 v22, v[2:5]
; %bb.5:                                ;   in Loop: Header=BB1678_3 Depth=1
	s_andn2_saveexec_b64 s[2:3], s[2:3]
	s_cbranch_execz .LBB1678_7
; %bb.6:                                ;   in Loop: Header=BB1678_3 Depth=1
	flat_load_dwordx4 v[3:6], v[13:14]
	s_waitcnt vmcnt(0) lgkmcnt(0)
	ds_write2_b64 v22, v[3:4], v[5:6] offset1:1
.LBB1678_7:                             ;   in Loop: Header=BB1678_3 Depth=1
	s_or_b64 exec, exec, s[2:3]
	v_mov_b32_e32 v4, s9
	v_add_co_u32_e32 v3, vcc, s8, v0
	v_addc_co_u32_e32 v4, vcc, 0, v4, vcc
	v_cmp_gt_i64_e32 vcc, s[20:21], v[3:4]
	v_mov_b32_e32 v3, 0
	v_mov_b32_e32 v5, 0
	;; [unrolled: 1-line block ×4, first 2 shown]
	s_and_b64 s[26:27], s[0:1], vcc
	s_and_saveexec_b64 s[2:3], s[26:27]
	s_cbranch_execz .LBB1678_2
; %bb.8:                                ;   in Loop: Header=BB1678_3 Depth=1
	flat_load_dwordx4 v[3:6], v[11:12]
	s_branch .LBB1678_2
.LBB1678_9:
	v_mov_b32_e32 v17, 0
	v_mov_b32_e32 v19, 0
	;; [unrolled: 1-line block ×4, first 2 shown]
.LBB1678_10:
	v_cmp_le_i32_e32 vcc, v7, v9
	v_cmp_gt_i32_e64 s[0:1], s30, v9
	s_and_b64 s[0:1], vcc, s[0:1]
	s_and_saveexec_b64 s[2:3], s[0:1]
	s_cbranch_execz .LBB1678_12
; %bb.11:
	v_mul_lo_u32 v2, s19, v9
	v_mul_lo_u32 v3, s18, v10
	v_mad_u64_u32 v[0:1], s[0:1], s18, v9, 0
	v_add3_u32 v1, v1, v3, v2
	v_lshlrev_b64 v[0:1], 4, v[0:1]
	s_waitcnt lgkmcnt(0)
	v_mov_b32_e32 v2, s17
	v_add_co_u32_e32 v3, vcc, s16, v0
	v_addc_co_u32_e32 v2, vcc, v2, v1, vcc
	v_lshlrev_b64 v[0:1], 4, v[7:8]
	v_mul_f64 v[6:7], s[24:25], v[17:18]
	v_add_co_u32_e32 v4, vcc, v3, v0
	v_addc_co_u32_e32 v5, vcc, v2, v1, vcc
	flat_load_dwordx4 v[0:3], v[4:5]
	v_mul_f64 v[8:9], s[22:23], v[17:18]
	v_fma_f64 v[6:7], s[22:23], v[19:20], -v[6:7]
	v_fma_f64 v[8:9], s[24:25], v[19:20], v[8:9]
	s_waitcnt vmcnt(0) lgkmcnt(0)
	v_mul_f64 v[10:11], s[14:15], v[2:3]
	v_mul_f64 v[2:3], s[12:13], v[2:3]
	v_fma_f64 v[10:11], s[12:13], v[0:1], -v[10:11]
	v_fma_f64 v[2:3], s[14:15], v[0:1], v[2:3]
	v_add_f64 v[0:1], v[6:7], v[10:11]
	v_add_f64 v[2:3], v[8:9], v[2:3]
	flat_store_dwordx4 v[4:5], v[0:3]
.LBB1678_12:
	s_endpgm
	.section	.rodata,"a",@progbits
	.p2align	6, 0x0
	.amdhsa_kernel _ZL32rocblas_syrkx_herkx_small_kernelIl19rocblas_complex_numIdELi16ELb0ELb0ELc78ELc85EKPKS1_KPS1_EviT_T0_PT6_S7_lSA_S7_lS8_PT7_S7_li
		.amdhsa_group_segment_fixed_size 8192
		.amdhsa_private_segment_fixed_size 0
		.amdhsa_kernarg_size 124
		.amdhsa_user_sgpr_count 6
		.amdhsa_user_sgpr_private_segment_buffer 1
		.amdhsa_user_sgpr_dispatch_ptr 0
		.amdhsa_user_sgpr_queue_ptr 0
		.amdhsa_user_sgpr_kernarg_segment_ptr 1
		.amdhsa_user_sgpr_dispatch_id 0
		.amdhsa_user_sgpr_flat_scratch_init 0
		.amdhsa_user_sgpr_private_segment_size 0
		.amdhsa_uses_dynamic_stack 0
		.amdhsa_system_sgpr_private_segment_wavefront_offset 0
		.amdhsa_system_sgpr_workgroup_id_x 1
		.amdhsa_system_sgpr_workgroup_id_y 1
		.amdhsa_system_sgpr_workgroup_id_z 1
		.amdhsa_system_sgpr_workgroup_info 0
		.amdhsa_system_vgpr_workitem_id 1
		.amdhsa_next_free_vgpr 49
		.amdhsa_next_free_sgpr 61
		.amdhsa_reserve_vcc 1
		.amdhsa_reserve_flat_scratch 0
		.amdhsa_float_round_mode_32 0
		.amdhsa_float_round_mode_16_64 0
		.amdhsa_float_denorm_mode_32 3
		.amdhsa_float_denorm_mode_16_64 3
		.amdhsa_dx10_clamp 1
		.amdhsa_ieee_mode 1
		.amdhsa_fp16_overflow 0
		.amdhsa_exception_fp_ieee_invalid_op 0
		.amdhsa_exception_fp_denorm_src 0
		.amdhsa_exception_fp_ieee_div_zero 0
		.amdhsa_exception_fp_ieee_overflow 0
		.amdhsa_exception_fp_ieee_underflow 0
		.amdhsa_exception_fp_ieee_inexact 0
		.amdhsa_exception_int_div_zero 0
	.end_amdhsa_kernel
	.section	.text._ZL32rocblas_syrkx_herkx_small_kernelIl19rocblas_complex_numIdELi16ELb0ELb0ELc78ELc85EKPKS1_KPS1_EviT_T0_PT6_S7_lSA_S7_lS8_PT7_S7_li,"axG",@progbits,_ZL32rocblas_syrkx_herkx_small_kernelIl19rocblas_complex_numIdELi16ELb0ELb0ELc78ELc85EKPKS1_KPS1_EviT_T0_PT6_S7_lSA_S7_lS8_PT7_S7_li,comdat
.Lfunc_end1678:
	.size	_ZL32rocblas_syrkx_herkx_small_kernelIl19rocblas_complex_numIdELi16ELb0ELb0ELc78ELc85EKPKS1_KPS1_EviT_T0_PT6_S7_lSA_S7_lS8_PT7_S7_li, .Lfunc_end1678-_ZL32rocblas_syrkx_herkx_small_kernelIl19rocblas_complex_numIdELi16ELb0ELb0ELc78ELc85EKPKS1_KPS1_EviT_T0_PT6_S7_lSA_S7_lS8_PT7_S7_li
                                        ; -- End function
	.set _ZL32rocblas_syrkx_herkx_small_kernelIl19rocblas_complex_numIdELi16ELb0ELb0ELc78ELc85EKPKS1_KPS1_EviT_T0_PT6_S7_lSA_S7_lS8_PT7_S7_li.num_vgpr, 49
	.set _ZL32rocblas_syrkx_herkx_small_kernelIl19rocblas_complex_numIdELi16ELb0ELb0ELc78ELc85EKPKS1_KPS1_EviT_T0_PT6_S7_lSA_S7_lS8_PT7_S7_li.num_agpr, 0
	.set _ZL32rocblas_syrkx_herkx_small_kernelIl19rocblas_complex_numIdELi16ELb0ELb0ELc78ELc85EKPKS1_KPS1_EviT_T0_PT6_S7_lSA_S7_lS8_PT7_S7_li.numbered_sgpr, 31
	.set _ZL32rocblas_syrkx_herkx_small_kernelIl19rocblas_complex_numIdELi16ELb0ELb0ELc78ELc85EKPKS1_KPS1_EviT_T0_PT6_S7_lSA_S7_lS8_PT7_S7_li.num_named_barrier, 0
	.set _ZL32rocblas_syrkx_herkx_small_kernelIl19rocblas_complex_numIdELi16ELb0ELb0ELc78ELc85EKPKS1_KPS1_EviT_T0_PT6_S7_lSA_S7_lS8_PT7_S7_li.private_seg_size, 0
	.set _ZL32rocblas_syrkx_herkx_small_kernelIl19rocblas_complex_numIdELi16ELb0ELb0ELc78ELc85EKPKS1_KPS1_EviT_T0_PT6_S7_lSA_S7_lS8_PT7_S7_li.uses_vcc, 1
	.set _ZL32rocblas_syrkx_herkx_small_kernelIl19rocblas_complex_numIdELi16ELb0ELb0ELc78ELc85EKPKS1_KPS1_EviT_T0_PT6_S7_lSA_S7_lS8_PT7_S7_li.uses_flat_scratch, 0
	.set _ZL32rocblas_syrkx_herkx_small_kernelIl19rocblas_complex_numIdELi16ELb0ELb0ELc78ELc85EKPKS1_KPS1_EviT_T0_PT6_S7_lSA_S7_lS8_PT7_S7_li.has_dyn_sized_stack, 0
	.set _ZL32rocblas_syrkx_herkx_small_kernelIl19rocblas_complex_numIdELi16ELb0ELb0ELc78ELc85EKPKS1_KPS1_EviT_T0_PT6_S7_lSA_S7_lS8_PT7_S7_li.has_recursion, 0
	.set _ZL32rocblas_syrkx_herkx_small_kernelIl19rocblas_complex_numIdELi16ELb0ELb0ELc78ELc85EKPKS1_KPS1_EviT_T0_PT6_S7_lSA_S7_lS8_PT7_S7_li.has_indirect_call, 0
	.section	.AMDGPU.csdata,"",@progbits
; Kernel info:
; codeLenInByte = 1892
; TotalNumSgprs: 35
; NumVgprs: 49
; ScratchSize: 0
; MemoryBound: 1
; FloatMode: 240
; IeeeMode: 1
; LDSByteSize: 8192 bytes/workgroup (compile time only)
; SGPRBlocks: 8
; VGPRBlocks: 12
; NumSGPRsForWavesPerEU: 65
; NumVGPRsForWavesPerEU: 49
; Occupancy: 4
; WaveLimiterHint : 1
; COMPUTE_PGM_RSRC2:SCRATCH_EN: 0
; COMPUTE_PGM_RSRC2:USER_SGPR: 6
; COMPUTE_PGM_RSRC2:TRAP_HANDLER: 0
; COMPUTE_PGM_RSRC2:TGID_X_EN: 1
; COMPUTE_PGM_RSRC2:TGID_Y_EN: 1
; COMPUTE_PGM_RSRC2:TGID_Z_EN: 1
; COMPUTE_PGM_RSRC2:TIDIG_COMP_CNT: 1
	.section	.text._ZL34rocblas_syrkx_herkx_general_kernelIl19rocblas_complex_numIdELi16ELi32ELi8ELb1ELb0ELc84ELc76EKPKS1_KPS1_EviT_T0_PT8_S7_lSA_S7_lS8_PT9_S7_li,"axG",@progbits,_ZL34rocblas_syrkx_herkx_general_kernelIl19rocblas_complex_numIdELi16ELi32ELi8ELb1ELb0ELc84ELc76EKPKS1_KPS1_EviT_T0_PT8_S7_lSA_S7_lS8_PT9_S7_li,comdat
	.globl	_ZL34rocblas_syrkx_herkx_general_kernelIl19rocblas_complex_numIdELi16ELi32ELi8ELb1ELb0ELc84ELc76EKPKS1_KPS1_EviT_T0_PT8_S7_lSA_S7_lS8_PT9_S7_li ; -- Begin function _ZL34rocblas_syrkx_herkx_general_kernelIl19rocblas_complex_numIdELi16ELi32ELi8ELb1ELb0ELc84ELc76EKPKS1_KPS1_EviT_T0_PT8_S7_lSA_S7_lS8_PT9_S7_li
	.p2align	8
	.type	_ZL34rocblas_syrkx_herkx_general_kernelIl19rocblas_complex_numIdELi16ELi32ELi8ELb1ELb0ELc84ELc76EKPKS1_KPS1_EviT_T0_PT8_S7_lSA_S7_lS8_PT9_S7_li,@function
_ZL34rocblas_syrkx_herkx_general_kernelIl19rocblas_complex_numIdELi16ELi32ELi8ELb1ELb0ELc84ELc76EKPKS1_KPS1_EviT_T0_PT8_S7_lSA_S7_lS8_PT9_S7_li: ; @_ZL34rocblas_syrkx_herkx_general_kernelIl19rocblas_complex_numIdELi16ELi32ELi8ELb1ELb0ELc84ELc76EKPKS1_KPS1_EviT_T0_PT8_S7_lSA_S7_lS8_PT9_S7_li
; %bb.0:
	s_load_dwordx2 s[2:3], s[4:5], 0x28
	s_load_dwordx4 s[20:23], s[4:5], 0x60
	s_load_dword s24, s[4:5], 0x0
	s_load_dwordx8 s[12:19], s[4:5], 0x8
	s_mov_b32 s9, 0
	s_lshl_b64 s[0:1], s[8:9], 3
	s_waitcnt lgkmcnt(0)
	s_add_u32 s8, s20, s0
	s_addc_u32 s9, s21, s1
	s_load_dwordx2 s[20:21], s[8:9], 0x0
	v_cmp_lt_i64_e64 s[8:9], s[12:13], 1
	s_lshl_b32 s25, s6, 5
	s_lshl_b32 s26, s7, 5
	s_and_b64 vcc, exec, s[8:9]
	s_cbranch_vccnz .LBB1679_11
; %bb.1:
	v_lshl_add_u32 v2, v1, 4, v0
	v_and_b32_e32 v5, 31, v2
	v_and_b32_e32 v29, 7, v0
	v_lshrrev_b32_e32 v3, 3, v2
	v_lshrrev_b32_e32 v28, 5, v2
	v_lshlrev_b32_e32 v2, 4, v5
	v_lshlrev_b32_e32 v8, 4, v29
	v_lshl_or_b32 v30, v28, 9, v2
	v_lshl_or_b32 v2, v3, 7, v8
	v_add_u32_e32 v31, 0x1000, v2
	v_add_u32_e32 v2, s25, v5
	s_load_dwordx4 s[8:11], s[4:5], 0x38
	v_add_u32_e32 v4, s26, v3
	v_ashrrev_i32_e32 v3, 31, v2
	v_or_b32_e32 v6, s25, v5
	v_mul_lo_u32 v5, s2, v3
	v_mul_lo_u32 v7, s3, v2
	v_mad_u64_u32 v[2:3], s[2:3], s2, v2, 0
	s_waitcnt lgkmcnt(0)
	s_add_u32 s4, s8, s0
	s_addc_u32 s5, s9, s1
	v_add3_u32 v3, v3, v5, v7
	v_lshlrev_b64 v[2:3], 4, v[2:3]
	s_add_u32 s0, s18, s0
	v_lshlrev_b32_e32 v5, 4, v28
	s_addc_u32 s1, s19, s1
	v_cmp_gt_i32_e32 vcc, s24, v6
	v_ashrrev_i32_e32 v6, 31, v4
	v_add_co_u32_e64 v5, s[2:3], v2, v5
	s_load_dwordx2 s[6:7], s[0:1], 0x0
	v_addc_co_u32_e64 v7, s[2:3], 0, v3, s[2:3]
	v_mul_lo_u32 v10, s10, v6
	v_mul_lo_u32 v11, s11, v4
	v_mad_u64_u32 v[2:3], s[2:3], s10, v4, 0
	s_load_dwordx2 s[4:5], s[4:5], 0x0
	v_mov_b32_e32 v9, 0x1000
	v_add3_u32 v3, v3, v10, v11
	v_lshl_add_u32 v33, v1, 7, v9
	s_waitcnt lgkmcnt(0)
	v_mov_b32_e32 v9, s7
	v_add_co_u32_e64 v6, s[2:3], s6, v5
	v_lshlrev_b64 v[2:3], 4, v[2:3]
	v_addc_co_u32_e64 v7, s[2:3], v9, v7, s[2:3]
	v_add_co_u32_e64 v2, s[2:3], v2, v8
	v_addc_co_u32_e64 v3, s[2:3], 0, v3, s[2:3]
	v_cmp_gt_i32_e64 s[0:1], s24, v4
	v_mov_b32_e32 v4, s5
	v_add_co_u32_e64 v8, s[2:3], s4, v2
	v_addc_co_u32_e64 v9, s[2:3], v4, v3, s[2:3]
	v_mov_b32_e32 v24, 0
	v_mov_b32_e32 v10, s12
	;; [unrolled: 1-line block ×9, first 2 shown]
	v_lshlrev_b32_e32 v32, 4, v0
	s_mov_b64 s[2:3], 0
	v_mov_b32_e32 v25, 0
	s_xor_b64 s[4:5], vcc, -1
	s_xor_b64 s[0:1], s[0:1], -1
	v_mov_b32_e32 v11, s13
	v_mov_b32_e32 v27, 0
	;; [unrolled: 1-line block ×9, first 2 shown]
	s_branch .LBB1679_3
.LBB1679_2:                             ;   in Loop: Header=BB1679_3 Depth=1
	s_or_b64 exec, exec, s[6:7]
	s_waitcnt lgkmcnt(0)
	s_barrier
	ds_read_b128 v[34:37], v33
	ds_read_b128 v[38:41], v33 offset:16
	ds_read_b128 v[42:45], v33 offset:32
	;; [unrolled: 1-line block ×3, first 2 shown]
	ds_read_b128 v[50:53], v32
	v_add_co_u32_e32 v6, vcc, 0x80, v6
	v_addc_co_u32_e32 v7, vcc, 0, v7, vcc
	s_waitcnt lgkmcnt(0)
	v_mul_f64 v[3:4], v[36:37], v[52:53]
	v_mul_f64 v[54:55], v[34:35], v[52:53]
	s_add_u32 s2, s2, 8
	v_add_co_u32_e32 v8, vcc, 0x80, v8
	s_addc_u32 s3, s3, 0
	v_addc_co_u32_e32 v9, vcc, 0, v9, vcc
	v_fma_f64 v[3:4], v[34:35], v[50:51], -v[3:4]
	v_fma_f64 v[54:55], v[36:37], v[50:51], v[54:55]
	v_cmp_ge_i64_e32 vcc, s[2:3], v[10:11]
	s_and_b64 vcc, exec, vcc
	v_add_f64 v[3:4], v[20:21], v[3:4]
	v_add_f64 v[54:55], v[54:55], v[22:23]
	ds_read_b128 v[20:23], v32 offset:256
	s_waitcnt lgkmcnt(0)
	v_mul_f64 v[56:57], v[36:37], v[22:23]
	v_fma_f64 v[56:57], v[34:35], v[20:21], -v[56:57]
	v_mul_f64 v[34:35], v[34:35], v[22:23]
	v_fma_f64 v[34:35], v[36:37], v[20:21], v[34:35]
	v_add_f64 v[36:37], v[12:13], v[56:57]
	v_add_f64 v[34:35], v[34:35], v[14:15]
	ds_read_b128 v[12:15], v33 offset:2048
	s_waitcnt lgkmcnt(0)
	v_mul_f64 v[56:57], v[14:15], v[52:53]
	v_mul_f64 v[52:53], v[12:13], v[52:53]
	v_fma_f64 v[56:57], v[12:13], v[50:51], -v[56:57]
	v_fma_f64 v[50:51], v[14:15], v[50:51], v[52:53]
	v_add_f64 v[52:53], v[16:17], v[56:57]
	v_mul_f64 v[16:17], v[14:15], v[22:23]
	v_add_f64 v[50:51], v[50:51], v[18:19]
	v_fma_f64 v[16:17], v[12:13], v[20:21], -v[16:17]
	v_mul_f64 v[12:13], v[12:13], v[22:23]
	v_add_f64 v[26:27], v[26:27], v[16:17]
	v_fma_f64 v[12:13], v[14:15], v[20:21], v[12:13]
	v_add_f64 v[24:25], v[12:13], v[24:25]
	ds_read_b128 v[12:15], v32 offset:512
	s_waitcnt lgkmcnt(0)
	v_mul_f64 v[16:17], v[40:41], v[14:15]
	v_mul_f64 v[18:19], v[38:39], v[14:15]
	v_fma_f64 v[16:17], v[38:39], v[12:13], -v[16:17]
	v_fma_f64 v[18:19], v[40:41], v[12:13], v[18:19]
	v_add_f64 v[3:4], v[3:4], v[16:17]
	v_add_f64 v[54:55], v[18:19], v[54:55]
	ds_read_b128 v[16:19], v32 offset:768
	s_waitcnt lgkmcnt(0)
	v_mul_f64 v[20:21], v[40:41], v[18:19]
	v_mul_f64 v[22:23], v[38:39], v[18:19]
	v_fma_f64 v[20:21], v[38:39], v[16:17], -v[20:21]
	v_fma_f64 v[22:23], v[40:41], v[16:17], v[22:23]
	v_add_f64 v[36:37], v[36:37], v[20:21]
	v_add_f64 v[34:35], v[22:23], v[34:35]
	ds_read_b128 v[20:23], v33 offset:2064
	s_waitcnt lgkmcnt(0)
	v_mul_f64 v[38:39], v[22:23], v[14:15]
	v_mul_f64 v[14:15], v[20:21], v[14:15]
	v_fma_f64 v[38:39], v[20:21], v[12:13], -v[38:39]
	v_fma_f64 v[12:13], v[22:23], v[12:13], v[14:15]
	v_mul_f64 v[14:15], v[20:21], v[18:19]
	v_add_f64 v[38:39], v[52:53], v[38:39]
	v_add_f64 v[40:41], v[12:13], v[50:51]
	v_mul_f64 v[12:13], v[22:23], v[18:19]
	v_fma_f64 v[14:15], v[22:23], v[16:17], v[14:15]
	v_fma_f64 v[12:13], v[20:21], v[16:17], -v[12:13]
	v_add_f64 v[24:25], v[14:15], v[24:25]
	v_add_f64 v[26:27], v[26:27], v[12:13]
	ds_read_b128 v[12:15], v32 offset:1024
	s_waitcnt lgkmcnt(0)
	v_mul_f64 v[16:17], v[44:45], v[14:15]
	v_mul_f64 v[18:19], v[42:43], v[14:15]
	v_fma_f64 v[16:17], v[42:43], v[12:13], -v[16:17]
	v_fma_f64 v[18:19], v[44:45], v[12:13], v[18:19]
	v_add_f64 v[3:4], v[3:4], v[16:17]
	v_add_f64 v[50:51], v[18:19], v[54:55]
	ds_read_b128 v[16:19], v32 offset:1280
	s_waitcnt lgkmcnt(0)
	v_mul_f64 v[20:21], v[44:45], v[18:19]
	v_mul_f64 v[22:23], v[42:43], v[18:19]
	v_fma_f64 v[20:21], v[42:43], v[16:17], -v[20:21]
	v_fma_f64 v[22:23], v[44:45], v[16:17], v[22:23]
	v_add_f64 v[36:37], v[36:37], v[20:21]
	v_add_f64 v[34:35], v[22:23], v[34:35]
	ds_read_b128 v[20:23], v33 offset:2080
	s_waitcnt lgkmcnt(0)
	v_mul_f64 v[42:43], v[22:23], v[14:15]
	v_mul_f64 v[14:15], v[20:21], v[14:15]
	v_fma_f64 v[42:43], v[20:21], v[12:13], -v[42:43]
	v_fma_f64 v[12:13], v[22:23], v[12:13], v[14:15]
	v_mul_f64 v[14:15], v[20:21], v[18:19]
	v_add_f64 v[38:39], v[38:39], v[42:43]
	v_add_f64 v[40:41], v[12:13], v[40:41]
	v_mul_f64 v[12:13], v[22:23], v[18:19]
	v_fma_f64 v[14:15], v[22:23], v[16:17], v[14:15]
	v_fma_f64 v[12:13], v[20:21], v[16:17], -v[12:13]
	v_add_f64 v[24:25], v[14:15], v[24:25]
	;; [unrolled: 30-line block ×3, first 2 shown]
	v_add_f64 v[26:27], v[26:27], v[12:13]
	ds_read_b128 v[12:15], v33 offset:64
	ds_read_b128 v[16:19], v32 offset:2048
	s_waitcnt lgkmcnt(0)
	v_mul_f64 v[20:21], v[14:15], v[18:19]
	v_mul_f64 v[22:23], v[12:13], v[18:19]
	v_fma_f64 v[20:21], v[12:13], v[16:17], -v[20:21]
	v_fma_f64 v[22:23], v[14:15], v[16:17], v[22:23]
	v_add_f64 v[3:4], v[3:4], v[20:21]
	v_add_f64 v[42:43], v[22:23], v[42:43]
	ds_read_b128 v[20:23], v32 offset:2304
	s_waitcnt lgkmcnt(0)
	v_mul_f64 v[44:45], v[14:15], v[22:23]
	v_fma_f64 v[44:45], v[12:13], v[20:21], -v[44:45]
	v_mul_f64 v[12:13], v[12:13], v[22:23]
	v_add_f64 v[36:37], v[36:37], v[44:45]
	v_fma_f64 v[12:13], v[14:15], v[20:21], v[12:13]
	v_add_f64 v[34:35], v[12:13], v[34:35]
	ds_read_b128 v[12:15], v33 offset:2112
	s_waitcnt lgkmcnt(0)
	v_mul_f64 v[44:45], v[14:15], v[18:19]
	v_mul_f64 v[18:19], v[12:13], v[18:19]
	v_fma_f64 v[44:45], v[12:13], v[16:17], -v[44:45]
	v_fma_f64 v[16:17], v[14:15], v[16:17], v[18:19]
	v_add_f64 v[38:39], v[38:39], v[44:45]
	v_add_f64 v[40:41], v[16:17], v[40:41]
	v_mul_f64 v[16:17], v[14:15], v[22:23]
	v_fma_f64 v[16:17], v[12:13], v[20:21], -v[16:17]
	v_mul_f64 v[12:13], v[12:13], v[22:23]
	v_add_f64 v[26:27], v[26:27], v[16:17]
	v_fma_f64 v[12:13], v[14:15], v[20:21], v[12:13]
	v_add_f64 v[24:25], v[12:13], v[24:25]
	ds_read_b128 v[12:15], v33 offset:80
	ds_read_b128 v[16:19], v32 offset:2560
	s_waitcnt lgkmcnt(0)
	v_mul_f64 v[20:21], v[14:15], v[18:19]
	v_mul_f64 v[22:23], v[12:13], v[18:19]
	v_fma_f64 v[20:21], v[12:13], v[16:17], -v[20:21]
	v_fma_f64 v[22:23], v[14:15], v[16:17], v[22:23]
	v_add_f64 v[3:4], v[3:4], v[20:21]
	v_add_f64 v[42:43], v[22:23], v[42:43]
	ds_read_b128 v[20:23], v32 offset:2816
	s_waitcnt lgkmcnt(0)
	v_mul_f64 v[44:45], v[14:15], v[22:23]
	v_fma_f64 v[44:45], v[12:13], v[20:21], -v[44:45]
	v_mul_f64 v[12:13], v[12:13], v[22:23]
	v_add_f64 v[36:37], v[36:37], v[44:45]
	v_fma_f64 v[12:13], v[14:15], v[20:21], v[12:13]
	v_add_f64 v[34:35], v[12:13], v[34:35]
	ds_read_b128 v[12:15], v33 offset:2128
	s_waitcnt lgkmcnt(0)
	v_mul_f64 v[44:45], v[14:15], v[18:19]
	v_mul_f64 v[18:19], v[12:13], v[18:19]
	v_fma_f64 v[44:45], v[12:13], v[16:17], -v[44:45]
	v_fma_f64 v[16:17], v[14:15], v[16:17], v[18:19]
	v_add_f64 v[38:39], v[38:39], v[44:45]
	v_add_f64 v[40:41], v[16:17], v[40:41]
	v_mul_f64 v[16:17], v[14:15], v[22:23]
	v_fma_f64 v[16:17], v[12:13], v[20:21], -v[16:17]
	v_mul_f64 v[12:13], v[12:13], v[22:23]
	v_add_f64 v[26:27], v[26:27], v[16:17]
	v_fma_f64 v[12:13], v[14:15], v[20:21], v[12:13]
	;; [unrolled: 31-line block ×3, first 2 shown]
	v_add_f64 v[46:47], v[12:13], v[24:25]
	ds_read_b128 v[12:15], v33 offset:112
	ds_read_b128 v[16:19], v32 offset:3584
	;; [unrolled: 1-line block ×3, first 2 shown]
	s_waitcnt lgkmcnt(1)
	v_mul_f64 v[20:21], v[14:15], v[18:19]
	v_mul_f64 v[22:23], v[12:13], v[18:19]
	v_fma_f64 v[20:21], v[12:13], v[16:17], -v[20:21]
	v_fma_f64 v[22:23], v[14:15], v[16:17], v[22:23]
	v_add_f64 v[20:21], v[3:4], v[20:21]
	s_waitcnt lgkmcnt(0)
	v_mul_f64 v[3:4], v[14:15], v[26:27]
	v_add_f64 v[22:23], v[22:23], v[42:43]
	v_fma_f64 v[3:4], v[12:13], v[24:25], -v[3:4]
	v_mul_f64 v[12:13], v[12:13], v[26:27]
	v_fma_f64 v[14:15], v[14:15], v[24:25], v[12:13]
	v_add_f64 v[12:13], v[36:37], v[3:4]
	v_add_f64 v[14:15], v[14:15], v[34:35]
	ds_read_b128 v[34:37], v33 offset:2160
	s_waitcnt lgkmcnt(0)
	s_barrier
	v_mul_f64 v[3:4], v[36:37], v[18:19]
	v_mul_f64 v[18:19], v[34:35], v[18:19]
	v_fma_f64 v[3:4], v[34:35], v[16:17], -v[3:4]
	v_fma_f64 v[18:19], v[36:37], v[16:17], v[18:19]
	v_add_f64 v[16:17], v[38:39], v[3:4]
	v_mul_f64 v[3:4], v[36:37], v[26:27]
	v_mul_f64 v[26:27], v[34:35], v[26:27]
	v_add_f64 v[18:19], v[18:19], v[40:41]
	v_fma_f64 v[3:4], v[34:35], v[24:25], -v[3:4]
	v_fma_f64 v[24:25], v[36:37], v[24:25], v[26:27]
	v_add_f64 v[26:27], v[44:45], v[3:4]
	v_add_f64 v[24:25], v[24:25], v[46:47]
	s_cbranch_vccnz .LBB1679_12
.LBB1679_3:                             ; =>This Inner Loop Header: Depth=1
	v_mov_b32_e32 v4, s3
	v_add_co_u32_e32 v3, vcc, s2, v28
	v_addc_co_u32_e32 v4, vcc, 0, v4, vcc
	v_cmp_le_i64_e32 vcc, s[12:13], v[3:4]
	s_or_b64 s[6:7], s[4:5], vcc
	s_and_saveexec_b64 s[8:9], s[6:7]
	s_xor_b64 s[6:7], exec, s[8:9]
; %bb.4:                                ;   in Loop: Header=BB1679_3 Depth=1
	v_mov_b32_e32 v3, v2
	v_mov_b32_e32 v4, v2
	v_mov_b32_e32 v5, v2
	ds_write_b128 v30, v[2:5]
; %bb.5:                                ;   in Loop: Header=BB1679_3 Depth=1
	s_andn2_saveexec_b64 s[6:7], s[6:7]
	s_cbranch_execz .LBB1679_7
; %bb.6:                                ;   in Loop: Header=BB1679_3 Depth=1
	flat_load_dwordx4 v[34:37], v[6:7]
	s_waitcnt vmcnt(0) lgkmcnt(0)
	ds_write2_b64 v30, v[34:35], v[36:37] offset1:1
.LBB1679_7:                             ;   in Loop: Header=BB1679_3 Depth=1
	s_or_b64 exec, exec, s[6:7]
	v_mov_b32_e32 v4, s3
	v_add_co_u32_e32 v3, vcc, s2, v29
	v_addc_co_u32_e32 v4, vcc, 0, v4, vcc
	v_cmp_le_i64_e32 vcc, s[12:13], v[3:4]
	s_or_b64 s[6:7], vcc, s[0:1]
	s_and_saveexec_b64 s[8:9], s[6:7]
	s_xor_b64 s[6:7], exec, s[8:9]
; %bb.8:                                ;   in Loop: Header=BB1679_3 Depth=1
	v_mov_b32_e32 v3, v2
	v_mov_b32_e32 v4, v2
	;; [unrolled: 1-line block ×3, first 2 shown]
	ds_write_b128 v31, v[2:5]
; %bb.9:                                ;   in Loop: Header=BB1679_3 Depth=1
	s_andn2_saveexec_b64 s[6:7], s[6:7]
	s_cbranch_execz .LBB1679_2
; %bb.10:                               ;   in Loop: Header=BB1679_3 Depth=1
	flat_load_dwordx4 v[34:37], v[8:9]
	s_waitcnt vmcnt(0) lgkmcnt(0)
	ds_write2_b64 v31, v[34:35], v[36:37] offset1:1
	s_branch .LBB1679_2
.LBB1679_11:
	v_mov_b32_e32 v20, 0
	v_mov_b32_e32 v22, 0
	v_mov_b32_e32 v12, 0
	v_mov_b32_e32 v14, 0
	v_mov_b32_e32 v16, 0
	v_mov_b32_e32 v18, 0
	v_mov_b32_e32 v26, 0
	v_mov_b32_e32 v24, 0
	v_mov_b32_e32 v21, 0
	v_mov_b32_e32 v23, 0
	v_mov_b32_e32 v13, 0
	v_mov_b32_e32 v15, 0
	v_mov_b32_e32 v17, 0
	v_mov_b32_e32 v19, 0
	v_mov_b32_e32 v27, 0
	v_mov_b32_e32 v25, 0
.LBB1679_12:
	v_add_u32_e32 v4, s26, v1
	v_ashrrev_i32_e32 v1, 31, v4
	v_mul_lo_u32 v3, s22, v1
	v_mul_lo_u32 v5, s23, v4
	v_mad_u64_u32 v[1:2], s[0:1], s22, v4, 0
	v_add_u32_e32 v0, s25, v0
	v_cmp_le_i32_e64 s[0:1], v4, v0
	v_add3_u32 v2, v2, v3, v5
	v_lshlrev_b64 v[1:2], 4, v[1:2]
	s_waitcnt lgkmcnt(0)
	v_mov_b32_e32 v3, s21
	v_add_co_u32_e32 v5, vcc, s20, v1
	v_addc_co_u32_e32 v6, vcc, v3, v2, vcc
	v_cmp_gt_i32_e32 vcc, s24, v0
	s_and_b64 s[0:1], s[0:1], vcc
	s_and_saveexec_b64 s[2:3], s[0:1]
	s_cbranch_execz .LBB1679_14
; %bb.13:
	v_mul_f64 v[1:2], s[16:17], v[22:23]
	v_mul_f64 v[9:10], s[14:15], v[22:23]
	v_fma_f64 v[7:8], s[14:15], v[20:21], -v[1:2]
	v_fma_f64 v[9:10], s[16:17], v[20:21], v[9:10]
	v_ashrrev_i32_e32 v1, 31, v0
	v_lshlrev_b64 v[1:2], 4, v[0:1]
	v_add_co_u32_e64 v1, s[0:1], v5, v1
	v_addc_co_u32_e64 v2, s[0:1], v6, v2, s[0:1]
	flat_store_dwordx4 v[1:2], v[7:10]
.LBB1679_14:
	s_or_b64 exec, exec, s[2:3]
	v_add_u32_e32 v2, 16, v0
	v_cmp_le_i32_e64 s[2:3], v4, v2
	v_cmp_gt_i32_e64 s[0:1], s24, v2
	s_and_b64 s[2:3], s[2:3], s[0:1]
	s_and_saveexec_b64 s[4:5], s[2:3]
	s_cbranch_execz .LBB1679_16
; %bb.15:
	v_mul_f64 v[7:8], s[16:17], v[14:15]
	v_mul_f64 v[9:10], s[14:15], v[14:15]
	v_ashrrev_i32_e32 v3, 31, v2
	v_fma_f64 v[7:8], s[14:15], v[12:13], -v[7:8]
	v_fma_f64 v[9:10], s[16:17], v[12:13], v[9:10]
	v_lshlrev_b64 v[11:12], 4, v[2:3]
	v_add_co_u32_e64 v5, s[2:3], v5, v11
	v_addc_co_u32_e64 v6, s[2:3], v6, v12, s[2:3]
	flat_store_dwordx4 v[5:6], v[7:10]
.LBB1679_16:
	s_or_b64 exec, exec, s[4:5]
	v_add_u32_e32 v3, 16, v4
	v_ashrrev_i32_e32 v1, 31, v3
	v_mul_lo_u32 v6, s23, v3
	v_mad_u64_u32 v[4:5], s[2:3], s22, v3, 0
	v_mul_lo_u32 v1, s22, v1
	v_add3_u32 v5, v5, v1, v6
	v_lshlrev_b64 v[4:5], 4, v[4:5]
	v_mov_b32_e32 v1, s21
	v_add_co_u32_e64 v4, s[2:3], s20, v4
	v_addc_co_u32_e64 v5, s[2:3], v1, v5, s[2:3]
	v_cmp_le_i32_e64 s[2:3], v3, v0
	s_and_b64 s[4:5], s[2:3], vcc
	s_and_saveexec_b64 s[2:3], s[4:5]
	s_cbranch_execz .LBB1679_18
; %bb.17:
	v_mul_f64 v[6:7], s[16:17], v[18:19]
	v_mul_f64 v[8:9], s[14:15], v[18:19]
	v_ashrrev_i32_e32 v1, 31, v0
	v_lshlrev_b64 v[0:1], 4, v[0:1]
	v_add_co_u32_e32 v0, vcc, v4, v0
	v_addc_co_u32_e32 v1, vcc, v5, v1, vcc
	v_fma_f64 v[6:7], s[14:15], v[16:17], -v[6:7]
	v_fma_f64 v[8:9], s[16:17], v[16:17], v[8:9]
	flat_store_dwordx4 v[0:1], v[6:9]
.LBB1679_18:
	s_or_b64 exec, exec, s[2:3]
	v_cmp_le_i32_e32 vcc, v3, v2
	s_and_b64 s[0:1], vcc, s[0:1]
	s_and_saveexec_b64 s[2:3], s[0:1]
	s_cbranch_execz .LBB1679_20
; %bb.19:
	v_mul_f64 v[0:1], s[16:17], v[24:25]
	v_mul_f64 v[8:9], s[14:15], v[24:25]
	v_ashrrev_i32_e32 v3, 31, v2
	v_fma_f64 v[6:7], s[14:15], v[26:27], -v[0:1]
	v_fma_f64 v[8:9], s[16:17], v[26:27], v[8:9]
	v_lshlrev_b64 v[0:1], 4, v[2:3]
	v_add_co_u32_e32 v0, vcc, v4, v0
	v_addc_co_u32_e32 v1, vcc, v5, v1, vcc
	flat_store_dwordx4 v[0:1], v[6:9]
.LBB1679_20:
	s_endpgm
	.section	.rodata,"a",@progbits
	.p2align	6, 0x0
	.amdhsa_kernel _ZL34rocblas_syrkx_herkx_general_kernelIl19rocblas_complex_numIdELi16ELi32ELi8ELb1ELb0ELc84ELc76EKPKS1_KPS1_EviT_T0_PT8_S7_lSA_S7_lS8_PT9_S7_li
		.amdhsa_group_segment_fixed_size 8192
		.amdhsa_private_segment_fixed_size 0
		.amdhsa_kernarg_size 124
		.amdhsa_user_sgpr_count 6
		.amdhsa_user_sgpr_private_segment_buffer 1
		.amdhsa_user_sgpr_dispatch_ptr 0
		.amdhsa_user_sgpr_queue_ptr 0
		.amdhsa_user_sgpr_kernarg_segment_ptr 1
		.amdhsa_user_sgpr_dispatch_id 0
		.amdhsa_user_sgpr_flat_scratch_init 0
		.amdhsa_user_sgpr_private_segment_size 0
		.amdhsa_uses_dynamic_stack 0
		.amdhsa_system_sgpr_private_segment_wavefront_offset 0
		.amdhsa_system_sgpr_workgroup_id_x 1
		.amdhsa_system_sgpr_workgroup_id_y 1
		.amdhsa_system_sgpr_workgroup_id_z 1
		.amdhsa_system_sgpr_workgroup_info 0
		.amdhsa_system_vgpr_workitem_id 1
		.amdhsa_next_free_vgpr 58
		.amdhsa_next_free_sgpr 61
		.amdhsa_reserve_vcc 1
		.amdhsa_reserve_flat_scratch 0
		.amdhsa_float_round_mode_32 0
		.amdhsa_float_round_mode_16_64 0
		.amdhsa_float_denorm_mode_32 3
		.amdhsa_float_denorm_mode_16_64 3
		.amdhsa_dx10_clamp 1
		.amdhsa_ieee_mode 1
		.amdhsa_fp16_overflow 0
		.amdhsa_exception_fp_ieee_invalid_op 0
		.amdhsa_exception_fp_denorm_src 0
		.amdhsa_exception_fp_ieee_div_zero 0
		.amdhsa_exception_fp_ieee_overflow 0
		.amdhsa_exception_fp_ieee_underflow 0
		.amdhsa_exception_fp_ieee_inexact 0
		.amdhsa_exception_int_div_zero 0
	.end_amdhsa_kernel
	.section	.text._ZL34rocblas_syrkx_herkx_general_kernelIl19rocblas_complex_numIdELi16ELi32ELi8ELb1ELb0ELc84ELc76EKPKS1_KPS1_EviT_T0_PT8_S7_lSA_S7_lS8_PT9_S7_li,"axG",@progbits,_ZL34rocblas_syrkx_herkx_general_kernelIl19rocblas_complex_numIdELi16ELi32ELi8ELb1ELb0ELc84ELc76EKPKS1_KPS1_EviT_T0_PT8_S7_lSA_S7_lS8_PT9_S7_li,comdat
.Lfunc_end1679:
	.size	_ZL34rocblas_syrkx_herkx_general_kernelIl19rocblas_complex_numIdELi16ELi32ELi8ELb1ELb0ELc84ELc76EKPKS1_KPS1_EviT_T0_PT8_S7_lSA_S7_lS8_PT9_S7_li, .Lfunc_end1679-_ZL34rocblas_syrkx_herkx_general_kernelIl19rocblas_complex_numIdELi16ELi32ELi8ELb1ELb0ELc84ELc76EKPKS1_KPS1_EviT_T0_PT8_S7_lSA_S7_lS8_PT9_S7_li
                                        ; -- End function
	.set _ZL34rocblas_syrkx_herkx_general_kernelIl19rocblas_complex_numIdELi16ELi32ELi8ELb1ELb0ELc84ELc76EKPKS1_KPS1_EviT_T0_PT8_S7_lSA_S7_lS8_PT9_S7_li.num_vgpr, 58
	.set _ZL34rocblas_syrkx_herkx_general_kernelIl19rocblas_complex_numIdELi16ELi32ELi8ELb1ELb0ELc84ELc76EKPKS1_KPS1_EviT_T0_PT8_S7_lSA_S7_lS8_PT9_S7_li.num_agpr, 0
	.set _ZL34rocblas_syrkx_herkx_general_kernelIl19rocblas_complex_numIdELi16ELi32ELi8ELb1ELb0ELc84ELc76EKPKS1_KPS1_EviT_T0_PT8_S7_lSA_S7_lS8_PT9_S7_li.numbered_sgpr, 27
	.set _ZL34rocblas_syrkx_herkx_general_kernelIl19rocblas_complex_numIdELi16ELi32ELi8ELb1ELb0ELc84ELc76EKPKS1_KPS1_EviT_T0_PT8_S7_lSA_S7_lS8_PT9_S7_li.num_named_barrier, 0
	.set _ZL34rocblas_syrkx_herkx_general_kernelIl19rocblas_complex_numIdELi16ELi32ELi8ELb1ELb0ELc84ELc76EKPKS1_KPS1_EviT_T0_PT8_S7_lSA_S7_lS8_PT9_S7_li.private_seg_size, 0
	.set _ZL34rocblas_syrkx_herkx_general_kernelIl19rocblas_complex_numIdELi16ELi32ELi8ELb1ELb0ELc84ELc76EKPKS1_KPS1_EviT_T0_PT8_S7_lSA_S7_lS8_PT9_S7_li.uses_vcc, 1
	.set _ZL34rocblas_syrkx_herkx_general_kernelIl19rocblas_complex_numIdELi16ELi32ELi8ELb1ELb0ELc84ELc76EKPKS1_KPS1_EviT_T0_PT8_S7_lSA_S7_lS8_PT9_S7_li.uses_flat_scratch, 0
	.set _ZL34rocblas_syrkx_herkx_general_kernelIl19rocblas_complex_numIdELi16ELi32ELi8ELb1ELb0ELc84ELc76EKPKS1_KPS1_EviT_T0_PT8_S7_lSA_S7_lS8_PT9_S7_li.has_dyn_sized_stack, 0
	.set _ZL34rocblas_syrkx_herkx_general_kernelIl19rocblas_complex_numIdELi16ELi32ELi8ELb1ELb0ELc84ELc76EKPKS1_KPS1_EviT_T0_PT8_S7_lSA_S7_lS8_PT9_S7_li.has_recursion, 0
	.set _ZL34rocblas_syrkx_herkx_general_kernelIl19rocblas_complex_numIdELi16ELi32ELi8ELb1ELb0ELc84ELc76EKPKS1_KPS1_EviT_T0_PT8_S7_lSA_S7_lS8_PT9_S7_li.has_indirect_call, 0
	.section	.AMDGPU.csdata,"",@progbits
; Kernel info:
; codeLenInByte = 3160
; TotalNumSgprs: 31
; NumVgprs: 58
; ScratchSize: 0
; MemoryBound: 0
; FloatMode: 240
; IeeeMode: 1
; LDSByteSize: 8192 bytes/workgroup (compile time only)
; SGPRBlocks: 8
; VGPRBlocks: 14
; NumSGPRsForWavesPerEU: 65
; NumVGPRsForWavesPerEU: 58
; Occupancy: 4
; WaveLimiterHint : 1
; COMPUTE_PGM_RSRC2:SCRATCH_EN: 0
; COMPUTE_PGM_RSRC2:USER_SGPR: 6
; COMPUTE_PGM_RSRC2:TRAP_HANDLER: 0
; COMPUTE_PGM_RSRC2:TGID_X_EN: 1
; COMPUTE_PGM_RSRC2:TGID_Y_EN: 1
; COMPUTE_PGM_RSRC2:TGID_Z_EN: 1
; COMPUTE_PGM_RSRC2:TIDIG_COMP_CNT: 1
	.section	.text._ZL34rocblas_syrkx_herkx_general_kernelIl19rocblas_complex_numIdELi16ELi32ELi8ELb1ELb0ELc67ELc76EKPKS1_KPS1_EviT_T0_PT8_S7_lSA_S7_lS8_PT9_S7_li,"axG",@progbits,_ZL34rocblas_syrkx_herkx_general_kernelIl19rocblas_complex_numIdELi16ELi32ELi8ELb1ELb0ELc67ELc76EKPKS1_KPS1_EviT_T0_PT8_S7_lSA_S7_lS8_PT9_S7_li,comdat
	.globl	_ZL34rocblas_syrkx_herkx_general_kernelIl19rocblas_complex_numIdELi16ELi32ELi8ELb1ELb0ELc67ELc76EKPKS1_KPS1_EviT_T0_PT8_S7_lSA_S7_lS8_PT9_S7_li ; -- Begin function _ZL34rocblas_syrkx_herkx_general_kernelIl19rocblas_complex_numIdELi16ELi32ELi8ELb1ELb0ELc67ELc76EKPKS1_KPS1_EviT_T0_PT8_S7_lSA_S7_lS8_PT9_S7_li
	.p2align	8
	.type	_ZL34rocblas_syrkx_herkx_general_kernelIl19rocblas_complex_numIdELi16ELi32ELi8ELb1ELb0ELc67ELc76EKPKS1_KPS1_EviT_T0_PT8_S7_lSA_S7_lS8_PT9_S7_li,@function
_ZL34rocblas_syrkx_herkx_general_kernelIl19rocblas_complex_numIdELi16ELi32ELi8ELb1ELb0ELc67ELc76EKPKS1_KPS1_EviT_T0_PT8_S7_lSA_S7_lS8_PT9_S7_li: ; @_ZL34rocblas_syrkx_herkx_general_kernelIl19rocblas_complex_numIdELi16ELi32ELi8ELb1ELb0ELc67ELc76EKPKS1_KPS1_EviT_T0_PT8_S7_lSA_S7_lS8_PT9_S7_li
; %bb.0:
	s_load_dwordx2 s[2:3], s[4:5], 0x28
	s_load_dwordx4 s[20:23], s[4:5], 0x60
	s_load_dword s24, s[4:5], 0x0
	s_load_dwordx8 s[12:19], s[4:5], 0x8
	s_mov_b32 s9, 0
	s_lshl_b64 s[0:1], s[8:9], 3
	s_waitcnt lgkmcnt(0)
	s_add_u32 s8, s20, s0
	s_addc_u32 s9, s21, s1
	s_load_dwordx2 s[20:21], s[8:9], 0x0
	v_cmp_lt_i64_e64 s[8:9], s[12:13], 1
	s_lshl_b32 s25, s6, 5
	s_lshl_b32 s26, s7, 5
	s_and_b64 vcc, exec, s[8:9]
	s_cbranch_vccnz .LBB1680_9
; %bb.1:
	s_load_dwordx4 s[8:11], s[4:5], 0x38
	v_lshl_add_u32 v2, v1, 4, v0
	v_and_b32_e32 v5, 31, v2
	v_or_b32_e32 v6, s25, v5
	v_and_b32_e32 v30, 7, v0
	s_waitcnt lgkmcnt(0)
	s_add_u32 s4, s8, s0
	s_addc_u32 s5, s9, s1
	s_add_u32 s0, s18, s0
	s_addc_u32 s1, s19, s1
	v_lshrrev_b32_e32 v3, 3, v2
	v_lshrrev_b32_e32 v29, 5, v2
	s_load_dwordx2 s[6:7], s[0:1], 0x0
	v_cmp_gt_i32_e64 s[0:1], s24, v6
	v_lshlrev_b32_e32 v2, 4, v5
	v_lshlrev_b32_e32 v6, 4, v30
	v_lshl_or_b32 v31, v29, 9, v2
	v_lshl_or_b32 v2, v3, 7, v6
	v_add_u32_e32 v32, 0x1000, v2
	v_add_u32_e32 v2, s25, v5
	;; [unrolled: 1-line block ×3, first 2 shown]
	v_ashrrev_i32_e32 v3, 31, v2
	v_mul_lo_u32 v5, s2, v3
	v_mul_lo_u32 v8, s3, v2
	v_mad_u64_u32 v[2:3], s[2:3], s2, v2, 0
	v_ashrrev_i32_e32 v7, 31, v4
	v_mul_lo_u32 v10, s10, v7
	v_add3_u32 v3, v3, v5, v8
	v_lshlrev_b64 v[2:3], 4, v[2:3]
	v_lshlrev_b32_e32 v5, 4, v29
	v_add_co_u32_e64 v5, s[2:3], v2, v5
	v_addc_co_u32_e64 v8, s[2:3], 0, v3, s[2:3]
	v_mul_lo_u32 v11, s11, v4
	v_mad_u64_u32 v[2:3], s[2:3], s10, v4, 0
	s_load_dwordx2 s[4:5], s[4:5], 0x0
	v_mov_b32_e32 v9, 0x1000
	v_add3_u32 v3, v3, v10, v11
	v_lshl_add_u32 v34, v1, 7, v9
	s_waitcnt lgkmcnt(0)
	v_mov_b32_e32 v9, s7
	v_add_co_u32_e64 v7, s[2:3], s6, v5
	v_lshlrev_b64 v[2:3], 4, v[2:3]
	v_addc_co_u32_e64 v8, s[2:3], v9, v8, s[2:3]
	v_add_co_u32_e64 v2, s[2:3], v2, v6
	v_addc_co_u32_e64 v3, s[2:3], 0, v3, s[2:3]
	v_cmp_gt_i32_e32 vcc, s24, v4
	v_mov_b32_e32 v4, s5
	v_add_co_u32_e64 v9, s[2:3], s4, v2
	v_addc_co_u32_e64 v10, s[2:3], v4, v3, s[2:3]
	v_mov_b32_e32 v25, 0
	v_mov_b32_e32 v11, s12
	;; [unrolled: 1-line block ×9, first 2 shown]
	v_lshlrev_b32_e32 v33, 4, v0
	s_mov_b64 s[2:3], 0
	v_mov_b32_e32 v26, 0
	s_xor_b64 s[4:5], vcc, -1
	v_mov_b32_e32 v12, s13
	v_mov_b32_e32 v28, 0
	;; [unrolled: 1-line block ×9, first 2 shown]
	s_branch .LBB1680_3
.LBB1680_2:                             ;   in Loop: Header=BB1680_3 Depth=1
	s_or_b64 exec, exec, s[6:7]
	s_waitcnt lgkmcnt(0)
	s_barrier
	ds_read_b128 v[3:6], v34
	ds_read_b128 v[35:38], v34 offset:16
	ds_read_b128 v[39:42], v34 offset:32
	;; [unrolled: 1-line block ×3, first 2 shown]
	ds_read_b128 v[47:50], v33
	v_add_co_u32_e32 v7, vcc, 0x80, v7
	v_addc_co_u32_e32 v8, vcc, 0, v8, vcc
	s_waitcnt lgkmcnt(0)
	v_mul_f64 v[51:52], v[5:6], v[49:50]
	v_mul_f64 v[53:54], v[3:4], v[49:50]
	s_add_u32 s2, s2, 8
	v_add_co_u32_e32 v9, vcc, 0x80, v9
	s_addc_u32 s3, s3, 0
	v_addc_co_u32_e32 v10, vcc, 0, v10, vcc
	v_fma_f64 v[51:52], v[3:4], v[47:48], -v[51:52]
	v_fma_f64 v[53:54], v[5:6], v[47:48], v[53:54]
	v_cmp_ge_i64_e32 vcc, s[2:3], v[11:12]
	s_and_b64 vcc, exec, vcc
	v_add_f64 v[51:52], v[21:22], v[51:52]
	v_add_f64 v[53:54], v[53:54], v[23:24]
	ds_read_b128 v[21:24], v33 offset:256
	s_waitcnt lgkmcnt(0)
	v_mul_f64 v[55:56], v[5:6], v[23:24]
	v_fma_f64 v[55:56], v[3:4], v[21:22], -v[55:56]
	v_mul_f64 v[3:4], v[3:4], v[23:24]
	v_add_f64 v[55:56], v[13:14], v[55:56]
	v_fma_f64 v[3:4], v[5:6], v[21:22], v[3:4]
	v_add_f64 v[57:58], v[3:4], v[15:16]
	ds_read_b128 v[3:6], v34 offset:2048
	s_waitcnt lgkmcnt(0)
	v_mul_f64 v[13:14], v[5:6], v[49:50]
	v_mul_f64 v[15:16], v[3:4], v[49:50]
	v_fma_f64 v[13:14], v[3:4], v[47:48], -v[13:14]
	v_fma_f64 v[15:16], v[5:6], v[47:48], v[15:16]
	v_add_f64 v[47:48], v[17:18], v[13:14]
	v_mul_f64 v[13:14], v[5:6], v[23:24]
	v_add_f64 v[49:50], v[15:16], v[19:20]
	v_fma_f64 v[13:14], v[3:4], v[21:22], -v[13:14]
	v_mul_f64 v[3:4], v[3:4], v[23:24]
	v_fma_f64 v[3:4], v[5:6], v[21:22], v[3:4]
	v_add_f64 v[21:22], v[27:28], v[13:14]
	v_add_f64 v[23:24], v[3:4], v[25:26]
	ds_read_b128 v[3:6], v33 offset:512
	s_waitcnt lgkmcnt(0)
	v_mul_f64 v[13:14], v[37:38], v[5:6]
	v_mul_f64 v[15:16], v[35:36], v[5:6]
	v_fma_f64 v[13:14], v[35:36], v[3:4], -v[13:14]
	v_fma_f64 v[15:16], v[37:38], v[3:4], v[15:16]
	v_add_f64 v[25:26], v[51:52], v[13:14]
	v_add_f64 v[27:28], v[15:16], v[53:54]
	ds_read_b128 v[13:16], v33 offset:768
	s_waitcnt lgkmcnt(0)
	v_mul_f64 v[17:18], v[37:38], v[15:16]
	v_mul_f64 v[19:20], v[35:36], v[15:16]
	v_fma_f64 v[17:18], v[35:36], v[13:14], -v[17:18]
	;; [unrolled: 8-line block ×3, first 2 shown]
	v_fma_f64 v[3:4], v[19:20], v[3:4], v[5:6]
	v_mul_f64 v[5:6], v[17:18], v[15:16]
	v_add_f64 v[47:48], v[47:48], v[51:52]
	v_add_f64 v[49:50], v[3:4], v[49:50]
	v_mul_f64 v[3:4], v[19:20], v[15:16]
	v_fma_f64 v[5:6], v[19:20], v[13:14], v[5:6]
	v_fma_f64 v[3:4], v[17:18], v[13:14], -v[3:4]
	v_add_f64 v[23:24], v[5:6], v[23:24]
	v_add_f64 v[21:22], v[21:22], v[3:4]
	ds_read_b128 v[3:6], v33 offset:1024
	s_waitcnt lgkmcnt(0)
	v_mul_f64 v[13:14], v[41:42], v[5:6]
	v_mul_f64 v[15:16], v[39:40], v[5:6]
	v_fma_f64 v[13:14], v[39:40], v[3:4], -v[13:14]
	v_fma_f64 v[15:16], v[41:42], v[3:4], v[15:16]
	v_add_f64 v[25:26], v[25:26], v[13:14]
	v_add_f64 v[27:28], v[15:16], v[27:28]
	ds_read_b128 v[13:16], v33 offset:1280
	s_waitcnt lgkmcnt(0)
	v_mul_f64 v[17:18], v[41:42], v[15:16]
	v_mul_f64 v[19:20], v[39:40], v[15:16]
	v_fma_f64 v[17:18], v[39:40], v[13:14], -v[17:18]
	v_fma_f64 v[19:20], v[41:42], v[13:14], v[19:20]
	;; [unrolled: 8-line block ×3, first 2 shown]
	v_mul_f64 v[5:6], v[17:18], v[15:16]
	v_add_f64 v[39:40], v[47:48], v[39:40]
	v_add_f64 v[41:42], v[3:4], v[49:50]
	v_mul_f64 v[3:4], v[19:20], v[15:16]
	v_fma_f64 v[5:6], v[19:20], v[13:14], v[5:6]
	v_fma_f64 v[3:4], v[17:18], v[13:14], -v[3:4]
	v_add_f64 v[23:24], v[5:6], v[23:24]
	v_add_f64 v[21:22], v[21:22], v[3:4]
	ds_read_b128 v[3:6], v33 offset:1536
	s_waitcnt lgkmcnt(0)
	v_mul_f64 v[13:14], v[45:46], v[5:6]
	v_mul_f64 v[15:16], v[43:44], v[5:6]
	v_fma_f64 v[13:14], v[43:44], v[3:4], -v[13:14]
	v_fma_f64 v[15:16], v[45:46], v[3:4], v[15:16]
	v_add_f64 v[25:26], v[25:26], v[13:14]
	v_add_f64 v[27:28], v[15:16], v[27:28]
	ds_read_b128 v[13:16], v33 offset:1792
	s_waitcnt lgkmcnt(0)
	v_mul_f64 v[17:18], v[45:46], v[15:16]
	v_mul_f64 v[19:20], v[43:44], v[15:16]
	v_fma_f64 v[17:18], v[43:44], v[13:14], -v[17:18]
	v_fma_f64 v[19:20], v[45:46], v[13:14], v[19:20]
	;; [unrolled: 8-line block ×3, first 2 shown]
	v_mul_f64 v[5:6], v[17:18], v[15:16]
	v_add_f64 v[39:40], v[39:40], v[43:44]
	v_add_f64 v[41:42], v[3:4], v[41:42]
	v_mul_f64 v[3:4], v[19:20], v[15:16]
	v_fma_f64 v[5:6], v[19:20], v[13:14], v[5:6]
	v_fma_f64 v[3:4], v[17:18], v[13:14], -v[3:4]
	v_add_f64 v[23:24], v[5:6], v[23:24]
	v_add_f64 v[21:22], v[21:22], v[3:4]
	ds_read_b128 v[3:6], v34 offset:64
	ds_read_b128 v[13:16], v33 offset:2048
	s_waitcnt lgkmcnt(0)
	v_mul_f64 v[17:18], v[5:6], v[15:16]
	v_mul_f64 v[19:20], v[3:4], v[15:16]
	v_fma_f64 v[17:18], v[3:4], v[13:14], -v[17:18]
	v_fma_f64 v[19:20], v[5:6], v[13:14], v[19:20]
	v_add_f64 v[25:26], v[25:26], v[17:18]
	v_add_f64 v[27:28], v[19:20], v[27:28]
	ds_read_b128 v[17:20], v33 offset:2304
	s_waitcnt lgkmcnt(0)
	v_mul_f64 v[43:44], v[5:6], v[19:20]
	v_fma_f64 v[43:44], v[3:4], v[17:18], -v[43:44]
	v_mul_f64 v[3:4], v[3:4], v[19:20]
	v_add_f64 v[35:36], v[35:36], v[43:44]
	v_fma_f64 v[3:4], v[5:6], v[17:18], v[3:4]
	v_add_f64 v[37:38], v[3:4], v[37:38]
	ds_read_b128 v[3:6], v34 offset:2112
	s_waitcnt lgkmcnt(0)
	v_mul_f64 v[43:44], v[5:6], v[15:16]
	v_mul_f64 v[15:16], v[3:4], v[15:16]
	v_fma_f64 v[43:44], v[3:4], v[13:14], -v[43:44]
	v_fma_f64 v[13:14], v[5:6], v[13:14], v[15:16]
	v_add_f64 v[39:40], v[39:40], v[43:44]
	v_add_f64 v[41:42], v[13:14], v[41:42]
	v_mul_f64 v[13:14], v[5:6], v[19:20]
	v_fma_f64 v[13:14], v[3:4], v[17:18], -v[13:14]
	v_mul_f64 v[3:4], v[3:4], v[19:20]
	v_add_f64 v[21:22], v[21:22], v[13:14]
	v_fma_f64 v[3:4], v[5:6], v[17:18], v[3:4]
	v_add_f64 v[23:24], v[3:4], v[23:24]
	ds_read_b128 v[3:6], v34 offset:80
	ds_read_b128 v[13:16], v33 offset:2560
	s_waitcnt lgkmcnt(0)
	v_mul_f64 v[17:18], v[5:6], v[15:16]
	v_mul_f64 v[19:20], v[3:4], v[15:16]
	v_fma_f64 v[17:18], v[3:4], v[13:14], -v[17:18]
	v_fma_f64 v[19:20], v[5:6], v[13:14], v[19:20]
	v_add_f64 v[25:26], v[25:26], v[17:18]
	v_add_f64 v[27:28], v[19:20], v[27:28]
	ds_read_b128 v[17:20], v33 offset:2816
	s_waitcnt lgkmcnt(0)
	v_mul_f64 v[43:44], v[5:6], v[19:20]
	v_fma_f64 v[43:44], v[3:4], v[17:18], -v[43:44]
	v_mul_f64 v[3:4], v[3:4], v[19:20]
	v_add_f64 v[35:36], v[35:36], v[43:44]
	v_fma_f64 v[3:4], v[5:6], v[17:18], v[3:4]
	v_add_f64 v[37:38], v[3:4], v[37:38]
	ds_read_b128 v[3:6], v34 offset:2128
	s_waitcnt lgkmcnt(0)
	v_mul_f64 v[43:44], v[5:6], v[15:16]
	v_mul_f64 v[15:16], v[3:4], v[15:16]
	v_fma_f64 v[43:44], v[3:4], v[13:14], -v[43:44]
	v_fma_f64 v[13:14], v[5:6], v[13:14], v[15:16]
	v_add_f64 v[39:40], v[39:40], v[43:44]
	v_add_f64 v[41:42], v[13:14], v[41:42]
	v_mul_f64 v[13:14], v[5:6], v[19:20]
	v_fma_f64 v[13:14], v[3:4], v[17:18], -v[13:14]
	v_mul_f64 v[3:4], v[3:4], v[19:20]
	v_add_f64 v[21:22], v[21:22], v[13:14]
	v_fma_f64 v[3:4], v[5:6], v[17:18], v[3:4]
	;; [unrolled: 31-line block ×3, first 2 shown]
	v_add_f64 v[45:46], v[3:4], v[23:24]
	ds_read_b128 v[3:6], v34 offset:112
	ds_read_b128 v[17:20], v33 offset:3584
	s_waitcnt lgkmcnt(0)
	v_mul_f64 v[13:14], v[5:6], v[19:20]
	v_mul_f64 v[15:16], v[3:4], v[19:20]
	v_fma_f64 v[13:14], v[3:4], v[17:18], -v[13:14]
	v_fma_f64 v[15:16], v[5:6], v[17:18], v[15:16]
	v_add_f64 v[21:22], v[25:26], v[13:14]
	v_add_f64 v[23:24], v[15:16], v[27:28]
	ds_read_b128 v[25:28], v33 offset:3840
	s_waitcnt lgkmcnt(0)
	v_mul_f64 v[13:14], v[5:6], v[27:28]
	v_fma_f64 v[13:14], v[3:4], v[25:26], -v[13:14]
	v_mul_f64 v[3:4], v[3:4], v[27:28]
	v_add_f64 v[13:14], v[35:36], v[13:14]
	v_fma_f64 v[3:4], v[5:6], v[25:26], v[3:4]
	v_add_f64 v[15:16], v[3:4], v[37:38]
	ds_read_b128 v[3:6], v34 offset:2160
	s_waitcnt lgkmcnt(0)
	s_barrier
	v_mul_f64 v[35:36], v[5:6], v[19:20]
	v_mul_f64 v[19:20], v[3:4], v[19:20]
	v_fma_f64 v[35:36], v[3:4], v[17:18], -v[35:36]
	v_fma_f64 v[19:20], v[5:6], v[17:18], v[19:20]
	v_add_f64 v[17:18], v[39:40], v[35:36]
	v_mul_f64 v[35:36], v[5:6], v[27:28]
	v_add_f64 v[19:20], v[19:20], v[41:42]
	v_fma_f64 v[35:36], v[3:4], v[25:26], -v[35:36]
	v_mul_f64 v[3:4], v[3:4], v[27:28]
	v_add_f64 v[27:28], v[43:44], v[35:36]
	v_fma_f64 v[3:4], v[5:6], v[25:26], v[3:4]
	v_add_f64 v[25:26], v[3:4], v[45:46]
	s_cbranch_vccnz .LBB1680_10
.LBB1680_3:                             ; =>This Inner Loop Header: Depth=1
	v_mov_b32_e32 v4, s3
	v_add_co_u32_e32 v3, vcc, s2, v29
	v_addc_co_u32_e32 v4, vcc, 0, v4, vcc
	v_cmp_gt_i64_e32 vcc, s[12:13], v[3:4]
	v_mov_b32_e32 v3, 0
	v_mov_b32_e32 v5, 0
	;; [unrolled: 1-line block ×4, first 2 shown]
	s_and_b64 s[8:9], s[0:1], vcc
	s_and_saveexec_b64 s[6:7], s[8:9]
	s_cbranch_execz .LBB1680_5
; %bb.4:                                ;   in Loop: Header=BB1680_3 Depth=1
	flat_load_dwordx4 v[3:6], v[7:8]
.LBB1680_5:                             ;   in Loop: Header=BB1680_3 Depth=1
	s_or_b64 exec, exec, s[6:7]
	v_mov_b32_e32 v36, s3
	v_add_co_u32_e32 v35, vcc, s2, v30
	v_addc_co_u32_e32 v36, vcc, 0, v36, vcc
	v_cmp_le_i64_e32 vcc, s[12:13], v[35:36]
	s_waitcnt vmcnt(0) lgkmcnt(0)
	ds_write_b128 v31, v[3:6]
	s_or_b64 s[6:7], vcc, s[4:5]
	s_and_saveexec_b64 s[8:9], s[6:7]
	s_xor_b64 s[6:7], exec, s[8:9]
; %bb.6:                                ;   in Loop: Header=BB1680_3 Depth=1
	v_mov_b32_e32 v3, v2
	v_mov_b32_e32 v4, v2
	;; [unrolled: 1-line block ×3, first 2 shown]
	ds_write_b128 v32, v[2:5]
; %bb.7:                                ;   in Loop: Header=BB1680_3 Depth=1
	s_andn2_saveexec_b64 s[6:7], s[6:7]
	s_cbranch_execz .LBB1680_2
; %bb.8:                                ;   in Loop: Header=BB1680_3 Depth=1
	flat_load_dwordx4 v[3:6], v[9:10]
	s_waitcnt vmcnt(0) lgkmcnt(0)
	ds_write2_b64 v32, v[3:4], v[5:6] offset1:1
	s_branch .LBB1680_2
.LBB1680_9:
	v_mov_b32_e32 v21, 0
	v_mov_b32_e32 v23, 0
	;; [unrolled: 1-line block ×16, first 2 shown]
.LBB1680_10:
	v_add_u32_e32 v4, s26, v1
	v_ashrrev_i32_e32 v1, 31, v4
	v_mul_lo_u32 v3, s22, v1
	v_mul_lo_u32 v5, s23, v4
	v_mad_u64_u32 v[1:2], s[0:1], s22, v4, 0
	v_add_u32_e32 v0, s25, v0
	v_cmp_le_i32_e64 s[0:1], v4, v0
	v_add3_u32 v2, v2, v3, v5
	v_lshlrev_b64 v[1:2], 4, v[1:2]
	s_waitcnt lgkmcnt(0)
	v_mov_b32_e32 v3, s21
	v_add_co_u32_e32 v5, vcc, s20, v1
	v_addc_co_u32_e32 v6, vcc, v3, v2, vcc
	v_cmp_gt_i32_e32 vcc, s24, v0
	s_and_b64 s[0:1], s[0:1], vcc
	s_and_saveexec_b64 s[2:3], s[0:1]
	s_cbranch_execz .LBB1680_12
; %bb.11:
	v_mul_f64 v[1:2], s[16:17], v[23:24]
	v_mul_f64 v[9:10], s[14:15], v[23:24]
	v_fma_f64 v[7:8], s[14:15], v[21:22], -v[1:2]
	v_fma_f64 v[9:10], s[16:17], v[21:22], v[9:10]
	v_ashrrev_i32_e32 v1, 31, v0
	v_lshlrev_b64 v[1:2], 4, v[0:1]
	v_add_co_u32_e64 v1, s[0:1], v5, v1
	v_addc_co_u32_e64 v2, s[0:1], v6, v2, s[0:1]
	flat_store_dwordx4 v[1:2], v[7:10]
.LBB1680_12:
	s_or_b64 exec, exec, s[2:3]
	v_add_u32_e32 v2, 16, v0
	v_cmp_le_i32_e64 s[2:3], v4, v2
	v_cmp_gt_i32_e64 s[0:1], s24, v2
	s_and_b64 s[2:3], s[2:3], s[0:1]
	s_and_saveexec_b64 s[4:5], s[2:3]
	s_cbranch_execz .LBB1680_14
; %bb.13:
	v_mul_f64 v[7:8], s[16:17], v[15:16]
	v_mul_f64 v[9:10], s[14:15], v[15:16]
	v_ashrrev_i32_e32 v3, 31, v2
	v_lshlrev_b64 v[11:12], 4, v[2:3]
	v_add_co_u32_e64 v5, s[2:3], v5, v11
	v_addc_co_u32_e64 v6, s[2:3], v6, v12, s[2:3]
	v_fma_f64 v[7:8], s[14:15], v[13:14], -v[7:8]
	v_fma_f64 v[9:10], s[16:17], v[13:14], v[9:10]
	flat_store_dwordx4 v[5:6], v[7:10]
.LBB1680_14:
	s_or_b64 exec, exec, s[4:5]
	v_add_u32_e32 v3, 16, v4
	v_ashrrev_i32_e32 v1, 31, v3
	v_mul_lo_u32 v6, s23, v3
	v_mad_u64_u32 v[4:5], s[2:3], s22, v3, 0
	v_mul_lo_u32 v1, s22, v1
	v_add3_u32 v5, v5, v1, v6
	v_lshlrev_b64 v[4:5], 4, v[4:5]
	v_mov_b32_e32 v1, s21
	v_add_co_u32_e64 v4, s[2:3], s20, v4
	v_addc_co_u32_e64 v5, s[2:3], v1, v5, s[2:3]
	v_cmp_le_i32_e64 s[2:3], v3, v0
	s_and_b64 s[4:5], s[2:3], vcc
	s_and_saveexec_b64 s[2:3], s[4:5]
	s_cbranch_execz .LBB1680_16
; %bb.15:
	v_mul_f64 v[6:7], s[16:17], v[19:20]
	v_mul_f64 v[8:9], s[14:15], v[19:20]
	v_ashrrev_i32_e32 v1, 31, v0
	v_lshlrev_b64 v[0:1], 4, v[0:1]
	v_add_co_u32_e32 v0, vcc, v4, v0
	v_addc_co_u32_e32 v1, vcc, v5, v1, vcc
	v_fma_f64 v[6:7], s[14:15], v[17:18], -v[6:7]
	v_fma_f64 v[8:9], s[16:17], v[17:18], v[8:9]
	flat_store_dwordx4 v[0:1], v[6:9]
.LBB1680_16:
	s_or_b64 exec, exec, s[2:3]
	v_cmp_le_i32_e32 vcc, v3, v2
	s_and_b64 s[0:1], vcc, s[0:1]
	s_and_saveexec_b64 s[2:3], s[0:1]
	s_cbranch_execz .LBB1680_18
; %bb.17:
	v_mul_f64 v[0:1], s[16:17], v[25:26]
	v_mul_f64 v[8:9], s[14:15], v[25:26]
	v_ashrrev_i32_e32 v3, 31, v2
	v_fma_f64 v[6:7], s[14:15], v[27:28], -v[0:1]
	v_fma_f64 v[8:9], s[16:17], v[27:28], v[8:9]
	v_lshlrev_b64 v[0:1], 4, v[2:3]
	v_add_co_u32_e32 v0, vcc, v4, v0
	v_addc_co_u32_e32 v1, vcc, v5, v1, vcc
	flat_store_dwordx4 v[0:1], v[6:9]
.LBB1680_18:
	s_endpgm
	.section	.rodata,"a",@progbits
	.p2align	6, 0x0
	.amdhsa_kernel _ZL34rocblas_syrkx_herkx_general_kernelIl19rocblas_complex_numIdELi16ELi32ELi8ELb1ELb0ELc67ELc76EKPKS1_KPS1_EviT_T0_PT8_S7_lSA_S7_lS8_PT9_S7_li
		.amdhsa_group_segment_fixed_size 8192
		.amdhsa_private_segment_fixed_size 0
		.amdhsa_kernarg_size 124
		.amdhsa_user_sgpr_count 6
		.amdhsa_user_sgpr_private_segment_buffer 1
		.amdhsa_user_sgpr_dispatch_ptr 0
		.amdhsa_user_sgpr_queue_ptr 0
		.amdhsa_user_sgpr_kernarg_segment_ptr 1
		.amdhsa_user_sgpr_dispatch_id 0
		.amdhsa_user_sgpr_flat_scratch_init 0
		.amdhsa_user_sgpr_private_segment_size 0
		.amdhsa_uses_dynamic_stack 0
		.amdhsa_system_sgpr_private_segment_wavefront_offset 0
		.amdhsa_system_sgpr_workgroup_id_x 1
		.amdhsa_system_sgpr_workgroup_id_y 1
		.amdhsa_system_sgpr_workgroup_id_z 1
		.amdhsa_system_sgpr_workgroup_info 0
		.amdhsa_system_vgpr_workitem_id 1
		.amdhsa_next_free_vgpr 59
		.amdhsa_next_free_sgpr 61
		.amdhsa_reserve_vcc 1
		.amdhsa_reserve_flat_scratch 0
		.amdhsa_float_round_mode_32 0
		.amdhsa_float_round_mode_16_64 0
		.amdhsa_float_denorm_mode_32 3
		.amdhsa_float_denorm_mode_16_64 3
		.amdhsa_dx10_clamp 1
		.amdhsa_ieee_mode 1
		.amdhsa_fp16_overflow 0
		.amdhsa_exception_fp_ieee_invalid_op 0
		.amdhsa_exception_fp_denorm_src 0
		.amdhsa_exception_fp_ieee_div_zero 0
		.amdhsa_exception_fp_ieee_overflow 0
		.amdhsa_exception_fp_ieee_underflow 0
		.amdhsa_exception_fp_ieee_inexact 0
		.amdhsa_exception_int_div_zero 0
	.end_amdhsa_kernel
	.section	.text._ZL34rocblas_syrkx_herkx_general_kernelIl19rocblas_complex_numIdELi16ELi32ELi8ELb1ELb0ELc67ELc76EKPKS1_KPS1_EviT_T0_PT8_S7_lSA_S7_lS8_PT9_S7_li,"axG",@progbits,_ZL34rocblas_syrkx_herkx_general_kernelIl19rocblas_complex_numIdELi16ELi32ELi8ELb1ELb0ELc67ELc76EKPKS1_KPS1_EviT_T0_PT8_S7_lSA_S7_lS8_PT9_S7_li,comdat
.Lfunc_end1680:
	.size	_ZL34rocblas_syrkx_herkx_general_kernelIl19rocblas_complex_numIdELi16ELi32ELi8ELb1ELb0ELc67ELc76EKPKS1_KPS1_EviT_T0_PT8_S7_lSA_S7_lS8_PT9_S7_li, .Lfunc_end1680-_ZL34rocblas_syrkx_herkx_general_kernelIl19rocblas_complex_numIdELi16ELi32ELi8ELb1ELb0ELc67ELc76EKPKS1_KPS1_EviT_T0_PT8_S7_lSA_S7_lS8_PT9_S7_li
                                        ; -- End function
	.set _ZL34rocblas_syrkx_herkx_general_kernelIl19rocblas_complex_numIdELi16ELi32ELi8ELb1ELb0ELc67ELc76EKPKS1_KPS1_EviT_T0_PT8_S7_lSA_S7_lS8_PT9_S7_li.num_vgpr, 59
	.set _ZL34rocblas_syrkx_herkx_general_kernelIl19rocblas_complex_numIdELi16ELi32ELi8ELb1ELb0ELc67ELc76EKPKS1_KPS1_EviT_T0_PT8_S7_lSA_S7_lS8_PT9_S7_li.num_agpr, 0
	.set _ZL34rocblas_syrkx_herkx_general_kernelIl19rocblas_complex_numIdELi16ELi32ELi8ELb1ELb0ELc67ELc76EKPKS1_KPS1_EviT_T0_PT8_S7_lSA_S7_lS8_PT9_S7_li.numbered_sgpr, 27
	.set _ZL34rocblas_syrkx_herkx_general_kernelIl19rocblas_complex_numIdELi16ELi32ELi8ELb1ELb0ELc67ELc76EKPKS1_KPS1_EviT_T0_PT8_S7_lSA_S7_lS8_PT9_S7_li.num_named_barrier, 0
	.set _ZL34rocblas_syrkx_herkx_general_kernelIl19rocblas_complex_numIdELi16ELi32ELi8ELb1ELb0ELc67ELc76EKPKS1_KPS1_EviT_T0_PT8_S7_lSA_S7_lS8_PT9_S7_li.private_seg_size, 0
	.set _ZL34rocblas_syrkx_herkx_general_kernelIl19rocblas_complex_numIdELi16ELi32ELi8ELb1ELb0ELc67ELc76EKPKS1_KPS1_EviT_T0_PT8_S7_lSA_S7_lS8_PT9_S7_li.uses_vcc, 1
	.set _ZL34rocblas_syrkx_herkx_general_kernelIl19rocblas_complex_numIdELi16ELi32ELi8ELb1ELb0ELc67ELc76EKPKS1_KPS1_EviT_T0_PT8_S7_lSA_S7_lS8_PT9_S7_li.uses_flat_scratch, 0
	.set _ZL34rocblas_syrkx_herkx_general_kernelIl19rocblas_complex_numIdELi16ELi32ELi8ELb1ELb0ELc67ELc76EKPKS1_KPS1_EviT_T0_PT8_S7_lSA_S7_lS8_PT9_S7_li.has_dyn_sized_stack, 0
	.set _ZL34rocblas_syrkx_herkx_general_kernelIl19rocblas_complex_numIdELi16ELi32ELi8ELb1ELb0ELc67ELc76EKPKS1_KPS1_EviT_T0_PT8_S7_lSA_S7_lS8_PT9_S7_li.has_recursion, 0
	.set _ZL34rocblas_syrkx_herkx_general_kernelIl19rocblas_complex_numIdELi16ELi32ELi8ELb1ELb0ELc67ELc76EKPKS1_KPS1_EviT_T0_PT8_S7_lSA_S7_lS8_PT9_S7_li.has_indirect_call, 0
	.section	.AMDGPU.csdata,"",@progbits
; Kernel info:
; codeLenInByte = 3144
; TotalNumSgprs: 31
; NumVgprs: 59
; ScratchSize: 0
; MemoryBound: 1
; FloatMode: 240
; IeeeMode: 1
; LDSByteSize: 8192 bytes/workgroup (compile time only)
; SGPRBlocks: 8
; VGPRBlocks: 14
; NumSGPRsForWavesPerEU: 65
; NumVGPRsForWavesPerEU: 59
; Occupancy: 4
; WaveLimiterHint : 1
; COMPUTE_PGM_RSRC2:SCRATCH_EN: 0
; COMPUTE_PGM_RSRC2:USER_SGPR: 6
; COMPUTE_PGM_RSRC2:TRAP_HANDLER: 0
; COMPUTE_PGM_RSRC2:TGID_X_EN: 1
; COMPUTE_PGM_RSRC2:TGID_Y_EN: 1
; COMPUTE_PGM_RSRC2:TGID_Z_EN: 1
; COMPUTE_PGM_RSRC2:TIDIG_COMP_CNT: 1
	.section	.text._ZL34rocblas_syrkx_herkx_general_kernelIl19rocblas_complex_numIdELi16ELi32ELi8ELb1ELb0ELc78ELc76EKPKS1_KPS1_EviT_T0_PT8_S7_lSA_S7_lS8_PT9_S7_li,"axG",@progbits,_ZL34rocblas_syrkx_herkx_general_kernelIl19rocblas_complex_numIdELi16ELi32ELi8ELb1ELb0ELc78ELc76EKPKS1_KPS1_EviT_T0_PT8_S7_lSA_S7_lS8_PT9_S7_li,comdat
	.globl	_ZL34rocblas_syrkx_herkx_general_kernelIl19rocblas_complex_numIdELi16ELi32ELi8ELb1ELb0ELc78ELc76EKPKS1_KPS1_EviT_T0_PT8_S7_lSA_S7_lS8_PT9_S7_li ; -- Begin function _ZL34rocblas_syrkx_herkx_general_kernelIl19rocblas_complex_numIdELi16ELi32ELi8ELb1ELb0ELc78ELc76EKPKS1_KPS1_EviT_T0_PT8_S7_lSA_S7_lS8_PT9_S7_li
	.p2align	8
	.type	_ZL34rocblas_syrkx_herkx_general_kernelIl19rocblas_complex_numIdELi16ELi32ELi8ELb1ELb0ELc78ELc76EKPKS1_KPS1_EviT_T0_PT8_S7_lSA_S7_lS8_PT9_S7_li,@function
_ZL34rocblas_syrkx_herkx_general_kernelIl19rocblas_complex_numIdELi16ELi32ELi8ELb1ELb0ELc78ELc76EKPKS1_KPS1_EviT_T0_PT8_S7_lSA_S7_lS8_PT9_S7_li: ; @_ZL34rocblas_syrkx_herkx_general_kernelIl19rocblas_complex_numIdELi16ELi32ELi8ELb1ELb0ELc78ELc76EKPKS1_KPS1_EviT_T0_PT8_S7_lSA_S7_lS8_PT9_S7_li
; %bb.0:
	s_load_dwordx2 s[24:25], s[4:5], 0x28
	s_load_dwordx4 s[20:23], s[4:5], 0x60
	s_load_dword s26, s[4:5], 0x0
	s_load_dwordx8 s[12:19], s[4:5], 0x8
	s_mov_b32 s9, 0
	s_lshl_b64 s[0:1], s[8:9], 3
	s_waitcnt lgkmcnt(0)
	s_add_u32 s2, s20, s0
	s_addc_u32 s3, s21, s1
	s_load_dwordx2 s[20:21], s[2:3], 0x0
	v_cmp_lt_i64_e64 s[2:3], s[12:13], 1
	s_lshl_b32 s27, s6, 5
	s_lshl_b32 s28, s7, 5
	s_and_b64 vcc, exec, s[2:3]
	s_cbranch_vccnz .LBB1681_9
; %bb.1:
	s_load_dwordx4 s[8:11], s[4:5], 0x38
	v_lshl_add_u32 v3, v1, 4, v0
	v_and_b32_e32 v7, 31, v3
	v_or_b32_e32 v4, s27, v7
	v_lshrrev_b32_e32 v29, 5, v3
	s_waitcnt lgkmcnt(0)
	s_add_u32 s2, s8, s0
	s_addc_u32 s3, s9, s1
	s_load_dwordx2 s[6:7], s[2:3], 0x0
	v_cmp_gt_i32_e32 vcc, s26, v4
	v_mad_u64_u32 v[4:5], s[2:3], s24, v29, 0
	v_lshrrev_b32_e32 v6, 3, v3
	v_and_b32_e32 v30, 7, v0
	v_lshlrev_b32_e32 v3, 4, v7
	v_lshl_or_b32 v31, v29, 9, v3
	v_lshlrev_b32_e32 v3, 4, v30
	v_add_u32_e32 v2, s28, v6
	v_lshl_or_b32 v3, v6, 7, v3
	v_mad_u64_u32 v[5:6], s[2:3], s25, v29, v[5:6]
	v_mov_b32_e32 v6, 0x1000
	v_lshl_add_u32 v34, v1, 7, v6
	v_add_u32_e32 v6, s27, v7
	v_mad_u64_u32 v[9:10], s[2:3], s10, v30, 0
	v_ashrrev_i32_e32 v7, 31, v6
	v_lshlrev_b64 v[4:5], 4, v[4:5]
	v_lshlrev_b64 v[6:7], 4, v[6:7]
	s_add_u32 s0, s18, s0
	s_addc_u32 s1, s19, s1
	v_add_co_u32_e64 v6, s[2:3], v4, v6
	v_mov_b32_e32 v4, v10
	s_load_dwordx2 s[4:5], s[0:1], 0x0
	v_addc_co_u32_e64 v8, s[2:3], v5, v7, s[2:3]
	v_mad_u64_u32 v[4:5], s[2:3], s11, v30, v[4:5]
	v_add_u32_e32 v32, 0x1000, v3
	v_ashrrev_i32_e32 v3, 31, v2
	v_mov_b32_e32 v10, v4
	v_cmp_gt_i32_e64 s[0:1], s26, v2
	s_waitcnt lgkmcnt(0)
	v_mov_b32_e32 v11, s5
	v_add_co_u32_e64 v7, s[2:3], s4, v6
	v_lshlrev_b64 v[4:5], 4, v[9:10]
	v_lshlrev_b64 v[2:3], 4, v[2:3]
	v_addc_co_u32_e64 v8, s[2:3], v11, v8, s[2:3]
	v_add_co_u32_e64 v2, s[2:3], v4, v2
	v_addc_co_u32_e64 v3, s[2:3], v5, v3, s[2:3]
	v_mov_b32_e32 v4, s7
	v_add_co_u32_e64 v9, s[2:3], s6, v2
	v_addc_co_u32_e64 v10, s[2:3], v4, v3, s[2:3]
	s_lshl_b64 s[4:5], s[24:25], 7
	s_lshl_b64 s[2:3], s[10:11], 7
	v_mov_b32_e32 v25, 0
	v_mov_b32_e32 v11, s12
	;; [unrolled: 1-line block ×9, first 2 shown]
	v_lshlrev_b32_e32 v33, 4, v0
	s_mov_b64 s[6:7], 0
	v_mov_b32_e32 v26, 0
	s_xor_b64 s[8:9], vcc, -1
	v_mov_b32_e32 v35, s5
	v_mov_b32_e32 v36, s3
	;; [unrolled: 1-line block ×11, first 2 shown]
	s_branch .LBB1681_3
.LBB1681_2:                             ;   in Loop: Header=BB1681_3 Depth=1
	s_or_b64 exec, exec, s[10:11]
	s_waitcnt vmcnt(0) lgkmcnt(0)
	ds_write_b128 v32, v[3:6]
	s_waitcnt lgkmcnt(0)
	s_barrier
	ds_read_b128 v[3:6], v34
	ds_read_b128 v[37:40], v34 offset:16
	ds_read_b128 v[41:44], v34 offset:32
	;; [unrolled: 1-line block ×3, first 2 shown]
	ds_read_b128 v[49:52], v33
	v_add_co_u32_e32 v7, vcc, s4, v7
	v_addc_co_u32_e32 v8, vcc, v8, v35, vcc
	s_waitcnt lgkmcnt(0)
	v_mul_f64 v[53:54], v[5:6], v[51:52]
	v_mul_f64 v[55:56], v[3:4], v[51:52]
	s_add_u32 s6, s6, 8
	v_add_co_u32_e32 v9, vcc, s2, v9
	s_addc_u32 s7, s7, 0
	v_addc_co_u32_e32 v10, vcc, v10, v36, vcc
	v_fma_f64 v[53:54], v[3:4], v[49:50], -v[53:54]
	v_fma_f64 v[55:56], v[5:6], v[49:50], v[55:56]
	v_cmp_ge_i64_e32 vcc, s[6:7], v[11:12]
	s_and_b64 vcc, exec, vcc
	v_add_f64 v[19:20], v[19:20], v[53:54]
	v_add_f64 v[23:24], v[55:56], v[23:24]
	ds_read_b128 v[53:56], v33 offset:256
	s_waitcnt lgkmcnt(0)
	v_mul_f64 v[57:58], v[5:6], v[55:56]
	v_fma_f64 v[57:58], v[3:4], v[53:54], -v[57:58]
	v_mul_f64 v[3:4], v[3:4], v[55:56]
	v_add_f64 v[57:58], v[13:14], v[57:58]
	v_fma_f64 v[3:4], v[5:6], v[53:54], v[3:4]
	v_add_f64 v[59:60], v[3:4], v[15:16]
	ds_read_b128 v[3:6], v34 offset:2048
	s_waitcnt lgkmcnt(0)
	v_mul_f64 v[13:14], v[5:6], v[51:52]
	v_mul_f64 v[15:16], v[3:4], v[51:52]
	v_fma_f64 v[13:14], v[3:4], v[49:50], -v[13:14]
	v_fma_f64 v[15:16], v[5:6], v[49:50], v[15:16]
	v_add_f64 v[49:50], v[17:18], v[13:14]
	v_mul_f64 v[13:14], v[5:6], v[55:56]
	v_add_f64 v[21:22], v[15:16], v[21:22]
	v_fma_f64 v[13:14], v[3:4], v[53:54], -v[13:14]
	v_mul_f64 v[3:4], v[3:4], v[55:56]
	v_add_f64 v[27:28], v[27:28], v[13:14]
	v_fma_f64 v[3:4], v[5:6], v[53:54], v[3:4]
	v_add_f64 v[25:26], v[3:4], v[25:26]
	ds_read_b128 v[3:6], v33 offset:512
	s_waitcnt lgkmcnt(0)
	v_mul_f64 v[13:14], v[39:40], v[5:6]
	v_mul_f64 v[15:16], v[37:38], v[5:6]
	v_fma_f64 v[13:14], v[37:38], v[3:4], -v[13:14]
	v_fma_f64 v[15:16], v[39:40], v[3:4], v[15:16]
	v_add_f64 v[51:52], v[19:20], v[13:14]
	v_add_f64 v[23:24], v[15:16], v[23:24]
	ds_read_b128 v[13:16], v33 offset:768
	s_waitcnt lgkmcnt(0)
	v_mul_f64 v[17:18], v[39:40], v[15:16]
	v_mul_f64 v[19:20], v[37:38], v[15:16]
	v_fma_f64 v[17:18], v[37:38], v[13:14], -v[17:18]
	v_fma_f64 v[19:20], v[39:40], v[13:14], v[19:20]
	v_add_f64 v[37:38], v[57:58], v[17:18]
	v_add_f64 v[39:40], v[19:20], v[59:60]
	ds_read_b128 v[17:20], v34 offset:2064
	s_waitcnt lgkmcnt(0)
	v_mul_f64 v[53:54], v[19:20], v[5:6]
	v_mul_f64 v[5:6], v[17:18], v[5:6]
	v_fma_f64 v[53:54], v[17:18], v[3:4], -v[53:54]
	v_fma_f64 v[3:4], v[19:20], v[3:4], v[5:6]
	v_mul_f64 v[5:6], v[17:18], v[15:16]
	v_add_f64 v[49:50], v[49:50], v[53:54]
	v_add_f64 v[21:22], v[3:4], v[21:22]
	v_mul_f64 v[3:4], v[19:20], v[15:16]
	v_fma_f64 v[5:6], v[19:20], v[13:14], v[5:6]
	v_fma_f64 v[3:4], v[17:18], v[13:14], -v[3:4]
	v_add_f64 v[25:26], v[5:6], v[25:26]
	v_add_f64 v[27:28], v[27:28], v[3:4]
	ds_read_b128 v[3:6], v33 offset:1024
	s_waitcnt lgkmcnt(0)
	v_mul_f64 v[13:14], v[43:44], v[5:6]
	v_mul_f64 v[15:16], v[41:42], v[5:6]
	v_fma_f64 v[13:14], v[41:42], v[3:4], -v[13:14]
	v_fma_f64 v[15:16], v[43:44], v[3:4], v[15:16]
	v_add_f64 v[51:52], v[51:52], v[13:14]
	v_add_f64 v[23:24], v[15:16], v[23:24]
	ds_read_b128 v[13:16], v33 offset:1280
	s_waitcnt lgkmcnt(0)
	v_mul_f64 v[17:18], v[43:44], v[15:16]
	v_mul_f64 v[19:20], v[41:42], v[15:16]
	v_fma_f64 v[17:18], v[41:42], v[13:14], -v[17:18]
	v_fma_f64 v[19:20], v[43:44], v[13:14], v[19:20]
	v_add_f64 v[37:38], v[37:38], v[17:18]
	v_add_f64 v[39:40], v[19:20], v[39:40]
	ds_read_b128 v[17:20], v34 offset:2080
	s_waitcnt lgkmcnt(0)
	v_mul_f64 v[41:42], v[19:20], v[5:6]
	v_mul_f64 v[5:6], v[17:18], v[5:6]
	v_fma_f64 v[41:42], v[17:18], v[3:4], -v[41:42]
	v_fma_f64 v[3:4], v[19:20], v[3:4], v[5:6]
	v_mul_f64 v[5:6], v[17:18], v[15:16]
	v_add_f64 v[41:42], v[49:50], v[41:42]
	v_add_f64 v[21:22], v[3:4], v[21:22]
	v_mul_f64 v[3:4], v[19:20], v[15:16]
	v_fma_f64 v[5:6], v[19:20], v[13:14], v[5:6]
	v_fma_f64 v[3:4], v[17:18], v[13:14], -v[3:4]
	v_add_f64 v[25:26], v[5:6], v[25:26]
	;; [unrolled: 30-line block ×3, first 2 shown]
	v_add_f64 v[27:28], v[27:28], v[3:4]
	ds_read_b128 v[3:6], v34 offset:64
	ds_read_b128 v[13:16], v33 offset:2048
	s_waitcnt lgkmcnt(0)
	v_mul_f64 v[17:18], v[5:6], v[15:16]
	v_mul_f64 v[19:20], v[3:4], v[15:16]
	v_fma_f64 v[17:18], v[3:4], v[13:14], -v[17:18]
	v_fma_f64 v[19:20], v[5:6], v[13:14], v[19:20]
	v_add_f64 v[43:44], v[43:44], v[17:18]
	v_add_f64 v[23:24], v[19:20], v[23:24]
	ds_read_b128 v[17:20], v33 offset:2304
	s_waitcnt lgkmcnt(0)
	v_mul_f64 v[45:46], v[5:6], v[19:20]
	v_fma_f64 v[45:46], v[3:4], v[17:18], -v[45:46]
	v_mul_f64 v[3:4], v[3:4], v[19:20]
	v_add_f64 v[37:38], v[37:38], v[45:46]
	v_fma_f64 v[3:4], v[5:6], v[17:18], v[3:4]
	v_add_f64 v[39:40], v[3:4], v[39:40]
	ds_read_b128 v[3:6], v34 offset:2112
	s_waitcnt lgkmcnt(0)
	v_mul_f64 v[45:46], v[5:6], v[15:16]
	v_mul_f64 v[15:16], v[3:4], v[15:16]
	v_fma_f64 v[45:46], v[3:4], v[13:14], -v[45:46]
	v_fma_f64 v[13:14], v[5:6], v[13:14], v[15:16]
	v_add_f64 v[41:42], v[41:42], v[45:46]
	v_add_f64 v[21:22], v[13:14], v[21:22]
	v_mul_f64 v[13:14], v[5:6], v[19:20]
	v_fma_f64 v[13:14], v[3:4], v[17:18], -v[13:14]
	v_mul_f64 v[3:4], v[3:4], v[19:20]
	v_add_f64 v[27:28], v[27:28], v[13:14]
	v_fma_f64 v[3:4], v[5:6], v[17:18], v[3:4]
	v_add_f64 v[25:26], v[3:4], v[25:26]
	ds_read_b128 v[3:6], v34 offset:80
	ds_read_b128 v[13:16], v33 offset:2560
	s_waitcnt lgkmcnt(0)
	v_mul_f64 v[17:18], v[5:6], v[15:16]
	v_mul_f64 v[19:20], v[3:4], v[15:16]
	v_fma_f64 v[17:18], v[3:4], v[13:14], -v[17:18]
	v_fma_f64 v[19:20], v[5:6], v[13:14], v[19:20]
	v_add_f64 v[43:44], v[43:44], v[17:18]
	v_add_f64 v[23:24], v[19:20], v[23:24]
	ds_read_b128 v[17:20], v33 offset:2816
	s_waitcnt lgkmcnt(0)
	v_mul_f64 v[45:46], v[5:6], v[19:20]
	v_fma_f64 v[45:46], v[3:4], v[17:18], -v[45:46]
	v_mul_f64 v[3:4], v[3:4], v[19:20]
	v_add_f64 v[37:38], v[37:38], v[45:46]
	v_fma_f64 v[3:4], v[5:6], v[17:18], v[3:4]
	v_add_f64 v[39:40], v[3:4], v[39:40]
	ds_read_b128 v[3:6], v34 offset:2128
	s_waitcnt lgkmcnt(0)
	v_mul_f64 v[45:46], v[5:6], v[15:16]
	v_mul_f64 v[15:16], v[3:4], v[15:16]
	v_fma_f64 v[45:46], v[3:4], v[13:14], -v[45:46]
	v_fma_f64 v[13:14], v[5:6], v[13:14], v[15:16]
	v_add_f64 v[41:42], v[41:42], v[45:46]
	v_add_f64 v[21:22], v[13:14], v[21:22]
	v_mul_f64 v[13:14], v[5:6], v[19:20]
	v_fma_f64 v[13:14], v[3:4], v[17:18], -v[13:14]
	v_mul_f64 v[3:4], v[3:4], v[19:20]
	v_add_f64 v[27:28], v[27:28], v[13:14]
	v_fma_f64 v[3:4], v[5:6], v[17:18], v[3:4]
	;; [unrolled: 31-line block ×3, first 2 shown]
	v_add_f64 v[51:52], v[3:4], v[25:26]
	ds_read_b128 v[3:6], v34 offset:112
	ds_read_b128 v[25:28], v33 offset:3584
	;; [unrolled: 1-line block ×3, first 2 shown]
	s_waitcnt lgkmcnt(1)
	v_mul_f64 v[13:14], v[5:6], v[27:28]
	v_mul_f64 v[15:16], v[3:4], v[27:28]
	v_fma_f64 v[13:14], v[3:4], v[25:26], -v[13:14]
	v_fma_f64 v[15:16], v[5:6], v[25:26], v[15:16]
	v_add_f64 v[19:20], v[43:44], v[13:14]
	s_waitcnt lgkmcnt(0)
	v_mul_f64 v[13:14], v[5:6], v[39:40]
	v_add_f64 v[23:24], v[15:16], v[23:24]
	v_fma_f64 v[13:14], v[3:4], v[37:38], -v[13:14]
	v_mul_f64 v[3:4], v[3:4], v[39:40]
	v_add_f64 v[13:14], v[45:46], v[13:14]
	v_fma_f64 v[3:4], v[5:6], v[37:38], v[3:4]
	v_add_f64 v[15:16], v[3:4], v[47:48]
	ds_read_b128 v[3:6], v34 offset:2160
	s_waitcnt lgkmcnt(0)
	s_barrier
	v_mul_f64 v[17:18], v[5:6], v[27:28]
	v_mul_f64 v[27:28], v[3:4], v[27:28]
	v_fma_f64 v[17:18], v[3:4], v[25:26], -v[17:18]
	v_fma_f64 v[25:26], v[5:6], v[25:26], v[27:28]
	v_add_f64 v[17:18], v[41:42], v[17:18]
	v_add_f64 v[21:22], v[25:26], v[21:22]
	v_mul_f64 v[25:26], v[5:6], v[39:40]
	v_fma_f64 v[25:26], v[3:4], v[37:38], -v[25:26]
	v_mul_f64 v[3:4], v[3:4], v[39:40]
	v_add_f64 v[27:28], v[49:50], v[25:26]
	v_fma_f64 v[3:4], v[5:6], v[37:38], v[3:4]
	v_add_f64 v[25:26], v[3:4], v[51:52]
	s_cbranch_vccnz .LBB1681_10
.LBB1681_3:                             ; =>This Inner Loop Header: Depth=1
	v_mov_b32_e32 v4, s7
	v_add_co_u32_e32 v3, vcc, s6, v29
	v_addc_co_u32_e32 v4, vcc, 0, v4, vcc
	v_cmp_le_i64_e32 vcc, s[12:13], v[3:4]
	s_or_b64 s[10:11], s[8:9], vcc
	s_and_saveexec_b64 s[18:19], s[10:11]
	s_xor_b64 s[10:11], exec, s[18:19]
; %bb.4:                                ;   in Loop: Header=BB1681_3 Depth=1
	v_mov_b32_e32 v3, v2
	v_mov_b32_e32 v4, v2
	v_mov_b32_e32 v5, v2
	ds_write_b128 v31, v[2:5]
; %bb.5:                                ;   in Loop: Header=BB1681_3 Depth=1
	s_andn2_saveexec_b64 s[10:11], s[10:11]
	s_cbranch_execz .LBB1681_7
; %bb.6:                                ;   in Loop: Header=BB1681_3 Depth=1
	flat_load_dwordx4 v[3:6], v[7:8]
	s_waitcnt vmcnt(0) lgkmcnt(0)
	ds_write2_b64 v31, v[3:4], v[5:6] offset1:1
.LBB1681_7:                             ;   in Loop: Header=BB1681_3 Depth=1
	s_or_b64 exec, exec, s[10:11]
	v_mov_b32_e32 v4, s7
	v_add_co_u32_e32 v3, vcc, s6, v30
	v_addc_co_u32_e32 v4, vcc, 0, v4, vcc
	v_cmp_gt_i64_e32 vcc, s[12:13], v[3:4]
	v_mov_b32_e32 v3, 0
	v_mov_b32_e32 v5, 0
	;; [unrolled: 1-line block ×4, first 2 shown]
	s_and_b64 s[18:19], vcc, s[0:1]
	s_and_saveexec_b64 s[10:11], s[18:19]
	s_cbranch_execz .LBB1681_2
; %bb.8:                                ;   in Loop: Header=BB1681_3 Depth=1
	flat_load_dwordx4 v[3:6], v[9:10]
	s_branch .LBB1681_2
.LBB1681_9:
	v_mov_b32_e32 v19, 0
	v_mov_b32_e32 v23, 0
	;; [unrolled: 1-line block ×16, first 2 shown]
.LBB1681_10:
	v_add_u32_e32 v4, s28, v1
	v_ashrrev_i32_e32 v1, 31, v4
	v_mul_lo_u32 v3, s22, v1
	v_mul_lo_u32 v5, s23, v4
	v_mad_u64_u32 v[1:2], s[0:1], s22, v4, 0
	v_add_u32_e32 v0, s27, v0
	v_cmp_le_i32_e64 s[0:1], v4, v0
	v_add3_u32 v2, v2, v3, v5
	v_lshlrev_b64 v[1:2], 4, v[1:2]
	s_waitcnt lgkmcnt(0)
	v_mov_b32_e32 v3, s21
	v_add_co_u32_e32 v5, vcc, s20, v1
	v_addc_co_u32_e32 v6, vcc, v3, v2, vcc
	v_cmp_gt_i32_e32 vcc, s26, v0
	s_and_b64 s[0:1], s[0:1], vcc
	s_and_saveexec_b64 s[2:3], s[0:1]
	s_cbranch_execz .LBB1681_12
; %bb.11:
	v_mul_f64 v[1:2], s[16:17], v[23:24]
	v_mul_f64 v[9:10], s[14:15], v[23:24]
	v_fma_f64 v[7:8], s[14:15], v[19:20], -v[1:2]
	v_fma_f64 v[9:10], s[16:17], v[19:20], v[9:10]
	v_ashrrev_i32_e32 v1, 31, v0
	v_lshlrev_b64 v[1:2], 4, v[0:1]
	v_add_co_u32_e64 v1, s[0:1], v5, v1
	v_addc_co_u32_e64 v2, s[0:1], v6, v2, s[0:1]
	flat_store_dwordx4 v[1:2], v[7:10]
.LBB1681_12:
	s_or_b64 exec, exec, s[2:3]
	v_add_u32_e32 v2, 16, v0
	v_cmp_le_i32_e64 s[2:3], v4, v2
	v_cmp_gt_i32_e64 s[0:1], s26, v2
	s_and_b64 s[2:3], s[2:3], s[0:1]
	s_and_saveexec_b64 s[4:5], s[2:3]
	s_cbranch_execz .LBB1681_14
; %bb.13:
	v_mul_f64 v[7:8], s[16:17], v[15:16]
	v_mul_f64 v[9:10], s[14:15], v[15:16]
	v_ashrrev_i32_e32 v3, 31, v2
	v_lshlrev_b64 v[11:12], 4, v[2:3]
	v_add_co_u32_e64 v5, s[2:3], v5, v11
	v_addc_co_u32_e64 v6, s[2:3], v6, v12, s[2:3]
	v_fma_f64 v[7:8], s[14:15], v[13:14], -v[7:8]
	v_fma_f64 v[9:10], s[16:17], v[13:14], v[9:10]
	flat_store_dwordx4 v[5:6], v[7:10]
.LBB1681_14:
	s_or_b64 exec, exec, s[4:5]
	v_add_u32_e32 v3, 16, v4
	v_ashrrev_i32_e32 v1, 31, v3
	v_mul_lo_u32 v6, s23, v3
	v_mad_u64_u32 v[4:5], s[2:3], s22, v3, 0
	v_mul_lo_u32 v1, s22, v1
	v_add3_u32 v5, v5, v1, v6
	v_lshlrev_b64 v[4:5], 4, v[4:5]
	v_mov_b32_e32 v1, s21
	v_add_co_u32_e64 v4, s[2:3], s20, v4
	v_addc_co_u32_e64 v5, s[2:3], v1, v5, s[2:3]
	v_cmp_le_i32_e64 s[2:3], v3, v0
	s_and_b64 s[4:5], s[2:3], vcc
	s_and_saveexec_b64 s[2:3], s[4:5]
	s_cbranch_execz .LBB1681_16
; %bb.15:
	v_mul_f64 v[6:7], s[16:17], v[21:22]
	v_mul_f64 v[8:9], s[14:15], v[21:22]
	v_ashrrev_i32_e32 v1, 31, v0
	v_lshlrev_b64 v[0:1], 4, v[0:1]
	v_add_co_u32_e32 v0, vcc, v4, v0
	v_addc_co_u32_e32 v1, vcc, v5, v1, vcc
	v_fma_f64 v[6:7], s[14:15], v[17:18], -v[6:7]
	v_fma_f64 v[8:9], s[16:17], v[17:18], v[8:9]
	flat_store_dwordx4 v[0:1], v[6:9]
.LBB1681_16:
	s_or_b64 exec, exec, s[2:3]
	v_cmp_le_i32_e32 vcc, v3, v2
	s_and_b64 s[0:1], vcc, s[0:1]
	s_and_saveexec_b64 s[2:3], s[0:1]
	s_cbranch_execz .LBB1681_18
; %bb.17:
	v_mul_f64 v[0:1], s[16:17], v[25:26]
	v_mul_f64 v[8:9], s[14:15], v[25:26]
	v_ashrrev_i32_e32 v3, 31, v2
	v_fma_f64 v[6:7], s[14:15], v[27:28], -v[0:1]
	v_fma_f64 v[8:9], s[16:17], v[27:28], v[8:9]
	v_lshlrev_b64 v[0:1], 4, v[2:3]
	v_add_co_u32_e32 v0, vcc, v4, v0
	v_addc_co_u32_e32 v1, vcc, v5, v1, vcc
	flat_store_dwordx4 v[0:1], v[6:9]
.LBB1681_18:
	s_endpgm
	.section	.rodata,"a",@progbits
	.p2align	6, 0x0
	.amdhsa_kernel _ZL34rocblas_syrkx_herkx_general_kernelIl19rocblas_complex_numIdELi16ELi32ELi8ELb1ELb0ELc78ELc76EKPKS1_KPS1_EviT_T0_PT8_S7_lSA_S7_lS8_PT9_S7_li
		.amdhsa_group_segment_fixed_size 8192
		.amdhsa_private_segment_fixed_size 0
		.amdhsa_kernarg_size 124
		.amdhsa_user_sgpr_count 6
		.amdhsa_user_sgpr_private_segment_buffer 1
		.amdhsa_user_sgpr_dispatch_ptr 0
		.amdhsa_user_sgpr_queue_ptr 0
		.amdhsa_user_sgpr_kernarg_segment_ptr 1
		.amdhsa_user_sgpr_dispatch_id 0
		.amdhsa_user_sgpr_flat_scratch_init 0
		.amdhsa_user_sgpr_private_segment_size 0
		.amdhsa_uses_dynamic_stack 0
		.amdhsa_system_sgpr_private_segment_wavefront_offset 0
		.amdhsa_system_sgpr_workgroup_id_x 1
		.amdhsa_system_sgpr_workgroup_id_y 1
		.amdhsa_system_sgpr_workgroup_id_z 1
		.amdhsa_system_sgpr_workgroup_info 0
		.amdhsa_system_vgpr_workitem_id 1
		.amdhsa_next_free_vgpr 61
		.amdhsa_next_free_sgpr 61
		.amdhsa_reserve_vcc 1
		.amdhsa_reserve_flat_scratch 0
		.amdhsa_float_round_mode_32 0
		.amdhsa_float_round_mode_16_64 0
		.amdhsa_float_denorm_mode_32 3
		.amdhsa_float_denorm_mode_16_64 3
		.amdhsa_dx10_clamp 1
		.amdhsa_ieee_mode 1
		.amdhsa_fp16_overflow 0
		.amdhsa_exception_fp_ieee_invalid_op 0
		.amdhsa_exception_fp_denorm_src 0
		.amdhsa_exception_fp_ieee_div_zero 0
		.amdhsa_exception_fp_ieee_overflow 0
		.amdhsa_exception_fp_ieee_underflow 0
		.amdhsa_exception_fp_ieee_inexact 0
		.amdhsa_exception_int_div_zero 0
	.end_amdhsa_kernel
	.section	.text._ZL34rocblas_syrkx_herkx_general_kernelIl19rocblas_complex_numIdELi16ELi32ELi8ELb1ELb0ELc78ELc76EKPKS1_KPS1_EviT_T0_PT8_S7_lSA_S7_lS8_PT9_S7_li,"axG",@progbits,_ZL34rocblas_syrkx_herkx_general_kernelIl19rocblas_complex_numIdELi16ELi32ELi8ELb1ELb0ELc78ELc76EKPKS1_KPS1_EviT_T0_PT8_S7_lSA_S7_lS8_PT9_S7_li,comdat
.Lfunc_end1681:
	.size	_ZL34rocblas_syrkx_herkx_general_kernelIl19rocblas_complex_numIdELi16ELi32ELi8ELb1ELb0ELc78ELc76EKPKS1_KPS1_EviT_T0_PT8_S7_lSA_S7_lS8_PT9_S7_li, .Lfunc_end1681-_ZL34rocblas_syrkx_herkx_general_kernelIl19rocblas_complex_numIdELi16ELi32ELi8ELb1ELb0ELc78ELc76EKPKS1_KPS1_EviT_T0_PT8_S7_lSA_S7_lS8_PT9_S7_li
                                        ; -- End function
	.set _ZL34rocblas_syrkx_herkx_general_kernelIl19rocblas_complex_numIdELi16ELi32ELi8ELb1ELb0ELc78ELc76EKPKS1_KPS1_EviT_T0_PT8_S7_lSA_S7_lS8_PT9_S7_li.num_vgpr, 61
	.set _ZL34rocblas_syrkx_herkx_general_kernelIl19rocblas_complex_numIdELi16ELi32ELi8ELb1ELb0ELc78ELc76EKPKS1_KPS1_EviT_T0_PT8_S7_lSA_S7_lS8_PT9_S7_li.num_agpr, 0
	.set _ZL34rocblas_syrkx_herkx_general_kernelIl19rocblas_complex_numIdELi16ELi32ELi8ELb1ELb0ELc78ELc76EKPKS1_KPS1_EviT_T0_PT8_S7_lSA_S7_lS8_PT9_S7_li.numbered_sgpr, 29
	.set _ZL34rocblas_syrkx_herkx_general_kernelIl19rocblas_complex_numIdELi16ELi32ELi8ELb1ELb0ELc78ELc76EKPKS1_KPS1_EviT_T0_PT8_S7_lSA_S7_lS8_PT9_S7_li.num_named_barrier, 0
	.set _ZL34rocblas_syrkx_herkx_general_kernelIl19rocblas_complex_numIdELi16ELi32ELi8ELb1ELb0ELc78ELc76EKPKS1_KPS1_EviT_T0_PT8_S7_lSA_S7_lS8_PT9_S7_li.private_seg_size, 0
	.set _ZL34rocblas_syrkx_herkx_general_kernelIl19rocblas_complex_numIdELi16ELi32ELi8ELb1ELb0ELc78ELc76EKPKS1_KPS1_EviT_T0_PT8_S7_lSA_S7_lS8_PT9_S7_li.uses_vcc, 1
	.set _ZL34rocblas_syrkx_herkx_general_kernelIl19rocblas_complex_numIdELi16ELi32ELi8ELb1ELb0ELc78ELc76EKPKS1_KPS1_EviT_T0_PT8_S7_lSA_S7_lS8_PT9_S7_li.uses_flat_scratch, 0
	.set _ZL34rocblas_syrkx_herkx_general_kernelIl19rocblas_complex_numIdELi16ELi32ELi8ELb1ELb0ELc78ELc76EKPKS1_KPS1_EviT_T0_PT8_S7_lSA_S7_lS8_PT9_S7_li.has_dyn_sized_stack, 0
	.set _ZL34rocblas_syrkx_herkx_general_kernelIl19rocblas_complex_numIdELi16ELi32ELi8ELb1ELb0ELc78ELc76EKPKS1_KPS1_EviT_T0_PT8_S7_lSA_S7_lS8_PT9_S7_li.has_recursion, 0
	.set _ZL34rocblas_syrkx_herkx_general_kernelIl19rocblas_complex_numIdELi16ELi32ELi8ELb1ELb0ELc78ELc76EKPKS1_KPS1_EviT_T0_PT8_S7_lSA_S7_lS8_PT9_S7_li.has_indirect_call, 0
	.section	.AMDGPU.csdata,"",@progbits
; Kernel info:
; codeLenInByte = 3140
; TotalNumSgprs: 33
; NumVgprs: 61
; ScratchSize: 0
; MemoryBound: 1
; FloatMode: 240
; IeeeMode: 1
; LDSByteSize: 8192 bytes/workgroup (compile time only)
; SGPRBlocks: 8
; VGPRBlocks: 15
; NumSGPRsForWavesPerEU: 65
; NumVGPRsForWavesPerEU: 61
; Occupancy: 4
; WaveLimiterHint : 1
; COMPUTE_PGM_RSRC2:SCRATCH_EN: 0
; COMPUTE_PGM_RSRC2:USER_SGPR: 6
; COMPUTE_PGM_RSRC2:TRAP_HANDLER: 0
; COMPUTE_PGM_RSRC2:TGID_X_EN: 1
; COMPUTE_PGM_RSRC2:TGID_Y_EN: 1
; COMPUTE_PGM_RSRC2:TGID_Z_EN: 1
; COMPUTE_PGM_RSRC2:TIDIG_COMP_CNT: 1
	.section	.text._ZL34rocblas_syrkx_herkx_general_kernelIl19rocblas_complex_numIdELi16ELi32ELi8ELb1ELb0ELc84ELc85EKPKS1_KPS1_EviT_T0_PT8_S7_lSA_S7_lS8_PT9_S7_li,"axG",@progbits,_ZL34rocblas_syrkx_herkx_general_kernelIl19rocblas_complex_numIdELi16ELi32ELi8ELb1ELb0ELc84ELc85EKPKS1_KPS1_EviT_T0_PT8_S7_lSA_S7_lS8_PT9_S7_li,comdat
	.globl	_ZL34rocblas_syrkx_herkx_general_kernelIl19rocblas_complex_numIdELi16ELi32ELi8ELb1ELb0ELc84ELc85EKPKS1_KPS1_EviT_T0_PT8_S7_lSA_S7_lS8_PT9_S7_li ; -- Begin function _ZL34rocblas_syrkx_herkx_general_kernelIl19rocblas_complex_numIdELi16ELi32ELi8ELb1ELb0ELc84ELc85EKPKS1_KPS1_EviT_T0_PT8_S7_lSA_S7_lS8_PT9_S7_li
	.p2align	8
	.type	_ZL34rocblas_syrkx_herkx_general_kernelIl19rocblas_complex_numIdELi16ELi32ELi8ELb1ELb0ELc84ELc85EKPKS1_KPS1_EviT_T0_PT8_S7_lSA_S7_lS8_PT9_S7_li,@function
_ZL34rocblas_syrkx_herkx_general_kernelIl19rocblas_complex_numIdELi16ELi32ELi8ELb1ELb0ELc84ELc85EKPKS1_KPS1_EviT_T0_PT8_S7_lSA_S7_lS8_PT9_S7_li: ; @_ZL34rocblas_syrkx_herkx_general_kernelIl19rocblas_complex_numIdELi16ELi32ELi8ELb1ELb0ELc84ELc85EKPKS1_KPS1_EviT_T0_PT8_S7_lSA_S7_lS8_PT9_S7_li
; %bb.0:
	s_load_dwordx2 s[2:3], s[4:5], 0x28
	s_load_dwordx4 s[20:23], s[4:5], 0x60
	s_load_dword s24, s[4:5], 0x0
	s_load_dwordx8 s[12:19], s[4:5], 0x8
	s_mov_b32 s9, 0
	s_lshl_b64 s[0:1], s[8:9], 3
	s_waitcnt lgkmcnt(0)
	s_add_u32 s8, s20, s0
	s_addc_u32 s9, s21, s1
	s_load_dwordx2 s[20:21], s[8:9], 0x0
	v_cmp_lt_i64_e64 s[8:9], s[12:13], 1
	s_lshl_b32 s25, s6, 5
	s_lshl_b32 s26, s7, 5
	s_and_b64 vcc, exec, s[8:9]
	s_cbranch_vccnz .LBB1682_11
; %bb.1:
	v_lshl_add_u32 v2, v1, 4, v0
	v_and_b32_e32 v5, 31, v2
	v_and_b32_e32 v29, 7, v0
	v_lshrrev_b32_e32 v3, 3, v2
	v_lshrrev_b32_e32 v28, 5, v2
	v_lshlrev_b32_e32 v2, 4, v5
	v_lshlrev_b32_e32 v8, 4, v29
	v_lshl_or_b32 v30, v28, 9, v2
	v_lshl_or_b32 v2, v3, 7, v8
	v_add_u32_e32 v31, 0x1000, v2
	v_add_u32_e32 v2, s25, v5
	s_load_dwordx4 s[8:11], s[4:5], 0x38
	v_add_u32_e32 v4, s26, v3
	v_ashrrev_i32_e32 v3, 31, v2
	v_or_b32_e32 v6, s25, v5
	v_mul_lo_u32 v5, s2, v3
	v_mul_lo_u32 v7, s3, v2
	v_mad_u64_u32 v[2:3], s[2:3], s2, v2, 0
	s_waitcnt lgkmcnt(0)
	s_add_u32 s4, s8, s0
	s_addc_u32 s5, s9, s1
	v_add3_u32 v3, v3, v5, v7
	v_lshlrev_b64 v[2:3], 4, v[2:3]
	s_add_u32 s0, s18, s0
	v_lshlrev_b32_e32 v5, 4, v28
	s_addc_u32 s1, s19, s1
	v_cmp_gt_i32_e32 vcc, s24, v6
	v_ashrrev_i32_e32 v6, 31, v4
	v_add_co_u32_e64 v5, s[2:3], v2, v5
	s_load_dwordx2 s[6:7], s[0:1], 0x0
	v_addc_co_u32_e64 v7, s[2:3], 0, v3, s[2:3]
	v_mul_lo_u32 v10, s10, v6
	v_mul_lo_u32 v11, s11, v4
	v_mad_u64_u32 v[2:3], s[2:3], s10, v4, 0
	s_load_dwordx2 s[4:5], s[4:5], 0x0
	v_mov_b32_e32 v9, 0x1000
	v_add3_u32 v3, v3, v10, v11
	v_lshl_add_u32 v33, v1, 7, v9
	s_waitcnt lgkmcnt(0)
	v_mov_b32_e32 v9, s7
	v_add_co_u32_e64 v6, s[2:3], s6, v5
	v_lshlrev_b64 v[2:3], 4, v[2:3]
	v_addc_co_u32_e64 v7, s[2:3], v9, v7, s[2:3]
	v_add_co_u32_e64 v2, s[2:3], v2, v8
	v_addc_co_u32_e64 v3, s[2:3], 0, v3, s[2:3]
	v_cmp_gt_i32_e64 s[0:1], s24, v4
	v_mov_b32_e32 v4, s5
	v_add_co_u32_e64 v8, s[2:3], s4, v2
	v_addc_co_u32_e64 v9, s[2:3], v4, v3, s[2:3]
	v_mov_b32_e32 v24, 0
	v_mov_b32_e32 v10, s12
	v_mov_b32_e32 v26, 0
	v_mov_b32_e32 v18, 0
	v_mov_b32_e32 v16, 0
	v_mov_b32_e32 v14, 0
	v_mov_b32_e32 v12, 0
	v_mov_b32_e32 v22, 0
	v_mov_b32_e32 v20, 0
	v_lshlrev_b32_e32 v32, 4, v0
	s_mov_b64 s[2:3], 0
	v_mov_b32_e32 v25, 0
	s_xor_b64 s[4:5], vcc, -1
	s_xor_b64 s[0:1], s[0:1], -1
	v_mov_b32_e32 v11, s13
	v_mov_b32_e32 v27, 0
	;; [unrolled: 1-line block ×9, first 2 shown]
	s_branch .LBB1682_3
.LBB1682_2:                             ;   in Loop: Header=BB1682_3 Depth=1
	s_or_b64 exec, exec, s[6:7]
	s_waitcnt lgkmcnt(0)
	s_barrier
	ds_read_b128 v[34:37], v33
	ds_read_b128 v[38:41], v33 offset:16
	ds_read_b128 v[42:45], v33 offset:32
	;; [unrolled: 1-line block ×3, first 2 shown]
	ds_read_b128 v[50:53], v32
	v_add_co_u32_e32 v6, vcc, 0x80, v6
	v_addc_co_u32_e32 v7, vcc, 0, v7, vcc
	s_waitcnt lgkmcnt(0)
	v_mul_f64 v[3:4], v[36:37], v[52:53]
	v_mul_f64 v[54:55], v[34:35], v[52:53]
	s_add_u32 s2, s2, 8
	v_add_co_u32_e32 v8, vcc, 0x80, v8
	s_addc_u32 s3, s3, 0
	v_addc_co_u32_e32 v9, vcc, 0, v9, vcc
	v_fma_f64 v[3:4], v[34:35], v[50:51], -v[3:4]
	v_fma_f64 v[54:55], v[36:37], v[50:51], v[54:55]
	v_cmp_ge_i64_e32 vcc, s[2:3], v[10:11]
	s_and_b64 vcc, exec, vcc
	v_add_f64 v[3:4], v[20:21], v[3:4]
	v_add_f64 v[54:55], v[54:55], v[22:23]
	ds_read_b128 v[20:23], v32 offset:256
	s_waitcnt lgkmcnt(0)
	v_mul_f64 v[56:57], v[36:37], v[22:23]
	v_fma_f64 v[56:57], v[34:35], v[20:21], -v[56:57]
	v_mul_f64 v[34:35], v[34:35], v[22:23]
	v_fma_f64 v[34:35], v[36:37], v[20:21], v[34:35]
	v_add_f64 v[36:37], v[12:13], v[56:57]
	v_add_f64 v[34:35], v[34:35], v[14:15]
	ds_read_b128 v[12:15], v33 offset:2048
	s_waitcnt lgkmcnt(0)
	v_mul_f64 v[56:57], v[14:15], v[52:53]
	v_mul_f64 v[52:53], v[12:13], v[52:53]
	v_fma_f64 v[56:57], v[12:13], v[50:51], -v[56:57]
	v_fma_f64 v[50:51], v[14:15], v[50:51], v[52:53]
	v_add_f64 v[52:53], v[16:17], v[56:57]
	v_mul_f64 v[16:17], v[14:15], v[22:23]
	v_add_f64 v[50:51], v[50:51], v[18:19]
	v_fma_f64 v[16:17], v[12:13], v[20:21], -v[16:17]
	v_mul_f64 v[12:13], v[12:13], v[22:23]
	v_add_f64 v[26:27], v[26:27], v[16:17]
	v_fma_f64 v[12:13], v[14:15], v[20:21], v[12:13]
	v_add_f64 v[24:25], v[12:13], v[24:25]
	ds_read_b128 v[12:15], v32 offset:512
	s_waitcnt lgkmcnt(0)
	v_mul_f64 v[16:17], v[40:41], v[14:15]
	v_mul_f64 v[18:19], v[38:39], v[14:15]
	v_fma_f64 v[16:17], v[38:39], v[12:13], -v[16:17]
	v_fma_f64 v[18:19], v[40:41], v[12:13], v[18:19]
	v_add_f64 v[3:4], v[3:4], v[16:17]
	v_add_f64 v[54:55], v[18:19], v[54:55]
	ds_read_b128 v[16:19], v32 offset:768
	s_waitcnt lgkmcnt(0)
	v_mul_f64 v[20:21], v[40:41], v[18:19]
	v_mul_f64 v[22:23], v[38:39], v[18:19]
	v_fma_f64 v[20:21], v[38:39], v[16:17], -v[20:21]
	v_fma_f64 v[22:23], v[40:41], v[16:17], v[22:23]
	v_add_f64 v[36:37], v[36:37], v[20:21]
	v_add_f64 v[34:35], v[22:23], v[34:35]
	ds_read_b128 v[20:23], v33 offset:2064
	s_waitcnt lgkmcnt(0)
	v_mul_f64 v[38:39], v[22:23], v[14:15]
	v_mul_f64 v[14:15], v[20:21], v[14:15]
	v_fma_f64 v[38:39], v[20:21], v[12:13], -v[38:39]
	v_fma_f64 v[12:13], v[22:23], v[12:13], v[14:15]
	v_mul_f64 v[14:15], v[20:21], v[18:19]
	v_add_f64 v[38:39], v[52:53], v[38:39]
	v_add_f64 v[40:41], v[12:13], v[50:51]
	v_mul_f64 v[12:13], v[22:23], v[18:19]
	v_fma_f64 v[14:15], v[22:23], v[16:17], v[14:15]
	v_fma_f64 v[12:13], v[20:21], v[16:17], -v[12:13]
	v_add_f64 v[24:25], v[14:15], v[24:25]
	v_add_f64 v[26:27], v[26:27], v[12:13]
	ds_read_b128 v[12:15], v32 offset:1024
	s_waitcnt lgkmcnt(0)
	v_mul_f64 v[16:17], v[44:45], v[14:15]
	v_mul_f64 v[18:19], v[42:43], v[14:15]
	v_fma_f64 v[16:17], v[42:43], v[12:13], -v[16:17]
	v_fma_f64 v[18:19], v[44:45], v[12:13], v[18:19]
	v_add_f64 v[3:4], v[3:4], v[16:17]
	v_add_f64 v[50:51], v[18:19], v[54:55]
	ds_read_b128 v[16:19], v32 offset:1280
	s_waitcnt lgkmcnt(0)
	v_mul_f64 v[20:21], v[44:45], v[18:19]
	v_mul_f64 v[22:23], v[42:43], v[18:19]
	v_fma_f64 v[20:21], v[42:43], v[16:17], -v[20:21]
	v_fma_f64 v[22:23], v[44:45], v[16:17], v[22:23]
	v_add_f64 v[36:37], v[36:37], v[20:21]
	v_add_f64 v[34:35], v[22:23], v[34:35]
	ds_read_b128 v[20:23], v33 offset:2080
	s_waitcnt lgkmcnt(0)
	v_mul_f64 v[42:43], v[22:23], v[14:15]
	v_mul_f64 v[14:15], v[20:21], v[14:15]
	v_fma_f64 v[42:43], v[20:21], v[12:13], -v[42:43]
	v_fma_f64 v[12:13], v[22:23], v[12:13], v[14:15]
	v_mul_f64 v[14:15], v[20:21], v[18:19]
	v_add_f64 v[38:39], v[38:39], v[42:43]
	v_add_f64 v[40:41], v[12:13], v[40:41]
	v_mul_f64 v[12:13], v[22:23], v[18:19]
	v_fma_f64 v[14:15], v[22:23], v[16:17], v[14:15]
	v_fma_f64 v[12:13], v[20:21], v[16:17], -v[12:13]
	v_add_f64 v[24:25], v[14:15], v[24:25]
	;; [unrolled: 30-line block ×3, first 2 shown]
	v_add_f64 v[26:27], v[26:27], v[12:13]
	ds_read_b128 v[12:15], v33 offset:64
	ds_read_b128 v[16:19], v32 offset:2048
	s_waitcnt lgkmcnt(0)
	v_mul_f64 v[20:21], v[14:15], v[18:19]
	v_mul_f64 v[22:23], v[12:13], v[18:19]
	v_fma_f64 v[20:21], v[12:13], v[16:17], -v[20:21]
	v_fma_f64 v[22:23], v[14:15], v[16:17], v[22:23]
	v_add_f64 v[3:4], v[3:4], v[20:21]
	v_add_f64 v[42:43], v[22:23], v[42:43]
	ds_read_b128 v[20:23], v32 offset:2304
	s_waitcnt lgkmcnt(0)
	v_mul_f64 v[44:45], v[14:15], v[22:23]
	v_fma_f64 v[44:45], v[12:13], v[20:21], -v[44:45]
	v_mul_f64 v[12:13], v[12:13], v[22:23]
	v_add_f64 v[36:37], v[36:37], v[44:45]
	v_fma_f64 v[12:13], v[14:15], v[20:21], v[12:13]
	v_add_f64 v[34:35], v[12:13], v[34:35]
	ds_read_b128 v[12:15], v33 offset:2112
	s_waitcnt lgkmcnt(0)
	v_mul_f64 v[44:45], v[14:15], v[18:19]
	v_mul_f64 v[18:19], v[12:13], v[18:19]
	v_fma_f64 v[44:45], v[12:13], v[16:17], -v[44:45]
	v_fma_f64 v[16:17], v[14:15], v[16:17], v[18:19]
	v_add_f64 v[38:39], v[38:39], v[44:45]
	v_add_f64 v[40:41], v[16:17], v[40:41]
	v_mul_f64 v[16:17], v[14:15], v[22:23]
	v_fma_f64 v[16:17], v[12:13], v[20:21], -v[16:17]
	v_mul_f64 v[12:13], v[12:13], v[22:23]
	v_add_f64 v[26:27], v[26:27], v[16:17]
	v_fma_f64 v[12:13], v[14:15], v[20:21], v[12:13]
	v_add_f64 v[24:25], v[12:13], v[24:25]
	ds_read_b128 v[12:15], v33 offset:80
	ds_read_b128 v[16:19], v32 offset:2560
	s_waitcnt lgkmcnt(0)
	v_mul_f64 v[20:21], v[14:15], v[18:19]
	v_mul_f64 v[22:23], v[12:13], v[18:19]
	v_fma_f64 v[20:21], v[12:13], v[16:17], -v[20:21]
	v_fma_f64 v[22:23], v[14:15], v[16:17], v[22:23]
	v_add_f64 v[3:4], v[3:4], v[20:21]
	v_add_f64 v[42:43], v[22:23], v[42:43]
	ds_read_b128 v[20:23], v32 offset:2816
	s_waitcnt lgkmcnt(0)
	v_mul_f64 v[44:45], v[14:15], v[22:23]
	v_fma_f64 v[44:45], v[12:13], v[20:21], -v[44:45]
	v_mul_f64 v[12:13], v[12:13], v[22:23]
	v_add_f64 v[36:37], v[36:37], v[44:45]
	v_fma_f64 v[12:13], v[14:15], v[20:21], v[12:13]
	v_add_f64 v[34:35], v[12:13], v[34:35]
	ds_read_b128 v[12:15], v33 offset:2128
	s_waitcnt lgkmcnt(0)
	v_mul_f64 v[44:45], v[14:15], v[18:19]
	v_mul_f64 v[18:19], v[12:13], v[18:19]
	v_fma_f64 v[44:45], v[12:13], v[16:17], -v[44:45]
	v_fma_f64 v[16:17], v[14:15], v[16:17], v[18:19]
	v_add_f64 v[38:39], v[38:39], v[44:45]
	v_add_f64 v[40:41], v[16:17], v[40:41]
	v_mul_f64 v[16:17], v[14:15], v[22:23]
	v_fma_f64 v[16:17], v[12:13], v[20:21], -v[16:17]
	v_mul_f64 v[12:13], v[12:13], v[22:23]
	v_add_f64 v[26:27], v[26:27], v[16:17]
	v_fma_f64 v[12:13], v[14:15], v[20:21], v[12:13]
	;; [unrolled: 31-line block ×3, first 2 shown]
	v_add_f64 v[46:47], v[12:13], v[24:25]
	ds_read_b128 v[12:15], v33 offset:112
	ds_read_b128 v[16:19], v32 offset:3584
	;; [unrolled: 1-line block ×3, first 2 shown]
	s_waitcnt lgkmcnt(1)
	v_mul_f64 v[20:21], v[14:15], v[18:19]
	v_mul_f64 v[22:23], v[12:13], v[18:19]
	v_fma_f64 v[20:21], v[12:13], v[16:17], -v[20:21]
	v_fma_f64 v[22:23], v[14:15], v[16:17], v[22:23]
	v_add_f64 v[20:21], v[3:4], v[20:21]
	s_waitcnt lgkmcnt(0)
	v_mul_f64 v[3:4], v[14:15], v[26:27]
	v_add_f64 v[22:23], v[22:23], v[42:43]
	v_fma_f64 v[3:4], v[12:13], v[24:25], -v[3:4]
	v_mul_f64 v[12:13], v[12:13], v[26:27]
	v_fma_f64 v[14:15], v[14:15], v[24:25], v[12:13]
	v_add_f64 v[12:13], v[36:37], v[3:4]
	v_add_f64 v[14:15], v[14:15], v[34:35]
	ds_read_b128 v[34:37], v33 offset:2160
	s_waitcnt lgkmcnt(0)
	s_barrier
	v_mul_f64 v[3:4], v[36:37], v[18:19]
	v_mul_f64 v[18:19], v[34:35], v[18:19]
	v_fma_f64 v[3:4], v[34:35], v[16:17], -v[3:4]
	v_fma_f64 v[18:19], v[36:37], v[16:17], v[18:19]
	v_add_f64 v[16:17], v[38:39], v[3:4]
	v_mul_f64 v[3:4], v[36:37], v[26:27]
	v_mul_f64 v[26:27], v[34:35], v[26:27]
	v_add_f64 v[18:19], v[18:19], v[40:41]
	v_fma_f64 v[3:4], v[34:35], v[24:25], -v[3:4]
	v_fma_f64 v[24:25], v[36:37], v[24:25], v[26:27]
	v_add_f64 v[26:27], v[44:45], v[3:4]
	v_add_f64 v[24:25], v[24:25], v[46:47]
	s_cbranch_vccnz .LBB1682_12
.LBB1682_3:                             ; =>This Inner Loop Header: Depth=1
	v_mov_b32_e32 v4, s3
	v_add_co_u32_e32 v3, vcc, s2, v28
	v_addc_co_u32_e32 v4, vcc, 0, v4, vcc
	v_cmp_le_i64_e32 vcc, s[12:13], v[3:4]
	s_or_b64 s[6:7], s[4:5], vcc
	s_and_saveexec_b64 s[8:9], s[6:7]
	s_xor_b64 s[6:7], exec, s[8:9]
; %bb.4:                                ;   in Loop: Header=BB1682_3 Depth=1
	v_mov_b32_e32 v3, v2
	v_mov_b32_e32 v4, v2
	;; [unrolled: 1-line block ×3, first 2 shown]
	ds_write_b128 v30, v[2:5]
; %bb.5:                                ;   in Loop: Header=BB1682_3 Depth=1
	s_andn2_saveexec_b64 s[6:7], s[6:7]
	s_cbranch_execz .LBB1682_7
; %bb.6:                                ;   in Loop: Header=BB1682_3 Depth=1
	flat_load_dwordx4 v[34:37], v[6:7]
	s_waitcnt vmcnt(0) lgkmcnt(0)
	ds_write2_b64 v30, v[34:35], v[36:37] offset1:1
.LBB1682_7:                             ;   in Loop: Header=BB1682_3 Depth=1
	s_or_b64 exec, exec, s[6:7]
	v_mov_b32_e32 v4, s3
	v_add_co_u32_e32 v3, vcc, s2, v29
	v_addc_co_u32_e32 v4, vcc, 0, v4, vcc
	v_cmp_le_i64_e32 vcc, s[12:13], v[3:4]
	s_or_b64 s[6:7], vcc, s[0:1]
	s_and_saveexec_b64 s[8:9], s[6:7]
	s_xor_b64 s[6:7], exec, s[8:9]
; %bb.8:                                ;   in Loop: Header=BB1682_3 Depth=1
	v_mov_b32_e32 v3, v2
	v_mov_b32_e32 v4, v2
	;; [unrolled: 1-line block ×3, first 2 shown]
	ds_write_b128 v31, v[2:5]
; %bb.9:                                ;   in Loop: Header=BB1682_3 Depth=1
	s_andn2_saveexec_b64 s[6:7], s[6:7]
	s_cbranch_execz .LBB1682_2
; %bb.10:                               ;   in Loop: Header=BB1682_3 Depth=1
	flat_load_dwordx4 v[34:37], v[8:9]
	s_waitcnt vmcnt(0) lgkmcnt(0)
	ds_write2_b64 v31, v[34:35], v[36:37] offset1:1
	s_branch .LBB1682_2
.LBB1682_11:
	v_mov_b32_e32 v20, 0
	v_mov_b32_e32 v22, 0
	;; [unrolled: 1-line block ×16, first 2 shown]
.LBB1682_12:
	v_add_u32_e32 v4, s26, v1
	v_ashrrev_i32_e32 v1, 31, v4
	v_mul_lo_u32 v3, s22, v1
	v_mul_lo_u32 v5, s23, v4
	v_mad_u64_u32 v[1:2], s[0:1], s22, v4, 0
	v_add_u32_e32 v0, s25, v0
	v_cmp_gt_i32_e32 vcc, s24, v4
	v_add3_u32 v2, v2, v3, v5
	v_lshlrev_b64 v[1:2], 4, v[1:2]
	s_waitcnt lgkmcnt(0)
	v_mov_b32_e32 v3, s21
	v_add_co_u32_e64 v5, s[0:1], s20, v1
	v_addc_co_u32_e64 v6, s[0:1], v3, v2, s[0:1]
	v_cmp_le_i32_e64 s[0:1], v0, v4
	s_and_b64 s[0:1], vcc, s[0:1]
	s_and_saveexec_b64 s[2:3], s[0:1]
	s_cbranch_execz .LBB1682_14
; %bb.13:
	v_mul_f64 v[1:2], s[16:17], v[22:23]
	v_mul_f64 v[9:10], s[14:15], v[22:23]
	v_fma_f64 v[7:8], s[14:15], v[20:21], -v[1:2]
	v_fma_f64 v[9:10], s[16:17], v[20:21], v[9:10]
	v_ashrrev_i32_e32 v1, 31, v0
	v_lshlrev_b64 v[1:2], 4, v[0:1]
	v_add_co_u32_e64 v1, s[0:1], v5, v1
	v_addc_co_u32_e64 v2, s[0:1], v6, v2, s[0:1]
	flat_store_dwordx4 v[1:2], v[7:10]
.LBB1682_14:
	s_or_b64 exec, exec, s[2:3]
	v_add_u32_e32 v2, 16, v0
	v_cmp_le_i32_e64 s[0:1], v2, v4
	s_and_b64 s[2:3], vcc, s[0:1]
	s_and_saveexec_b64 s[0:1], s[2:3]
	s_cbranch_execz .LBB1682_16
; %bb.15:
	v_mul_f64 v[7:8], s[16:17], v[14:15]
	v_mul_f64 v[9:10], s[14:15], v[14:15]
	v_ashrrev_i32_e32 v3, 31, v2
	v_fma_f64 v[7:8], s[14:15], v[12:13], -v[7:8]
	v_fma_f64 v[9:10], s[16:17], v[12:13], v[9:10]
	v_lshlrev_b64 v[11:12], 4, v[2:3]
	v_add_co_u32_e32 v5, vcc, v5, v11
	v_addc_co_u32_e32 v6, vcc, v6, v12, vcc
	flat_store_dwordx4 v[5:6], v[7:10]
.LBB1682_16:
	s_or_b64 exec, exec, s[0:1]
	v_add_u32_e32 v3, 16, v4
	v_ashrrev_i32_e32 v1, 31, v3
	v_mul_lo_u32 v1, s22, v1
	v_mul_lo_u32 v6, s23, v3
	v_mad_u64_u32 v[4:5], s[0:1], s22, v3, 0
	v_cmp_gt_i32_e32 vcc, s24, v3
	v_add3_u32 v5, v5, v1, v6
	v_lshlrev_b64 v[4:5], 4, v[4:5]
	v_mov_b32_e32 v1, s21
	v_add_co_u32_e64 v4, s[0:1], s20, v4
	v_addc_co_u32_e64 v5, s[0:1], v1, v5, s[0:1]
	v_cmp_le_i32_e64 s[0:1], v0, v3
	s_and_b64 s[0:1], vcc, s[0:1]
	s_and_saveexec_b64 s[2:3], s[0:1]
	s_cbranch_execz .LBB1682_18
; %bb.17:
	v_mul_f64 v[6:7], s[16:17], v[18:19]
	v_mul_f64 v[8:9], s[14:15], v[18:19]
	v_ashrrev_i32_e32 v1, 31, v0
	v_lshlrev_b64 v[0:1], 4, v[0:1]
	v_add_co_u32_e64 v0, s[0:1], v4, v0
	v_addc_co_u32_e64 v1, s[0:1], v5, v1, s[0:1]
	v_fma_f64 v[6:7], s[14:15], v[16:17], -v[6:7]
	v_fma_f64 v[8:9], s[16:17], v[16:17], v[8:9]
	flat_store_dwordx4 v[0:1], v[6:9]
.LBB1682_18:
	s_or_b64 exec, exec, s[2:3]
	v_cmp_le_i32_e64 s[0:1], v2, v3
	s_and_b64 s[0:1], vcc, s[0:1]
	s_and_saveexec_b64 s[2:3], s[0:1]
	s_cbranch_execz .LBB1682_20
; %bb.19:
	v_mul_f64 v[0:1], s[16:17], v[24:25]
	v_mul_f64 v[8:9], s[14:15], v[24:25]
	v_ashrrev_i32_e32 v3, 31, v2
	v_fma_f64 v[6:7], s[14:15], v[26:27], -v[0:1]
	v_fma_f64 v[8:9], s[16:17], v[26:27], v[8:9]
	v_lshlrev_b64 v[0:1], 4, v[2:3]
	v_add_co_u32_e32 v0, vcc, v4, v0
	v_addc_co_u32_e32 v1, vcc, v5, v1, vcc
	flat_store_dwordx4 v[0:1], v[6:9]
.LBB1682_20:
	s_endpgm
	.section	.rodata,"a",@progbits
	.p2align	6, 0x0
	.amdhsa_kernel _ZL34rocblas_syrkx_herkx_general_kernelIl19rocblas_complex_numIdELi16ELi32ELi8ELb1ELb0ELc84ELc85EKPKS1_KPS1_EviT_T0_PT8_S7_lSA_S7_lS8_PT9_S7_li
		.amdhsa_group_segment_fixed_size 8192
		.amdhsa_private_segment_fixed_size 0
		.amdhsa_kernarg_size 124
		.amdhsa_user_sgpr_count 6
		.amdhsa_user_sgpr_private_segment_buffer 1
		.amdhsa_user_sgpr_dispatch_ptr 0
		.amdhsa_user_sgpr_queue_ptr 0
		.amdhsa_user_sgpr_kernarg_segment_ptr 1
		.amdhsa_user_sgpr_dispatch_id 0
		.amdhsa_user_sgpr_flat_scratch_init 0
		.amdhsa_user_sgpr_private_segment_size 0
		.amdhsa_uses_dynamic_stack 0
		.amdhsa_system_sgpr_private_segment_wavefront_offset 0
		.amdhsa_system_sgpr_workgroup_id_x 1
		.amdhsa_system_sgpr_workgroup_id_y 1
		.amdhsa_system_sgpr_workgroup_id_z 1
		.amdhsa_system_sgpr_workgroup_info 0
		.amdhsa_system_vgpr_workitem_id 1
		.amdhsa_next_free_vgpr 58
		.amdhsa_next_free_sgpr 61
		.amdhsa_reserve_vcc 1
		.amdhsa_reserve_flat_scratch 0
		.amdhsa_float_round_mode_32 0
		.amdhsa_float_round_mode_16_64 0
		.amdhsa_float_denorm_mode_32 3
		.amdhsa_float_denorm_mode_16_64 3
		.amdhsa_dx10_clamp 1
		.amdhsa_ieee_mode 1
		.amdhsa_fp16_overflow 0
		.amdhsa_exception_fp_ieee_invalid_op 0
		.amdhsa_exception_fp_denorm_src 0
		.amdhsa_exception_fp_ieee_div_zero 0
		.amdhsa_exception_fp_ieee_overflow 0
		.amdhsa_exception_fp_ieee_underflow 0
		.amdhsa_exception_fp_ieee_inexact 0
		.amdhsa_exception_int_div_zero 0
	.end_amdhsa_kernel
	.section	.text._ZL34rocblas_syrkx_herkx_general_kernelIl19rocblas_complex_numIdELi16ELi32ELi8ELb1ELb0ELc84ELc85EKPKS1_KPS1_EviT_T0_PT8_S7_lSA_S7_lS8_PT9_S7_li,"axG",@progbits,_ZL34rocblas_syrkx_herkx_general_kernelIl19rocblas_complex_numIdELi16ELi32ELi8ELb1ELb0ELc84ELc85EKPKS1_KPS1_EviT_T0_PT8_S7_lSA_S7_lS8_PT9_S7_li,comdat
.Lfunc_end1682:
	.size	_ZL34rocblas_syrkx_herkx_general_kernelIl19rocblas_complex_numIdELi16ELi32ELi8ELb1ELb0ELc84ELc85EKPKS1_KPS1_EviT_T0_PT8_S7_lSA_S7_lS8_PT9_S7_li, .Lfunc_end1682-_ZL34rocblas_syrkx_herkx_general_kernelIl19rocblas_complex_numIdELi16ELi32ELi8ELb1ELb0ELc84ELc85EKPKS1_KPS1_EviT_T0_PT8_S7_lSA_S7_lS8_PT9_S7_li
                                        ; -- End function
	.set _ZL34rocblas_syrkx_herkx_general_kernelIl19rocblas_complex_numIdELi16ELi32ELi8ELb1ELb0ELc84ELc85EKPKS1_KPS1_EviT_T0_PT8_S7_lSA_S7_lS8_PT9_S7_li.num_vgpr, 58
	.set _ZL34rocblas_syrkx_herkx_general_kernelIl19rocblas_complex_numIdELi16ELi32ELi8ELb1ELb0ELc84ELc85EKPKS1_KPS1_EviT_T0_PT8_S7_lSA_S7_lS8_PT9_S7_li.num_agpr, 0
	.set _ZL34rocblas_syrkx_herkx_general_kernelIl19rocblas_complex_numIdELi16ELi32ELi8ELb1ELb0ELc84ELc85EKPKS1_KPS1_EviT_T0_PT8_S7_lSA_S7_lS8_PT9_S7_li.numbered_sgpr, 27
	.set _ZL34rocblas_syrkx_herkx_general_kernelIl19rocblas_complex_numIdELi16ELi32ELi8ELb1ELb0ELc84ELc85EKPKS1_KPS1_EviT_T0_PT8_S7_lSA_S7_lS8_PT9_S7_li.num_named_barrier, 0
	.set _ZL34rocblas_syrkx_herkx_general_kernelIl19rocblas_complex_numIdELi16ELi32ELi8ELb1ELb0ELc84ELc85EKPKS1_KPS1_EviT_T0_PT8_S7_lSA_S7_lS8_PT9_S7_li.private_seg_size, 0
	.set _ZL34rocblas_syrkx_herkx_general_kernelIl19rocblas_complex_numIdELi16ELi32ELi8ELb1ELb0ELc84ELc85EKPKS1_KPS1_EviT_T0_PT8_S7_lSA_S7_lS8_PT9_S7_li.uses_vcc, 1
	.set _ZL34rocblas_syrkx_herkx_general_kernelIl19rocblas_complex_numIdELi16ELi32ELi8ELb1ELb0ELc84ELc85EKPKS1_KPS1_EviT_T0_PT8_S7_lSA_S7_lS8_PT9_S7_li.uses_flat_scratch, 0
	.set _ZL34rocblas_syrkx_herkx_general_kernelIl19rocblas_complex_numIdELi16ELi32ELi8ELb1ELb0ELc84ELc85EKPKS1_KPS1_EviT_T0_PT8_S7_lSA_S7_lS8_PT9_S7_li.has_dyn_sized_stack, 0
	.set _ZL34rocblas_syrkx_herkx_general_kernelIl19rocblas_complex_numIdELi16ELi32ELi8ELb1ELb0ELc84ELc85EKPKS1_KPS1_EviT_T0_PT8_S7_lSA_S7_lS8_PT9_S7_li.has_recursion, 0
	.set _ZL34rocblas_syrkx_herkx_general_kernelIl19rocblas_complex_numIdELi16ELi32ELi8ELb1ELb0ELc84ELc85EKPKS1_KPS1_EviT_T0_PT8_S7_lSA_S7_lS8_PT9_S7_li.has_indirect_call, 0
	.section	.AMDGPU.csdata,"",@progbits
; Kernel info:
; codeLenInByte = 3168
; TotalNumSgprs: 31
; NumVgprs: 58
; ScratchSize: 0
; MemoryBound: 0
; FloatMode: 240
; IeeeMode: 1
; LDSByteSize: 8192 bytes/workgroup (compile time only)
; SGPRBlocks: 8
; VGPRBlocks: 14
; NumSGPRsForWavesPerEU: 65
; NumVGPRsForWavesPerEU: 58
; Occupancy: 4
; WaveLimiterHint : 1
; COMPUTE_PGM_RSRC2:SCRATCH_EN: 0
; COMPUTE_PGM_RSRC2:USER_SGPR: 6
; COMPUTE_PGM_RSRC2:TRAP_HANDLER: 0
; COMPUTE_PGM_RSRC2:TGID_X_EN: 1
; COMPUTE_PGM_RSRC2:TGID_Y_EN: 1
; COMPUTE_PGM_RSRC2:TGID_Z_EN: 1
; COMPUTE_PGM_RSRC2:TIDIG_COMP_CNT: 1
	.section	.text._ZL34rocblas_syrkx_herkx_general_kernelIl19rocblas_complex_numIdELi16ELi32ELi8ELb1ELb0ELc67ELc85EKPKS1_KPS1_EviT_T0_PT8_S7_lSA_S7_lS8_PT9_S7_li,"axG",@progbits,_ZL34rocblas_syrkx_herkx_general_kernelIl19rocblas_complex_numIdELi16ELi32ELi8ELb1ELb0ELc67ELc85EKPKS1_KPS1_EviT_T0_PT8_S7_lSA_S7_lS8_PT9_S7_li,comdat
	.globl	_ZL34rocblas_syrkx_herkx_general_kernelIl19rocblas_complex_numIdELi16ELi32ELi8ELb1ELb0ELc67ELc85EKPKS1_KPS1_EviT_T0_PT8_S7_lSA_S7_lS8_PT9_S7_li ; -- Begin function _ZL34rocblas_syrkx_herkx_general_kernelIl19rocblas_complex_numIdELi16ELi32ELi8ELb1ELb0ELc67ELc85EKPKS1_KPS1_EviT_T0_PT8_S7_lSA_S7_lS8_PT9_S7_li
	.p2align	8
	.type	_ZL34rocblas_syrkx_herkx_general_kernelIl19rocblas_complex_numIdELi16ELi32ELi8ELb1ELb0ELc67ELc85EKPKS1_KPS1_EviT_T0_PT8_S7_lSA_S7_lS8_PT9_S7_li,@function
_ZL34rocblas_syrkx_herkx_general_kernelIl19rocblas_complex_numIdELi16ELi32ELi8ELb1ELb0ELc67ELc85EKPKS1_KPS1_EviT_T0_PT8_S7_lSA_S7_lS8_PT9_S7_li: ; @_ZL34rocblas_syrkx_herkx_general_kernelIl19rocblas_complex_numIdELi16ELi32ELi8ELb1ELb0ELc67ELc85EKPKS1_KPS1_EviT_T0_PT8_S7_lSA_S7_lS8_PT9_S7_li
; %bb.0:
	s_load_dwordx2 s[2:3], s[4:5], 0x28
	s_load_dwordx4 s[20:23], s[4:5], 0x60
	s_load_dword s24, s[4:5], 0x0
	s_load_dwordx8 s[12:19], s[4:5], 0x8
	s_mov_b32 s9, 0
	s_lshl_b64 s[0:1], s[8:9], 3
	s_waitcnt lgkmcnt(0)
	s_add_u32 s8, s20, s0
	s_addc_u32 s9, s21, s1
	s_load_dwordx2 s[20:21], s[8:9], 0x0
	v_cmp_lt_i64_e64 s[8:9], s[12:13], 1
	s_lshl_b32 s25, s6, 5
	s_lshl_b32 s26, s7, 5
	s_and_b64 vcc, exec, s[8:9]
	s_cbranch_vccnz .LBB1683_9
; %bb.1:
	s_load_dwordx4 s[8:11], s[4:5], 0x38
	v_lshl_add_u32 v2, v1, 4, v0
	v_and_b32_e32 v5, 31, v2
	v_or_b32_e32 v6, s25, v5
	v_and_b32_e32 v30, 7, v0
	s_waitcnt lgkmcnt(0)
	s_add_u32 s4, s8, s0
	s_addc_u32 s5, s9, s1
	s_add_u32 s0, s18, s0
	s_addc_u32 s1, s19, s1
	v_lshrrev_b32_e32 v3, 3, v2
	v_lshrrev_b32_e32 v29, 5, v2
	s_load_dwordx2 s[6:7], s[0:1], 0x0
	v_cmp_gt_i32_e64 s[0:1], s24, v6
	v_lshlrev_b32_e32 v2, 4, v5
	v_lshlrev_b32_e32 v6, 4, v30
	v_lshl_or_b32 v31, v29, 9, v2
	v_lshl_or_b32 v2, v3, 7, v6
	v_add_u32_e32 v32, 0x1000, v2
	v_add_u32_e32 v2, s25, v5
	v_add_u32_e32 v4, s26, v3
	v_ashrrev_i32_e32 v3, 31, v2
	v_mul_lo_u32 v5, s2, v3
	v_mul_lo_u32 v8, s3, v2
	v_mad_u64_u32 v[2:3], s[2:3], s2, v2, 0
	v_ashrrev_i32_e32 v7, 31, v4
	v_mul_lo_u32 v10, s10, v7
	v_add3_u32 v3, v3, v5, v8
	v_lshlrev_b64 v[2:3], 4, v[2:3]
	v_lshlrev_b32_e32 v5, 4, v29
	v_add_co_u32_e64 v5, s[2:3], v2, v5
	v_addc_co_u32_e64 v8, s[2:3], 0, v3, s[2:3]
	v_mul_lo_u32 v11, s11, v4
	v_mad_u64_u32 v[2:3], s[2:3], s10, v4, 0
	s_load_dwordx2 s[4:5], s[4:5], 0x0
	v_mov_b32_e32 v9, 0x1000
	v_add3_u32 v3, v3, v10, v11
	v_lshl_add_u32 v34, v1, 7, v9
	s_waitcnt lgkmcnt(0)
	v_mov_b32_e32 v9, s7
	v_add_co_u32_e64 v7, s[2:3], s6, v5
	v_lshlrev_b64 v[2:3], 4, v[2:3]
	v_addc_co_u32_e64 v8, s[2:3], v9, v8, s[2:3]
	v_add_co_u32_e64 v2, s[2:3], v2, v6
	v_addc_co_u32_e64 v3, s[2:3], 0, v3, s[2:3]
	v_cmp_gt_i32_e32 vcc, s24, v4
	v_mov_b32_e32 v4, s5
	v_add_co_u32_e64 v9, s[2:3], s4, v2
	v_addc_co_u32_e64 v10, s[2:3], v4, v3, s[2:3]
	v_mov_b32_e32 v25, 0
	v_mov_b32_e32 v11, s12
	;; [unrolled: 1-line block ×9, first 2 shown]
	v_lshlrev_b32_e32 v33, 4, v0
	s_mov_b64 s[2:3], 0
	v_mov_b32_e32 v26, 0
	s_xor_b64 s[4:5], vcc, -1
	v_mov_b32_e32 v12, s13
	v_mov_b32_e32 v28, 0
	;; [unrolled: 1-line block ×9, first 2 shown]
	s_branch .LBB1683_3
.LBB1683_2:                             ;   in Loop: Header=BB1683_3 Depth=1
	s_or_b64 exec, exec, s[6:7]
	s_waitcnt lgkmcnt(0)
	s_barrier
	ds_read_b128 v[3:6], v34
	ds_read_b128 v[35:38], v34 offset:16
	ds_read_b128 v[39:42], v34 offset:32
	;; [unrolled: 1-line block ×3, first 2 shown]
	ds_read_b128 v[47:50], v33
	v_add_co_u32_e32 v7, vcc, 0x80, v7
	v_addc_co_u32_e32 v8, vcc, 0, v8, vcc
	s_waitcnt lgkmcnt(0)
	v_mul_f64 v[51:52], v[5:6], v[49:50]
	v_mul_f64 v[53:54], v[3:4], v[49:50]
	s_add_u32 s2, s2, 8
	v_add_co_u32_e32 v9, vcc, 0x80, v9
	s_addc_u32 s3, s3, 0
	v_addc_co_u32_e32 v10, vcc, 0, v10, vcc
	v_fma_f64 v[51:52], v[3:4], v[47:48], -v[51:52]
	v_fma_f64 v[53:54], v[5:6], v[47:48], v[53:54]
	v_cmp_ge_i64_e32 vcc, s[2:3], v[11:12]
	s_and_b64 vcc, exec, vcc
	v_add_f64 v[51:52], v[21:22], v[51:52]
	v_add_f64 v[53:54], v[53:54], v[23:24]
	ds_read_b128 v[21:24], v33 offset:256
	s_waitcnt lgkmcnt(0)
	v_mul_f64 v[55:56], v[5:6], v[23:24]
	v_fma_f64 v[55:56], v[3:4], v[21:22], -v[55:56]
	v_mul_f64 v[3:4], v[3:4], v[23:24]
	v_add_f64 v[55:56], v[13:14], v[55:56]
	v_fma_f64 v[3:4], v[5:6], v[21:22], v[3:4]
	v_add_f64 v[57:58], v[3:4], v[15:16]
	ds_read_b128 v[3:6], v34 offset:2048
	s_waitcnt lgkmcnt(0)
	v_mul_f64 v[13:14], v[5:6], v[49:50]
	v_mul_f64 v[15:16], v[3:4], v[49:50]
	v_fma_f64 v[13:14], v[3:4], v[47:48], -v[13:14]
	v_fma_f64 v[15:16], v[5:6], v[47:48], v[15:16]
	v_add_f64 v[47:48], v[17:18], v[13:14]
	v_mul_f64 v[13:14], v[5:6], v[23:24]
	v_add_f64 v[49:50], v[15:16], v[19:20]
	v_fma_f64 v[13:14], v[3:4], v[21:22], -v[13:14]
	v_mul_f64 v[3:4], v[3:4], v[23:24]
	v_fma_f64 v[3:4], v[5:6], v[21:22], v[3:4]
	v_add_f64 v[21:22], v[27:28], v[13:14]
	v_add_f64 v[23:24], v[3:4], v[25:26]
	ds_read_b128 v[3:6], v33 offset:512
	s_waitcnt lgkmcnt(0)
	v_mul_f64 v[13:14], v[37:38], v[5:6]
	v_mul_f64 v[15:16], v[35:36], v[5:6]
	v_fma_f64 v[13:14], v[35:36], v[3:4], -v[13:14]
	v_fma_f64 v[15:16], v[37:38], v[3:4], v[15:16]
	v_add_f64 v[25:26], v[51:52], v[13:14]
	v_add_f64 v[27:28], v[15:16], v[53:54]
	ds_read_b128 v[13:16], v33 offset:768
	s_waitcnt lgkmcnt(0)
	v_mul_f64 v[17:18], v[37:38], v[15:16]
	v_mul_f64 v[19:20], v[35:36], v[15:16]
	v_fma_f64 v[17:18], v[35:36], v[13:14], -v[17:18]
	;; [unrolled: 8-line block ×3, first 2 shown]
	v_fma_f64 v[3:4], v[19:20], v[3:4], v[5:6]
	v_mul_f64 v[5:6], v[17:18], v[15:16]
	v_add_f64 v[47:48], v[47:48], v[51:52]
	v_add_f64 v[49:50], v[3:4], v[49:50]
	v_mul_f64 v[3:4], v[19:20], v[15:16]
	v_fma_f64 v[5:6], v[19:20], v[13:14], v[5:6]
	v_fma_f64 v[3:4], v[17:18], v[13:14], -v[3:4]
	v_add_f64 v[23:24], v[5:6], v[23:24]
	v_add_f64 v[21:22], v[21:22], v[3:4]
	ds_read_b128 v[3:6], v33 offset:1024
	s_waitcnt lgkmcnt(0)
	v_mul_f64 v[13:14], v[41:42], v[5:6]
	v_mul_f64 v[15:16], v[39:40], v[5:6]
	v_fma_f64 v[13:14], v[39:40], v[3:4], -v[13:14]
	v_fma_f64 v[15:16], v[41:42], v[3:4], v[15:16]
	v_add_f64 v[25:26], v[25:26], v[13:14]
	v_add_f64 v[27:28], v[15:16], v[27:28]
	ds_read_b128 v[13:16], v33 offset:1280
	s_waitcnt lgkmcnt(0)
	v_mul_f64 v[17:18], v[41:42], v[15:16]
	v_mul_f64 v[19:20], v[39:40], v[15:16]
	v_fma_f64 v[17:18], v[39:40], v[13:14], -v[17:18]
	v_fma_f64 v[19:20], v[41:42], v[13:14], v[19:20]
	;; [unrolled: 8-line block ×3, first 2 shown]
	v_mul_f64 v[5:6], v[17:18], v[15:16]
	v_add_f64 v[39:40], v[47:48], v[39:40]
	v_add_f64 v[41:42], v[3:4], v[49:50]
	v_mul_f64 v[3:4], v[19:20], v[15:16]
	v_fma_f64 v[5:6], v[19:20], v[13:14], v[5:6]
	v_fma_f64 v[3:4], v[17:18], v[13:14], -v[3:4]
	v_add_f64 v[23:24], v[5:6], v[23:24]
	v_add_f64 v[21:22], v[21:22], v[3:4]
	ds_read_b128 v[3:6], v33 offset:1536
	s_waitcnt lgkmcnt(0)
	v_mul_f64 v[13:14], v[45:46], v[5:6]
	v_mul_f64 v[15:16], v[43:44], v[5:6]
	v_fma_f64 v[13:14], v[43:44], v[3:4], -v[13:14]
	v_fma_f64 v[15:16], v[45:46], v[3:4], v[15:16]
	v_add_f64 v[25:26], v[25:26], v[13:14]
	v_add_f64 v[27:28], v[15:16], v[27:28]
	ds_read_b128 v[13:16], v33 offset:1792
	s_waitcnt lgkmcnt(0)
	v_mul_f64 v[17:18], v[45:46], v[15:16]
	v_mul_f64 v[19:20], v[43:44], v[15:16]
	v_fma_f64 v[17:18], v[43:44], v[13:14], -v[17:18]
	v_fma_f64 v[19:20], v[45:46], v[13:14], v[19:20]
	;; [unrolled: 8-line block ×3, first 2 shown]
	v_mul_f64 v[5:6], v[17:18], v[15:16]
	v_add_f64 v[39:40], v[39:40], v[43:44]
	v_add_f64 v[41:42], v[3:4], v[41:42]
	v_mul_f64 v[3:4], v[19:20], v[15:16]
	v_fma_f64 v[5:6], v[19:20], v[13:14], v[5:6]
	v_fma_f64 v[3:4], v[17:18], v[13:14], -v[3:4]
	v_add_f64 v[23:24], v[5:6], v[23:24]
	v_add_f64 v[21:22], v[21:22], v[3:4]
	ds_read_b128 v[3:6], v34 offset:64
	ds_read_b128 v[13:16], v33 offset:2048
	s_waitcnt lgkmcnt(0)
	v_mul_f64 v[17:18], v[5:6], v[15:16]
	v_mul_f64 v[19:20], v[3:4], v[15:16]
	v_fma_f64 v[17:18], v[3:4], v[13:14], -v[17:18]
	v_fma_f64 v[19:20], v[5:6], v[13:14], v[19:20]
	v_add_f64 v[25:26], v[25:26], v[17:18]
	v_add_f64 v[27:28], v[19:20], v[27:28]
	ds_read_b128 v[17:20], v33 offset:2304
	s_waitcnt lgkmcnt(0)
	v_mul_f64 v[43:44], v[5:6], v[19:20]
	v_fma_f64 v[43:44], v[3:4], v[17:18], -v[43:44]
	v_mul_f64 v[3:4], v[3:4], v[19:20]
	v_add_f64 v[35:36], v[35:36], v[43:44]
	v_fma_f64 v[3:4], v[5:6], v[17:18], v[3:4]
	v_add_f64 v[37:38], v[3:4], v[37:38]
	ds_read_b128 v[3:6], v34 offset:2112
	s_waitcnt lgkmcnt(0)
	v_mul_f64 v[43:44], v[5:6], v[15:16]
	v_mul_f64 v[15:16], v[3:4], v[15:16]
	v_fma_f64 v[43:44], v[3:4], v[13:14], -v[43:44]
	v_fma_f64 v[13:14], v[5:6], v[13:14], v[15:16]
	v_add_f64 v[39:40], v[39:40], v[43:44]
	v_add_f64 v[41:42], v[13:14], v[41:42]
	v_mul_f64 v[13:14], v[5:6], v[19:20]
	v_fma_f64 v[13:14], v[3:4], v[17:18], -v[13:14]
	v_mul_f64 v[3:4], v[3:4], v[19:20]
	v_add_f64 v[21:22], v[21:22], v[13:14]
	v_fma_f64 v[3:4], v[5:6], v[17:18], v[3:4]
	v_add_f64 v[23:24], v[3:4], v[23:24]
	ds_read_b128 v[3:6], v34 offset:80
	ds_read_b128 v[13:16], v33 offset:2560
	s_waitcnt lgkmcnt(0)
	v_mul_f64 v[17:18], v[5:6], v[15:16]
	v_mul_f64 v[19:20], v[3:4], v[15:16]
	v_fma_f64 v[17:18], v[3:4], v[13:14], -v[17:18]
	v_fma_f64 v[19:20], v[5:6], v[13:14], v[19:20]
	v_add_f64 v[25:26], v[25:26], v[17:18]
	v_add_f64 v[27:28], v[19:20], v[27:28]
	ds_read_b128 v[17:20], v33 offset:2816
	s_waitcnt lgkmcnt(0)
	v_mul_f64 v[43:44], v[5:6], v[19:20]
	v_fma_f64 v[43:44], v[3:4], v[17:18], -v[43:44]
	v_mul_f64 v[3:4], v[3:4], v[19:20]
	v_add_f64 v[35:36], v[35:36], v[43:44]
	v_fma_f64 v[3:4], v[5:6], v[17:18], v[3:4]
	v_add_f64 v[37:38], v[3:4], v[37:38]
	ds_read_b128 v[3:6], v34 offset:2128
	s_waitcnt lgkmcnt(0)
	v_mul_f64 v[43:44], v[5:6], v[15:16]
	v_mul_f64 v[15:16], v[3:4], v[15:16]
	v_fma_f64 v[43:44], v[3:4], v[13:14], -v[43:44]
	v_fma_f64 v[13:14], v[5:6], v[13:14], v[15:16]
	v_add_f64 v[39:40], v[39:40], v[43:44]
	v_add_f64 v[41:42], v[13:14], v[41:42]
	v_mul_f64 v[13:14], v[5:6], v[19:20]
	v_fma_f64 v[13:14], v[3:4], v[17:18], -v[13:14]
	v_mul_f64 v[3:4], v[3:4], v[19:20]
	v_add_f64 v[21:22], v[21:22], v[13:14]
	v_fma_f64 v[3:4], v[5:6], v[17:18], v[3:4]
	v_add_f64 v[23:24], v[3:4], v[23:24]
	ds_read_b128 v[3:6], v34 offset:96
	ds_read_b128 v[13:16], v33 offset:3072
	s_waitcnt lgkmcnt(0)
	v_mul_f64 v[17:18], v[5:6], v[15:16]
	v_mul_f64 v[19:20], v[3:4], v[15:16]
	v_fma_f64 v[17:18], v[3:4], v[13:14], -v[17:18]
	v_fma_f64 v[19:20], v[5:6], v[13:14], v[19:20]
	v_add_f64 v[25:26], v[25:26], v[17:18]
	v_add_f64 v[27:28], v[19:20], v[27:28]
	ds_read_b128 v[17:20], v33 offset:3328
	s_waitcnt lgkmcnt(0)
	v_mul_f64 v[43:44], v[5:6], v[19:20]
	v_fma_f64 v[43:44], v[3:4], v[17:18], -v[43:44]
	v_mul_f64 v[3:4], v[3:4], v[19:20]
	v_add_f64 v[35:36], v[35:36], v[43:44]
	v_fma_f64 v[3:4], v[5:6], v[17:18], v[3:4]
	v_add_f64 v[37:38], v[3:4], v[37:38]
	ds_read_b128 v[3:6], v34 offset:2144
	s_waitcnt lgkmcnt(0)
	v_mul_f64 v[43:44], v[5:6], v[15:16]
	v_mul_f64 v[15:16], v[3:4], v[15:16]
	v_fma_f64 v[43:44], v[3:4], v[13:14], -v[43:44]
	v_fma_f64 v[13:14], v[5:6], v[13:14], v[15:16]
	v_add_f64 v[39:40], v[39:40], v[43:44]
	v_add_f64 v[41:42], v[13:14], v[41:42]
	v_mul_f64 v[13:14], v[5:6], v[19:20]
	v_fma_f64 v[13:14], v[3:4], v[17:18], -v[13:14]
	v_mul_f64 v[3:4], v[3:4], v[19:20]
	v_add_f64 v[43:44], v[21:22], v[13:14]
	v_fma_f64 v[3:4], v[5:6], v[17:18], v[3:4]
	v_add_f64 v[45:46], v[3:4], v[23:24]
	ds_read_b128 v[3:6], v34 offset:112
	ds_read_b128 v[17:20], v33 offset:3584
	s_waitcnt lgkmcnt(0)
	v_mul_f64 v[13:14], v[5:6], v[19:20]
	v_mul_f64 v[15:16], v[3:4], v[19:20]
	v_fma_f64 v[13:14], v[3:4], v[17:18], -v[13:14]
	v_fma_f64 v[15:16], v[5:6], v[17:18], v[15:16]
	v_add_f64 v[21:22], v[25:26], v[13:14]
	v_add_f64 v[23:24], v[15:16], v[27:28]
	ds_read_b128 v[25:28], v33 offset:3840
	s_waitcnt lgkmcnt(0)
	v_mul_f64 v[13:14], v[5:6], v[27:28]
	v_fma_f64 v[13:14], v[3:4], v[25:26], -v[13:14]
	v_mul_f64 v[3:4], v[3:4], v[27:28]
	v_add_f64 v[13:14], v[35:36], v[13:14]
	v_fma_f64 v[3:4], v[5:6], v[25:26], v[3:4]
	v_add_f64 v[15:16], v[3:4], v[37:38]
	ds_read_b128 v[3:6], v34 offset:2160
	s_waitcnt lgkmcnt(0)
	s_barrier
	v_mul_f64 v[35:36], v[5:6], v[19:20]
	v_mul_f64 v[19:20], v[3:4], v[19:20]
	v_fma_f64 v[35:36], v[3:4], v[17:18], -v[35:36]
	v_fma_f64 v[19:20], v[5:6], v[17:18], v[19:20]
	v_add_f64 v[17:18], v[39:40], v[35:36]
	v_mul_f64 v[35:36], v[5:6], v[27:28]
	v_add_f64 v[19:20], v[19:20], v[41:42]
	v_fma_f64 v[35:36], v[3:4], v[25:26], -v[35:36]
	v_mul_f64 v[3:4], v[3:4], v[27:28]
	v_add_f64 v[27:28], v[43:44], v[35:36]
	v_fma_f64 v[3:4], v[5:6], v[25:26], v[3:4]
	v_add_f64 v[25:26], v[3:4], v[45:46]
	s_cbranch_vccnz .LBB1683_10
.LBB1683_3:                             ; =>This Inner Loop Header: Depth=1
	v_mov_b32_e32 v4, s3
	v_add_co_u32_e32 v3, vcc, s2, v29
	v_addc_co_u32_e32 v4, vcc, 0, v4, vcc
	v_cmp_gt_i64_e32 vcc, s[12:13], v[3:4]
	v_mov_b32_e32 v3, 0
	v_mov_b32_e32 v5, 0
	;; [unrolled: 1-line block ×4, first 2 shown]
	s_and_b64 s[8:9], s[0:1], vcc
	s_and_saveexec_b64 s[6:7], s[8:9]
	s_cbranch_execz .LBB1683_5
; %bb.4:                                ;   in Loop: Header=BB1683_3 Depth=1
	flat_load_dwordx4 v[3:6], v[7:8]
.LBB1683_5:                             ;   in Loop: Header=BB1683_3 Depth=1
	s_or_b64 exec, exec, s[6:7]
	v_mov_b32_e32 v36, s3
	v_add_co_u32_e32 v35, vcc, s2, v30
	v_addc_co_u32_e32 v36, vcc, 0, v36, vcc
	v_cmp_le_i64_e32 vcc, s[12:13], v[35:36]
	s_waitcnt vmcnt(0) lgkmcnt(0)
	ds_write_b128 v31, v[3:6]
	s_or_b64 s[6:7], vcc, s[4:5]
	s_and_saveexec_b64 s[8:9], s[6:7]
	s_xor_b64 s[6:7], exec, s[8:9]
; %bb.6:                                ;   in Loop: Header=BB1683_3 Depth=1
	v_mov_b32_e32 v3, v2
	v_mov_b32_e32 v4, v2
	v_mov_b32_e32 v5, v2
	ds_write_b128 v32, v[2:5]
; %bb.7:                                ;   in Loop: Header=BB1683_3 Depth=1
	s_andn2_saveexec_b64 s[6:7], s[6:7]
	s_cbranch_execz .LBB1683_2
; %bb.8:                                ;   in Loop: Header=BB1683_3 Depth=1
	flat_load_dwordx4 v[3:6], v[9:10]
	s_waitcnt vmcnt(0) lgkmcnt(0)
	ds_write2_b64 v32, v[3:4], v[5:6] offset1:1
	s_branch .LBB1683_2
.LBB1683_9:
	v_mov_b32_e32 v21, 0
	v_mov_b32_e32 v23, 0
	;; [unrolled: 1-line block ×16, first 2 shown]
.LBB1683_10:
	v_add_u32_e32 v4, s26, v1
	v_ashrrev_i32_e32 v1, 31, v4
	v_mul_lo_u32 v3, s22, v1
	v_mul_lo_u32 v5, s23, v4
	v_mad_u64_u32 v[1:2], s[0:1], s22, v4, 0
	v_add_u32_e32 v0, s25, v0
	v_cmp_gt_i32_e32 vcc, s24, v4
	v_add3_u32 v2, v2, v3, v5
	v_lshlrev_b64 v[1:2], 4, v[1:2]
	s_waitcnt lgkmcnt(0)
	v_mov_b32_e32 v3, s21
	v_add_co_u32_e64 v5, s[0:1], s20, v1
	v_addc_co_u32_e64 v6, s[0:1], v3, v2, s[0:1]
	v_cmp_le_i32_e64 s[0:1], v0, v4
	s_and_b64 s[0:1], vcc, s[0:1]
	s_and_saveexec_b64 s[2:3], s[0:1]
	s_cbranch_execz .LBB1683_12
; %bb.11:
	v_mul_f64 v[1:2], s[16:17], v[23:24]
	v_mul_f64 v[9:10], s[14:15], v[23:24]
	v_fma_f64 v[7:8], s[14:15], v[21:22], -v[1:2]
	v_fma_f64 v[9:10], s[16:17], v[21:22], v[9:10]
	v_ashrrev_i32_e32 v1, 31, v0
	v_lshlrev_b64 v[1:2], 4, v[0:1]
	v_add_co_u32_e64 v1, s[0:1], v5, v1
	v_addc_co_u32_e64 v2, s[0:1], v6, v2, s[0:1]
	flat_store_dwordx4 v[1:2], v[7:10]
.LBB1683_12:
	s_or_b64 exec, exec, s[2:3]
	v_add_u32_e32 v2, 16, v0
	v_cmp_le_i32_e64 s[0:1], v2, v4
	s_and_b64 s[2:3], vcc, s[0:1]
	s_and_saveexec_b64 s[0:1], s[2:3]
	s_cbranch_execz .LBB1683_14
; %bb.13:
	v_mul_f64 v[7:8], s[16:17], v[15:16]
	v_mul_f64 v[9:10], s[14:15], v[15:16]
	v_ashrrev_i32_e32 v3, 31, v2
	v_lshlrev_b64 v[11:12], 4, v[2:3]
	v_add_co_u32_e32 v5, vcc, v5, v11
	v_addc_co_u32_e32 v6, vcc, v6, v12, vcc
	v_fma_f64 v[7:8], s[14:15], v[13:14], -v[7:8]
	v_fma_f64 v[9:10], s[16:17], v[13:14], v[9:10]
	flat_store_dwordx4 v[5:6], v[7:10]
.LBB1683_14:
	s_or_b64 exec, exec, s[0:1]
	v_add_u32_e32 v3, 16, v4
	v_ashrrev_i32_e32 v1, 31, v3
	v_mul_lo_u32 v1, s22, v1
	v_mul_lo_u32 v6, s23, v3
	v_mad_u64_u32 v[4:5], s[0:1], s22, v3, 0
	v_cmp_gt_i32_e32 vcc, s24, v3
	v_add3_u32 v5, v5, v1, v6
	v_lshlrev_b64 v[4:5], 4, v[4:5]
	v_mov_b32_e32 v1, s21
	v_add_co_u32_e64 v4, s[0:1], s20, v4
	v_addc_co_u32_e64 v5, s[0:1], v1, v5, s[0:1]
	v_cmp_le_i32_e64 s[0:1], v0, v3
	s_and_b64 s[0:1], vcc, s[0:1]
	s_and_saveexec_b64 s[2:3], s[0:1]
	s_cbranch_execz .LBB1683_16
; %bb.15:
	v_mul_f64 v[6:7], s[16:17], v[19:20]
	v_mul_f64 v[8:9], s[14:15], v[19:20]
	v_ashrrev_i32_e32 v1, 31, v0
	v_lshlrev_b64 v[0:1], 4, v[0:1]
	v_add_co_u32_e64 v0, s[0:1], v4, v0
	v_addc_co_u32_e64 v1, s[0:1], v5, v1, s[0:1]
	v_fma_f64 v[6:7], s[14:15], v[17:18], -v[6:7]
	v_fma_f64 v[8:9], s[16:17], v[17:18], v[8:9]
	flat_store_dwordx4 v[0:1], v[6:9]
.LBB1683_16:
	s_or_b64 exec, exec, s[2:3]
	v_cmp_le_i32_e64 s[0:1], v2, v3
	s_and_b64 s[0:1], vcc, s[0:1]
	s_and_saveexec_b64 s[2:3], s[0:1]
	s_cbranch_execz .LBB1683_18
; %bb.17:
	v_mul_f64 v[0:1], s[16:17], v[25:26]
	v_mul_f64 v[8:9], s[14:15], v[25:26]
	v_ashrrev_i32_e32 v3, 31, v2
	v_fma_f64 v[6:7], s[14:15], v[27:28], -v[0:1]
	v_fma_f64 v[8:9], s[16:17], v[27:28], v[8:9]
	v_lshlrev_b64 v[0:1], 4, v[2:3]
	v_add_co_u32_e32 v0, vcc, v4, v0
	v_addc_co_u32_e32 v1, vcc, v5, v1, vcc
	flat_store_dwordx4 v[0:1], v[6:9]
.LBB1683_18:
	s_endpgm
	.section	.rodata,"a",@progbits
	.p2align	6, 0x0
	.amdhsa_kernel _ZL34rocblas_syrkx_herkx_general_kernelIl19rocblas_complex_numIdELi16ELi32ELi8ELb1ELb0ELc67ELc85EKPKS1_KPS1_EviT_T0_PT8_S7_lSA_S7_lS8_PT9_S7_li
		.amdhsa_group_segment_fixed_size 8192
		.amdhsa_private_segment_fixed_size 0
		.amdhsa_kernarg_size 124
		.amdhsa_user_sgpr_count 6
		.amdhsa_user_sgpr_private_segment_buffer 1
		.amdhsa_user_sgpr_dispatch_ptr 0
		.amdhsa_user_sgpr_queue_ptr 0
		.amdhsa_user_sgpr_kernarg_segment_ptr 1
		.amdhsa_user_sgpr_dispatch_id 0
		.amdhsa_user_sgpr_flat_scratch_init 0
		.amdhsa_user_sgpr_private_segment_size 0
		.amdhsa_uses_dynamic_stack 0
		.amdhsa_system_sgpr_private_segment_wavefront_offset 0
		.amdhsa_system_sgpr_workgroup_id_x 1
		.amdhsa_system_sgpr_workgroup_id_y 1
		.amdhsa_system_sgpr_workgroup_id_z 1
		.amdhsa_system_sgpr_workgroup_info 0
		.amdhsa_system_vgpr_workitem_id 1
		.amdhsa_next_free_vgpr 59
		.amdhsa_next_free_sgpr 61
		.amdhsa_reserve_vcc 1
		.amdhsa_reserve_flat_scratch 0
		.amdhsa_float_round_mode_32 0
		.amdhsa_float_round_mode_16_64 0
		.amdhsa_float_denorm_mode_32 3
		.amdhsa_float_denorm_mode_16_64 3
		.amdhsa_dx10_clamp 1
		.amdhsa_ieee_mode 1
		.amdhsa_fp16_overflow 0
		.amdhsa_exception_fp_ieee_invalid_op 0
		.amdhsa_exception_fp_denorm_src 0
		.amdhsa_exception_fp_ieee_div_zero 0
		.amdhsa_exception_fp_ieee_overflow 0
		.amdhsa_exception_fp_ieee_underflow 0
		.amdhsa_exception_fp_ieee_inexact 0
		.amdhsa_exception_int_div_zero 0
	.end_amdhsa_kernel
	.section	.text._ZL34rocblas_syrkx_herkx_general_kernelIl19rocblas_complex_numIdELi16ELi32ELi8ELb1ELb0ELc67ELc85EKPKS1_KPS1_EviT_T0_PT8_S7_lSA_S7_lS8_PT9_S7_li,"axG",@progbits,_ZL34rocblas_syrkx_herkx_general_kernelIl19rocblas_complex_numIdELi16ELi32ELi8ELb1ELb0ELc67ELc85EKPKS1_KPS1_EviT_T0_PT8_S7_lSA_S7_lS8_PT9_S7_li,comdat
.Lfunc_end1683:
	.size	_ZL34rocblas_syrkx_herkx_general_kernelIl19rocblas_complex_numIdELi16ELi32ELi8ELb1ELb0ELc67ELc85EKPKS1_KPS1_EviT_T0_PT8_S7_lSA_S7_lS8_PT9_S7_li, .Lfunc_end1683-_ZL34rocblas_syrkx_herkx_general_kernelIl19rocblas_complex_numIdELi16ELi32ELi8ELb1ELb0ELc67ELc85EKPKS1_KPS1_EviT_T0_PT8_S7_lSA_S7_lS8_PT9_S7_li
                                        ; -- End function
	.set _ZL34rocblas_syrkx_herkx_general_kernelIl19rocblas_complex_numIdELi16ELi32ELi8ELb1ELb0ELc67ELc85EKPKS1_KPS1_EviT_T0_PT8_S7_lSA_S7_lS8_PT9_S7_li.num_vgpr, 59
	.set _ZL34rocblas_syrkx_herkx_general_kernelIl19rocblas_complex_numIdELi16ELi32ELi8ELb1ELb0ELc67ELc85EKPKS1_KPS1_EviT_T0_PT8_S7_lSA_S7_lS8_PT9_S7_li.num_agpr, 0
	.set _ZL34rocblas_syrkx_herkx_general_kernelIl19rocblas_complex_numIdELi16ELi32ELi8ELb1ELb0ELc67ELc85EKPKS1_KPS1_EviT_T0_PT8_S7_lSA_S7_lS8_PT9_S7_li.numbered_sgpr, 27
	.set _ZL34rocblas_syrkx_herkx_general_kernelIl19rocblas_complex_numIdELi16ELi32ELi8ELb1ELb0ELc67ELc85EKPKS1_KPS1_EviT_T0_PT8_S7_lSA_S7_lS8_PT9_S7_li.num_named_barrier, 0
	.set _ZL34rocblas_syrkx_herkx_general_kernelIl19rocblas_complex_numIdELi16ELi32ELi8ELb1ELb0ELc67ELc85EKPKS1_KPS1_EviT_T0_PT8_S7_lSA_S7_lS8_PT9_S7_li.private_seg_size, 0
	.set _ZL34rocblas_syrkx_herkx_general_kernelIl19rocblas_complex_numIdELi16ELi32ELi8ELb1ELb0ELc67ELc85EKPKS1_KPS1_EviT_T0_PT8_S7_lSA_S7_lS8_PT9_S7_li.uses_vcc, 1
	.set _ZL34rocblas_syrkx_herkx_general_kernelIl19rocblas_complex_numIdELi16ELi32ELi8ELb1ELb0ELc67ELc85EKPKS1_KPS1_EviT_T0_PT8_S7_lSA_S7_lS8_PT9_S7_li.uses_flat_scratch, 0
	.set _ZL34rocblas_syrkx_herkx_general_kernelIl19rocblas_complex_numIdELi16ELi32ELi8ELb1ELb0ELc67ELc85EKPKS1_KPS1_EviT_T0_PT8_S7_lSA_S7_lS8_PT9_S7_li.has_dyn_sized_stack, 0
	.set _ZL34rocblas_syrkx_herkx_general_kernelIl19rocblas_complex_numIdELi16ELi32ELi8ELb1ELb0ELc67ELc85EKPKS1_KPS1_EviT_T0_PT8_S7_lSA_S7_lS8_PT9_S7_li.has_recursion, 0
	.set _ZL34rocblas_syrkx_herkx_general_kernelIl19rocblas_complex_numIdELi16ELi32ELi8ELb1ELb0ELc67ELc85EKPKS1_KPS1_EviT_T0_PT8_S7_lSA_S7_lS8_PT9_S7_li.has_indirect_call, 0
	.section	.AMDGPU.csdata,"",@progbits
; Kernel info:
; codeLenInByte = 3152
; TotalNumSgprs: 31
; NumVgprs: 59
; ScratchSize: 0
; MemoryBound: 1
; FloatMode: 240
; IeeeMode: 1
; LDSByteSize: 8192 bytes/workgroup (compile time only)
; SGPRBlocks: 8
; VGPRBlocks: 14
; NumSGPRsForWavesPerEU: 65
; NumVGPRsForWavesPerEU: 59
; Occupancy: 4
; WaveLimiterHint : 1
; COMPUTE_PGM_RSRC2:SCRATCH_EN: 0
; COMPUTE_PGM_RSRC2:USER_SGPR: 6
; COMPUTE_PGM_RSRC2:TRAP_HANDLER: 0
; COMPUTE_PGM_RSRC2:TGID_X_EN: 1
; COMPUTE_PGM_RSRC2:TGID_Y_EN: 1
; COMPUTE_PGM_RSRC2:TGID_Z_EN: 1
; COMPUTE_PGM_RSRC2:TIDIG_COMP_CNT: 1
	.section	.text._ZL34rocblas_syrkx_herkx_general_kernelIl19rocblas_complex_numIdELi16ELi32ELi8ELb1ELb0ELc78ELc85EKPKS1_KPS1_EviT_T0_PT8_S7_lSA_S7_lS8_PT9_S7_li,"axG",@progbits,_ZL34rocblas_syrkx_herkx_general_kernelIl19rocblas_complex_numIdELi16ELi32ELi8ELb1ELb0ELc78ELc85EKPKS1_KPS1_EviT_T0_PT8_S7_lSA_S7_lS8_PT9_S7_li,comdat
	.globl	_ZL34rocblas_syrkx_herkx_general_kernelIl19rocblas_complex_numIdELi16ELi32ELi8ELb1ELb0ELc78ELc85EKPKS1_KPS1_EviT_T0_PT8_S7_lSA_S7_lS8_PT9_S7_li ; -- Begin function _ZL34rocblas_syrkx_herkx_general_kernelIl19rocblas_complex_numIdELi16ELi32ELi8ELb1ELb0ELc78ELc85EKPKS1_KPS1_EviT_T0_PT8_S7_lSA_S7_lS8_PT9_S7_li
	.p2align	8
	.type	_ZL34rocblas_syrkx_herkx_general_kernelIl19rocblas_complex_numIdELi16ELi32ELi8ELb1ELb0ELc78ELc85EKPKS1_KPS1_EviT_T0_PT8_S7_lSA_S7_lS8_PT9_S7_li,@function
_ZL34rocblas_syrkx_herkx_general_kernelIl19rocblas_complex_numIdELi16ELi32ELi8ELb1ELb0ELc78ELc85EKPKS1_KPS1_EviT_T0_PT8_S7_lSA_S7_lS8_PT9_S7_li: ; @_ZL34rocblas_syrkx_herkx_general_kernelIl19rocblas_complex_numIdELi16ELi32ELi8ELb1ELb0ELc78ELc85EKPKS1_KPS1_EviT_T0_PT8_S7_lSA_S7_lS8_PT9_S7_li
; %bb.0:
	s_load_dwordx2 s[24:25], s[4:5], 0x28
	s_load_dwordx4 s[20:23], s[4:5], 0x60
	s_load_dword s26, s[4:5], 0x0
	s_load_dwordx8 s[12:19], s[4:5], 0x8
	s_mov_b32 s9, 0
	s_lshl_b64 s[0:1], s[8:9], 3
	s_waitcnt lgkmcnt(0)
	s_add_u32 s2, s20, s0
	s_addc_u32 s3, s21, s1
	s_load_dwordx2 s[20:21], s[2:3], 0x0
	v_cmp_lt_i64_e64 s[2:3], s[12:13], 1
	s_lshl_b32 s27, s6, 5
	s_lshl_b32 s28, s7, 5
	s_and_b64 vcc, exec, s[2:3]
	s_cbranch_vccnz .LBB1684_9
; %bb.1:
	s_load_dwordx4 s[8:11], s[4:5], 0x38
	v_lshl_add_u32 v3, v1, 4, v0
	v_and_b32_e32 v7, 31, v3
	v_or_b32_e32 v4, s27, v7
	v_lshrrev_b32_e32 v29, 5, v3
	s_waitcnt lgkmcnt(0)
	s_add_u32 s2, s8, s0
	s_addc_u32 s3, s9, s1
	s_load_dwordx2 s[6:7], s[2:3], 0x0
	v_cmp_gt_i32_e32 vcc, s26, v4
	v_mad_u64_u32 v[4:5], s[2:3], s24, v29, 0
	v_lshrrev_b32_e32 v6, 3, v3
	v_and_b32_e32 v30, 7, v0
	v_lshlrev_b32_e32 v3, 4, v7
	v_lshl_or_b32 v31, v29, 9, v3
	v_lshlrev_b32_e32 v3, 4, v30
	v_add_u32_e32 v2, s28, v6
	v_lshl_or_b32 v3, v6, 7, v3
	v_mad_u64_u32 v[5:6], s[2:3], s25, v29, v[5:6]
	v_mov_b32_e32 v6, 0x1000
	v_lshl_add_u32 v34, v1, 7, v6
	v_add_u32_e32 v6, s27, v7
	v_mad_u64_u32 v[9:10], s[2:3], s10, v30, 0
	v_ashrrev_i32_e32 v7, 31, v6
	v_lshlrev_b64 v[4:5], 4, v[4:5]
	v_lshlrev_b64 v[6:7], 4, v[6:7]
	s_add_u32 s0, s18, s0
	s_addc_u32 s1, s19, s1
	v_add_co_u32_e64 v6, s[2:3], v4, v6
	v_mov_b32_e32 v4, v10
	s_load_dwordx2 s[4:5], s[0:1], 0x0
	v_addc_co_u32_e64 v8, s[2:3], v5, v7, s[2:3]
	v_mad_u64_u32 v[4:5], s[2:3], s11, v30, v[4:5]
	v_add_u32_e32 v32, 0x1000, v3
	v_ashrrev_i32_e32 v3, 31, v2
	v_mov_b32_e32 v10, v4
	v_cmp_gt_i32_e64 s[0:1], s26, v2
	s_waitcnt lgkmcnt(0)
	v_mov_b32_e32 v11, s5
	v_add_co_u32_e64 v7, s[2:3], s4, v6
	v_lshlrev_b64 v[4:5], 4, v[9:10]
	v_lshlrev_b64 v[2:3], 4, v[2:3]
	v_addc_co_u32_e64 v8, s[2:3], v11, v8, s[2:3]
	v_add_co_u32_e64 v2, s[2:3], v4, v2
	v_addc_co_u32_e64 v3, s[2:3], v5, v3, s[2:3]
	v_mov_b32_e32 v4, s7
	v_add_co_u32_e64 v9, s[2:3], s6, v2
	v_addc_co_u32_e64 v10, s[2:3], v4, v3, s[2:3]
	s_lshl_b64 s[4:5], s[24:25], 7
	s_lshl_b64 s[2:3], s[10:11], 7
	v_mov_b32_e32 v25, 0
	v_mov_b32_e32 v11, s12
	;; [unrolled: 1-line block ×9, first 2 shown]
	v_lshlrev_b32_e32 v33, 4, v0
	s_mov_b64 s[6:7], 0
	v_mov_b32_e32 v26, 0
	s_xor_b64 s[8:9], vcc, -1
	v_mov_b32_e32 v35, s5
	v_mov_b32_e32 v36, s3
	;; [unrolled: 1-line block ×11, first 2 shown]
	s_branch .LBB1684_3
.LBB1684_2:                             ;   in Loop: Header=BB1684_3 Depth=1
	s_or_b64 exec, exec, s[10:11]
	s_waitcnt vmcnt(0) lgkmcnt(0)
	ds_write_b128 v32, v[3:6]
	s_waitcnt lgkmcnt(0)
	s_barrier
	ds_read_b128 v[3:6], v34
	ds_read_b128 v[37:40], v34 offset:16
	ds_read_b128 v[41:44], v34 offset:32
	;; [unrolled: 1-line block ×3, first 2 shown]
	ds_read_b128 v[49:52], v33
	v_add_co_u32_e32 v7, vcc, s4, v7
	v_addc_co_u32_e32 v8, vcc, v8, v35, vcc
	s_waitcnt lgkmcnt(0)
	v_mul_f64 v[53:54], v[5:6], v[51:52]
	v_mul_f64 v[55:56], v[3:4], v[51:52]
	s_add_u32 s6, s6, 8
	v_add_co_u32_e32 v9, vcc, s2, v9
	s_addc_u32 s7, s7, 0
	v_addc_co_u32_e32 v10, vcc, v10, v36, vcc
	v_fma_f64 v[53:54], v[3:4], v[49:50], -v[53:54]
	v_fma_f64 v[55:56], v[5:6], v[49:50], v[55:56]
	v_cmp_ge_i64_e32 vcc, s[6:7], v[11:12]
	s_and_b64 vcc, exec, vcc
	v_add_f64 v[19:20], v[19:20], v[53:54]
	v_add_f64 v[23:24], v[55:56], v[23:24]
	ds_read_b128 v[53:56], v33 offset:256
	s_waitcnt lgkmcnt(0)
	v_mul_f64 v[57:58], v[5:6], v[55:56]
	v_fma_f64 v[57:58], v[3:4], v[53:54], -v[57:58]
	v_mul_f64 v[3:4], v[3:4], v[55:56]
	v_add_f64 v[57:58], v[13:14], v[57:58]
	v_fma_f64 v[3:4], v[5:6], v[53:54], v[3:4]
	v_add_f64 v[59:60], v[3:4], v[15:16]
	ds_read_b128 v[3:6], v34 offset:2048
	s_waitcnt lgkmcnt(0)
	v_mul_f64 v[13:14], v[5:6], v[51:52]
	v_mul_f64 v[15:16], v[3:4], v[51:52]
	v_fma_f64 v[13:14], v[3:4], v[49:50], -v[13:14]
	v_fma_f64 v[15:16], v[5:6], v[49:50], v[15:16]
	v_add_f64 v[49:50], v[17:18], v[13:14]
	v_mul_f64 v[13:14], v[5:6], v[55:56]
	v_add_f64 v[21:22], v[15:16], v[21:22]
	v_fma_f64 v[13:14], v[3:4], v[53:54], -v[13:14]
	v_mul_f64 v[3:4], v[3:4], v[55:56]
	v_add_f64 v[27:28], v[27:28], v[13:14]
	v_fma_f64 v[3:4], v[5:6], v[53:54], v[3:4]
	v_add_f64 v[25:26], v[3:4], v[25:26]
	ds_read_b128 v[3:6], v33 offset:512
	s_waitcnt lgkmcnt(0)
	v_mul_f64 v[13:14], v[39:40], v[5:6]
	v_mul_f64 v[15:16], v[37:38], v[5:6]
	v_fma_f64 v[13:14], v[37:38], v[3:4], -v[13:14]
	v_fma_f64 v[15:16], v[39:40], v[3:4], v[15:16]
	v_add_f64 v[51:52], v[19:20], v[13:14]
	v_add_f64 v[23:24], v[15:16], v[23:24]
	ds_read_b128 v[13:16], v33 offset:768
	s_waitcnt lgkmcnt(0)
	v_mul_f64 v[17:18], v[39:40], v[15:16]
	v_mul_f64 v[19:20], v[37:38], v[15:16]
	v_fma_f64 v[17:18], v[37:38], v[13:14], -v[17:18]
	v_fma_f64 v[19:20], v[39:40], v[13:14], v[19:20]
	v_add_f64 v[37:38], v[57:58], v[17:18]
	v_add_f64 v[39:40], v[19:20], v[59:60]
	ds_read_b128 v[17:20], v34 offset:2064
	s_waitcnt lgkmcnt(0)
	v_mul_f64 v[53:54], v[19:20], v[5:6]
	v_mul_f64 v[5:6], v[17:18], v[5:6]
	v_fma_f64 v[53:54], v[17:18], v[3:4], -v[53:54]
	v_fma_f64 v[3:4], v[19:20], v[3:4], v[5:6]
	v_mul_f64 v[5:6], v[17:18], v[15:16]
	v_add_f64 v[49:50], v[49:50], v[53:54]
	v_add_f64 v[21:22], v[3:4], v[21:22]
	v_mul_f64 v[3:4], v[19:20], v[15:16]
	v_fma_f64 v[5:6], v[19:20], v[13:14], v[5:6]
	v_fma_f64 v[3:4], v[17:18], v[13:14], -v[3:4]
	v_add_f64 v[25:26], v[5:6], v[25:26]
	v_add_f64 v[27:28], v[27:28], v[3:4]
	ds_read_b128 v[3:6], v33 offset:1024
	s_waitcnt lgkmcnt(0)
	v_mul_f64 v[13:14], v[43:44], v[5:6]
	v_mul_f64 v[15:16], v[41:42], v[5:6]
	v_fma_f64 v[13:14], v[41:42], v[3:4], -v[13:14]
	v_fma_f64 v[15:16], v[43:44], v[3:4], v[15:16]
	v_add_f64 v[51:52], v[51:52], v[13:14]
	v_add_f64 v[23:24], v[15:16], v[23:24]
	ds_read_b128 v[13:16], v33 offset:1280
	s_waitcnt lgkmcnt(0)
	v_mul_f64 v[17:18], v[43:44], v[15:16]
	v_mul_f64 v[19:20], v[41:42], v[15:16]
	v_fma_f64 v[17:18], v[41:42], v[13:14], -v[17:18]
	v_fma_f64 v[19:20], v[43:44], v[13:14], v[19:20]
	v_add_f64 v[37:38], v[37:38], v[17:18]
	v_add_f64 v[39:40], v[19:20], v[39:40]
	ds_read_b128 v[17:20], v34 offset:2080
	s_waitcnt lgkmcnt(0)
	v_mul_f64 v[41:42], v[19:20], v[5:6]
	v_mul_f64 v[5:6], v[17:18], v[5:6]
	v_fma_f64 v[41:42], v[17:18], v[3:4], -v[41:42]
	v_fma_f64 v[3:4], v[19:20], v[3:4], v[5:6]
	v_mul_f64 v[5:6], v[17:18], v[15:16]
	v_add_f64 v[41:42], v[49:50], v[41:42]
	v_add_f64 v[21:22], v[3:4], v[21:22]
	v_mul_f64 v[3:4], v[19:20], v[15:16]
	v_fma_f64 v[5:6], v[19:20], v[13:14], v[5:6]
	v_fma_f64 v[3:4], v[17:18], v[13:14], -v[3:4]
	v_add_f64 v[25:26], v[5:6], v[25:26]
	;; [unrolled: 30-line block ×3, first 2 shown]
	v_add_f64 v[27:28], v[27:28], v[3:4]
	ds_read_b128 v[3:6], v34 offset:64
	ds_read_b128 v[13:16], v33 offset:2048
	s_waitcnt lgkmcnt(0)
	v_mul_f64 v[17:18], v[5:6], v[15:16]
	v_mul_f64 v[19:20], v[3:4], v[15:16]
	v_fma_f64 v[17:18], v[3:4], v[13:14], -v[17:18]
	v_fma_f64 v[19:20], v[5:6], v[13:14], v[19:20]
	v_add_f64 v[43:44], v[43:44], v[17:18]
	v_add_f64 v[23:24], v[19:20], v[23:24]
	ds_read_b128 v[17:20], v33 offset:2304
	s_waitcnt lgkmcnt(0)
	v_mul_f64 v[45:46], v[5:6], v[19:20]
	v_fma_f64 v[45:46], v[3:4], v[17:18], -v[45:46]
	v_mul_f64 v[3:4], v[3:4], v[19:20]
	v_add_f64 v[37:38], v[37:38], v[45:46]
	v_fma_f64 v[3:4], v[5:6], v[17:18], v[3:4]
	v_add_f64 v[39:40], v[3:4], v[39:40]
	ds_read_b128 v[3:6], v34 offset:2112
	s_waitcnt lgkmcnt(0)
	v_mul_f64 v[45:46], v[5:6], v[15:16]
	v_mul_f64 v[15:16], v[3:4], v[15:16]
	v_fma_f64 v[45:46], v[3:4], v[13:14], -v[45:46]
	v_fma_f64 v[13:14], v[5:6], v[13:14], v[15:16]
	v_add_f64 v[41:42], v[41:42], v[45:46]
	v_add_f64 v[21:22], v[13:14], v[21:22]
	v_mul_f64 v[13:14], v[5:6], v[19:20]
	v_fma_f64 v[13:14], v[3:4], v[17:18], -v[13:14]
	v_mul_f64 v[3:4], v[3:4], v[19:20]
	v_add_f64 v[27:28], v[27:28], v[13:14]
	v_fma_f64 v[3:4], v[5:6], v[17:18], v[3:4]
	v_add_f64 v[25:26], v[3:4], v[25:26]
	ds_read_b128 v[3:6], v34 offset:80
	ds_read_b128 v[13:16], v33 offset:2560
	s_waitcnt lgkmcnt(0)
	v_mul_f64 v[17:18], v[5:6], v[15:16]
	v_mul_f64 v[19:20], v[3:4], v[15:16]
	v_fma_f64 v[17:18], v[3:4], v[13:14], -v[17:18]
	v_fma_f64 v[19:20], v[5:6], v[13:14], v[19:20]
	v_add_f64 v[43:44], v[43:44], v[17:18]
	v_add_f64 v[23:24], v[19:20], v[23:24]
	ds_read_b128 v[17:20], v33 offset:2816
	s_waitcnt lgkmcnt(0)
	v_mul_f64 v[45:46], v[5:6], v[19:20]
	v_fma_f64 v[45:46], v[3:4], v[17:18], -v[45:46]
	v_mul_f64 v[3:4], v[3:4], v[19:20]
	v_add_f64 v[37:38], v[37:38], v[45:46]
	v_fma_f64 v[3:4], v[5:6], v[17:18], v[3:4]
	v_add_f64 v[39:40], v[3:4], v[39:40]
	ds_read_b128 v[3:6], v34 offset:2128
	s_waitcnt lgkmcnt(0)
	v_mul_f64 v[45:46], v[5:6], v[15:16]
	v_mul_f64 v[15:16], v[3:4], v[15:16]
	v_fma_f64 v[45:46], v[3:4], v[13:14], -v[45:46]
	v_fma_f64 v[13:14], v[5:6], v[13:14], v[15:16]
	v_add_f64 v[41:42], v[41:42], v[45:46]
	v_add_f64 v[21:22], v[13:14], v[21:22]
	v_mul_f64 v[13:14], v[5:6], v[19:20]
	v_fma_f64 v[13:14], v[3:4], v[17:18], -v[13:14]
	v_mul_f64 v[3:4], v[3:4], v[19:20]
	v_add_f64 v[27:28], v[27:28], v[13:14]
	v_fma_f64 v[3:4], v[5:6], v[17:18], v[3:4]
	;; [unrolled: 31-line block ×3, first 2 shown]
	v_add_f64 v[51:52], v[3:4], v[25:26]
	ds_read_b128 v[3:6], v34 offset:112
	ds_read_b128 v[25:28], v33 offset:3584
	;; [unrolled: 1-line block ×3, first 2 shown]
	s_waitcnt lgkmcnt(1)
	v_mul_f64 v[13:14], v[5:6], v[27:28]
	v_mul_f64 v[15:16], v[3:4], v[27:28]
	v_fma_f64 v[13:14], v[3:4], v[25:26], -v[13:14]
	v_fma_f64 v[15:16], v[5:6], v[25:26], v[15:16]
	v_add_f64 v[19:20], v[43:44], v[13:14]
	s_waitcnt lgkmcnt(0)
	v_mul_f64 v[13:14], v[5:6], v[39:40]
	v_add_f64 v[23:24], v[15:16], v[23:24]
	v_fma_f64 v[13:14], v[3:4], v[37:38], -v[13:14]
	v_mul_f64 v[3:4], v[3:4], v[39:40]
	v_add_f64 v[13:14], v[45:46], v[13:14]
	v_fma_f64 v[3:4], v[5:6], v[37:38], v[3:4]
	v_add_f64 v[15:16], v[3:4], v[47:48]
	ds_read_b128 v[3:6], v34 offset:2160
	s_waitcnt lgkmcnt(0)
	s_barrier
	v_mul_f64 v[17:18], v[5:6], v[27:28]
	v_mul_f64 v[27:28], v[3:4], v[27:28]
	v_fma_f64 v[17:18], v[3:4], v[25:26], -v[17:18]
	v_fma_f64 v[25:26], v[5:6], v[25:26], v[27:28]
	v_add_f64 v[17:18], v[41:42], v[17:18]
	v_add_f64 v[21:22], v[25:26], v[21:22]
	v_mul_f64 v[25:26], v[5:6], v[39:40]
	v_fma_f64 v[25:26], v[3:4], v[37:38], -v[25:26]
	v_mul_f64 v[3:4], v[3:4], v[39:40]
	v_add_f64 v[27:28], v[49:50], v[25:26]
	v_fma_f64 v[3:4], v[5:6], v[37:38], v[3:4]
	v_add_f64 v[25:26], v[3:4], v[51:52]
	s_cbranch_vccnz .LBB1684_10
.LBB1684_3:                             ; =>This Inner Loop Header: Depth=1
	v_mov_b32_e32 v4, s7
	v_add_co_u32_e32 v3, vcc, s6, v29
	v_addc_co_u32_e32 v4, vcc, 0, v4, vcc
	v_cmp_le_i64_e32 vcc, s[12:13], v[3:4]
	s_or_b64 s[10:11], s[8:9], vcc
	s_and_saveexec_b64 s[18:19], s[10:11]
	s_xor_b64 s[10:11], exec, s[18:19]
; %bb.4:                                ;   in Loop: Header=BB1684_3 Depth=1
	v_mov_b32_e32 v3, v2
	v_mov_b32_e32 v4, v2
	;; [unrolled: 1-line block ×3, first 2 shown]
	ds_write_b128 v31, v[2:5]
; %bb.5:                                ;   in Loop: Header=BB1684_3 Depth=1
	s_andn2_saveexec_b64 s[10:11], s[10:11]
	s_cbranch_execz .LBB1684_7
; %bb.6:                                ;   in Loop: Header=BB1684_3 Depth=1
	flat_load_dwordx4 v[3:6], v[7:8]
	s_waitcnt vmcnt(0) lgkmcnt(0)
	ds_write2_b64 v31, v[3:4], v[5:6] offset1:1
.LBB1684_7:                             ;   in Loop: Header=BB1684_3 Depth=1
	s_or_b64 exec, exec, s[10:11]
	v_mov_b32_e32 v4, s7
	v_add_co_u32_e32 v3, vcc, s6, v30
	v_addc_co_u32_e32 v4, vcc, 0, v4, vcc
	v_cmp_gt_i64_e32 vcc, s[12:13], v[3:4]
	v_mov_b32_e32 v3, 0
	v_mov_b32_e32 v5, 0
	;; [unrolled: 1-line block ×4, first 2 shown]
	s_and_b64 s[18:19], vcc, s[0:1]
	s_and_saveexec_b64 s[10:11], s[18:19]
	s_cbranch_execz .LBB1684_2
; %bb.8:                                ;   in Loop: Header=BB1684_3 Depth=1
	flat_load_dwordx4 v[3:6], v[9:10]
	s_branch .LBB1684_2
.LBB1684_9:
	v_mov_b32_e32 v19, 0
	v_mov_b32_e32 v23, 0
	;; [unrolled: 1-line block ×16, first 2 shown]
.LBB1684_10:
	v_add_u32_e32 v4, s28, v1
	v_ashrrev_i32_e32 v1, 31, v4
	v_mul_lo_u32 v3, s22, v1
	v_mul_lo_u32 v5, s23, v4
	v_mad_u64_u32 v[1:2], s[0:1], s22, v4, 0
	v_add_u32_e32 v0, s27, v0
	v_cmp_gt_i32_e32 vcc, s26, v4
	v_add3_u32 v2, v2, v3, v5
	v_lshlrev_b64 v[1:2], 4, v[1:2]
	s_waitcnt lgkmcnt(0)
	v_mov_b32_e32 v3, s21
	v_add_co_u32_e64 v5, s[0:1], s20, v1
	v_addc_co_u32_e64 v6, s[0:1], v3, v2, s[0:1]
	v_cmp_le_i32_e64 s[0:1], v0, v4
	s_and_b64 s[0:1], vcc, s[0:1]
	s_and_saveexec_b64 s[2:3], s[0:1]
	s_cbranch_execz .LBB1684_12
; %bb.11:
	v_mul_f64 v[1:2], s[16:17], v[23:24]
	v_mul_f64 v[9:10], s[14:15], v[23:24]
	v_fma_f64 v[7:8], s[14:15], v[19:20], -v[1:2]
	v_fma_f64 v[9:10], s[16:17], v[19:20], v[9:10]
	v_ashrrev_i32_e32 v1, 31, v0
	v_lshlrev_b64 v[1:2], 4, v[0:1]
	v_add_co_u32_e64 v1, s[0:1], v5, v1
	v_addc_co_u32_e64 v2, s[0:1], v6, v2, s[0:1]
	flat_store_dwordx4 v[1:2], v[7:10]
.LBB1684_12:
	s_or_b64 exec, exec, s[2:3]
	v_add_u32_e32 v2, 16, v0
	v_cmp_le_i32_e64 s[0:1], v2, v4
	s_and_b64 s[2:3], vcc, s[0:1]
	s_and_saveexec_b64 s[0:1], s[2:3]
	s_cbranch_execz .LBB1684_14
; %bb.13:
	v_mul_f64 v[7:8], s[16:17], v[15:16]
	v_mul_f64 v[9:10], s[14:15], v[15:16]
	v_ashrrev_i32_e32 v3, 31, v2
	v_lshlrev_b64 v[11:12], 4, v[2:3]
	v_add_co_u32_e32 v5, vcc, v5, v11
	v_addc_co_u32_e32 v6, vcc, v6, v12, vcc
	v_fma_f64 v[7:8], s[14:15], v[13:14], -v[7:8]
	v_fma_f64 v[9:10], s[16:17], v[13:14], v[9:10]
	flat_store_dwordx4 v[5:6], v[7:10]
.LBB1684_14:
	s_or_b64 exec, exec, s[0:1]
	v_add_u32_e32 v3, 16, v4
	v_ashrrev_i32_e32 v1, 31, v3
	v_mul_lo_u32 v1, s22, v1
	v_mul_lo_u32 v6, s23, v3
	v_mad_u64_u32 v[4:5], s[0:1], s22, v3, 0
	v_cmp_gt_i32_e32 vcc, s26, v3
	v_add3_u32 v5, v5, v1, v6
	v_lshlrev_b64 v[4:5], 4, v[4:5]
	v_mov_b32_e32 v1, s21
	v_add_co_u32_e64 v4, s[0:1], s20, v4
	v_addc_co_u32_e64 v5, s[0:1], v1, v5, s[0:1]
	v_cmp_le_i32_e64 s[0:1], v0, v3
	s_and_b64 s[0:1], vcc, s[0:1]
	s_and_saveexec_b64 s[2:3], s[0:1]
	s_cbranch_execz .LBB1684_16
; %bb.15:
	v_mul_f64 v[6:7], s[16:17], v[21:22]
	v_mul_f64 v[8:9], s[14:15], v[21:22]
	v_ashrrev_i32_e32 v1, 31, v0
	v_lshlrev_b64 v[0:1], 4, v[0:1]
	v_add_co_u32_e64 v0, s[0:1], v4, v0
	v_addc_co_u32_e64 v1, s[0:1], v5, v1, s[0:1]
	v_fma_f64 v[6:7], s[14:15], v[17:18], -v[6:7]
	v_fma_f64 v[8:9], s[16:17], v[17:18], v[8:9]
	flat_store_dwordx4 v[0:1], v[6:9]
.LBB1684_16:
	s_or_b64 exec, exec, s[2:3]
	v_cmp_le_i32_e64 s[0:1], v2, v3
	s_and_b64 s[0:1], vcc, s[0:1]
	s_and_saveexec_b64 s[2:3], s[0:1]
	s_cbranch_execz .LBB1684_18
; %bb.17:
	v_mul_f64 v[0:1], s[16:17], v[25:26]
	v_mul_f64 v[8:9], s[14:15], v[25:26]
	v_ashrrev_i32_e32 v3, 31, v2
	v_fma_f64 v[6:7], s[14:15], v[27:28], -v[0:1]
	v_fma_f64 v[8:9], s[16:17], v[27:28], v[8:9]
	v_lshlrev_b64 v[0:1], 4, v[2:3]
	v_add_co_u32_e32 v0, vcc, v4, v0
	v_addc_co_u32_e32 v1, vcc, v5, v1, vcc
	flat_store_dwordx4 v[0:1], v[6:9]
.LBB1684_18:
	s_endpgm
	.section	.rodata,"a",@progbits
	.p2align	6, 0x0
	.amdhsa_kernel _ZL34rocblas_syrkx_herkx_general_kernelIl19rocblas_complex_numIdELi16ELi32ELi8ELb1ELb0ELc78ELc85EKPKS1_KPS1_EviT_T0_PT8_S7_lSA_S7_lS8_PT9_S7_li
		.amdhsa_group_segment_fixed_size 8192
		.amdhsa_private_segment_fixed_size 0
		.amdhsa_kernarg_size 124
		.amdhsa_user_sgpr_count 6
		.amdhsa_user_sgpr_private_segment_buffer 1
		.amdhsa_user_sgpr_dispatch_ptr 0
		.amdhsa_user_sgpr_queue_ptr 0
		.amdhsa_user_sgpr_kernarg_segment_ptr 1
		.amdhsa_user_sgpr_dispatch_id 0
		.amdhsa_user_sgpr_flat_scratch_init 0
		.amdhsa_user_sgpr_private_segment_size 0
		.amdhsa_uses_dynamic_stack 0
		.amdhsa_system_sgpr_private_segment_wavefront_offset 0
		.amdhsa_system_sgpr_workgroup_id_x 1
		.amdhsa_system_sgpr_workgroup_id_y 1
		.amdhsa_system_sgpr_workgroup_id_z 1
		.amdhsa_system_sgpr_workgroup_info 0
		.amdhsa_system_vgpr_workitem_id 1
		.amdhsa_next_free_vgpr 61
		.amdhsa_next_free_sgpr 61
		.amdhsa_reserve_vcc 1
		.amdhsa_reserve_flat_scratch 0
		.amdhsa_float_round_mode_32 0
		.amdhsa_float_round_mode_16_64 0
		.amdhsa_float_denorm_mode_32 3
		.amdhsa_float_denorm_mode_16_64 3
		.amdhsa_dx10_clamp 1
		.amdhsa_ieee_mode 1
		.amdhsa_fp16_overflow 0
		.amdhsa_exception_fp_ieee_invalid_op 0
		.amdhsa_exception_fp_denorm_src 0
		.amdhsa_exception_fp_ieee_div_zero 0
		.amdhsa_exception_fp_ieee_overflow 0
		.amdhsa_exception_fp_ieee_underflow 0
		.amdhsa_exception_fp_ieee_inexact 0
		.amdhsa_exception_int_div_zero 0
	.end_amdhsa_kernel
	.section	.text._ZL34rocblas_syrkx_herkx_general_kernelIl19rocblas_complex_numIdELi16ELi32ELi8ELb1ELb0ELc78ELc85EKPKS1_KPS1_EviT_T0_PT8_S7_lSA_S7_lS8_PT9_S7_li,"axG",@progbits,_ZL34rocblas_syrkx_herkx_general_kernelIl19rocblas_complex_numIdELi16ELi32ELi8ELb1ELb0ELc78ELc85EKPKS1_KPS1_EviT_T0_PT8_S7_lSA_S7_lS8_PT9_S7_li,comdat
.Lfunc_end1684:
	.size	_ZL34rocblas_syrkx_herkx_general_kernelIl19rocblas_complex_numIdELi16ELi32ELi8ELb1ELb0ELc78ELc85EKPKS1_KPS1_EviT_T0_PT8_S7_lSA_S7_lS8_PT9_S7_li, .Lfunc_end1684-_ZL34rocblas_syrkx_herkx_general_kernelIl19rocblas_complex_numIdELi16ELi32ELi8ELb1ELb0ELc78ELc85EKPKS1_KPS1_EviT_T0_PT8_S7_lSA_S7_lS8_PT9_S7_li
                                        ; -- End function
	.set _ZL34rocblas_syrkx_herkx_general_kernelIl19rocblas_complex_numIdELi16ELi32ELi8ELb1ELb0ELc78ELc85EKPKS1_KPS1_EviT_T0_PT8_S7_lSA_S7_lS8_PT9_S7_li.num_vgpr, 61
	.set _ZL34rocblas_syrkx_herkx_general_kernelIl19rocblas_complex_numIdELi16ELi32ELi8ELb1ELb0ELc78ELc85EKPKS1_KPS1_EviT_T0_PT8_S7_lSA_S7_lS8_PT9_S7_li.num_agpr, 0
	.set _ZL34rocblas_syrkx_herkx_general_kernelIl19rocblas_complex_numIdELi16ELi32ELi8ELb1ELb0ELc78ELc85EKPKS1_KPS1_EviT_T0_PT8_S7_lSA_S7_lS8_PT9_S7_li.numbered_sgpr, 29
	.set _ZL34rocblas_syrkx_herkx_general_kernelIl19rocblas_complex_numIdELi16ELi32ELi8ELb1ELb0ELc78ELc85EKPKS1_KPS1_EviT_T0_PT8_S7_lSA_S7_lS8_PT9_S7_li.num_named_barrier, 0
	.set _ZL34rocblas_syrkx_herkx_general_kernelIl19rocblas_complex_numIdELi16ELi32ELi8ELb1ELb0ELc78ELc85EKPKS1_KPS1_EviT_T0_PT8_S7_lSA_S7_lS8_PT9_S7_li.private_seg_size, 0
	.set _ZL34rocblas_syrkx_herkx_general_kernelIl19rocblas_complex_numIdELi16ELi32ELi8ELb1ELb0ELc78ELc85EKPKS1_KPS1_EviT_T0_PT8_S7_lSA_S7_lS8_PT9_S7_li.uses_vcc, 1
	.set _ZL34rocblas_syrkx_herkx_general_kernelIl19rocblas_complex_numIdELi16ELi32ELi8ELb1ELb0ELc78ELc85EKPKS1_KPS1_EviT_T0_PT8_S7_lSA_S7_lS8_PT9_S7_li.uses_flat_scratch, 0
	.set _ZL34rocblas_syrkx_herkx_general_kernelIl19rocblas_complex_numIdELi16ELi32ELi8ELb1ELb0ELc78ELc85EKPKS1_KPS1_EviT_T0_PT8_S7_lSA_S7_lS8_PT9_S7_li.has_dyn_sized_stack, 0
	.set _ZL34rocblas_syrkx_herkx_general_kernelIl19rocblas_complex_numIdELi16ELi32ELi8ELb1ELb0ELc78ELc85EKPKS1_KPS1_EviT_T0_PT8_S7_lSA_S7_lS8_PT9_S7_li.has_recursion, 0
	.set _ZL34rocblas_syrkx_herkx_general_kernelIl19rocblas_complex_numIdELi16ELi32ELi8ELb1ELb0ELc78ELc85EKPKS1_KPS1_EviT_T0_PT8_S7_lSA_S7_lS8_PT9_S7_li.has_indirect_call, 0
	.section	.AMDGPU.csdata,"",@progbits
; Kernel info:
; codeLenInByte = 3148
; TotalNumSgprs: 33
; NumVgprs: 61
; ScratchSize: 0
; MemoryBound: 1
; FloatMode: 240
; IeeeMode: 1
; LDSByteSize: 8192 bytes/workgroup (compile time only)
; SGPRBlocks: 8
; VGPRBlocks: 15
; NumSGPRsForWavesPerEU: 65
; NumVGPRsForWavesPerEU: 61
; Occupancy: 4
; WaveLimiterHint : 1
; COMPUTE_PGM_RSRC2:SCRATCH_EN: 0
; COMPUTE_PGM_RSRC2:USER_SGPR: 6
; COMPUTE_PGM_RSRC2:TRAP_HANDLER: 0
; COMPUTE_PGM_RSRC2:TGID_X_EN: 1
; COMPUTE_PGM_RSRC2:TGID_Y_EN: 1
; COMPUTE_PGM_RSRC2:TGID_Z_EN: 1
; COMPUTE_PGM_RSRC2:TIDIG_COMP_CNT: 1
	.section	.text._ZL34rocblas_syrkx_herkx_general_kernelIl19rocblas_complex_numIdELi16ELi32ELi8ELb0ELb0ELc84ELc76EKPKS1_KPS1_EviT_T0_PT8_S7_lSA_S7_lS8_PT9_S7_li,"axG",@progbits,_ZL34rocblas_syrkx_herkx_general_kernelIl19rocblas_complex_numIdELi16ELi32ELi8ELb0ELb0ELc84ELc76EKPKS1_KPS1_EviT_T0_PT8_S7_lSA_S7_lS8_PT9_S7_li,comdat
	.globl	_ZL34rocblas_syrkx_herkx_general_kernelIl19rocblas_complex_numIdELi16ELi32ELi8ELb0ELb0ELc84ELc76EKPKS1_KPS1_EviT_T0_PT8_S7_lSA_S7_lS8_PT9_S7_li ; -- Begin function _ZL34rocblas_syrkx_herkx_general_kernelIl19rocblas_complex_numIdELi16ELi32ELi8ELb0ELb0ELc84ELc76EKPKS1_KPS1_EviT_T0_PT8_S7_lSA_S7_lS8_PT9_S7_li
	.p2align	8
	.type	_ZL34rocblas_syrkx_herkx_general_kernelIl19rocblas_complex_numIdELi16ELi32ELi8ELb0ELb0ELc84ELc76EKPKS1_KPS1_EviT_T0_PT8_S7_lSA_S7_lS8_PT9_S7_li,@function
_ZL34rocblas_syrkx_herkx_general_kernelIl19rocblas_complex_numIdELi16ELi32ELi8ELb0ELb0ELc84ELc76EKPKS1_KPS1_EviT_T0_PT8_S7_lSA_S7_lS8_PT9_S7_li: ; @_ZL34rocblas_syrkx_herkx_general_kernelIl19rocblas_complex_numIdELi16ELi32ELi8ELb0ELb0ELc84ELc76EKPKS1_KPS1_EviT_T0_PT8_S7_lSA_S7_lS8_PT9_S7_li
; %bb.0:
	s_load_dword s28, s[4:5], 0x0
	s_load_dwordx8 s[12:19], s[4:5], 0x50
	s_load_dwordx8 s[20:27], s[4:5], 0x8
	s_load_dwordx2 s[2:3], s[4:5], 0x28
	s_mov_b32 s9, 0
	s_lshl_b64 s[0:1], s[8:9], 3
	s_waitcnt lgkmcnt(0)
	s_add_u32 s8, s16, s0
	s_addc_u32 s9, s17, s1
	s_load_dwordx2 s[16:17], s[8:9], 0x0
	v_cmp_lt_i64_e64 s[8:9], s[20:21], 1
	s_lshl_b32 s29, s6, 5
	s_lshl_b32 s30, s7, 5
	s_and_b64 vcc, exec, s[8:9]
	s_cbranch_vccnz .LBB1685_11
; %bb.1:
	v_lshl_add_u32 v2, v1, 4, v0
	v_and_b32_e32 v5, 31, v2
	v_and_b32_e32 v29, 7, v0
	v_lshrrev_b32_e32 v3, 3, v2
	v_lshrrev_b32_e32 v28, 5, v2
	v_lshlrev_b32_e32 v2, 4, v5
	v_lshlrev_b32_e32 v8, 4, v29
	v_lshl_or_b32 v30, v28, 9, v2
	v_lshl_or_b32 v2, v3, 7, v8
	v_add_u32_e32 v31, 0x1000, v2
	v_add_u32_e32 v2, s29, v5
	s_load_dwordx4 s[8:11], s[4:5], 0x38
	v_add_u32_e32 v4, s30, v3
	v_ashrrev_i32_e32 v3, 31, v2
	v_or_b32_e32 v6, s29, v5
	v_mul_lo_u32 v5, s2, v3
	v_mul_lo_u32 v7, s3, v2
	v_mad_u64_u32 v[2:3], s[2:3], s2, v2, 0
	s_waitcnt lgkmcnt(0)
	s_add_u32 s4, s8, s0
	s_addc_u32 s5, s9, s1
	v_add3_u32 v3, v3, v5, v7
	v_lshlrev_b64 v[2:3], 4, v[2:3]
	s_add_u32 s0, s26, s0
	v_lshlrev_b32_e32 v5, 4, v28
	s_addc_u32 s1, s27, s1
	v_cmp_gt_i32_e32 vcc, s28, v6
	v_ashrrev_i32_e32 v6, 31, v4
	v_add_co_u32_e64 v5, s[2:3], v2, v5
	s_load_dwordx2 s[6:7], s[0:1], 0x0
	v_addc_co_u32_e64 v7, s[2:3], 0, v3, s[2:3]
	v_mul_lo_u32 v10, s10, v6
	v_mul_lo_u32 v11, s11, v4
	v_mad_u64_u32 v[2:3], s[2:3], s10, v4, 0
	s_load_dwordx2 s[4:5], s[4:5], 0x0
	v_mov_b32_e32 v9, 0x1000
	v_add3_u32 v3, v3, v10, v11
	v_lshl_add_u32 v33, v1, 7, v9
	s_waitcnt lgkmcnt(0)
	v_mov_b32_e32 v9, s7
	v_add_co_u32_e64 v6, s[2:3], s6, v5
	v_lshlrev_b64 v[2:3], 4, v[2:3]
	v_addc_co_u32_e64 v7, s[2:3], v9, v7, s[2:3]
	v_add_co_u32_e64 v2, s[2:3], v2, v8
	v_addc_co_u32_e64 v3, s[2:3], 0, v3, s[2:3]
	v_cmp_gt_i32_e64 s[0:1], s28, v4
	v_mov_b32_e32 v4, s5
	v_add_co_u32_e64 v8, s[2:3], s4, v2
	v_addc_co_u32_e64 v9, s[2:3], v4, v3, s[2:3]
	v_mov_b32_e32 v26, 0
	v_mov_b32_e32 v10, s20
	;; [unrolled: 1-line block ×9, first 2 shown]
	v_lshlrev_b32_e32 v32, 4, v0
	s_mov_b64 s[2:3], 0
	v_mov_b32_e32 v27, 0
	s_xor_b64 s[4:5], vcc, -1
	s_xor_b64 s[0:1], s[0:1], -1
	v_mov_b32_e32 v11, s21
	v_mov_b32_e32 v25, 0
	;; [unrolled: 1-line block ×9, first 2 shown]
	s_branch .LBB1685_3
.LBB1685_2:                             ;   in Loop: Header=BB1685_3 Depth=1
	s_or_b64 exec, exec, s[6:7]
	s_waitcnt lgkmcnt(0)
	s_barrier
	ds_read_b128 v[34:37], v33
	ds_read_b128 v[38:41], v33 offset:16
	ds_read_b128 v[42:45], v33 offset:32
	ds_read_b128 v[46:49], v33 offset:48
	ds_read_b128 v[50:53], v32
	v_add_co_u32_e32 v6, vcc, 0x80, v6
	v_addc_co_u32_e32 v7, vcc, 0, v7, vcc
	s_waitcnt lgkmcnt(0)
	v_mul_f64 v[3:4], v[36:37], v[52:53]
	v_mul_f64 v[54:55], v[34:35], v[52:53]
	s_add_u32 s2, s2, 8
	v_add_co_u32_e32 v8, vcc, 0x80, v8
	s_addc_u32 s3, s3, 0
	v_addc_co_u32_e32 v9, vcc, 0, v9, vcc
	v_fma_f64 v[3:4], v[34:35], v[50:51], -v[3:4]
	v_fma_f64 v[54:55], v[36:37], v[50:51], v[54:55]
	v_cmp_ge_i64_e32 vcc, s[2:3], v[10:11]
	s_and_b64 vcc, exec, vcc
	v_add_f64 v[3:4], v[20:21], v[3:4]
	v_add_f64 v[54:55], v[54:55], v[22:23]
	ds_read_b128 v[20:23], v32 offset:256
	s_waitcnt lgkmcnt(0)
	v_mul_f64 v[56:57], v[36:37], v[22:23]
	v_fma_f64 v[56:57], v[34:35], v[20:21], -v[56:57]
	v_mul_f64 v[34:35], v[34:35], v[22:23]
	v_fma_f64 v[34:35], v[36:37], v[20:21], v[34:35]
	v_add_f64 v[36:37], v[12:13], v[56:57]
	v_add_f64 v[34:35], v[34:35], v[14:15]
	ds_read_b128 v[12:15], v33 offset:2048
	s_waitcnt lgkmcnt(0)
	v_mul_f64 v[56:57], v[14:15], v[52:53]
	v_mul_f64 v[52:53], v[12:13], v[52:53]
	v_fma_f64 v[56:57], v[12:13], v[50:51], -v[56:57]
	v_fma_f64 v[50:51], v[14:15], v[50:51], v[52:53]
	v_add_f64 v[52:53], v[16:17], v[56:57]
	v_mul_f64 v[16:17], v[14:15], v[22:23]
	v_add_f64 v[50:51], v[50:51], v[18:19]
	v_fma_f64 v[16:17], v[12:13], v[20:21], -v[16:17]
	v_mul_f64 v[12:13], v[12:13], v[22:23]
	v_add_f64 v[24:25], v[24:25], v[16:17]
	v_fma_f64 v[12:13], v[14:15], v[20:21], v[12:13]
	v_add_f64 v[26:27], v[12:13], v[26:27]
	ds_read_b128 v[12:15], v32 offset:512
	s_waitcnt lgkmcnt(0)
	v_mul_f64 v[16:17], v[40:41], v[14:15]
	v_mul_f64 v[18:19], v[38:39], v[14:15]
	v_fma_f64 v[16:17], v[38:39], v[12:13], -v[16:17]
	v_fma_f64 v[18:19], v[40:41], v[12:13], v[18:19]
	v_add_f64 v[3:4], v[3:4], v[16:17]
	v_add_f64 v[54:55], v[18:19], v[54:55]
	ds_read_b128 v[16:19], v32 offset:768
	s_waitcnt lgkmcnt(0)
	v_mul_f64 v[20:21], v[40:41], v[18:19]
	v_mul_f64 v[22:23], v[38:39], v[18:19]
	v_fma_f64 v[20:21], v[38:39], v[16:17], -v[20:21]
	v_fma_f64 v[22:23], v[40:41], v[16:17], v[22:23]
	v_add_f64 v[36:37], v[36:37], v[20:21]
	v_add_f64 v[34:35], v[22:23], v[34:35]
	ds_read_b128 v[20:23], v33 offset:2064
	s_waitcnt lgkmcnt(0)
	v_mul_f64 v[38:39], v[22:23], v[14:15]
	v_mul_f64 v[14:15], v[20:21], v[14:15]
	v_fma_f64 v[38:39], v[20:21], v[12:13], -v[38:39]
	v_fma_f64 v[12:13], v[22:23], v[12:13], v[14:15]
	v_mul_f64 v[14:15], v[20:21], v[18:19]
	v_add_f64 v[38:39], v[52:53], v[38:39]
	v_add_f64 v[40:41], v[12:13], v[50:51]
	v_mul_f64 v[12:13], v[22:23], v[18:19]
	v_fma_f64 v[14:15], v[22:23], v[16:17], v[14:15]
	v_fma_f64 v[12:13], v[20:21], v[16:17], -v[12:13]
	v_add_f64 v[26:27], v[14:15], v[26:27]
	v_add_f64 v[24:25], v[24:25], v[12:13]
	ds_read_b128 v[12:15], v32 offset:1024
	s_waitcnt lgkmcnt(0)
	v_mul_f64 v[16:17], v[44:45], v[14:15]
	v_mul_f64 v[18:19], v[42:43], v[14:15]
	v_fma_f64 v[16:17], v[42:43], v[12:13], -v[16:17]
	v_fma_f64 v[18:19], v[44:45], v[12:13], v[18:19]
	v_add_f64 v[3:4], v[3:4], v[16:17]
	v_add_f64 v[50:51], v[18:19], v[54:55]
	ds_read_b128 v[16:19], v32 offset:1280
	s_waitcnt lgkmcnt(0)
	v_mul_f64 v[20:21], v[44:45], v[18:19]
	v_mul_f64 v[22:23], v[42:43], v[18:19]
	v_fma_f64 v[20:21], v[42:43], v[16:17], -v[20:21]
	v_fma_f64 v[22:23], v[44:45], v[16:17], v[22:23]
	v_add_f64 v[36:37], v[36:37], v[20:21]
	v_add_f64 v[34:35], v[22:23], v[34:35]
	ds_read_b128 v[20:23], v33 offset:2080
	s_waitcnt lgkmcnt(0)
	v_mul_f64 v[42:43], v[22:23], v[14:15]
	v_mul_f64 v[14:15], v[20:21], v[14:15]
	v_fma_f64 v[42:43], v[20:21], v[12:13], -v[42:43]
	v_fma_f64 v[12:13], v[22:23], v[12:13], v[14:15]
	v_mul_f64 v[14:15], v[20:21], v[18:19]
	v_add_f64 v[38:39], v[38:39], v[42:43]
	v_add_f64 v[40:41], v[12:13], v[40:41]
	v_mul_f64 v[12:13], v[22:23], v[18:19]
	v_fma_f64 v[14:15], v[22:23], v[16:17], v[14:15]
	v_fma_f64 v[12:13], v[20:21], v[16:17], -v[12:13]
	v_add_f64 v[26:27], v[14:15], v[26:27]
	;; [unrolled: 30-line block ×3, first 2 shown]
	v_add_f64 v[24:25], v[24:25], v[12:13]
	ds_read_b128 v[12:15], v33 offset:64
	ds_read_b128 v[16:19], v32 offset:2048
	s_waitcnt lgkmcnt(0)
	v_mul_f64 v[20:21], v[14:15], v[18:19]
	v_mul_f64 v[22:23], v[12:13], v[18:19]
	v_fma_f64 v[20:21], v[12:13], v[16:17], -v[20:21]
	v_fma_f64 v[22:23], v[14:15], v[16:17], v[22:23]
	v_add_f64 v[3:4], v[3:4], v[20:21]
	v_add_f64 v[42:43], v[22:23], v[42:43]
	ds_read_b128 v[20:23], v32 offset:2304
	s_waitcnt lgkmcnt(0)
	v_mul_f64 v[44:45], v[14:15], v[22:23]
	v_fma_f64 v[44:45], v[12:13], v[20:21], -v[44:45]
	v_mul_f64 v[12:13], v[12:13], v[22:23]
	v_add_f64 v[36:37], v[36:37], v[44:45]
	v_fma_f64 v[12:13], v[14:15], v[20:21], v[12:13]
	v_add_f64 v[34:35], v[12:13], v[34:35]
	ds_read_b128 v[12:15], v33 offset:2112
	s_waitcnt lgkmcnt(0)
	v_mul_f64 v[44:45], v[14:15], v[18:19]
	v_mul_f64 v[18:19], v[12:13], v[18:19]
	v_fma_f64 v[44:45], v[12:13], v[16:17], -v[44:45]
	v_fma_f64 v[16:17], v[14:15], v[16:17], v[18:19]
	v_add_f64 v[38:39], v[38:39], v[44:45]
	v_add_f64 v[40:41], v[16:17], v[40:41]
	v_mul_f64 v[16:17], v[14:15], v[22:23]
	v_fma_f64 v[16:17], v[12:13], v[20:21], -v[16:17]
	v_mul_f64 v[12:13], v[12:13], v[22:23]
	v_add_f64 v[24:25], v[24:25], v[16:17]
	v_fma_f64 v[12:13], v[14:15], v[20:21], v[12:13]
	v_add_f64 v[26:27], v[12:13], v[26:27]
	ds_read_b128 v[12:15], v33 offset:80
	ds_read_b128 v[16:19], v32 offset:2560
	s_waitcnt lgkmcnt(0)
	v_mul_f64 v[20:21], v[14:15], v[18:19]
	v_mul_f64 v[22:23], v[12:13], v[18:19]
	v_fma_f64 v[20:21], v[12:13], v[16:17], -v[20:21]
	v_fma_f64 v[22:23], v[14:15], v[16:17], v[22:23]
	v_add_f64 v[3:4], v[3:4], v[20:21]
	v_add_f64 v[42:43], v[22:23], v[42:43]
	ds_read_b128 v[20:23], v32 offset:2816
	s_waitcnt lgkmcnt(0)
	v_mul_f64 v[44:45], v[14:15], v[22:23]
	v_fma_f64 v[44:45], v[12:13], v[20:21], -v[44:45]
	v_mul_f64 v[12:13], v[12:13], v[22:23]
	v_add_f64 v[36:37], v[36:37], v[44:45]
	v_fma_f64 v[12:13], v[14:15], v[20:21], v[12:13]
	v_add_f64 v[34:35], v[12:13], v[34:35]
	ds_read_b128 v[12:15], v33 offset:2128
	s_waitcnt lgkmcnt(0)
	v_mul_f64 v[44:45], v[14:15], v[18:19]
	v_mul_f64 v[18:19], v[12:13], v[18:19]
	v_fma_f64 v[44:45], v[12:13], v[16:17], -v[44:45]
	v_fma_f64 v[16:17], v[14:15], v[16:17], v[18:19]
	v_add_f64 v[38:39], v[38:39], v[44:45]
	v_add_f64 v[40:41], v[16:17], v[40:41]
	v_mul_f64 v[16:17], v[14:15], v[22:23]
	v_fma_f64 v[16:17], v[12:13], v[20:21], -v[16:17]
	v_mul_f64 v[12:13], v[12:13], v[22:23]
	v_add_f64 v[24:25], v[24:25], v[16:17]
	v_fma_f64 v[12:13], v[14:15], v[20:21], v[12:13]
	;; [unrolled: 31-line block ×3, first 2 shown]
	v_add_f64 v[46:47], v[12:13], v[26:27]
	ds_read_b128 v[12:15], v33 offset:112
	ds_read_b128 v[16:19], v32 offset:3584
	;; [unrolled: 1-line block ×3, first 2 shown]
	s_waitcnt lgkmcnt(1)
	v_mul_f64 v[20:21], v[14:15], v[18:19]
	v_mul_f64 v[22:23], v[12:13], v[18:19]
	v_fma_f64 v[20:21], v[12:13], v[16:17], -v[20:21]
	v_fma_f64 v[22:23], v[14:15], v[16:17], v[22:23]
	v_add_f64 v[20:21], v[3:4], v[20:21]
	s_waitcnt lgkmcnt(0)
	v_mul_f64 v[3:4], v[14:15], v[26:27]
	v_add_f64 v[22:23], v[22:23], v[42:43]
	v_fma_f64 v[3:4], v[12:13], v[24:25], -v[3:4]
	v_mul_f64 v[12:13], v[12:13], v[26:27]
	v_fma_f64 v[14:15], v[14:15], v[24:25], v[12:13]
	v_add_f64 v[12:13], v[36:37], v[3:4]
	v_add_f64 v[14:15], v[14:15], v[34:35]
	ds_read_b128 v[34:37], v33 offset:2160
	s_waitcnt lgkmcnt(0)
	s_barrier
	v_mul_f64 v[3:4], v[36:37], v[18:19]
	v_mul_f64 v[18:19], v[34:35], v[18:19]
	v_fma_f64 v[3:4], v[34:35], v[16:17], -v[3:4]
	v_fma_f64 v[18:19], v[36:37], v[16:17], v[18:19]
	v_add_f64 v[16:17], v[38:39], v[3:4]
	v_mul_f64 v[3:4], v[36:37], v[26:27]
	v_mul_f64 v[26:27], v[34:35], v[26:27]
	v_add_f64 v[18:19], v[18:19], v[40:41]
	v_fma_f64 v[3:4], v[34:35], v[24:25], -v[3:4]
	v_fma_f64 v[26:27], v[36:37], v[24:25], v[26:27]
	v_add_f64 v[24:25], v[44:45], v[3:4]
	v_add_f64 v[26:27], v[26:27], v[46:47]
	s_cbranch_vccnz .LBB1685_12
.LBB1685_3:                             ; =>This Inner Loop Header: Depth=1
	v_mov_b32_e32 v4, s3
	v_add_co_u32_e32 v3, vcc, s2, v28
	v_addc_co_u32_e32 v4, vcc, 0, v4, vcc
	v_cmp_le_i64_e32 vcc, s[20:21], v[3:4]
	s_or_b64 s[6:7], s[4:5], vcc
	s_and_saveexec_b64 s[8:9], s[6:7]
	s_xor_b64 s[6:7], exec, s[8:9]
; %bb.4:                                ;   in Loop: Header=BB1685_3 Depth=1
	v_mov_b32_e32 v3, v2
	v_mov_b32_e32 v4, v2
	;; [unrolled: 1-line block ×3, first 2 shown]
	ds_write_b128 v30, v[2:5]
; %bb.5:                                ;   in Loop: Header=BB1685_3 Depth=1
	s_andn2_saveexec_b64 s[6:7], s[6:7]
	s_cbranch_execz .LBB1685_7
; %bb.6:                                ;   in Loop: Header=BB1685_3 Depth=1
	flat_load_dwordx4 v[34:37], v[6:7]
	s_waitcnt vmcnt(0) lgkmcnt(0)
	ds_write2_b64 v30, v[34:35], v[36:37] offset1:1
.LBB1685_7:                             ;   in Loop: Header=BB1685_3 Depth=1
	s_or_b64 exec, exec, s[6:7]
	v_mov_b32_e32 v4, s3
	v_add_co_u32_e32 v3, vcc, s2, v29
	v_addc_co_u32_e32 v4, vcc, 0, v4, vcc
	v_cmp_le_i64_e32 vcc, s[20:21], v[3:4]
	s_or_b64 s[6:7], vcc, s[0:1]
	s_and_saveexec_b64 s[8:9], s[6:7]
	s_xor_b64 s[6:7], exec, s[8:9]
; %bb.8:                                ;   in Loop: Header=BB1685_3 Depth=1
	v_mov_b32_e32 v3, v2
	v_mov_b32_e32 v4, v2
	;; [unrolled: 1-line block ×3, first 2 shown]
	ds_write_b128 v31, v[2:5]
; %bb.9:                                ;   in Loop: Header=BB1685_3 Depth=1
	s_andn2_saveexec_b64 s[6:7], s[6:7]
	s_cbranch_execz .LBB1685_2
; %bb.10:                               ;   in Loop: Header=BB1685_3 Depth=1
	flat_load_dwordx4 v[34:37], v[8:9]
	s_waitcnt vmcnt(0) lgkmcnt(0)
	ds_write2_b64 v31, v[34:35], v[36:37] offset1:1
	s_branch .LBB1685_2
.LBB1685_11:
	v_mov_b32_e32 v20, 0
	v_mov_b32_e32 v22, 0
	;; [unrolled: 1-line block ×16, first 2 shown]
.LBB1685_12:
	v_add_u32_e32 v4, s30, v1
	v_ashrrev_i32_e32 v1, 31, v4
	v_mul_lo_u32 v3, s18, v1
	v_mul_lo_u32 v5, s19, v4
	v_mad_u64_u32 v[1:2], s[0:1], s18, v4, 0
	v_add_u32_e32 v0, s29, v0
	v_cmp_le_i32_e64 s[0:1], v4, v0
	v_add3_u32 v2, v2, v3, v5
	v_lshlrev_b64 v[1:2], 4, v[1:2]
	s_waitcnt lgkmcnt(0)
	v_mov_b32_e32 v3, s17
	v_add_co_u32_e32 v5, vcc, s16, v1
	v_addc_co_u32_e32 v6, vcc, v3, v2, vcc
	v_cmp_gt_i32_e32 vcc, s28, v0
	s_and_b64 s[0:1], s[0:1], vcc
	s_and_saveexec_b64 s[2:3], s[0:1]
	s_cbranch_execz .LBB1685_14
; %bb.13:
	v_ashrrev_i32_e32 v1, 31, v0
	v_lshlrev_b64 v[1:2], 4, v[0:1]
	v_mul_f64 v[28:29], s[24:25], v[22:23]
	v_add_co_u32_e64 v1, s[0:1], v5, v1
	v_addc_co_u32_e64 v2, s[0:1], v6, v2, s[0:1]
	flat_load_dwordx4 v[7:10], v[1:2]
	v_mul_f64 v[22:23], s[22:23], v[22:23]
	v_fma_f64 v[28:29], s[22:23], v[20:21], -v[28:29]
	v_fma_f64 v[20:21], s[24:25], v[20:21], v[22:23]
	s_waitcnt vmcnt(0) lgkmcnt(0)
	v_mul_f64 v[30:31], s[14:15], v[9:10]
	v_mul_f64 v[9:10], s[12:13], v[9:10]
	v_fma_f64 v[22:23], s[12:13], v[7:8], -v[30:31]
	v_fma_f64 v[9:10], s[14:15], v[7:8], v[9:10]
	v_add_f64 v[7:8], v[28:29], v[22:23]
	v_add_f64 v[9:10], v[20:21], v[9:10]
	flat_store_dwordx4 v[1:2], v[7:10]
.LBB1685_14:
	s_or_b64 exec, exec, s[2:3]
	v_add_u32_e32 v2, 16, v0
	v_cmp_le_i32_e64 s[2:3], v4, v2
	v_cmp_gt_i32_e64 s[0:1], s28, v2
	s_and_b64 s[2:3], s[2:3], s[0:1]
	s_and_saveexec_b64 s[4:5], s[2:3]
	s_cbranch_execz .LBB1685_16
; %bb.15:
	v_ashrrev_i32_e32 v3, 31, v2
	v_lshlrev_b64 v[7:8], 4, v[2:3]
	v_mul_f64 v[20:21], s[24:25], v[14:15]
	v_add_co_u32_e64 v9, s[2:3], v5, v7
	v_addc_co_u32_e64 v10, s[2:3], v6, v8, s[2:3]
	flat_load_dwordx4 v[5:8], v[9:10]
	v_mul_f64 v[14:15], s[22:23], v[14:15]
	v_fma_f64 v[20:21], s[22:23], v[12:13], -v[20:21]
	v_fma_f64 v[11:12], s[24:25], v[12:13], v[14:15]
	s_waitcnt vmcnt(0) lgkmcnt(0)
	v_mul_f64 v[22:23], s[14:15], v[7:8]
	v_mul_f64 v[7:8], s[12:13], v[7:8]
	v_fma_f64 v[13:14], s[12:13], v[5:6], -v[22:23]
	v_fma_f64 v[7:8], s[14:15], v[5:6], v[7:8]
	v_add_f64 v[5:6], v[20:21], v[13:14]
	v_add_f64 v[7:8], v[11:12], v[7:8]
	flat_store_dwordx4 v[9:10], v[5:8]
.LBB1685_16:
	s_or_b64 exec, exec, s[4:5]
	v_add_u32_e32 v3, 16, v4
	v_ashrrev_i32_e32 v1, 31, v3
	v_mul_lo_u32 v6, s19, v3
	v_mad_u64_u32 v[4:5], s[2:3], s18, v3, 0
	v_mul_lo_u32 v1, s18, v1
	v_add3_u32 v5, v5, v1, v6
	v_lshlrev_b64 v[4:5], 4, v[4:5]
	v_mov_b32_e32 v1, s17
	v_add_co_u32_e64 v4, s[2:3], s16, v4
	v_addc_co_u32_e64 v5, s[2:3], v1, v5, s[2:3]
	v_cmp_le_i32_e64 s[2:3], v3, v0
	s_and_b64 s[4:5], s[2:3], vcc
	s_and_saveexec_b64 s[2:3], s[4:5]
	s_cbranch_execz .LBB1685_18
; %bb.17:
	v_ashrrev_i32_e32 v1, 31, v0
	v_lshlrev_b64 v[0:1], 4, v[0:1]
	v_mul_f64 v[10:11], s[24:25], v[18:19]
	v_add_co_u32_e32 v0, vcc, v4, v0
	v_addc_co_u32_e32 v1, vcc, v5, v1, vcc
	flat_load_dwordx4 v[6:9], v[0:1]
	v_mul_f64 v[12:13], s[22:23], v[18:19]
	v_fma_f64 v[10:11], s[22:23], v[16:17], -v[10:11]
	v_fma_f64 v[12:13], s[24:25], v[16:17], v[12:13]
	s_waitcnt vmcnt(0) lgkmcnt(0)
	v_mul_f64 v[14:15], s[14:15], v[8:9]
	v_mul_f64 v[8:9], s[12:13], v[8:9]
	v_fma_f64 v[14:15], s[12:13], v[6:7], -v[14:15]
	v_fma_f64 v[8:9], s[14:15], v[6:7], v[8:9]
	v_add_f64 v[6:7], v[10:11], v[14:15]
	v_add_f64 v[8:9], v[12:13], v[8:9]
	flat_store_dwordx4 v[0:1], v[6:9]
.LBB1685_18:
	s_or_b64 exec, exec, s[2:3]
	v_cmp_le_i32_e32 vcc, v3, v2
	s_and_b64 s[0:1], vcc, s[0:1]
	s_and_saveexec_b64 s[2:3], s[0:1]
	s_cbranch_execz .LBB1685_20
; %bb.19:
	v_ashrrev_i32_e32 v3, 31, v2
	v_lshlrev_b64 v[0:1], 4, v[2:3]
	v_mul_f64 v[6:7], s[24:25], v[26:27]
	v_add_co_u32_e32 v4, vcc, v4, v0
	v_addc_co_u32_e32 v5, vcc, v5, v1, vcc
	flat_load_dwordx4 v[0:3], v[4:5]
	v_mul_f64 v[8:9], s[22:23], v[26:27]
	v_fma_f64 v[6:7], s[22:23], v[24:25], -v[6:7]
	v_fma_f64 v[8:9], s[24:25], v[24:25], v[8:9]
	s_waitcnt vmcnt(0) lgkmcnt(0)
	v_mul_f64 v[10:11], s[14:15], v[2:3]
	v_mul_f64 v[2:3], s[12:13], v[2:3]
	v_fma_f64 v[10:11], s[12:13], v[0:1], -v[10:11]
	v_fma_f64 v[2:3], s[14:15], v[0:1], v[2:3]
	v_add_f64 v[0:1], v[6:7], v[10:11]
	v_add_f64 v[2:3], v[8:9], v[2:3]
	flat_store_dwordx4 v[4:5], v[0:3]
.LBB1685_20:
	s_endpgm
	.section	.rodata,"a",@progbits
	.p2align	6, 0x0
	.amdhsa_kernel _ZL34rocblas_syrkx_herkx_general_kernelIl19rocblas_complex_numIdELi16ELi32ELi8ELb0ELb0ELc84ELc76EKPKS1_KPS1_EviT_T0_PT8_S7_lSA_S7_lS8_PT9_S7_li
		.amdhsa_group_segment_fixed_size 8192
		.amdhsa_private_segment_fixed_size 0
		.amdhsa_kernarg_size 124
		.amdhsa_user_sgpr_count 6
		.amdhsa_user_sgpr_private_segment_buffer 1
		.amdhsa_user_sgpr_dispatch_ptr 0
		.amdhsa_user_sgpr_queue_ptr 0
		.amdhsa_user_sgpr_kernarg_segment_ptr 1
		.amdhsa_user_sgpr_dispatch_id 0
		.amdhsa_user_sgpr_flat_scratch_init 0
		.amdhsa_user_sgpr_private_segment_size 0
		.amdhsa_uses_dynamic_stack 0
		.amdhsa_system_sgpr_private_segment_wavefront_offset 0
		.amdhsa_system_sgpr_workgroup_id_x 1
		.amdhsa_system_sgpr_workgroup_id_y 1
		.amdhsa_system_sgpr_workgroup_id_z 1
		.amdhsa_system_sgpr_workgroup_info 0
		.amdhsa_system_vgpr_workitem_id 1
		.amdhsa_next_free_vgpr 58
		.amdhsa_next_free_sgpr 61
		.amdhsa_reserve_vcc 1
		.amdhsa_reserve_flat_scratch 0
		.amdhsa_float_round_mode_32 0
		.amdhsa_float_round_mode_16_64 0
		.amdhsa_float_denorm_mode_32 3
		.amdhsa_float_denorm_mode_16_64 3
		.amdhsa_dx10_clamp 1
		.amdhsa_ieee_mode 1
		.amdhsa_fp16_overflow 0
		.amdhsa_exception_fp_ieee_invalid_op 0
		.amdhsa_exception_fp_denorm_src 0
		.amdhsa_exception_fp_ieee_div_zero 0
		.amdhsa_exception_fp_ieee_overflow 0
		.amdhsa_exception_fp_ieee_underflow 0
		.amdhsa_exception_fp_ieee_inexact 0
		.amdhsa_exception_int_div_zero 0
	.end_amdhsa_kernel
	.section	.text._ZL34rocblas_syrkx_herkx_general_kernelIl19rocblas_complex_numIdELi16ELi32ELi8ELb0ELb0ELc84ELc76EKPKS1_KPS1_EviT_T0_PT8_S7_lSA_S7_lS8_PT9_S7_li,"axG",@progbits,_ZL34rocblas_syrkx_herkx_general_kernelIl19rocblas_complex_numIdELi16ELi32ELi8ELb0ELb0ELc84ELc76EKPKS1_KPS1_EviT_T0_PT8_S7_lSA_S7_lS8_PT9_S7_li,comdat
.Lfunc_end1685:
	.size	_ZL34rocblas_syrkx_herkx_general_kernelIl19rocblas_complex_numIdELi16ELi32ELi8ELb0ELb0ELc84ELc76EKPKS1_KPS1_EviT_T0_PT8_S7_lSA_S7_lS8_PT9_S7_li, .Lfunc_end1685-_ZL34rocblas_syrkx_herkx_general_kernelIl19rocblas_complex_numIdELi16ELi32ELi8ELb0ELb0ELc84ELc76EKPKS1_KPS1_EviT_T0_PT8_S7_lSA_S7_lS8_PT9_S7_li
                                        ; -- End function
	.set _ZL34rocblas_syrkx_herkx_general_kernelIl19rocblas_complex_numIdELi16ELi32ELi8ELb0ELb0ELc84ELc76EKPKS1_KPS1_EviT_T0_PT8_S7_lSA_S7_lS8_PT9_S7_li.num_vgpr, 58
	.set _ZL34rocblas_syrkx_herkx_general_kernelIl19rocblas_complex_numIdELi16ELi32ELi8ELb0ELb0ELc84ELc76EKPKS1_KPS1_EviT_T0_PT8_S7_lSA_S7_lS8_PT9_S7_li.num_agpr, 0
	.set _ZL34rocblas_syrkx_herkx_general_kernelIl19rocblas_complex_numIdELi16ELi32ELi8ELb0ELb0ELc84ELc76EKPKS1_KPS1_EviT_T0_PT8_S7_lSA_S7_lS8_PT9_S7_li.numbered_sgpr, 31
	.set _ZL34rocblas_syrkx_herkx_general_kernelIl19rocblas_complex_numIdELi16ELi32ELi8ELb0ELb0ELc84ELc76EKPKS1_KPS1_EviT_T0_PT8_S7_lSA_S7_lS8_PT9_S7_li.num_named_barrier, 0
	.set _ZL34rocblas_syrkx_herkx_general_kernelIl19rocblas_complex_numIdELi16ELi32ELi8ELb0ELb0ELc84ELc76EKPKS1_KPS1_EviT_T0_PT8_S7_lSA_S7_lS8_PT9_S7_li.private_seg_size, 0
	.set _ZL34rocblas_syrkx_herkx_general_kernelIl19rocblas_complex_numIdELi16ELi32ELi8ELb0ELb0ELc84ELc76EKPKS1_KPS1_EviT_T0_PT8_S7_lSA_S7_lS8_PT9_S7_li.uses_vcc, 1
	.set _ZL34rocblas_syrkx_herkx_general_kernelIl19rocblas_complex_numIdELi16ELi32ELi8ELb0ELb0ELc84ELc76EKPKS1_KPS1_EviT_T0_PT8_S7_lSA_S7_lS8_PT9_S7_li.uses_flat_scratch, 0
	.set _ZL34rocblas_syrkx_herkx_general_kernelIl19rocblas_complex_numIdELi16ELi32ELi8ELb0ELb0ELc84ELc76EKPKS1_KPS1_EviT_T0_PT8_S7_lSA_S7_lS8_PT9_S7_li.has_dyn_sized_stack, 0
	.set _ZL34rocblas_syrkx_herkx_general_kernelIl19rocblas_complex_numIdELi16ELi32ELi8ELb0ELb0ELc84ELc76EKPKS1_KPS1_EviT_T0_PT8_S7_lSA_S7_lS8_PT9_S7_li.has_recursion, 0
	.set _ZL34rocblas_syrkx_herkx_general_kernelIl19rocblas_complex_numIdELi16ELi32ELi8ELb0ELb0ELc84ELc76EKPKS1_KPS1_EviT_T0_PT8_S7_lSA_S7_lS8_PT9_S7_li.has_indirect_call, 0
	.section	.AMDGPU.csdata,"",@progbits
; Kernel info:
; codeLenInByte = 3400
; TotalNumSgprs: 35
; NumVgprs: 58
; ScratchSize: 0
; MemoryBound: 0
; FloatMode: 240
; IeeeMode: 1
; LDSByteSize: 8192 bytes/workgroup (compile time only)
; SGPRBlocks: 8
; VGPRBlocks: 14
; NumSGPRsForWavesPerEU: 65
; NumVGPRsForWavesPerEU: 58
; Occupancy: 4
; WaveLimiterHint : 1
; COMPUTE_PGM_RSRC2:SCRATCH_EN: 0
; COMPUTE_PGM_RSRC2:USER_SGPR: 6
; COMPUTE_PGM_RSRC2:TRAP_HANDLER: 0
; COMPUTE_PGM_RSRC2:TGID_X_EN: 1
; COMPUTE_PGM_RSRC2:TGID_Y_EN: 1
; COMPUTE_PGM_RSRC2:TGID_Z_EN: 1
; COMPUTE_PGM_RSRC2:TIDIG_COMP_CNT: 1
	.section	.text._ZL34rocblas_syrkx_herkx_general_kernelIl19rocblas_complex_numIdELi16ELi32ELi8ELb0ELb0ELc67ELc76EKPKS1_KPS1_EviT_T0_PT8_S7_lSA_S7_lS8_PT9_S7_li,"axG",@progbits,_ZL34rocblas_syrkx_herkx_general_kernelIl19rocblas_complex_numIdELi16ELi32ELi8ELb0ELb0ELc67ELc76EKPKS1_KPS1_EviT_T0_PT8_S7_lSA_S7_lS8_PT9_S7_li,comdat
	.globl	_ZL34rocblas_syrkx_herkx_general_kernelIl19rocblas_complex_numIdELi16ELi32ELi8ELb0ELb0ELc67ELc76EKPKS1_KPS1_EviT_T0_PT8_S7_lSA_S7_lS8_PT9_S7_li ; -- Begin function _ZL34rocblas_syrkx_herkx_general_kernelIl19rocblas_complex_numIdELi16ELi32ELi8ELb0ELb0ELc67ELc76EKPKS1_KPS1_EviT_T0_PT8_S7_lSA_S7_lS8_PT9_S7_li
	.p2align	8
	.type	_ZL34rocblas_syrkx_herkx_general_kernelIl19rocblas_complex_numIdELi16ELi32ELi8ELb0ELb0ELc67ELc76EKPKS1_KPS1_EviT_T0_PT8_S7_lSA_S7_lS8_PT9_S7_li,@function
_ZL34rocblas_syrkx_herkx_general_kernelIl19rocblas_complex_numIdELi16ELi32ELi8ELb0ELb0ELc67ELc76EKPKS1_KPS1_EviT_T0_PT8_S7_lSA_S7_lS8_PT9_S7_li: ; @_ZL34rocblas_syrkx_herkx_general_kernelIl19rocblas_complex_numIdELi16ELi32ELi8ELb0ELb0ELc67ELc76EKPKS1_KPS1_EviT_T0_PT8_S7_lSA_S7_lS8_PT9_S7_li
; %bb.0:
	s_load_dword s28, s[4:5], 0x0
	s_load_dwordx8 s[12:19], s[4:5], 0x50
	s_load_dwordx8 s[20:27], s[4:5], 0x8
	s_load_dwordx2 s[2:3], s[4:5], 0x28
	s_mov_b32 s9, 0
	s_lshl_b64 s[0:1], s[8:9], 3
	s_waitcnt lgkmcnt(0)
	s_add_u32 s8, s16, s0
	s_addc_u32 s9, s17, s1
	s_load_dwordx2 s[16:17], s[8:9], 0x0
	v_cmp_lt_i64_e64 s[8:9], s[20:21], 1
	s_lshl_b32 s29, s6, 5
	s_lshl_b32 s30, s7, 5
	s_and_b64 vcc, exec, s[8:9]
	s_cbranch_vccnz .LBB1686_9
; %bb.1:
	s_load_dwordx4 s[8:11], s[4:5], 0x38
	v_lshl_add_u32 v2, v1, 4, v0
	v_and_b32_e32 v5, 31, v2
	v_or_b32_e32 v6, s29, v5
	v_and_b32_e32 v30, 7, v0
	s_waitcnt lgkmcnt(0)
	s_add_u32 s4, s8, s0
	s_addc_u32 s5, s9, s1
	s_add_u32 s0, s26, s0
	s_addc_u32 s1, s27, s1
	v_lshrrev_b32_e32 v3, 3, v2
	v_lshrrev_b32_e32 v29, 5, v2
	s_load_dwordx2 s[6:7], s[0:1], 0x0
	v_cmp_gt_i32_e64 s[0:1], s28, v6
	v_lshlrev_b32_e32 v2, 4, v5
	v_lshlrev_b32_e32 v6, 4, v30
	v_lshl_or_b32 v31, v29, 9, v2
	v_lshl_or_b32 v2, v3, 7, v6
	v_add_u32_e32 v32, 0x1000, v2
	v_add_u32_e32 v2, s29, v5
	;; [unrolled: 1-line block ×3, first 2 shown]
	v_ashrrev_i32_e32 v3, 31, v2
	v_mul_lo_u32 v5, s2, v3
	v_mul_lo_u32 v8, s3, v2
	v_mad_u64_u32 v[2:3], s[2:3], s2, v2, 0
	v_ashrrev_i32_e32 v7, 31, v4
	v_mul_lo_u32 v10, s10, v7
	v_add3_u32 v3, v3, v5, v8
	v_lshlrev_b64 v[2:3], 4, v[2:3]
	v_lshlrev_b32_e32 v5, 4, v29
	v_add_co_u32_e64 v5, s[2:3], v2, v5
	v_addc_co_u32_e64 v8, s[2:3], 0, v3, s[2:3]
	v_mul_lo_u32 v11, s11, v4
	v_mad_u64_u32 v[2:3], s[2:3], s10, v4, 0
	s_load_dwordx2 s[4:5], s[4:5], 0x0
	v_mov_b32_e32 v9, 0x1000
	v_add3_u32 v3, v3, v10, v11
	v_lshl_add_u32 v34, v1, 7, v9
	s_waitcnt lgkmcnt(0)
	v_mov_b32_e32 v9, s7
	v_add_co_u32_e64 v7, s[2:3], s6, v5
	v_lshlrev_b64 v[2:3], 4, v[2:3]
	v_addc_co_u32_e64 v8, s[2:3], v9, v8, s[2:3]
	v_add_co_u32_e64 v2, s[2:3], v2, v6
	v_addc_co_u32_e64 v3, s[2:3], 0, v3, s[2:3]
	v_cmp_gt_i32_e32 vcc, s28, v4
	v_mov_b32_e32 v4, s5
	v_add_co_u32_e64 v9, s[2:3], s4, v2
	v_addc_co_u32_e64 v10, s[2:3], v4, v3, s[2:3]
	v_mov_b32_e32 v27, 0
	v_mov_b32_e32 v11, s20
	;; [unrolled: 1-line block ×9, first 2 shown]
	v_lshlrev_b32_e32 v33, 4, v0
	s_mov_b64 s[2:3], 0
	v_mov_b32_e32 v28, 0
	s_xor_b64 s[4:5], vcc, -1
	v_mov_b32_e32 v12, s21
	v_mov_b32_e32 v26, 0
	;; [unrolled: 1-line block ×9, first 2 shown]
	s_branch .LBB1686_3
.LBB1686_2:                             ;   in Loop: Header=BB1686_3 Depth=1
	s_or_b64 exec, exec, s[6:7]
	s_waitcnt lgkmcnt(0)
	s_barrier
	ds_read_b128 v[3:6], v34
	ds_read_b128 v[35:38], v34 offset:16
	ds_read_b128 v[39:42], v34 offset:32
	;; [unrolled: 1-line block ×3, first 2 shown]
	ds_read_b128 v[47:50], v33
	v_add_co_u32_e32 v7, vcc, 0x80, v7
	v_addc_co_u32_e32 v8, vcc, 0, v8, vcc
	s_waitcnt lgkmcnt(0)
	v_mul_f64 v[51:52], v[5:6], v[49:50]
	v_mul_f64 v[53:54], v[3:4], v[49:50]
	s_add_u32 s2, s2, 8
	v_add_co_u32_e32 v9, vcc, 0x80, v9
	s_addc_u32 s3, s3, 0
	v_addc_co_u32_e32 v10, vcc, 0, v10, vcc
	v_fma_f64 v[51:52], v[3:4], v[47:48], -v[51:52]
	v_fma_f64 v[53:54], v[5:6], v[47:48], v[53:54]
	v_cmp_ge_i64_e32 vcc, s[2:3], v[11:12]
	s_and_b64 vcc, exec, vcc
	v_add_f64 v[51:52], v[21:22], v[51:52]
	v_add_f64 v[53:54], v[53:54], v[23:24]
	ds_read_b128 v[21:24], v33 offset:256
	s_waitcnt lgkmcnt(0)
	v_mul_f64 v[55:56], v[5:6], v[23:24]
	v_fma_f64 v[55:56], v[3:4], v[21:22], -v[55:56]
	v_mul_f64 v[3:4], v[3:4], v[23:24]
	v_add_f64 v[55:56], v[13:14], v[55:56]
	v_fma_f64 v[3:4], v[5:6], v[21:22], v[3:4]
	v_add_f64 v[57:58], v[3:4], v[15:16]
	ds_read_b128 v[3:6], v34 offset:2048
	s_waitcnt lgkmcnt(0)
	v_mul_f64 v[13:14], v[5:6], v[49:50]
	v_mul_f64 v[15:16], v[3:4], v[49:50]
	v_fma_f64 v[13:14], v[3:4], v[47:48], -v[13:14]
	v_fma_f64 v[15:16], v[5:6], v[47:48], v[15:16]
	v_add_f64 v[47:48], v[17:18], v[13:14]
	v_mul_f64 v[13:14], v[5:6], v[23:24]
	v_add_f64 v[49:50], v[15:16], v[19:20]
	v_fma_f64 v[13:14], v[3:4], v[21:22], -v[13:14]
	v_mul_f64 v[3:4], v[3:4], v[23:24]
	v_fma_f64 v[3:4], v[5:6], v[21:22], v[3:4]
	v_add_f64 v[21:22], v[25:26], v[13:14]
	v_add_f64 v[23:24], v[3:4], v[27:28]
	ds_read_b128 v[3:6], v33 offset:512
	s_waitcnt lgkmcnt(0)
	v_mul_f64 v[13:14], v[37:38], v[5:6]
	v_mul_f64 v[15:16], v[35:36], v[5:6]
	v_fma_f64 v[13:14], v[35:36], v[3:4], -v[13:14]
	v_fma_f64 v[15:16], v[37:38], v[3:4], v[15:16]
	v_add_f64 v[25:26], v[51:52], v[13:14]
	v_add_f64 v[27:28], v[15:16], v[53:54]
	ds_read_b128 v[13:16], v33 offset:768
	s_waitcnt lgkmcnt(0)
	v_mul_f64 v[17:18], v[37:38], v[15:16]
	v_mul_f64 v[19:20], v[35:36], v[15:16]
	v_fma_f64 v[17:18], v[35:36], v[13:14], -v[17:18]
	;; [unrolled: 8-line block ×3, first 2 shown]
	v_fma_f64 v[3:4], v[19:20], v[3:4], v[5:6]
	v_mul_f64 v[5:6], v[17:18], v[15:16]
	v_add_f64 v[47:48], v[47:48], v[51:52]
	v_add_f64 v[49:50], v[3:4], v[49:50]
	v_mul_f64 v[3:4], v[19:20], v[15:16]
	v_fma_f64 v[5:6], v[19:20], v[13:14], v[5:6]
	v_fma_f64 v[3:4], v[17:18], v[13:14], -v[3:4]
	v_add_f64 v[23:24], v[5:6], v[23:24]
	v_add_f64 v[21:22], v[21:22], v[3:4]
	ds_read_b128 v[3:6], v33 offset:1024
	s_waitcnt lgkmcnt(0)
	v_mul_f64 v[13:14], v[41:42], v[5:6]
	v_mul_f64 v[15:16], v[39:40], v[5:6]
	v_fma_f64 v[13:14], v[39:40], v[3:4], -v[13:14]
	v_fma_f64 v[15:16], v[41:42], v[3:4], v[15:16]
	v_add_f64 v[25:26], v[25:26], v[13:14]
	v_add_f64 v[27:28], v[15:16], v[27:28]
	ds_read_b128 v[13:16], v33 offset:1280
	s_waitcnt lgkmcnt(0)
	v_mul_f64 v[17:18], v[41:42], v[15:16]
	v_mul_f64 v[19:20], v[39:40], v[15:16]
	v_fma_f64 v[17:18], v[39:40], v[13:14], -v[17:18]
	v_fma_f64 v[19:20], v[41:42], v[13:14], v[19:20]
	;; [unrolled: 8-line block ×3, first 2 shown]
	v_mul_f64 v[5:6], v[17:18], v[15:16]
	v_add_f64 v[39:40], v[47:48], v[39:40]
	v_add_f64 v[41:42], v[3:4], v[49:50]
	v_mul_f64 v[3:4], v[19:20], v[15:16]
	v_fma_f64 v[5:6], v[19:20], v[13:14], v[5:6]
	v_fma_f64 v[3:4], v[17:18], v[13:14], -v[3:4]
	v_add_f64 v[23:24], v[5:6], v[23:24]
	v_add_f64 v[21:22], v[21:22], v[3:4]
	ds_read_b128 v[3:6], v33 offset:1536
	s_waitcnt lgkmcnt(0)
	v_mul_f64 v[13:14], v[45:46], v[5:6]
	v_mul_f64 v[15:16], v[43:44], v[5:6]
	v_fma_f64 v[13:14], v[43:44], v[3:4], -v[13:14]
	v_fma_f64 v[15:16], v[45:46], v[3:4], v[15:16]
	v_add_f64 v[25:26], v[25:26], v[13:14]
	v_add_f64 v[27:28], v[15:16], v[27:28]
	ds_read_b128 v[13:16], v33 offset:1792
	s_waitcnt lgkmcnt(0)
	v_mul_f64 v[17:18], v[45:46], v[15:16]
	v_mul_f64 v[19:20], v[43:44], v[15:16]
	v_fma_f64 v[17:18], v[43:44], v[13:14], -v[17:18]
	v_fma_f64 v[19:20], v[45:46], v[13:14], v[19:20]
	;; [unrolled: 8-line block ×3, first 2 shown]
	v_mul_f64 v[5:6], v[17:18], v[15:16]
	v_add_f64 v[39:40], v[39:40], v[43:44]
	v_add_f64 v[41:42], v[3:4], v[41:42]
	v_mul_f64 v[3:4], v[19:20], v[15:16]
	v_fma_f64 v[5:6], v[19:20], v[13:14], v[5:6]
	v_fma_f64 v[3:4], v[17:18], v[13:14], -v[3:4]
	v_add_f64 v[23:24], v[5:6], v[23:24]
	v_add_f64 v[21:22], v[21:22], v[3:4]
	ds_read_b128 v[3:6], v34 offset:64
	ds_read_b128 v[13:16], v33 offset:2048
	s_waitcnt lgkmcnt(0)
	v_mul_f64 v[17:18], v[5:6], v[15:16]
	v_mul_f64 v[19:20], v[3:4], v[15:16]
	v_fma_f64 v[17:18], v[3:4], v[13:14], -v[17:18]
	v_fma_f64 v[19:20], v[5:6], v[13:14], v[19:20]
	v_add_f64 v[25:26], v[25:26], v[17:18]
	v_add_f64 v[27:28], v[19:20], v[27:28]
	ds_read_b128 v[17:20], v33 offset:2304
	s_waitcnt lgkmcnt(0)
	v_mul_f64 v[43:44], v[5:6], v[19:20]
	v_fma_f64 v[43:44], v[3:4], v[17:18], -v[43:44]
	v_mul_f64 v[3:4], v[3:4], v[19:20]
	v_add_f64 v[35:36], v[35:36], v[43:44]
	v_fma_f64 v[3:4], v[5:6], v[17:18], v[3:4]
	v_add_f64 v[37:38], v[3:4], v[37:38]
	ds_read_b128 v[3:6], v34 offset:2112
	s_waitcnt lgkmcnt(0)
	v_mul_f64 v[43:44], v[5:6], v[15:16]
	v_mul_f64 v[15:16], v[3:4], v[15:16]
	v_fma_f64 v[43:44], v[3:4], v[13:14], -v[43:44]
	v_fma_f64 v[13:14], v[5:6], v[13:14], v[15:16]
	v_add_f64 v[39:40], v[39:40], v[43:44]
	v_add_f64 v[41:42], v[13:14], v[41:42]
	v_mul_f64 v[13:14], v[5:6], v[19:20]
	v_fma_f64 v[13:14], v[3:4], v[17:18], -v[13:14]
	v_mul_f64 v[3:4], v[3:4], v[19:20]
	v_add_f64 v[21:22], v[21:22], v[13:14]
	v_fma_f64 v[3:4], v[5:6], v[17:18], v[3:4]
	v_add_f64 v[23:24], v[3:4], v[23:24]
	ds_read_b128 v[3:6], v34 offset:80
	ds_read_b128 v[13:16], v33 offset:2560
	s_waitcnt lgkmcnt(0)
	v_mul_f64 v[17:18], v[5:6], v[15:16]
	v_mul_f64 v[19:20], v[3:4], v[15:16]
	v_fma_f64 v[17:18], v[3:4], v[13:14], -v[17:18]
	v_fma_f64 v[19:20], v[5:6], v[13:14], v[19:20]
	v_add_f64 v[25:26], v[25:26], v[17:18]
	v_add_f64 v[27:28], v[19:20], v[27:28]
	ds_read_b128 v[17:20], v33 offset:2816
	s_waitcnt lgkmcnt(0)
	v_mul_f64 v[43:44], v[5:6], v[19:20]
	v_fma_f64 v[43:44], v[3:4], v[17:18], -v[43:44]
	v_mul_f64 v[3:4], v[3:4], v[19:20]
	v_add_f64 v[35:36], v[35:36], v[43:44]
	v_fma_f64 v[3:4], v[5:6], v[17:18], v[3:4]
	v_add_f64 v[37:38], v[3:4], v[37:38]
	ds_read_b128 v[3:6], v34 offset:2128
	s_waitcnt lgkmcnt(0)
	v_mul_f64 v[43:44], v[5:6], v[15:16]
	v_mul_f64 v[15:16], v[3:4], v[15:16]
	v_fma_f64 v[43:44], v[3:4], v[13:14], -v[43:44]
	v_fma_f64 v[13:14], v[5:6], v[13:14], v[15:16]
	v_add_f64 v[39:40], v[39:40], v[43:44]
	v_add_f64 v[41:42], v[13:14], v[41:42]
	v_mul_f64 v[13:14], v[5:6], v[19:20]
	v_fma_f64 v[13:14], v[3:4], v[17:18], -v[13:14]
	v_mul_f64 v[3:4], v[3:4], v[19:20]
	v_add_f64 v[21:22], v[21:22], v[13:14]
	v_fma_f64 v[3:4], v[5:6], v[17:18], v[3:4]
	;; [unrolled: 31-line block ×3, first 2 shown]
	v_add_f64 v[45:46], v[3:4], v[23:24]
	ds_read_b128 v[3:6], v34 offset:112
	ds_read_b128 v[17:20], v33 offset:3584
	s_waitcnt lgkmcnt(0)
	v_mul_f64 v[13:14], v[5:6], v[19:20]
	v_mul_f64 v[15:16], v[3:4], v[19:20]
	v_fma_f64 v[13:14], v[3:4], v[17:18], -v[13:14]
	v_fma_f64 v[15:16], v[5:6], v[17:18], v[15:16]
	v_add_f64 v[21:22], v[25:26], v[13:14]
	v_add_f64 v[23:24], v[15:16], v[27:28]
	ds_read_b128 v[25:28], v33 offset:3840
	s_waitcnt lgkmcnt(0)
	v_mul_f64 v[13:14], v[5:6], v[27:28]
	v_fma_f64 v[13:14], v[3:4], v[25:26], -v[13:14]
	v_mul_f64 v[3:4], v[3:4], v[27:28]
	v_add_f64 v[13:14], v[35:36], v[13:14]
	v_fma_f64 v[3:4], v[5:6], v[25:26], v[3:4]
	v_add_f64 v[15:16], v[3:4], v[37:38]
	ds_read_b128 v[3:6], v34 offset:2160
	s_waitcnt lgkmcnt(0)
	s_barrier
	v_mul_f64 v[35:36], v[5:6], v[19:20]
	v_mul_f64 v[19:20], v[3:4], v[19:20]
	v_fma_f64 v[35:36], v[3:4], v[17:18], -v[35:36]
	v_fma_f64 v[19:20], v[5:6], v[17:18], v[19:20]
	v_add_f64 v[17:18], v[39:40], v[35:36]
	v_mul_f64 v[35:36], v[5:6], v[27:28]
	v_add_f64 v[19:20], v[19:20], v[41:42]
	v_fma_f64 v[35:36], v[3:4], v[25:26], -v[35:36]
	v_mul_f64 v[3:4], v[3:4], v[27:28]
	v_fma_f64 v[3:4], v[5:6], v[25:26], v[3:4]
	v_add_f64 v[25:26], v[43:44], v[35:36]
	v_add_f64 v[27:28], v[3:4], v[45:46]
	s_cbranch_vccnz .LBB1686_10
.LBB1686_3:                             ; =>This Inner Loop Header: Depth=1
	v_mov_b32_e32 v4, s3
	v_add_co_u32_e32 v3, vcc, s2, v29
	v_addc_co_u32_e32 v4, vcc, 0, v4, vcc
	v_cmp_gt_i64_e32 vcc, s[20:21], v[3:4]
	v_mov_b32_e32 v3, 0
	v_mov_b32_e32 v5, 0
	;; [unrolled: 1-line block ×4, first 2 shown]
	s_and_b64 s[8:9], s[0:1], vcc
	s_and_saveexec_b64 s[6:7], s[8:9]
	s_cbranch_execz .LBB1686_5
; %bb.4:                                ;   in Loop: Header=BB1686_3 Depth=1
	flat_load_dwordx4 v[3:6], v[7:8]
.LBB1686_5:                             ;   in Loop: Header=BB1686_3 Depth=1
	s_or_b64 exec, exec, s[6:7]
	v_mov_b32_e32 v36, s3
	v_add_co_u32_e32 v35, vcc, s2, v30
	v_addc_co_u32_e32 v36, vcc, 0, v36, vcc
	v_cmp_le_i64_e32 vcc, s[20:21], v[35:36]
	s_waitcnt vmcnt(0) lgkmcnt(0)
	ds_write_b128 v31, v[3:6]
	s_or_b64 s[6:7], vcc, s[4:5]
	s_and_saveexec_b64 s[8:9], s[6:7]
	s_xor_b64 s[6:7], exec, s[8:9]
; %bb.6:                                ;   in Loop: Header=BB1686_3 Depth=1
	v_mov_b32_e32 v3, v2
	v_mov_b32_e32 v4, v2
	;; [unrolled: 1-line block ×3, first 2 shown]
	ds_write_b128 v32, v[2:5]
; %bb.7:                                ;   in Loop: Header=BB1686_3 Depth=1
	s_andn2_saveexec_b64 s[6:7], s[6:7]
	s_cbranch_execz .LBB1686_2
; %bb.8:                                ;   in Loop: Header=BB1686_3 Depth=1
	flat_load_dwordx4 v[3:6], v[9:10]
	s_waitcnt vmcnt(0) lgkmcnt(0)
	ds_write2_b64 v32, v[3:4], v[5:6] offset1:1
	s_branch .LBB1686_2
.LBB1686_9:
	v_mov_b32_e32 v21, 0
	v_mov_b32_e32 v23, 0
	;; [unrolled: 1-line block ×16, first 2 shown]
.LBB1686_10:
	v_add_u32_e32 v4, s30, v1
	v_ashrrev_i32_e32 v1, 31, v4
	v_mul_lo_u32 v3, s18, v1
	v_mul_lo_u32 v5, s19, v4
	v_mad_u64_u32 v[1:2], s[0:1], s18, v4, 0
	v_add_u32_e32 v0, s29, v0
	v_cmp_le_i32_e64 s[0:1], v4, v0
	v_add3_u32 v2, v2, v3, v5
	v_lshlrev_b64 v[1:2], 4, v[1:2]
	s_waitcnt lgkmcnt(0)
	v_mov_b32_e32 v3, s17
	v_add_co_u32_e32 v5, vcc, s16, v1
	v_addc_co_u32_e32 v6, vcc, v3, v2, vcc
	v_cmp_gt_i32_e32 vcc, s28, v0
	s_and_b64 s[0:1], s[0:1], vcc
	s_and_saveexec_b64 s[2:3], s[0:1]
	s_cbranch_execz .LBB1686_12
; %bb.11:
	v_ashrrev_i32_e32 v1, 31, v0
	v_lshlrev_b64 v[1:2], 4, v[0:1]
	v_mul_f64 v[11:12], s[24:25], v[23:24]
	v_add_co_u32_e64 v1, s[0:1], v5, v1
	v_addc_co_u32_e64 v2, s[0:1], v6, v2, s[0:1]
	flat_load_dwordx4 v[7:10], v[1:2]
	v_mul_f64 v[23:24], s[22:23], v[23:24]
	v_fma_f64 v[11:12], s[22:23], v[21:22], -v[11:12]
	v_fma_f64 v[21:22], s[24:25], v[21:22], v[23:24]
	s_waitcnt vmcnt(0) lgkmcnt(0)
	v_mul_f64 v[29:30], s[14:15], v[9:10]
	v_mul_f64 v[9:10], s[12:13], v[9:10]
	v_fma_f64 v[23:24], s[12:13], v[7:8], -v[29:30]
	v_fma_f64 v[9:10], s[14:15], v[7:8], v[9:10]
	v_add_f64 v[7:8], v[11:12], v[23:24]
	v_add_f64 v[9:10], v[21:22], v[9:10]
	flat_store_dwordx4 v[1:2], v[7:10]
.LBB1686_12:
	s_or_b64 exec, exec, s[2:3]
	v_add_u32_e32 v2, 16, v0
	v_cmp_le_i32_e64 s[2:3], v4, v2
	v_cmp_gt_i32_e64 s[0:1], s28, v2
	s_and_b64 s[2:3], s[2:3], s[0:1]
	s_and_saveexec_b64 s[4:5], s[2:3]
	s_cbranch_execz .LBB1686_14
; %bb.13:
	v_ashrrev_i32_e32 v3, 31, v2
	v_lshlrev_b64 v[7:8], 4, v[2:3]
	v_mul_f64 v[11:12], s[24:25], v[15:16]
	v_add_co_u32_e64 v9, s[2:3], v5, v7
	v_addc_co_u32_e64 v10, s[2:3], v6, v8, s[2:3]
	flat_load_dwordx4 v[5:8], v[9:10]
	v_mul_f64 v[15:16], s[22:23], v[15:16]
	v_fma_f64 v[11:12], s[22:23], v[13:14], -v[11:12]
	v_fma_f64 v[13:14], s[24:25], v[13:14], v[15:16]
	s_waitcnt vmcnt(0) lgkmcnt(0)
	v_mul_f64 v[21:22], s[14:15], v[7:8]
	v_mul_f64 v[7:8], s[12:13], v[7:8]
	v_fma_f64 v[15:16], s[12:13], v[5:6], -v[21:22]
	v_fma_f64 v[7:8], s[14:15], v[5:6], v[7:8]
	v_add_f64 v[5:6], v[11:12], v[15:16]
	v_add_f64 v[7:8], v[13:14], v[7:8]
	flat_store_dwordx4 v[9:10], v[5:8]
.LBB1686_14:
	s_or_b64 exec, exec, s[4:5]
	v_add_u32_e32 v3, 16, v4
	v_ashrrev_i32_e32 v1, 31, v3
	v_mul_lo_u32 v6, s19, v3
	v_mad_u64_u32 v[4:5], s[2:3], s18, v3, 0
	v_mul_lo_u32 v1, s18, v1
	v_add3_u32 v5, v5, v1, v6
	v_lshlrev_b64 v[4:5], 4, v[4:5]
	v_mov_b32_e32 v1, s17
	v_add_co_u32_e64 v4, s[2:3], s16, v4
	v_addc_co_u32_e64 v5, s[2:3], v1, v5, s[2:3]
	v_cmp_le_i32_e64 s[2:3], v3, v0
	s_and_b64 s[4:5], s[2:3], vcc
	s_and_saveexec_b64 s[2:3], s[4:5]
	s_cbranch_execz .LBB1686_16
; %bb.15:
	v_ashrrev_i32_e32 v1, 31, v0
	v_lshlrev_b64 v[0:1], 4, v[0:1]
	v_mul_f64 v[10:11], s[24:25], v[19:20]
	v_add_co_u32_e32 v0, vcc, v4, v0
	v_addc_co_u32_e32 v1, vcc, v5, v1, vcc
	flat_load_dwordx4 v[6:9], v[0:1]
	v_mul_f64 v[12:13], s[22:23], v[19:20]
	v_fma_f64 v[10:11], s[22:23], v[17:18], -v[10:11]
	v_fma_f64 v[12:13], s[24:25], v[17:18], v[12:13]
	s_waitcnt vmcnt(0) lgkmcnt(0)
	v_mul_f64 v[14:15], s[14:15], v[8:9]
	v_mul_f64 v[8:9], s[12:13], v[8:9]
	v_fma_f64 v[14:15], s[12:13], v[6:7], -v[14:15]
	v_fma_f64 v[8:9], s[14:15], v[6:7], v[8:9]
	v_add_f64 v[6:7], v[10:11], v[14:15]
	v_add_f64 v[8:9], v[12:13], v[8:9]
	flat_store_dwordx4 v[0:1], v[6:9]
.LBB1686_16:
	s_or_b64 exec, exec, s[2:3]
	v_cmp_le_i32_e32 vcc, v3, v2
	s_and_b64 s[0:1], vcc, s[0:1]
	s_and_saveexec_b64 s[2:3], s[0:1]
	s_cbranch_execz .LBB1686_18
; %bb.17:
	v_ashrrev_i32_e32 v3, 31, v2
	v_lshlrev_b64 v[0:1], 4, v[2:3]
	v_mul_f64 v[6:7], s[24:25], v[27:28]
	v_add_co_u32_e32 v4, vcc, v4, v0
	v_addc_co_u32_e32 v5, vcc, v5, v1, vcc
	flat_load_dwordx4 v[0:3], v[4:5]
	v_mul_f64 v[8:9], s[22:23], v[27:28]
	v_fma_f64 v[6:7], s[22:23], v[25:26], -v[6:7]
	v_fma_f64 v[8:9], s[24:25], v[25:26], v[8:9]
	s_waitcnt vmcnt(0) lgkmcnt(0)
	v_mul_f64 v[10:11], s[14:15], v[2:3]
	v_mul_f64 v[2:3], s[12:13], v[2:3]
	v_fma_f64 v[10:11], s[12:13], v[0:1], -v[10:11]
	v_fma_f64 v[2:3], s[14:15], v[0:1], v[2:3]
	v_add_f64 v[0:1], v[6:7], v[10:11]
	v_add_f64 v[2:3], v[8:9], v[2:3]
	flat_store_dwordx4 v[4:5], v[0:3]
.LBB1686_18:
	s_endpgm
	.section	.rodata,"a",@progbits
	.p2align	6, 0x0
	.amdhsa_kernel _ZL34rocblas_syrkx_herkx_general_kernelIl19rocblas_complex_numIdELi16ELi32ELi8ELb0ELb0ELc67ELc76EKPKS1_KPS1_EviT_T0_PT8_S7_lSA_S7_lS8_PT9_S7_li
		.amdhsa_group_segment_fixed_size 8192
		.amdhsa_private_segment_fixed_size 0
		.amdhsa_kernarg_size 124
		.amdhsa_user_sgpr_count 6
		.amdhsa_user_sgpr_private_segment_buffer 1
		.amdhsa_user_sgpr_dispatch_ptr 0
		.amdhsa_user_sgpr_queue_ptr 0
		.amdhsa_user_sgpr_kernarg_segment_ptr 1
		.amdhsa_user_sgpr_dispatch_id 0
		.amdhsa_user_sgpr_flat_scratch_init 0
		.amdhsa_user_sgpr_private_segment_size 0
		.amdhsa_uses_dynamic_stack 0
		.amdhsa_system_sgpr_private_segment_wavefront_offset 0
		.amdhsa_system_sgpr_workgroup_id_x 1
		.amdhsa_system_sgpr_workgroup_id_y 1
		.amdhsa_system_sgpr_workgroup_id_z 1
		.amdhsa_system_sgpr_workgroup_info 0
		.amdhsa_system_vgpr_workitem_id 1
		.amdhsa_next_free_vgpr 59
		.amdhsa_next_free_sgpr 61
		.amdhsa_reserve_vcc 1
		.amdhsa_reserve_flat_scratch 0
		.amdhsa_float_round_mode_32 0
		.amdhsa_float_round_mode_16_64 0
		.amdhsa_float_denorm_mode_32 3
		.amdhsa_float_denorm_mode_16_64 3
		.amdhsa_dx10_clamp 1
		.amdhsa_ieee_mode 1
		.amdhsa_fp16_overflow 0
		.amdhsa_exception_fp_ieee_invalid_op 0
		.amdhsa_exception_fp_denorm_src 0
		.amdhsa_exception_fp_ieee_div_zero 0
		.amdhsa_exception_fp_ieee_overflow 0
		.amdhsa_exception_fp_ieee_underflow 0
		.amdhsa_exception_fp_ieee_inexact 0
		.amdhsa_exception_int_div_zero 0
	.end_amdhsa_kernel
	.section	.text._ZL34rocblas_syrkx_herkx_general_kernelIl19rocblas_complex_numIdELi16ELi32ELi8ELb0ELb0ELc67ELc76EKPKS1_KPS1_EviT_T0_PT8_S7_lSA_S7_lS8_PT9_S7_li,"axG",@progbits,_ZL34rocblas_syrkx_herkx_general_kernelIl19rocblas_complex_numIdELi16ELi32ELi8ELb0ELb0ELc67ELc76EKPKS1_KPS1_EviT_T0_PT8_S7_lSA_S7_lS8_PT9_S7_li,comdat
.Lfunc_end1686:
	.size	_ZL34rocblas_syrkx_herkx_general_kernelIl19rocblas_complex_numIdELi16ELi32ELi8ELb0ELb0ELc67ELc76EKPKS1_KPS1_EviT_T0_PT8_S7_lSA_S7_lS8_PT9_S7_li, .Lfunc_end1686-_ZL34rocblas_syrkx_herkx_general_kernelIl19rocblas_complex_numIdELi16ELi32ELi8ELb0ELb0ELc67ELc76EKPKS1_KPS1_EviT_T0_PT8_S7_lSA_S7_lS8_PT9_S7_li
                                        ; -- End function
	.set _ZL34rocblas_syrkx_herkx_general_kernelIl19rocblas_complex_numIdELi16ELi32ELi8ELb0ELb0ELc67ELc76EKPKS1_KPS1_EviT_T0_PT8_S7_lSA_S7_lS8_PT9_S7_li.num_vgpr, 59
	.set _ZL34rocblas_syrkx_herkx_general_kernelIl19rocblas_complex_numIdELi16ELi32ELi8ELb0ELb0ELc67ELc76EKPKS1_KPS1_EviT_T0_PT8_S7_lSA_S7_lS8_PT9_S7_li.num_agpr, 0
	.set _ZL34rocblas_syrkx_herkx_general_kernelIl19rocblas_complex_numIdELi16ELi32ELi8ELb0ELb0ELc67ELc76EKPKS1_KPS1_EviT_T0_PT8_S7_lSA_S7_lS8_PT9_S7_li.numbered_sgpr, 31
	.set _ZL34rocblas_syrkx_herkx_general_kernelIl19rocblas_complex_numIdELi16ELi32ELi8ELb0ELb0ELc67ELc76EKPKS1_KPS1_EviT_T0_PT8_S7_lSA_S7_lS8_PT9_S7_li.num_named_barrier, 0
	.set _ZL34rocblas_syrkx_herkx_general_kernelIl19rocblas_complex_numIdELi16ELi32ELi8ELb0ELb0ELc67ELc76EKPKS1_KPS1_EviT_T0_PT8_S7_lSA_S7_lS8_PT9_S7_li.private_seg_size, 0
	.set _ZL34rocblas_syrkx_herkx_general_kernelIl19rocblas_complex_numIdELi16ELi32ELi8ELb0ELb0ELc67ELc76EKPKS1_KPS1_EviT_T0_PT8_S7_lSA_S7_lS8_PT9_S7_li.uses_vcc, 1
	.set _ZL34rocblas_syrkx_herkx_general_kernelIl19rocblas_complex_numIdELi16ELi32ELi8ELb0ELb0ELc67ELc76EKPKS1_KPS1_EviT_T0_PT8_S7_lSA_S7_lS8_PT9_S7_li.uses_flat_scratch, 0
	.set _ZL34rocblas_syrkx_herkx_general_kernelIl19rocblas_complex_numIdELi16ELi32ELi8ELb0ELb0ELc67ELc76EKPKS1_KPS1_EviT_T0_PT8_S7_lSA_S7_lS8_PT9_S7_li.has_dyn_sized_stack, 0
	.set _ZL34rocblas_syrkx_herkx_general_kernelIl19rocblas_complex_numIdELi16ELi32ELi8ELb0ELb0ELc67ELc76EKPKS1_KPS1_EviT_T0_PT8_S7_lSA_S7_lS8_PT9_S7_li.has_recursion, 0
	.set _ZL34rocblas_syrkx_herkx_general_kernelIl19rocblas_complex_numIdELi16ELi32ELi8ELb0ELb0ELc67ELc76EKPKS1_KPS1_EviT_T0_PT8_S7_lSA_S7_lS8_PT9_S7_li.has_indirect_call, 0
	.section	.AMDGPU.csdata,"",@progbits
; Kernel info:
; codeLenInByte = 3384
; TotalNumSgprs: 35
; NumVgprs: 59
; ScratchSize: 0
; MemoryBound: 1
; FloatMode: 240
; IeeeMode: 1
; LDSByteSize: 8192 bytes/workgroup (compile time only)
; SGPRBlocks: 8
; VGPRBlocks: 14
; NumSGPRsForWavesPerEU: 65
; NumVGPRsForWavesPerEU: 59
; Occupancy: 4
; WaveLimiterHint : 1
; COMPUTE_PGM_RSRC2:SCRATCH_EN: 0
; COMPUTE_PGM_RSRC2:USER_SGPR: 6
; COMPUTE_PGM_RSRC2:TRAP_HANDLER: 0
; COMPUTE_PGM_RSRC2:TGID_X_EN: 1
; COMPUTE_PGM_RSRC2:TGID_Y_EN: 1
; COMPUTE_PGM_RSRC2:TGID_Z_EN: 1
; COMPUTE_PGM_RSRC2:TIDIG_COMP_CNT: 1
	.section	.text._ZL34rocblas_syrkx_herkx_general_kernelIl19rocblas_complex_numIdELi16ELi32ELi8ELb0ELb0ELc78ELc76EKPKS1_KPS1_EviT_T0_PT8_S7_lSA_S7_lS8_PT9_S7_li,"axG",@progbits,_ZL34rocblas_syrkx_herkx_general_kernelIl19rocblas_complex_numIdELi16ELi32ELi8ELb0ELb0ELc78ELc76EKPKS1_KPS1_EviT_T0_PT8_S7_lSA_S7_lS8_PT9_S7_li,comdat
	.globl	_ZL34rocblas_syrkx_herkx_general_kernelIl19rocblas_complex_numIdELi16ELi32ELi8ELb0ELb0ELc78ELc76EKPKS1_KPS1_EviT_T0_PT8_S7_lSA_S7_lS8_PT9_S7_li ; -- Begin function _ZL34rocblas_syrkx_herkx_general_kernelIl19rocblas_complex_numIdELi16ELi32ELi8ELb0ELb0ELc78ELc76EKPKS1_KPS1_EviT_T0_PT8_S7_lSA_S7_lS8_PT9_S7_li
	.p2align	8
	.type	_ZL34rocblas_syrkx_herkx_general_kernelIl19rocblas_complex_numIdELi16ELi32ELi8ELb0ELb0ELc78ELc76EKPKS1_KPS1_EviT_T0_PT8_S7_lSA_S7_lS8_PT9_S7_li,@function
_ZL34rocblas_syrkx_herkx_general_kernelIl19rocblas_complex_numIdELi16ELi32ELi8ELb0ELb0ELc78ELc76EKPKS1_KPS1_EviT_T0_PT8_S7_lSA_S7_lS8_PT9_S7_li: ; @_ZL34rocblas_syrkx_herkx_general_kernelIl19rocblas_complex_numIdELi16ELi32ELi8ELb0ELb0ELc78ELc76EKPKS1_KPS1_EviT_T0_PT8_S7_lSA_S7_lS8_PT9_S7_li
; %bb.0:
	s_load_dword s30, s[4:5], 0x0
	s_load_dwordx8 s[12:19], s[4:5], 0x50
	s_load_dwordx8 s[20:27], s[4:5], 0x8
	s_load_dwordx2 s[28:29], s[4:5], 0x28
	s_mov_b32 s9, 0
	s_lshl_b64 s[0:1], s[8:9], 3
	s_waitcnt lgkmcnt(0)
	s_add_u32 s2, s16, s0
	s_addc_u32 s3, s17, s1
	s_load_dwordx2 s[16:17], s[2:3], 0x0
	v_cmp_lt_i64_e64 s[2:3], s[20:21], 1
	s_lshl_b32 s31, s6, 5
	s_lshl_b32 s33, s7, 5
	s_and_b64 vcc, exec, s[2:3]
	s_cbranch_vccnz .LBB1687_9
; %bb.1:
	s_load_dwordx4 s[8:11], s[4:5], 0x38
	v_lshl_add_u32 v3, v1, 4, v0
	v_and_b32_e32 v7, 31, v3
	v_or_b32_e32 v4, s31, v7
	v_lshrrev_b32_e32 v29, 5, v3
	s_waitcnt lgkmcnt(0)
	s_add_u32 s2, s8, s0
	s_addc_u32 s3, s9, s1
	s_load_dwordx2 s[6:7], s[2:3], 0x0
	v_cmp_gt_i32_e32 vcc, s30, v4
	v_mad_u64_u32 v[4:5], s[2:3], s28, v29, 0
	v_lshrrev_b32_e32 v6, 3, v3
	v_and_b32_e32 v30, 7, v0
	v_lshlrev_b32_e32 v3, 4, v7
	v_lshl_or_b32 v31, v29, 9, v3
	v_lshlrev_b32_e32 v3, 4, v30
	v_add_u32_e32 v2, s33, v6
	v_lshl_or_b32 v3, v6, 7, v3
	v_mad_u64_u32 v[5:6], s[2:3], s29, v29, v[5:6]
	v_mov_b32_e32 v6, 0x1000
	v_lshl_add_u32 v34, v1, 7, v6
	v_add_u32_e32 v6, s31, v7
	v_mad_u64_u32 v[9:10], s[2:3], s10, v30, 0
	v_ashrrev_i32_e32 v7, 31, v6
	v_lshlrev_b64 v[4:5], 4, v[4:5]
	v_lshlrev_b64 v[6:7], 4, v[6:7]
	s_add_u32 s0, s26, s0
	s_addc_u32 s1, s27, s1
	v_add_co_u32_e64 v6, s[2:3], v4, v6
	v_mov_b32_e32 v4, v10
	s_load_dwordx2 s[4:5], s[0:1], 0x0
	v_addc_co_u32_e64 v8, s[2:3], v5, v7, s[2:3]
	v_mad_u64_u32 v[4:5], s[2:3], s11, v30, v[4:5]
	v_add_u32_e32 v32, 0x1000, v3
	v_ashrrev_i32_e32 v3, 31, v2
	v_mov_b32_e32 v10, v4
	v_cmp_gt_i32_e64 s[0:1], s30, v2
	s_waitcnt lgkmcnt(0)
	v_mov_b32_e32 v11, s5
	v_add_co_u32_e64 v7, s[2:3], s4, v6
	v_lshlrev_b64 v[4:5], 4, v[9:10]
	v_lshlrev_b64 v[2:3], 4, v[2:3]
	v_addc_co_u32_e64 v8, s[2:3], v11, v8, s[2:3]
	v_add_co_u32_e64 v2, s[2:3], v4, v2
	v_addc_co_u32_e64 v3, s[2:3], v5, v3, s[2:3]
	v_mov_b32_e32 v4, s7
	v_add_co_u32_e64 v9, s[2:3], s6, v2
	v_addc_co_u32_e64 v10, s[2:3], v4, v3, s[2:3]
	s_lshl_b64 s[4:5], s[28:29], 7
	s_lshl_b64 s[2:3], s[10:11], 7
	v_mov_b32_e32 v27, 0
	v_mov_b32_e32 v11, s20
	;; [unrolled: 1-line block ×9, first 2 shown]
	v_lshlrev_b32_e32 v33, 4, v0
	s_mov_b64 s[6:7], 0
	v_mov_b32_e32 v28, 0
	s_xor_b64 s[8:9], vcc, -1
	v_mov_b32_e32 v35, s5
	v_mov_b32_e32 v36, s3
	;; [unrolled: 1-line block ×11, first 2 shown]
	s_branch .LBB1687_3
.LBB1687_2:                             ;   in Loop: Header=BB1687_3 Depth=1
	s_or_b64 exec, exec, s[10:11]
	s_waitcnt vmcnt(0) lgkmcnt(0)
	ds_write_b128 v32, v[3:6]
	s_waitcnt lgkmcnt(0)
	s_barrier
	ds_read_b128 v[3:6], v34
	ds_read_b128 v[37:40], v34 offset:16
	ds_read_b128 v[41:44], v34 offset:32
	;; [unrolled: 1-line block ×3, first 2 shown]
	ds_read_b128 v[49:52], v33
	v_add_co_u32_e32 v7, vcc, s4, v7
	v_addc_co_u32_e32 v8, vcc, v8, v35, vcc
	s_waitcnt lgkmcnt(0)
	v_mul_f64 v[53:54], v[5:6], v[51:52]
	v_mul_f64 v[55:56], v[3:4], v[51:52]
	s_add_u32 s6, s6, 8
	v_add_co_u32_e32 v9, vcc, s2, v9
	s_addc_u32 s7, s7, 0
	v_addc_co_u32_e32 v10, vcc, v10, v36, vcc
	v_fma_f64 v[53:54], v[3:4], v[49:50], -v[53:54]
	v_fma_f64 v[55:56], v[5:6], v[49:50], v[55:56]
	v_cmp_ge_i64_e32 vcc, s[6:7], v[11:12]
	s_and_b64 vcc, exec, vcc
	v_add_f64 v[53:54], v[21:22], v[53:54]
	v_add_f64 v[55:56], v[55:56], v[23:24]
	ds_read_b128 v[21:24], v33 offset:256
	s_waitcnt lgkmcnt(0)
	v_mul_f64 v[57:58], v[5:6], v[23:24]
	v_fma_f64 v[57:58], v[3:4], v[21:22], -v[57:58]
	v_mul_f64 v[3:4], v[3:4], v[23:24]
	v_add_f64 v[57:58], v[13:14], v[57:58]
	v_fma_f64 v[3:4], v[5:6], v[21:22], v[3:4]
	v_add_f64 v[59:60], v[3:4], v[15:16]
	ds_read_b128 v[3:6], v34 offset:2048
	s_waitcnt lgkmcnt(0)
	v_mul_f64 v[13:14], v[5:6], v[51:52]
	v_mul_f64 v[15:16], v[3:4], v[51:52]
	v_fma_f64 v[13:14], v[3:4], v[49:50], -v[13:14]
	v_fma_f64 v[15:16], v[5:6], v[49:50], v[15:16]
	v_add_f64 v[49:50], v[17:18], v[13:14]
	v_mul_f64 v[13:14], v[5:6], v[23:24]
	v_add_f64 v[51:52], v[15:16], v[19:20]
	v_fma_f64 v[13:14], v[3:4], v[21:22], -v[13:14]
	v_mul_f64 v[3:4], v[3:4], v[23:24]
	v_fma_f64 v[3:4], v[5:6], v[21:22], v[3:4]
	v_add_f64 v[21:22], v[25:26], v[13:14]
	v_add_f64 v[23:24], v[3:4], v[27:28]
	ds_read_b128 v[3:6], v33 offset:512
	s_waitcnt lgkmcnt(0)
	v_mul_f64 v[13:14], v[39:40], v[5:6]
	v_mul_f64 v[15:16], v[37:38], v[5:6]
	v_fma_f64 v[13:14], v[37:38], v[3:4], -v[13:14]
	v_fma_f64 v[15:16], v[39:40], v[3:4], v[15:16]
	v_add_f64 v[25:26], v[53:54], v[13:14]
	v_add_f64 v[27:28], v[15:16], v[55:56]
	ds_read_b128 v[13:16], v33 offset:768
	s_waitcnt lgkmcnt(0)
	v_mul_f64 v[17:18], v[39:40], v[15:16]
	v_mul_f64 v[19:20], v[37:38], v[15:16]
	v_fma_f64 v[17:18], v[37:38], v[13:14], -v[17:18]
	;; [unrolled: 8-line block ×3, first 2 shown]
	v_fma_f64 v[3:4], v[19:20], v[3:4], v[5:6]
	v_mul_f64 v[5:6], v[17:18], v[15:16]
	v_add_f64 v[49:50], v[49:50], v[53:54]
	v_add_f64 v[51:52], v[3:4], v[51:52]
	v_mul_f64 v[3:4], v[19:20], v[15:16]
	v_fma_f64 v[5:6], v[19:20], v[13:14], v[5:6]
	v_fma_f64 v[3:4], v[17:18], v[13:14], -v[3:4]
	v_add_f64 v[23:24], v[5:6], v[23:24]
	v_add_f64 v[21:22], v[21:22], v[3:4]
	ds_read_b128 v[3:6], v33 offset:1024
	s_waitcnt lgkmcnt(0)
	v_mul_f64 v[13:14], v[43:44], v[5:6]
	v_mul_f64 v[15:16], v[41:42], v[5:6]
	v_fma_f64 v[13:14], v[41:42], v[3:4], -v[13:14]
	v_fma_f64 v[15:16], v[43:44], v[3:4], v[15:16]
	v_add_f64 v[25:26], v[25:26], v[13:14]
	v_add_f64 v[27:28], v[15:16], v[27:28]
	ds_read_b128 v[13:16], v33 offset:1280
	s_waitcnt lgkmcnt(0)
	v_mul_f64 v[17:18], v[43:44], v[15:16]
	v_mul_f64 v[19:20], v[41:42], v[15:16]
	v_fma_f64 v[17:18], v[41:42], v[13:14], -v[17:18]
	v_fma_f64 v[19:20], v[43:44], v[13:14], v[19:20]
	;; [unrolled: 8-line block ×3, first 2 shown]
	v_mul_f64 v[5:6], v[17:18], v[15:16]
	v_add_f64 v[41:42], v[49:50], v[41:42]
	v_add_f64 v[43:44], v[3:4], v[51:52]
	v_mul_f64 v[3:4], v[19:20], v[15:16]
	v_fma_f64 v[5:6], v[19:20], v[13:14], v[5:6]
	v_fma_f64 v[3:4], v[17:18], v[13:14], -v[3:4]
	v_add_f64 v[23:24], v[5:6], v[23:24]
	v_add_f64 v[21:22], v[21:22], v[3:4]
	ds_read_b128 v[3:6], v33 offset:1536
	s_waitcnt lgkmcnt(0)
	v_mul_f64 v[13:14], v[47:48], v[5:6]
	v_mul_f64 v[15:16], v[45:46], v[5:6]
	v_fma_f64 v[13:14], v[45:46], v[3:4], -v[13:14]
	v_fma_f64 v[15:16], v[47:48], v[3:4], v[15:16]
	v_add_f64 v[25:26], v[25:26], v[13:14]
	v_add_f64 v[27:28], v[15:16], v[27:28]
	ds_read_b128 v[13:16], v33 offset:1792
	s_waitcnt lgkmcnt(0)
	v_mul_f64 v[17:18], v[47:48], v[15:16]
	v_mul_f64 v[19:20], v[45:46], v[15:16]
	v_fma_f64 v[17:18], v[45:46], v[13:14], -v[17:18]
	v_fma_f64 v[19:20], v[47:48], v[13:14], v[19:20]
	;; [unrolled: 8-line block ×3, first 2 shown]
	v_mul_f64 v[5:6], v[17:18], v[15:16]
	v_add_f64 v[41:42], v[41:42], v[45:46]
	v_add_f64 v[43:44], v[3:4], v[43:44]
	v_mul_f64 v[3:4], v[19:20], v[15:16]
	v_fma_f64 v[5:6], v[19:20], v[13:14], v[5:6]
	v_fma_f64 v[3:4], v[17:18], v[13:14], -v[3:4]
	v_add_f64 v[23:24], v[5:6], v[23:24]
	v_add_f64 v[21:22], v[21:22], v[3:4]
	ds_read_b128 v[3:6], v34 offset:64
	ds_read_b128 v[13:16], v33 offset:2048
	s_waitcnt lgkmcnt(0)
	v_mul_f64 v[17:18], v[5:6], v[15:16]
	v_mul_f64 v[19:20], v[3:4], v[15:16]
	v_fma_f64 v[17:18], v[3:4], v[13:14], -v[17:18]
	v_fma_f64 v[19:20], v[5:6], v[13:14], v[19:20]
	v_add_f64 v[25:26], v[25:26], v[17:18]
	v_add_f64 v[27:28], v[19:20], v[27:28]
	ds_read_b128 v[17:20], v33 offset:2304
	s_waitcnt lgkmcnt(0)
	v_mul_f64 v[45:46], v[5:6], v[19:20]
	v_fma_f64 v[45:46], v[3:4], v[17:18], -v[45:46]
	v_mul_f64 v[3:4], v[3:4], v[19:20]
	v_add_f64 v[37:38], v[37:38], v[45:46]
	v_fma_f64 v[3:4], v[5:6], v[17:18], v[3:4]
	v_add_f64 v[39:40], v[3:4], v[39:40]
	ds_read_b128 v[3:6], v34 offset:2112
	s_waitcnt lgkmcnt(0)
	v_mul_f64 v[45:46], v[5:6], v[15:16]
	v_mul_f64 v[15:16], v[3:4], v[15:16]
	v_fma_f64 v[45:46], v[3:4], v[13:14], -v[45:46]
	v_fma_f64 v[13:14], v[5:6], v[13:14], v[15:16]
	v_add_f64 v[41:42], v[41:42], v[45:46]
	v_add_f64 v[43:44], v[13:14], v[43:44]
	v_mul_f64 v[13:14], v[5:6], v[19:20]
	v_fma_f64 v[13:14], v[3:4], v[17:18], -v[13:14]
	v_mul_f64 v[3:4], v[3:4], v[19:20]
	v_add_f64 v[21:22], v[21:22], v[13:14]
	v_fma_f64 v[3:4], v[5:6], v[17:18], v[3:4]
	v_add_f64 v[23:24], v[3:4], v[23:24]
	ds_read_b128 v[3:6], v34 offset:80
	ds_read_b128 v[13:16], v33 offset:2560
	s_waitcnt lgkmcnt(0)
	v_mul_f64 v[17:18], v[5:6], v[15:16]
	v_mul_f64 v[19:20], v[3:4], v[15:16]
	v_fma_f64 v[17:18], v[3:4], v[13:14], -v[17:18]
	v_fma_f64 v[19:20], v[5:6], v[13:14], v[19:20]
	v_add_f64 v[25:26], v[25:26], v[17:18]
	v_add_f64 v[27:28], v[19:20], v[27:28]
	ds_read_b128 v[17:20], v33 offset:2816
	s_waitcnt lgkmcnt(0)
	v_mul_f64 v[45:46], v[5:6], v[19:20]
	v_fma_f64 v[45:46], v[3:4], v[17:18], -v[45:46]
	v_mul_f64 v[3:4], v[3:4], v[19:20]
	v_add_f64 v[37:38], v[37:38], v[45:46]
	v_fma_f64 v[3:4], v[5:6], v[17:18], v[3:4]
	v_add_f64 v[39:40], v[3:4], v[39:40]
	ds_read_b128 v[3:6], v34 offset:2128
	s_waitcnt lgkmcnt(0)
	v_mul_f64 v[45:46], v[5:6], v[15:16]
	v_mul_f64 v[15:16], v[3:4], v[15:16]
	v_fma_f64 v[45:46], v[3:4], v[13:14], -v[45:46]
	v_fma_f64 v[13:14], v[5:6], v[13:14], v[15:16]
	v_add_f64 v[41:42], v[41:42], v[45:46]
	v_add_f64 v[43:44], v[13:14], v[43:44]
	v_mul_f64 v[13:14], v[5:6], v[19:20]
	v_fma_f64 v[13:14], v[3:4], v[17:18], -v[13:14]
	v_mul_f64 v[3:4], v[3:4], v[19:20]
	v_add_f64 v[21:22], v[21:22], v[13:14]
	v_fma_f64 v[3:4], v[5:6], v[17:18], v[3:4]
	;; [unrolled: 31-line block ×3, first 2 shown]
	v_add_f64 v[47:48], v[3:4], v[23:24]
	ds_read_b128 v[3:6], v34 offset:112
	ds_read_b128 v[17:20], v33 offset:3584
	s_waitcnt lgkmcnt(0)
	v_mul_f64 v[13:14], v[5:6], v[19:20]
	v_mul_f64 v[15:16], v[3:4], v[19:20]
	v_fma_f64 v[13:14], v[3:4], v[17:18], -v[13:14]
	v_fma_f64 v[15:16], v[5:6], v[17:18], v[15:16]
	v_add_f64 v[21:22], v[25:26], v[13:14]
	v_add_f64 v[23:24], v[15:16], v[27:28]
	ds_read_b128 v[25:28], v33 offset:3840
	s_waitcnt lgkmcnt(0)
	v_mul_f64 v[13:14], v[5:6], v[27:28]
	v_fma_f64 v[13:14], v[3:4], v[25:26], -v[13:14]
	v_mul_f64 v[3:4], v[3:4], v[27:28]
	v_add_f64 v[13:14], v[37:38], v[13:14]
	v_fma_f64 v[3:4], v[5:6], v[25:26], v[3:4]
	v_add_f64 v[15:16], v[3:4], v[39:40]
	ds_read_b128 v[3:6], v34 offset:2160
	s_waitcnt lgkmcnt(0)
	s_barrier
	v_mul_f64 v[37:38], v[5:6], v[19:20]
	v_mul_f64 v[19:20], v[3:4], v[19:20]
	v_fma_f64 v[37:38], v[3:4], v[17:18], -v[37:38]
	v_fma_f64 v[19:20], v[5:6], v[17:18], v[19:20]
	v_add_f64 v[17:18], v[41:42], v[37:38]
	v_mul_f64 v[37:38], v[5:6], v[27:28]
	v_add_f64 v[19:20], v[19:20], v[43:44]
	v_fma_f64 v[37:38], v[3:4], v[25:26], -v[37:38]
	v_mul_f64 v[3:4], v[3:4], v[27:28]
	v_fma_f64 v[3:4], v[5:6], v[25:26], v[3:4]
	v_add_f64 v[25:26], v[45:46], v[37:38]
	v_add_f64 v[27:28], v[3:4], v[47:48]
	s_cbranch_vccnz .LBB1687_10
.LBB1687_3:                             ; =>This Inner Loop Header: Depth=1
	v_mov_b32_e32 v4, s7
	v_add_co_u32_e32 v3, vcc, s6, v29
	v_addc_co_u32_e32 v4, vcc, 0, v4, vcc
	v_cmp_le_i64_e32 vcc, s[20:21], v[3:4]
	s_or_b64 s[10:11], s[8:9], vcc
	s_and_saveexec_b64 s[26:27], s[10:11]
	s_xor_b64 s[10:11], exec, s[26:27]
; %bb.4:                                ;   in Loop: Header=BB1687_3 Depth=1
	v_mov_b32_e32 v3, v2
	v_mov_b32_e32 v4, v2
	;; [unrolled: 1-line block ×3, first 2 shown]
	ds_write_b128 v31, v[2:5]
; %bb.5:                                ;   in Loop: Header=BB1687_3 Depth=1
	s_andn2_saveexec_b64 s[10:11], s[10:11]
	s_cbranch_execz .LBB1687_7
; %bb.6:                                ;   in Loop: Header=BB1687_3 Depth=1
	flat_load_dwordx4 v[3:6], v[7:8]
	s_waitcnt vmcnt(0) lgkmcnt(0)
	ds_write2_b64 v31, v[3:4], v[5:6] offset1:1
.LBB1687_7:                             ;   in Loop: Header=BB1687_3 Depth=1
	s_or_b64 exec, exec, s[10:11]
	v_mov_b32_e32 v4, s7
	v_add_co_u32_e32 v3, vcc, s6, v30
	v_addc_co_u32_e32 v4, vcc, 0, v4, vcc
	v_cmp_gt_i64_e32 vcc, s[20:21], v[3:4]
	v_mov_b32_e32 v3, 0
	v_mov_b32_e32 v5, 0
	;; [unrolled: 1-line block ×4, first 2 shown]
	s_and_b64 s[26:27], vcc, s[0:1]
	s_and_saveexec_b64 s[10:11], s[26:27]
	s_cbranch_execz .LBB1687_2
; %bb.8:                                ;   in Loop: Header=BB1687_3 Depth=1
	flat_load_dwordx4 v[3:6], v[9:10]
	s_branch .LBB1687_2
.LBB1687_9:
	v_mov_b32_e32 v21, 0
	v_mov_b32_e32 v23, 0
	;; [unrolled: 1-line block ×16, first 2 shown]
.LBB1687_10:
	v_add_u32_e32 v4, s33, v1
	v_ashrrev_i32_e32 v1, 31, v4
	v_mul_lo_u32 v3, s18, v1
	v_mul_lo_u32 v5, s19, v4
	v_mad_u64_u32 v[1:2], s[0:1], s18, v4, 0
	v_add_u32_e32 v0, s31, v0
	v_cmp_le_i32_e64 s[0:1], v4, v0
	v_add3_u32 v2, v2, v3, v5
	v_lshlrev_b64 v[1:2], 4, v[1:2]
	s_waitcnt lgkmcnt(0)
	v_mov_b32_e32 v3, s17
	v_add_co_u32_e32 v5, vcc, s16, v1
	v_addc_co_u32_e32 v6, vcc, v3, v2, vcc
	v_cmp_gt_i32_e32 vcc, s30, v0
	s_and_b64 s[0:1], s[0:1], vcc
	s_and_saveexec_b64 s[2:3], s[0:1]
	s_cbranch_execz .LBB1687_12
; %bb.11:
	v_ashrrev_i32_e32 v1, 31, v0
	v_lshlrev_b64 v[1:2], 4, v[0:1]
	v_mul_f64 v[11:12], s[24:25], v[23:24]
	v_add_co_u32_e64 v1, s[0:1], v5, v1
	v_addc_co_u32_e64 v2, s[0:1], v6, v2, s[0:1]
	flat_load_dwordx4 v[7:10], v[1:2]
	v_mul_f64 v[23:24], s[22:23], v[23:24]
	v_fma_f64 v[11:12], s[22:23], v[21:22], -v[11:12]
	v_fma_f64 v[21:22], s[24:25], v[21:22], v[23:24]
	s_waitcnt vmcnt(0) lgkmcnt(0)
	v_mul_f64 v[29:30], s[14:15], v[9:10]
	v_mul_f64 v[9:10], s[12:13], v[9:10]
	v_fma_f64 v[23:24], s[12:13], v[7:8], -v[29:30]
	v_fma_f64 v[9:10], s[14:15], v[7:8], v[9:10]
	v_add_f64 v[7:8], v[11:12], v[23:24]
	v_add_f64 v[9:10], v[21:22], v[9:10]
	flat_store_dwordx4 v[1:2], v[7:10]
.LBB1687_12:
	s_or_b64 exec, exec, s[2:3]
	v_add_u32_e32 v2, 16, v0
	v_cmp_le_i32_e64 s[2:3], v4, v2
	v_cmp_gt_i32_e64 s[0:1], s30, v2
	s_and_b64 s[2:3], s[2:3], s[0:1]
	s_and_saveexec_b64 s[4:5], s[2:3]
	s_cbranch_execz .LBB1687_14
; %bb.13:
	v_ashrrev_i32_e32 v3, 31, v2
	v_lshlrev_b64 v[7:8], 4, v[2:3]
	v_mul_f64 v[11:12], s[24:25], v[15:16]
	v_add_co_u32_e64 v9, s[2:3], v5, v7
	v_addc_co_u32_e64 v10, s[2:3], v6, v8, s[2:3]
	flat_load_dwordx4 v[5:8], v[9:10]
	v_mul_f64 v[15:16], s[22:23], v[15:16]
	v_fma_f64 v[11:12], s[22:23], v[13:14], -v[11:12]
	v_fma_f64 v[13:14], s[24:25], v[13:14], v[15:16]
	s_waitcnt vmcnt(0) lgkmcnt(0)
	v_mul_f64 v[21:22], s[14:15], v[7:8]
	v_mul_f64 v[7:8], s[12:13], v[7:8]
	v_fma_f64 v[15:16], s[12:13], v[5:6], -v[21:22]
	v_fma_f64 v[7:8], s[14:15], v[5:6], v[7:8]
	v_add_f64 v[5:6], v[11:12], v[15:16]
	v_add_f64 v[7:8], v[13:14], v[7:8]
	flat_store_dwordx4 v[9:10], v[5:8]
.LBB1687_14:
	s_or_b64 exec, exec, s[4:5]
	v_add_u32_e32 v3, 16, v4
	v_ashrrev_i32_e32 v1, 31, v3
	v_mul_lo_u32 v6, s19, v3
	v_mad_u64_u32 v[4:5], s[2:3], s18, v3, 0
	v_mul_lo_u32 v1, s18, v1
	v_add3_u32 v5, v5, v1, v6
	v_lshlrev_b64 v[4:5], 4, v[4:5]
	v_mov_b32_e32 v1, s17
	v_add_co_u32_e64 v4, s[2:3], s16, v4
	v_addc_co_u32_e64 v5, s[2:3], v1, v5, s[2:3]
	v_cmp_le_i32_e64 s[2:3], v3, v0
	s_and_b64 s[4:5], s[2:3], vcc
	s_and_saveexec_b64 s[2:3], s[4:5]
	s_cbranch_execz .LBB1687_16
; %bb.15:
	v_ashrrev_i32_e32 v1, 31, v0
	v_lshlrev_b64 v[0:1], 4, v[0:1]
	v_mul_f64 v[10:11], s[24:25], v[19:20]
	v_add_co_u32_e32 v0, vcc, v4, v0
	v_addc_co_u32_e32 v1, vcc, v5, v1, vcc
	flat_load_dwordx4 v[6:9], v[0:1]
	v_mul_f64 v[12:13], s[22:23], v[19:20]
	v_fma_f64 v[10:11], s[22:23], v[17:18], -v[10:11]
	v_fma_f64 v[12:13], s[24:25], v[17:18], v[12:13]
	s_waitcnt vmcnt(0) lgkmcnt(0)
	v_mul_f64 v[14:15], s[14:15], v[8:9]
	v_mul_f64 v[8:9], s[12:13], v[8:9]
	v_fma_f64 v[14:15], s[12:13], v[6:7], -v[14:15]
	v_fma_f64 v[8:9], s[14:15], v[6:7], v[8:9]
	v_add_f64 v[6:7], v[10:11], v[14:15]
	v_add_f64 v[8:9], v[12:13], v[8:9]
	flat_store_dwordx4 v[0:1], v[6:9]
.LBB1687_16:
	s_or_b64 exec, exec, s[2:3]
	v_cmp_le_i32_e32 vcc, v3, v2
	s_and_b64 s[0:1], vcc, s[0:1]
	s_and_saveexec_b64 s[2:3], s[0:1]
	s_cbranch_execz .LBB1687_18
; %bb.17:
	v_ashrrev_i32_e32 v3, 31, v2
	v_lshlrev_b64 v[0:1], 4, v[2:3]
	v_mul_f64 v[6:7], s[24:25], v[27:28]
	v_add_co_u32_e32 v4, vcc, v4, v0
	v_addc_co_u32_e32 v5, vcc, v5, v1, vcc
	flat_load_dwordx4 v[0:3], v[4:5]
	v_mul_f64 v[8:9], s[22:23], v[27:28]
	v_fma_f64 v[6:7], s[22:23], v[25:26], -v[6:7]
	v_fma_f64 v[8:9], s[24:25], v[25:26], v[8:9]
	s_waitcnt vmcnt(0) lgkmcnt(0)
	v_mul_f64 v[10:11], s[14:15], v[2:3]
	v_mul_f64 v[2:3], s[12:13], v[2:3]
	v_fma_f64 v[10:11], s[12:13], v[0:1], -v[10:11]
	v_fma_f64 v[2:3], s[14:15], v[0:1], v[2:3]
	v_add_f64 v[0:1], v[6:7], v[10:11]
	v_add_f64 v[2:3], v[8:9], v[2:3]
	flat_store_dwordx4 v[4:5], v[0:3]
.LBB1687_18:
	s_endpgm
	.section	.rodata,"a",@progbits
	.p2align	6, 0x0
	.amdhsa_kernel _ZL34rocblas_syrkx_herkx_general_kernelIl19rocblas_complex_numIdELi16ELi32ELi8ELb0ELb0ELc78ELc76EKPKS1_KPS1_EviT_T0_PT8_S7_lSA_S7_lS8_PT9_S7_li
		.amdhsa_group_segment_fixed_size 8192
		.amdhsa_private_segment_fixed_size 0
		.amdhsa_kernarg_size 124
		.amdhsa_user_sgpr_count 6
		.amdhsa_user_sgpr_private_segment_buffer 1
		.amdhsa_user_sgpr_dispatch_ptr 0
		.amdhsa_user_sgpr_queue_ptr 0
		.amdhsa_user_sgpr_kernarg_segment_ptr 1
		.amdhsa_user_sgpr_dispatch_id 0
		.amdhsa_user_sgpr_flat_scratch_init 0
		.amdhsa_user_sgpr_private_segment_size 0
		.amdhsa_uses_dynamic_stack 0
		.amdhsa_system_sgpr_private_segment_wavefront_offset 0
		.amdhsa_system_sgpr_workgroup_id_x 1
		.amdhsa_system_sgpr_workgroup_id_y 1
		.amdhsa_system_sgpr_workgroup_id_z 1
		.amdhsa_system_sgpr_workgroup_info 0
		.amdhsa_system_vgpr_workitem_id 1
		.amdhsa_next_free_vgpr 61
		.amdhsa_next_free_sgpr 61
		.amdhsa_reserve_vcc 1
		.amdhsa_reserve_flat_scratch 0
		.amdhsa_float_round_mode_32 0
		.amdhsa_float_round_mode_16_64 0
		.amdhsa_float_denorm_mode_32 3
		.amdhsa_float_denorm_mode_16_64 3
		.amdhsa_dx10_clamp 1
		.amdhsa_ieee_mode 1
		.amdhsa_fp16_overflow 0
		.amdhsa_exception_fp_ieee_invalid_op 0
		.amdhsa_exception_fp_denorm_src 0
		.amdhsa_exception_fp_ieee_div_zero 0
		.amdhsa_exception_fp_ieee_overflow 0
		.amdhsa_exception_fp_ieee_underflow 0
		.amdhsa_exception_fp_ieee_inexact 0
		.amdhsa_exception_int_div_zero 0
	.end_amdhsa_kernel
	.section	.text._ZL34rocblas_syrkx_herkx_general_kernelIl19rocblas_complex_numIdELi16ELi32ELi8ELb0ELb0ELc78ELc76EKPKS1_KPS1_EviT_T0_PT8_S7_lSA_S7_lS8_PT9_S7_li,"axG",@progbits,_ZL34rocblas_syrkx_herkx_general_kernelIl19rocblas_complex_numIdELi16ELi32ELi8ELb0ELb0ELc78ELc76EKPKS1_KPS1_EviT_T0_PT8_S7_lSA_S7_lS8_PT9_S7_li,comdat
.Lfunc_end1687:
	.size	_ZL34rocblas_syrkx_herkx_general_kernelIl19rocblas_complex_numIdELi16ELi32ELi8ELb0ELb0ELc78ELc76EKPKS1_KPS1_EviT_T0_PT8_S7_lSA_S7_lS8_PT9_S7_li, .Lfunc_end1687-_ZL34rocblas_syrkx_herkx_general_kernelIl19rocblas_complex_numIdELi16ELi32ELi8ELb0ELb0ELc78ELc76EKPKS1_KPS1_EviT_T0_PT8_S7_lSA_S7_lS8_PT9_S7_li
                                        ; -- End function
	.set _ZL34rocblas_syrkx_herkx_general_kernelIl19rocblas_complex_numIdELi16ELi32ELi8ELb0ELb0ELc78ELc76EKPKS1_KPS1_EviT_T0_PT8_S7_lSA_S7_lS8_PT9_S7_li.num_vgpr, 61
	.set _ZL34rocblas_syrkx_herkx_general_kernelIl19rocblas_complex_numIdELi16ELi32ELi8ELb0ELb0ELc78ELc76EKPKS1_KPS1_EviT_T0_PT8_S7_lSA_S7_lS8_PT9_S7_li.num_agpr, 0
	.set _ZL34rocblas_syrkx_herkx_general_kernelIl19rocblas_complex_numIdELi16ELi32ELi8ELb0ELb0ELc78ELc76EKPKS1_KPS1_EviT_T0_PT8_S7_lSA_S7_lS8_PT9_S7_li.numbered_sgpr, 34
	.set _ZL34rocblas_syrkx_herkx_general_kernelIl19rocblas_complex_numIdELi16ELi32ELi8ELb0ELb0ELc78ELc76EKPKS1_KPS1_EviT_T0_PT8_S7_lSA_S7_lS8_PT9_S7_li.num_named_barrier, 0
	.set _ZL34rocblas_syrkx_herkx_general_kernelIl19rocblas_complex_numIdELi16ELi32ELi8ELb0ELb0ELc78ELc76EKPKS1_KPS1_EviT_T0_PT8_S7_lSA_S7_lS8_PT9_S7_li.private_seg_size, 0
	.set _ZL34rocblas_syrkx_herkx_general_kernelIl19rocblas_complex_numIdELi16ELi32ELi8ELb0ELb0ELc78ELc76EKPKS1_KPS1_EviT_T0_PT8_S7_lSA_S7_lS8_PT9_S7_li.uses_vcc, 1
	.set _ZL34rocblas_syrkx_herkx_general_kernelIl19rocblas_complex_numIdELi16ELi32ELi8ELb0ELb0ELc78ELc76EKPKS1_KPS1_EviT_T0_PT8_S7_lSA_S7_lS8_PT9_S7_li.uses_flat_scratch, 0
	.set _ZL34rocblas_syrkx_herkx_general_kernelIl19rocblas_complex_numIdELi16ELi32ELi8ELb0ELb0ELc78ELc76EKPKS1_KPS1_EviT_T0_PT8_S7_lSA_S7_lS8_PT9_S7_li.has_dyn_sized_stack, 0
	.set _ZL34rocblas_syrkx_herkx_general_kernelIl19rocblas_complex_numIdELi16ELi32ELi8ELb0ELb0ELc78ELc76EKPKS1_KPS1_EviT_T0_PT8_S7_lSA_S7_lS8_PT9_S7_li.has_recursion, 0
	.set _ZL34rocblas_syrkx_herkx_general_kernelIl19rocblas_complex_numIdELi16ELi32ELi8ELb0ELb0ELc78ELc76EKPKS1_KPS1_EviT_T0_PT8_S7_lSA_S7_lS8_PT9_S7_li.has_indirect_call, 0
	.section	.AMDGPU.csdata,"",@progbits
; Kernel info:
; codeLenInByte = 3380
; TotalNumSgprs: 38
; NumVgprs: 61
; ScratchSize: 0
; MemoryBound: 1
; FloatMode: 240
; IeeeMode: 1
; LDSByteSize: 8192 bytes/workgroup (compile time only)
; SGPRBlocks: 8
; VGPRBlocks: 15
; NumSGPRsForWavesPerEU: 65
; NumVGPRsForWavesPerEU: 61
; Occupancy: 4
; WaveLimiterHint : 1
; COMPUTE_PGM_RSRC2:SCRATCH_EN: 0
; COMPUTE_PGM_RSRC2:USER_SGPR: 6
; COMPUTE_PGM_RSRC2:TRAP_HANDLER: 0
; COMPUTE_PGM_RSRC2:TGID_X_EN: 1
; COMPUTE_PGM_RSRC2:TGID_Y_EN: 1
; COMPUTE_PGM_RSRC2:TGID_Z_EN: 1
; COMPUTE_PGM_RSRC2:TIDIG_COMP_CNT: 1
	.section	.text._ZL34rocblas_syrkx_herkx_general_kernelIl19rocblas_complex_numIdELi16ELi32ELi8ELb0ELb0ELc84ELc85EKPKS1_KPS1_EviT_T0_PT8_S7_lSA_S7_lS8_PT9_S7_li,"axG",@progbits,_ZL34rocblas_syrkx_herkx_general_kernelIl19rocblas_complex_numIdELi16ELi32ELi8ELb0ELb0ELc84ELc85EKPKS1_KPS1_EviT_T0_PT8_S7_lSA_S7_lS8_PT9_S7_li,comdat
	.globl	_ZL34rocblas_syrkx_herkx_general_kernelIl19rocblas_complex_numIdELi16ELi32ELi8ELb0ELb0ELc84ELc85EKPKS1_KPS1_EviT_T0_PT8_S7_lSA_S7_lS8_PT9_S7_li ; -- Begin function _ZL34rocblas_syrkx_herkx_general_kernelIl19rocblas_complex_numIdELi16ELi32ELi8ELb0ELb0ELc84ELc85EKPKS1_KPS1_EviT_T0_PT8_S7_lSA_S7_lS8_PT9_S7_li
	.p2align	8
	.type	_ZL34rocblas_syrkx_herkx_general_kernelIl19rocblas_complex_numIdELi16ELi32ELi8ELb0ELb0ELc84ELc85EKPKS1_KPS1_EviT_T0_PT8_S7_lSA_S7_lS8_PT9_S7_li,@function
_ZL34rocblas_syrkx_herkx_general_kernelIl19rocblas_complex_numIdELi16ELi32ELi8ELb0ELb0ELc84ELc85EKPKS1_KPS1_EviT_T0_PT8_S7_lSA_S7_lS8_PT9_S7_li: ; @_ZL34rocblas_syrkx_herkx_general_kernelIl19rocblas_complex_numIdELi16ELi32ELi8ELb0ELb0ELc84ELc85EKPKS1_KPS1_EviT_T0_PT8_S7_lSA_S7_lS8_PT9_S7_li
; %bb.0:
	s_load_dword s28, s[4:5], 0x0
	s_load_dwordx8 s[12:19], s[4:5], 0x50
	s_load_dwordx8 s[20:27], s[4:5], 0x8
	s_load_dwordx2 s[2:3], s[4:5], 0x28
	s_mov_b32 s9, 0
	s_lshl_b64 s[0:1], s[8:9], 3
	s_waitcnt lgkmcnt(0)
	s_add_u32 s8, s16, s0
	s_addc_u32 s9, s17, s1
	s_load_dwordx2 s[16:17], s[8:9], 0x0
	v_cmp_lt_i64_e64 s[8:9], s[20:21], 1
	s_lshl_b32 s29, s6, 5
	s_lshl_b32 s30, s7, 5
	s_and_b64 vcc, exec, s[8:9]
	s_cbranch_vccnz .LBB1688_11
; %bb.1:
	v_lshl_add_u32 v2, v1, 4, v0
	v_and_b32_e32 v5, 31, v2
	v_and_b32_e32 v29, 7, v0
	v_lshrrev_b32_e32 v3, 3, v2
	v_lshrrev_b32_e32 v28, 5, v2
	v_lshlrev_b32_e32 v2, 4, v5
	v_lshlrev_b32_e32 v8, 4, v29
	v_lshl_or_b32 v30, v28, 9, v2
	v_lshl_or_b32 v2, v3, 7, v8
	v_add_u32_e32 v31, 0x1000, v2
	v_add_u32_e32 v2, s29, v5
	s_load_dwordx4 s[8:11], s[4:5], 0x38
	v_add_u32_e32 v4, s30, v3
	v_ashrrev_i32_e32 v3, 31, v2
	v_or_b32_e32 v6, s29, v5
	v_mul_lo_u32 v5, s2, v3
	v_mul_lo_u32 v7, s3, v2
	v_mad_u64_u32 v[2:3], s[2:3], s2, v2, 0
	s_waitcnt lgkmcnt(0)
	s_add_u32 s4, s8, s0
	s_addc_u32 s5, s9, s1
	v_add3_u32 v3, v3, v5, v7
	v_lshlrev_b64 v[2:3], 4, v[2:3]
	s_add_u32 s0, s26, s0
	v_lshlrev_b32_e32 v5, 4, v28
	s_addc_u32 s1, s27, s1
	v_cmp_gt_i32_e32 vcc, s28, v6
	v_ashrrev_i32_e32 v6, 31, v4
	v_add_co_u32_e64 v5, s[2:3], v2, v5
	s_load_dwordx2 s[6:7], s[0:1], 0x0
	v_addc_co_u32_e64 v7, s[2:3], 0, v3, s[2:3]
	v_mul_lo_u32 v10, s10, v6
	v_mul_lo_u32 v11, s11, v4
	v_mad_u64_u32 v[2:3], s[2:3], s10, v4, 0
	s_load_dwordx2 s[4:5], s[4:5], 0x0
	v_mov_b32_e32 v9, 0x1000
	v_add3_u32 v3, v3, v10, v11
	v_lshl_add_u32 v33, v1, 7, v9
	s_waitcnt lgkmcnt(0)
	v_mov_b32_e32 v9, s7
	v_add_co_u32_e64 v6, s[2:3], s6, v5
	v_lshlrev_b64 v[2:3], 4, v[2:3]
	v_addc_co_u32_e64 v7, s[2:3], v9, v7, s[2:3]
	v_add_co_u32_e64 v2, s[2:3], v2, v8
	v_addc_co_u32_e64 v3, s[2:3], 0, v3, s[2:3]
	v_cmp_gt_i32_e64 s[0:1], s28, v4
	v_mov_b32_e32 v4, s5
	v_add_co_u32_e64 v8, s[2:3], s4, v2
	v_addc_co_u32_e64 v9, s[2:3], v4, v3, s[2:3]
	v_mov_b32_e32 v26, 0
	v_mov_b32_e32 v10, s20
	;; [unrolled: 1-line block ×9, first 2 shown]
	v_lshlrev_b32_e32 v32, 4, v0
	s_mov_b64 s[2:3], 0
	v_mov_b32_e32 v27, 0
	s_xor_b64 s[4:5], vcc, -1
	s_xor_b64 s[0:1], s[0:1], -1
	v_mov_b32_e32 v11, s21
	v_mov_b32_e32 v25, 0
	;; [unrolled: 1-line block ×9, first 2 shown]
	s_branch .LBB1688_3
.LBB1688_2:                             ;   in Loop: Header=BB1688_3 Depth=1
	s_or_b64 exec, exec, s[6:7]
	s_waitcnt lgkmcnt(0)
	s_barrier
	ds_read_b128 v[34:37], v33
	ds_read_b128 v[38:41], v33 offset:16
	ds_read_b128 v[42:45], v33 offset:32
	;; [unrolled: 1-line block ×3, first 2 shown]
	ds_read_b128 v[50:53], v32
	v_add_co_u32_e32 v6, vcc, 0x80, v6
	v_addc_co_u32_e32 v7, vcc, 0, v7, vcc
	s_waitcnt lgkmcnt(0)
	v_mul_f64 v[3:4], v[36:37], v[52:53]
	v_mul_f64 v[54:55], v[34:35], v[52:53]
	s_add_u32 s2, s2, 8
	v_add_co_u32_e32 v8, vcc, 0x80, v8
	s_addc_u32 s3, s3, 0
	v_addc_co_u32_e32 v9, vcc, 0, v9, vcc
	v_fma_f64 v[3:4], v[34:35], v[50:51], -v[3:4]
	v_fma_f64 v[54:55], v[36:37], v[50:51], v[54:55]
	v_cmp_ge_i64_e32 vcc, s[2:3], v[10:11]
	s_and_b64 vcc, exec, vcc
	v_add_f64 v[3:4], v[20:21], v[3:4]
	v_add_f64 v[54:55], v[54:55], v[22:23]
	ds_read_b128 v[20:23], v32 offset:256
	s_waitcnt lgkmcnt(0)
	v_mul_f64 v[56:57], v[36:37], v[22:23]
	v_fma_f64 v[56:57], v[34:35], v[20:21], -v[56:57]
	v_mul_f64 v[34:35], v[34:35], v[22:23]
	v_fma_f64 v[34:35], v[36:37], v[20:21], v[34:35]
	v_add_f64 v[36:37], v[12:13], v[56:57]
	v_add_f64 v[34:35], v[34:35], v[14:15]
	ds_read_b128 v[12:15], v33 offset:2048
	s_waitcnt lgkmcnt(0)
	v_mul_f64 v[56:57], v[14:15], v[52:53]
	v_mul_f64 v[52:53], v[12:13], v[52:53]
	v_fma_f64 v[56:57], v[12:13], v[50:51], -v[56:57]
	v_fma_f64 v[50:51], v[14:15], v[50:51], v[52:53]
	v_add_f64 v[52:53], v[16:17], v[56:57]
	v_mul_f64 v[16:17], v[14:15], v[22:23]
	v_add_f64 v[50:51], v[50:51], v[18:19]
	v_fma_f64 v[16:17], v[12:13], v[20:21], -v[16:17]
	v_mul_f64 v[12:13], v[12:13], v[22:23]
	v_add_f64 v[24:25], v[24:25], v[16:17]
	v_fma_f64 v[12:13], v[14:15], v[20:21], v[12:13]
	v_add_f64 v[26:27], v[12:13], v[26:27]
	ds_read_b128 v[12:15], v32 offset:512
	s_waitcnt lgkmcnt(0)
	v_mul_f64 v[16:17], v[40:41], v[14:15]
	v_mul_f64 v[18:19], v[38:39], v[14:15]
	v_fma_f64 v[16:17], v[38:39], v[12:13], -v[16:17]
	v_fma_f64 v[18:19], v[40:41], v[12:13], v[18:19]
	v_add_f64 v[3:4], v[3:4], v[16:17]
	v_add_f64 v[54:55], v[18:19], v[54:55]
	ds_read_b128 v[16:19], v32 offset:768
	s_waitcnt lgkmcnt(0)
	v_mul_f64 v[20:21], v[40:41], v[18:19]
	v_mul_f64 v[22:23], v[38:39], v[18:19]
	v_fma_f64 v[20:21], v[38:39], v[16:17], -v[20:21]
	v_fma_f64 v[22:23], v[40:41], v[16:17], v[22:23]
	v_add_f64 v[36:37], v[36:37], v[20:21]
	v_add_f64 v[34:35], v[22:23], v[34:35]
	ds_read_b128 v[20:23], v33 offset:2064
	s_waitcnt lgkmcnt(0)
	v_mul_f64 v[38:39], v[22:23], v[14:15]
	v_mul_f64 v[14:15], v[20:21], v[14:15]
	v_fma_f64 v[38:39], v[20:21], v[12:13], -v[38:39]
	v_fma_f64 v[12:13], v[22:23], v[12:13], v[14:15]
	v_mul_f64 v[14:15], v[20:21], v[18:19]
	v_add_f64 v[38:39], v[52:53], v[38:39]
	v_add_f64 v[40:41], v[12:13], v[50:51]
	v_mul_f64 v[12:13], v[22:23], v[18:19]
	v_fma_f64 v[14:15], v[22:23], v[16:17], v[14:15]
	v_fma_f64 v[12:13], v[20:21], v[16:17], -v[12:13]
	v_add_f64 v[26:27], v[14:15], v[26:27]
	v_add_f64 v[24:25], v[24:25], v[12:13]
	ds_read_b128 v[12:15], v32 offset:1024
	s_waitcnt lgkmcnt(0)
	v_mul_f64 v[16:17], v[44:45], v[14:15]
	v_mul_f64 v[18:19], v[42:43], v[14:15]
	v_fma_f64 v[16:17], v[42:43], v[12:13], -v[16:17]
	v_fma_f64 v[18:19], v[44:45], v[12:13], v[18:19]
	v_add_f64 v[3:4], v[3:4], v[16:17]
	v_add_f64 v[50:51], v[18:19], v[54:55]
	ds_read_b128 v[16:19], v32 offset:1280
	s_waitcnt lgkmcnt(0)
	v_mul_f64 v[20:21], v[44:45], v[18:19]
	v_mul_f64 v[22:23], v[42:43], v[18:19]
	v_fma_f64 v[20:21], v[42:43], v[16:17], -v[20:21]
	v_fma_f64 v[22:23], v[44:45], v[16:17], v[22:23]
	v_add_f64 v[36:37], v[36:37], v[20:21]
	v_add_f64 v[34:35], v[22:23], v[34:35]
	ds_read_b128 v[20:23], v33 offset:2080
	s_waitcnt lgkmcnt(0)
	v_mul_f64 v[42:43], v[22:23], v[14:15]
	v_mul_f64 v[14:15], v[20:21], v[14:15]
	v_fma_f64 v[42:43], v[20:21], v[12:13], -v[42:43]
	v_fma_f64 v[12:13], v[22:23], v[12:13], v[14:15]
	v_mul_f64 v[14:15], v[20:21], v[18:19]
	v_add_f64 v[38:39], v[38:39], v[42:43]
	v_add_f64 v[40:41], v[12:13], v[40:41]
	v_mul_f64 v[12:13], v[22:23], v[18:19]
	v_fma_f64 v[14:15], v[22:23], v[16:17], v[14:15]
	v_fma_f64 v[12:13], v[20:21], v[16:17], -v[12:13]
	v_add_f64 v[26:27], v[14:15], v[26:27]
	;; [unrolled: 30-line block ×3, first 2 shown]
	v_add_f64 v[24:25], v[24:25], v[12:13]
	ds_read_b128 v[12:15], v33 offset:64
	ds_read_b128 v[16:19], v32 offset:2048
	s_waitcnt lgkmcnt(0)
	v_mul_f64 v[20:21], v[14:15], v[18:19]
	v_mul_f64 v[22:23], v[12:13], v[18:19]
	v_fma_f64 v[20:21], v[12:13], v[16:17], -v[20:21]
	v_fma_f64 v[22:23], v[14:15], v[16:17], v[22:23]
	v_add_f64 v[3:4], v[3:4], v[20:21]
	v_add_f64 v[42:43], v[22:23], v[42:43]
	ds_read_b128 v[20:23], v32 offset:2304
	s_waitcnt lgkmcnt(0)
	v_mul_f64 v[44:45], v[14:15], v[22:23]
	v_fma_f64 v[44:45], v[12:13], v[20:21], -v[44:45]
	v_mul_f64 v[12:13], v[12:13], v[22:23]
	v_add_f64 v[36:37], v[36:37], v[44:45]
	v_fma_f64 v[12:13], v[14:15], v[20:21], v[12:13]
	v_add_f64 v[34:35], v[12:13], v[34:35]
	ds_read_b128 v[12:15], v33 offset:2112
	s_waitcnt lgkmcnt(0)
	v_mul_f64 v[44:45], v[14:15], v[18:19]
	v_mul_f64 v[18:19], v[12:13], v[18:19]
	v_fma_f64 v[44:45], v[12:13], v[16:17], -v[44:45]
	v_fma_f64 v[16:17], v[14:15], v[16:17], v[18:19]
	v_add_f64 v[38:39], v[38:39], v[44:45]
	v_add_f64 v[40:41], v[16:17], v[40:41]
	v_mul_f64 v[16:17], v[14:15], v[22:23]
	v_fma_f64 v[16:17], v[12:13], v[20:21], -v[16:17]
	v_mul_f64 v[12:13], v[12:13], v[22:23]
	v_add_f64 v[24:25], v[24:25], v[16:17]
	v_fma_f64 v[12:13], v[14:15], v[20:21], v[12:13]
	v_add_f64 v[26:27], v[12:13], v[26:27]
	ds_read_b128 v[12:15], v33 offset:80
	ds_read_b128 v[16:19], v32 offset:2560
	s_waitcnt lgkmcnt(0)
	v_mul_f64 v[20:21], v[14:15], v[18:19]
	v_mul_f64 v[22:23], v[12:13], v[18:19]
	v_fma_f64 v[20:21], v[12:13], v[16:17], -v[20:21]
	v_fma_f64 v[22:23], v[14:15], v[16:17], v[22:23]
	v_add_f64 v[3:4], v[3:4], v[20:21]
	v_add_f64 v[42:43], v[22:23], v[42:43]
	ds_read_b128 v[20:23], v32 offset:2816
	s_waitcnt lgkmcnt(0)
	v_mul_f64 v[44:45], v[14:15], v[22:23]
	v_fma_f64 v[44:45], v[12:13], v[20:21], -v[44:45]
	v_mul_f64 v[12:13], v[12:13], v[22:23]
	v_add_f64 v[36:37], v[36:37], v[44:45]
	v_fma_f64 v[12:13], v[14:15], v[20:21], v[12:13]
	v_add_f64 v[34:35], v[12:13], v[34:35]
	ds_read_b128 v[12:15], v33 offset:2128
	s_waitcnt lgkmcnt(0)
	v_mul_f64 v[44:45], v[14:15], v[18:19]
	v_mul_f64 v[18:19], v[12:13], v[18:19]
	v_fma_f64 v[44:45], v[12:13], v[16:17], -v[44:45]
	v_fma_f64 v[16:17], v[14:15], v[16:17], v[18:19]
	v_add_f64 v[38:39], v[38:39], v[44:45]
	v_add_f64 v[40:41], v[16:17], v[40:41]
	v_mul_f64 v[16:17], v[14:15], v[22:23]
	v_fma_f64 v[16:17], v[12:13], v[20:21], -v[16:17]
	v_mul_f64 v[12:13], v[12:13], v[22:23]
	v_add_f64 v[24:25], v[24:25], v[16:17]
	v_fma_f64 v[12:13], v[14:15], v[20:21], v[12:13]
	;; [unrolled: 31-line block ×3, first 2 shown]
	v_add_f64 v[46:47], v[12:13], v[26:27]
	ds_read_b128 v[12:15], v33 offset:112
	ds_read_b128 v[16:19], v32 offset:3584
	;; [unrolled: 1-line block ×3, first 2 shown]
	s_waitcnt lgkmcnt(1)
	v_mul_f64 v[20:21], v[14:15], v[18:19]
	v_mul_f64 v[22:23], v[12:13], v[18:19]
	v_fma_f64 v[20:21], v[12:13], v[16:17], -v[20:21]
	v_fma_f64 v[22:23], v[14:15], v[16:17], v[22:23]
	v_add_f64 v[20:21], v[3:4], v[20:21]
	s_waitcnt lgkmcnt(0)
	v_mul_f64 v[3:4], v[14:15], v[26:27]
	v_add_f64 v[22:23], v[22:23], v[42:43]
	v_fma_f64 v[3:4], v[12:13], v[24:25], -v[3:4]
	v_mul_f64 v[12:13], v[12:13], v[26:27]
	v_fma_f64 v[14:15], v[14:15], v[24:25], v[12:13]
	v_add_f64 v[12:13], v[36:37], v[3:4]
	v_add_f64 v[14:15], v[14:15], v[34:35]
	ds_read_b128 v[34:37], v33 offset:2160
	s_waitcnt lgkmcnt(0)
	s_barrier
	v_mul_f64 v[3:4], v[36:37], v[18:19]
	v_mul_f64 v[18:19], v[34:35], v[18:19]
	v_fma_f64 v[3:4], v[34:35], v[16:17], -v[3:4]
	v_fma_f64 v[18:19], v[36:37], v[16:17], v[18:19]
	v_add_f64 v[16:17], v[38:39], v[3:4]
	v_mul_f64 v[3:4], v[36:37], v[26:27]
	v_mul_f64 v[26:27], v[34:35], v[26:27]
	v_add_f64 v[18:19], v[18:19], v[40:41]
	v_fma_f64 v[3:4], v[34:35], v[24:25], -v[3:4]
	v_fma_f64 v[26:27], v[36:37], v[24:25], v[26:27]
	v_add_f64 v[24:25], v[44:45], v[3:4]
	v_add_f64 v[26:27], v[26:27], v[46:47]
	s_cbranch_vccnz .LBB1688_12
.LBB1688_3:                             ; =>This Inner Loop Header: Depth=1
	v_mov_b32_e32 v4, s3
	v_add_co_u32_e32 v3, vcc, s2, v28
	v_addc_co_u32_e32 v4, vcc, 0, v4, vcc
	v_cmp_le_i64_e32 vcc, s[20:21], v[3:4]
	s_or_b64 s[6:7], s[4:5], vcc
	s_and_saveexec_b64 s[8:9], s[6:7]
	s_xor_b64 s[6:7], exec, s[8:9]
; %bb.4:                                ;   in Loop: Header=BB1688_3 Depth=1
	v_mov_b32_e32 v3, v2
	v_mov_b32_e32 v4, v2
	;; [unrolled: 1-line block ×3, first 2 shown]
	ds_write_b128 v30, v[2:5]
; %bb.5:                                ;   in Loop: Header=BB1688_3 Depth=1
	s_andn2_saveexec_b64 s[6:7], s[6:7]
	s_cbranch_execz .LBB1688_7
; %bb.6:                                ;   in Loop: Header=BB1688_3 Depth=1
	flat_load_dwordx4 v[34:37], v[6:7]
	s_waitcnt vmcnt(0) lgkmcnt(0)
	ds_write2_b64 v30, v[34:35], v[36:37] offset1:1
.LBB1688_7:                             ;   in Loop: Header=BB1688_3 Depth=1
	s_or_b64 exec, exec, s[6:7]
	v_mov_b32_e32 v4, s3
	v_add_co_u32_e32 v3, vcc, s2, v29
	v_addc_co_u32_e32 v4, vcc, 0, v4, vcc
	v_cmp_le_i64_e32 vcc, s[20:21], v[3:4]
	s_or_b64 s[6:7], vcc, s[0:1]
	s_and_saveexec_b64 s[8:9], s[6:7]
	s_xor_b64 s[6:7], exec, s[8:9]
; %bb.8:                                ;   in Loop: Header=BB1688_3 Depth=1
	v_mov_b32_e32 v3, v2
	v_mov_b32_e32 v4, v2
	;; [unrolled: 1-line block ×3, first 2 shown]
	ds_write_b128 v31, v[2:5]
; %bb.9:                                ;   in Loop: Header=BB1688_3 Depth=1
	s_andn2_saveexec_b64 s[6:7], s[6:7]
	s_cbranch_execz .LBB1688_2
; %bb.10:                               ;   in Loop: Header=BB1688_3 Depth=1
	flat_load_dwordx4 v[34:37], v[8:9]
	s_waitcnt vmcnt(0) lgkmcnt(0)
	ds_write2_b64 v31, v[34:35], v[36:37] offset1:1
	s_branch .LBB1688_2
.LBB1688_11:
	v_mov_b32_e32 v20, 0
	v_mov_b32_e32 v22, 0
	;; [unrolled: 1-line block ×16, first 2 shown]
.LBB1688_12:
	v_add_u32_e32 v4, s30, v1
	v_ashrrev_i32_e32 v1, 31, v4
	v_mul_lo_u32 v3, s18, v1
	v_mul_lo_u32 v5, s19, v4
	v_mad_u64_u32 v[1:2], s[0:1], s18, v4, 0
	v_add_u32_e32 v0, s29, v0
	v_cmp_gt_i32_e32 vcc, s28, v4
	v_add3_u32 v2, v2, v3, v5
	v_lshlrev_b64 v[1:2], 4, v[1:2]
	s_waitcnt lgkmcnt(0)
	v_mov_b32_e32 v3, s17
	v_add_co_u32_e64 v5, s[0:1], s16, v1
	v_addc_co_u32_e64 v6, s[0:1], v3, v2, s[0:1]
	v_cmp_le_i32_e64 s[0:1], v0, v4
	s_and_b64 s[0:1], vcc, s[0:1]
	s_and_saveexec_b64 s[2:3], s[0:1]
	s_cbranch_execz .LBB1688_14
; %bb.13:
	v_ashrrev_i32_e32 v1, 31, v0
	v_lshlrev_b64 v[1:2], 4, v[0:1]
	v_mul_f64 v[28:29], s[24:25], v[22:23]
	v_add_co_u32_e64 v1, s[0:1], v5, v1
	v_addc_co_u32_e64 v2, s[0:1], v6, v2, s[0:1]
	flat_load_dwordx4 v[7:10], v[1:2]
	v_mul_f64 v[22:23], s[22:23], v[22:23]
	v_fma_f64 v[28:29], s[22:23], v[20:21], -v[28:29]
	v_fma_f64 v[20:21], s[24:25], v[20:21], v[22:23]
	s_waitcnt vmcnt(0) lgkmcnt(0)
	v_mul_f64 v[30:31], s[14:15], v[9:10]
	v_mul_f64 v[9:10], s[12:13], v[9:10]
	v_fma_f64 v[22:23], s[12:13], v[7:8], -v[30:31]
	v_fma_f64 v[9:10], s[14:15], v[7:8], v[9:10]
	v_add_f64 v[7:8], v[28:29], v[22:23]
	v_add_f64 v[9:10], v[20:21], v[9:10]
	flat_store_dwordx4 v[1:2], v[7:10]
.LBB1688_14:
	s_or_b64 exec, exec, s[2:3]
	v_add_u32_e32 v2, 16, v0
	v_cmp_le_i32_e64 s[0:1], v2, v4
	s_and_b64 s[2:3], vcc, s[0:1]
	s_and_saveexec_b64 s[0:1], s[2:3]
	s_cbranch_execz .LBB1688_16
; %bb.15:
	v_ashrrev_i32_e32 v3, 31, v2
	v_lshlrev_b64 v[7:8], 4, v[2:3]
	v_mul_f64 v[20:21], s[24:25], v[14:15]
	v_add_co_u32_e32 v9, vcc, v5, v7
	v_addc_co_u32_e32 v10, vcc, v6, v8, vcc
	flat_load_dwordx4 v[5:8], v[9:10]
	v_mul_f64 v[14:15], s[22:23], v[14:15]
	v_fma_f64 v[20:21], s[22:23], v[12:13], -v[20:21]
	v_fma_f64 v[11:12], s[24:25], v[12:13], v[14:15]
	s_waitcnt vmcnt(0) lgkmcnt(0)
	v_mul_f64 v[22:23], s[14:15], v[7:8]
	v_mul_f64 v[7:8], s[12:13], v[7:8]
	v_fma_f64 v[13:14], s[12:13], v[5:6], -v[22:23]
	v_fma_f64 v[7:8], s[14:15], v[5:6], v[7:8]
	v_add_f64 v[5:6], v[20:21], v[13:14]
	v_add_f64 v[7:8], v[11:12], v[7:8]
	flat_store_dwordx4 v[9:10], v[5:8]
.LBB1688_16:
	s_or_b64 exec, exec, s[0:1]
	v_add_u32_e32 v3, 16, v4
	v_ashrrev_i32_e32 v1, 31, v3
	v_mul_lo_u32 v1, s18, v1
	v_mul_lo_u32 v6, s19, v3
	v_mad_u64_u32 v[4:5], s[0:1], s18, v3, 0
	v_cmp_gt_i32_e32 vcc, s28, v3
	v_add3_u32 v5, v5, v1, v6
	v_lshlrev_b64 v[4:5], 4, v[4:5]
	v_mov_b32_e32 v1, s17
	v_add_co_u32_e64 v4, s[0:1], s16, v4
	v_addc_co_u32_e64 v5, s[0:1], v1, v5, s[0:1]
	v_cmp_le_i32_e64 s[0:1], v0, v3
	s_and_b64 s[0:1], vcc, s[0:1]
	s_and_saveexec_b64 s[2:3], s[0:1]
	s_cbranch_execz .LBB1688_18
; %bb.17:
	v_ashrrev_i32_e32 v1, 31, v0
	v_lshlrev_b64 v[0:1], 4, v[0:1]
	v_mul_f64 v[10:11], s[24:25], v[18:19]
	v_add_co_u32_e64 v0, s[0:1], v4, v0
	v_addc_co_u32_e64 v1, s[0:1], v5, v1, s[0:1]
	flat_load_dwordx4 v[6:9], v[0:1]
	v_mul_f64 v[12:13], s[22:23], v[18:19]
	v_fma_f64 v[10:11], s[22:23], v[16:17], -v[10:11]
	v_fma_f64 v[12:13], s[24:25], v[16:17], v[12:13]
	s_waitcnt vmcnt(0) lgkmcnt(0)
	v_mul_f64 v[14:15], s[14:15], v[8:9]
	v_mul_f64 v[8:9], s[12:13], v[8:9]
	v_fma_f64 v[14:15], s[12:13], v[6:7], -v[14:15]
	v_fma_f64 v[8:9], s[14:15], v[6:7], v[8:9]
	v_add_f64 v[6:7], v[10:11], v[14:15]
	v_add_f64 v[8:9], v[12:13], v[8:9]
	flat_store_dwordx4 v[0:1], v[6:9]
.LBB1688_18:
	s_or_b64 exec, exec, s[2:3]
	v_cmp_le_i32_e64 s[0:1], v2, v3
	s_and_b64 s[0:1], vcc, s[0:1]
	s_and_saveexec_b64 s[2:3], s[0:1]
	s_cbranch_execz .LBB1688_20
; %bb.19:
	v_ashrrev_i32_e32 v3, 31, v2
	v_lshlrev_b64 v[0:1], 4, v[2:3]
	v_mul_f64 v[6:7], s[24:25], v[26:27]
	v_add_co_u32_e32 v4, vcc, v4, v0
	v_addc_co_u32_e32 v5, vcc, v5, v1, vcc
	flat_load_dwordx4 v[0:3], v[4:5]
	v_mul_f64 v[8:9], s[22:23], v[26:27]
	v_fma_f64 v[6:7], s[22:23], v[24:25], -v[6:7]
	v_fma_f64 v[8:9], s[24:25], v[24:25], v[8:9]
	s_waitcnt vmcnt(0) lgkmcnt(0)
	v_mul_f64 v[10:11], s[14:15], v[2:3]
	v_mul_f64 v[2:3], s[12:13], v[2:3]
	v_fma_f64 v[10:11], s[12:13], v[0:1], -v[10:11]
	v_fma_f64 v[2:3], s[14:15], v[0:1], v[2:3]
	v_add_f64 v[0:1], v[6:7], v[10:11]
	v_add_f64 v[2:3], v[8:9], v[2:3]
	flat_store_dwordx4 v[4:5], v[0:3]
.LBB1688_20:
	s_endpgm
	.section	.rodata,"a",@progbits
	.p2align	6, 0x0
	.amdhsa_kernel _ZL34rocblas_syrkx_herkx_general_kernelIl19rocblas_complex_numIdELi16ELi32ELi8ELb0ELb0ELc84ELc85EKPKS1_KPS1_EviT_T0_PT8_S7_lSA_S7_lS8_PT9_S7_li
		.amdhsa_group_segment_fixed_size 8192
		.amdhsa_private_segment_fixed_size 0
		.amdhsa_kernarg_size 124
		.amdhsa_user_sgpr_count 6
		.amdhsa_user_sgpr_private_segment_buffer 1
		.amdhsa_user_sgpr_dispatch_ptr 0
		.amdhsa_user_sgpr_queue_ptr 0
		.amdhsa_user_sgpr_kernarg_segment_ptr 1
		.amdhsa_user_sgpr_dispatch_id 0
		.amdhsa_user_sgpr_flat_scratch_init 0
		.amdhsa_user_sgpr_private_segment_size 0
		.amdhsa_uses_dynamic_stack 0
		.amdhsa_system_sgpr_private_segment_wavefront_offset 0
		.amdhsa_system_sgpr_workgroup_id_x 1
		.amdhsa_system_sgpr_workgroup_id_y 1
		.amdhsa_system_sgpr_workgroup_id_z 1
		.amdhsa_system_sgpr_workgroup_info 0
		.amdhsa_system_vgpr_workitem_id 1
		.amdhsa_next_free_vgpr 58
		.amdhsa_next_free_sgpr 61
		.amdhsa_reserve_vcc 1
		.amdhsa_reserve_flat_scratch 0
		.amdhsa_float_round_mode_32 0
		.amdhsa_float_round_mode_16_64 0
		.amdhsa_float_denorm_mode_32 3
		.amdhsa_float_denorm_mode_16_64 3
		.amdhsa_dx10_clamp 1
		.amdhsa_ieee_mode 1
		.amdhsa_fp16_overflow 0
		.amdhsa_exception_fp_ieee_invalid_op 0
		.amdhsa_exception_fp_denorm_src 0
		.amdhsa_exception_fp_ieee_div_zero 0
		.amdhsa_exception_fp_ieee_overflow 0
		.amdhsa_exception_fp_ieee_underflow 0
		.amdhsa_exception_fp_ieee_inexact 0
		.amdhsa_exception_int_div_zero 0
	.end_amdhsa_kernel
	.section	.text._ZL34rocblas_syrkx_herkx_general_kernelIl19rocblas_complex_numIdELi16ELi32ELi8ELb0ELb0ELc84ELc85EKPKS1_KPS1_EviT_T0_PT8_S7_lSA_S7_lS8_PT9_S7_li,"axG",@progbits,_ZL34rocblas_syrkx_herkx_general_kernelIl19rocblas_complex_numIdELi16ELi32ELi8ELb0ELb0ELc84ELc85EKPKS1_KPS1_EviT_T0_PT8_S7_lSA_S7_lS8_PT9_S7_li,comdat
.Lfunc_end1688:
	.size	_ZL34rocblas_syrkx_herkx_general_kernelIl19rocblas_complex_numIdELi16ELi32ELi8ELb0ELb0ELc84ELc85EKPKS1_KPS1_EviT_T0_PT8_S7_lSA_S7_lS8_PT9_S7_li, .Lfunc_end1688-_ZL34rocblas_syrkx_herkx_general_kernelIl19rocblas_complex_numIdELi16ELi32ELi8ELb0ELb0ELc84ELc85EKPKS1_KPS1_EviT_T0_PT8_S7_lSA_S7_lS8_PT9_S7_li
                                        ; -- End function
	.set _ZL34rocblas_syrkx_herkx_general_kernelIl19rocblas_complex_numIdELi16ELi32ELi8ELb0ELb0ELc84ELc85EKPKS1_KPS1_EviT_T0_PT8_S7_lSA_S7_lS8_PT9_S7_li.num_vgpr, 58
	.set _ZL34rocblas_syrkx_herkx_general_kernelIl19rocblas_complex_numIdELi16ELi32ELi8ELb0ELb0ELc84ELc85EKPKS1_KPS1_EviT_T0_PT8_S7_lSA_S7_lS8_PT9_S7_li.num_agpr, 0
	.set _ZL34rocblas_syrkx_herkx_general_kernelIl19rocblas_complex_numIdELi16ELi32ELi8ELb0ELb0ELc84ELc85EKPKS1_KPS1_EviT_T0_PT8_S7_lSA_S7_lS8_PT9_S7_li.numbered_sgpr, 31
	.set _ZL34rocblas_syrkx_herkx_general_kernelIl19rocblas_complex_numIdELi16ELi32ELi8ELb0ELb0ELc84ELc85EKPKS1_KPS1_EviT_T0_PT8_S7_lSA_S7_lS8_PT9_S7_li.num_named_barrier, 0
	.set _ZL34rocblas_syrkx_herkx_general_kernelIl19rocblas_complex_numIdELi16ELi32ELi8ELb0ELb0ELc84ELc85EKPKS1_KPS1_EviT_T0_PT8_S7_lSA_S7_lS8_PT9_S7_li.private_seg_size, 0
	.set _ZL34rocblas_syrkx_herkx_general_kernelIl19rocblas_complex_numIdELi16ELi32ELi8ELb0ELb0ELc84ELc85EKPKS1_KPS1_EviT_T0_PT8_S7_lSA_S7_lS8_PT9_S7_li.uses_vcc, 1
	.set _ZL34rocblas_syrkx_herkx_general_kernelIl19rocblas_complex_numIdELi16ELi32ELi8ELb0ELb0ELc84ELc85EKPKS1_KPS1_EviT_T0_PT8_S7_lSA_S7_lS8_PT9_S7_li.uses_flat_scratch, 0
	.set _ZL34rocblas_syrkx_herkx_general_kernelIl19rocblas_complex_numIdELi16ELi32ELi8ELb0ELb0ELc84ELc85EKPKS1_KPS1_EviT_T0_PT8_S7_lSA_S7_lS8_PT9_S7_li.has_dyn_sized_stack, 0
	.set _ZL34rocblas_syrkx_herkx_general_kernelIl19rocblas_complex_numIdELi16ELi32ELi8ELb0ELb0ELc84ELc85EKPKS1_KPS1_EviT_T0_PT8_S7_lSA_S7_lS8_PT9_S7_li.has_recursion, 0
	.set _ZL34rocblas_syrkx_herkx_general_kernelIl19rocblas_complex_numIdELi16ELi32ELi8ELb0ELb0ELc84ELc85EKPKS1_KPS1_EviT_T0_PT8_S7_lSA_S7_lS8_PT9_S7_li.has_indirect_call, 0
	.section	.AMDGPU.csdata,"",@progbits
; Kernel info:
; codeLenInByte = 3408
; TotalNumSgprs: 35
; NumVgprs: 58
; ScratchSize: 0
; MemoryBound: 0
; FloatMode: 240
; IeeeMode: 1
; LDSByteSize: 8192 bytes/workgroup (compile time only)
; SGPRBlocks: 8
; VGPRBlocks: 14
; NumSGPRsForWavesPerEU: 65
; NumVGPRsForWavesPerEU: 58
; Occupancy: 4
; WaveLimiterHint : 1
; COMPUTE_PGM_RSRC2:SCRATCH_EN: 0
; COMPUTE_PGM_RSRC2:USER_SGPR: 6
; COMPUTE_PGM_RSRC2:TRAP_HANDLER: 0
; COMPUTE_PGM_RSRC2:TGID_X_EN: 1
; COMPUTE_PGM_RSRC2:TGID_Y_EN: 1
; COMPUTE_PGM_RSRC2:TGID_Z_EN: 1
; COMPUTE_PGM_RSRC2:TIDIG_COMP_CNT: 1
	.section	.text._ZL34rocblas_syrkx_herkx_general_kernelIl19rocblas_complex_numIdELi16ELi32ELi8ELb0ELb0ELc67ELc85EKPKS1_KPS1_EviT_T0_PT8_S7_lSA_S7_lS8_PT9_S7_li,"axG",@progbits,_ZL34rocblas_syrkx_herkx_general_kernelIl19rocblas_complex_numIdELi16ELi32ELi8ELb0ELb0ELc67ELc85EKPKS1_KPS1_EviT_T0_PT8_S7_lSA_S7_lS8_PT9_S7_li,comdat
	.globl	_ZL34rocblas_syrkx_herkx_general_kernelIl19rocblas_complex_numIdELi16ELi32ELi8ELb0ELb0ELc67ELc85EKPKS1_KPS1_EviT_T0_PT8_S7_lSA_S7_lS8_PT9_S7_li ; -- Begin function _ZL34rocblas_syrkx_herkx_general_kernelIl19rocblas_complex_numIdELi16ELi32ELi8ELb0ELb0ELc67ELc85EKPKS1_KPS1_EviT_T0_PT8_S7_lSA_S7_lS8_PT9_S7_li
	.p2align	8
	.type	_ZL34rocblas_syrkx_herkx_general_kernelIl19rocblas_complex_numIdELi16ELi32ELi8ELb0ELb0ELc67ELc85EKPKS1_KPS1_EviT_T0_PT8_S7_lSA_S7_lS8_PT9_S7_li,@function
_ZL34rocblas_syrkx_herkx_general_kernelIl19rocblas_complex_numIdELi16ELi32ELi8ELb0ELb0ELc67ELc85EKPKS1_KPS1_EviT_T0_PT8_S7_lSA_S7_lS8_PT9_S7_li: ; @_ZL34rocblas_syrkx_herkx_general_kernelIl19rocblas_complex_numIdELi16ELi32ELi8ELb0ELb0ELc67ELc85EKPKS1_KPS1_EviT_T0_PT8_S7_lSA_S7_lS8_PT9_S7_li
; %bb.0:
	s_load_dword s28, s[4:5], 0x0
	s_load_dwordx8 s[12:19], s[4:5], 0x50
	s_load_dwordx8 s[20:27], s[4:5], 0x8
	s_load_dwordx2 s[2:3], s[4:5], 0x28
	s_mov_b32 s9, 0
	s_lshl_b64 s[0:1], s[8:9], 3
	s_waitcnt lgkmcnt(0)
	s_add_u32 s8, s16, s0
	s_addc_u32 s9, s17, s1
	s_load_dwordx2 s[16:17], s[8:9], 0x0
	v_cmp_lt_i64_e64 s[8:9], s[20:21], 1
	s_lshl_b32 s29, s6, 5
	s_lshl_b32 s30, s7, 5
	s_and_b64 vcc, exec, s[8:9]
	s_cbranch_vccnz .LBB1689_9
; %bb.1:
	s_load_dwordx4 s[8:11], s[4:5], 0x38
	v_lshl_add_u32 v2, v1, 4, v0
	v_and_b32_e32 v5, 31, v2
	v_or_b32_e32 v6, s29, v5
	v_and_b32_e32 v30, 7, v0
	s_waitcnt lgkmcnt(0)
	s_add_u32 s4, s8, s0
	s_addc_u32 s5, s9, s1
	s_add_u32 s0, s26, s0
	s_addc_u32 s1, s27, s1
	v_lshrrev_b32_e32 v3, 3, v2
	v_lshrrev_b32_e32 v29, 5, v2
	s_load_dwordx2 s[6:7], s[0:1], 0x0
	v_cmp_gt_i32_e64 s[0:1], s28, v6
	v_lshlrev_b32_e32 v2, 4, v5
	v_lshlrev_b32_e32 v6, 4, v30
	v_lshl_or_b32 v31, v29, 9, v2
	v_lshl_or_b32 v2, v3, 7, v6
	v_add_u32_e32 v32, 0x1000, v2
	v_add_u32_e32 v2, s29, v5
	;; [unrolled: 1-line block ×3, first 2 shown]
	v_ashrrev_i32_e32 v3, 31, v2
	v_mul_lo_u32 v5, s2, v3
	v_mul_lo_u32 v8, s3, v2
	v_mad_u64_u32 v[2:3], s[2:3], s2, v2, 0
	v_ashrrev_i32_e32 v7, 31, v4
	v_mul_lo_u32 v10, s10, v7
	v_add3_u32 v3, v3, v5, v8
	v_lshlrev_b64 v[2:3], 4, v[2:3]
	v_lshlrev_b32_e32 v5, 4, v29
	v_add_co_u32_e64 v5, s[2:3], v2, v5
	v_addc_co_u32_e64 v8, s[2:3], 0, v3, s[2:3]
	v_mul_lo_u32 v11, s11, v4
	v_mad_u64_u32 v[2:3], s[2:3], s10, v4, 0
	s_load_dwordx2 s[4:5], s[4:5], 0x0
	v_mov_b32_e32 v9, 0x1000
	v_add3_u32 v3, v3, v10, v11
	v_lshl_add_u32 v34, v1, 7, v9
	s_waitcnt lgkmcnt(0)
	v_mov_b32_e32 v9, s7
	v_add_co_u32_e64 v7, s[2:3], s6, v5
	v_lshlrev_b64 v[2:3], 4, v[2:3]
	v_addc_co_u32_e64 v8, s[2:3], v9, v8, s[2:3]
	v_add_co_u32_e64 v2, s[2:3], v2, v6
	v_addc_co_u32_e64 v3, s[2:3], 0, v3, s[2:3]
	v_cmp_gt_i32_e32 vcc, s28, v4
	v_mov_b32_e32 v4, s5
	v_add_co_u32_e64 v9, s[2:3], s4, v2
	v_addc_co_u32_e64 v10, s[2:3], v4, v3, s[2:3]
	v_mov_b32_e32 v27, 0
	v_mov_b32_e32 v11, s20
	v_mov_b32_e32 v25, 0
	v_mov_b32_e32 v19, 0
	v_mov_b32_e32 v17, 0
	v_mov_b32_e32 v15, 0
	v_mov_b32_e32 v13, 0
	v_mov_b32_e32 v23, 0
	v_mov_b32_e32 v21, 0
	v_lshlrev_b32_e32 v33, 4, v0
	s_mov_b64 s[2:3], 0
	v_mov_b32_e32 v28, 0
	s_xor_b64 s[4:5], vcc, -1
	v_mov_b32_e32 v12, s21
	v_mov_b32_e32 v26, 0
	;; [unrolled: 1-line block ×9, first 2 shown]
	s_branch .LBB1689_3
.LBB1689_2:                             ;   in Loop: Header=BB1689_3 Depth=1
	s_or_b64 exec, exec, s[6:7]
	s_waitcnt lgkmcnt(0)
	s_barrier
	ds_read_b128 v[3:6], v34
	ds_read_b128 v[35:38], v34 offset:16
	ds_read_b128 v[39:42], v34 offset:32
	;; [unrolled: 1-line block ×3, first 2 shown]
	ds_read_b128 v[47:50], v33
	v_add_co_u32_e32 v7, vcc, 0x80, v7
	v_addc_co_u32_e32 v8, vcc, 0, v8, vcc
	s_waitcnt lgkmcnt(0)
	v_mul_f64 v[51:52], v[5:6], v[49:50]
	v_mul_f64 v[53:54], v[3:4], v[49:50]
	s_add_u32 s2, s2, 8
	v_add_co_u32_e32 v9, vcc, 0x80, v9
	s_addc_u32 s3, s3, 0
	v_addc_co_u32_e32 v10, vcc, 0, v10, vcc
	v_fma_f64 v[51:52], v[3:4], v[47:48], -v[51:52]
	v_fma_f64 v[53:54], v[5:6], v[47:48], v[53:54]
	v_cmp_ge_i64_e32 vcc, s[2:3], v[11:12]
	s_and_b64 vcc, exec, vcc
	v_add_f64 v[51:52], v[21:22], v[51:52]
	v_add_f64 v[53:54], v[53:54], v[23:24]
	ds_read_b128 v[21:24], v33 offset:256
	s_waitcnt lgkmcnt(0)
	v_mul_f64 v[55:56], v[5:6], v[23:24]
	v_fma_f64 v[55:56], v[3:4], v[21:22], -v[55:56]
	v_mul_f64 v[3:4], v[3:4], v[23:24]
	v_add_f64 v[55:56], v[13:14], v[55:56]
	v_fma_f64 v[3:4], v[5:6], v[21:22], v[3:4]
	v_add_f64 v[57:58], v[3:4], v[15:16]
	ds_read_b128 v[3:6], v34 offset:2048
	s_waitcnt lgkmcnt(0)
	v_mul_f64 v[13:14], v[5:6], v[49:50]
	v_mul_f64 v[15:16], v[3:4], v[49:50]
	v_fma_f64 v[13:14], v[3:4], v[47:48], -v[13:14]
	v_fma_f64 v[15:16], v[5:6], v[47:48], v[15:16]
	v_add_f64 v[47:48], v[17:18], v[13:14]
	v_mul_f64 v[13:14], v[5:6], v[23:24]
	v_add_f64 v[49:50], v[15:16], v[19:20]
	v_fma_f64 v[13:14], v[3:4], v[21:22], -v[13:14]
	v_mul_f64 v[3:4], v[3:4], v[23:24]
	v_fma_f64 v[3:4], v[5:6], v[21:22], v[3:4]
	v_add_f64 v[21:22], v[25:26], v[13:14]
	v_add_f64 v[23:24], v[3:4], v[27:28]
	ds_read_b128 v[3:6], v33 offset:512
	s_waitcnt lgkmcnt(0)
	v_mul_f64 v[13:14], v[37:38], v[5:6]
	v_mul_f64 v[15:16], v[35:36], v[5:6]
	v_fma_f64 v[13:14], v[35:36], v[3:4], -v[13:14]
	v_fma_f64 v[15:16], v[37:38], v[3:4], v[15:16]
	v_add_f64 v[25:26], v[51:52], v[13:14]
	v_add_f64 v[27:28], v[15:16], v[53:54]
	ds_read_b128 v[13:16], v33 offset:768
	s_waitcnt lgkmcnt(0)
	v_mul_f64 v[17:18], v[37:38], v[15:16]
	v_mul_f64 v[19:20], v[35:36], v[15:16]
	v_fma_f64 v[17:18], v[35:36], v[13:14], -v[17:18]
	;; [unrolled: 8-line block ×3, first 2 shown]
	v_fma_f64 v[3:4], v[19:20], v[3:4], v[5:6]
	v_mul_f64 v[5:6], v[17:18], v[15:16]
	v_add_f64 v[47:48], v[47:48], v[51:52]
	v_add_f64 v[49:50], v[3:4], v[49:50]
	v_mul_f64 v[3:4], v[19:20], v[15:16]
	v_fma_f64 v[5:6], v[19:20], v[13:14], v[5:6]
	v_fma_f64 v[3:4], v[17:18], v[13:14], -v[3:4]
	v_add_f64 v[23:24], v[5:6], v[23:24]
	v_add_f64 v[21:22], v[21:22], v[3:4]
	ds_read_b128 v[3:6], v33 offset:1024
	s_waitcnt lgkmcnt(0)
	v_mul_f64 v[13:14], v[41:42], v[5:6]
	v_mul_f64 v[15:16], v[39:40], v[5:6]
	v_fma_f64 v[13:14], v[39:40], v[3:4], -v[13:14]
	v_fma_f64 v[15:16], v[41:42], v[3:4], v[15:16]
	v_add_f64 v[25:26], v[25:26], v[13:14]
	v_add_f64 v[27:28], v[15:16], v[27:28]
	ds_read_b128 v[13:16], v33 offset:1280
	s_waitcnt lgkmcnt(0)
	v_mul_f64 v[17:18], v[41:42], v[15:16]
	v_mul_f64 v[19:20], v[39:40], v[15:16]
	v_fma_f64 v[17:18], v[39:40], v[13:14], -v[17:18]
	v_fma_f64 v[19:20], v[41:42], v[13:14], v[19:20]
	v_add_f64 v[35:36], v[35:36], v[17:18]
	v_add_f64 v[37:38], v[19:20], v[37:38]
	ds_read_b128 v[17:20], v34 offset:2080
	s_waitcnt lgkmcnt(0)
	v_mul_f64 v[39:40], v[19:20], v[5:6]
	v_mul_f64 v[5:6], v[17:18], v[5:6]
	v_fma_f64 v[39:40], v[17:18], v[3:4], -v[39:40]
	v_fma_f64 v[3:4], v[19:20], v[3:4], v[5:6]
	v_mul_f64 v[5:6], v[17:18], v[15:16]
	v_add_f64 v[39:40], v[47:48], v[39:40]
	v_add_f64 v[41:42], v[3:4], v[49:50]
	v_mul_f64 v[3:4], v[19:20], v[15:16]
	v_fma_f64 v[5:6], v[19:20], v[13:14], v[5:6]
	v_fma_f64 v[3:4], v[17:18], v[13:14], -v[3:4]
	v_add_f64 v[23:24], v[5:6], v[23:24]
	v_add_f64 v[21:22], v[21:22], v[3:4]
	ds_read_b128 v[3:6], v33 offset:1536
	s_waitcnt lgkmcnt(0)
	v_mul_f64 v[13:14], v[45:46], v[5:6]
	v_mul_f64 v[15:16], v[43:44], v[5:6]
	v_fma_f64 v[13:14], v[43:44], v[3:4], -v[13:14]
	v_fma_f64 v[15:16], v[45:46], v[3:4], v[15:16]
	v_add_f64 v[25:26], v[25:26], v[13:14]
	v_add_f64 v[27:28], v[15:16], v[27:28]
	ds_read_b128 v[13:16], v33 offset:1792
	s_waitcnt lgkmcnt(0)
	v_mul_f64 v[17:18], v[45:46], v[15:16]
	v_mul_f64 v[19:20], v[43:44], v[15:16]
	v_fma_f64 v[17:18], v[43:44], v[13:14], -v[17:18]
	v_fma_f64 v[19:20], v[45:46], v[13:14], v[19:20]
	v_add_f64 v[35:36], v[35:36], v[17:18]
	v_add_f64 v[37:38], v[19:20], v[37:38]
	ds_read_b128 v[17:20], v34 offset:2096
	s_waitcnt lgkmcnt(0)
	v_mul_f64 v[43:44], v[19:20], v[5:6]
	v_mul_f64 v[5:6], v[17:18], v[5:6]
	v_fma_f64 v[43:44], v[17:18], v[3:4], -v[43:44]
	v_fma_f64 v[3:4], v[19:20], v[3:4], v[5:6]
	v_mul_f64 v[5:6], v[17:18], v[15:16]
	v_add_f64 v[39:40], v[39:40], v[43:44]
	v_add_f64 v[41:42], v[3:4], v[41:42]
	v_mul_f64 v[3:4], v[19:20], v[15:16]
	v_fma_f64 v[5:6], v[19:20], v[13:14], v[5:6]
	v_fma_f64 v[3:4], v[17:18], v[13:14], -v[3:4]
	v_add_f64 v[23:24], v[5:6], v[23:24]
	v_add_f64 v[21:22], v[21:22], v[3:4]
	ds_read_b128 v[3:6], v34 offset:64
	ds_read_b128 v[13:16], v33 offset:2048
	s_waitcnt lgkmcnt(0)
	v_mul_f64 v[17:18], v[5:6], v[15:16]
	v_mul_f64 v[19:20], v[3:4], v[15:16]
	v_fma_f64 v[17:18], v[3:4], v[13:14], -v[17:18]
	v_fma_f64 v[19:20], v[5:6], v[13:14], v[19:20]
	v_add_f64 v[25:26], v[25:26], v[17:18]
	v_add_f64 v[27:28], v[19:20], v[27:28]
	ds_read_b128 v[17:20], v33 offset:2304
	s_waitcnt lgkmcnt(0)
	v_mul_f64 v[43:44], v[5:6], v[19:20]
	v_fma_f64 v[43:44], v[3:4], v[17:18], -v[43:44]
	v_mul_f64 v[3:4], v[3:4], v[19:20]
	v_add_f64 v[35:36], v[35:36], v[43:44]
	v_fma_f64 v[3:4], v[5:6], v[17:18], v[3:4]
	v_add_f64 v[37:38], v[3:4], v[37:38]
	ds_read_b128 v[3:6], v34 offset:2112
	s_waitcnt lgkmcnt(0)
	v_mul_f64 v[43:44], v[5:6], v[15:16]
	v_mul_f64 v[15:16], v[3:4], v[15:16]
	v_fma_f64 v[43:44], v[3:4], v[13:14], -v[43:44]
	v_fma_f64 v[13:14], v[5:6], v[13:14], v[15:16]
	v_add_f64 v[39:40], v[39:40], v[43:44]
	v_add_f64 v[41:42], v[13:14], v[41:42]
	v_mul_f64 v[13:14], v[5:6], v[19:20]
	v_fma_f64 v[13:14], v[3:4], v[17:18], -v[13:14]
	v_mul_f64 v[3:4], v[3:4], v[19:20]
	v_add_f64 v[21:22], v[21:22], v[13:14]
	v_fma_f64 v[3:4], v[5:6], v[17:18], v[3:4]
	v_add_f64 v[23:24], v[3:4], v[23:24]
	ds_read_b128 v[3:6], v34 offset:80
	ds_read_b128 v[13:16], v33 offset:2560
	s_waitcnt lgkmcnt(0)
	v_mul_f64 v[17:18], v[5:6], v[15:16]
	v_mul_f64 v[19:20], v[3:4], v[15:16]
	v_fma_f64 v[17:18], v[3:4], v[13:14], -v[17:18]
	v_fma_f64 v[19:20], v[5:6], v[13:14], v[19:20]
	v_add_f64 v[25:26], v[25:26], v[17:18]
	v_add_f64 v[27:28], v[19:20], v[27:28]
	ds_read_b128 v[17:20], v33 offset:2816
	s_waitcnt lgkmcnt(0)
	v_mul_f64 v[43:44], v[5:6], v[19:20]
	v_fma_f64 v[43:44], v[3:4], v[17:18], -v[43:44]
	v_mul_f64 v[3:4], v[3:4], v[19:20]
	v_add_f64 v[35:36], v[35:36], v[43:44]
	v_fma_f64 v[3:4], v[5:6], v[17:18], v[3:4]
	v_add_f64 v[37:38], v[3:4], v[37:38]
	ds_read_b128 v[3:6], v34 offset:2128
	s_waitcnt lgkmcnt(0)
	v_mul_f64 v[43:44], v[5:6], v[15:16]
	v_mul_f64 v[15:16], v[3:4], v[15:16]
	v_fma_f64 v[43:44], v[3:4], v[13:14], -v[43:44]
	v_fma_f64 v[13:14], v[5:6], v[13:14], v[15:16]
	v_add_f64 v[39:40], v[39:40], v[43:44]
	v_add_f64 v[41:42], v[13:14], v[41:42]
	v_mul_f64 v[13:14], v[5:6], v[19:20]
	v_fma_f64 v[13:14], v[3:4], v[17:18], -v[13:14]
	v_mul_f64 v[3:4], v[3:4], v[19:20]
	v_add_f64 v[21:22], v[21:22], v[13:14]
	v_fma_f64 v[3:4], v[5:6], v[17:18], v[3:4]
	;; [unrolled: 31-line block ×3, first 2 shown]
	v_add_f64 v[45:46], v[3:4], v[23:24]
	ds_read_b128 v[3:6], v34 offset:112
	ds_read_b128 v[17:20], v33 offset:3584
	s_waitcnt lgkmcnt(0)
	v_mul_f64 v[13:14], v[5:6], v[19:20]
	v_mul_f64 v[15:16], v[3:4], v[19:20]
	v_fma_f64 v[13:14], v[3:4], v[17:18], -v[13:14]
	v_fma_f64 v[15:16], v[5:6], v[17:18], v[15:16]
	v_add_f64 v[21:22], v[25:26], v[13:14]
	v_add_f64 v[23:24], v[15:16], v[27:28]
	ds_read_b128 v[25:28], v33 offset:3840
	s_waitcnt lgkmcnt(0)
	v_mul_f64 v[13:14], v[5:6], v[27:28]
	v_fma_f64 v[13:14], v[3:4], v[25:26], -v[13:14]
	v_mul_f64 v[3:4], v[3:4], v[27:28]
	v_add_f64 v[13:14], v[35:36], v[13:14]
	v_fma_f64 v[3:4], v[5:6], v[25:26], v[3:4]
	v_add_f64 v[15:16], v[3:4], v[37:38]
	ds_read_b128 v[3:6], v34 offset:2160
	s_waitcnt lgkmcnt(0)
	s_barrier
	v_mul_f64 v[35:36], v[5:6], v[19:20]
	v_mul_f64 v[19:20], v[3:4], v[19:20]
	v_fma_f64 v[35:36], v[3:4], v[17:18], -v[35:36]
	v_fma_f64 v[19:20], v[5:6], v[17:18], v[19:20]
	v_add_f64 v[17:18], v[39:40], v[35:36]
	v_mul_f64 v[35:36], v[5:6], v[27:28]
	v_add_f64 v[19:20], v[19:20], v[41:42]
	v_fma_f64 v[35:36], v[3:4], v[25:26], -v[35:36]
	v_mul_f64 v[3:4], v[3:4], v[27:28]
	v_fma_f64 v[3:4], v[5:6], v[25:26], v[3:4]
	v_add_f64 v[25:26], v[43:44], v[35:36]
	v_add_f64 v[27:28], v[3:4], v[45:46]
	s_cbranch_vccnz .LBB1689_10
.LBB1689_3:                             ; =>This Inner Loop Header: Depth=1
	v_mov_b32_e32 v4, s3
	v_add_co_u32_e32 v3, vcc, s2, v29
	v_addc_co_u32_e32 v4, vcc, 0, v4, vcc
	v_cmp_gt_i64_e32 vcc, s[20:21], v[3:4]
	v_mov_b32_e32 v3, 0
	v_mov_b32_e32 v5, 0
	;; [unrolled: 1-line block ×4, first 2 shown]
	s_and_b64 s[8:9], s[0:1], vcc
	s_and_saveexec_b64 s[6:7], s[8:9]
	s_cbranch_execz .LBB1689_5
; %bb.4:                                ;   in Loop: Header=BB1689_3 Depth=1
	flat_load_dwordx4 v[3:6], v[7:8]
.LBB1689_5:                             ;   in Loop: Header=BB1689_3 Depth=1
	s_or_b64 exec, exec, s[6:7]
	v_mov_b32_e32 v36, s3
	v_add_co_u32_e32 v35, vcc, s2, v30
	v_addc_co_u32_e32 v36, vcc, 0, v36, vcc
	v_cmp_le_i64_e32 vcc, s[20:21], v[35:36]
	s_waitcnt vmcnt(0) lgkmcnt(0)
	ds_write_b128 v31, v[3:6]
	s_or_b64 s[6:7], vcc, s[4:5]
	s_and_saveexec_b64 s[8:9], s[6:7]
	s_xor_b64 s[6:7], exec, s[8:9]
; %bb.6:                                ;   in Loop: Header=BB1689_3 Depth=1
	v_mov_b32_e32 v3, v2
	v_mov_b32_e32 v4, v2
	;; [unrolled: 1-line block ×3, first 2 shown]
	ds_write_b128 v32, v[2:5]
; %bb.7:                                ;   in Loop: Header=BB1689_3 Depth=1
	s_andn2_saveexec_b64 s[6:7], s[6:7]
	s_cbranch_execz .LBB1689_2
; %bb.8:                                ;   in Loop: Header=BB1689_3 Depth=1
	flat_load_dwordx4 v[3:6], v[9:10]
	s_waitcnt vmcnt(0) lgkmcnt(0)
	ds_write2_b64 v32, v[3:4], v[5:6] offset1:1
	s_branch .LBB1689_2
.LBB1689_9:
	v_mov_b32_e32 v21, 0
	v_mov_b32_e32 v23, 0
	;; [unrolled: 1-line block ×16, first 2 shown]
.LBB1689_10:
	v_add_u32_e32 v4, s30, v1
	v_ashrrev_i32_e32 v1, 31, v4
	v_mul_lo_u32 v3, s18, v1
	v_mul_lo_u32 v5, s19, v4
	v_mad_u64_u32 v[1:2], s[0:1], s18, v4, 0
	v_add_u32_e32 v0, s29, v0
	v_cmp_gt_i32_e32 vcc, s28, v4
	v_add3_u32 v2, v2, v3, v5
	v_lshlrev_b64 v[1:2], 4, v[1:2]
	s_waitcnt lgkmcnt(0)
	v_mov_b32_e32 v3, s17
	v_add_co_u32_e64 v5, s[0:1], s16, v1
	v_addc_co_u32_e64 v6, s[0:1], v3, v2, s[0:1]
	v_cmp_le_i32_e64 s[0:1], v0, v4
	s_and_b64 s[0:1], vcc, s[0:1]
	s_and_saveexec_b64 s[2:3], s[0:1]
	s_cbranch_execz .LBB1689_12
; %bb.11:
	v_ashrrev_i32_e32 v1, 31, v0
	v_lshlrev_b64 v[1:2], 4, v[0:1]
	v_mul_f64 v[11:12], s[24:25], v[23:24]
	v_add_co_u32_e64 v1, s[0:1], v5, v1
	v_addc_co_u32_e64 v2, s[0:1], v6, v2, s[0:1]
	flat_load_dwordx4 v[7:10], v[1:2]
	v_mul_f64 v[23:24], s[22:23], v[23:24]
	v_fma_f64 v[11:12], s[22:23], v[21:22], -v[11:12]
	v_fma_f64 v[21:22], s[24:25], v[21:22], v[23:24]
	s_waitcnt vmcnt(0) lgkmcnt(0)
	v_mul_f64 v[29:30], s[14:15], v[9:10]
	v_mul_f64 v[9:10], s[12:13], v[9:10]
	v_fma_f64 v[23:24], s[12:13], v[7:8], -v[29:30]
	v_fma_f64 v[9:10], s[14:15], v[7:8], v[9:10]
	v_add_f64 v[7:8], v[11:12], v[23:24]
	v_add_f64 v[9:10], v[21:22], v[9:10]
	flat_store_dwordx4 v[1:2], v[7:10]
.LBB1689_12:
	s_or_b64 exec, exec, s[2:3]
	v_add_u32_e32 v2, 16, v0
	v_cmp_le_i32_e64 s[0:1], v2, v4
	s_and_b64 s[2:3], vcc, s[0:1]
	s_and_saveexec_b64 s[0:1], s[2:3]
	s_cbranch_execz .LBB1689_14
; %bb.13:
	v_ashrrev_i32_e32 v3, 31, v2
	v_lshlrev_b64 v[7:8], 4, v[2:3]
	v_mul_f64 v[11:12], s[24:25], v[15:16]
	v_add_co_u32_e32 v9, vcc, v5, v7
	v_addc_co_u32_e32 v10, vcc, v6, v8, vcc
	flat_load_dwordx4 v[5:8], v[9:10]
	v_mul_f64 v[15:16], s[22:23], v[15:16]
	v_fma_f64 v[11:12], s[22:23], v[13:14], -v[11:12]
	v_fma_f64 v[13:14], s[24:25], v[13:14], v[15:16]
	s_waitcnt vmcnt(0) lgkmcnt(0)
	v_mul_f64 v[21:22], s[14:15], v[7:8]
	v_mul_f64 v[7:8], s[12:13], v[7:8]
	v_fma_f64 v[15:16], s[12:13], v[5:6], -v[21:22]
	v_fma_f64 v[7:8], s[14:15], v[5:6], v[7:8]
	v_add_f64 v[5:6], v[11:12], v[15:16]
	v_add_f64 v[7:8], v[13:14], v[7:8]
	flat_store_dwordx4 v[9:10], v[5:8]
.LBB1689_14:
	s_or_b64 exec, exec, s[0:1]
	v_add_u32_e32 v3, 16, v4
	v_ashrrev_i32_e32 v1, 31, v3
	v_mul_lo_u32 v1, s18, v1
	v_mul_lo_u32 v6, s19, v3
	v_mad_u64_u32 v[4:5], s[0:1], s18, v3, 0
	v_cmp_gt_i32_e32 vcc, s28, v3
	v_add3_u32 v5, v5, v1, v6
	v_lshlrev_b64 v[4:5], 4, v[4:5]
	v_mov_b32_e32 v1, s17
	v_add_co_u32_e64 v4, s[0:1], s16, v4
	v_addc_co_u32_e64 v5, s[0:1], v1, v5, s[0:1]
	v_cmp_le_i32_e64 s[0:1], v0, v3
	s_and_b64 s[0:1], vcc, s[0:1]
	s_and_saveexec_b64 s[2:3], s[0:1]
	s_cbranch_execz .LBB1689_16
; %bb.15:
	v_ashrrev_i32_e32 v1, 31, v0
	v_lshlrev_b64 v[0:1], 4, v[0:1]
	v_mul_f64 v[10:11], s[24:25], v[19:20]
	v_add_co_u32_e64 v0, s[0:1], v4, v0
	v_addc_co_u32_e64 v1, s[0:1], v5, v1, s[0:1]
	flat_load_dwordx4 v[6:9], v[0:1]
	v_mul_f64 v[12:13], s[22:23], v[19:20]
	v_fma_f64 v[10:11], s[22:23], v[17:18], -v[10:11]
	v_fma_f64 v[12:13], s[24:25], v[17:18], v[12:13]
	s_waitcnt vmcnt(0) lgkmcnt(0)
	v_mul_f64 v[14:15], s[14:15], v[8:9]
	v_mul_f64 v[8:9], s[12:13], v[8:9]
	v_fma_f64 v[14:15], s[12:13], v[6:7], -v[14:15]
	v_fma_f64 v[8:9], s[14:15], v[6:7], v[8:9]
	v_add_f64 v[6:7], v[10:11], v[14:15]
	v_add_f64 v[8:9], v[12:13], v[8:9]
	flat_store_dwordx4 v[0:1], v[6:9]
.LBB1689_16:
	s_or_b64 exec, exec, s[2:3]
	v_cmp_le_i32_e64 s[0:1], v2, v3
	s_and_b64 s[0:1], vcc, s[0:1]
	s_and_saveexec_b64 s[2:3], s[0:1]
	s_cbranch_execz .LBB1689_18
; %bb.17:
	v_ashrrev_i32_e32 v3, 31, v2
	v_lshlrev_b64 v[0:1], 4, v[2:3]
	v_mul_f64 v[6:7], s[24:25], v[27:28]
	v_add_co_u32_e32 v4, vcc, v4, v0
	v_addc_co_u32_e32 v5, vcc, v5, v1, vcc
	flat_load_dwordx4 v[0:3], v[4:5]
	v_mul_f64 v[8:9], s[22:23], v[27:28]
	v_fma_f64 v[6:7], s[22:23], v[25:26], -v[6:7]
	v_fma_f64 v[8:9], s[24:25], v[25:26], v[8:9]
	s_waitcnt vmcnt(0) lgkmcnt(0)
	v_mul_f64 v[10:11], s[14:15], v[2:3]
	v_mul_f64 v[2:3], s[12:13], v[2:3]
	v_fma_f64 v[10:11], s[12:13], v[0:1], -v[10:11]
	v_fma_f64 v[2:3], s[14:15], v[0:1], v[2:3]
	v_add_f64 v[0:1], v[6:7], v[10:11]
	v_add_f64 v[2:3], v[8:9], v[2:3]
	flat_store_dwordx4 v[4:5], v[0:3]
.LBB1689_18:
	s_endpgm
	.section	.rodata,"a",@progbits
	.p2align	6, 0x0
	.amdhsa_kernel _ZL34rocblas_syrkx_herkx_general_kernelIl19rocblas_complex_numIdELi16ELi32ELi8ELb0ELb0ELc67ELc85EKPKS1_KPS1_EviT_T0_PT8_S7_lSA_S7_lS8_PT9_S7_li
		.amdhsa_group_segment_fixed_size 8192
		.amdhsa_private_segment_fixed_size 0
		.amdhsa_kernarg_size 124
		.amdhsa_user_sgpr_count 6
		.amdhsa_user_sgpr_private_segment_buffer 1
		.amdhsa_user_sgpr_dispatch_ptr 0
		.amdhsa_user_sgpr_queue_ptr 0
		.amdhsa_user_sgpr_kernarg_segment_ptr 1
		.amdhsa_user_sgpr_dispatch_id 0
		.amdhsa_user_sgpr_flat_scratch_init 0
		.amdhsa_user_sgpr_private_segment_size 0
		.amdhsa_uses_dynamic_stack 0
		.amdhsa_system_sgpr_private_segment_wavefront_offset 0
		.amdhsa_system_sgpr_workgroup_id_x 1
		.amdhsa_system_sgpr_workgroup_id_y 1
		.amdhsa_system_sgpr_workgroup_id_z 1
		.amdhsa_system_sgpr_workgroup_info 0
		.amdhsa_system_vgpr_workitem_id 1
		.amdhsa_next_free_vgpr 59
		.amdhsa_next_free_sgpr 61
		.amdhsa_reserve_vcc 1
		.amdhsa_reserve_flat_scratch 0
		.amdhsa_float_round_mode_32 0
		.amdhsa_float_round_mode_16_64 0
		.amdhsa_float_denorm_mode_32 3
		.amdhsa_float_denorm_mode_16_64 3
		.amdhsa_dx10_clamp 1
		.amdhsa_ieee_mode 1
		.amdhsa_fp16_overflow 0
		.amdhsa_exception_fp_ieee_invalid_op 0
		.amdhsa_exception_fp_denorm_src 0
		.amdhsa_exception_fp_ieee_div_zero 0
		.amdhsa_exception_fp_ieee_overflow 0
		.amdhsa_exception_fp_ieee_underflow 0
		.amdhsa_exception_fp_ieee_inexact 0
		.amdhsa_exception_int_div_zero 0
	.end_amdhsa_kernel
	.section	.text._ZL34rocblas_syrkx_herkx_general_kernelIl19rocblas_complex_numIdELi16ELi32ELi8ELb0ELb0ELc67ELc85EKPKS1_KPS1_EviT_T0_PT8_S7_lSA_S7_lS8_PT9_S7_li,"axG",@progbits,_ZL34rocblas_syrkx_herkx_general_kernelIl19rocblas_complex_numIdELi16ELi32ELi8ELb0ELb0ELc67ELc85EKPKS1_KPS1_EviT_T0_PT8_S7_lSA_S7_lS8_PT9_S7_li,comdat
.Lfunc_end1689:
	.size	_ZL34rocblas_syrkx_herkx_general_kernelIl19rocblas_complex_numIdELi16ELi32ELi8ELb0ELb0ELc67ELc85EKPKS1_KPS1_EviT_T0_PT8_S7_lSA_S7_lS8_PT9_S7_li, .Lfunc_end1689-_ZL34rocblas_syrkx_herkx_general_kernelIl19rocblas_complex_numIdELi16ELi32ELi8ELb0ELb0ELc67ELc85EKPKS1_KPS1_EviT_T0_PT8_S7_lSA_S7_lS8_PT9_S7_li
                                        ; -- End function
	.set _ZL34rocblas_syrkx_herkx_general_kernelIl19rocblas_complex_numIdELi16ELi32ELi8ELb0ELb0ELc67ELc85EKPKS1_KPS1_EviT_T0_PT8_S7_lSA_S7_lS8_PT9_S7_li.num_vgpr, 59
	.set _ZL34rocblas_syrkx_herkx_general_kernelIl19rocblas_complex_numIdELi16ELi32ELi8ELb0ELb0ELc67ELc85EKPKS1_KPS1_EviT_T0_PT8_S7_lSA_S7_lS8_PT9_S7_li.num_agpr, 0
	.set _ZL34rocblas_syrkx_herkx_general_kernelIl19rocblas_complex_numIdELi16ELi32ELi8ELb0ELb0ELc67ELc85EKPKS1_KPS1_EviT_T0_PT8_S7_lSA_S7_lS8_PT9_S7_li.numbered_sgpr, 31
	.set _ZL34rocblas_syrkx_herkx_general_kernelIl19rocblas_complex_numIdELi16ELi32ELi8ELb0ELb0ELc67ELc85EKPKS1_KPS1_EviT_T0_PT8_S7_lSA_S7_lS8_PT9_S7_li.num_named_barrier, 0
	.set _ZL34rocblas_syrkx_herkx_general_kernelIl19rocblas_complex_numIdELi16ELi32ELi8ELb0ELb0ELc67ELc85EKPKS1_KPS1_EviT_T0_PT8_S7_lSA_S7_lS8_PT9_S7_li.private_seg_size, 0
	.set _ZL34rocblas_syrkx_herkx_general_kernelIl19rocblas_complex_numIdELi16ELi32ELi8ELb0ELb0ELc67ELc85EKPKS1_KPS1_EviT_T0_PT8_S7_lSA_S7_lS8_PT9_S7_li.uses_vcc, 1
	.set _ZL34rocblas_syrkx_herkx_general_kernelIl19rocblas_complex_numIdELi16ELi32ELi8ELb0ELb0ELc67ELc85EKPKS1_KPS1_EviT_T0_PT8_S7_lSA_S7_lS8_PT9_S7_li.uses_flat_scratch, 0
	.set _ZL34rocblas_syrkx_herkx_general_kernelIl19rocblas_complex_numIdELi16ELi32ELi8ELb0ELb0ELc67ELc85EKPKS1_KPS1_EviT_T0_PT8_S7_lSA_S7_lS8_PT9_S7_li.has_dyn_sized_stack, 0
	.set _ZL34rocblas_syrkx_herkx_general_kernelIl19rocblas_complex_numIdELi16ELi32ELi8ELb0ELb0ELc67ELc85EKPKS1_KPS1_EviT_T0_PT8_S7_lSA_S7_lS8_PT9_S7_li.has_recursion, 0
	.set _ZL34rocblas_syrkx_herkx_general_kernelIl19rocblas_complex_numIdELi16ELi32ELi8ELb0ELb0ELc67ELc85EKPKS1_KPS1_EviT_T0_PT8_S7_lSA_S7_lS8_PT9_S7_li.has_indirect_call, 0
	.section	.AMDGPU.csdata,"",@progbits
; Kernel info:
; codeLenInByte = 3392
; TotalNumSgprs: 35
; NumVgprs: 59
; ScratchSize: 0
; MemoryBound: 1
; FloatMode: 240
; IeeeMode: 1
; LDSByteSize: 8192 bytes/workgroup (compile time only)
; SGPRBlocks: 8
; VGPRBlocks: 14
; NumSGPRsForWavesPerEU: 65
; NumVGPRsForWavesPerEU: 59
; Occupancy: 4
; WaveLimiterHint : 1
; COMPUTE_PGM_RSRC2:SCRATCH_EN: 0
; COMPUTE_PGM_RSRC2:USER_SGPR: 6
; COMPUTE_PGM_RSRC2:TRAP_HANDLER: 0
; COMPUTE_PGM_RSRC2:TGID_X_EN: 1
; COMPUTE_PGM_RSRC2:TGID_Y_EN: 1
; COMPUTE_PGM_RSRC2:TGID_Z_EN: 1
; COMPUTE_PGM_RSRC2:TIDIG_COMP_CNT: 1
	.section	.text._ZL34rocblas_syrkx_herkx_general_kernelIl19rocblas_complex_numIdELi16ELi32ELi8ELb0ELb0ELc78ELc85EKPKS1_KPS1_EviT_T0_PT8_S7_lSA_S7_lS8_PT9_S7_li,"axG",@progbits,_ZL34rocblas_syrkx_herkx_general_kernelIl19rocblas_complex_numIdELi16ELi32ELi8ELb0ELb0ELc78ELc85EKPKS1_KPS1_EviT_T0_PT8_S7_lSA_S7_lS8_PT9_S7_li,comdat
	.globl	_ZL34rocblas_syrkx_herkx_general_kernelIl19rocblas_complex_numIdELi16ELi32ELi8ELb0ELb0ELc78ELc85EKPKS1_KPS1_EviT_T0_PT8_S7_lSA_S7_lS8_PT9_S7_li ; -- Begin function _ZL34rocblas_syrkx_herkx_general_kernelIl19rocblas_complex_numIdELi16ELi32ELi8ELb0ELb0ELc78ELc85EKPKS1_KPS1_EviT_T0_PT8_S7_lSA_S7_lS8_PT9_S7_li
	.p2align	8
	.type	_ZL34rocblas_syrkx_herkx_general_kernelIl19rocblas_complex_numIdELi16ELi32ELi8ELb0ELb0ELc78ELc85EKPKS1_KPS1_EviT_T0_PT8_S7_lSA_S7_lS8_PT9_S7_li,@function
_ZL34rocblas_syrkx_herkx_general_kernelIl19rocblas_complex_numIdELi16ELi32ELi8ELb0ELb0ELc78ELc85EKPKS1_KPS1_EviT_T0_PT8_S7_lSA_S7_lS8_PT9_S7_li: ; @_ZL34rocblas_syrkx_herkx_general_kernelIl19rocblas_complex_numIdELi16ELi32ELi8ELb0ELb0ELc78ELc85EKPKS1_KPS1_EviT_T0_PT8_S7_lSA_S7_lS8_PT9_S7_li
; %bb.0:
	s_load_dword s30, s[4:5], 0x0
	s_load_dwordx8 s[12:19], s[4:5], 0x50
	s_load_dwordx8 s[20:27], s[4:5], 0x8
	s_load_dwordx2 s[28:29], s[4:5], 0x28
	s_mov_b32 s9, 0
	s_lshl_b64 s[0:1], s[8:9], 3
	s_waitcnt lgkmcnt(0)
	s_add_u32 s2, s16, s0
	s_addc_u32 s3, s17, s1
	s_load_dwordx2 s[16:17], s[2:3], 0x0
	v_cmp_lt_i64_e64 s[2:3], s[20:21], 1
	s_lshl_b32 s31, s6, 5
	s_lshl_b32 s33, s7, 5
	s_and_b64 vcc, exec, s[2:3]
	s_cbranch_vccnz .LBB1690_9
; %bb.1:
	s_load_dwordx4 s[8:11], s[4:5], 0x38
	v_lshl_add_u32 v3, v1, 4, v0
	v_and_b32_e32 v7, 31, v3
	v_or_b32_e32 v4, s31, v7
	v_lshrrev_b32_e32 v29, 5, v3
	s_waitcnt lgkmcnt(0)
	s_add_u32 s2, s8, s0
	s_addc_u32 s3, s9, s1
	s_load_dwordx2 s[6:7], s[2:3], 0x0
	v_cmp_gt_i32_e32 vcc, s30, v4
	v_mad_u64_u32 v[4:5], s[2:3], s28, v29, 0
	v_lshrrev_b32_e32 v6, 3, v3
	v_and_b32_e32 v30, 7, v0
	v_lshlrev_b32_e32 v3, 4, v7
	v_lshl_or_b32 v31, v29, 9, v3
	v_lshlrev_b32_e32 v3, 4, v30
	v_add_u32_e32 v2, s33, v6
	v_lshl_or_b32 v3, v6, 7, v3
	v_mad_u64_u32 v[5:6], s[2:3], s29, v29, v[5:6]
	v_mov_b32_e32 v6, 0x1000
	v_lshl_add_u32 v34, v1, 7, v6
	v_add_u32_e32 v6, s31, v7
	v_mad_u64_u32 v[9:10], s[2:3], s10, v30, 0
	v_ashrrev_i32_e32 v7, 31, v6
	v_lshlrev_b64 v[4:5], 4, v[4:5]
	v_lshlrev_b64 v[6:7], 4, v[6:7]
	s_add_u32 s0, s26, s0
	s_addc_u32 s1, s27, s1
	v_add_co_u32_e64 v6, s[2:3], v4, v6
	v_mov_b32_e32 v4, v10
	s_load_dwordx2 s[4:5], s[0:1], 0x0
	v_addc_co_u32_e64 v8, s[2:3], v5, v7, s[2:3]
	v_mad_u64_u32 v[4:5], s[2:3], s11, v30, v[4:5]
	v_add_u32_e32 v32, 0x1000, v3
	v_ashrrev_i32_e32 v3, 31, v2
	v_mov_b32_e32 v10, v4
	v_cmp_gt_i32_e64 s[0:1], s30, v2
	s_waitcnt lgkmcnt(0)
	v_mov_b32_e32 v11, s5
	v_add_co_u32_e64 v7, s[2:3], s4, v6
	v_lshlrev_b64 v[4:5], 4, v[9:10]
	v_lshlrev_b64 v[2:3], 4, v[2:3]
	v_addc_co_u32_e64 v8, s[2:3], v11, v8, s[2:3]
	v_add_co_u32_e64 v2, s[2:3], v4, v2
	v_addc_co_u32_e64 v3, s[2:3], v5, v3, s[2:3]
	v_mov_b32_e32 v4, s7
	v_add_co_u32_e64 v9, s[2:3], s6, v2
	v_addc_co_u32_e64 v10, s[2:3], v4, v3, s[2:3]
	s_lshl_b64 s[4:5], s[28:29], 7
	s_lshl_b64 s[2:3], s[10:11], 7
	v_mov_b32_e32 v27, 0
	v_mov_b32_e32 v11, s20
	;; [unrolled: 1-line block ×9, first 2 shown]
	v_lshlrev_b32_e32 v33, 4, v0
	s_mov_b64 s[6:7], 0
	v_mov_b32_e32 v28, 0
	s_xor_b64 s[8:9], vcc, -1
	v_mov_b32_e32 v35, s5
	v_mov_b32_e32 v36, s3
	;; [unrolled: 1-line block ×11, first 2 shown]
	s_branch .LBB1690_3
.LBB1690_2:                             ;   in Loop: Header=BB1690_3 Depth=1
	s_or_b64 exec, exec, s[10:11]
	s_waitcnt vmcnt(0) lgkmcnt(0)
	ds_write_b128 v32, v[3:6]
	s_waitcnt lgkmcnt(0)
	s_barrier
	ds_read_b128 v[3:6], v34
	ds_read_b128 v[37:40], v34 offset:16
	ds_read_b128 v[41:44], v34 offset:32
	;; [unrolled: 1-line block ×3, first 2 shown]
	ds_read_b128 v[49:52], v33
	v_add_co_u32_e32 v7, vcc, s4, v7
	v_addc_co_u32_e32 v8, vcc, v8, v35, vcc
	s_waitcnt lgkmcnt(0)
	v_mul_f64 v[53:54], v[5:6], v[51:52]
	v_mul_f64 v[55:56], v[3:4], v[51:52]
	s_add_u32 s6, s6, 8
	v_add_co_u32_e32 v9, vcc, s2, v9
	s_addc_u32 s7, s7, 0
	v_addc_co_u32_e32 v10, vcc, v10, v36, vcc
	v_fma_f64 v[53:54], v[3:4], v[49:50], -v[53:54]
	v_fma_f64 v[55:56], v[5:6], v[49:50], v[55:56]
	v_cmp_ge_i64_e32 vcc, s[6:7], v[11:12]
	s_and_b64 vcc, exec, vcc
	v_add_f64 v[53:54], v[21:22], v[53:54]
	v_add_f64 v[55:56], v[55:56], v[23:24]
	ds_read_b128 v[21:24], v33 offset:256
	s_waitcnt lgkmcnt(0)
	v_mul_f64 v[57:58], v[5:6], v[23:24]
	v_fma_f64 v[57:58], v[3:4], v[21:22], -v[57:58]
	v_mul_f64 v[3:4], v[3:4], v[23:24]
	v_add_f64 v[57:58], v[13:14], v[57:58]
	v_fma_f64 v[3:4], v[5:6], v[21:22], v[3:4]
	v_add_f64 v[59:60], v[3:4], v[15:16]
	ds_read_b128 v[3:6], v34 offset:2048
	s_waitcnt lgkmcnt(0)
	v_mul_f64 v[13:14], v[5:6], v[51:52]
	v_mul_f64 v[15:16], v[3:4], v[51:52]
	v_fma_f64 v[13:14], v[3:4], v[49:50], -v[13:14]
	v_fma_f64 v[15:16], v[5:6], v[49:50], v[15:16]
	v_add_f64 v[49:50], v[17:18], v[13:14]
	v_mul_f64 v[13:14], v[5:6], v[23:24]
	v_add_f64 v[51:52], v[15:16], v[19:20]
	v_fma_f64 v[13:14], v[3:4], v[21:22], -v[13:14]
	v_mul_f64 v[3:4], v[3:4], v[23:24]
	v_fma_f64 v[3:4], v[5:6], v[21:22], v[3:4]
	v_add_f64 v[21:22], v[25:26], v[13:14]
	v_add_f64 v[23:24], v[3:4], v[27:28]
	ds_read_b128 v[3:6], v33 offset:512
	s_waitcnt lgkmcnt(0)
	v_mul_f64 v[13:14], v[39:40], v[5:6]
	v_mul_f64 v[15:16], v[37:38], v[5:6]
	v_fma_f64 v[13:14], v[37:38], v[3:4], -v[13:14]
	v_fma_f64 v[15:16], v[39:40], v[3:4], v[15:16]
	v_add_f64 v[25:26], v[53:54], v[13:14]
	v_add_f64 v[27:28], v[15:16], v[55:56]
	ds_read_b128 v[13:16], v33 offset:768
	s_waitcnt lgkmcnt(0)
	v_mul_f64 v[17:18], v[39:40], v[15:16]
	v_mul_f64 v[19:20], v[37:38], v[15:16]
	v_fma_f64 v[17:18], v[37:38], v[13:14], -v[17:18]
	;; [unrolled: 8-line block ×3, first 2 shown]
	v_fma_f64 v[3:4], v[19:20], v[3:4], v[5:6]
	v_mul_f64 v[5:6], v[17:18], v[15:16]
	v_add_f64 v[49:50], v[49:50], v[53:54]
	v_add_f64 v[51:52], v[3:4], v[51:52]
	v_mul_f64 v[3:4], v[19:20], v[15:16]
	v_fma_f64 v[5:6], v[19:20], v[13:14], v[5:6]
	v_fma_f64 v[3:4], v[17:18], v[13:14], -v[3:4]
	v_add_f64 v[23:24], v[5:6], v[23:24]
	v_add_f64 v[21:22], v[21:22], v[3:4]
	ds_read_b128 v[3:6], v33 offset:1024
	s_waitcnt lgkmcnt(0)
	v_mul_f64 v[13:14], v[43:44], v[5:6]
	v_mul_f64 v[15:16], v[41:42], v[5:6]
	v_fma_f64 v[13:14], v[41:42], v[3:4], -v[13:14]
	v_fma_f64 v[15:16], v[43:44], v[3:4], v[15:16]
	v_add_f64 v[25:26], v[25:26], v[13:14]
	v_add_f64 v[27:28], v[15:16], v[27:28]
	ds_read_b128 v[13:16], v33 offset:1280
	s_waitcnt lgkmcnt(0)
	v_mul_f64 v[17:18], v[43:44], v[15:16]
	v_mul_f64 v[19:20], v[41:42], v[15:16]
	v_fma_f64 v[17:18], v[41:42], v[13:14], -v[17:18]
	v_fma_f64 v[19:20], v[43:44], v[13:14], v[19:20]
	;; [unrolled: 8-line block ×3, first 2 shown]
	v_mul_f64 v[5:6], v[17:18], v[15:16]
	v_add_f64 v[41:42], v[49:50], v[41:42]
	v_add_f64 v[43:44], v[3:4], v[51:52]
	v_mul_f64 v[3:4], v[19:20], v[15:16]
	v_fma_f64 v[5:6], v[19:20], v[13:14], v[5:6]
	v_fma_f64 v[3:4], v[17:18], v[13:14], -v[3:4]
	v_add_f64 v[23:24], v[5:6], v[23:24]
	v_add_f64 v[21:22], v[21:22], v[3:4]
	ds_read_b128 v[3:6], v33 offset:1536
	s_waitcnt lgkmcnt(0)
	v_mul_f64 v[13:14], v[47:48], v[5:6]
	v_mul_f64 v[15:16], v[45:46], v[5:6]
	v_fma_f64 v[13:14], v[45:46], v[3:4], -v[13:14]
	v_fma_f64 v[15:16], v[47:48], v[3:4], v[15:16]
	v_add_f64 v[25:26], v[25:26], v[13:14]
	v_add_f64 v[27:28], v[15:16], v[27:28]
	ds_read_b128 v[13:16], v33 offset:1792
	s_waitcnt lgkmcnt(0)
	v_mul_f64 v[17:18], v[47:48], v[15:16]
	v_mul_f64 v[19:20], v[45:46], v[15:16]
	v_fma_f64 v[17:18], v[45:46], v[13:14], -v[17:18]
	v_fma_f64 v[19:20], v[47:48], v[13:14], v[19:20]
	;; [unrolled: 8-line block ×3, first 2 shown]
	v_mul_f64 v[5:6], v[17:18], v[15:16]
	v_add_f64 v[41:42], v[41:42], v[45:46]
	v_add_f64 v[43:44], v[3:4], v[43:44]
	v_mul_f64 v[3:4], v[19:20], v[15:16]
	v_fma_f64 v[5:6], v[19:20], v[13:14], v[5:6]
	v_fma_f64 v[3:4], v[17:18], v[13:14], -v[3:4]
	v_add_f64 v[23:24], v[5:6], v[23:24]
	v_add_f64 v[21:22], v[21:22], v[3:4]
	ds_read_b128 v[3:6], v34 offset:64
	ds_read_b128 v[13:16], v33 offset:2048
	s_waitcnt lgkmcnt(0)
	v_mul_f64 v[17:18], v[5:6], v[15:16]
	v_mul_f64 v[19:20], v[3:4], v[15:16]
	v_fma_f64 v[17:18], v[3:4], v[13:14], -v[17:18]
	v_fma_f64 v[19:20], v[5:6], v[13:14], v[19:20]
	v_add_f64 v[25:26], v[25:26], v[17:18]
	v_add_f64 v[27:28], v[19:20], v[27:28]
	ds_read_b128 v[17:20], v33 offset:2304
	s_waitcnt lgkmcnt(0)
	v_mul_f64 v[45:46], v[5:6], v[19:20]
	v_fma_f64 v[45:46], v[3:4], v[17:18], -v[45:46]
	v_mul_f64 v[3:4], v[3:4], v[19:20]
	v_add_f64 v[37:38], v[37:38], v[45:46]
	v_fma_f64 v[3:4], v[5:6], v[17:18], v[3:4]
	v_add_f64 v[39:40], v[3:4], v[39:40]
	ds_read_b128 v[3:6], v34 offset:2112
	s_waitcnt lgkmcnt(0)
	v_mul_f64 v[45:46], v[5:6], v[15:16]
	v_mul_f64 v[15:16], v[3:4], v[15:16]
	v_fma_f64 v[45:46], v[3:4], v[13:14], -v[45:46]
	v_fma_f64 v[13:14], v[5:6], v[13:14], v[15:16]
	v_add_f64 v[41:42], v[41:42], v[45:46]
	v_add_f64 v[43:44], v[13:14], v[43:44]
	v_mul_f64 v[13:14], v[5:6], v[19:20]
	v_fma_f64 v[13:14], v[3:4], v[17:18], -v[13:14]
	v_mul_f64 v[3:4], v[3:4], v[19:20]
	v_add_f64 v[21:22], v[21:22], v[13:14]
	v_fma_f64 v[3:4], v[5:6], v[17:18], v[3:4]
	v_add_f64 v[23:24], v[3:4], v[23:24]
	ds_read_b128 v[3:6], v34 offset:80
	ds_read_b128 v[13:16], v33 offset:2560
	s_waitcnt lgkmcnt(0)
	v_mul_f64 v[17:18], v[5:6], v[15:16]
	v_mul_f64 v[19:20], v[3:4], v[15:16]
	v_fma_f64 v[17:18], v[3:4], v[13:14], -v[17:18]
	v_fma_f64 v[19:20], v[5:6], v[13:14], v[19:20]
	v_add_f64 v[25:26], v[25:26], v[17:18]
	v_add_f64 v[27:28], v[19:20], v[27:28]
	ds_read_b128 v[17:20], v33 offset:2816
	s_waitcnt lgkmcnt(0)
	v_mul_f64 v[45:46], v[5:6], v[19:20]
	v_fma_f64 v[45:46], v[3:4], v[17:18], -v[45:46]
	v_mul_f64 v[3:4], v[3:4], v[19:20]
	v_add_f64 v[37:38], v[37:38], v[45:46]
	v_fma_f64 v[3:4], v[5:6], v[17:18], v[3:4]
	v_add_f64 v[39:40], v[3:4], v[39:40]
	ds_read_b128 v[3:6], v34 offset:2128
	s_waitcnt lgkmcnt(0)
	v_mul_f64 v[45:46], v[5:6], v[15:16]
	v_mul_f64 v[15:16], v[3:4], v[15:16]
	v_fma_f64 v[45:46], v[3:4], v[13:14], -v[45:46]
	v_fma_f64 v[13:14], v[5:6], v[13:14], v[15:16]
	v_add_f64 v[41:42], v[41:42], v[45:46]
	v_add_f64 v[43:44], v[13:14], v[43:44]
	v_mul_f64 v[13:14], v[5:6], v[19:20]
	v_fma_f64 v[13:14], v[3:4], v[17:18], -v[13:14]
	v_mul_f64 v[3:4], v[3:4], v[19:20]
	v_add_f64 v[21:22], v[21:22], v[13:14]
	v_fma_f64 v[3:4], v[5:6], v[17:18], v[3:4]
	;; [unrolled: 31-line block ×3, first 2 shown]
	v_add_f64 v[47:48], v[3:4], v[23:24]
	ds_read_b128 v[3:6], v34 offset:112
	ds_read_b128 v[17:20], v33 offset:3584
	s_waitcnt lgkmcnt(0)
	v_mul_f64 v[13:14], v[5:6], v[19:20]
	v_mul_f64 v[15:16], v[3:4], v[19:20]
	v_fma_f64 v[13:14], v[3:4], v[17:18], -v[13:14]
	v_fma_f64 v[15:16], v[5:6], v[17:18], v[15:16]
	v_add_f64 v[21:22], v[25:26], v[13:14]
	v_add_f64 v[23:24], v[15:16], v[27:28]
	ds_read_b128 v[25:28], v33 offset:3840
	s_waitcnt lgkmcnt(0)
	v_mul_f64 v[13:14], v[5:6], v[27:28]
	v_fma_f64 v[13:14], v[3:4], v[25:26], -v[13:14]
	v_mul_f64 v[3:4], v[3:4], v[27:28]
	v_add_f64 v[13:14], v[37:38], v[13:14]
	v_fma_f64 v[3:4], v[5:6], v[25:26], v[3:4]
	v_add_f64 v[15:16], v[3:4], v[39:40]
	ds_read_b128 v[3:6], v34 offset:2160
	s_waitcnt lgkmcnt(0)
	s_barrier
	v_mul_f64 v[37:38], v[5:6], v[19:20]
	v_mul_f64 v[19:20], v[3:4], v[19:20]
	v_fma_f64 v[37:38], v[3:4], v[17:18], -v[37:38]
	v_fma_f64 v[19:20], v[5:6], v[17:18], v[19:20]
	v_add_f64 v[17:18], v[41:42], v[37:38]
	v_mul_f64 v[37:38], v[5:6], v[27:28]
	v_add_f64 v[19:20], v[19:20], v[43:44]
	v_fma_f64 v[37:38], v[3:4], v[25:26], -v[37:38]
	v_mul_f64 v[3:4], v[3:4], v[27:28]
	v_fma_f64 v[3:4], v[5:6], v[25:26], v[3:4]
	v_add_f64 v[25:26], v[45:46], v[37:38]
	v_add_f64 v[27:28], v[3:4], v[47:48]
	s_cbranch_vccnz .LBB1690_10
.LBB1690_3:                             ; =>This Inner Loop Header: Depth=1
	v_mov_b32_e32 v4, s7
	v_add_co_u32_e32 v3, vcc, s6, v29
	v_addc_co_u32_e32 v4, vcc, 0, v4, vcc
	v_cmp_le_i64_e32 vcc, s[20:21], v[3:4]
	s_or_b64 s[10:11], s[8:9], vcc
	s_and_saveexec_b64 s[26:27], s[10:11]
	s_xor_b64 s[10:11], exec, s[26:27]
; %bb.4:                                ;   in Loop: Header=BB1690_3 Depth=1
	v_mov_b32_e32 v3, v2
	v_mov_b32_e32 v4, v2
	;; [unrolled: 1-line block ×3, first 2 shown]
	ds_write_b128 v31, v[2:5]
; %bb.5:                                ;   in Loop: Header=BB1690_3 Depth=1
	s_andn2_saveexec_b64 s[10:11], s[10:11]
	s_cbranch_execz .LBB1690_7
; %bb.6:                                ;   in Loop: Header=BB1690_3 Depth=1
	flat_load_dwordx4 v[3:6], v[7:8]
	s_waitcnt vmcnt(0) lgkmcnt(0)
	ds_write2_b64 v31, v[3:4], v[5:6] offset1:1
.LBB1690_7:                             ;   in Loop: Header=BB1690_3 Depth=1
	s_or_b64 exec, exec, s[10:11]
	v_mov_b32_e32 v4, s7
	v_add_co_u32_e32 v3, vcc, s6, v30
	v_addc_co_u32_e32 v4, vcc, 0, v4, vcc
	v_cmp_gt_i64_e32 vcc, s[20:21], v[3:4]
	v_mov_b32_e32 v3, 0
	v_mov_b32_e32 v5, 0
	;; [unrolled: 1-line block ×4, first 2 shown]
	s_and_b64 s[26:27], vcc, s[0:1]
	s_and_saveexec_b64 s[10:11], s[26:27]
	s_cbranch_execz .LBB1690_2
; %bb.8:                                ;   in Loop: Header=BB1690_3 Depth=1
	flat_load_dwordx4 v[3:6], v[9:10]
	s_branch .LBB1690_2
.LBB1690_9:
	v_mov_b32_e32 v21, 0
	v_mov_b32_e32 v23, 0
	;; [unrolled: 1-line block ×16, first 2 shown]
.LBB1690_10:
	v_add_u32_e32 v4, s33, v1
	v_ashrrev_i32_e32 v1, 31, v4
	v_mul_lo_u32 v3, s18, v1
	v_mul_lo_u32 v5, s19, v4
	v_mad_u64_u32 v[1:2], s[0:1], s18, v4, 0
	v_add_u32_e32 v0, s31, v0
	v_cmp_gt_i32_e32 vcc, s30, v4
	v_add3_u32 v2, v2, v3, v5
	v_lshlrev_b64 v[1:2], 4, v[1:2]
	s_waitcnt lgkmcnt(0)
	v_mov_b32_e32 v3, s17
	v_add_co_u32_e64 v5, s[0:1], s16, v1
	v_addc_co_u32_e64 v6, s[0:1], v3, v2, s[0:1]
	v_cmp_le_i32_e64 s[0:1], v0, v4
	s_and_b64 s[0:1], vcc, s[0:1]
	s_and_saveexec_b64 s[2:3], s[0:1]
	s_cbranch_execz .LBB1690_12
; %bb.11:
	v_ashrrev_i32_e32 v1, 31, v0
	v_lshlrev_b64 v[1:2], 4, v[0:1]
	v_mul_f64 v[11:12], s[24:25], v[23:24]
	v_add_co_u32_e64 v1, s[0:1], v5, v1
	v_addc_co_u32_e64 v2, s[0:1], v6, v2, s[0:1]
	flat_load_dwordx4 v[7:10], v[1:2]
	v_mul_f64 v[23:24], s[22:23], v[23:24]
	v_fma_f64 v[11:12], s[22:23], v[21:22], -v[11:12]
	v_fma_f64 v[21:22], s[24:25], v[21:22], v[23:24]
	s_waitcnt vmcnt(0) lgkmcnt(0)
	v_mul_f64 v[29:30], s[14:15], v[9:10]
	v_mul_f64 v[9:10], s[12:13], v[9:10]
	v_fma_f64 v[23:24], s[12:13], v[7:8], -v[29:30]
	v_fma_f64 v[9:10], s[14:15], v[7:8], v[9:10]
	v_add_f64 v[7:8], v[11:12], v[23:24]
	v_add_f64 v[9:10], v[21:22], v[9:10]
	flat_store_dwordx4 v[1:2], v[7:10]
.LBB1690_12:
	s_or_b64 exec, exec, s[2:3]
	v_add_u32_e32 v2, 16, v0
	v_cmp_le_i32_e64 s[0:1], v2, v4
	s_and_b64 s[2:3], vcc, s[0:1]
	s_and_saveexec_b64 s[0:1], s[2:3]
	s_cbranch_execz .LBB1690_14
; %bb.13:
	v_ashrrev_i32_e32 v3, 31, v2
	v_lshlrev_b64 v[7:8], 4, v[2:3]
	v_mul_f64 v[11:12], s[24:25], v[15:16]
	v_add_co_u32_e32 v9, vcc, v5, v7
	v_addc_co_u32_e32 v10, vcc, v6, v8, vcc
	flat_load_dwordx4 v[5:8], v[9:10]
	v_mul_f64 v[15:16], s[22:23], v[15:16]
	v_fma_f64 v[11:12], s[22:23], v[13:14], -v[11:12]
	v_fma_f64 v[13:14], s[24:25], v[13:14], v[15:16]
	s_waitcnt vmcnt(0) lgkmcnt(0)
	v_mul_f64 v[21:22], s[14:15], v[7:8]
	v_mul_f64 v[7:8], s[12:13], v[7:8]
	v_fma_f64 v[15:16], s[12:13], v[5:6], -v[21:22]
	v_fma_f64 v[7:8], s[14:15], v[5:6], v[7:8]
	v_add_f64 v[5:6], v[11:12], v[15:16]
	v_add_f64 v[7:8], v[13:14], v[7:8]
	flat_store_dwordx4 v[9:10], v[5:8]
.LBB1690_14:
	s_or_b64 exec, exec, s[0:1]
	v_add_u32_e32 v3, 16, v4
	v_ashrrev_i32_e32 v1, 31, v3
	v_mul_lo_u32 v1, s18, v1
	v_mul_lo_u32 v6, s19, v3
	v_mad_u64_u32 v[4:5], s[0:1], s18, v3, 0
	v_cmp_gt_i32_e32 vcc, s30, v3
	v_add3_u32 v5, v5, v1, v6
	v_lshlrev_b64 v[4:5], 4, v[4:5]
	v_mov_b32_e32 v1, s17
	v_add_co_u32_e64 v4, s[0:1], s16, v4
	v_addc_co_u32_e64 v5, s[0:1], v1, v5, s[0:1]
	v_cmp_le_i32_e64 s[0:1], v0, v3
	s_and_b64 s[0:1], vcc, s[0:1]
	s_and_saveexec_b64 s[2:3], s[0:1]
	s_cbranch_execz .LBB1690_16
; %bb.15:
	v_ashrrev_i32_e32 v1, 31, v0
	v_lshlrev_b64 v[0:1], 4, v[0:1]
	v_mul_f64 v[10:11], s[24:25], v[19:20]
	v_add_co_u32_e64 v0, s[0:1], v4, v0
	v_addc_co_u32_e64 v1, s[0:1], v5, v1, s[0:1]
	flat_load_dwordx4 v[6:9], v[0:1]
	v_mul_f64 v[12:13], s[22:23], v[19:20]
	v_fma_f64 v[10:11], s[22:23], v[17:18], -v[10:11]
	v_fma_f64 v[12:13], s[24:25], v[17:18], v[12:13]
	s_waitcnt vmcnt(0) lgkmcnt(0)
	v_mul_f64 v[14:15], s[14:15], v[8:9]
	v_mul_f64 v[8:9], s[12:13], v[8:9]
	v_fma_f64 v[14:15], s[12:13], v[6:7], -v[14:15]
	v_fma_f64 v[8:9], s[14:15], v[6:7], v[8:9]
	v_add_f64 v[6:7], v[10:11], v[14:15]
	v_add_f64 v[8:9], v[12:13], v[8:9]
	flat_store_dwordx4 v[0:1], v[6:9]
.LBB1690_16:
	s_or_b64 exec, exec, s[2:3]
	v_cmp_le_i32_e64 s[0:1], v2, v3
	s_and_b64 s[0:1], vcc, s[0:1]
	s_and_saveexec_b64 s[2:3], s[0:1]
	s_cbranch_execz .LBB1690_18
; %bb.17:
	v_ashrrev_i32_e32 v3, 31, v2
	v_lshlrev_b64 v[0:1], 4, v[2:3]
	v_mul_f64 v[6:7], s[24:25], v[27:28]
	v_add_co_u32_e32 v4, vcc, v4, v0
	v_addc_co_u32_e32 v5, vcc, v5, v1, vcc
	flat_load_dwordx4 v[0:3], v[4:5]
	v_mul_f64 v[8:9], s[22:23], v[27:28]
	v_fma_f64 v[6:7], s[22:23], v[25:26], -v[6:7]
	v_fma_f64 v[8:9], s[24:25], v[25:26], v[8:9]
	s_waitcnt vmcnt(0) lgkmcnt(0)
	v_mul_f64 v[10:11], s[14:15], v[2:3]
	v_mul_f64 v[2:3], s[12:13], v[2:3]
	v_fma_f64 v[10:11], s[12:13], v[0:1], -v[10:11]
	v_fma_f64 v[2:3], s[14:15], v[0:1], v[2:3]
	v_add_f64 v[0:1], v[6:7], v[10:11]
	v_add_f64 v[2:3], v[8:9], v[2:3]
	flat_store_dwordx4 v[4:5], v[0:3]
.LBB1690_18:
	s_endpgm
	.section	.rodata,"a",@progbits
	.p2align	6, 0x0
	.amdhsa_kernel _ZL34rocblas_syrkx_herkx_general_kernelIl19rocblas_complex_numIdELi16ELi32ELi8ELb0ELb0ELc78ELc85EKPKS1_KPS1_EviT_T0_PT8_S7_lSA_S7_lS8_PT9_S7_li
		.amdhsa_group_segment_fixed_size 8192
		.amdhsa_private_segment_fixed_size 0
		.amdhsa_kernarg_size 124
		.amdhsa_user_sgpr_count 6
		.amdhsa_user_sgpr_private_segment_buffer 1
		.amdhsa_user_sgpr_dispatch_ptr 0
		.amdhsa_user_sgpr_queue_ptr 0
		.amdhsa_user_sgpr_kernarg_segment_ptr 1
		.amdhsa_user_sgpr_dispatch_id 0
		.amdhsa_user_sgpr_flat_scratch_init 0
		.amdhsa_user_sgpr_private_segment_size 0
		.amdhsa_uses_dynamic_stack 0
		.amdhsa_system_sgpr_private_segment_wavefront_offset 0
		.amdhsa_system_sgpr_workgroup_id_x 1
		.amdhsa_system_sgpr_workgroup_id_y 1
		.amdhsa_system_sgpr_workgroup_id_z 1
		.amdhsa_system_sgpr_workgroup_info 0
		.amdhsa_system_vgpr_workitem_id 1
		.amdhsa_next_free_vgpr 61
		.amdhsa_next_free_sgpr 61
		.amdhsa_reserve_vcc 1
		.amdhsa_reserve_flat_scratch 0
		.amdhsa_float_round_mode_32 0
		.amdhsa_float_round_mode_16_64 0
		.amdhsa_float_denorm_mode_32 3
		.amdhsa_float_denorm_mode_16_64 3
		.amdhsa_dx10_clamp 1
		.amdhsa_ieee_mode 1
		.amdhsa_fp16_overflow 0
		.amdhsa_exception_fp_ieee_invalid_op 0
		.amdhsa_exception_fp_denorm_src 0
		.amdhsa_exception_fp_ieee_div_zero 0
		.amdhsa_exception_fp_ieee_overflow 0
		.amdhsa_exception_fp_ieee_underflow 0
		.amdhsa_exception_fp_ieee_inexact 0
		.amdhsa_exception_int_div_zero 0
	.end_amdhsa_kernel
	.section	.text._ZL34rocblas_syrkx_herkx_general_kernelIl19rocblas_complex_numIdELi16ELi32ELi8ELb0ELb0ELc78ELc85EKPKS1_KPS1_EviT_T0_PT8_S7_lSA_S7_lS8_PT9_S7_li,"axG",@progbits,_ZL34rocblas_syrkx_herkx_general_kernelIl19rocblas_complex_numIdELi16ELi32ELi8ELb0ELb0ELc78ELc85EKPKS1_KPS1_EviT_T0_PT8_S7_lSA_S7_lS8_PT9_S7_li,comdat
.Lfunc_end1690:
	.size	_ZL34rocblas_syrkx_herkx_general_kernelIl19rocblas_complex_numIdELi16ELi32ELi8ELb0ELb0ELc78ELc85EKPKS1_KPS1_EviT_T0_PT8_S7_lSA_S7_lS8_PT9_S7_li, .Lfunc_end1690-_ZL34rocblas_syrkx_herkx_general_kernelIl19rocblas_complex_numIdELi16ELi32ELi8ELb0ELb0ELc78ELc85EKPKS1_KPS1_EviT_T0_PT8_S7_lSA_S7_lS8_PT9_S7_li
                                        ; -- End function
	.set _ZL34rocblas_syrkx_herkx_general_kernelIl19rocblas_complex_numIdELi16ELi32ELi8ELb0ELb0ELc78ELc85EKPKS1_KPS1_EviT_T0_PT8_S7_lSA_S7_lS8_PT9_S7_li.num_vgpr, 61
	.set _ZL34rocblas_syrkx_herkx_general_kernelIl19rocblas_complex_numIdELi16ELi32ELi8ELb0ELb0ELc78ELc85EKPKS1_KPS1_EviT_T0_PT8_S7_lSA_S7_lS8_PT9_S7_li.num_agpr, 0
	.set _ZL34rocblas_syrkx_herkx_general_kernelIl19rocblas_complex_numIdELi16ELi32ELi8ELb0ELb0ELc78ELc85EKPKS1_KPS1_EviT_T0_PT8_S7_lSA_S7_lS8_PT9_S7_li.numbered_sgpr, 34
	.set _ZL34rocblas_syrkx_herkx_general_kernelIl19rocblas_complex_numIdELi16ELi32ELi8ELb0ELb0ELc78ELc85EKPKS1_KPS1_EviT_T0_PT8_S7_lSA_S7_lS8_PT9_S7_li.num_named_barrier, 0
	.set _ZL34rocblas_syrkx_herkx_general_kernelIl19rocblas_complex_numIdELi16ELi32ELi8ELb0ELb0ELc78ELc85EKPKS1_KPS1_EviT_T0_PT8_S7_lSA_S7_lS8_PT9_S7_li.private_seg_size, 0
	.set _ZL34rocblas_syrkx_herkx_general_kernelIl19rocblas_complex_numIdELi16ELi32ELi8ELb0ELb0ELc78ELc85EKPKS1_KPS1_EviT_T0_PT8_S7_lSA_S7_lS8_PT9_S7_li.uses_vcc, 1
	.set _ZL34rocblas_syrkx_herkx_general_kernelIl19rocblas_complex_numIdELi16ELi32ELi8ELb0ELb0ELc78ELc85EKPKS1_KPS1_EviT_T0_PT8_S7_lSA_S7_lS8_PT9_S7_li.uses_flat_scratch, 0
	.set _ZL34rocblas_syrkx_herkx_general_kernelIl19rocblas_complex_numIdELi16ELi32ELi8ELb0ELb0ELc78ELc85EKPKS1_KPS1_EviT_T0_PT8_S7_lSA_S7_lS8_PT9_S7_li.has_dyn_sized_stack, 0
	.set _ZL34rocblas_syrkx_herkx_general_kernelIl19rocblas_complex_numIdELi16ELi32ELi8ELb0ELb0ELc78ELc85EKPKS1_KPS1_EviT_T0_PT8_S7_lSA_S7_lS8_PT9_S7_li.has_recursion, 0
	.set _ZL34rocblas_syrkx_herkx_general_kernelIl19rocblas_complex_numIdELi16ELi32ELi8ELb0ELb0ELc78ELc85EKPKS1_KPS1_EviT_T0_PT8_S7_lSA_S7_lS8_PT9_S7_li.has_indirect_call, 0
	.section	.AMDGPU.csdata,"",@progbits
; Kernel info:
; codeLenInByte = 3388
; TotalNumSgprs: 38
; NumVgprs: 61
; ScratchSize: 0
; MemoryBound: 1
; FloatMode: 240
; IeeeMode: 1
; LDSByteSize: 8192 bytes/workgroup (compile time only)
; SGPRBlocks: 8
; VGPRBlocks: 15
; NumSGPRsForWavesPerEU: 65
; NumVGPRsForWavesPerEU: 61
; Occupancy: 4
; WaveLimiterHint : 1
; COMPUTE_PGM_RSRC2:SCRATCH_EN: 0
; COMPUTE_PGM_RSRC2:USER_SGPR: 6
; COMPUTE_PGM_RSRC2:TRAP_HANDLER: 0
; COMPUTE_PGM_RSRC2:TGID_X_EN: 1
; COMPUTE_PGM_RSRC2:TGID_Y_EN: 1
; COMPUTE_PGM_RSRC2:TGID_Z_EN: 1
; COMPUTE_PGM_RSRC2:TIDIG_COMP_CNT: 1
	.section	.text._ZL26rocblas_syr2k_scale_kernelIlLi128ELi8ELb0E19rocblas_complex_numIdES1_PKPS1_EvbiT_T3_T4_T5_S5_li,"axG",@progbits,_ZL26rocblas_syr2k_scale_kernelIlLi128ELi8ELb0E19rocblas_complex_numIdES1_PKPS1_EvbiT_T3_T4_T5_S5_li,comdat
	.globl	_ZL26rocblas_syr2k_scale_kernelIlLi128ELi8ELb0E19rocblas_complex_numIdES1_PKPS1_EvbiT_T3_T4_T5_S5_li ; -- Begin function _ZL26rocblas_syr2k_scale_kernelIlLi128ELi8ELb0E19rocblas_complex_numIdES1_PKPS1_EvbiT_T3_T4_T5_S5_li
	.p2align	8
	.type	_ZL26rocblas_syr2k_scale_kernelIlLi128ELi8ELb0E19rocblas_complex_numIdES1_PKPS1_EvbiT_T3_T4_T5_S5_li,@function
_ZL26rocblas_syr2k_scale_kernelIlLi128ELi8ELb0E19rocblas_complex_numIdES1_PKPS1_EvbiT_T3_T4_T5_S5_li: ; @_ZL26rocblas_syr2k_scale_kernelIlLi128ELi8ELb0E19rocblas_complex_numIdES1_PKPS1_EvbiT_T3_T4_T5_S5_li
; %bb.0:
	s_load_dwordx8 s[12:19], s[4:5], 0x20
	s_waitcnt lgkmcnt(0)
	v_cmp_eq_f64_e64 s[0:1], s[12:13], 1.0
	v_cmp_eq_f64_e64 s[2:3], s[14:15], 0
	s_and_b64 s[0:1], s[0:1], s[2:3]
	s_and_b64 vcc, exec, s[0:1]
	s_cbranch_vccnz .LBB1691_5
; %bb.1:
	s_load_dwordx2 s[0:1], s[4:5], 0x0
	s_load_dword s2, s[4:5], 0x5c
	s_waitcnt lgkmcnt(0)
	s_bitcmp1_b32 s0, 0
	s_cselect_b64 vcc, -1, 0
	s_lshr_b32 s0, s2, 16
	s_and_b32 s2, s2, 0xffff
	s_mul_i32 s6, s6, s2
	s_mul_i32 s7, s7, s0
	v_add_u32_e32 v0, s6, v0
	v_add_u32_e32 v1, s7, v1
	v_cndmask_b32_e32 v2, v1, v0, vcc
	v_cndmask_b32_e32 v3, v0, v1, vcc
	v_max_u32_e32 v4, v0, v1
	v_cmp_gt_u32_e32 vcc, s1, v4
	v_cmp_le_i32_e64 s[0:1], v2, v3
	s_and_b64 s[0:1], vcc, s[0:1]
	s_and_saveexec_b64 s[2:3], s[0:1]
	s_cbranch_execz .LBB1691_5
; %bb.2:
	s_mov_b32 s9, 0
	s_lshl_b64 s[2:3], s[8:9], 3
	s_add_u32 s2, s16, s2
	s_load_dwordx2 s[0:1], s[4:5], 0x40
	s_addc_u32 s3, s17, s3
	v_mad_u64_u32 v[2:3], s[4:5], s18, v1, 0
	s_load_dwordx2 s[2:3], s[2:3], 0x0
	s_waitcnt lgkmcnt(0)
	s_lshl_b64 s[0:1], s[0:1], 4
	v_mad_u64_u32 v[3:4], s[4:5], s19, v1, v[3:4]
	v_mov_b32_e32 v1, 0
	s_add_u32 s4, s2, s0
	s_addc_u32 s5, s3, s1
	v_cmp_neq_f64_e64 s[0:1], s[12:13], 0
	v_cmp_neq_f64_e64 s[2:3], s[14:15], 0
	v_lshlrev_b64 v[2:3], 4, v[2:3]
	v_mov_b32_e32 v4, s5
	v_add_co_u32_e32 v6, vcc, s4, v2
	v_addc_co_u32_e32 v7, vcc, v4, v3, vcc
	v_lshlrev_b64 v[4:5], 4, v[0:1]
	s_or_b64 s[0:1], s[0:1], s[2:3]
	v_mov_b32_e32 v2, 0
	s_andn2_b64 vcc, exec, s[0:1]
	v_mov_b32_e32 v0, 0
	v_add_co_u32_e64 v4, s[0:1], v6, v4
	v_mov_b32_e32 v3, 0
	v_mov_b32_e32 v1, 0
	v_addc_co_u32_e64 v5, s[0:1], v7, v5, s[0:1]
	s_cbranch_vccnz .LBB1691_4
; %bb.3:
	flat_load_dwordx4 v[6:9], v[4:5]
	s_waitcnt vmcnt(0) lgkmcnt(0)
	v_mul_f64 v[0:1], s[14:15], v[8:9]
	v_mul_f64 v[2:3], s[12:13], v[8:9]
	v_fma_f64 v[0:1], s[12:13], v[6:7], -v[0:1]
	v_fma_f64 v[2:3], s[14:15], v[6:7], v[2:3]
.LBB1691_4:
	flat_store_dwordx4 v[4:5], v[0:3]
.LBB1691_5:
	s_endpgm
	.section	.rodata,"a",@progbits
	.p2align	6, 0x0
	.amdhsa_kernel _ZL26rocblas_syr2k_scale_kernelIlLi128ELi8ELb0E19rocblas_complex_numIdES1_PKPS1_EvbiT_T3_T4_T5_S5_li
		.amdhsa_group_segment_fixed_size 0
		.amdhsa_private_segment_fixed_size 0
		.amdhsa_kernarg_size 336
		.amdhsa_user_sgpr_count 6
		.amdhsa_user_sgpr_private_segment_buffer 1
		.amdhsa_user_sgpr_dispatch_ptr 0
		.amdhsa_user_sgpr_queue_ptr 0
		.amdhsa_user_sgpr_kernarg_segment_ptr 1
		.amdhsa_user_sgpr_dispatch_id 0
		.amdhsa_user_sgpr_flat_scratch_init 0
		.amdhsa_user_sgpr_private_segment_size 0
		.amdhsa_uses_dynamic_stack 0
		.amdhsa_system_sgpr_private_segment_wavefront_offset 0
		.amdhsa_system_sgpr_workgroup_id_x 1
		.amdhsa_system_sgpr_workgroup_id_y 1
		.amdhsa_system_sgpr_workgroup_id_z 1
		.amdhsa_system_sgpr_workgroup_info 0
		.amdhsa_system_vgpr_workitem_id 1
		.amdhsa_next_free_vgpr 10
		.amdhsa_next_free_sgpr 20
		.amdhsa_reserve_vcc 1
		.amdhsa_reserve_flat_scratch 0
		.amdhsa_float_round_mode_32 0
		.amdhsa_float_round_mode_16_64 0
		.amdhsa_float_denorm_mode_32 3
		.amdhsa_float_denorm_mode_16_64 3
		.amdhsa_dx10_clamp 1
		.amdhsa_ieee_mode 1
		.amdhsa_fp16_overflow 0
		.amdhsa_exception_fp_ieee_invalid_op 0
		.amdhsa_exception_fp_denorm_src 0
		.amdhsa_exception_fp_ieee_div_zero 0
		.amdhsa_exception_fp_ieee_overflow 0
		.amdhsa_exception_fp_ieee_underflow 0
		.amdhsa_exception_fp_ieee_inexact 0
		.amdhsa_exception_int_div_zero 0
	.end_amdhsa_kernel
	.section	.text._ZL26rocblas_syr2k_scale_kernelIlLi128ELi8ELb0E19rocblas_complex_numIdES1_PKPS1_EvbiT_T3_T4_T5_S5_li,"axG",@progbits,_ZL26rocblas_syr2k_scale_kernelIlLi128ELi8ELb0E19rocblas_complex_numIdES1_PKPS1_EvbiT_T3_T4_T5_S5_li,comdat
.Lfunc_end1691:
	.size	_ZL26rocblas_syr2k_scale_kernelIlLi128ELi8ELb0E19rocblas_complex_numIdES1_PKPS1_EvbiT_T3_T4_T5_S5_li, .Lfunc_end1691-_ZL26rocblas_syr2k_scale_kernelIlLi128ELi8ELb0E19rocblas_complex_numIdES1_PKPS1_EvbiT_T3_T4_T5_S5_li
                                        ; -- End function
	.set _ZL26rocblas_syr2k_scale_kernelIlLi128ELi8ELb0E19rocblas_complex_numIdES1_PKPS1_EvbiT_T3_T4_T5_S5_li.num_vgpr, 10
	.set _ZL26rocblas_syr2k_scale_kernelIlLi128ELi8ELb0E19rocblas_complex_numIdES1_PKPS1_EvbiT_T3_T4_T5_S5_li.num_agpr, 0
	.set _ZL26rocblas_syr2k_scale_kernelIlLi128ELi8ELb0E19rocblas_complex_numIdES1_PKPS1_EvbiT_T3_T4_T5_S5_li.numbered_sgpr, 20
	.set _ZL26rocblas_syr2k_scale_kernelIlLi128ELi8ELb0E19rocblas_complex_numIdES1_PKPS1_EvbiT_T3_T4_T5_S5_li.num_named_barrier, 0
	.set _ZL26rocblas_syr2k_scale_kernelIlLi128ELi8ELb0E19rocblas_complex_numIdES1_PKPS1_EvbiT_T3_T4_T5_S5_li.private_seg_size, 0
	.set _ZL26rocblas_syr2k_scale_kernelIlLi128ELi8ELb0E19rocblas_complex_numIdES1_PKPS1_EvbiT_T3_T4_T5_S5_li.uses_vcc, 1
	.set _ZL26rocblas_syr2k_scale_kernelIlLi128ELi8ELb0E19rocblas_complex_numIdES1_PKPS1_EvbiT_T3_T4_T5_S5_li.uses_flat_scratch, 0
	.set _ZL26rocblas_syr2k_scale_kernelIlLi128ELi8ELb0E19rocblas_complex_numIdES1_PKPS1_EvbiT_T3_T4_T5_S5_li.has_dyn_sized_stack, 0
	.set _ZL26rocblas_syr2k_scale_kernelIlLi128ELi8ELb0E19rocblas_complex_numIdES1_PKPS1_EvbiT_T3_T4_T5_S5_li.has_recursion, 0
	.set _ZL26rocblas_syr2k_scale_kernelIlLi128ELi8ELb0E19rocblas_complex_numIdES1_PKPS1_EvbiT_T3_T4_T5_S5_li.has_indirect_call, 0
	.section	.AMDGPU.csdata,"",@progbits
; Kernel info:
; codeLenInByte = 344
; TotalNumSgprs: 24
; NumVgprs: 10
; ScratchSize: 0
; MemoryBound: 0
; FloatMode: 240
; IeeeMode: 1
; LDSByteSize: 0 bytes/workgroup (compile time only)
; SGPRBlocks: 2
; VGPRBlocks: 2
; NumSGPRsForWavesPerEU: 24
; NumVGPRsForWavesPerEU: 10
; Occupancy: 10
; WaveLimiterHint : 1
; COMPUTE_PGM_RSRC2:SCRATCH_EN: 0
; COMPUTE_PGM_RSRC2:USER_SGPR: 6
; COMPUTE_PGM_RSRC2:TRAP_HANDLER: 0
; COMPUTE_PGM_RSRC2:TGID_X_EN: 1
; COMPUTE_PGM_RSRC2:TGID_Y_EN: 1
; COMPUTE_PGM_RSRC2:TGID_Z_EN: 1
; COMPUTE_PGM_RSRC2:TIDIG_COMP_CNT: 1
	.section	.text._ZL26rocblas_syr2k_her2k_kernelIlLb0ELb0ELb0ELi32EPK19rocblas_complex_numIdEPKS3_PKPS1_EvbiT_T4_T5_S9_lSB_S9_lT6_S9_li,"axG",@progbits,_ZL26rocblas_syr2k_her2k_kernelIlLb0ELb0ELb0ELi32EPK19rocblas_complex_numIdEPKS3_PKPS1_EvbiT_T4_T5_S9_lSB_S9_lT6_S9_li,comdat
	.globl	_ZL26rocblas_syr2k_her2k_kernelIlLb0ELb0ELb0ELi32EPK19rocblas_complex_numIdEPKS3_PKPS1_EvbiT_T4_T5_S9_lSB_S9_lT6_S9_li ; -- Begin function _ZL26rocblas_syr2k_her2k_kernelIlLb0ELb0ELb0ELi32EPK19rocblas_complex_numIdEPKS3_PKPS1_EvbiT_T4_T5_S9_lSB_S9_lT6_S9_li
	.p2align	8
	.type	_ZL26rocblas_syr2k_her2k_kernelIlLb0ELb0ELb0ELi32EPK19rocblas_complex_numIdEPKS3_PKPS1_EvbiT_T4_T5_S9_lSB_S9_lT6_S9_li,@function
_ZL26rocblas_syr2k_her2k_kernelIlLb0ELb0ELb0ELi32EPK19rocblas_complex_numIdEPKS3_PKPS1_EvbiT_T4_T5_S9_lSB_S9_lT6_S9_li: ; @_ZL26rocblas_syr2k_her2k_kernelIlLb0ELb0ELb0ELi32EPK19rocblas_complex_numIdEPKS3_PKPS1_EvbiT_T4_T5_S9_lSB_S9_lT6_S9_li
; %bb.0:
	s_load_dwordx16 s[12:27], s[4:5], 0x8
	s_waitcnt lgkmcnt(0)
	s_load_dwordx4 s[28:31], s[14:15], 0x0
	s_waitcnt lgkmcnt(0)
	v_cmp_eq_f64_e64 s[0:1], s[28:29], 0
	v_cmp_eq_f64_e64 s[2:3], s[30:31], 0
	s_and_b64 s[0:1], s[0:1], s[2:3]
	s_and_b64 vcc, exec, s[0:1]
	s_cbranch_vccnz .LBB1692_10
; %bb.1:
	s_load_dwordx2 s[14:15], s[4:5], 0x0
	s_lshl_b32 s2, s7, 5
	s_lshl_b32 s3, s6, 5
	s_waitcnt lgkmcnt(0)
	s_and_b32 s0, 1, s14
	s_cmp_eq_u32 s0, 1
	s_cselect_b64 s[0:1], -1, 0
	s_and_b64 s[6:7], s[0:1], exec
	s_cselect_b32 s6, s3, s2
	s_cselect_b32 s7, s2, s3
	s_cmp_gt_i32 s6, s7
	v_cmp_lt_i64_e64 s[6:7], s[12:13], 1
	s_cselect_b64 s[10:11], -1, 0
	s_or_b64 s[6:7], s[10:11], s[6:7]
	s_and_b64 vcc, exec, s[6:7]
	s_cbranch_vccnz .LBB1692_10
; %bb.2:
	s_mov_b32 s9, 0
	s_load_dwordx4 s[36:39], s[4:5], 0x48
	s_load_dwordx2 s[6:7], s[4:5], 0x58
	s_lshl_b64 s[4:5], s[8:9], 3
	s_add_u32 s8, s16, s4
	s_addc_u32 s9, s17, s5
	s_add_u32 s16, s22, s4
	s_addc_u32 s17, s23, s5
	s_waitcnt lgkmcnt(0)
	s_add_u32 s4, s36, s4
	s_addc_u32 s5, s37, s5
	s_load_dwordx2 s[22:23], s[4:5], 0x0
	s_load_dwordx2 s[10:11], s[8:9], 0x0
	;; [unrolled: 1-line block ×3, first 2 shown]
	s_lshl_b64 s[4:5], s[6:7], 4
	v_add_u32_e32 v2, s2, v1
	v_lshlrev_b32_e32 v14, 9, v0
	v_lshlrev_b32_e32 v6, 4, v1
	s_waitcnt lgkmcnt(0)
	s_add_u32 s8, s22, s4
	v_add_u32_e32 v15, v14, v6
	v_or_b32_e32 v16, 0x4000, v6
	v_ashrrev_i32_e32 v6, 31, v2
	s_addc_u32 s9, s23, s5
	v_mul_lo_u32 v11, s38, v6
	v_mul_lo_u32 v12, s39, v2
	v_mad_u64_u32 v[6:7], s[4:5], s38, v2, 0
	v_add_u32_e32 v4, s3, v0
	v_cndmask_b32_e64 v8, v4, v2, s[0:1]
	v_cndmask_b32_e64 v9, v2, v4, s[0:1]
	v_max_i32_e32 v10, v4, v2
	v_cmp_gt_i32_e32 vcc, s15, v10
	v_cmp_le_i32_e64 s[4:5], v9, v8
	s_and_b64 s[6:7], s[4:5], vcc
	v_add3_u32 v7, v7, v11, v12
	v_mad_u64_u32 v[10:11], s[4:5], s24, v0, 0
	v_lshlrev_b64 v[6:7], 4, v[6:7]
	v_ashrrev_i32_e32 v9, 31, v4
	v_mov_b32_e32 v8, v4
	v_mov_b32_e32 v12, s9
	v_add_co_u32_e32 v13, vcc, s8, v6
	v_addc_co_u32_e32 v18, vcc, v12, v7, vcc
	v_lshlrev_b64 v[6:7], 4, v[8:9]
	v_mov_b32_e32 v8, v11
	v_mad_u64_u32 v[11:12], s[4:5], s25, v0, v[8:9]
	v_add_co_u32_e32 v8, vcc, v13, v6
	v_addc_co_u32_e32 v9, vcc, v18, v7, vcc
	v_lshlrev_b64 v[6:7], 4, v[10:11]
	s_lshl_b64 s[4:5], s[26:27], 4
	v_mov_b32_e32 v10, s5
	v_add_co_u32_e32 v11, vcc, s4, v6
	v_mov_b32_e32 v5, 0
	v_addc_co_u32_e32 v10, vcc, v7, v10, vcc
	v_mad_u64_u32 v[6:7], s[4:5], s18, v1, 0
	s_ashr_i32 s3, s15, 31
	s_mov_b32 s2, s15
	v_mov_b32_e32 v3, v5
	v_cmp_gt_i64_e64 s[0:1], s[2:3], v[4:5]
	v_cmp_gt_i64_e64 s[2:3], s[2:3], v[2:3]
	v_lshlrev_b64 v[2:3], 4, v[2:3]
	v_mov_b32_e32 v13, s35
	v_add_co_u32_e32 v11, vcc, v11, v2
	v_mov_b32_e32 v2, v7
	v_addc_co_u32_e32 v12, vcc, v10, v3, vcc
	v_mad_u64_u32 v[2:3], s[4:5], s19, v1, v[2:3]
	v_add_co_u32_e32 v10, vcc, s34, v11
	v_mov_b32_e32 v7, v2
	v_lshlrev_b64 v[2:3], 4, v[6:7]
	v_addc_co_u32_e32 v11, vcc, v13, v12, vcc
	s_lshl_b64 s[4:5], s[20:21], 4
	v_mov_b32_e32 v6, s5
	v_add_co_u32_e32 v7, vcc, s4, v2
	v_addc_co_u32_e32 v6, vcc, v3, v6, vcc
	v_lshlrev_b64 v[2:3], 4, v[4:5]
	v_mov_b32_e32 v4, s11
	v_add_co_u32_e32 v2, vcc, v7, v2
	v_addc_co_u32_e32 v3, vcc, v6, v3, vcc
	v_add_co_u32_e32 v12, vcc, s10, v2
	v_add_u32_e32 v17, v16, v14
	s_lshl_b64 s[8:9], s[24:25], 9
	v_addc_co_u32_e32 v13, vcc, v4, v3, vcc
	s_lshl_b64 s[10:11], s[18:19], 9
	s_mov_b64 s[14:15], 0
	s_branch .LBB1692_4
.LBB1692_3:                             ;   in Loop: Header=BB1692_4 Depth=1
	s_or_b64 exec, exec, s[4:5]
	v_mov_b32_e32 v2, s9
	v_add_co_u32_e32 v10, vcc, s8, v10
	s_add_u32 s14, s14, 32
	v_addc_co_u32_e32 v11, vcc, v11, v2, vcc
	v_mov_b32_e32 v2, s12
	s_addc_u32 s15, s15, 0
	v_mov_b32_e32 v3, s13
	v_cmp_lt_i64_e32 vcc, s[14:15], v[2:3]
	v_mov_b32_e32 v4, s11
	v_add_co_u32_e64 v12, s[4:5], s10, v12
	v_addc_co_u32_e64 v13, s[4:5], v13, v4, s[4:5]
	s_waitcnt vmcnt(0) lgkmcnt(0)
	s_barrier
	s_cbranch_vccz .LBB1692_10
.LBB1692_4:                             ; =>This Inner Loop Header: Depth=1
	v_mov_b32_e32 v3, s15
	v_add_co_u32_e32 v2, vcc, s14, v1
	v_addc_co_u32_e32 v3, vcc, 0, v3, vcc
	v_cmp_gt_i64_e32 vcc, s[12:13], v[2:3]
	v_mov_b32_e32 v2, 0
	v_mov_b32_e32 v4, 0
	;; [unrolled: 1-line block ×6, first 2 shown]
	s_and_b64 s[16:17], s[0:1], vcc
	s_and_saveexec_b64 s[4:5], s[16:17]
	s_cbranch_execz .LBB1692_6
; %bb.5:                                ;   in Loop: Header=BB1692_4 Depth=1
	flat_load_dwordx4 v[4:7], v[12:13]
.LBB1692_6:                             ;   in Loop: Header=BB1692_4 Depth=1
	s_or_b64 exec, exec, s[4:5]
	s_waitcnt vmcnt(0) lgkmcnt(0)
	ds_write_b128 v15, v[4:7]
	v_mov_b32_e32 v5, s15
	v_add_co_u32_e32 v4, vcc, s14, v0
	v_addc_co_u32_e32 v5, vcc, 0, v5, vcc
	v_cmp_gt_i64_e32 vcc, s[12:13], v[4:5]
	v_mov_b32_e32 v4, 0
	v_mov_b32_e32 v5, 0
	s_and_b64 s[16:17], s[2:3], vcc
	s_and_saveexec_b64 s[4:5], s[16:17]
	s_cbranch_execz .LBB1692_8
; %bb.7:                                ;   in Loop: Header=BB1692_4 Depth=1
	flat_load_dwordx4 v[2:5], v[10:11]
.LBB1692_8:                             ;   in Loop: Header=BB1692_4 Depth=1
	s_or_b64 exec, exec, s[4:5]
	s_waitcnt vmcnt(0) lgkmcnt(0)
	ds_write_b128 v17, v[2:5]
	s_waitcnt lgkmcnt(0)
	s_barrier
	s_and_saveexec_b64 s[4:5], s[6:7]
	s_cbranch_execz .LBB1692_3
; %bb.9:                                ;   in Loop: Header=BB1692_4 Depth=1
	ds_read_b128 v[18:21], v16
	ds_read_b128 v[22:25], v14
	ds_read_b128 v[26:29], v14 offset:16
	ds_read_b128 v[30:33], v14 offset:32
	ds_read_b128 v[2:5], v14 offset:48
	s_waitcnt lgkmcnt(3)
	v_mul_f64 v[6:7], v[20:21], v[24:25]
	v_fma_f64 v[6:7], v[18:19], v[22:23], -v[6:7]
	v_mul_f64 v[18:19], v[18:19], v[24:25]
	v_add_f64 v[6:7], v[6:7], 0
	v_fma_f64 v[18:19], v[20:21], v[22:23], v[18:19]
	v_add_f64 v[22:23], v[18:19], 0
	ds_read_b128 v[18:21], v16 offset:512
	s_waitcnt lgkmcnt(0)
	v_mul_f64 v[24:25], v[20:21], v[28:29]
	v_fma_f64 v[24:25], v[18:19], v[26:27], -v[24:25]
	v_mul_f64 v[18:19], v[18:19], v[28:29]
	v_add_f64 v[6:7], v[6:7], v[24:25]
	v_fma_f64 v[18:19], v[20:21], v[26:27], v[18:19]
	v_add_f64 v[22:23], v[22:23], v[18:19]
	ds_read_b128 v[18:21], v16 offset:1024
	;; [unrolled: 8-line block ×3, first 2 shown]
	s_waitcnt lgkmcnt(0)
	v_mul_f64 v[24:25], v[20:21], v[4:5]
	v_mul_f64 v[4:5], v[18:19], v[4:5]
	v_fma_f64 v[24:25], v[18:19], v[2:3], -v[24:25]
	v_fma_f64 v[2:3], v[20:21], v[2:3], v[4:5]
	v_add_f64 v[6:7], v[6:7], v[24:25]
	v_add_f64 v[22:23], v[22:23], v[2:3]
	ds_read_b128 v[2:5], v16 offset:2048
	ds_read_b128 v[18:21], v14 offset:64
	s_waitcnt lgkmcnt(0)
	v_mul_f64 v[24:25], v[4:5], v[20:21]
	v_fma_f64 v[24:25], v[2:3], v[18:19], -v[24:25]
	v_mul_f64 v[2:3], v[2:3], v[20:21]
	v_add_f64 v[6:7], v[6:7], v[24:25]
	v_fma_f64 v[2:3], v[4:5], v[18:19], v[2:3]
	v_add_f64 v[22:23], v[22:23], v[2:3]
	ds_read_b128 v[2:5], v16 offset:2560
	ds_read_b128 v[18:21], v14 offset:80
	s_waitcnt lgkmcnt(0)
	v_mul_f64 v[24:25], v[4:5], v[20:21]
	v_fma_f64 v[24:25], v[2:3], v[18:19], -v[24:25]
	v_mul_f64 v[2:3], v[2:3], v[20:21]
	v_add_f64 v[6:7], v[6:7], v[24:25]
	v_fma_f64 v[2:3], v[4:5], v[18:19], v[2:3]
	;; [unrolled: 9-line block ×27, first 2 shown]
	v_add_f64 v[22:23], v[22:23], v[2:3]
	ds_read_b128 v[2:5], v16 offset:15872
	ds_read_b128 v[18:21], v14 offset:496
	s_waitcnt lgkmcnt(0)
	v_mul_f64 v[24:25], v[4:5], v[20:21]
	v_fma_f64 v[24:25], v[2:3], v[18:19], -v[24:25]
	v_mul_f64 v[2:3], v[2:3], v[20:21]
	v_fma_f64 v[2:3], v[4:5], v[18:19], v[2:3]
	flat_load_dwordx4 v[18:21], v[8:9]
	v_add_f64 v[4:5], v[6:7], v[24:25]
	v_add_f64 v[6:7], v[22:23], v[2:3]
	v_mul_f64 v[2:3], s[30:31], v[6:7]
	v_fma_f64 v[2:3], s[28:29], v[4:5], -v[2:3]
	v_mul_f64 v[4:5], s[30:31], v[4:5]
	v_fma_f64 v[4:5], s[28:29], v[6:7], v[4:5]
	s_waitcnt vmcnt(0) lgkmcnt(0)
	v_add_f64 v[2:3], v[18:19], v[2:3]
	v_add_f64 v[4:5], v[20:21], v[4:5]
	flat_store_dwordx4 v[8:9], v[2:5]
	s_branch .LBB1692_3
.LBB1692_10:
	s_endpgm
	.section	.rodata,"a",@progbits
	.p2align	6, 0x0
	.amdhsa_kernel _ZL26rocblas_syr2k_her2k_kernelIlLb0ELb0ELb0ELi32EPK19rocblas_complex_numIdEPKS3_PKPS1_EvbiT_T4_T5_S9_lSB_S9_lT6_S9_li
		.amdhsa_group_segment_fixed_size 32768
		.amdhsa_private_segment_fixed_size 0
		.amdhsa_kernarg_size 100
		.amdhsa_user_sgpr_count 6
		.amdhsa_user_sgpr_private_segment_buffer 1
		.amdhsa_user_sgpr_dispatch_ptr 0
		.amdhsa_user_sgpr_queue_ptr 0
		.amdhsa_user_sgpr_kernarg_segment_ptr 1
		.amdhsa_user_sgpr_dispatch_id 0
		.amdhsa_user_sgpr_flat_scratch_init 0
		.amdhsa_user_sgpr_private_segment_size 0
		.amdhsa_uses_dynamic_stack 0
		.amdhsa_system_sgpr_private_segment_wavefront_offset 0
		.amdhsa_system_sgpr_workgroup_id_x 1
		.amdhsa_system_sgpr_workgroup_id_y 1
		.amdhsa_system_sgpr_workgroup_id_z 1
		.amdhsa_system_sgpr_workgroup_info 0
		.amdhsa_system_vgpr_workitem_id 1
		.amdhsa_next_free_vgpr 34
		.amdhsa_next_free_sgpr 61
		.amdhsa_reserve_vcc 1
		.amdhsa_reserve_flat_scratch 0
		.amdhsa_float_round_mode_32 0
		.amdhsa_float_round_mode_16_64 0
		.amdhsa_float_denorm_mode_32 3
		.amdhsa_float_denorm_mode_16_64 3
		.amdhsa_dx10_clamp 1
		.amdhsa_ieee_mode 1
		.amdhsa_fp16_overflow 0
		.amdhsa_exception_fp_ieee_invalid_op 0
		.amdhsa_exception_fp_denorm_src 0
		.amdhsa_exception_fp_ieee_div_zero 0
		.amdhsa_exception_fp_ieee_overflow 0
		.amdhsa_exception_fp_ieee_underflow 0
		.amdhsa_exception_fp_ieee_inexact 0
		.amdhsa_exception_int_div_zero 0
	.end_amdhsa_kernel
	.section	.text._ZL26rocblas_syr2k_her2k_kernelIlLb0ELb0ELb0ELi32EPK19rocblas_complex_numIdEPKS3_PKPS1_EvbiT_T4_T5_S9_lSB_S9_lT6_S9_li,"axG",@progbits,_ZL26rocblas_syr2k_her2k_kernelIlLb0ELb0ELb0ELi32EPK19rocblas_complex_numIdEPKS3_PKPS1_EvbiT_T4_T5_S9_lSB_S9_lT6_S9_li,comdat
.Lfunc_end1692:
	.size	_ZL26rocblas_syr2k_her2k_kernelIlLb0ELb0ELb0ELi32EPK19rocblas_complex_numIdEPKS3_PKPS1_EvbiT_T4_T5_S9_lSB_S9_lT6_S9_li, .Lfunc_end1692-_ZL26rocblas_syr2k_her2k_kernelIlLb0ELb0ELb0ELi32EPK19rocblas_complex_numIdEPKS3_PKPS1_EvbiT_T4_T5_S9_lSB_S9_lT6_S9_li
                                        ; -- End function
	.set _ZL26rocblas_syr2k_her2k_kernelIlLb0ELb0ELb0ELi32EPK19rocblas_complex_numIdEPKS3_PKPS1_EvbiT_T4_T5_S9_lSB_S9_lT6_S9_li.num_vgpr, 34
	.set _ZL26rocblas_syr2k_her2k_kernelIlLb0ELb0ELb0ELi32EPK19rocblas_complex_numIdEPKS3_PKPS1_EvbiT_T4_T5_S9_lSB_S9_lT6_S9_li.num_agpr, 0
	.set _ZL26rocblas_syr2k_her2k_kernelIlLb0ELb0ELb0ELi32EPK19rocblas_complex_numIdEPKS3_PKPS1_EvbiT_T4_T5_S9_lSB_S9_lT6_S9_li.numbered_sgpr, 40
	.set _ZL26rocblas_syr2k_her2k_kernelIlLb0ELb0ELb0ELi32EPK19rocblas_complex_numIdEPKS3_PKPS1_EvbiT_T4_T5_S9_lSB_S9_lT6_S9_li.num_named_barrier, 0
	.set _ZL26rocblas_syr2k_her2k_kernelIlLb0ELb0ELb0ELi32EPK19rocblas_complex_numIdEPKS3_PKPS1_EvbiT_T4_T5_S9_lSB_S9_lT6_S9_li.private_seg_size, 0
	.set _ZL26rocblas_syr2k_her2k_kernelIlLb0ELb0ELb0ELi32EPK19rocblas_complex_numIdEPKS3_PKPS1_EvbiT_T4_T5_S9_lSB_S9_lT6_S9_li.uses_vcc, 1
	.set _ZL26rocblas_syr2k_her2k_kernelIlLb0ELb0ELb0ELi32EPK19rocblas_complex_numIdEPKS3_PKPS1_EvbiT_T4_T5_S9_lSB_S9_lT6_S9_li.uses_flat_scratch, 0
	.set _ZL26rocblas_syr2k_her2k_kernelIlLb0ELb0ELb0ELi32EPK19rocblas_complex_numIdEPKS3_PKPS1_EvbiT_T4_T5_S9_lSB_S9_lT6_S9_li.has_dyn_sized_stack, 0
	.set _ZL26rocblas_syr2k_her2k_kernelIlLb0ELb0ELb0ELi32EPK19rocblas_complex_numIdEPKS3_PKPS1_EvbiT_T4_T5_S9_lSB_S9_lT6_S9_li.has_recursion, 0
	.set _ZL26rocblas_syr2k_her2k_kernelIlLb0ELb0ELb0ELi32EPK19rocblas_complex_numIdEPKS3_PKPS1_EvbiT_T4_T5_S9_lSB_S9_lT6_S9_li.has_indirect_call, 0
	.section	.AMDGPU.csdata,"",@progbits
; Kernel info:
; codeLenInByte = 3032
; TotalNumSgprs: 44
; NumVgprs: 34
; ScratchSize: 0
; MemoryBound: 1
; FloatMode: 240
; IeeeMode: 1
; LDSByteSize: 32768 bytes/workgroup (compile time only)
; SGPRBlocks: 8
; VGPRBlocks: 8
; NumSGPRsForWavesPerEU: 65
; NumVGPRsForWavesPerEU: 34
; Occupancy: 7
; WaveLimiterHint : 1
; COMPUTE_PGM_RSRC2:SCRATCH_EN: 0
; COMPUTE_PGM_RSRC2:USER_SGPR: 6
; COMPUTE_PGM_RSRC2:TRAP_HANDLER: 0
; COMPUTE_PGM_RSRC2:TGID_X_EN: 1
; COMPUTE_PGM_RSRC2:TGID_Y_EN: 1
; COMPUTE_PGM_RSRC2:TGID_Z_EN: 1
; COMPUTE_PGM_RSRC2:TIDIG_COMP_CNT: 1
	.section	.text._ZL26rocblas_syr2k_her2k_kernelIlLb0ELb0ELb1ELi32EPK19rocblas_complex_numIdEPKS3_PKPS1_EvbiT_T4_T5_S9_lSB_S9_lT6_S9_li,"axG",@progbits,_ZL26rocblas_syr2k_her2k_kernelIlLb0ELb0ELb1ELi32EPK19rocblas_complex_numIdEPKS3_PKPS1_EvbiT_T4_T5_S9_lSB_S9_lT6_S9_li,comdat
	.globl	_ZL26rocblas_syr2k_her2k_kernelIlLb0ELb0ELb1ELi32EPK19rocblas_complex_numIdEPKS3_PKPS1_EvbiT_T4_T5_S9_lSB_S9_lT6_S9_li ; -- Begin function _ZL26rocblas_syr2k_her2k_kernelIlLb0ELb0ELb1ELi32EPK19rocblas_complex_numIdEPKS3_PKPS1_EvbiT_T4_T5_S9_lSB_S9_lT6_S9_li
	.p2align	8
	.type	_ZL26rocblas_syr2k_her2k_kernelIlLb0ELb0ELb1ELi32EPK19rocblas_complex_numIdEPKS3_PKPS1_EvbiT_T4_T5_S9_lSB_S9_lT6_S9_li,@function
_ZL26rocblas_syr2k_her2k_kernelIlLb0ELb0ELb1ELi32EPK19rocblas_complex_numIdEPKS3_PKPS1_EvbiT_T4_T5_S9_lSB_S9_lT6_S9_li: ; @_ZL26rocblas_syr2k_her2k_kernelIlLb0ELb0ELb1ELi32EPK19rocblas_complex_numIdEPKS3_PKPS1_EvbiT_T4_T5_S9_lSB_S9_lT6_S9_li
; %bb.0:
	s_load_dwordx16 s[12:27], s[4:5], 0x8
	s_waitcnt lgkmcnt(0)
	s_load_dwordx4 s[28:31], s[14:15], 0x0
	s_waitcnt lgkmcnt(0)
	v_cmp_eq_f64_e64 s[0:1], s[28:29], 0
	v_cmp_eq_f64_e64 s[2:3], s[30:31], 0
	s_and_b64 s[0:1], s[0:1], s[2:3]
	s_and_b64 vcc, exec, s[0:1]
	s_cbranch_vccnz .LBB1693_10
; %bb.1:
	s_load_dwordx2 s[10:11], s[4:5], 0x0
	s_lshl_b32 s2, s7, 5
	s_lshl_b32 s3, s6, 5
	s_waitcnt lgkmcnt(0)
	s_and_b32 s0, 1, s10
	s_cmp_eq_u32 s0, 1
	s_cselect_b64 s[0:1], -1, 0
	s_and_b64 s[6:7], s[0:1], exec
	s_cselect_b32 s6, s3, s2
	s_cselect_b32 s7, s2, s3
	s_cmp_gt_i32 s6, s7
	v_cmp_lt_i64_e64 s[6:7], s[12:13], 1
	s_cselect_b64 s[14:15], -1, 0
	s_or_b64 s[6:7], s[14:15], s[6:7]
	s_and_b64 vcc, exec, s[6:7]
	s_cbranch_vccnz .LBB1693_10
; %bb.2:
	s_mov_b32 s9, 0
	s_load_dwordx4 s[36:39], s[4:5], 0x48
	s_load_dwordx2 s[6:7], s[4:5], 0x58
	s_lshl_b64 s[4:5], s[8:9], 3
	s_add_u32 s14, s16, s4
	s_addc_u32 s15, s17, s5
	s_add_u32 s16, s22, s4
	s_addc_u32 s17, s23, s5
	s_waitcnt lgkmcnt(0)
	s_add_u32 s4, s36, s4
	s_addc_u32 s5, s37, s5
	s_load_dwordx2 s[22:23], s[4:5], 0x0
	s_load_dwordx2 s[8:9], s[14:15], 0x0
	;; [unrolled: 1-line block ×3, first 2 shown]
	s_lshl_b64 s[4:5], s[6:7], 4
	v_add_u32_e32 v2, s2, v1
	s_waitcnt lgkmcnt(0)
	s_add_u32 s10, s22, s4
	s_addc_u32 s14, s23, s5
	v_add_u32_e32 v4, s3, v0
	s_ashr_i32 s3, s11, 31
	s_mov_b32 s2, s11
	v_mov_b32_e32 v5, 0
	v_cndmask_b32_e64 v8, v4, v2, s[0:1]
	v_cndmask_b32_e64 v9, v2, v4, s[0:1]
	v_cmp_gt_i64_e64 s[0:1], s[2:3], v[4:5]
	v_mov_b32_e32 v3, v5
	v_ashrrev_i32_e32 v5, 31, v2
	v_mul_lo_u32 v5, s38, v5
	v_mul_lo_u32 v10, s39, v2
	v_mad_u64_u32 v[6:7], s[4:5], s38, v2, 0
	v_cmp_gt_i64_e64 s[2:3], s[2:3], v[2:3]
	v_max_i32_e32 v3, v4, v2
	v_cmp_gt_i32_e32 vcc, s11, v3
	v_cmp_le_i32_e64 s[4:5], v9, v8
	s_and_b64 s[6:7], s[4:5], vcc
	v_add3_u32 v7, v7, v5, v10
	v_mad_u64_u32 v[10:11], s[4:5], s24, v2, 0
	v_lshlrev_b64 v[6:7], 4, v[6:7]
	v_mov_b32_e32 v3, s14
	v_add_co_u32_e32 v8, vcc, s10, v6
	v_addc_co_u32_e32 v7, vcc, v3, v7, vcc
	v_mov_b32_e32 v3, v11
	v_mad_u64_u32 v[2:3], s[4:5], s25, v2, v[3:4]
	v_ashrrev_i32_e32 v5, 31, v4
	v_lshlrev_b64 v[5:6], 4, v[4:5]
	v_mov_b32_e32 v11, v2
	v_add_co_u32_e32 v8, vcc, v8, v5
	v_lshlrev_b64 v[2:3], 4, v[10:11]
	v_addc_co_u32_e32 v9, vcc, v7, v6, vcc
	s_lshl_b64 s[4:5], s[26:27], 4
	v_mov_b32_e32 v5, s5
	v_add_co_u32_e32 v6, vcc, s4, v2
	v_addc_co_u32_e32 v5, vcc, v3, v5, vcc
	v_mad_u64_u32 v[2:3], s[4:5], s18, v4, 0
	v_lshlrev_b32_e32 v7, 4, v0
	v_add_co_u32_e32 v6, vcc, v6, v7
	v_mad_u64_u32 v[3:4], s[4:5], s19, v4, v[3:4]
	v_addc_co_u32_e32 v5, vcc, 0, v5, vcc
	v_mov_b32_e32 v7, s35
	v_add_co_u32_e32 v10, vcc, s34, v6
	v_lshlrev_b64 v[2:3], 4, v[2:3]
	v_addc_co_u32_e32 v11, vcc, v7, v5, vcc
	s_lshl_b64 s[4:5], s[20:21], 4
	v_mov_b32_e32 v4, s5
	v_add_co_u32_e32 v2, vcc, s4, v2
	v_lshlrev_b32_e32 v12, 4, v1
	v_addc_co_u32_e32 v3, vcc, v3, v4, vcc
	v_add_co_u32_e32 v2, vcc, v2, v12
	v_lshlrev_b32_e32 v14, 9, v0
	v_addc_co_u32_e32 v3, vcc, 0, v3, vcc
	v_add_u32_e32 v15, v14, v12
	v_or_b32_e32 v16, 0x4000, v12
	v_mov_b32_e32 v4, s9
	v_add_co_u32_e32 v12, vcc, s8, v2
	v_add_u32_e32 v17, v16, v14
	v_addc_co_u32_e32 v13, vcc, v4, v3, vcc
	s_mov_b64 s[8:9], 0
	s_branch .LBB1693_4
.LBB1693_3:                             ;   in Loop: Header=BB1693_4 Depth=1
	s_or_b64 exec, exec, s[4:5]
	s_add_u32 s8, s8, 32
	v_add_co_u32_e32 v10, vcc, 0x200, v10
	v_mov_b32_e32 v2, s12
	s_addc_u32 s9, s9, 0
	v_addc_co_u32_e32 v11, vcc, 0, v11, vcc
	v_mov_b32_e32 v3, s13
	v_add_co_u32_e32 v12, vcc, 0x200, v12
	v_cmp_lt_i64_e64 s[4:5], s[8:9], v[2:3]
	v_addc_co_u32_e32 v13, vcc, 0, v13, vcc
	s_and_b64 vcc, exec, s[4:5]
	s_waitcnt vmcnt(0) lgkmcnt(0)
	s_barrier
	s_cbranch_vccz .LBB1693_10
.LBB1693_4:                             ; =>This Inner Loop Header: Depth=1
	v_mov_b32_e32 v3, s9
	v_add_co_u32_e32 v2, vcc, s8, v1
	v_addc_co_u32_e32 v3, vcc, 0, v3, vcc
	v_cmp_gt_i64_e32 vcc, s[12:13], v[2:3]
	v_mov_b32_e32 v2, 0
	v_mov_b32_e32 v4, 0
	;; [unrolled: 1-line block ×6, first 2 shown]
	s_and_b64 s[10:11], s[0:1], vcc
	s_and_saveexec_b64 s[4:5], s[10:11]
	s_cbranch_execz .LBB1693_6
; %bb.5:                                ;   in Loop: Header=BB1693_4 Depth=1
	flat_load_dwordx4 v[4:7], v[12:13]
.LBB1693_6:                             ;   in Loop: Header=BB1693_4 Depth=1
	s_or_b64 exec, exec, s[4:5]
	s_waitcnt vmcnt(0) lgkmcnt(0)
	ds_write_b128 v15, v[4:7]
	v_mov_b32_e32 v5, s9
	v_add_co_u32_e32 v4, vcc, s8, v0
	v_addc_co_u32_e32 v5, vcc, 0, v5, vcc
	v_cmp_gt_i64_e32 vcc, s[12:13], v[4:5]
	v_mov_b32_e32 v4, 0
	v_mov_b32_e32 v5, 0
	s_and_b64 s[10:11], s[2:3], vcc
	s_and_saveexec_b64 s[4:5], s[10:11]
	s_cbranch_execz .LBB1693_8
; %bb.7:                                ;   in Loop: Header=BB1693_4 Depth=1
	flat_load_dwordx4 v[2:5], v[10:11]
.LBB1693_8:                             ;   in Loop: Header=BB1693_4 Depth=1
	s_or_b64 exec, exec, s[4:5]
	s_waitcnt vmcnt(0) lgkmcnt(0)
	ds_write_b128 v17, v[2:5]
	s_waitcnt lgkmcnt(0)
	s_barrier
	s_and_saveexec_b64 s[4:5], s[6:7]
	s_cbranch_execz .LBB1693_3
; %bb.9:                                ;   in Loop: Header=BB1693_4 Depth=1
	ds_read_b128 v[18:21], v16
	ds_read_b128 v[22:25], v14
	ds_read_b128 v[26:29], v14 offset:16
	ds_read_b128 v[30:33], v14 offset:32
	;; [unrolled: 1-line block ×3, first 2 shown]
	s_waitcnt lgkmcnt(3)
	v_mul_f64 v[6:7], v[20:21], v[24:25]
	v_fma_f64 v[6:7], v[18:19], v[22:23], -v[6:7]
	v_mul_f64 v[18:19], v[18:19], v[24:25]
	v_add_f64 v[6:7], v[6:7], 0
	v_fma_f64 v[18:19], v[20:21], v[22:23], v[18:19]
	v_add_f64 v[22:23], v[18:19], 0
	ds_read_b128 v[18:21], v16 offset:512
	s_waitcnt lgkmcnt(0)
	v_mul_f64 v[24:25], v[20:21], v[28:29]
	v_fma_f64 v[24:25], v[18:19], v[26:27], -v[24:25]
	v_mul_f64 v[18:19], v[18:19], v[28:29]
	v_add_f64 v[6:7], v[6:7], v[24:25]
	v_fma_f64 v[18:19], v[20:21], v[26:27], v[18:19]
	v_add_f64 v[22:23], v[22:23], v[18:19]
	ds_read_b128 v[18:21], v16 offset:1024
	;; [unrolled: 8-line block ×3, first 2 shown]
	s_waitcnt lgkmcnt(0)
	v_mul_f64 v[24:25], v[20:21], v[4:5]
	v_mul_f64 v[4:5], v[18:19], v[4:5]
	v_fma_f64 v[24:25], v[18:19], v[2:3], -v[24:25]
	v_fma_f64 v[2:3], v[20:21], v[2:3], v[4:5]
	v_add_f64 v[6:7], v[6:7], v[24:25]
	v_add_f64 v[22:23], v[22:23], v[2:3]
	ds_read_b128 v[2:5], v16 offset:2048
	ds_read_b128 v[18:21], v14 offset:64
	s_waitcnt lgkmcnt(0)
	v_mul_f64 v[24:25], v[4:5], v[20:21]
	v_fma_f64 v[24:25], v[2:3], v[18:19], -v[24:25]
	v_mul_f64 v[2:3], v[2:3], v[20:21]
	v_add_f64 v[6:7], v[6:7], v[24:25]
	v_fma_f64 v[2:3], v[4:5], v[18:19], v[2:3]
	v_add_f64 v[22:23], v[22:23], v[2:3]
	ds_read_b128 v[2:5], v16 offset:2560
	ds_read_b128 v[18:21], v14 offset:80
	s_waitcnt lgkmcnt(0)
	v_mul_f64 v[24:25], v[4:5], v[20:21]
	v_fma_f64 v[24:25], v[2:3], v[18:19], -v[24:25]
	v_mul_f64 v[2:3], v[2:3], v[20:21]
	v_add_f64 v[6:7], v[6:7], v[24:25]
	v_fma_f64 v[2:3], v[4:5], v[18:19], v[2:3]
	;; [unrolled: 9-line block ×27, first 2 shown]
	v_add_f64 v[22:23], v[22:23], v[2:3]
	ds_read_b128 v[2:5], v16 offset:15872
	ds_read_b128 v[18:21], v14 offset:496
	s_waitcnt lgkmcnt(0)
	v_mul_f64 v[24:25], v[4:5], v[20:21]
	v_fma_f64 v[24:25], v[2:3], v[18:19], -v[24:25]
	v_mul_f64 v[2:3], v[2:3], v[20:21]
	v_fma_f64 v[2:3], v[4:5], v[18:19], v[2:3]
	flat_load_dwordx4 v[18:21], v[8:9]
	v_add_f64 v[4:5], v[6:7], v[24:25]
	v_add_f64 v[6:7], v[22:23], v[2:3]
	v_mul_f64 v[2:3], s[30:31], v[6:7]
	v_fma_f64 v[2:3], s[28:29], v[4:5], -v[2:3]
	v_mul_f64 v[4:5], s[30:31], v[4:5]
	v_fma_f64 v[4:5], s[28:29], v[6:7], v[4:5]
	s_waitcnt vmcnt(0) lgkmcnt(0)
	v_add_f64 v[2:3], v[18:19], v[2:3]
	v_add_f64 v[4:5], v[20:21], v[4:5]
	flat_store_dwordx4 v[8:9], v[2:5]
	s_branch .LBB1693_3
.LBB1693_10:
	s_endpgm
	.section	.rodata,"a",@progbits
	.p2align	6, 0x0
	.amdhsa_kernel _ZL26rocblas_syr2k_her2k_kernelIlLb0ELb0ELb1ELi32EPK19rocblas_complex_numIdEPKS3_PKPS1_EvbiT_T4_T5_S9_lSB_S9_lT6_S9_li
		.amdhsa_group_segment_fixed_size 32768
		.amdhsa_private_segment_fixed_size 0
		.amdhsa_kernarg_size 100
		.amdhsa_user_sgpr_count 6
		.amdhsa_user_sgpr_private_segment_buffer 1
		.amdhsa_user_sgpr_dispatch_ptr 0
		.amdhsa_user_sgpr_queue_ptr 0
		.amdhsa_user_sgpr_kernarg_segment_ptr 1
		.amdhsa_user_sgpr_dispatch_id 0
		.amdhsa_user_sgpr_flat_scratch_init 0
		.amdhsa_user_sgpr_private_segment_size 0
		.amdhsa_uses_dynamic_stack 0
		.amdhsa_system_sgpr_private_segment_wavefront_offset 0
		.amdhsa_system_sgpr_workgroup_id_x 1
		.amdhsa_system_sgpr_workgroup_id_y 1
		.amdhsa_system_sgpr_workgroup_id_z 1
		.amdhsa_system_sgpr_workgroup_info 0
		.amdhsa_system_vgpr_workitem_id 1
		.amdhsa_next_free_vgpr 34
		.amdhsa_next_free_sgpr 61
		.amdhsa_reserve_vcc 1
		.amdhsa_reserve_flat_scratch 0
		.amdhsa_float_round_mode_32 0
		.amdhsa_float_round_mode_16_64 0
		.amdhsa_float_denorm_mode_32 3
		.amdhsa_float_denorm_mode_16_64 3
		.amdhsa_dx10_clamp 1
		.amdhsa_ieee_mode 1
		.amdhsa_fp16_overflow 0
		.amdhsa_exception_fp_ieee_invalid_op 0
		.amdhsa_exception_fp_denorm_src 0
		.amdhsa_exception_fp_ieee_div_zero 0
		.amdhsa_exception_fp_ieee_overflow 0
		.amdhsa_exception_fp_ieee_underflow 0
		.amdhsa_exception_fp_ieee_inexact 0
		.amdhsa_exception_int_div_zero 0
	.end_amdhsa_kernel
	.section	.text._ZL26rocblas_syr2k_her2k_kernelIlLb0ELb0ELb1ELi32EPK19rocblas_complex_numIdEPKS3_PKPS1_EvbiT_T4_T5_S9_lSB_S9_lT6_S9_li,"axG",@progbits,_ZL26rocblas_syr2k_her2k_kernelIlLb0ELb0ELb1ELi32EPK19rocblas_complex_numIdEPKS3_PKPS1_EvbiT_T4_T5_S9_lSB_S9_lT6_S9_li,comdat
.Lfunc_end1693:
	.size	_ZL26rocblas_syr2k_her2k_kernelIlLb0ELb0ELb1ELi32EPK19rocblas_complex_numIdEPKS3_PKPS1_EvbiT_T4_T5_S9_lSB_S9_lT6_S9_li, .Lfunc_end1693-_ZL26rocblas_syr2k_her2k_kernelIlLb0ELb0ELb1ELi32EPK19rocblas_complex_numIdEPKS3_PKPS1_EvbiT_T4_T5_S9_lSB_S9_lT6_S9_li
                                        ; -- End function
	.set _ZL26rocblas_syr2k_her2k_kernelIlLb0ELb0ELb1ELi32EPK19rocblas_complex_numIdEPKS3_PKPS1_EvbiT_T4_T5_S9_lSB_S9_lT6_S9_li.num_vgpr, 34
	.set _ZL26rocblas_syr2k_her2k_kernelIlLb0ELb0ELb1ELi32EPK19rocblas_complex_numIdEPKS3_PKPS1_EvbiT_T4_T5_S9_lSB_S9_lT6_S9_li.num_agpr, 0
	.set _ZL26rocblas_syr2k_her2k_kernelIlLb0ELb0ELb1ELi32EPK19rocblas_complex_numIdEPKS3_PKPS1_EvbiT_T4_T5_S9_lSB_S9_lT6_S9_li.numbered_sgpr, 40
	.set _ZL26rocblas_syr2k_her2k_kernelIlLb0ELb0ELb1ELi32EPK19rocblas_complex_numIdEPKS3_PKPS1_EvbiT_T4_T5_S9_lSB_S9_lT6_S9_li.num_named_barrier, 0
	.set _ZL26rocblas_syr2k_her2k_kernelIlLb0ELb0ELb1ELi32EPK19rocblas_complex_numIdEPKS3_PKPS1_EvbiT_T4_T5_S9_lSB_S9_lT6_S9_li.private_seg_size, 0
	.set _ZL26rocblas_syr2k_her2k_kernelIlLb0ELb0ELb1ELi32EPK19rocblas_complex_numIdEPKS3_PKPS1_EvbiT_T4_T5_S9_lSB_S9_lT6_S9_li.uses_vcc, 1
	.set _ZL26rocblas_syr2k_her2k_kernelIlLb0ELb0ELb1ELi32EPK19rocblas_complex_numIdEPKS3_PKPS1_EvbiT_T4_T5_S9_lSB_S9_lT6_S9_li.uses_flat_scratch, 0
	.set _ZL26rocblas_syr2k_her2k_kernelIlLb0ELb0ELb1ELi32EPK19rocblas_complex_numIdEPKS3_PKPS1_EvbiT_T4_T5_S9_lSB_S9_lT6_S9_li.has_dyn_sized_stack, 0
	.set _ZL26rocblas_syr2k_her2k_kernelIlLb0ELb0ELb1ELi32EPK19rocblas_complex_numIdEPKS3_PKPS1_EvbiT_T4_T5_S9_lSB_S9_lT6_S9_li.has_recursion, 0
	.set _ZL26rocblas_syr2k_her2k_kernelIlLb0ELb0ELb1ELi32EPK19rocblas_complex_numIdEPKS3_PKPS1_EvbiT_T4_T5_S9_lSB_S9_lT6_S9_li.has_indirect_call, 0
	.section	.AMDGPU.csdata,"",@progbits
; Kernel info:
; codeLenInByte = 3004
; TotalNumSgprs: 44
; NumVgprs: 34
; ScratchSize: 0
; MemoryBound: 1
; FloatMode: 240
; IeeeMode: 1
; LDSByteSize: 32768 bytes/workgroup (compile time only)
; SGPRBlocks: 8
; VGPRBlocks: 8
; NumSGPRsForWavesPerEU: 65
; NumVGPRsForWavesPerEU: 34
; Occupancy: 7
; WaveLimiterHint : 1
; COMPUTE_PGM_RSRC2:SCRATCH_EN: 0
; COMPUTE_PGM_RSRC2:USER_SGPR: 6
; COMPUTE_PGM_RSRC2:TRAP_HANDLER: 0
; COMPUTE_PGM_RSRC2:TGID_X_EN: 1
; COMPUTE_PGM_RSRC2:TGID_Y_EN: 1
; COMPUTE_PGM_RSRC2:TGID_Z_EN: 1
; COMPUTE_PGM_RSRC2:TIDIG_COMP_CNT: 1
	.section	.text._ZL26rocblas_syr2k_her2k_kernelIlLb0ELb1ELb0ELi32E19rocblas_complex_numIfEPKPKS1_PKPS1_EvbiT_T4_T5_S9_lSB_S9_lT6_S9_li,"axG",@progbits,_ZL26rocblas_syr2k_her2k_kernelIlLb0ELb1ELb0ELi32E19rocblas_complex_numIfEPKPKS1_PKPS1_EvbiT_T4_T5_S9_lSB_S9_lT6_S9_li,comdat
	.globl	_ZL26rocblas_syr2k_her2k_kernelIlLb0ELb1ELb0ELi32E19rocblas_complex_numIfEPKPKS1_PKPS1_EvbiT_T4_T5_S9_lSB_S9_lT6_S9_li ; -- Begin function _ZL26rocblas_syr2k_her2k_kernelIlLb0ELb1ELb0ELi32E19rocblas_complex_numIfEPKPKS1_PKPS1_EvbiT_T4_T5_S9_lSB_S9_lT6_S9_li
	.p2align	8
	.type	_ZL26rocblas_syr2k_her2k_kernelIlLb0ELb1ELb0ELi32E19rocblas_complex_numIfEPKPKS1_PKPS1_EvbiT_T4_T5_S9_lSB_S9_lT6_S9_li,@function
_ZL26rocblas_syr2k_her2k_kernelIlLb0ELb1ELb0ELi32E19rocblas_complex_numIfEPKPKS1_PKPS1_EvbiT_T4_T5_S9_lSB_S9_lT6_S9_li: ; @_ZL26rocblas_syr2k_her2k_kernelIlLb0ELb1ELb0ELi32E19rocblas_complex_numIfEPKPKS1_PKPS1_EvbiT_T4_T5_S9_lSB_S9_lT6_S9_li
; %bb.0:
	s_load_dwordx2 s[10:11], s[4:5], 0x10
	s_waitcnt lgkmcnt(0)
	v_cmp_eq_f32_e64 s[0:1], s10, 0
	v_cmp_eq_f32_e64 s[2:3], s11, 0
	s_and_b64 s[0:1], s[0:1], s[2:3]
	s_and_b64 vcc, exec, s[0:1]
	s_cbranch_vccnz .LBB1694_13
; %bb.1:
	s_load_dwordx2 s[28:29], s[4:5], 0x0
	s_lshl_b32 s30, s7, 5
	s_lshl_b32 s31, s6, 5
	s_waitcnt lgkmcnt(0)
	s_and_b32 s0, 1, s28
	s_cmp_eq_u32 s0, 1
	s_cselect_b64 s[0:1], -1, 0
	s_and_b64 s[2:3], s[0:1], exec
	s_cselect_b32 s2, s31, s30
	s_cselect_b32 s3, s30, s31
	s_cmp_gt_i32 s2, s3
	s_cbranch_scc1 .LBB1694_13
; %bb.2:
	s_load_dwordx16 s[12:27], s[4:5], 0x18
	s_load_dwordx2 s[6:7], s[4:5], 0x8
	s_load_dwordx2 s[34:35], s[4:5], 0x58
	s_mov_b32 s9, 0
	s_lshl_b64 s[2:3], s[8:9], 3
	s_waitcnt lgkmcnt(0)
	s_add_u32 s4, s24, s2
	s_addc_u32 s5, s25, s3
	s_load_dwordx2 s[4:5], s[4:5], 0x0
	v_cmp_lt_i64_e64 s[8:9], s[6:7], 1
	s_lshl_b64 s[24:25], s[34:35], 3
	v_add_u32_e32 v14, s31, v0
	v_add_u32_e32 v18, s30, v1
	s_waitcnt lgkmcnt(0)
	s_add_u32 s28, s4, s24
	s_addc_u32 s30, s5, s25
	s_and_b64 vcc, exec, s[8:9]
	v_ashrrev_i32_e32 v17, 31, v14
	s_cbranch_vccnz .LBB1694_11
; %bb.3:
	s_add_u32 s4, s12, s2
	v_lshlrev_b32_e32 v24, 8, v0
	v_lshlrev_b32_e32 v2, 3, v1
	s_addc_u32 s5, s13, s3
	v_add_u32_e32 v25, v24, v2
	v_or_b32_e32 v26, 0x2000, v2
	v_ashrrev_i32_e32 v2, 31, v18
	s_load_dwordx2 s[24:25], s[4:5], 0x0
	v_mul_lo_u32 v7, s27, v18
	v_mul_lo_u32 v8, s26, v2
	v_mad_u64_u32 v[2:3], s[4:5], s26, v18, 0
	v_cndmask_b32_e64 v4, v14, v18, s[0:1]
	v_cndmask_b32_e64 v5, v18, v14, s[0:1]
	v_max_i32_e32 v6, v14, v18
	s_add_u32 s2, s18, s2
	v_cmp_gt_i32_e32 vcc, s29, v6
	v_cmp_le_i32_e64 s[4:5], v5, v4
	s_addc_u32 s3, s19, s3
	s_and_b64 s[8:9], s[4:5], vcc
	v_add3_u32 v3, v3, v8, v7
	v_mad_u64_u32 v[4:5], s[4:5], s20, v0, 0
	v_lshlrev_b64 v[2:3], 3, v[2:3]
	v_mov_b32_e32 v6, s30
	v_add_co_u32_e32 v7, vcc, s28, v2
	v_mov_b32_e32 v16, v14
	v_addc_co_u32_e32 v8, vcc, v6, v3, vcc
	v_mad_u64_u32 v[5:6], s[4:5], s21, v0, v[5:6]
	v_lshlrev_b64 v[2:3], 3, v[16:17]
	s_lshl_b64 s[4:5], s[22:23], 3
	v_add_co_u32_e32 v20, vcc, v7, v2
	v_addc_co_u32_e32 v21, vcc, v8, v3, vcc
	v_lshlrev_b64 v[2:3], 3, v[4:5]
	v_mov_b32_e32 v4, s5
	v_add_co_u32_e32 v6, vcc, s4, v2
	v_mov_b32_e32 v15, 0
	v_addc_co_u32_e32 v7, vcc, v3, v4, vcc
	v_mad_u64_u32 v[4:5], s[4:5], s14, v1, 0
	v_mov_b32_e32 v19, v15
	v_lshlrev_b64 v[2:3], 3, v[18:19]
	s_load_dwordx2 s[12:13], s[2:3], 0x0
	v_add_co_u32_e32 v6, vcc, v6, v2
	v_mov_b32_e32 v2, v5
	v_addc_co_u32_e32 v7, vcc, v7, v3, vcc
	v_mad_u64_u32 v[2:3], s[4:5], s15, v1, v[2:3]
	s_waitcnt lgkmcnt(0)
	v_mov_b32_e32 v8, s13
	v_add_co_u32_e32 v22, vcc, s12, v6
	v_mov_b32_e32 v5, v2
	v_lshlrev_b64 v[2:3], 3, v[4:5]
	v_addc_co_u32_e32 v23, vcc, v8, v7, vcc
	s_lshl_b64 s[4:5], s[16:17], 3
	v_mov_b32_e32 v4, s5
	v_add_co_u32_e32 v5, vcc, s4, v2
	v_addc_co_u32_e32 v4, vcc, v3, v4, vcc
	v_lshlrev_b64 v[2:3], 3, v[14:15]
	s_ashr_i32 s3, s29, 31
	v_add_co_u32_e32 v2, vcc, v5, v2
	s_mov_b32 s2, s29
	v_addc_co_u32_e32 v3, vcc, v4, v3, vcc
	v_cmp_gt_i64_e64 s[0:1], s[2:3], v[14:15]
	v_cmp_gt_i64_e64 s[2:3], s[2:3], v[18:19]
	v_mov_b32_e32 v4, s25
	v_add_co_u32_e32 v15, vcc, s24, v2
	v_add_u32_e32 v27, v26, v24
	s_lshl_b64 s[12:13], s[20:21], 8
	v_addc_co_u32_e32 v16, vcc, v4, v3, vcc
	s_lshl_b64 s[14:15], s[14:15], 8
	s_mov_b64 s[16:17], 0
	s_branch .LBB1694_5
.LBB1694_4:                             ;   in Loop: Header=BB1694_5 Depth=1
	s_or_b64 exec, exec, s[4:5]
	v_mov_b32_e32 v2, s13
	v_add_co_u32_e32 v22, vcc, s12, v22
	s_add_u32 s16, s16, 32
	v_addc_co_u32_e32 v23, vcc, v23, v2, vcc
	v_mov_b32_e32 v2, s6
	s_addc_u32 s17, s17, 0
	v_mov_b32_e32 v3, s7
	v_cmp_ge_i64_e32 vcc, s[16:17], v[2:3]
	v_mov_b32_e32 v4, s15
	v_add_co_u32_e64 v15, s[4:5], s14, v15
	v_addc_co_u32_e64 v16, s[4:5], v16, v4, s[4:5]
	s_waitcnt vmcnt(0) lgkmcnt(0)
	s_barrier
	s_cbranch_vccnz .LBB1694_11
.LBB1694_5:                             ; =>This Inner Loop Header: Depth=1
	v_mov_b32_e32 v3, s17
	v_add_co_u32_e32 v2, vcc, s16, v1
	v_addc_co_u32_e32 v3, vcc, 0, v3, vcc
	v_cmp_gt_i64_e32 vcc, s[6:7], v[2:3]
	v_mov_b32_e32 v2, 0
	s_and_b64 s[18:19], s[0:1], vcc
	v_mov_b32_e32 v3, 0
	s_and_saveexec_b64 s[4:5], s[18:19]
	s_cbranch_execz .LBB1694_7
; %bb.6:                                ;   in Loop: Header=BB1694_5 Depth=1
	flat_load_dwordx2 v[2:3], v[15:16]
.LBB1694_7:                             ;   in Loop: Header=BB1694_5 Depth=1
	s_or_b64 exec, exec, s[4:5]
	v_mov_b32_e32 v5, s17
	v_add_co_u32_e32 v4, vcc, s16, v0
	v_addc_co_u32_e32 v5, vcc, 0, v5, vcc
	v_cmp_gt_i64_e32 vcc, s[6:7], v[4:5]
	s_waitcnt vmcnt(0) lgkmcnt(0)
	ds_write_b64 v25, v[2:3]
	s_and_b64 s[18:19], s[2:3], vcc
	v_mov_b32_e32 v3, 0
	v_mov_b32_e32 v2, 0
	s_and_saveexec_b64 s[4:5], s[18:19]
	s_cbranch_execz .LBB1694_9
; %bb.8:                                ;   in Loop: Header=BB1694_5 Depth=1
	flat_load_dwordx2 v[2:3], v[22:23]
	s_waitcnt vmcnt(0) lgkmcnt(0)
	v_xor_b32_e32 v3, 0x80000000, v3
.LBB1694_9:                             ;   in Loop: Header=BB1694_5 Depth=1
	s_or_b64 exec, exec, s[4:5]
	ds_write_b64 v27, v[2:3]
	s_waitcnt lgkmcnt(0)
	s_barrier
	s_and_saveexec_b64 s[4:5], s[8:9]
	s_cbranch_execz .LBB1694_4
; %bb.10:                               ;   in Loop: Header=BB1694_5 Depth=1
	ds_read2_b64 v[2:5], v26 offset1:32
	ds_read_b128 v[6:9], v24
	ds_read_b128 v[10:13], v24 offset:16
	ds_read2_b64 v[28:31], v26 offset0:64 offset1:96
	s_waitcnt lgkmcnt(2)
	v_mul_f32_e32 v19, v3, v7
	v_mul_f32_e32 v32, v2, v7
	v_fma_f32 v19, v2, v6, -v19
	v_mul_f32_e32 v2, v5, v9
	v_fma_f32 v33, v4, v8, -v2
	s_waitcnt lgkmcnt(0)
	v_mul_f32_e32 v2, v29, v11
	v_fmac_f32_e32 v32, v3, v6
	v_mul_f32_e32 v34, v4, v9
	v_fma_f32 v35, v28, v10, -v2
	v_mul_f32_e32 v28, v28, v11
	v_mul_f32_e32 v2, v31, v13
	v_fmac_f32_e32 v34, v5, v8
	v_fmac_f32_e32 v28, v29, v10
	v_fma_f32 v29, v30, v12, -v2
	v_mul_f32_e32 v30, v30, v13
	v_add_f32_e32 v10, 0, v19
	v_add_f32_e32 v11, 0, v32
	v_fmac_f32_e32 v30, v31, v12
	ds_read_b128 v[2:5], v24 offset:32
	ds_read_b128 v[6:9], v24 offset:48
	v_add_f32_e32 v19, v10, v33
	v_add_f32_e32 v31, v11, v34
	ds_read2_b64 v[10:13], v26 offset0:128 offset1:160
	v_add_f32_e32 v19, v19, v35
	v_add_f32_e32 v28, v31, v28
	;; [unrolled: 1-line block ×4, first 2 shown]
	s_waitcnt lgkmcnt(0)
	v_mul_f32_e32 v29, v11, v3
	v_mul_f32_e32 v3, v10, v3
	v_fma_f32 v29, v10, v2, -v29
	v_fmac_f32_e32 v3, v11, v2
	v_add_f32_e32 v2, v19, v29
	v_add_f32_e32 v3, v28, v3
	ds_read2_b64 v[28:31], v26 offset0:192 offset1:224
	v_mul_f32_e32 v10, v13, v5
	v_mul_f32_e32 v5, v12, v5
	v_fma_f32 v10, v12, v4, -v10
	v_fmac_f32_e32 v5, v13, v4
	s_waitcnt lgkmcnt(0)
	v_mul_f32_e32 v4, v29, v7
	v_add_f32_e32 v2, v2, v10
	v_add_f32_e32 v3, v3, v5
	v_fma_f32 v4, v28, v6, -v4
	v_mul_f32_e32 v5, v28, v7
	v_fmac_f32_e32 v5, v29, v6
	v_add_f32_e32 v6, v2, v4
	v_mul_f32_e32 v2, v31, v9
	v_add_u32_e32 v32, 0x800, v26
	v_add_f32_e32 v7, v3, v5
	v_fma_f32 v13, v30, v8, -v2
	v_mul_f32_e32 v19, v30, v9
	ds_read_b128 v[2:5], v24 offset:64
	ds_read2_b64 v[9:12], v32 offset1:32
	v_fmac_f32_e32 v19, v31, v8
	ds_read_b128 v[28:31], v24 offset:80
	v_add_f32_e32 v6, v6, v13
	v_add_f32_e32 v7, v7, v19
	s_waitcnt lgkmcnt(1)
	v_mul_f32_e32 v8, v10, v3
	v_fma_f32 v8, v9, v2, -v8
	v_mul_f32_e32 v3, v9, v3
	v_fmac_f32_e32 v3, v10, v2
	v_add_f32_e32 v2, v6, v8
	v_mul_f32_e32 v6, v12, v5
	v_add_f32_e32 v3, v7, v3
	v_fma_f32 v10, v11, v4, -v6
	ds_read2_b64 v[6:9], v32 offset0:64 offset1:96
	v_mul_f32_e32 v5, v11, v5
	v_fmac_f32_e32 v5, v12, v4
	v_add_f32_e32 v2, v2, v10
	v_add_f32_e32 v3, v3, v5
	s_waitcnt lgkmcnt(0)
	v_mul_f32_e32 v4, v7, v29
	v_fma_f32 v4, v6, v28, -v4
	v_mul_f32_e32 v5, v6, v29
	v_fmac_f32_e32 v5, v7, v28
	v_add_f32_e32 v6, v2, v4
	v_mul_f32_e32 v2, v9, v31
	v_add_f32_e32 v7, v3, v5
	v_fma_f32 v19, v8, v30, -v2
	ds_read_b128 v[2:5], v24 offset:96
	ds_read2_b64 v[10:13], v32 offset0:128 offset1:160
	v_mul_f32_e32 v8, v8, v31
	v_fmac_f32_e32 v8, v9, v30
	v_add_f32_e32 v19, v6, v19
	v_add_f32_e32 v28, v7, v8
	s_waitcnt lgkmcnt(0)
	v_mul_f32_e32 v29, v11, v3
	v_mul_f32_e32 v3, v10, v3
	v_fma_f32 v29, v10, v2, -v29
	v_fmac_f32_e32 v3, v11, v2
	ds_read_b128 v[6:9], v24 offset:112
	v_add_f32_e32 v2, v19, v29
	v_add_f32_e32 v3, v28, v3
	ds_read2_b64 v[28:31], v32 offset0:192 offset1:224
	v_mul_f32_e32 v10, v13, v5
	v_mul_f32_e32 v5, v12, v5
	v_fma_f32 v10, v12, v4, -v10
	v_fmac_f32_e32 v5, v13, v4
	s_waitcnt lgkmcnt(0)
	v_mul_f32_e32 v4, v29, v7
	v_add_f32_e32 v2, v2, v10
	v_add_f32_e32 v3, v3, v5
	v_fma_f32 v4, v28, v6, -v4
	v_mul_f32_e32 v5, v28, v7
	v_fmac_f32_e32 v5, v29, v6
	v_add_f32_e32 v6, v2, v4
	v_mul_f32_e32 v2, v31, v9
	v_add_u32_e32 v19, 0x1000, v26
	v_add_f32_e32 v7, v3, v5
	v_fma_f32 v13, v30, v8, -v2
	v_mul_f32_e32 v28, v30, v9
	ds_read_b128 v[2:5], v24 offset:128
	ds_read2_b64 v[9:12], v19 offset1:32
	v_fmac_f32_e32 v28, v31, v8
	v_add_f32_e32 v7, v7, v28
	ds_read_b128 v[28:31], v24 offset:144
	v_add_f32_e32 v6, v6, v13
	s_waitcnt lgkmcnt(1)
	v_mul_f32_e32 v8, v10, v3
	v_mul_f32_e32 v3, v9, v3
	v_fma_f32 v8, v9, v2, -v8
	v_fmac_f32_e32 v3, v10, v2
	v_add_f32_e32 v2, v6, v8
	v_add_f32_e32 v3, v7, v3
	ds_read2_b64 v[7:10], v19 offset0:64 offset1:96
	v_mul_f32_e32 v6, v12, v5
	v_mul_f32_e32 v5, v11, v5
	v_fma_f32 v6, v11, v4, -v6
	v_fmac_f32_e32 v5, v12, v4
	s_waitcnt lgkmcnt(0)
	v_mul_f32_e32 v4, v8, v29
	v_add_f32_e32 v2, v2, v6
	v_add_f32_e32 v3, v3, v5
	v_fma_f32 v4, v7, v28, -v4
	v_mul_f32_e32 v5, v7, v29
	v_fmac_f32_e32 v5, v8, v28
	v_add_f32_e32 v11, v2, v4
	v_mul_f32_e32 v2, v10, v31
	v_add_f32_e32 v12, v3, v5
	v_fma_f32 v13, v9, v30, -v2
	v_mul_f32_e32 v28, v9, v31
	ds_read_b128 v[2:5], v24 offset:160
	ds_read2_b64 v[6:9], v19 offset0:128 offset1:160
	v_fmac_f32_e32 v28, v10, v30
	v_add_f32_e32 v31, v12, v28
	v_add_f32_e32 v30, v11, v13
	ds_read_b128 v[10:13], v24 offset:176
	s_waitcnt lgkmcnt(1)
	v_mul_f32_e32 v28, v7, v3
	v_fma_f32 v32, v6, v2, -v28
	flat_load_dwordx2 v[28:29], v[20:21]
	v_mul_f32_e32 v6, v6, v3
	v_fmac_f32_e32 v6, v7, v2
	v_mul_f32_e32 v2, v9, v5
	v_fma_f32 v7, v8, v4, -v2
	v_mul_f32_e32 v8, v8, v5
	v_fmac_f32_e32 v8, v9, v4
	ds_read2_b64 v[2:5], v19 offset0:192 offset1:224
	v_add_f32_e32 v6, v31, v6
	v_add_f32_e32 v9, v30, v32
	v_add_f32_e32 v19, v6, v8
	v_add_f32_e32 v7, v9, v7
	s_waitcnt lgkmcnt(0)
	v_mul_f32_e32 v6, v3, v11
	v_fma_f32 v6, v2, v10, -v6
	v_mul_f32_e32 v11, v2, v11
	v_mul_f32_e32 v2, v5, v13
	;; [unrolled: 1-line block ×3, first 2 shown]
	v_add_u32_e32 v31, 0x1800, v26
	v_fmac_f32_e32 v11, v3, v10
	v_add_f32_e32 v10, v7, v6
	v_fma_f32 v30, v4, v12, -v2
	ds_read_b128 v[6:9], v24 offset:192
	v_fmac_f32_e32 v13, v5, v12
	ds_read2_b64 v[2:5], v31 offset1:32
	v_add_f32_e32 v11, v19, v11
	v_add_f32_e32 v19, v10, v30
	;; [unrolled: 1-line block ×3, first 2 shown]
	ds_read_b128 v[10:13], v24 offset:208
	s_waitcnt lgkmcnt(0)
	v_mul_f32_e32 v32, v3, v7
	v_fma_f32 v32, v2, v6, -v32
	v_mul_f32_e32 v7, v2, v7
	v_mul_f32_e32 v2, v5, v9
	;; [unrolled: 1-line block ×3, first 2 shown]
	v_fmac_f32_e32 v7, v3, v6
	v_fma_f32 v6, v4, v8, -v2
	v_fmac_f32_e32 v9, v5, v8
	ds_read2_b64 v[2:5], v31 offset0:64 offset1:96
	v_add_f32_e32 v7, v30, v7
	v_add_f32_e32 v8, v19, v32
	;; [unrolled: 1-line block ×4, first 2 shown]
	s_waitcnt lgkmcnt(0)
	v_mul_f32_e32 v7, v3, v11
	v_fma_f32 v7, v2, v10, -v7
	v_mul_f32_e32 v11, v2, v11
	v_mul_f32_e32 v2, v5, v13
	;; [unrolled: 1-line block ×3, first 2 shown]
	v_fmac_f32_e32 v11, v3, v10
	v_add_f32_e32 v10, v6, v7
	v_fma_f32 v30, v4, v12, -v2
	ds_read_b128 v[6:9], v24 offset:224
	v_fmac_f32_e32 v13, v5, v12
	ds_read2_b64 v[2:5], v31 offset0:128 offset1:160
	v_add_f32_e32 v11, v19, v11
	v_add_f32_e32 v19, v10, v30
	;; [unrolled: 1-line block ×3, first 2 shown]
	ds_read_b128 v[10:13], v24 offset:240
	s_waitcnt lgkmcnt(0)
	v_mul_f32_e32 v32, v3, v7
	v_fma_f32 v32, v2, v6, -v32
	v_mul_f32_e32 v7, v2, v7
	v_mul_f32_e32 v2, v5, v9
	;; [unrolled: 1-line block ×3, first 2 shown]
	v_fmac_f32_e32 v7, v3, v6
	v_fma_f32 v6, v4, v8, -v2
	v_fmac_f32_e32 v9, v5, v8
	ds_read2_b64 v[2:5], v31 offset0:192 offset1:224
	v_add_f32_e32 v8, v19, v32
	v_add_f32_e32 v6, v8, v6
	v_add_f32_e32 v7, v30, v7
	v_add_f32_e32 v7, v7, v9
	s_waitcnt lgkmcnt(0)
	v_mul_f32_e32 v8, v3, v11
	v_fma_f32 v8, v2, v10, -v8
	v_mul_f32_e32 v2, v2, v11
	v_fmac_f32_e32 v2, v3, v10
	v_add_f32_e32 v3, v6, v8
	v_mul_f32_e32 v6, v5, v13
	v_fma_f32 v6, v4, v12, -v6
	v_mul_f32_e32 v4, v4, v13
	v_add_f32_e32 v2, v7, v2
	v_fmac_f32_e32 v4, v5, v12
	v_add_f32_e32 v2, v2, v4
	v_add_f32_e32 v3, v3, v6
	v_mul_f32_e32 v4, s11, v2
	v_mul_f32_e32 v5, s10, v2
	v_fma_f32 v4, s10, v3, -v4
	v_fmac_f32_e32 v5, s11, v3
	s_waitcnt vmcnt(0)
	v_add_f32_e32 v2, v28, v4
	v_add_f32_e32 v3, v29, v5
	flat_store_dwordx2 v[20:21], v[2:3]
	s_branch .LBB1694_4
.LBB1694_11:
	v_cmp_eq_u32_e32 vcc, v14, v18
	v_cmp_gt_i32_e64 s[0:1], s29, v14
	s_and_b64 s[0:1], vcc, s[0:1]
	s_and_saveexec_b64 s[2:3], s[0:1]
	s_cbranch_execz .LBB1694_13
; %bb.12:
	v_mul_lo_u32 v2, s27, v14
	v_mul_lo_u32 v3, s26, v17
	v_mad_u64_u32 v[0:1], s[0:1], s26, v14, 0
	v_mov_b32_e32 v15, v17
	v_add3_u32 v1, v1, v3, v2
	v_lshlrev_b64 v[0:1], 3, v[0:1]
	v_mov_b32_e32 v2, s30
	v_add_co_u32_e32 v3, vcc, s28, v0
	v_addc_co_u32_e32 v2, vcc, v2, v1, vcc
	v_lshlrev_b64 v[0:1], 3, v[14:15]
	v_add_co_u32_e32 v0, vcc, v3, v0
	v_addc_co_u32_e32 v1, vcc, v2, v1, vcc
	v_mov_b32_e32 v2, 0
	flat_store_dword v[0:1], v2 offset:4
.LBB1694_13:
	s_endpgm
	.section	.rodata,"a",@progbits
	.p2align	6, 0x0
	.amdhsa_kernel _ZL26rocblas_syr2k_her2k_kernelIlLb0ELb1ELb0ELi32E19rocblas_complex_numIfEPKPKS1_PKPS1_EvbiT_T4_T5_S9_lSB_S9_lT6_S9_li
		.amdhsa_group_segment_fixed_size 16384
		.amdhsa_private_segment_fixed_size 0
		.amdhsa_kernarg_size 100
		.amdhsa_user_sgpr_count 6
		.amdhsa_user_sgpr_private_segment_buffer 1
		.amdhsa_user_sgpr_dispatch_ptr 0
		.amdhsa_user_sgpr_queue_ptr 0
		.amdhsa_user_sgpr_kernarg_segment_ptr 1
		.amdhsa_user_sgpr_dispatch_id 0
		.amdhsa_user_sgpr_flat_scratch_init 0
		.amdhsa_user_sgpr_private_segment_size 0
		.amdhsa_uses_dynamic_stack 0
		.amdhsa_system_sgpr_private_segment_wavefront_offset 0
		.amdhsa_system_sgpr_workgroup_id_x 1
		.amdhsa_system_sgpr_workgroup_id_y 1
		.amdhsa_system_sgpr_workgroup_id_z 1
		.amdhsa_system_sgpr_workgroup_info 0
		.amdhsa_system_vgpr_workitem_id 1
		.amdhsa_next_free_vgpr 36
		.amdhsa_next_free_sgpr 61
		.amdhsa_reserve_vcc 1
		.amdhsa_reserve_flat_scratch 0
		.amdhsa_float_round_mode_32 0
		.amdhsa_float_round_mode_16_64 0
		.amdhsa_float_denorm_mode_32 3
		.amdhsa_float_denorm_mode_16_64 3
		.amdhsa_dx10_clamp 1
		.amdhsa_ieee_mode 1
		.amdhsa_fp16_overflow 0
		.amdhsa_exception_fp_ieee_invalid_op 0
		.amdhsa_exception_fp_denorm_src 0
		.amdhsa_exception_fp_ieee_div_zero 0
		.amdhsa_exception_fp_ieee_overflow 0
		.amdhsa_exception_fp_ieee_underflow 0
		.amdhsa_exception_fp_ieee_inexact 0
		.amdhsa_exception_int_div_zero 0
	.end_amdhsa_kernel
	.section	.text._ZL26rocblas_syr2k_her2k_kernelIlLb0ELb1ELb0ELi32E19rocblas_complex_numIfEPKPKS1_PKPS1_EvbiT_T4_T5_S9_lSB_S9_lT6_S9_li,"axG",@progbits,_ZL26rocblas_syr2k_her2k_kernelIlLb0ELb1ELb0ELi32E19rocblas_complex_numIfEPKPKS1_PKPS1_EvbiT_T4_T5_S9_lSB_S9_lT6_S9_li,comdat
.Lfunc_end1694:
	.size	_ZL26rocblas_syr2k_her2k_kernelIlLb0ELb1ELb0ELi32E19rocblas_complex_numIfEPKPKS1_PKPS1_EvbiT_T4_T5_S9_lSB_S9_lT6_S9_li, .Lfunc_end1694-_ZL26rocblas_syr2k_her2k_kernelIlLb0ELb1ELb0ELi32E19rocblas_complex_numIfEPKPKS1_PKPS1_EvbiT_T4_T5_S9_lSB_S9_lT6_S9_li
                                        ; -- End function
	.set _ZL26rocblas_syr2k_her2k_kernelIlLb0ELb1ELb0ELi32E19rocblas_complex_numIfEPKPKS1_PKPS1_EvbiT_T4_T5_S9_lSB_S9_lT6_S9_li.num_vgpr, 36
	.set _ZL26rocblas_syr2k_her2k_kernelIlLb0ELb1ELb0ELi32E19rocblas_complex_numIfEPKPKS1_PKPS1_EvbiT_T4_T5_S9_lSB_S9_lT6_S9_li.num_agpr, 0
	.set _ZL26rocblas_syr2k_her2k_kernelIlLb0ELb1ELb0ELi32E19rocblas_complex_numIfEPKPKS1_PKPS1_EvbiT_T4_T5_S9_lSB_S9_lT6_S9_li.numbered_sgpr, 36
	.set _ZL26rocblas_syr2k_her2k_kernelIlLb0ELb1ELb0ELi32E19rocblas_complex_numIfEPKPKS1_PKPS1_EvbiT_T4_T5_S9_lSB_S9_lT6_S9_li.num_named_barrier, 0
	.set _ZL26rocblas_syr2k_her2k_kernelIlLb0ELb1ELb0ELi32E19rocblas_complex_numIfEPKPKS1_PKPS1_EvbiT_T4_T5_S9_lSB_S9_lT6_S9_li.private_seg_size, 0
	.set _ZL26rocblas_syr2k_her2k_kernelIlLb0ELb1ELb0ELi32E19rocblas_complex_numIfEPKPKS1_PKPS1_EvbiT_T4_T5_S9_lSB_S9_lT6_S9_li.uses_vcc, 1
	.set _ZL26rocblas_syr2k_her2k_kernelIlLb0ELb1ELb0ELi32E19rocblas_complex_numIfEPKPKS1_PKPS1_EvbiT_T4_T5_S9_lSB_S9_lT6_S9_li.uses_flat_scratch, 0
	.set _ZL26rocblas_syr2k_her2k_kernelIlLb0ELb1ELb0ELi32E19rocblas_complex_numIfEPKPKS1_PKPS1_EvbiT_T4_T5_S9_lSB_S9_lT6_S9_li.has_dyn_sized_stack, 0
	.set _ZL26rocblas_syr2k_her2k_kernelIlLb0ELb1ELb0ELi32E19rocblas_complex_numIfEPKPKS1_PKPS1_EvbiT_T4_T5_S9_lSB_S9_lT6_S9_li.has_recursion, 0
	.set _ZL26rocblas_syr2k_her2k_kernelIlLb0ELb1ELb0ELi32E19rocblas_complex_numIfEPKPKS1_PKPS1_EvbiT_T4_T5_S9_lSB_S9_lT6_S9_li.has_indirect_call, 0
	.section	.AMDGPU.csdata,"",@progbits
; Kernel info:
; codeLenInByte = 2168
; TotalNumSgprs: 40
; NumVgprs: 36
; ScratchSize: 0
; MemoryBound: 0
; FloatMode: 240
; IeeeMode: 1
; LDSByteSize: 16384 bytes/workgroup (compile time only)
; SGPRBlocks: 8
; VGPRBlocks: 8
; NumSGPRsForWavesPerEU: 65
; NumVGPRsForWavesPerEU: 36
; Occupancy: 7
; WaveLimiterHint : 1
; COMPUTE_PGM_RSRC2:SCRATCH_EN: 0
; COMPUTE_PGM_RSRC2:USER_SGPR: 6
; COMPUTE_PGM_RSRC2:TRAP_HANDLER: 0
; COMPUTE_PGM_RSRC2:TGID_X_EN: 1
; COMPUTE_PGM_RSRC2:TGID_Y_EN: 1
; COMPUTE_PGM_RSRC2:TGID_Z_EN: 1
; COMPUTE_PGM_RSRC2:TIDIG_COMP_CNT: 1
	.section	.text._ZL26rocblas_syr2k_her2k_kernelIlLb0ELb1ELb1ELi32E19rocblas_complex_numIfEPKPKS1_PKPS1_EvbiT_T4_T5_S9_lSB_S9_lT6_S9_li,"axG",@progbits,_ZL26rocblas_syr2k_her2k_kernelIlLb0ELb1ELb1ELi32E19rocblas_complex_numIfEPKPKS1_PKPS1_EvbiT_T4_T5_S9_lSB_S9_lT6_S9_li,comdat
	.globl	_ZL26rocblas_syr2k_her2k_kernelIlLb0ELb1ELb1ELi32E19rocblas_complex_numIfEPKPKS1_PKPS1_EvbiT_T4_T5_S9_lSB_S9_lT6_S9_li ; -- Begin function _ZL26rocblas_syr2k_her2k_kernelIlLb0ELb1ELb1ELi32E19rocblas_complex_numIfEPKPKS1_PKPS1_EvbiT_T4_T5_S9_lSB_S9_lT6_S9_li
	.p2align	8
	.type	_ZL26rocblas_syr2k_her2k_kernelIlLb0ELb1ELb1ELi32E19rocblas_complex_numIfEPKPKS1_PKPS1_EvbiT_T4_T5_S9_lSB_S9_lT6_S9_li,@function
_ZL26rocblas_syr2k_her2k_kernelIlLb0ELb1ELb1ELi32E19rocblas_complex_numIfEPKPKS1_PKPS1_EvbiT_T4_T5_S9_lSB_S9_lT6_S9_li: ; @_ZL26rocblas_syr2k_her2k_kernelIlLb0ELb1ELb1ELi32E19rocblas_complex_numIfEPKPKS1_PKPS1_EvbiT_T4_T5_S9_lSB_S9_lT6_S9_li
; %bb.0:
	s_load_dwordx2 s[10:11], s[4:5], 0x10
	s_waitcnt lgkmcnt(0)
	v_cmp_eq_f32_e64 s[0:1], s10, 0
	v_cmp_eq_f32_e64 s[2:3], s11, 0
	s_and_b64 s[0:1], s[0:1], s[2:3]
	s_and_b64 vcc, exec, s[0:1]
	s_cbranch_vccnz .LBB1695_13
; %bb.1:
	s_load_dwordx2 s[28:29], s[4:5], 0x0
	s_lshl_b32 s30, s7, 5
	s_lshl_b32 s31, s6, 5
	s_waitcnt lgkmcnt(0)
	s_and_b32 s0, 1, s28
	s_cmp_eq_u32 s0, 1
	s_cselect_b64 s[0:1], -1, 0
	s_and_b64 s[2:3], s[0:1], exec
	s_cselect_b32 s2, s31, s30
	s_cselect_b32 s3, s30, s31
	s_cmp_gt_i32 s2, s3
	s_cbranch_scc1 .LBB1695_13
; %bb.2:
	s_load_dwordx16 s[12:27], s[4:5], 0x18
	s_load_dwordx2 s[6:7], s[4:5], 0x8
	s_load_dwordx2 s[34:35], s[4:5], 0x58
	s_mov_b32 s9, 0
	s_lshl_b64 s[2:3], s[8:9], 3
	s_waitcnt lgkmcnt(0)
	s_add_u32 s4, s24, s2
	s_addc_u32 s5, s25, s3
	s_load_dwordx2 s[4:5], s[4:5], 0x0
	v_cmp_lt_i64_e64 s[8:9], s[6:7], 1
	s_lshl_b64 s[24:25], s[34:35], 3
	v_add_u32_e32 v10, s31, v0
	v_add_u32_e32 v12, s30, v1
	s_waitcnt lgkmcnt(0)
	s_add_u32 s24, s4, s24
	s_addc_u32 s25, s5, s25
	s_and_b64 vcc, exec, s[8:9]
	v_ashrrev_i32_e32 v19, 31, v10
	s_cbranch_vccnz .LBB1695_11
; %bb.3:
	s_add_u32 s4, s12, s2
	s_addc_u32 s5, s13, s3
	v_ashrrev_i32_e32 v2, 31, v12
	s_load_dwordx2 s[12:13], s[4:5], 0x0
	v_mul_lo_u32 v8, s27, v12
	v_mul_lo_u32 v9, s26, v2
	v_mad_u64_u32 v[2:3], s[4:5], s26, v12, 0
	v_cndmask_b32_e64 v4, v10, v12, s[0:1]
	v_cndmask_b32_e64 v5, v12, v10, s[0:1]
	v_max_i32_e32 v6, v10, v12
	s_add_u32 s2, s18, s2
	v_cmp_gt_i32_e32 vcc, s29, v6
	v_cmp_le_i32_e64 s[4:5], v5, v4
	s_addc_u32 s3, s19, s3
	s_and_b64 s[8:9], s[4:5], vcc
	v_add3_u32 v3, v3, v9, v8
	v_mad_u64_u32 v[4:5], s[4:5], s20, v12, 0
	v_lshlrev_b64 v[2:3], 3, v[2:3]
	s_load_dwordx2 s[18:19], s[2:3], 0x0
	s_ashr_i32 s3, s29, 31
	s_mov_b32 s2, s29
	v_mov_b32_e32 v11, 0
	v_mov_b32_e32 v6, s25
	v_add_co_u32_e32 v8, vcc, s24, v2
	v_cmp_gt_i64_e64 s[0:1], s[2:3], v[10:11]
	v_mov_b32_e32 v13, v11
	v_mov_b32_e32 v11, v19
	v_addc_co_u32_e32 v9, vcc, v6, v3, vcc
	v_mad_u64_u32 v[5:6], s[4:5], s21, v12, v[5:6]
	v_lshlrev_b64 v[2:3], 3, v[10:11]
	v_cmp_gt_i64_e64 s[2:3], s[2:3], v[12:13]
	v_add_co_u32_e32 v13, vcc, v8, v2
	v_addc_co_u32_e32 v14, vcc, v9, v3, vcc
	v_lshlrev_b64 v[2:3], 3, v[4:5]
	s_lshl_b64 s[4:5], s[22:23], 3
	v_mov_b32_e32 v4, s5
	v_add_co_u32_e32 v5, vcc, s4, v2
	v_addc_co_u32_e32 v4, vcc, v3, v4, vcc
	v_mad_u64_u32 v[2:3], s[4:5], s14, v10, 0
	v_lshlrev_b32_e32 v6, 3, v0
	v_add_co_u32_e32 v5, vcc, v5, v6
	v_addc_co_u32_e32 v6, vcc, 0, v4, vcc
	v_mad_u64_u32 v[3:4], s[4:5], s15, v10, v[3:4]
	s_waitcnt lgkmcnt(0)
	v_mov_b32_e32 v8, s19
	v_add_co_u32_e32 v15, vcc, s18, v5
	v_lshlrev_b64 v[2:3], 3, v[2:3]
	v_addc_co_u32_e32 v16, vcc, v8, v6, vcc
	s_lshl_b64 s[4:5], s[16:17], 3
	v_mov_b32_e32 v4, s5
	v_add_co_u32_e32 v2, vcc, s4, v2
	v_lshlrev_b32_e32 v7, 3, v1
	v_addc_co_u32_e32 v3, vcc, v3, v4, vcc
	v_add_co_u32_e32 v2, vcc, v2, v7
	v_addc_co_u32_e32 v3, vcc, 0, v3, vcc
	v_lshlrev_b32_e32 v20, 8, v0
	v_or_b32_e32 v22, 0x2000, v7
	v_mov_b32_e32 v4, s13
	v_add_co_u32_e32 v17, vcc, s12, v2
	v_add_u32_e32 v21, v20, v7
	v_addc_co_u32_e32 v18, vcc, v4, v3, vcc
	s_mov_b64 s[12:13], 0
	v_add_u32_e32 v11, 0x800, v22
	v_add_u32_e32 v23, 0x1000, v22
	;; [unrolled: 1-line block ×3, first 2 shown]
	s_branch .LBB1695_5
.LBB1695_4:                             ;   in Loop: Header=BB1695_5 Depth=1
	s_or_b64 exec, exec, s[4:5]
	s_add_u32 s12, s12, 32
	v_add_co_u32_e32 v15, vcc, 0x100, v15
	v_mov_b32_e32 v2, s6
	s_addc_u32 s13, s13, 0
	v_addc_co_u32_e32 v16, vcc, 0, v16, vcc
	v_mov_b32_e32 v3, s7
	v_add_co_u32_e32 v17, vcc, 0x100, v17
	v_cmp_ge_i64_e64 s[4:5], s[12:13], v[2:3]
	v_addc_co_u32_e32 v18, vcc, 0, v18, vcc
	s_and_b64 vcc, exec, s[4:5]
	s_waitcnt vmcnt(0) lgkmcnt(0)
	s_barrier
	s_cbranch_vccnz .LBB1695_11
.LBB1695_5:                             ; =>This Inner Loop Header: Depth=1
	v_mov_b32_e32 v3, s13
	v_add_co_u32_e32 v2, vcc, s12, v1
	v_addc_co_u32_e32 v3, vcc, 0, v3, vcc
	v_cmp_gt_i64_e32 vcc, s[6:7], v[2:3]
	v_mov_b32_e32 v2, 0
	s_and_b64 s[14:15], s[0:1], vcc
	v_mov_b32_e32 v3, 0
	v_mov_b32_e32 v4, 0
	s_and_saveexec_b64 s[4:5], s[14:15]
	s_cbranch_execz .LBB1695_7
; %bb.6:                                ;   in Loop: Header=BB1695_5 Depth=1
	flat_load_dwordx2 v[3:4], v[17:18]
	s_waitcnt vmcnt(0) lgkmcnt(0)
	v_xor_b32_e32 v4, 0x80000000, v4
.LBB1695_7:                             ;   in Loop: Header=BB1695_5 Depth=1
	s_or_b64 exec, exec, s[4:5]
	v_mov_b32_e32 v6, s13
	v_add_co_u32_e32 v5, vcc, s12, v0
	v_addc_co_u32_e32 v6, vcc, 0, v6, vcc
	v_cmp_gt_i64_e32 vcc, s[6:7], v[5:6]
	ds_write_b64 v21, v[3:4]
	s_and_b64 s[14:15], s[2:3], vcc
	v_mov_b32_e32 v3, 0
	s_and_saveexec_b64 s[4:5], s[14:15]
	s_cbranch_execz .LBB1695_9
; %bb.8:                                ;   in Loop: Header=BB1695_5 Depth=1
	flat_load_dwordx2 v[2:3], v[15:16]
.LBB1695_9:                             ;   in Loop: Header=BB1695_5 Depth=1
	s_or_b64 exec, exec, s[4:5]
	v_add_u32_e32 v4, v22, v20
	s_waitcnt vmcnt(0) lgkmcnt(0)
	ds_write_b64 v4, v[2:3]
	s_waitcnt lgkmcnt(0)
	s_barrier
	s_and_saveexec_b64 s[4:5], s[8:9]
	s_cbranch_execz .LBB1695_4
; %bb.10:                               ;   in Loop: Header=BB1695_5 Depth=1
	ds_read2_b64 v[2:5], v22 offset1:32
	ds_read_b128 v[6:9], v20
	ds_read_b128 v[25:28], v20 offset:16
	s_waitcnt lgkmcnt(1)
	v_mul_f32_e32 v29, v3, v7
	v_fma_f32 v34, v2, v6, -v29
	ds_read2_b64 v[29:32], v22 offset0:64 offset1:96
	v_mul_f32_e32 v33, v2, v7
	v_mul_f32_e32 v2, v5, v9
	v_fma_f32 v35, v4, v8, -v2
	v_fmac_f32_e32 v33, v3, v6
	s_waitcnt lgkmcnt(0)
	v_mul_f32_e32 v2, v30, v26
	v_mul_f32_e32 v36, v4, v9
	v_fma_f32 v37, v29, v25, -v2
	v_mul_f32_e32 v29, v29, v26
	v_mul_f32_e32 v2, v32, v28
	v_fmac_f32_e32 v36, v5, v8
	v_fmac_f32_e32 v29, v30, v25
	v_fma_f32 v30, v31, v27, -v2
	v_mul_f32_e32 v31, v31, v28
	v_add_f32_e32 v25, 0, v34
	v_add_f32_e32 v26, 0, v33
	v_fmac_f32_e32 v31, v32, v27
	ds_read_b128 v[2:5], v20 offset:32
	ds_read_b128 v[6:9], v20 offset:48
	v_add_f32_e32 v32, v25, v35
	v_add_f32_e32 v33, v26, v36
	ds_read2_b64 v[25:28], v22 offset0:128 offset1:160
	v_add_f32_e32 v29, v33, v29
	v_add_f32_e32 v29, v29, v31
	;; [unrolled: 1-line block ×4, first 2 shown]
	s_waitcnt lgkmcnt(0)
	v_mul_f32_e32 v31, v26, v3
	v_fma_f32 v31, v25, v2, -v31
	v_mul_f32_e32 v25, v25, v3
	v_fmac_f32_e32 v25, v26, v2
	v_mul_f32_e32 v2, v28, v5
	v_fma_f32 v26, v27, v4, -v2
	v_mul_f32_e32 v27, v27, v5
	v_fmac_f32_e32 v27, v28, v4
	ds_read2_b64 v[2:5], v22 offset0:192 offset1:224
	v_add_f32_e32 v25, v29, v25
	v_add_f32_e32 v28, v30, v31
	;; [unrolled: 1-line block ×4, first 2 shown]
	s_waitcnt lgkmcnt(0)
	v_mul_f32_e32 v25, v3, v7
	v_fma_f32 v25, v2, v6, -v25
	v_mul_f32_e32 v7, v2, v7
	v_mul_f32_e32 v2, v5, v9
	;; [unrolled: 1-line block ×3, first 2 shown]
	v_fmac_f32_e32 v7, v3, v6
	v_add_f32_e32 v6, v26, v25
	v_fma_f32 v30, v4, v8, -v2
	ds_read_b128 v[25:28], v20 offset:64
	v_fmac_f32_e32 v9, v5, v8
	ds_read2_b64 v[2:5], v11 offset1:32
	v_add_f32_e32 v7, v29, v7
	v_add_f32_e32 v29, v6, v30
	;; [unrolled: 1-line block ×3, first 2 shown]
	ds_read_b128 v[6:9], v20 offset:80
	s_waitcnt lgkmcnt(1)
	v_mul_f32_e32 v31, v3, v26
	v_fma_f32 v31, v2, v25, -v31
	v_mul_f32_e32 v26, v2, v26
	v_mul_f32_e32 v2, v5, v28
	;; [unrolled: 1-line block ×3, first 2 shown]
	v_fmac_f32_e32 v26, v3, v25
	v_fma_f32 v25, v4, v27, -v2
	v_fmac_f32_e32 v28, v5, v27
	ds_read2_b64 v[2:5], v11 offset0:64 offset1:96
	v_add_f32_e32 v26, v30, v26
	v_add_f32_e32 v27, v29, v31
	;; [unrolled: 1-line block ×4, first 2 shown]
	s_waitcnt lgkmcnt(0)
	v_mul_f32_e32 v26, v3, v7
	v_fma_f32 v26, v2, v6, -v26
	v_mul_f32_e32 v7, v2, v7
	v_mul_f32_e32 v2, v5, v9
	;; [unrolled: 1-line block ×3, first 2 shown]
	v_fmac_f32_e32 v7, v3, v6
	v_add_f32_e32 v6, v25, v26
	v_fma_f32 v30, v4, v8, -v2
	ds_read_b128 v[25:28], v20 offset:96
	v_fmac_f32_e32 v9, v5, v8
	ds_read2_b64 v[2:5], v11 offset0:128 offset1:160
	v_add_f32_e32 v7, v29, v7
	v_add_f32_e32 v29, v6, v30
	;; [unrolled: 1-line block ×3, first 2 shown]
	ds_read_b128 v[6:9], v20 offset:112
	s_waitcnt lgkmcnt(1)
	v_mul_f32_e32 v31, v3, v26
	v_fma_f32 v31, v2, v25, -v31
	v_mul_f32_e32 v26, v2, v26
	v_mul_f32_e32 v2, v5, v28
	;; [unrolled: 1-line block ×3, first 2 shown]
	v_fmac_f32_e32 v26, v3, v25
	v_fma_f32 v25, v4, v27, -v2
	v_fmac_f32_e32 v28, v5, v27
	ds_read2_b64 v[2:5], v11 offset0:192 offset1:224
	v_add_f32_e32 v26, v30, v26
	v_add_f32_e32 v27, v29, v31
	;; [unrolled: 1-line block ×4, first 2 shown]
	s_waitcnt lgkmcnt(0)
	v_mul_f32_e32 v26, v3, v7
	v_fma_f32 v26, v2, v6, -v26
	v_mul_f32_e32 v7, v2, v7
	v_mul_f32_e32 v2, v5, v9
	;; [unrolled: 1-line block ×3, first 2 shown]
	v_fmac_f32_e32 v7, v3, v6
	v_add_f32_e32 v6, v25, v26
	v_fma_f32 v30, v4, v8, -v2
	ds_read_b128 v[25:28], v20 offset:128
	v_fmac_f32_e32 v9, v5, v8
	ds_read2_b64 v[2:5], v23 offset1:32
	v_add_f32_e32 v7, v29, v7
	v_add_f32_e32 v29, v6, v30
	;; [unrolled: 1-line block ×3, first 2 shown]
	ds_read_b128 v[6:9], v20 offset:144
	s_waitcnt lgkmcnt(1)
	v_mul_f32_e32 v31, v3, v26
	v_fma_f32 v31, v2, v25, -v31
	v_mul_f32_e32 v2, v2, v26
	v_fmac_f32_e32 v2, v3, v25
	v_mul_f32_e32 v3, v5, v28
	v_fma_f32 v3, v4, v27, -v3
	v_mul_f32_e32 v4, v4, v28
	v_fmac_f32_e32 v4, v5, v27
	ds_read2_b64 v[25:28], v23 offset0:64 offset1:96
	v_add_f32_e32 v2, v30, v2
	v_add_f32_e32 v30, v2, v4
	;; [unrolled: 1-line block ×4, first 2 shown]
	s_waitcnt lgkmcnt(0)
	v_mul_f32_e32 v2, v26, v7
	v_fma_f32 v31, v25, v6, -v2
	v_mul_f32_e32 v25, v25, v7
	v_mul_f32_e32 v2, v28, v9
	v_fmac_f32_e32 v25, v26, v6
	v_fma_f32 v26, v27, v8, -v2
	v_mul_f32_e32 v27, v27, v9
	ds_read_b128 v[2:5], v20 offset:160
	v_fmac_f32_e32 v27, v28, v8
	ds_read2_b64 v[6:9], v23 offset0:128 offset1:160
	v_add_f32_e32 v28, v29, v31
	v_add_f32_e32 v29, v30, v25
	;; [unrolled: 1-line block ×4, first 2 shown]
	ds_read_b128 v[27:30], v20 offset:176
	s_waitcnt lgkmcnt(1)
	v_mul_f32_e32 v31, v7, v3
	v_fma_f32 v33, v6, v2, -v31
	flat_load_dwordx2 v[31:32], v[13:14]
	v_mul_f32_e32 v6, v6, v3
	v_fmac_f32_e32 v6, v7, v2
	v_mul_f32_e32 v2, v9, v5
	v_fma_f32 v7, v8, v4, -v2
	v_mul_f32_e32 v8, v8, v5
	v_fmac_f32_e32 v8, v9, v4
	ds_read2_b64 v[2:5], v23 offset0:192 offset1:224
	v_add_f32_e32 v6, v26, v6
	v_add_f32_e32 v26, v6, v8
	;; [unrolled: 1-line block ×4, first 2 shown]
	s_waitcnt lgkmcnt(0)
	v_mul_f32_e32 v6, v3, v28
	v_fma_f32 v33, v2, v27, -v6
	v_mul_f32_e32 v28, v2, v28
	v_mul_f32_e32 v2, v5, v30
	;; [unrolled: 1-line block ×3, first 2 shown]
	v_fmac_f32_e32 v28, v3, v27
	v_fma_f32 v27, v4, v29, -v2
	v_fmac_f32_e32 v30, v5, v29
	ds_read_b128 v[2:5], v20 offset:192
	ds_read2_b64 v[6:9], v24 offset1:32
	v_add_f32_e32 v25, v25, v33
	v_add_f32_e32 v26, v26, v28
	;; [unrolled: 1-line block ×4, first 2 shown]
	s_waitcnt lgkmcnt(0)
	v_mul_f32_e32 v33, v7, v3
	v_fma_f32 v33, v6, v2, -v33
	v_mul_f32_e32 v6, v6, v3
	v_fmac_f32_e32 v6, v7, v2
	v_mul_f32_e32 v2, v9, v5
	v_fma_f32 v7, v8, v4, -v2
	v_mul_f32_e32 v8, v8, v5
	ds_read_b128 v[25:28], v20 offset:208
	v_fmac_f32_e32 v8, v9, v4
	ds_read2_b64 v[2:5], v24 offset0:64 offset1:96
	v_add_f32_e32 v6, v30, v6
	v_add_f32_e32 v30, v6, v8
	;; [unrolled: 1-line block ×4, first 2 shown]
	s_waitcnt lgkmcnt(0)
	v_mul_f32_e32 v6, v3, v26
	v_fma_f32 v33, v2, v25, -v6
	v_mul_f32_e32 v26, v2, v26
	v_mul_f32_e32 v2, v5, v28
	;; [unrolled: 1-line block ×3, first 2 shown]
	v_fmac_f32_e32 v26, v3, v25
	v_fma_f32 v25, v4, v27, -v2
	v_fmac_f32_e32 v28, v5, v27
	ds_read_b128 v[2:5], v20 offset:224
	ds_read2_b64 v[6:9], v24 offset0:128 offset1:160
	v_add_f32_e32 v27, v29, v33
	v_add_f32_e32 v26, v30, v26
	;; [unrolled: 1-line block ×4, first 2 shown]
	s_waitcnt lgkmcnt(0)
	v_mul_f32_e32 v33, v7, v3
	v_fma_f32 v33, v6, v2, -v33
	v_mul_f32_e32 v6, v6, v3
	v_fmac_f32_e32 v6, v7, v2
	v_mul_f32_e32 v2, v9, v5
	v_fma_f32 v7, v8, v4, -v2
	v_mul_f32_e32 v8, v8, v5
	ds_read_b128 v[25:28], v20 offset:240
	v_fmac_f32_e32 v8, v9, v4
	ds_read2_b64 v[2:5], v24 offset0:192 offset1:224
	v_add_f32_e32 v6, v30, v6
	v_add_f32_e32 v6, v6, v8
	;; [unrolled: 1-line block ×4, first 2 shown]
	s_waitcnt lgkmcnt(0)
	v_mul_f32_e32 v8, v3, v26
	v_fma_f32 v8, v2, v25, -v8
	v_mul_f32_e32 v2, v2, v26
	v_fmac_f32_e32 v2, v3, v25
	v_add_f32_e32 v2, v6, v2
	v_mul_f32_e32 v6, v5, v28
	v_fma_f32 v6, v4, v27, -v6
	v_mul_f32_e32 v4, v4, v28
	v_fmac_f32_e32 v4, v5, v27
	v_add_f32_e32 v3, v7, v8
	v_add_f32_e32 v2, v2, v4
	;; [unrolled: 1-line block ×3, first 2 shown]
	v_mul_f32_e32 v4, s11, v2
	v_mul_f32_e32 v5, s10, v2
	v_fma_f32 v4, s10, v3, -v4
	v_fmac_f32_e32 v5, s11, v3
	s_waitcnt vmcnt(0)
	v_add_f32_e32 v2, v31, v4
	v_add_f32_e32 v3, v32, v5
	flat_store_dwordx2 v[13:14], v[2:3]
	s_branch .LBB1695_4
.LBB1695_11:
	v_cmp_eq_u32_e32 vcc, v10, v12
	v_cmp_gt_i32_e64 s[0:1], s29, v10
	s_and_b64 s[0:1], vcc, s[0:1]
	s_and_saveexec_b64 s[2:3], s[0:1]
	s_cbranch_execz .LBB1695_13
; %bb.12:
	v_mul_lo_u32 v2, s27, v10
	v_mul_lo_u32 v3, s26, v19
	v_mad_u64_u32 v[0:1], s[0:1], s26, v10, 0
	v_mov_b32_e32 v11, v19
	v_add3_u32 v1, v1, v3, v2
	v_lshlrev_b64 v[0:1], 3, v[0:1]
	v_mov_b32_e32 v2, s25
	v_add_co_u32_e32 v3, vcc, s24, v0
	v_addc_co_u32_e32 v2, vcc, v2, v1, vcc
	v_lshlrev_b64 v[0:1], 3, v[10:11]
	v_add_co_u32_e32 v0, vcc, v3, v0
	v_addc_co_u32_e32 v1, vcc, v2, v1, vcc
	v_mov_b32_e32 v2, 0
	flat_store_dword v[0:1], v2 offset:4
.LBB1695_13:
	s_endpgm
	.section	.rodata,"a",@progbits
	.p2align	6, 0x0
	.amdhsa_kernel _ZL26rocblas_syr2k_her2k_kernelIlLb0ELb1ELb1ELi32E19rocblas_complex_numIfEPKPKS1_PKPS1_EvbiT_T4_T5_S9_lSB_S9_lT6_S9_li
		.amdhsa_group_segment_fixed_size 16384
		.amdhsa_private_segment_fixed_size 0
		.amdhsa_kernarg_size 100
		.amdhsa_user_sgpr_count 6
		.amdhsa_user_sgpr_private_segment_buffer 1
		.amdhsa_user_sgpr_dispatch_ptr 0
		.amdhsa_user_sgpr_queue_ptr 0
		.amdhsa_user_sgpr_kernarg_segment_ptr 1
		.amdhsa_user_sgpr_dispatch_id 0
		.amdhsa_user_sgpr_flat_scratch_init 0
		.amdhsa_user_sgpr_private_segment_size 0
		.amdhsa_uses_dynamic_stack 0
		.amdhsa_system_sgpr_private_segment_wavefront_offset 0
		.amdhsa_system_sgpr_workgroup_id_x 1
		.amdhsa_system_sgpr_workgroup_id_y 1
		.amdhsa_system_sgpr_workgroup_id_z 1
		.amdhsa_system_sgpr_workgroup_info 0
		.amdhsa_system_vgpr_workitem_id 1
		.amdhsa_next_free_vgpr 38
		.amdhsa_next_free_sgpr 61
		.amdhsa_reserve_vcc 1
		.amdhsa_reserve_flat_scratch 0
		.amdhsa_float_round_mode_32 0
		.amdhsa_float_round_mode_16_64 0
		.amdhsa_float_denorm_mode_32 3
		.amdhsa_float_denorm_mode_16_64 3
		.amdhsa_dx10_clamp 1
		.amdhsa_ieee_mode 1
		.amdhsa_fp16_overflow 0
		.amdhsa_exception_fp_ieee_invalid_op 0
		.amdhsa_exception_fp_denorm_src 0
		.amdhsa_exception_fp_ieee_div_zero 0
		.amdhsa_exception_fp_ieee_overflow 0
		.amdhsa_exception_fp_ieee_underflow 0
		.amdhsa_exception_fp_ieee_inexact 0
		.amdhsa_exception_int_div_zero 0
	.end_amdhsa_kernel
	.section	.text._ZL26rocblas_syr2k_her2k_kernelIlLb0ELb1ELb1ELi32E19rocblas_complex_numIfEPKPKS1_PKPS1_EvbiT_T4_T5_S9_lSB_S9_lT6_S9_li,"axG",@progbits,_ZL26rocblas_syr2k_her2k_kernelIlLb0ELb1ELb1ELi32E19rocblas_complex_numIfEPKPKS1_PKPS1_EvbiT_T4_T5_S9_lSB_S9_lT6_S9_li,comdat
.Lfunc_end1695:
	.size	_ZL26rocblas_syr2k_her2k_kernelIlLb0ELb1ELb1ELi32E19rocblas_complex_numIfEPKPKS1_PKPS1_EvbiT_T4_T5_S9_lSB_S9_lT6_S9_li, .Lfunc_end1695-_ZL26rocblas_syr2k_her2k_kernelIlLb0ELb1ELb1ELi32E19rocblas_complex_numIfEPKPKS1_PKPS1_EvbiT_T4_T5_S9_lSB_S9_lT6_S9_li
                                        ; -- End function
	.set _ZL26rocblas_syr2k_her2k_kernelIlLb0ELb1ELb1ELi32E19rocblas_complex_numIfEPKPKS1_PKPS1_EvbiT_T4_T5_S9_lSB_S9_lT6_S9_li.num_vgpr, 38
	.set _ZL26rocblas_syr2k_her2k_kernelIlLb0ELb1ELb1ELi32E19rocblas_complex_numIfEPKPKS1_PKPS1_EvbiT_T4_T5_S9_lSB_S9_lT6_S9_li.num_agpr, 0
	.set _ZL26rocblas_syr2k_her2k_kernelIlLb0ELb1ELb1ELi32E19rocblas_complex_numIfEPKPKS1_PKPS1_EvbiT_T4_T5_S9_lSB_S9_lT6_S9_li.numbered_sgpr, 36
	.set _ZL26rocblas_syr2k_her2k_kernelIlLb0ELb1ELb1ELi32E19rocblas_complex_numIfEPKPKS1_PKPS1_EvbiT_T4_T5_S9_lSB_S9_lT6_S9_li.num_named_barrier, 0
	.set _ZL26rocblas_syr2k_her2k_kernelIlLb0ELb1ELb1ELi32E19rocblas_complex_numIfEPKPKS1_PKPS1_EvbiT_T4_T5_S9_lSB_S9_lT6_S9_li.private_seg_size, 0
	.set _ZL26rocblas_syr2k_her2k_kernelIlLb0ELb1ELb1ELi32E19rocblas_complex_numIfEPKPKS1_PKPS1_EvbiT_T4_T5_S9_lSB_S9_lT6_S9_li.uses_vcc, 1
	.set _ZL26rocblas_syr2k_her2k_kernelIlLb0ELb1ELb1ELi32E19rocblas_complex_numIfEPKPKS1_PKPS1_EvbiT_T4_T5_S9_lSB_S9_lT6_S9_li.uses_flat_scratch, 0
	.set _ZL26rocblas_syr2k_her2k_kernelIlLb0ELb1ELb1ELi32E19rocblas_complex_numIfEPKPKS1_PKPS1_EvbiT_T4_T5_S9_lSB_S9_lT6_S9_li.has_dyn_sized_stack, 0
	.set _ZL26rocblas_syr2k_her2k_kernelIlLb0ELb1ELb1ELi32E19rocblas_complex_numIfEPKPKS1_PKPS1_EvbiT_T4_T5_S9_lSB_S9_lT6_S9_li.has_recursion, 0
	.set _ZL26rocblas_syr2k_her2k_kernelIlLb0ELb1ELb1ELi32E19rocblas_complex_numIfEPKPKS1_PKPS1_EvbiT_T4_T5_S9_lSB_S9_lT6_S9_li.has_indirect_call, 0
	.section	.AMDGPU.csdata,"",@progbits
; Kernel info:
; codeLenInByte = 2140
; TotalNumSgprs: 40
; NumVgprs: 38
; ScratchSize: 0
; MemoryBound: 0
; FloatMode: 240
; IeeeMode: 1
; LDSByteSize: 16384 bytes/workgroup (compile time only)
; SGPRBlocks: 8
; VGPRBlocks: 9
; NumSGPRsForWavesPerEU: 65
; NumVGPRsForWavesPerEU: 38
; Occupancy: 6
; WaveLimiterHint : 1
; COMPUTE_PGM_RSRC2:SCRATCH_EN: 0
; COMPUTE_PGM_RSRC2:USER_SGPR: 6
; COMPUTE_PGM_RSRC2:TRAP_HANDLER: 0
; COMPUTE_PGM_RSRC2:TGID_X_EN: 1
; COMPUTE_PGM_RSRC2:TGID_Y_EN: 1
; COMPUTE_PGM_RSRC2:TGID_Z_EN: 1
; COMPUTE_PGM_RSRC2:TIDIG_COMP_CNT: 1
	.section	.text._ZL37rocblas_syrkx_herkx_restricted_kernelIl19rocblas_complex_numIfELi16ELi32ELi8ELi1ELi1ELb1ELc84ELc76EKPKS1_KPS1_EviT_PT9_S7_lS9_S7_lPT10_S7_li,"axG",@progbits,_ZL37rocblas_syrkx_herkx_restricted_kernelIl19rocblas_complex_numIfELi16ELi32ELi8ELi1ELi1ELb1ELc84ELc76EKPKS1_KPS1_EviT_PT9_S7_lS9_S7_lPT10_S7_li,comdat
	.globl	_ZL37rocblas_syrkx_herkx_restricted_kernelIl19rocblas_complex_numIfELi16ELi32ELi8ELi1ELi1ELb1ELc84ELc76EKPKS1_KPS1_EviT_PT9_S7_lS9_S7_lPT10_S7_li ; -- Begin function _ZL37rocblas_syrkx_herkx_restricted_kernelIl19rocblas_complex_numIfELi16ELi32ELi8ELi1ELi1ELb1ELc84ELc76EKPKS1_KPS1_EviT_PT9_S7_lS9_S7_lPT10_S7_li
	.p2align	8
	.type	_ZL37rocblas_syrkx_herkx_restricted_kernelIl19rocblas_complex_numIfELi16ELi32ELi8ELi1ELi1ELb1ELc84ELc76EKPKS1_KPS1_EviT_PT9_S7_lS9_S7_lPT10_S7_li,@function
_ZL37rocblas_syrkx_herkx_restricted_kernelIl19rocblas_complex_numIfELi16ELi32ELi8ELi1ELi1ELb1ELc84ELc76EKPKS1_KPS1_EviT_PT9_S7_lS9_S7_lPT10_S7_li: ; @_ZL37rocblas_syrkx_herkx_restricted_kernelIl19rocblas_complex_numIfELi16ELi32ELi8ELi1ELi1ELb1ELc84ELc76EKPKS1_KPS1_EviT_PT9_S7_lS9_S7_lPT10_S7_li
; %bb.0:
	s_load_dwordx4 s[12:15], s[4:5], 0x40
	s_load_dwordx4 s[0:3], s[4:5], 0x8
	s_mov_b32 s9, 0
	s_lshl_b64 s[10:11], s[8:9], 3
	s_waitcnt lgkmcnt(0)
	s_add_u32 s8, s12, s10
	s_addc_u32 s9, s13, s11
	s_load_dwordx2 s[8:9], s[8:9], 0x0
	v_cmp_lt_i64_e64 s[12:13], s[0:1], 1
	s_lshl_b32 s6, s6, 5
	s_lshl_b32 s7, s7, 5
	s_and_b64 vcc, exec, s[12:13]
	s_cbranch_vccnz .LBB1696_3
; %bb.1:
	s_load_dwordx2 s[12:13], s[4:5], 0x18
	s_load_dwordx4 s[16:19], s[4:5], 0x28
	v_lshl_add_u32 v4, v1, 4, v0
	v_lshrrev_b32_e32 v6, 3, v4
	v_add_u32_e32 v2, s7, v6
	v_ashrrev_i32_e32 v3, 31, v2
	v_and_b32_e32 v9, 7, v0
	v_mov_b32_e32 v10, 0
	s_waitcnt lgkmcnt(0)
	v_mul_lo_u32 v5, s18, v3
	v_mul_lo_u32 v7, s19, v2
	v_mad_u64_u32 v[2:3], s[18:19], s18, v2, v[9:10]
	s_add_u32 s2, s2, s10
	s_addc_u32 s3, s3, s11
	v_add3_u32 v3, v7, v3, v5
	v_and_b32_e32 v7, 31, v4
	v_lshrrev_b32_e32 v4, 5, v4
	v_lshlrev_b32_e32 v8, 3, v7
	v_lshl_or_b32 v11, v4, 8, v8
	v_lshlrev_b32_e32 v8, 3, v9
	v_lshl_or_b32 v6, v6, 6, v8
	v_add_u32_e32 v12, 0x800, v6
	v_add_u32_e32 v6, s6, v7
	s_add_u32 s10, s16, s10
	v_mov_b32_e32 v5, v10
	v_ashrrev_i32_e32 v7, 31, v6
	s_addc_u32 s11, s17, s11
	v_mul_lo_u32 v7, s12, v7
	v_mad_u64_u32 v[4:5], s[16:17], s12, v6, v[4:5]
	v_mul_lo_u32 v6, s13, v6
	s_load_dwordx2 s[2:3], s[2:3], 0x0
	v_lshlrev_b64 v[2:3], 3, v[2:3]
	s_load_dwordx2 s[10:11], s[10:11], 0x0
	v_add3_u32 v5, v6, v5, v7
	v_lshlrev_b64 v[4:5], 3, v[4:5]
	s_waitcnt lgkmcnt(0)
	v_mov_b32_e32 v7, s3
	v_add_co_u32_e32 v6, vcc, s2, v4
	v_mov_b32_e32 v8, 0x800
	v_addc_co_u32_e32 v7, vcc, v7, v5, vcc
	v_lshl_add_u32 v14, v1, 6, v8
	v_mov_b32_e32 v4, s11
	v_add_co_u32_e32 v8, vcc, s10, v2
	v_lshlrev_b32_e32 v13, 3, v0
	v_addc_co_u32_e32 v9, vcc, v4, v3, vcc
	s_mov_b64 s[2:3], 0
	v_mov_b32_e32 v15, v10
	v_mov_b32_e32 v16, v10
	v_mov_b32_e32 v17, v10
	v_mov_b32_e32 v18, v10
	v_mov_b32_e32 v19, v10
	v_mov_b32_e32 v21, v10
	v_mov_b32_e32 v20, v10
.LBB1696_2:                             ; =>This Inner Loop Header: Depth=1
	flat_load_dwordx2 v[2:3], v[6:7]
	v_add_co_u32_e32 v6, vcc, 64, v6
	s_add_u32 s2, s2, 8
	v_addc_co_u32_e32 v7, vcc, 0, v7, vcc
	s_addc_u32 s3, s3, 0
	s_waitcnt vmcnt(0) lgkmcnt(0)
	ds_write_b64 v11, v[2:3]
	flat_load_dwordx2 v[2:3], v[8:9]
	v_add_co_u32_e32 v8, vcc, 64, v8
	v_addc_co_u32_e32 v9, vcc, 0, v9, vcc
	s_waitcnt vmcnt(0) lgkmcnt(0)
	ds_write_b64 v12, v[2:3]
	s_waitcnt lgkmcnt(0)
	s_barrier
	ds_read_b128 v[22:25], v14
	ds_read_b128 v[26:29], v14 offset:16
	ds_read_b128 v[30:33], v14 offset:32
	;; [unrolled: 1-line block ×3, first 2 shown]
	ds_read2_b64 v[34:37], v13 offset1:16
	s_waitcnt lgkmcnt(0)
	v_mul_f32_e32 v38, v23, v35
	v_mul_f32_e32 v39, v22, v35
	v_fma_f32 v38, v22, v34, -v38
	v_fmac_f32_e32 v39, v23, v34
	v_add_f32_e32 v38, v20, v38
	v_add_f32_e32 v39, v21, v39
	v_mul_f32_e32 v20, v23, v37
	v_mul_f32_e32 v21, v22, v37
	v_fma_f32 v20, v22, v36, -v20
	v_fmac_f32_e32 v21, v23, v36
	v_add_f32_e32 v22, v19, v20
	v_add_f32_e32 v23, v18, v21
	ds_read_b128 v[18:21], v14 offset:1024
	s_waitcnt lgkmcnt(0)
	v_mul_f32_e32 v40, v19, v35
	v_mul_f32_e32 v35, v18, v35
	v_fma_f32 v40, v18, v34, -v40
	v_fmac_f32_e32 v35, v19, v34
	v_add_f32_e32 v34, v17, v40
	v_add_f32_e32 v35, v16, v35
	v_mul_f32_e32 v16, v19, v37
	v_mul_f32_e32 v17, v18, v37
	v_fma_f32 v16, v18, v36, -v16
	v_fmac_f32_e32 v17, v19, v36
	v_add_f32_e32 v19, v15, v16
	v_add_f32_e32 v10, v10, v17
	ds_read2_b64 v[15:18], v13 offset0:32 offset1:48
	s_waitcnt lgkmcnt(0)
	v_mul_f32_e32 v36, v25, v16
	v_fma_f32 v36, v24, v15, -v36
	v_add_f32_e32 v36, v38, v36
	v_mul_f32_e32 v38, v25, v18
	v_mul_f32_e32 v37, v24, v16
	v_fma_f32 v38, v24, v17, -v38
	v_mul_f32_e32 v24, v24, v18
	v_fmac_f32_e32 v24, v25, v17
	v_add_f32_e32 v23, v23, v24
	v_mul_f32_e32 v24, v21, v16
	v_mul_f32_e32 v16, v20, v16
	v_fmac_f32_e32 v16, v21, v15
	v_fmac_f32_e32 v37, v25, v15
	v_fma_f32 v24, v20, v15, -v24
	v_add_f32_e32 v25, v35, v16
	v_mul_f32_e32 v15, v21, v18
	v_mul_f32_e32 v16, v20, v18
	v_fma_f32 v15, v20, v17, -v15
	v_fmac_f32_e32 v16, v21, v17
	v_add_f32_e32 v24, v34, v24
	v_add_f32_e32 v34, v19, v15
	;; [unrolled: 1-line block ×3, first 2 shown]
	ds_read2_b64 v[15:18], v13 offset0:64 offset1:80
	v_add_f32_e32 v37, v39, v37
	v_add_f32_e32 v22, v22, v38
	s_waitcnt lgkmcnt(0)
	v_mul_f32_e32 v19, v27, v16
	v_mul_f32_e32 v20, v26, v16
	v_fma_f32 v19, v26, v15, -v19
	v_fmac_f32_e32 v20, v27, v15
	v_add_f32_e32 v35, v36, v19
	v_add_f32_e32 v36, v37, v20
	v_mul_f32_e32 v19, v27, v18
	v_mul_f32_e32 v20, v26, v18
	v_fma_f32 v19, v26, v17, -v19
	v_fmac_f32_e32 v20, v27, v17
	v_add_f32_e32 v26, v22, v19
	v_add_f32_e32 v23, v23, v20
	ds_read_b128 v[19:22], v14 offset:1040
	s_waitcnt lgkmcnt(0)
	v_mul_f32_e32 v27, v20, v16
	v_mul_f32_e32 v16, v19, v16
	v_fmac_f32_e32 v16, v20, v15
	v_fma_f32 v27, v19, v15, -v27
	v_add_f32_e32 v25, v25, v16
	v_mul_f32_e32 v15, v20, v18
	v_mul_f32_e32 v16, v19, v18
	v_fma_f32 v15, v19, v17, -v15
	v_fmac_f32_e32 v16, v20, v17
	v_add_f32_e32 v19, v34, v15
	v_add_f32_e32 v10, v10, v16
	ds_read2_b64 v[15:18], v13 offset0:96 offset1:112
	v_add_f32_e32 v24, v24, v27
	s_waitcnt lgkmcnt(0)
	v_mul_f32_e32 v20, v29, v16
	v_mul_f32_e32 v34, v29, v18
	v_fma_f32 v20, v28, v15, -v20
	v_mul_f32_e32 v27, v28, v16
	v_fma_f32 v34, v28, v17, -v34
	v_mul_f32_e32 v28, v28, v18
	v_fmac_f32_e32 v28, v29, v17
	v_add_f32_e32 v23, v23, v28
	v_mul_f32_e32 v28, v22, v16
	v_mul_f32_e32 v16, v21, v16
	v_fmac_f32_e32 v16, v22, v15
	v_fmac_f32_e32 v27, v29, v15
	v_fma_f32 v28, v21, v15, -v28
	v_add_f32_e32 v25, v25, v16
	v_mul_f32_e32 v15, v22, v18
	v_mul_f32_e32 v16, v21, v18
	v_fma_f32 v15, v21, v17, -v15
	v_fmac_f32_e32 v16, v22, v17
	v_add_f32_e32 v24, v24, v28
	v_add_f32_e32 v28, v19, v15
	;; [unrolled: 1-line block ×3, first 2 shown]
	ds_read2_b64 v[15:18], v13 offset0:128 offset1:144
	v_add_f32_e32 v20, v35, v20
	v_add_f32_e32 v27, v36, v27
	v_add_f32_e32 v26, v26, v34
	s_waitcnt lgkmcnt(0)
	v_mul_f32_e32 v19, v31, v16
	v_fma_f32 v19, v30, v15, -v19
	v_mul_f32_e32 v21, v30, v16
	v_add_f32_e32 v29, v20, v19
	v_mul_f32_e32 v19, v31, v18
	v_mul_f32_e32 v20, v30, v18
	v_fmac_f32_e32 v21, v31, v15
	v_fma_f32 v19, v30, v17, -v19
	v_fmac_f32_e32 v20, v31, v17
	v_add_f32_e32 v27, v27, v21
	v_add_f32_e32 v26, v26, v19
	;; [unrolled: 1-line block ×3, first 2 shown]
	ds_read_b128 v[19:22], v14 offset:1056
	s_waitcnt lgkmcnt(0)
	v_mul_f32_e32 v30, v20, v16
	v_mul_f32_e32 v16, v19, v16
	v_fmac_f32_e32 v16, v20, v15
	v_fma_f32 v30, v19, v15, -v30
	v_add_f32_e32 v25, v25, v16
	v_mul_f32_e32 v15, v20, v18
	v_mul_f32_e32 v16, v19, v18
	v_fma_f32 v15, v19, v17, -v15
	v_fmac_f32_e32 v16, v20, v17
	v_add_f32_e32 v19, v28, v15
	v_add_f32_e32 v10, v10, v16
	ds_read2_b64 v[15:18], v13 offset0:160 offset1:176
	v_add_f32_e32 v24, v24, v30
	s_waitcnt lgkmcnt(0)
	v_mul_f32_e32 v28, v32, v16
	v_fmac_f32_e32 v28, v33, v15
	v_add_f32_e32 v27, v27, v28
	v_mul_f32_e32 v28, v33, v18
	v_fma_f32 v28, v32, v17, -v28
	v_mul_f32_e32 v20, v33, v16
	v_add_f32_e32 v26, v26, v28
	v_mul_f32_e32 v28, v22, v16
	v_mul_f32_e32 v16, v21, v16
	v_fmac_f32_e32 v16, v22, v15
	v_fma_f32 v20, v32, v15, -v20
	v_fma_f32 v28, v21, v15, -v28
	v_add_f32_e32 v25, v25, v16
	v_mul_f32_e32 v15, v22, v18
	v_mul_f32_e32 v16, v21, v18
	v_add_f32_e32 v20, v29, v20
	v_mul_f32_e32 v29, v32, v18
	v_fma_f32 v15, v21, v17, -v15
	v_fmac_f32_e32 v16, v22, v17
	v_fmac_f32_e32 v29, v33, v17
	v_add_f32_e32 v19, v19, v15
	v_add_f32_e32 v10, v10, v16
	ds_read2_b64 v[15:18], v13 offset0:192 offset1:208
	v_add_f32_e32 v24, v24, v28
	v_add_f32_e32 v23, v23, v29
	s_waitcnt lgkmcnt(0)
	v_mul_f32_e32 v21, v3, v16
	v_fma_f32 v21, v2, v15, -v21
	v_add_f32_e32 v28, v20, v21
	v_mul_f32_e32 v20, v3, v18
	v_mul_f32_e32 v22, v2, v16
	v_fma_f32 v20, v2, v17, -v20
	v_mul_f32_e32 v2, v2, v18
	v_fmac_f32_e32 v22, v3, v15
	v_fmac_f32_e32 v2, v3, v17
	v_add_f32_e32 v29, v27, v22
	v_add_f32_e32 v3, v26, v20
	;; [unrolled: 1-line block ×3, first 2 shown]
	ds_read_b128 v[20:23], v14 offset:1072
	s_waitcnt lgkmcnt(0)
	v_mul_f32_e32 v26, v21, v16
	v_fma_f32 v26, v20, v15, -v26
	v_mul_f32_e32 v16, v20, v16
	v_fmac_f32_e32 v16, v21, v15
	v_add_f32_e32 v15, v24, v26
	v_mul_f32_e32 v24, v21, v18
	v_fma_f32 v24, v20, v17, -v24
	v_add_f32_e32 v16, v25, v16
	v_add_f32_e32 v30, v19, v24
	ds_read2_b64 v[24:27], v13 offset0:224 offset1:240
	v_mul_f32_e32 v18, v20, v18
	v_fmac_f32_e32 v18, v21, v17
	v_add_f32_e32 v10, v10, v18
	s_waitcnt lgkmcnt(0)
	v_mul_f32_e32 v17, v5, v25
	v_fma_f32 v17, v4, v24, -v17
	v_add_f32_e32 v20, v28, v17
	v_mul_f32_e32 v17, v5, v27
	v_mul_f32_e32 v18, v4, v25
	v_fma_f32 v17, v4, v26, -v17
	v_mul_f32_e32 v4, v4, v27
	v_fmac_f32_e32 v18, v5, v24
	v_fmac_f32_e32 v4, v5, v26
	v_add_f32_e32 v21, v29, v18
	v_add_f32_e32 v19, v3, v17
	;; [unrolled: 1-line block ×3, first 2 shown]
	v_mul_f32_e32 v2, v23, v25
	v_mul_f32_e32 v3, v22, v25
	v_fma_f32 v2, v22, v24, -v2
	v_fmac_f32_e32 v3, v23, v24
	v_add_f32_e32 v17, v15, v2
	v_add_f32_e32 v16, v16, v3
	v_mul_f32_e32 v2, v23, v27
	v_mul_f32_e32 v3, v22, v27
	v_fma_f32 v2, v22, v26, -v2
	v_fmac_f32_e32 v3, v23, v26
	v_add_f32_e32 v15, v30, v2
	v_add_f32_e32 v10, v10, v3
	v_mov_b32_e32 v2, s2
	v_mov_b32_e32 v3, s3
	v_cmp_le_u64_e32 vcc, s[0:1], v[2:3]
	s_barrier
	s_cbranch_vccz .LBB1696_2
	s_branch .LBB1696_4
.LBB1696_3:
	v_mov_b32_e32 v20, 0
	v_mov_b32_e32 v21, 0
	;; [unrolled: 1-line block ×8, first 2 shown]
.LBB1696_4:
	v_add_u32_e32 v5, s7, v1
	v_ashrrev_i32_e32 v1, 31, v5
	v_mul_lo_u32 v3, s14, v1
	v_mul_lo_u32 v4, s15, v5
	v_mad_u64_u32 v[1:2], s[0:1], s14, v5, 0
	s_load_dword s4, s[4:5], 0x0
	v_add_u32_e32 v0, s6, v0
	v_add3_u32 v2, v2, v3, v4
	v_lshlrev_b64 v[1:2], 3, v[1:2]
	s_waitcnt lgkmcnt(0)
	v_mov_b32_e32 v3, s9
	v_add_co_u32_e32 v4, vcc, s8, v1
	v_addc_co_u32_e32 v6, vcc, v3, v2, vcc
	v_cmp_le_i32_e64 s[0:1], v5, v0
	v_cmp_gt_i32_e32 vcc, s4, v0
	s_and_b64 s[0:1], s[0:1], vcc
	s_and_saveexec_b64 s[2:3], s[0:1]
	s_cbranch_execz .LBB1696_7
; %bb.5:
	v_ashrrev_i32_e32 v1, 31, v0
	v_lshlrev_b64 v[1:2], 3, v[0:1]
	v_add_co_u32_e64 v1, s[0:1], v4, v1
	v_addc_co_u32_e64 v2, s[0:1], v6, v2, s[0:1]
	flat_load_dwordx2 v[7:8], v[1:2]
	v_cmp_eq_u32_e64 s[0:1], v5, v0
	s_waitcnt vmcnt(0) lgkmcnt(0)
	v_add_f32_e32 v7, v20, v7
	v_add_f32_e32 v8, v21, v8
	flat_store_dwordx2 v[1:2], v[7:8]
	s_and_b64 exec, exec, s[0:1]
	s_cbranch_execz .LBB1696_7
; %bb.6:
	v_mov_b32_e32 v3, 0
	flat_store_dword v[1:2], v3 offset:4
.LBB1696_7:
	s_or_b64 exec, exec, s[2:3]
	v_add_u32_e32 v2, 16, v0
	v_cmp_le_i32_e64 s[2:3], v5, v2
	v_cmp_gt_i32_e64 s[0:1], s4, v2
	s_and_b64 s[2:3], s[2:3], s[0:1]
	s_and_saveexec_b64 s[4:5], s[2:3]
	s_cbranch_execz .LBB1696_10
; %bb.8:
	v_ashrrev_i32_e32 v3, 31, v2
	v_lshlrev_b64 v[7:8], 3, v[2:3]
	v_add_co_u32_e64 v3, s[2:3], v4, v7
	v_addc_co_u32_e64 v4, s[2:3], v6, v8, s[2:3]
	flat_load_dwordx2 v[6:7], v[3:4]
	v_cmp_eq_u32_e64 s[2:3], v5, v2
	s_waitcnt vmcnt(0) lgkmcnt(0)
	v_add_f32_e32 v6, v19, v6
	v_add_f32_e32 v7, v18, v7
	flat_store_dwordx2 v[3:4], v[6:7]
	s_and_b64 exec, exec, s[2:3]
	s_cbranch_execz .LBB1696_10
; %bb.9:
	v_mov_b32_e32 v1, 0
	flat_store_dword v[3:4], v1 offset:4
.LBB1696_10:
	s_or_b64 exec, exec, s[4:5]
	v_add_u32_e32 v6, 16, v5
	v_ashrrev_i32_e32 v1, 31, v6
	v_mul_lo_u32 v7, s15, v6
	v_mad_u64_u32 v[3:4], s[2:3], s14, v6, 0
	v_mul_lo_u32 v1, s14, v1
	v_add3_u32 v4, v4, v1, v7
	v_lshlrev_b64 v[3:4], 3, v[3:4]
	v_mov_b32_e32 v1, s9
	v_add_co_u32_e64 v7, s[2:3], s8, v3
	v_addc_co_u32_e64 v8, s[2:3], v1, v4, s[2:3]
	v_cmp_le_i32_e64 s[2:3], v6, v0
	s_and_b64 s[4:5], s[2:3], vcc
	s_and_saveexec_b64 s[2:3], s[4:5]
	s_cbranch_execz .LBB1696_13
; %bb.11:
	v_ashrrev_i32_e32 v1, 31, v0
	v_lshlrev_b64 v[3:4], 3, v[0:1]
	v_add_co_u32_e32 v3, vcc, v7, v3
	v_addc_co_u32_e32 v4, vcc, v8, v4, vcc
	flat_load_dwordx2 v[11:12], v[3:4]
	v_cmp_eq_u32_e32 vcc, v6, v0
	s_waitcnt vmcnt(0) lgkmcnt(0)
	v_add_f32_e32 v11, v17, v11
	v_add_f32_e32 v12, v16, v12
	flat_store_dwordx2 v[3:4], v[11:12]
	s_and_b64 exec, exec, vcc
	s_cbranch_execz .LBB1696_13
; %bb.12:
	v_mov_b32_e32 v1, 0
	flat_store_dword v[3:4], v1 offset:4
.LBB1696_13:
	s_or_b64 exec, exec, s[2:3]
	v_cmp_le_i32_e32 vcc, v6, v2
	s_and_b64 s[0:1], vcc, s[0:1]
	s_and_saveexec_b64 s[2:3], s[0:1]
	s_cbranch_execz .LBB1696_16
; %bb.14:
	v_ashrrev_i32_e32 v3, 31, v2
	v_lshlrev_b64 v[1:2], 3, v[2:3]
	v_add_co_u32_e32 v1, vcc, v7, v1
	v_addc_co_u32_e32 v2, vcc, v8, v2, vcc
	flat_load_dwordx2 v[3:4], v[1:2]
	v_cmp_eq_u32_e32 vcc, v5, v0
	s_waitcnt vmcnt(0) lgkmcnt(0)
	v_add_f32_e32 v3, v15, v3
	v_add_f32_e32 v4, v10, v4
	flat_store_dwordx2 v[1:2], v[3:4]
	s_and_b64 exec, exec, vcc
	s_cbranch_execz .LBB1696_16
; %bb.15:
	v_mov_b32_e32 v0, 0
	flat_store_dword v[1:2], v0 offset:4
.LBB1696_16:
	s_endpgm
	.section	.rodata,"a",@progbits
	.p2align	6, 0x0
	.amdhsa_kernel _ZL37rocblas_syrkx_herkx_restricted_kernelIl19rocblas_complex_numIfELi16ELi32ELi8ELi1ELi1ELb1ELc84ELc76EKPKS1_KPS1_EviT_PT9_S7_lS9_S7_lPT10_S7_li
		.amdhsa_group_segment_fixed_size 4096
		.amdhsa_private_segment_fixed_size 0
		.amdhsa_kernarg_size 92
		.amdhsa_user_sgpr_count 6
		.amdhsa_user_sgpr_private_segment_buffer 1
		.amdhsa_user_sgpr_dispatch_ptr 0
		.amdhsa_user_sgpr_queue_ptr 0
		.amdhsa_user_sgpr_kernarg_segment_ptr 1
		.amdhsa_user_sgpr_dispatch_id 0
		.amdhsa_user_sgpr_flat_scratch_init 0
		.amdhsa_user_sgpr_private_segment_size 0
		.amdhsa_uses_dynamic_stack 0
		.amdhsa_system_sgpr_private_segment_wavefront_offset 0
		.amdhsa_system_sgpr_workgroup_id_x 1
		.amdhsa_system_sgpr_workgroup_id_y 1
		.amdhsa_system_sgpr_workgroup_id_z 1
		.amdhsa_system_sgpr_workgroup_info 0
		.amdhsa_system_vgpr_workitem_id 1
		.amdhsa_next_free_vgpr 41
		.amdhsa_next_free_sgpr 20
		.amdhsa_reserve_vcc 1
		.amdhsa_reserve_flat_scratch 0
		.amdhsa_float_round_mode_32 0
		.amdhsa_float_round_mode_16_64 0
		.amdhsa_float_denorm_mode_32 3
		.amdhsa_float_denorm_mode_16_64 3
		.amdhsa_dx10_clamp 1
		.amdhsa_ieee_mode 1
		.amdhsa_fp16_overflow 0
		.amdhsa_exception_fp_ieee_invalid_op 0
		.amdhsa_exception_fp_denorm_src 0
		.amdhsa_exception_fp_ieee_div_zero 0
		.amdhsa_exception_fp_ieee_overflow 0
		.amdhsa_exception_fp_ieee_underflow 0
		.amdhsa_exception_fp_ieee_inexact 0
		.amdhsa_exception_int_div_zero 0
	.end_amdhsa_kernel
	.section	.text._ZL37rocblas_syrkx_herkx_restricted_kernelIl19rocblas_complex_numIfELi16ELi32ELi8ELi1ELi1ELb1ELc84ELc76EKPKS1_KPS1_EviT_PT9_S7_lS9_S7_lPT10_S7_li,"axG",@progbits,_ZL37rocblas_syrkx_herkx_restricted_kernelIl19rocblas_complex_numIfELi16ELi32ELi8ELi1ELi1ELb1ELc84ELc76EKPKS1_KPS1_EviT_PT9_S7_lS9_S7_lPT10_S7_li,comdat
.Lfunc_end1696:
	.size	_ZL37rocblas_syrkx_herkx_restricted_kernelIl19rocblas_complex_numIfELi16ELi32ELi8ELi1ELi1ELb1ELc84ELc76EKPKS1_KPS1_EviT_PT9_S7_lS9_S7_lPT10_S7_li, .Lfunc_end1696-_ZL37rocblas_syrkx_herkx_restricted_kernelIl19rocblas_complex_numIfELi16ELi32ELi8ELi1ELi1ELb1ELc84ELc76EKPKS1_KPS1_EviT_PT9_S7_lS9_S7_lPT10_S7_li
                                        ; -- End function
	.set _ZL37rocblas_syrkx_herkx_restricted_kernelIl19rocblas_complex_numIfELi16ELi32ELi8ELi1ELi1ELb1ELc84ELc76EKPKS1_KPS1_EviT_PT9_S7_lS9_S7_lPT10_S7_li.num_vgpr, 41
	.set _ZL37rocblas_syrkx_herkx_restricted_kernelIl19rocblas_complex_numIfELi16ELi32ELi8ELi1ELi1ELb1ELc84ELc76EKPKS1_KPS1_EviT_PT9_S7_lS9_S7_lPT10_S7_li.num_agpr, 0
	.set _ZL37rocblas_syrkx_herkx_restricted_kernelIl19rocblas_complex_numIfELi16ELi32ELi8ELi1ELi1ELb1ELc84ELc76EKPKS1_KPS1_EviT_PT9_S7_lS9_S7_lPT10_S7_li.numbered_sgpr, 20
	.set _ZL37rocblas_syrkx_herkx_restricted_kernelIl19rocblas_complex_numIfELi16ELi32ELi8ELi1ELi1ELb1ELc84ELc76EKPKS1_KPS1_EviT_PT9_S7_lS9_S7_lPT10_S7_li.num_named_barrier, 0
	.set _ZL37rocblas_syrkx_herkx_restricted_kernelIl19rocblas_complex_numIfELi16ELi32ELi8ELi1ELi1ELb1ELc84ELc76EKPKS1_KPS1_EviT_PT9_S7_lS9_S7_lPT10_S7_li.private_seg_size, 0
	.set _ZL37rocblas_syrkx_herkx_restricted_kernelIl19rocblas_complex_numIfELi16ELi32ELi8ELi1ELi1ELb1ELc84ELc76EKPKS1_KPS1_EviT_PT9_S7_lS9_S7_lPT10_S7_li.uses_vcc, 1
	.set _ZL37rocblas_syrkx_herkx_restricted_kernelIl19rocblas_complex_numIfELi16ELi32ELi8ELi1ELi1ELb1ELc84ELc76EKPKS1_KPS1_EviT_PT9_S7_lS9_S7_lPT10_S7_li.uses_flat_scratch, 0
	.set _ZL37rocblas_syrkx_herkx_restricted_kernelIl19rocblas_complex_numIfELi16ELi32ELi8ELi1ELi1ELb1ELc84ELc76EKPKS1_KPS1_EviT_PT9_S7_lS9_S7_lPT10_S7_li.has_dyn_sized_stack, 0
	.set _ZL37rocblas_syrkx_herkx_restricted_kernelIl19rocblas_complex_numIfELi16ELi32ELi8ELi1ELi1ELb1ELc84ELc76EKPKS1_KPS1_EviT_PT9_S7_lS9_S7_lPT10_S7_li.has_recursion, 0
	.set _ZL37rocblas_syrkx_herkx_restricted_kernelIl19rocblas_complex_numIfELi16ELi32ELi8ELi1ELi1ELb1ELc84ELc76EKPKS1_KPS1_EviT_PT9_S7_lS9_S7_lPT10_S7_li.has_indirect_call, 0
	.section	.AMDGPU.csdata,"",@progbits
; Kernel info:
; codeLenInByte = 2124
; TotalNumSgprs: 24
; NumVgprs: 41
; ScratchSize: 0
; MemoryBound: 0
; FloatMode: 240
; IeeeMode: 1
; LDSByteSize: 4096 bytes/workgroup (compile time only)
; SGPRBlocks: 2
; VGPRBlocks: 10
; NumSGPRsForWavesPerEU: 24
; NumVGPRsForWavesPerEU: 41
; Occupancy: 5
; WaveLimiterHint : 1
; COMPUTE_PGM_RSRC2:SCRATCH_EN: 0
; COMPUTE_PGM_RSRC2:USER_SGPR: 6
; COMPUTE_PGM_RSRC2:TRAP_HANDLER: 0
; COMPUTE_PGM_RSRC2:TGID_X_EN: 1
; COMPUTE_PGM_RSRC2:TGID_Y_EN: 1
; COMPUTE_PGM_RSRC2:TGID_Z_EN: 1
; COMPUTE_PGM_RSRC2:TIDIG_COMP_CNT: 1
	.section	.text._ZL37rocblas_syrkx_herkx_restricted_kernelIl19rocblas_complex_numIfELi16ELi32ELi8ELi1ELi1ELb1ELc67ELc76EKPKS1_KPS1_EviT_PT9_S7_lS9_S7_lPT10_S7_li,"axG",@progbits,_ZL37rocblas_syrkx_herkx_restricted_kernelIl19rocblas_complex_numIfELi16ELi32ELi8ELi1ELi1ELb1ELc67ELc76EKPKS1_KPS1_EviT_PT9_S7_lS9_S7_lPT10_S7_li,comdat
	.globl	_ZL37rocblas_syrkx_herkx_restricted_kernelIl19rocblas_complex_numIfELi16ELi32ELi8ELi1ELi1ELb1ELc67ELc76EKPKS1_KPS1_EviT_PT9_S7_lS9_S7_lPT10_S7_li ; -- Begin function _ZL37rocblas_syrkx_herkx_restricted_kernelIl19rocblas_complex_numIfELi16ELi32ELi8ELi1ELi1ELb1ELc67ELc76EKPKS1_KPS1_EviT_PT9_S7_lS9_S7_lPT10_S7_li
	.p2align	8
	.type	_ZL37rocblas_syrkx_herkx_restricted_kernelIl19rocblas_complex_numIfELi16ELi32ELi8ELi1ELi1ELb1ELc67ELc76EKPKS1_KPS1_EviT_PT9_S7_lS9_S7_lPT10_S7_li,@function
_ZL37rocblas_syrkx_herkx_restricted_kernelIl19rocblas_complex_numIfELi16ELi32ELi8ELi1ELi1ELb1ELc67ELc76EKPKS1_KPS1_EviT_PT9_S7_lS9_S7_lPT10_S7_li: ; @_ZL37rocblas_syrkx_herkx_restricted_kernelIl19rocblas_complex_numIfELi16ELi32ELi8ELi1ELi1ELb1ELc67ELc76EKPKS1_KPS1_EviT_PT9_S7_lS9_S7_lPT10_S7_li
; %bb.0:
	s_load_dwordx4 s[12:15], s[4:5], 0x40
	s_load_dwordx4 s[0:3], s[4:5], 0x8
	s_mov_b32 s9, 0
	s_lshl_b64 s[10:11], s[8:9], 3
	s_waitcnt lgkmcnt(0)
	s_add_u32 s8, s12, s10
	s_addc_u32 s9, s13, s11
	s_load_dwordx2 s[8:9], s[8:9], 0x0
	v_cmp_lt_i64_e64 s[12:13], s[0:1], 1
	s_lshl_b32 s6, s6, 5
	s_lshl_b32 s7, s7, 5
	s_and_b64 vcc, exec, s[12:13]
	s_cbranch_vccnz .LBB1697_3
; %bb.1:
	s_load_dwordx2 s[12:13], s[4:5], 0x18
	s_load_dwordx4 s[16:19], s[4:5], 0x28
	v_lshl_add_u32 v4, v1, 4, v0
	v_lshrrev_b32_e32 v6, 3, v4
	v_add_u32_e32 v2, s7, v6
	v_ashrrev_i32_e32 v3, 31, v2
	v_and_b32_e32 v9, 7, v0
	v_mov_b32_e32 v10, 0
	s_waitcnt lgkmcnt(0)
	v_mul_lo_u32 v5, s18, v3
	v_mul_lo_u32 v7, s19, v2
	v_mad_u64_u32 v[2:3], s[18:19], s18, v2, v[9:10]
	s_add_u32 s2, s2, s10
	s_addc_u32 s3, s3, s11
	v_add3_u32 v3, v7, v3, v5
	v_and_b32_e32 v7, 31, v4
	v_lshrrev_b32_e32 v4, 5, v4
	v_lshlrev_b32_e32 v8, 3, v7
	v_lshl_or_b32 v11, v4, 8, v8
	v_lshlrev_b32_e32 v8, 3, v9
	v_lshl_or_b32 v6, v6, 6, v8
	v_add_u32_e32 v12, 0x800, v6
	v_add_u32_e32 v6, s6, v7
	s_add_u32 s10, s16, s10
	v_mov_b32_e32 v5, v10
	v_ashrrev_i32_e32 v7, 31, v6
	s_addc_u32 s11, s17, s11
	v_mul_lo_u32 v7, s12, v7
	v_mad_u64_u32 v[4:5], s[16:17], s12, v6, v[4:5]
	v_mul_lo_u32 v6, s13, v6
	s_load_dwordx2 s[2:3], s[2:3], 0x0
	v_lshlrev_b64 v[2:3], 3, v[2:3]
	s_load_dwordx2 s[10:11], s[10:11], 0x0
	v_add3_u32 v5, v6, v5, v7
	v_lshlrev_b64 v[4:5], 3, v[4:5]
	s_waitcnt lgkmcnt(0)
	v_mov_b32_e32 v7, s3
	v_add_co_u32_e32 v6, vcc, s2, v4
	v_mov_b32_e32 v8, 0x800
	v_addc_co_u32_e32 v7, vcc, v7, v5, vcc
	v_lshl_add_u32 v14, v1, 6, v8
	v_mov_b32_e32 v4, s11
	v_add_co_u32_e32 v8, vcc, s10, v2
	v_lshlrev_b32_e32 v13, 3, v0
	v_addc_co_u32_e32 v9, vcc, v4, v3, vcc
	s_mov_b64 s[2:3], 0
	v_mov_b32_e32 v15, v10
	v_mov_b32_e32 v16, v10
	;; [unrolled: 1-line block ×7, first 2 shown]
.LBB1697_2:                             ; =>This Inner Loop Header: Depth=1
	flat_load_dwordx2 v[2:3], v[6:7]
	v_add_co_u32_e32 v6, vcc, 64, v6
	v_addc_co_u32_e32 v7, vcc, 0, v7, vcc
	s_add_u32 s2, s2, 8
	s_addc_u32 s3, s3, 0
	s_waitcnt vmcnt(0) lgkmcnt(0)
	v_xor_b32_e32 v3, 0x80000000, v3
	ds_write_b64 v11, v[2:3]
	flat_load_dwordx2 v[2:3], v[8:9]
	v_add_co_u32_e32 v8, vcc, 64, v8
	v_addc_co_u32_e32 v9, vcc, 0, v9, vcc
	s_waitcnt vmcnt(0) lgkmcnt(0)
	ds_write_b64 v12, v[2:3]
	s_waitcnt lgkmcnt(0)
	s_barrier
	ds_read_b128 v[22:25], v14
	ds_read_b128 v[26:29], v14 offset:16
	ds_read_b128 v[30:33], v14 offset:32
	;; [unrolled: 1-line block ×3, first 2 shown]
	ds_read2_b64 v[34:37], v13 offset1:16
	s_waitcnt lgkmcnt(0)
	v_mul_f32_e32 v38, v23, v35
	v_mul_f32_e32 v39, v22, v35
	v_fma_f32 v38, v22, v34, -v38
	v_fmac_f32_e32 v39, v23, v34
	v_add_f32_e32 v38, v20, v38
	v_add_f32_e32 v39, v21, v39
	v_mul_f32_e32 v20, v23, v37
	v_mul_f32_e32 v21, v22, v37
	v_fma_f32 v20, v22, v36, -v20
	v_fmac_f32_e32 v21, v23, v36
	v_add_f32_e32 v22, v19, v20
	v_add_f32_e32 v23, v18, v21
	ds_read_b128 v[18:21], v14 offset:1024
	s_waitcnt lgkmcnt(0)
	v_mul_f32_e32 v40, v19, v35
	v_mul_f32_e32 v35, v18, v35
	v_fma_f32 v40, v18, v34, -v40
	v_fmac_f32_e32 v35, v19, v34
	v_add_f32_e32 v34, v17, v40
	v_add_f32_e32 v35, v16, v35
	v_mul_f32_e32 v16, v19, v37
	v_mul_f32_e32 v17, v18, v37
	v_fma_f32 v16, v18, v36, -v16
	v_fmac_f32_e32 v17, v19, v36
	v_add_f32_e32 v19, v15, v16
	v_add_f32_e32 v10, v10, v17
	ds_read2_b64 v[15:18], v13 offset0:32 offset1:48
	s_waitcnt lgkmcnt(0)
	v_mul_f32_e32 v36, v25, v16
	v_fma_f32 v36, v24, v15, -v36
	v_add_f32_e32 v36, v38, v36
	v_mul_f32_e32 v38, v25, v18
	v_mul_f32_e32 v37, v24, v16
	v_fma_f32 v38, v24, v17, -v38
	v_mul_f32_e32 v24, v24, v18
	v_fmac_f32_e32 v24, v25, v17
	v_add_f32_e32 v23, v23, v24
	v_mul_f32_e32 v24, v21, v16
	v_mul_f32_e32 v16, v20, v16
	v_fmac_f32_e32 v16, v21, v15
	v_fmac_f32_e32 v37, v25, v15
	v_fma_f32 v24, v20, v15, -v24
	v_add_f32_e32 v25, v35, v16
	v_mul_f32_e32 v15, v21, v18
	v_mul_f32_e32 v16, v20, v18
	v_fma_f32 v15, v20, v17, -v15
	v_fmac_f32_e32 v16, v21, v17
	v_add_f32_e32 v24, v34, v24
	v_add_f32_e32 v34, v19, v15
	;; [unrolled: 1-line block ×3, first 2 shown]
	ds_read2_b64 v[15:18], v13 offset0:64 offset1:80
	v_add_f32_e32 v37, v39, v37
	v_add_f32_e32 v22, v22, v38
	s_waitcnt lgkmcnt(0)
	v_mul_f32_e32 v19, v27, v16
	v_mul_f32_e32 v20, v26, v16
	v_fma_f32 v19, v26, v15, -v19
	v_fmac_f32_e32 v20, v27, v15
	v_add_f32_e32 v35, v36, v19
	v_add_f32_e32 v36, v37, v20
	v_mul_f32_e32 v19, v27, v18
	v_mul_f32_e32 v20, v26, v18
	v_fma_f32 v19, v26, v17, -v19
	v_fmac_f32_e32 v20, v27, v17
	v_add_f32_e32 v26, v22, v19
	v_add_f32_e32 v23, v23, v20
	ds_read_b128 v[19:22], v14 offset:1040
	s_waitcnt lgkmcnt(0)
	v_mul_f32_e32 v27, v20, v16
	v_mul_f32_e32 v16, v19, v16
	v_fmac_f32_e32 v16, v20, v15
	v_fma_f32 v27, v19, v15, -v27
	v_add_f32_e32 v25, v25, v16
	v_mul_f32_e32 v15, v20, v18
	v_mul_f32_e32 v16, v19, v18
	v_fma_f32 v15, v19, v17, -v15
	v_fmac_f32_e32 v16, v20, v17
	v_add_f32_e32 v19, v34, v15
	v_add_f32_e32 v10, v10, v16
	ds_read2_b64 v[15:18], v13 offset0:96 offset1:112
	v_add_f32_e32 v24, v24, v27
	s_waitcnt lgkmcnt(0)
	v_mul_f32_e32 v20, v29, v16
	v_mul_f32_e32 v34, v29, v18
	v_fma_f32 v20, v28, v15, -v20
	v_mul_f32_e32 v27, v28, v16
	v_fma_f32 v34, v28, v17, -v34
	v_mul_f32_e32 v28, v28, v18
	v_fmac_f32_e32 v28, v29, v17
	v_add_f32_e32 v23, v23, v28
	v_mul_f32_e32 v28, v22, v16
	v_mul_f32_e32 v16, v21, v16
	v_fmac_f32_e32 v16, v22, v15
	v_fmac_f32_e32 v27, v29, v15
	v_fma_f32 v28, v21, v15, -v28
	v_add_f32_e32 v25, v25, v16
	v_mul_f32_e32 v15, v22, v18
	v_mul_f32_e32 v16, v21, v18
	v_fma_f32 v15, v21, v17, -v15
	v_fmac_f32_e32 v16, v22, v17
	v_add_f32_e32 v24, v24, v28
	v_add_f32_e32 v28, v19, v15
	;; [unrolled: 1-line block ×3, first 2 shown]
	ds_read2_b64 v[15:18], v13 offset0:128 offset1:144
	v_add_f32_e32 v20, v35, v20
	v_add_f32_e32 v27, v36, v27
	;; [unrolled: 1-line block ×3, first 2 shown]
	s_waitcnt lgkmcnt(0)
	v_mul_f32_e32 v19, v31, v16
	v_fma_f32 v19, v30, v15, -v19
	v_mul_f32_e32 v21, v30, v16
	v_add_f32_e32 v29, v20, v19
	v_mul_f32_e32 v19, v31, v18
	v_mul_f32_e32 v20, v30, v18
	v_fmac_f32_e32 v21, v31, v15
	v_fma_f32 v19, v30, v17, -v19
	v_fmac_f32_e32 v20, v31, v17
	v_add_f32_e32 v27, v27, v21
	v_add_f32_e32 v26, v26, v19
	;; [unrolled: 1-line block ×3, first 2 shown]
	ds_read_b128 v[19:22], v14 offset:1056
	s_waitcnt lgkmcnt(0)
	v_mul_f32_e32 v30, v20, v16
	v_mul_f32_e32 v16, v19, v16
	v_fmac_f32_e32 v16, v20, v15
	v_fma_f32 v30, v19, v15, -v30
	v_add_f32_e32 v25, v25, v16
	v_mul_f32_e32 v15, v20, v18
	v_mul_f32_e32 v16, v19, v18
	v_fma_f32 v15, v19, v17, -v15
	v_fmac_f32_e32 v16, v20, v17
	v_add_f32_e32 v19, v28, v15
	v_add_f32_e32 v10, v10, v16
	ds_read2_b64 v[15:18], v13 offset0:160 offset1:176
	v_add_f32_e32 v24, v24, v30
	s_waitcnt lgkmcnt(0)
	v_mul_f32_e32 v28, v32, v16
	v_fmac_f32_e32 v28, v33, v15
	v_add_f32_e32 v27, v27, v28
	v_mul_f32_e32 v28, v33, v18
	v_fma_f32 v28, v32, v17, -v28
	v_mul_f32_e32 v20, v33, v16
	v_add_f32_e32 v26, v26, v28
	v_mul_f32_e32 v28, v22, v16
	v_mul_f32_e32 v16, v21, v16
	v_fmac_f32_e32 v16, v22, v15
	v_fma_f32 v20, v32, v15, -v20
	v_fma_f32 v28, v21, v15, -v28
	v_add_f32_e32 v25, v25, v16
	v_mul_f32_e32 v15, v22, v18
	v_mul_f32_e32 v16, v21, v18
	v_add_f32_e32 v20, v29, v20
	v_mul_f32_e32 v29, v32, v18
	v_fma_f32 v15, v21, v17, -v15
	v_fmac_f32_e32 v16, v22, v17
	v_fmac_f32_e32 v29, v33, v17
	v_add_f32_e32 v19, v19, v15
	v_add_f32_e32 v10, v10, v16
	ds_read2_b64 v[15:18], v13 offset0:192 offset1:208
	v_add_f32_e32 v24, v24, v28
	v_add_f32_e32 v23, v23, v29
	s_waitcnt lgkmcnt(0)
	v_mul_f32_e32 v21, v3, v16
	v_fma_f32 v21, v2, v15, -v21
	v_add_f32_e32 v28, v20, v21
	v_mul_f32_e32 v20, v3, v18
	v_mul_f32_e32 v22, v2, v16
	v_fma_f32 v20, v2, v17, -v20
	v_mul_f32_e32 v2, v2, v18
	v_fmac_f32_e32 v22, v3, v15
	v_fmac_f32_e32 v2, v3, v17
	v_add_f32_e32 v29, v27, v22
	v_add_f32_e32 v3, v26, v20
	;; [unrolled: 1-line block ×3, first 2 shown]
	ds_read_b128 v[20:23], v14 offset:1072
	s_waitcnt lgkmcnt(0)
	v_mul_f32_e32 v26, v21, v16
	v_fma_f32 v26, v20, v15, -v26
	v_mul_f32_e32 v16, v20, v16
	v_fmac_f32_e32 v16, v21, v15
	v_add_f32_e32 v15, v24, v26
	v_mul_f32_e32 v24, v21, v18
	v_fma_f32 v24, v20, v17, -v24
	v_add_f32_e32 v16, v25, v16
	v_add_f32_e32 v30, v19, v24
	ds_read2_b64 v[24:27], v13 offset0:224 offset1:240
	v_mul_f32_e32 v18, v20, v18
	v_fmac_f32_e32 v18, v21, v17
	v_add_f32_e32 v10, v10, v18
	s_waitcnt lgkmcnt(0)
	v_mul_f32_e32 v17, v5, v25
	v_fma_f32 v17, v4, v24, -v17
	v_add_f32_e32 v20, v28, v17
	v_mul_f32_e32 v17, v5, v27
	v_mul_f32_e32 v18, v4, v25
	v_fma_f32 v17, v4, v26, -v17
	v_mul_f32_e32 v4, v4, v27
	v_fmac_f32_e32 v18, v5, v24
	v_fmac_f32_e32 v4, v5, v26
	v_add_f32_e32 v21, v29, v18
	v_add_f32_e32 v19, v3, v17
	;; [unrolled: 1-line block ×3, first 2 shown]
	v_mul_f32_e32 v2, v23, v25
	v_mul_f32_e32 v3, v22, v25
	v_fma_f32 v2, v22, v24, -v2
	v_fmac_f32_e32 v3, v23, v24
	v_add_f32_e32 v17, v15, v2
	v_add_f32_e32 v16, v16, v3
	v_mul_f32_e32 v2, v23, v27
	v_mul_f32_e32 v3, v22, v27
	v_fma_f32 v2, v22, v26, -v2
	v_fmac_f32_e32 v3, v23, v26
	v_add_f32_e32 v15, v30, v2
	v_add_f32_e32 v10, v10, v3
	v_mov_b32_e32 v2, s2
	v_mov_b32_e32 v3, s3
	v_cmp_le_u64_e32 vcc, s[0:1], v[2:3]
	s_barrier
	s_cbranch_vccz .LBB1697_2
	s_branch .LBB1697_4
.LBB1697_3:
	v_mov_b32_e32 v20, 0
	v_mov_b32_e32 v21, 0
	;; [unrolled: 1-line block ×8, first 2 shown]
.LBB1697_4:
	v_add_u32_e32 v5, s7, v1
	v_ashrrev_i32_e32 v1, 31, v5
	v_mul_lo_u32 v3, s14, v1
	v_mul_lo_u32 v4, s15, v5
	v_mad_u64_u32 v[1:2], s[0:1], s14, v5, 0
	s_load_dword s4, s[4:5], 0x0
	v_add_u32_e32 v0, s6, v0
	v_add3_u32 v2, v2, v3, v4
	v_lshlrev_b64 v[1:2], 3, v[1:2]
	s_waitcnt lgkmcnt(0)
	v_mov_b32_e32 v3, s9
	v_add_co_u32_e32 v4, vcc, s8, v1
	v_addc_co_u32_e32 v6, vcc, v3, v2, vcc
	v_cmp_le_i32_e64 s[0:1], v5, v0
	v_cmp_gt_i32_e32 vcc, s4, v0
	s_and_b64 s[0:1], s[0:1], vcc
	s_and_saveexec_b64 s[2:3], s[0:1]
	s_cbranch_execz .LBB1697_7
; %bb.5:
	v_ashrrev_i32_e32 v1, 31, v0
	v_lshlrev_b64 v[1:2], 3, v[0:1]
	v_add_co_u32_e64 v1, s[0:1], v4, v1
	v_addc_co_u32_e64 v2, s[0:1], v6, v2, s[0:1]
	flat_load_dwordx2 v[7:8], v[1:2]
	v_cmp_eq_u32_e64 s[0:1], v5, v0
	s_waitcnt vmcnt(0) lgkmcnt(0)
	v_add_f32_e32 v7, v20, v7
	v_add_f32_e32 v8, v21, v8
	flat_store_dwordx2 v[1:2], v[7:8]
	s_and_b64 exec, exec, s[0:1]
	s_cbranch_execz .LBB1697_7
; %bb.6:
	v_mov_b32_e32 v3, 0
	flat_store_dword v[1:2], v3 offset:4
.LBB1697_7:
	s_or_b64 exec, exec, s[2:3]
	v_add_u32_e32 v2, 16, v0
	v_cmp_le_i32_e64 s[2:3], v5, v2
	v_cmp_gt_i32_e64 s[0:1], s4, v2
	s_and_b64 s[2:3], s[2:3], s[0:1]
	s_and_saveexec_b64 s[4:5], s[2:3]
	s_cbranch_execz .LBB1697_10
; %bb.8:
	v_ashrrev_i32_e32 v3, 31, v2
	v_lshlrev_b64 v[7:8], 3, v[2:3]
	v_add_co_u32_e64 v3, s[2:3], v4, v7
	v_addc_co_u32_e64 v4, s[2:3], v6, v8, s[2:3]
	flat_load_dwordx2 v[6:7], v[3:4]
	v_cmp_eq_u32_e64 s[2:3], v5, v2
	s_waitcnt vmcnt(0) lgkmcnt(0)
	v_add_f32_e32 v6, v19, v6
	v_add_f32_e32 v7, v18, v7
	flat_store_dwordx2 v[3:4], v[6:7]
	s_and_b64 exec, exec, s[2:3]
	s_cbranch_execz .LBB1697_10
; %bb.9:
	v_mov_b32_e32 v1, 0
	flat_store_dword v[3:4], v1 offset:4
.LBB1697_10:
	s_or_b64 exec, exec, s[4:5]
	v_add_u32_e32 v6, 16, v5
	v_ashrrev_i32_e32 v1, 31, v6
	v_mul_lo_u32 v7, s15, v6
	v_mad_u64_u32 v[3:4], s[2:3], s14, v6, 0
	v_mul_lo_u32 v1, s14, v1
	v_add3_u32 v4, v4, v1, v7
	v_lshlrev_b64 v[3:4], 3, v[3:4]
	v_mov_b32_e32 v1, s9
	v_add_co_u32_e64 v7, s[2:3], s8, v3
	v_addc_co_u32_e64 v8, s[2:3], v1, v4, s[2:3]
	v_cmp_le_i32_e64 s[2:3], v6, v0
	s_and_b64 s[4:5], s[2:3], vcc
	s_and_saveexec_b64 s[2:3], s[4:5]
	s_cbranch_execz .LBB1697_13
; %bb.11:
	v_ashrrev_i32_e32 v1, 31, v0
	v_lshlrev_b64 v[3:4], 3, v[0:1]
	v_add_co_u32_e32 v3, vcc, v7, v3
	v_addc_co_u32_e32 v4, vcc, v8, v4, vcc
	flat_load_dwordx2 v[11:12], v[3:4]
	v_cmp_eq_u32_e32 vcc, v6, v0
	s_waitcnt vmcnt(0) lgkmcnt(0)
	v_add_f32_e32 v11, v17, v11
	v_add_f32_e32 v12, v16, v12
	flat_store_dwordx2 v[3:4], v[11:12]
	s_and_b64 exec, exec, vcc
	s_cbranch_execz .LBB1697_13
; %bb.12:
	v_mov_b32_e32 v1, 0
	flat_store_dword v[3:4], v1 offset:4
.LBB1697_13:
	s_or_b64 exec, exec, s[2:3]
	v_cmp_le_i32_e32 vcc, v6, v2
	s_and_b64 s[0:1], vcc, s[0:1]
	s_and_saveexec_b64 s[2:3], s[0:1]
	s_cbranch_execz .LBB1697_16
; %bb.14:
	v_ashrrev_i32_e32 v3, 31, v2
	v_lshlrev_b64 v[1:2], 3, v[2:3]
	v_add_co_u32_e32 v1, vcc, v7, v1
	v_addc_co_u32_e32 v2, vcc, v8, v2, vcc
	flat_load_dwordx2 v[3:4], v[1:2]
	v_cmp_eq_u32_e32 vcc, v5, v0
	s_waitcnt vmcnt(0) lgkmcnt(0)
	v_add_f32_e32 v3, v15, v3
	v_add_f32_e32 v4, v10, v4
	flat_store_dwordx2 v[1:2], v[3:4]
	s_and_b64 exec, exec, vcc
	s_cbranch_execz .LBB1697_16
; %bb.15:
	v_mov_b32_e32 v0, 0
	flat_store_dword v[1:2], v0 offset:4
.LBB1697_16:
	s_endpgm
	.section	.rodata,"a",@progbits
	.p2align	6, 0x0
	.amdhsa_kernel _ZL37rocblas_syrkx_herkx_restricted_kernelIl19rocblas_complex_numIfELi16ELi32ELi8ELi1ELi1ELb1ELc67ELc76EKPKS1_KPS1_EviT_PT9_S7_lS9_S7_lPT10_S7_li
		.amdhsa_group_segment_fixed_size 4096
		.amdhsa_private_segment_fixed_size 0
		.amdhsa_kernarg_size 92
		.amdhsa_user_sgpr_count 6
		.amdhsa_user_sgpr_private_segment_buffer 1
		.amdhsa_user_sgpr_dispatch_ptr 0
		.amdhsa_user_sgpr_queue_ptr 0
		.amdhsa_user_sgpr_kernarg_segment_ptr 1
		.amdhsa_user_sgpr_dispatch_id 0
		.amdhsa_user_sgpr_flat_scratch_init 0
		.amdhsa_user_sgpr_private_segment_size 0
		.amdhsa_uses_dynamic_stack 0
		.amdhsa_system_sgpr_private_segment_wavefront_offset 0
		.amdhsa_system_sgpr_workgroup_id_x 1
		.amdhsa_system_sgpr_workgroup_id_y 1
		.amdhsa_system_sgpr_workgroup_id_z 1
		.amdhsa_system_sgpr_workgroup_info 0
		.amdhsa_system_vgpr_workitem_id 1
		.amdhsa_next_free_vgpr 41
		.amdhsa_next_free_sgpr 20
		.amdhsa_reserve_vcc 1
		.amdhsa_reserve_flat_scratch 0
		.amdhsa_float_round_mode_32 0
		.amdhsa_float_round_mode_16_64 0
		.amdhsa_float_denorm_mode_32 3
		.amdhsa_float_denorm_mode_16_64 3
		.amdhsa_dx10_clamp 1
		.amdhsa_ieee_mode 1
		.amdhsa_fp16_overflow 0
		.amdhsa_exception_fp_ieee_invalid_op 0
		.amdhsa_exception_fp_denorm_src 0
		.amdhsa_exception_fp_ieee_div_zero 0
		.amdhsa_exception_fp_ieee_overflow 0
		.amdhsa_exception_fp_ieee_underflow 0
		.amdhsa_exception_fp_ieee_inexact 0
		.amdhsa_exception_int_div_zero 0
	.end_amdhsa_kernel
	.section	.text._ZL37rocblas_syrkx_herkx_restricted_kernelIl19rocblas_complex_numIfELi16ELi32ELi8ELi1ELi1ELb1ELc67ELc76EKPKS1_KPS1_EviT_PT9_S7_lS9_S7_lPT10_S7_li,"axG",@progbits,_ZL37rocblas_syrkx_herkx_restricted_kernelIl19rocblas_complex_numIfELi16ELi32ELi8ELi1ELi1ELb1ELc67ELc76EKPKS1_KPS1_EviT_PT9_S7_lS9_S7_lPT10_S7_li,comdat
.Lfunc_end1697:
	.size	_ZL37rocblas_syrkx_herkx_restricted_kernelIl19rocblas_complex_numIfELi16ELi32ELi8ELi1ELi1ELb1ELc67ELc76EKPKS1_KPS1_EviT_PT9_S7_lS9_S7_lPT10_S7_li, .Lfunc_end1697-_ZL37rocblas_syrkx_herkx_restricted_kernelIl19rocblas_complex_numIfELi16ELi32ELi8ELi1ELi1ELb1ELc67ELc76EKPKS1_KPS1_EviT_PT9_S7_lS9_S7_lPT10_S7_li
                                        ; -- End function
	.set _ZL37rocblas_syrkx_herkx_restricted_kernelIl19rocblas_complex_numIfELi16ELi32ELi8ELi1ELi1ELb1ELc67ELc76EKPKS1_KPS1_EviT_PT9_S7_lS9_S7_lPT10_S7_li.num_vgpr, 41
	.set _ZL37rocblas_syrkx_herkx_restricted_kernelIl19rocblas_complex_numIfELi16ELi32ELi8ELi1ELi1ELb1ELc67ELc76EKPKS1_KPS1_EviT_PT9_S7_lS9_S7_lPT10_S7_li.num_agpr, 0
	.set _ZL37rocblas_syrkx_herkx_restricted_kernelIl19rocblas_complex_numIfELi16ELi32ELi8ELi1ELi1ELb1ELc67ELc76EKPKS1_KPS1_EviT_PT9_S7_lS9_S7_lPT10_S7_li.numbered_sgpr, 20
	.set _ZL37rocblas_syrkx_herkx_restricted_kernelIl19rocblas_complex_numIfELi16ELi32ELi8ELi1ELi1ELb1ELc67ELc76EKPKS1_KPS1_EviT_PT9_S7_lS9_S7_lPT10_S7_li.num_named_barrier, 0
	.set _ZL37rocblas_syrkx_herkx_restricted_kernelIl19rocblas_complex_numIfELi16ELi32ELi8ELi1ELi1ELb1ELc67ELc76EKPKS1_KPS1_EviT_PT9_S7_lS9_S7_lPT10_S7_li.private_seg_size, 0
	.set _ZL37rocblas_syrkx_herkx_restricted_kernelIl19rocblas_complex_numIfELi16ELi32ELi8ELi1ELi1ELb1ELc67ELc76EKPKS1_KPS1_EviT_PT9_S7_lS9_S7_lPT10_S7_li.uses_vcc, 1
	.set _ZL37rocblas_syrkx_herkx_restricted_kernelIl19rocblas_complex_numIfELi16ELi32ELi8ELi1ELi1ELb1ELc67ELc76EKPKS1_KPS1_EviT_PT9_S7_lS9_S7_lPT10_S7_li.uses_flat_scratch, 0
	.set _ZL37rocblas_syrkx_herkx_restricted_kernelIl19rocblas_complex_numIfELi16ELi32ELi8ELi1ELi1ELb1ELc67ELc76EKPKS1_KPS1_EviT_PT9_S7_lS9_S7_lPT10_S7_li.has_dyn_sized_stack, 0
	.set _ZL37rocblas_syrkx_herkx_restricted_kernelIl19rocblas_complex_numIfELi16ELi32ELi8ELi1ELi1ELb1ELc67ELc76EKPKS1_KPS1_EviT_PT9_S7_lS9_S7_lPT10_S7_li.has_recursion, 0
	.set _ZL37rocblas_syrkx_herkx_restricted_kernelIl19rocblas_complex_numIfELi16ELi32ELi8ELi1ELi1ELb1ELc67ELc76EKPKS1_KPS1_EviT_PT9_S7_lS9_S7_lPT10_S7_li.has_indirect_call, 0
	.section	.AMDGPU.csdata,"",@progbits
; Kernel info:
; codeLenInByte = 2132
; TotalNumSgprs: 24
; NumVgprs: 41
; ScratchSize: 0
; MemoryBound: 0
; FloatMode: 240
; IeeeMode: 1
; LDSByteSize: 4096 bytes/workgroup (compile time only)
; SGPRBlocks: 2
; VGPRBlocks: 10
; NumSGPRsForWavesPerEU: 24
; NumVGPRsForWavesPerEU: 41
; Occupancy: 5
; WaveLimiterHint : 1
; COMPUTE_PGM_RSRC2:SCRATCH_EN: 0
; COMPUTE_PGM_RSRC2:USER_SGPR: 6
; COMPUTE_PGM_RSRC2:TRAP_HANDLER: 0
; COMPUTE_PGM_RSRC2:TGID_X_EN: 1
; COMPUTE_PGM_RSRC2:TGID_Y_EN: 1
; COMPUTE_PGM_RSRC2:TGID_Z_EN: 1
; COMPUTE_PGM_RSRC2:TIDIG_COMP_CNT: 1
	.section	.text._ZL37rocblas_syrkx_herkx_restricted_kernelIl19rocblas_complex_numIfELi16ELi32ELi8ELi1ELi1ELb1ELc78ELc76EKPKS1_KPS1_EviT_PT9_S7_lS9_S7_lPT10_S7_li,"axG",@progbits,_ZL37rocblas_syrkx_herkx_restricted_kernelIl19rocblas_complex_numIfELi16ELi32ELi8ELi1ELi1ELb1ELc78ELc76EKPKS1_KPS1_EviT_PT9_S7_lS9_S7_lPT10_S7_li,comdat
	.globl	_ZL37rocblas_syrkx_herkx_restricted_kernelIl19rocblas_complex_numIfELi16ELi32ELi8ELi1ELi1ELb1ELc78ELc76EKPKS1_KPS1_EviT_PT9_S7_lS9_S7_lPT10_S7_li ; -- Begin function _ZL37rocblas_syrkx_herkx_restricted_kernelIl19rocblas_complex_numIfELi16ELi32ELi8ELi1ELi1ELb1ELc78ELc76EKPKS1_KPS1_EviT_PT9_S7_lS9_S7_lPT10_S7_li
	.p2align	8
	.type	_ZL37rocblas_syrkx_herkx_restricted_kernelIl19rocblas_complex_numIfELi16ELi32ELi8ELi1ELi1ELb1ELc78ELc76EKPKS1_KPS1_EviT_PT9_S7_lS9_S7_lPT10_S7_li,@function
_ZL37rocblas_syrkx_herkx_restricted_kernelIl19rocblas_complex_numIfELi16ELi32ELi8ELi1ELi1ELb1ELc78ELc76EKPKS1_KPS1_EviT_PT9_S7_lS9_S7_lPT10_S7_li: ; @_ZL37rocblas_syrkx_herkx_restricted_kernelIl19rocblas_complex_numIfELi16ELi32ELi8ELi1ELi1ELb1ELc78ELc76EKPKS1_KPS1_EviT_PT9_S7_lS9_S7_lPT10_S7_li
; %bb.0:
	s_load_dwordx4 s[12:15], s[4:5], 0x40
	s_load_dwordx4 s[0:3], s[4:5], 0x8
	s_mov_b32 s9, 0
	s_lshl_b64 s[16:17], s[8:9], 3
	s_waitcnt lgkmcnt(0)
	s_add_u32 s8, s12, s16
	s_addc_u32 s9, s13, s17
	s_load_dwordx2 s[12:13], s[8:9], 0x0
	v_cmp_lt_i64_e64 s[8:9], s[0:1], 1
	s_lshl_b32 s18, s6, 5
	s_lshl_b32 s19, s7, 5
	s_and_b64 vcc, exec, s[8:9]
	s_cbranch_vccnz .LBB1698_3
; %bb.1:
	s_load_dwordx2 s[6:7], s[4:5], 0x18
	s_load_dwordx4 s[8:11], s[4:5], 0x28
	v_lshl_add_u32 v5, v1, 4, v0
	v_lshrrev_b32_e32 v7, 3, v5
	v_add_u32_e32 v2, s19, v7
	v_and_b32_e32 v6, 7, v0
	v_ashrrev_i32_e32 v3, 31, v2
	s_waitcnt lgkmcnt(0)
	v_mad_u64_u32 v[2:3], s[20:21], s10, v6, v[2:3]
	s_add_u32 s2, s2, s16
	s_addc_u32 s3, s3, s17
	v_mad_u64_u32 v[3:4], s[20:21], s11, v6, v[3:4]
	v_and_b32_e32 v4, 31, v5
	v_lshrrev_b32_e32 v8, 5, v5
	v_lshlrev_b32_e32 v5, 3, v4
	v_add_u32_e32 v4, s18, v4
	s_add_u32 s8, s8, s16
	v_lshl_or_b32 v10, v8, 8, v5
	v_ashrrev_i32_e32 v5, 31, v4
	s_addc_u32 s9, s9, s17
	v_mad_u64_u32 v[4:5], s[16:17], s6, v8, v[4:5]
	v_lshlrev_b32_e32 v6, 3, v6
	v_lshl_or_b32 v6, v7, 6, v6
	v_add_u32_e32 v11, 0x800, v6
	v_mad_u64_u32 v[5:6], s[16:17], s7, v8, v[5:6]
	s_load_dwordx2 s[2:3], s[2:3], 0x0
	v_mov_b32_e32 v6, 0x800
	s_load_dwordx2 s[8:9], s[8:9], 0x0
	v_lshlrev_b64 v[4:5], 3, v[4:5]
	v_lshl_add_u32 v13, v1, 6, v6
	s_waitcnt lgkmcnt(0)
	v_mov_b32_e32 v7, s3
	v_add_co_u32_e32 v6, vcc, s2, v4
	v_lshlrev_b64 v[2:3], 3, v[2:3]
	v_addc_co_u32_e32 v7, vcc, v7, v5, vcc
	s_lshl_b64 s[2:3], s[6:7], 6
	v_mov_b32_e32 v4, s9
	v_add_co_u32_e32 v8, vcc, s8, v2
	s_lshl_b64 s[6:7], s[10:11], 6
	v_lshlrev_b32_e32 v12, 3, v0
	v_addc_co_u32_e32 v9, vcc, v4, v3, vcc
	v_mov_b32_e32 v16, 0
	s_mov_b64 s[8:9], 0
	v_mov_b32_e32 v14, s3
	v_mov_b32_e32 v15, s7
	;; [unrolled: 1-line block ×9, first 2 shown]
.LBB1698_2:                             ; =>This Inner Loop Header: Depth=1
	flat_load_dwordx2 v[2:3], v[6:7]
	v_add_co_u32_e32 v6, vcc, s2, v6
	s_add_u32 s8, s8, 8
	v_addc_co_u32_e32 v7, vcc, v7, v14, vcc
	s_addc_u32 s9, s9, 0
	s_waitcnt vmcnt(0) lgkmcnt(0)
	ds_write_b64 v10, v[2:3]
	flat_load_dwordx2 v[2:3], v[8:9]
	v_add_co_u32_e32 v8, vcc, s6, v8
	v_addc_co_u32_e32 v9, vcc, v9, v15, vcc
	s_waitcnt vmcnt(0) lgkmcnt(0)
	v_xor_b32_e32 v3, 0x80000000, v3
	ds_write_b64 v11, v[2:3]
	s_waitcnt lgkmcnt(0)
	s_barrier
	ds_read_b128 v[24:27], v13
	ds_read_b128 v[28:31], v13 offset:16
	ds_read_b128 v[32:35], v13 offset:32
	;; [unrolled: 1-line block ×3, first 2 shown]
	ds_read2_b64 v[36:39], v12 offset1:16
	s_waitcnt lgkmcnt(0)
	v_mul_f32_e32 v40, v25, v37
	v_mul_f32_e32 v41, v24, v37
	v_fma_f32 v40, v24, v36, -v40
	v_fmac_f32_e32 v41, v25, v36
	v_add_f32_e32 v40, v22, v40
	v_add_f32_e32 v41, v23, v41
	v_mul_f32_e32 v22, v25, v39
	v_mul_f32_e32 v23, v24, v39
	v_fma_f32 v22, v24, v38, -v22
	v_fmac_f32_e32 v23, v25, v38
	v_add_f32_e32 v24, v21, v22
	v_add_f32_e32 v25, v20, v23
	ds_read_b128 v[20:23], v13 offset:1024
	s_waitcnt lgkmcnt(0)
	v_mul_f32_e32 v42, v21, v37
	v_mul_f32_e32 v37, v20, v37
	v_fma_f32 v42, v20, v36, -v42
	v_fmac_f32_e32 v37, v21, v36
	v_add_f32_e32 v36, v19, v42
	v_add_f32_e32 v37, v18, v37
	v_mul_f32_e32 v18, v21, v39
	v_mul_f32_e32 v19, v20, v39
	v_fma_f32 v18, v20, v38, -v18
	v_fmac_f32_e32 v19, v21, v38
	v_add_f32_e32 v20, v17, v18
	v_add_f32_e32 v21, v16, v19
	ds_read2_b64 v[16:19], v12 offset0:32 offset1:48
	s_waitcnt lgkmcnt(0)
	v_mul_f32_e32 v38, v27, v17
	v_fma_f32 v38, v26, v16, -v38
	v_add_f32_e32 v38, v40, v38
	v_mul_f32_e32 v40, v27, v19
	v_mul_f32_e32 v39, v26, v17
	v_fma_f32 v40, v26, v18, -v40
	v_mul_f32_e32 v26, v26, v19
	v_fmac_f32_e32 v26, v27, v18
	v_add_f32_e32 v25, v25, v26
	v_mul_f32_e32 v26, v23, v17
	v_mul_f32_e32 v17, v22, v17
	v_fmac_f32_e32 v17, v23, v16
	v_fmac_f32_e32 v39, v27, v16
	v_fma_f32 v26, v22, v16, -v26
	v_add_f32_e32 v27, v37, v17
	v_mul_f32_e32 v16, v23, v19
	v_mul_f32_e32 v17, v22, v19
	v_fma_f32 v16, v22, v18, -v16
	v_fmac_f32_e32 v17, v23, v18
	v_add_f32_e32 v26, v36, v26
	v_add_f32_e32 v36, v20, v16
	;; [unrolled: 1-line block ×3, first 2 shown]
	ds_read2_b64 v[16:19], v12 offset0:64 offset1:80
	v_add_f32_e32 v39, v41, v39
	v_add_f32_e32 v24, v24, v40
	s_waitcnt lgkmcnt(0)
	v_mul_f32_e32 v20, v29, v17
	v_mul_f32_e32 v21, v28, v17
	v_fma_f32 v20, v28, v16, -v20
	v_fmac_f32_e32 v21, v29, v16
	v_add_f32_e32 v38, v38, v20
	v_add_f32_e32 v39, v39, v21
	v_mul_f32_e32 v20, v29, v19
	v_mul_f32_e32 v21, v28, v19
	v_fma_f32 v20, v28, v18, -v20
	v_fmac_f32_e32 v21, v29, v18
	v_add_f32_e32 v24, v24, v20
	v_add_f32_e32 v25, v25, v21
	ds_read_b128 v[20:23], v13 offset:1040
	s_waitcnt lgkmcnt(0)
	v_mul_f32_e32 v28, v21, v17
	v_mul_f32_e32 v17, v20, v17
	v_fmac_f32_e32 v17, v21, v16
	v_fma_f32 v28, v20, v16, -v28
	v_add_f32_e32 v27, v27, v17
	v_mul_f32_e32 v16, v21, v19
	v_mul_f32_e32 v17, v20, v19
	v_fma_f32 v16, v20, v18, -v16
	v_fmac_f32_e32 v17, v21, v18
	v_add_f32_e32 v20, v36, v16
	v_add_f32_e32 v21, v37, v17
	ds_read2_b64 v[16:19], v12 offset0:96 offset1:112
	v_add_f32_e32 v26, v26, v28
	s_waitcnt lgkmcnt(0)
	v_mul_f32_e32 v28, v31, v17
	v_mul_f32_e32 v36, v31, v19
	v_fma_f32 v28, v30, v16, -v28
	v_mul_f32_e32 v29, v30, v17
	v_fma_f32 v36, v30, v18, -v36
	v_mul_f32_e32 v30, v30, v19
	v_fmac_f32_e32 v30, v31, v18
	v_add_f32_e32 v25, v25, v30
	v_mul_f32_e32 v30, v23, v17
	v_mul_f32_e32 v17, v22, v17
	v_fmac_f32_e32 v17, v23, v16
	v_fmac_f32_e32 v29, v31, v16
	v_fma_f32 v30, v22, v16, -v30
	v_add_f32_e32 v27, v27, v17
	v_mul_f32_e32 v16, v23, v19
	v_mul_f32_e32 v17, v22, v19
	v_fma_f32 v16, v22, v18, -v16
	v_fmac_f32_e32 v17, v23, v18
	v_add_f32_e32 v26, v26, v30
	v_add_f32_e32 v30, v20, v16
	;; [unrolled: 1-line block ×3, first 2 shown]
	ds_read2_b64 v[16:19], v12 offset0:128 offset1:144
	v_add_f32_e32 v28, v38, v28
	v_add_f32_e32 v29, v39, v29
	;; [unrolled: 1-line block ×3, first 2 shown]
	s_waitcnt lgkmcnt(0)
	v_mul_f32_e32 v20, v33, v17
	v_mul_f32_e32 v21, v32, v17
	v_fma_f32 v20, v32, v16, -v20
	v_fmac_f32_e32 v21, v33, v16
	v_add_f32_e32 v28, v28, v20
	v_add_f32_e32 v29, v29, v21
	v_mul_f32_e32 v20, v33, v19
	v_mul_f32_e32 v21, v32, v19
	v_fma_f32 v20, v32, v18, -v20
	v_fmac_f32_e32 v21, v33, v18
	v_add_f32_e32 v24, v24, v20
	v_add_f32_e32 v25, v25, v21
	ds_read_b128 v[20:23], v13 offset:1056
	s_waitcnt lgkmcnt(0)
	v_mul_f32_e32 v32, v21, v17
	v_mul_f32_e32 v17, v20, v17
	v_fmac_f32_e32 v17, v21, v16
	v_fma_f32 v32, v20, v16, -v32
	v_add_f32_e32 v27, v27, v17
	v_mul_f32_e32 v16, v21, v19
	v_mul_f32_e32 v17, v20, v19
	v_fma_f32 v16, v20, v18, -v16
	v_fmac_f32_e32 v17, v21, v18
	v_add_f32_e32 v20, v30, v16
	v_add_f32_e32 v21, v31, v17
	ds_read2_b64 v[16:19], v12 offset0:160 offset1:176
	v_add_f32_e32 v26, v26, v32
	s_waitcnt lgkmcnt(0)
	v_mul_f32_e32 v30, v35, v17
	v_fma_f32 v30, v34, v16, -v30
	v_add_f32_e32 v28, v28, v30
	v_mul_f32_e32 v30, v35, v19
	v_fma_f32 v30, v34, v18, -v30
	v_mul_f32_e32 v31, v34, v17
	v_add_f32_e32 v24, v24, v30
	v_mul_f32_e32 v30, v23, v17
	v_mul_f32_e32 v17, v22, v17
	v_fmac_f32_e32 v17, v23, v16
	v_fmac_f32_e32 v31, v35, v16
	v_fma_f32 v30, v22, v16, -v30
	v_add_f32_e32 v27, v27, v17
	v_mul_f32_e32 v16, v23, v19
	v_mul_f32_e32 v17, v22, v19
	v_add_f32_e32 v29, v29, v31
	v_mul_f32_e32 v31, v34, v19
	v_fma_f32 v16, v22, v18, -v16
	v_fmac_f32_e32 v17, v23, v18
	v_fmac_f32_e32 v31, v35, v18
	v_add_f32_e32 v20, v20, v16
	v_add_f32_e32 v21, v21, v17
	ds_read2_b64 v[16:19], v12 offset0:192 offset1:208
	v_add_f32_e32 v26, v26, v30
	v_add_f32_e32 v25, v25, v31
	s_waitcnt lgkmcnt(0)
	v_mul_f32_e32 v22, v3, v17
	v_fma_f32 v22, v2, v16, -v22
	v_add_f32_e32 v30, v28, v22
	v_mul_f32_e32 v22, v3, v19
	v_mul_f32_e32 v23, v2, v17
	v_fma_f32 v22, v2, v18, -v22
	v_mul_f32_e32 v2, v2, v19
	v_fmac_f32_e32 v23, v3, v16
	v_fmac_f32_e32 v2, v3, v18
	v_add_f32_e32 v31, v29, v23
	v_add_f32_e32 v3, v24, v22
	;; [unrolled: 1-line block ×3, first 2 shown]
	ds_read_b128 v[22:25], v13 offset:1072
	s_waitcnt lgkmcnt(0)
	v_mul_f32_e32 v28, v23, v17
	v_fma_f32 v28, v22, v16, -v28
	v_mul_f32_e32 v17, v22, v17
	v_fmac_f32_e32 v17, v23, v16
	v_add_f32_e32 v16, v26, v28
	v_mul_f32_e32 v26, v23, v19
	v_fma_f32 v26, v22, v18, -v26
	v_add_f32_e32 v17, v27, v17
	v_add_f32_e32 v32, v20, v26
	ds_read2_b64 v[26:29], v12 offset0:224 offset1:240
	v_mul_f32_e32 v19, v22, v19
	v_fmac_f32_e32 v19, v23, v18
	v_add_f32_e32 v33, v21, v19
	s_waitcnt lgkmcnt(0)
	v_mul_f32_e32 v18, v5, v27
	v_fma_f32 v18, v4, v26, -v18
	v_add_f32_e32 v22, v30, v18
	v_mul_f32_e32 v18, v5, v29
	v_mul_f32_e32 v19, v4, v27
	v_fma_f32 v18, v4, v28, -v18
	v_mul_f32_e32 v4, v4, v29
	v_fmac_f32_e32 v4, v5, v28
	v_add_f32_e32 v21, v3, v18
	v_add_f32_e32 v20, v2, v4
	v_mul_f32_e32 v2, v25, v27
	v_mul_f32_e32 v3, v24, v27
	v_fmac_f32_e32 v19, v5, v26
	v_fma_f32 v2, v24, v26, -v2
	v_fmac_f32_e32 v3, v25, v26
	v_add_f32_e32 v23, v31, v19
	v_add_f32_e32 v19, v16, v2
	;; [unrolled: 1-line block ×3, first 2 shown]
	v_mul_f32_e32 v2, v25, v29
	v_mul_f32_e32 v3, v24, v29
	v_fma_f32 v2, v24, v28, -v2
	v_fmac_f32_e32 v3, v25, v28
	v_add_f32_e32 v17, v32, v2
	v_add_f32_e32 v16, v33, v3
	v_mov_b32_e32 v2, s8
	v_mov_b32_e32 v3, s9
	v_cmp_le_u64_e32 vcc, s[0:1], v[2:3]
	s_barrier
	s_cbranch_vccz .LBB1698_2
	s_branch .LBB1698_4
.LBB1698_3:
	v_mov_b32_e32 v22, 0
	v_mov_b32_e32 v23, 0
	;; [unrolled: 1-line block ×8, first 2 shown]
.LBB1698_4:
	v_add_u32_e32 v5, s19, v1
	v_ashrrev_i32_e32 v1, 31, v5
	v_mul_lo_u32 v3, s14, v1
	v_mul_lo_u32 v4, s15, v5
	v_mad_u64_u32 v[1:2], s[0:1], s14, v5, 0
	s_load_dword s4, s[4:5], 0x0
	v_add_u32_e32 v0, s18, v0
	v_add3_u32 v2, v2, v3, v4
	v_lshlrev_b64 v[1:2], 3, v[1:2]
	s_waitcnt lgkmcnt(0)
	v_mov_b32_e32 v3, s13
	v_add_co_u32_e32 v4, vcc, s12, v1
	v_addc_co_u32_e32 v6, vcc, v3, v2, vcc
	v_cmp_le_i32_e64 s[0:1], v5, v0
	v_cmp_gt_i32_e32 vcc, s4, v0
	s_and_b64 s[0:1], s[0:1], vcc
	s_and_saveexec_b64 s[2:3], s[0:1]
	s_cbranch_execz .LBB1698_7
; %bb.5:
	v_ashrrev_i32_e32 v1, 31, v0
	v_lshlrev_b64 v[1:2], 3, v[0:1]
	v_add_co_u32_e64 v1, s[0:1], v4, v1
	v_addc_co_u32_e64 v2, s[0:1], v6, v2, s[0:1]
	flat_load_dwordx2 v[7:8], v[1:2]
	v_cmp_eq_u32_e64 s[0:1], v5, v0
	s_waitcnt vmcnt(0) lgkmcnt(0)
	v_add_f32_e32 v7, v22, v7
	v_add_f32_e32 v8, v23, v8
	flat_store_dwordx2 v[1:2], v[7:8]
	s_and_b64 exec, exec, s[0:1]
	s_cbranch_execz .LBB1698_7
; %bb.6:
	v_mov_b32_e32 v3, 0
	flat_store_dword v[1:2], v3 offset:4
.LBB1698_7:
	s_or_b64 exec, exec, s[2:3]
	v_add_u32_e32 v2, 16, v0
	v_cmp_le_i32_e64 s[2:3], v5, v2
	v_cmp_gt_i32_e64 s[0:1], s4, v2
	s_and_b64 s[2:3], s[2:3], s[0:1]
	s_and_saveexec_b64 s[4:5], s[2:3]
	s_cbranch_execz .LBB1698_10
; %bb.8:
	v_ashrrev_i32_e32 v3, 31, v2
	v_lshlrev_b64 v[7:8], 3, v[2:3]
	v_add_co_u32_e64 v3, s[2:3], v4, v7
	v_addc_co_u32_e64 v4, s[2:3], v6, v8, s[2:3]
	flat_load_dwordx2 v[6:7], v[3:4]
	v_cmp_eq_u32_e64 s[2:3], v5, v2
	s_waitcnt vmcnt(0) lgkmcnt(0)
	v_add_f32_e32 v6, v21, v6
	v_add_f32_e32 v7, v20, v7
	flat_store_dwordx2 v[3:4], v[6:7]
	s_and_b64 exec, exec, s[2:3]
	s_cbranch_execz .LBB1698_10
; %bb.9:
	v_mov_b32_e32 v1, 0
	flat_store_dword v[3:4], v1 offset:4
.LBB1698_10:
	s_or_b64 exec, exec, s[4:5]
	v_add_u32_e32 v6, 16, v5
	v_ashrrev_i32_e32 v1, 31, v6
	v_mul_lo_u32 v7, s15, v6
	v_mad_u64_u32 v[3:4], s[2:3], s14, v6, 0
	v_mul_lo_u32 v1, s14, v1
	v_add3_u32 v4, v4, v1, v7
	v_lshlrev_b64 v[3:4], 3, v[3:4]
	v_mov_b32_e32 v1, s13
	v_add_co_u32_e64 v7, s[2:3], s12, v3
	v_addc_co_u32_e64 v8, s[2:3], v1, v4, s[2:3]
	v_cmp_le_i32_e64 s[2:3], v6, v0
	s_and_b64 s[4:5], s[2:3], vcc
	s_and_saveexec_b64 s[2:3], s[4:5]
	s_cbranch_execz .LBB1698_13
; %bb.11:
	v_ashrrev_i32_e32 v1, 31, v0
	v_lshlrev_b64 v[3:4], 3, v[0:1]
	v_add_co_u32_e32 v3, vcc, v7, v3
	v_addc_co_u32_e32 v4, vcc, v8, v4, vcc
	flat_load_dwordx2 v[9:10], v[3:4]
	v_cmp_eq_u32_e32 vcc, v6, v0
	s_waitcnt vmcnt(0) lgkmcnt(0)
	v_add_f32_e32 v9, v19, v9
	v_add_f32_e32 v10, v18, v10
	flat_store_dwordx2 v[3:4], v[9:10]
	s_and_b64 exec, exec, vcc
	s_cbranch_execz .LBB1698_13
; %bb.12:
	v_mov_b32_e32 v1, 0
	flat_store_dword v[3:4], v1 offset:4
.LBB1698_13:
	s_or_b64 exec, exec, s[2:3]
	v_cmp_le_i32_e32 vcc, v6, v2
	s_and_b64 s[0:1], vcc, s[0:1]
	s_and_saveexec_b64 s[2:3], s[0:1]
	s_cbranch_execz .LBB1698_16
; %bb.14:
	v_ashrrev_i32_e32 v3, 31, v2
	v_lshlrev_b64 v[1:2], 3, v[2:3]
	v_add_co_u32_e32 v1, vcc, v7, v1
	v_addc_co_u32_e32 v2, vcc, v8, v2, vcc
	flat_load_dwordx2 v[3:4], v[1:2]
	v_cmp_eq_u32_e32 vcc, v5, v0
	s_waitcnt vmcnt(0) lgkmcnt(0)
	v_add_f32_e32 v3, v17, v3
	v_add_f32_e32 v4, v16, v4
	flat_store_dwordx2 v[1:2], v[3:4]
	s_and_b64 exec, exec, vcc
	s_cbranch_execz .LBB1698_16
; %bb.15:
	v_mov_b32_e32 v0, 0
	flat_store_dword v[1:2], v0 offset:4
.LBB1698_16:
	s_endpgm
	.section	.rodata,"a",@progbits
	.p2align	6, 0x0
	.amdhsa_kernel _ZL37rocblas_syrkx_herkx_restricted_kernelIl19rocblas_complex_numIfELi16ELi32ELi8ELi1ELi1ELb1ELc78ELc76EKPKS1_KPS1_EviT_PT9_S7_lS9_S7_lPT10_S7_li
		.amdhsa_group_segment_fixed_size 4096
		.amdhsa_private_segment_fixed_size 0
		.amdhsa_kernarg_size 92
		.amdhsa_user_sgpr_count 6
		.amdhsa_user_sgpr_private_segment_buffer 1
		.amdhsa_user_sgpr_dispatch_ptr 0
		.amdhsa_user_sgpr_queue_ptr 0
		.amdhsa_user_sgpr_kernarg_segment_ptr 1
		.amdhsa_user_sgpr_dispatch_id 0
		.amdhsa_user_sgpr_flat_scratch_init 0
		.amdhsa_user_sgpr_private_segment_size 0
		.amdhsa_uses_dynamic_stack 0
		.amdhsa_system_sgpr_private_segment_wavefront_offset 0
		.amdhsa_system_sgpr_workgroup_id_x 1
		.amdhsa_system_sgpr_workgroup_id_y 1
		.amdhsa_system_sgpr_workgroup_id_z 1
		.amdhsa_system_sgpr_workgroup_info 0
		.amdhsa_system_vgpr_workitem_id 1
		.amdhsa_next_free_vgpr 43
		.amdhsa_next_free_sgpr 22
		.amdhsa_reserve_vcc 1
		.amdhsa_reserve_flat_scratch 0
		.amdhsa_float_round_mode_32 0
		.amdhsa_float_round_mode_16_64 0
		.amdhsa_float_denorm_mode_32 3
		.amdhsa_float_denorm_mode_16_64 3
		.amdhsa_dx10_clamp 1
		.amdhsa_ieee_mode 1
		.amdhsa_fp16_overflow 0
		.amdhsa_exception_fp_ieee_invalid_op 0
		.amdhsa_exception_fp_denorm_src 0
		.amdhsa_exception_fp_ieee_div_zero 0
		.amdhsa_exception_fp_ieee_overflow 0
		.amdhsa_exception_fp_ieee_underflow 0
		.amdhsa_exception_fp_ieee_inexact 0
		.amdhsa_exception_int_div_zero 0
	.end_amdhsa_kernel
	.section	.text._ZL37rocblas_syrkx_herkx_restricted_kernelIl19rocblas_complex_numIfELi16ELi32ELi8ELi1ELi1ELb1ELc78ELc76EKPKS1_KPS1_EviT_PT9_S7_lS9_S7_lPT10_S7_li,"axG",@progbits,_ZL37rocblas_syrkx_herkx_restricted_kernelIl19rocblas_complex_numIfELi16ELi32ELi8ELi1ELi1ELb1ELc78ELc76EKPKS1_KPS1_EviT_PT9_S7_lS9_S7_lPT10_S7_li,comdat
.Lfunc_end1698:
	.size	_ZL37rocblas_syrkx_herkx_restricted_kernelIl19rocblas_complex_numIfELi16ELi32ELi8ELi1ELi1ELb1ELc78ELc76EKPKS1_KPS1_EviT_PT9_S7_lS9_S7_lPT10_S7_li, .Lfunc_end1698-_ZL37rocblas_syrkx_herkx_restricted_kernelIl19rocblas_complex_numIfELi16ELi32ELi8ELi1ELi1ELb1ELc78ELc76EKPKS1_KPS1_EviT_PT9_S7_lS9_S7_lPT10_S7_li
                                        ; -- End function
	.set _ZL37rocblas_syrkx_herkx_restricted_kernelIl19rocblas_complex_numIfELi16ELi32ELi8ELi1ELi1ELb1ELc78ELc76EKPKS1_KPS1_EviT_PT9_S7_lS9_S7_lPT10_S7_li.num_vgpr, 43
	.set _ZL37rocblas_syrkx_herkx_restricted_kernelIl19rocblas_complex_numIfELi16ELi32ELi8ELi1ELi1ELb1ELc78ELc76EKPKS1_KPS1_EviT_PT9_S7_lS9_S7_lPT10_S7_li.num_agpr, 0
	.set _ZL37rocblas_syrkx_herkx_restricted_kernelIl19rocblas_complex_numIfELi16ELi32ELi8ELi1ELi1ELb1ELc78ELc76EKPKS1_KPS1_EviT_PT9_S7_lS9_S7_lPT10_S7_li.numbered_sgpr, 22
	.set _ZL37rocblas_syrkx_herkx_restricted_kernelIl19rocblas_complex_numIfELi16ELi32ELi8ELi1ELi1ELb1ELc78ELc76EKPKS1_KPS1_EviT_PT9_S7_lS9_S7_lPT10_S7_li.num_named_barrier, 0
	.set _ZL37rocblas_syrkx_herkx_restricted_kernelIl19rocblas_complex_numIfELi16ELi32ELi8ELi1ELi1ELb1ELc78ELc76EKPKS1_KPS1_EviT_PT9_S7_lS9_S7_lPT10_S7_li.private_seg_size, 0
	.set _ZL37rocblas_syrkx_herkx_restricted_kernelIl19rocblas_complex_numIfELi16ELi32ELi8ELi1ELi1ELb1ELc78ELc76EKPKS1_KPS1_EviT_PT9_S7_lS9_S7_lPT10_S7_li.uses_vcc, 1
	.set _ZL37rocblas_syrkx_herkx_restricted_kernelIl19rocblas_complex_numIfELi16ELi32ELi8ELi1ELi1ELb1ELc78ELc76EKPKS1_KPS1_EviT_PT9_S7_lS9_S7_lPT10_S7_li.uses_flat_scratch, 0
	.set _ZL37rocblas_syrkx_herkx_restricted_kernelIl19rocblas_complex_numIfELi16ELi32ELi8ELi1ELi1ELb1ELc78ELc76EKPKS1_KPS1_EviT_PT9_S7_lS9_S7_lPT10_S7_li.has_dyn_sized_stack, 0
	.set _ZL37rocblas_syrkx_herkx_restricted_kernelIl19rocblas_complex_numIfELi16ELi32ELi8ELi1ELi1ELb1ELc78ELc76EKPKS1_KPS1_EviT_PT9_S7_lS9_S7_lPT10_S7_li.has_recursion, 0
	.set _ZL37rocblas_syrkx_herkx_restricted_kernelIl19rocblas_complex_numIfELi16ELi32ELi8ELi1ELi1ELb1ELc78ELc76EKPKS1_KPS1_EviT_PT9_S7_lS9_S7_lPT10_S7_li.has_indirect_call, 0
	.section	.AMDGPU.csdata,"",@progbits
; Kernel info:
; codeLenInByte = 2112
; TotalNumSgprs: 26
; NumVgprs: 43
; ScratchSize: 0
; MemoryBound: 0
; FloatMode: 240
; IeeeMode: 1
; LDSByteSize: 4096 bytes/workgroup (compile time only)
; SGPRBlocks: 3
; VGPRBlocks: 10
; NumSGPRsForWavesPerEU: 26
; NumVGPRsForWavesPerEU: 43
; Occupancy: 5
; WaveLimiterHint : 1
; COMPUTE_PGM_RSRC2:SCRATCH_EN: 0
; COMPUTE_PGM_RSRC2:USER_SGPR: 6
; COMPUTE_PGM_RSRC2:TRAP_HANDLER: 0
; COMPUTE_PGM_RSRC2:TGID_X_EN: 1
; COMPUTE_PGM_RSRC2:TGID_Y_EN: 1
; COMPUTE_PGM_RSRC2:TGID_Z_EN: 1
; COMPUTE_PGM_RSRC2:TIDIG_COMP_CNT: 1
	.section	.text._ZL37rocblas_syrkx_herkx_restricted_kernelIl19rocblas_complex_numIfELi16ELi32ELi8ELi1ELi1ELb1ELc84ELc85EKPKS1_KPS1_EviT_PT9_S7_lS9_S7_lPT10_S7_li,"axG",@progbits,_ZL37rocblas_syrkx_herkx_restricted_kernelIl19rocblas_complex_numIfELi16ELi32ELi8ELi1ELi1ELb1ELc84ELc85EKPKS1_KPS1_EviT_PT9_S7_lS9_S7_lPT10_S7_li,comdat
	.globl	_ZL37rocblas_syrkx_herkx_restricted_kernelIl19rocblas_complex_numIfELi16ELi32ELi8ELi1ELi1ELb1ELc84ELc85EKPKS1_KPS1_EviT_PT9_S7_lS9_S7_lPT10_S7_li ; -- Begin function _ZL37rocblas_syrkx_herkx_restricted_kernelIl19rocblas_complex_numIfELi16ELi32ELi8ELi1ELi1ELb1ELc84ELc85EKPKS1_KPS1_EviT_PT9_S7_lS9_S7_lPT10_S7_li
	.p2align	8
	.type	_ZL37rocblas_syrkx_herkx_restricted_kernelIl19rocblas_complex_numIfELi16ELi32ELi8ELi1ELi1ELb1ELc84ELc85EKPKS1_KPS1_EviT_PT9_S7_lS9_S7_lPT10_S7_li,@function
_ZL37rocblas_syrkx_herkx_restricted_kernelIl19rocblas_complex_numIfELi16ELi32ELi8ELi1ELi1ELb1ELc84ELc85EKPKS1_KPS1_EviT_PT9_S7_lS9_S7_lPT10_S7_li: ; @_ZL37rocblas_syrkx_herkx_restricted_kernelIl19rocblas_complex_numIfELi16ELi32ELi8ELi1ELi1ELb1ELc84ELc85EKPKS1_KPS1_EviT_PT9_S7_lS9_S7_lPT10_S7_li
; %bb.0:
	s_load_dwordx4 s[0:3], s[4:5], 0x40
	s_load_dwordx4 s[12:15], s[4:5], 0x8
	s_mov_b32 s9, 0
	s_lshl_b64 s[10:11], s[8:9], 3
	s_waitcnt lgkmcnt(0)
	s_add_u32 s0, s0, s10
	s_addc_u32 s1, s1, s11
	s_load_dwordx2 s[8:9], s[0:1], 0x0
	v_cmp_lt_i64_e64 s[0:1], s[12:13], 1
	s_lshl_b32 s6, s6, 5
	s_lshl_b32 s7, s7, 5
	s_and_b64 vcc, exec, s[0:1]
	s_cbranch_vccnz .LBB1699_3
; %bb.1:
	s_load_dwordx2 s[0:1], s[4:5], 0x18
	s_load_dwordx4 s[16:19], s[4:5], 0x28
	v_lshl_add_u32 v4, v1, 4, v0
	v_lshrrev_b32_e32 v6, 3, v4
	v_add_u32_e32 v2, s7, v6
	v_ashrrev_i32_e32 v3, 31, v2
	v_and_b32_e32 v9, 7, v0
	v_mov_b32_e32 v10, 0
	s_waitcnt lgkmcnt(0)
	v_mul_lo_u32 v5, s18, v3
	v_mul_lo_u32 v7, s19, v2
	v_mad_u64_u32 v[2:3], s[18:19], s18, v2, v[9:10]
	s_add_u32 s14, s14, s10
	s_addc_u32 s15, s15, s11
	v_add3_u32 v3, v7, v3, v5
	v_and_b32_e32 v7, 31, v4
	v_lshrrev_b32_e32 v4, 5, v4
	v_lshlrev_b32_e32 v8, 3, v7
	v_lshl_or_b32 v11, v4, 8, v8
	v_lshlrev_b32_e32 v8, 3, v9
	v_lshl_or_b32 v6, v6, 6, v8
	v_add_u32_e32 v12, 0x800, v6
	v_add_u32_e32 v6, s6, v7
	s_add_u32 s10, s16, s10
	v_mov_b32_e32 v5, v10
	v_ashrrev_i32_e32 v7, 31, v6
	s_addc_u32 s11, s17, s11
	v_mul_lo_u32 v7, s0, v7
	v_mad_u64_u32 v[4:5], s[16:17], s0, v6, v[4:5]
	v_mul_lo_u32 v6, s1, v6
	s_load_dwordx2 s[14:15], s[14:15], 0x0
	v_lshlrev_b64 v[2:3], 3, v[2:3]
	s_load_dwordx2 s[10:11], s[10:11], 0x0
	v_add3_u32 v5, v6, v5, v7
	v_lshlrev_b64 v[4:5], 3, v[4:5]
	s_waitcnt lgkmcnt(0)
	v_mov_b32_e32 v7, s15
	v_add_co_u32_e32 v6, vcc, s14, v4
	v_mov_b32_e32 v8, 0x800
	v_addc_co_u32_e32 v7, vcc, v7, v5, vcc
	v_lshl_add_u32 v14, v1, 6, v8
	v_mov_b32_e32 v4, s11
	v_add_co_u32_e32 v8, vcc, s10, v2
	v_lshlrev_b32_e32 v13, 3, v0
	v_addc_co_u32_e32 v9, vcc, v4, v3, vcc
	s_mov_b64 s[0:1], 0
	v_mov_b32_e32 v15, v10
	v_mov_b32_e32 v16, v10
	;; [unrolled: 1-line block ×7, first 2 shown]
.LBB1699_2:                             ; =>This Inner Loop Header: Depth=1
	flat_load_dwordx2 v[2:3], v[6:7]
	s_add_u32 s0, s0, 8
	v_add_co_u32_e32 v6, vcc, 64, v6
	s_addc_u32 s1, s1, 0
	v_addc_co_u32_e32 v7, vcc, 0, v7, vcc
	s_waitcnt vmcnt(0) lgkmcnt(0)
	ds_write_b64 v11, v[2:3]
	flat_load_dwordx2 v[2:3], v[8:9]
	v_add_co_u32_e32 v8, vcc, 64, v8
	v_addc_co_u32_e32 v9, vcc, 0, v9, vcc
	s_waitcnt vmcnt(0) lgkmcnt(0)
	ds_write_b64 v12, v[2:3]
	s_waitcnt lgkmcnt(0)
	s_barrier
	ds_read_b128 v[22:25], v14
	ds_read_b128 v[26:29], v14 offset:16
	ds_read_b128 v[30:33], v14 offset:32
	;; [unrolled: 1-line block ×3, first 2 shown]
	ds_read2_b64 v[34:37], v13 offset1:16
	s_waitcnt lgkmcnt(0)
	v_mul_f32_e32 v38, v23, v35
	v_mul_f32_e32 v39, v22, v35
	v_fma_f32 v38, v22, v34, -v38
	v_fmac_f32_e32 v39, v23, v34
	v_add_f32_e32 v38, v20, v38
	v_add_f32_e32 v39, v21, v39
	v_mul_f32_e32 v20, v23, v37
	v_mul_f32_e32 v21, v22, v37
	v_fma_f32 v20, v22, v36, -v20
	v_fmac_f32_e32 v21, v23, v36
	v_add_f32_e32 v22, v19, v20
	v_add_f32_e32 v23, v18, v21
	ds_read_b128 v[18:21], v14 offset:1024
	s_waitcnt lgkmcnt(0)
	v_mul_f32_e32 v40, v19, v35
	v_mul_f32_e32 v35, v18, v35
	v_fma_f32 v40, v18, v34, -v40
	v_fmac_f32_e32 v35, v19, v34
	v_add_f32_e32 v34, v17, v40
	v_add_f32_e32 v35, v16, v35
	v_mul_f32_e32 v16, v19, v37
	v_mul_f32_e32 v17, v18, v37
	v_fma_f32 v16, v18, v36, -v16
	v_fmac_f32_e32 v17, v19, v36
	v_add_f32_e32 v19, v15, v16
	v_add_f32_e32 v10, v10, v17
	ds_read2_b64 v[15:18], v13 offset0:32 offset1:48
	s_waitcnt lgkmcnt(0)
	v_mul_f32_e32 v36, v25, v16
	v_fma_f32 v36, v24, v15, -v36
	v_add_f32_e32 v36, v38, v36
	v_mul_f32_e32 v38, v25, v18
	v_mul_f32_e32 v37, v24, v16
	v_fma_f32 v38, v24, v17, -v38
	v_mul_f32_e32 v24, v24, v18
	v_fmac_f32_e32 v24, v25, v17
	v_add_f32_e32 v23, v23, v24
	v_mul_f32_e32 v24, v21, v16
	v_mul_f32_e32 v16, v20, v16
	v_fmac_f32_e32 v16, v21, v15
	v_fmac_f32_e32 v37, v25, v15
	v_fma_f32 v24, v20, v15, -v24
	v_add_f32_e32 v25, v35, v16
	v_mul_f32_e32 v15, v21, v18
	v_mul_f32_e32 v16, v20, v18
	v_fma_f32 v15, v20, v17, -v15
	v_fmac_f32_e32 v16, v21, v17
	v_add_f32_e32 v24, v34, v24
	v_add_f32_e32 v34, v19, v15
	;; [unrolled: 1-line block ×3, first 2 shown]
	ds_read2_b64 v[15:18], v13 offset0:64 offset1:80
	v_add_f32_e32 v37, v39, v37
	v_add_f32_e32 v22, v22, v38
	s_waitcnt lgkmcnt(0)
	v_mul_f32_e32 v19, v27, v16
	v_mul_f32_e32 v20, v26, v16
	v_fma_f32 v19, v26, v15, -v19
	v_fmac_f32_e32 v20, v27, v15
	v_add_f32_e32 v35, v36, v19
	v_add_f32_e32 v36, v37, v20
	v_mul_f32_e32 v19, v27, v18
	v_mul_f32_e32 v20, v26, v18
	v_fma_f32 v19, v26, v17, -v19
	v_fmac_f32_e32 v20, v27, v17
	v_add_f32_e32 v26, v22, v19
	v_add_f32_e32 v23, v23, v20
	ds_read_b128 v[19:22], v14 offset:1040
	s_waitcnt lgkmcnt(0)
	v_mul_f32_e32 v27, v20, v16
	v_mul_f32_e32 v16, v19, v16
	v_fmac_f32_e32 v16, v20, v15
	v_fma_f32 v27, v19, v15, -v27
	v_add_f32_e32 v25, v25, v16
	v_mul_f32_e32 v15, v20, v18
	v_mul_f32_e32 v16, v19, v18
	v_fma_f32 v15, v19, v17, -v15
	v_fmac_f32_e32 v16, v20, v17
	v_add_f32_e32 v19, v34, v15
	v_add_f32_e32 v10, v10, v16
	ds_read2_b64 v[15:18], v13 offset0:96 offset1:112
	v_add_f32_e32 v24, v24, v27
	s_waitcnt lgkmcnt(0)
	v_mul_f32_e32 v20, v29, v16
	v_mul_f32_e32 v34, v29, v18
	v_fma_f32 v20, v28, v15, -v20
	v_mul_f32_e32 v27, v28, v16
	v_fma_f32 v34, v28, v17, -v34
	v_mul_f32_e32 v28, v28, v18
	v_fmac_f32_e32 v28, v29, v17
	v_add_f32_e32 v23, v23, v28
	v_mul_f32_e32 v28, v22, v16
	v_mul_f32_e32 v16, v21, v16
	v_fmac_f32_e32 v16, v22, v15
	v_fmac_f32_e32 v27, v29, v15
	v_fma_f32 v28, v21, v15, -v28
	v_add_f32_e32 v25, v25, v16
	v_mul_f32_e32 v15, v22, v18
	v_mul_f32_e32 v16, v21, v18
	v_fma_f32 v15, v21, v17, -v15
	v_fmac_f32_e32 v16, v22, v17
	v_add_f32_e32 v24, v24, v28
	v_add_f32_e32 v28, v19, v15
	;; [unrolled: 1-line block ×3, first 2 shown]
	ds_read2_b64 v[15:18], v13 offset0:128 offset1:144
	v_add_f32_e32 v20, v35, v20
	v_add_f32_e32 v27, v36, v27
	;; [unrolled: 1-line block ×3, first 2 shown]
	s_waitcnt lgkmcnt(0)
	v_mul_f32_e32 v19, v31, v16
	v_fma_f32 v19, v30, v15, -v19
	v_mul_f32_e32 v21, v30, v16
	v_add_f32_e32 v29, v20, v19
	v_mul_f32_e32 v19, v31, v18
	v_mul_f32_e32 v20, v30, v18
	v_fmac_f32_e32 v21, v31, v15
	v_fma_f32 v19, v30, v17, -v19
	v_fmac_f32_e32 v20, v31, v17
	v_add_f32_e32 v27, v27, v21
	v_add_f32_e32 v26, v26, v19
	;; [unrolled: 1-line block ×3, first 2 shown]
	ds_read_b128 v[19:22], v14 offset:1056
	s_waitcnt lgkmcnt(0)
	v_mul_f32_e32 v30, v20, v16
	v_mul_f32_e32 v16, v19, v16
	v_fmac_f32_e32 v16, v20, v15
	v_fma_f32 v30, v19, v15, -v30
	v_add_f32_e32 v25, v25, v16
	v_mul_f32_e32 v15, v20, v18
	v_mul_f32_e32 v16, v19, v18
	v_fma_f32 v15, v19, v17, -v15
	v_fmac_f32_e32 v16, v20, v17
	v_add_f32_e32 v19, v28, v15
	v_add_f32_e32 v10, v10, v16
	ds_read2_b64 v[15:18], v13 offset0:160 offset1:176
	v_add_f32_e32 v24, v24, v30
	s_waitcnt lgkmcnt(0)
	v_mul_f32_e32 v28, v32, v16
	v_fmac_f32_e32 v28, v33, v15
	v_add_f32_e32 v27, v27, v28
	v_mul_f32_e32 v28, v33, v18
	v_fma_f32 v28, v32, v17, -v28
	v_mul_f32_e32 v20, v33, v16
	v_add_f32_e32 v26, v26, v28
	v_mul_f32_e32 v28, v22, v16
	v_mul_f32_e32 v16, v21, v16
	v_fmac_f32_e32 v16, v22, v15
	v_fma_f32 v20, v32, v15, -v20
	v_fma_f32 v28, v21, v15, -v28
	v_add_f32_e32 v25, v25, v16
	v_mul_f32_e32 v15, v22, v18
	v_mul_f32_e32 v16, v21, v18
	v_add_f32_e32 v20, v29, v20
	v_mul_f32_e32 v29, v32, v18
	v_fma_f32 v15, v21, v17, -v15
	v_fmac_f32_e32 v16, v22, v17
	v_fmac_f32_e32 v29, v33, v17
	v_add_f32_e32 v19, v19, v15
	v_add_f32_e32 v10, v10, v16
	ds_read2_b64 v[15:18], v13 offset0:192 offset1:208
	v_add_f32_e32 v24, v24, v28
	v_add_f32_e32 v23, v23, v29
	s_waitcnt lgkmcnt(0)
	v_mul_f32_e32 v21, v3, v16
	v_fma_f32 v21, v2, v15, -v21
	v_add_f32_e32 v28, v20, v21
	v_mul_f32_e32 v20, v3, v18
	v_mul_f32_e32 v22, v2, v16
	v_fma_f32 v20, v2, v17, -v20
	v_mul_f32_e32 v2, v2, v18
	v_fmac_f32_e32 v22, v3, v15
	v_fmac_f32_e32 v2, v3, v17
	v_add_f32_e32 v29, v27, v22
	v_add_f32_e32 v3, v26, v20
	;; [unrolled: 1-line block ×3, first 2 shown]
	ds_read_b128 v[20:23], v14 offset:1072
	s_waitcnt lgkmcnt(0)
	v_mul_f32_e32 v26, v21, v16
	v_fma_f32 v26, v20, v15, -v26
	v_mul_f32_e32 v16, v20, v16
	v_fmac_f32_e32 v16, v21, v15
	v_add_f32_e32 v15, v24, v26
	v_mul_f32_e32 v24, v21, v18
	v_fma_f32 v24, v20, v17, -v24
	v_add_f32_e32 v16, v25, v16
	v_add_f32_e32 v30, v19, v24
	ds_read2_b64 v[24:27], v13 offset0:224 offset1:240
	v_mul_f32_e32 v18, v20, v18
	v_fmac_f32_e32 v18, v21, v17
	v_add_f32_e32 v10, v10, v18
	s_waitcnt lgkmcnt(0)
	v_mul_f32_e32 v17, v5, v25
	v_fma_f32 v17, v4, v24, -v17
	v_add_f32_e32 v20, v28, v17
	v_mul_f32_e32 v17, v5, v27
	v_mul_f32_e32 v18, v4, v25
	v_fma_f32 v17, v4, v26, -v17
	v_mul_f32_e32 v4, v4, v27
	v_fmac_f32_e32 v18, v5, v24
	v_fmac_f32_e32 v4, v5, v26
	v_add_f32_e32 v21, v29, v18
	v_add_f32_e32 v19, v3, v17
	;; [unrolled: 1-line block ×3, first 2 shown]
	v_mul_f32_e32 v2, v23, v25
	v_mul_f32_e32 v3, v22, v25
	v_fma_f32 v2, v22, v24, -v2
	v_fmac_f32_e32 v3, v23, v24
	v_add_f32_e32 v17, v15, v2
	v_add_f32_e32 v16, v16, v3
	v_mul_f32_e32 v2, v23, v27
	v_mul_f32_e32 v3, v22, v27
	v_fma_f32 v2, v22, v26, -v2
	v_fmac_f32_e32 v3, v23, v26
	v_add_f32_e32 v15, v30, v2
	v_add_f32_e32 v10, v10, v3
	v_mov_b32_e32 v3, s1
	v_mov_b32_e32 v2, s0
	v_cmp_le_u64_e32 vcc, s[12:13], v[2:3]
	s_barrier
	s_cbranch_vccz .LBB1699_2
	s_branch .LBB1699_4
.LBB1699_3:
	v_mov_b32_e32 v20, 0
	v_mov_b32_e32 v21, 0
	;; [unrolled: 1-line block ×8, first 2 shown]
.LBB1699_4:
	v_add_u32_e32 v5, s7, v1
	v_ashrrev_i32_e32 v1, 31, v5
	v_mul_lo_u32 v3, s2, v1
	v_mul_lo_u32 v4, s3, v5
	v_mad_u64_u32 v[1:2], s[0:1], s2, v5, 0
	s_load_dword s10, s[4:5], 0x0
	v_add_u32_e32 v0, s6, v0
	v_add3_u32 v2, v2, v3, v4
	v_lshlrev_b64 v[1:2], 3, v[1:2]
	s_waitcnt lgkmcnt(0)
	v_mov_b32_e32 v3, s9
	v_add_co_u32_e64 v4, s[0:1], s8, v1
	v_addc_co_u32_e64 v6, s[0:1], v3, v2, s[0:1]
	v_cmp_gt_i32_e32 vcc, s10, v5
	v_cmp_le_i32_e64 s[0:1], v0, v5
	s_and_b64 s[0:1], vcc, s[0:1]
	s_and_saveexec_b64 s[4:5], s[0:1]
	s_cbranch_execz .LBB1699_7
; %bb.5:
	v_ashrrev_i32_e32 v1, 31, v0
	v_lshlrev_b64 v[1:2], 3, v[0:1]
	v_add_co_u32_e64 v1, s[0:1], v4, v1
	v_addc_co_u32_e64 v2, s[0:1], v6, v2, s[0:1]
	flat_load_dwordx2 v[7:8], v[1:2]
	v_cmp_eq_u32_e64 s[0:1], v5, v0
	s_waitcnt vmcnt(0) lgkmcnt(0)
	v_add_f32_e32 v7, v20, v7
	v_add_f32_e32 v8, v21, v8
	flat_store_dwordx2 v[1:2], v[7:8]
	s_and_b64 exec, exec, s[0:1]
	s_cbranch_execz .LBB1699_7
; %bb.6:
	v_mov_b32_e32 v3, 0
	flat_store_dword v[1:2], v3 offset:4
.LBB1699_7:
	s_or_b64 exec, exec, s[4:5]
	v_add_u32_e32 v2, 16, v0
	v_cmp_le_i32_e64 s[0:1], v2, v5
	s_and_b64 s[4:5], vcc, s[0:1]
	s_and_saveexec_b64 s[0:1], s[4:5]
	s_cbranch_execz .LBB1699_10
; %bb.8:
	v_ashrrev_i32_e32 v3, 31, v2
	v_lshlrev_b64 v[7:8], 3, v[2:3]
	v_add_co_u32_e32 v3, vcc, v4, v7
	v_addc_co_u32_e32 v4, vcc, v6, v8, vcc
	flat_load_dwordx2 v[6:7], v[3:4]
	v_cmp_eq_u32_e32 vcc, v5, v2
	s_waitcnt vmcnt(0) lgkmcnt(0)
	v_add_f32_e32 v6, v19, v6
	v_add_f32_e32 v7, v18, v7
	flat_store_dwordx2 v[3:4], v[6:7]
	s_and_b64 exec, exec, vcc
	s_cbranch_execz .LBB1699_10
; %bb.9:
	v_mov_b32_e32 v1, 0
	flat_store_dword v[3:4], v1 offset:4
.LBB1699_10:
	s_or_b64 exec, exec, s[0:1]
	v_add_u32_e32 v6, 16, v5
	v_ashrrev_i32_e32 v1, 31, v6
	v_mul_lo_u32 v1, s2, v1
	v_mul_lo_u32 v7, s3, v6
	v_mad_u64_u32 v[3:4], s[0:1], s2, v6, 0
	v_cmp_gt_i32_e32 vcc, s10, v6
	v_add3_u32 v4, v4, v1, v7
	v_lshlrev_b64 v[3:4], 3, v[3:4]
	v_mov_b32_e32 v1, s9
	v_add_co_u32_e64 v7, s[0:1], s8, v3
	v_addc_co_u32_e64 v8, s[0:1], v1, v4, s[0:1]
	v_cmp_le_i32_e64 s[0:1], v0, v6
	s_and_b64 s[0:1], vcc, s[0:1]
	s_and_saveexec_b64 s[2:3], s[0:1]
	s_cbranch_execz .LBB1699_13
; %bb.11:
	v_ashrrev_i32_e32 v1, 31, v0
	v_lshlrev_b64 v[3:4], 3, v[0:1]
	v_add_co_u32_e64 v3, s[0:1], v7, v3
	v_addc_co_u32_e64 v4, s[0:1], v8, v4, s[0:1]
	flat_load_dwordx2 v[11:12], v[3:4]
	v_cmp_eq_u32_e64 s[0:1], v6, v0
	s_waitcnt vmcnt(0) lgkmcnt(0)
	v_add_f32_e32 v11, v17, v11
	v_add_f32_e32 v12, v16, v12
	flat_store_dwordx2 v[3:4], v[11:12]
	s_and_b64 exec, exec, s[0:1]
	s_cbranch_execz .LBB1699_13
; %bb.12:
	v_mov_b32_e32 v1, 0
	flat_store_dword v[3:4], v1 offset:4
.LBB1699_13:
	s_or_b64 exec, exec, s[2:3]
	v_cmp_le_i32_e64 s[0:1], v2, v6
	s_and_b64 s[0:1], vcc, s[0:1]
	s_and_saveexec_b64 s[2:3], s[0:1]
	s_cbranch_execz .LBB1699_16
; %bb.14:
	v_ashrrev_i32_e32 v3, 31, v2
	v_lshlrev_b64 v[1:2], 3, v[2:3]
	v_add_co_u32_e32 v1, vcc, v7, v1
	v_addc_co_u32_e32 v2, vcc, v8, v2, vcc
	flat_load_dwordx2 v[3:4], v[1:2]
	v_cmp_eq_u32_e32 vcc, v5, v0
	s_waitcnt vmcnt(0) lgkmcnt(0)
	v_add_f32_e32 v3, v15, v3
	v_add_f32_e32 v4, v10, v4
	flat_store_dwordx2 v[1:2], v[3:4]
	s_and_b64 exec, exec, vcc
	s_cbranch_execz .LBB1699_16
; %bb.15:
	v_mov_b32_e32 v0, 0
	flat_store_dword v[1:2], v0 offset:4
.LBB1699_16:
	s_endpgm
	.section	.rodata,"a",@progbits
	.p2align	6, 0x0
	.amdhsa_kernel _ZL37rocblas_syrkx_herkx_restricted_kernelIl19rocblas_complex_numIfELi16ELi32ELi8ELi1ELi1ELb1ELc84ELc85EKPKS1_KPS1_EviT_PT9_S7_lS9_S7_lPT10_S7_li
		.amdhsa_group_segment_fixed_size 4096
		.amdhsa_private_segment_fixed_size 0
		.amdhsa_kernarg_size 92
		.amdhsa_user_sgpr_count 6
		.amdhsa_user_sgpr_private_segment_buffer 1
		.amdhsa_user_sgpr_dispatch_ptr 0
		.amdhsa_user_sgpr_queue_ptr 0
		.amdhsa_user_sgpr_kernarg_segment_ptr 1
		.amdhsa_user_sgpr_dispatch_id 0
		.amdhsa_user_sgpr_flat_scratch_init 0
		.amdhsa_user_sgpr_private_segment_size 0
		.amdhsa_uses_dynamic_stack 0
		.amdhsa_system_sgpr_private_segment_wavefront_offset 0
		.amdhsa_system_sgpr_workgroup_id_x 1
		.amdhsa_system_sgpr_workgroup_id_y 1
		.amdhsa_system_sgpr_workgroup_id_z 1
		.amdhsa_system_sgpr_workgroup_info 0
		.amdhsa_system_vgpr_workitem_id 1
		.amdhsa_next_free_vgpr 41
		.amdhsa_next_free_sgpr 20
		.amdhsa_reserve_vcc 1
		.amdhsa_reserve_flat_scratch 0
		.amdhsa_float_round_mode_32 0
		.amdhsa_float_round_mode_16_64 0
		.amdhsa_float_denorm_mode_32 3
		.amdhsa_float_denorm_mode_16_64 3
		.amdhsa_dx10_clamp 1
		.amdhsa_ieee_mode 1
		.amdhsa_fp16_overflow 0
		.amdhsa_exception_fp_ieee_invalid_op 0
		.amdhsa_exception_fp_denorm_src 0
		.amdhsa_exception_fp_ieee_div_zero 0
		.amdhsa_exception_fp_ieee_overflow 0
		.amdhsa_exception_fp_ieee_underflow 0
		.amdhsa_exception_fp_ieee_inexact 0
		.amdhsa_exception_int_div_zero 0
	.end_amdhsa_kernel
	.section	.text._ZL37rocblas_syrkx_herkx_restricted_kernelIl19rocblas_complex_numIfELi16ELi32ELi8ELi1ELi1ELb1ELc84ELc85EKPKS1_KPS1_EviT_PT9_S7_lS9_S7_lPT10_S7_li,"axG",@progbits,_ZL37rocblas_syrkx_herkx_restricted_kernelIl19rocblas_complex_numIfELi16ELi32ELi8ELi1ELi1ELb1ELc84ELc85EKPKS1_KPS1_EviT_PT9_S7_lS9_S7_lPT10_S7_li,comdat
.Lfunc_end1699:
	.size	_ZL37rocblas_syrkx_herkx_restricted_kernelIl19rocblas_complex_numIfELi16ELi32ELi8ELi1ELi1ELb1ELc84ELc85EKPKS1_KPS1_EviT_PT9_S7_lS9_S7_lPT10_S7_li, .Lfunc_end1699-_ZL37rocblas_syrkx_herkx_restricted_kernelIl19rocblas_complex_numIfELi16ELi32ELi8ELi1ELi1ELb1ELc84ELc85EKPKS1_KPS1_EviT_PT9_S7_lS9_S7_lPT10_S7_li
                                        ; -- End function
	.set _ZL37rocblas_syrkx_herkx_restricted_kernelIl19rocblas_complex_numIfELi16ELi32ELi8ELi1ELi1ELb1ELc84ELc85EKPKS1_KPS1_EviT_PT9_S7_lS9_S7_lPT10_S7_li.num_vgpr, 41
	.set _ZL37rocblas_syrkx_herkx_restricted_kernelIl19rocblas_complex_numIfELi16ELi32ELi8ELi1ELi1ELb1ELc84ELc85EKPKS1_KPS1_EviT_PT9_S7_lS9_S7_lPT10_S7_li.num_agpr, 0
	.set _ZL37rocblas_syrkx_herkx_restricted_kernelIl19rocblas_complex_numIfELi16ELi32ELi8ELi1ELi1ELb1ELc84ELc85EKPKS1_KPS1_EviT_PT9_S7_lS9_S7_lPT10_S7_li.numbered_sgpr, 20
	.set _ZL37rocblas_syrkx_herkx_restricted_kernelIl19rocblas_complex_numIfELi16ELi32ELi8ELi1ELi1ELb1ELc84ELc85EKPKS1_KPS1_EviT_PT9_S7_lS9_S7_lPT10_S7_li.num_named_barrier, 0
	.set _ZL37rocblas_syrkx_herkx_restricted_kernelIl19rocblas_complex_numIfELi16ELi32ELi8ELi1ELi1ELb1ELc84ELc85EKPKS1_KPS1_EviT_PT9_S7_lS9_S7_lPT10_S7_li.private_seg_size, 0
	.set _ZL37rocblas_syrkx_herkx_restricted_kernelIl19rocblas_complex_numIfELi16ELi32ELi8ELi1ELi1ELb1ELc84ELc85EKPKS1_KPS1_EviT_PT9_S7_lS9_S7_lPT10_S7_li.uses_vcc, 1
	.set _ZL37rocblas_syrkx_herkx_restricted_kernelIl19rocblas_complex_numIfELi16ELi32ELi8ELi1ELi1ELb1ELc84ELc85EKPKS1_KPS1_EviT_PT9_S7_lS9_S7_lPT10_S7_li.uses_flat_scratch, 0
	.set _ZL37rocblas_syrkx_herkx_restricted_kernelIl19rocblas_complex_numIfELi16ELi32ELi8ELi1ELi1ELb1ELc84ELc85EKPKS1_KPS1_EviT_PT9_S7_lS9_S7_lPT10_S7_li.has_dyn_sized_stack, 0
	.set _ZL37rocblas_syrkx_herkx_restricted_kernelIl19rocblas_complex_numIfELi16ELi32ELi8ELi1ELi1ELb1ELc84ELc85EKPKS1_KPS1_EviT_PT9_S7_lS9_S7_lPT10_S7_li.has_recursion, 0
	.set _ZL37rocblas_syrkx_herkx_restricted_kernelIl19rocblas_complex_numIfELi16ELi32ELi8ELi1ELi1ELb1ELc84ELc85EKPKS1_KPS1_EviT_PT9_S7_lS9_S7_lPT10_S7_li.has_indirect_call, 0
	.section	.AMDGPU.csdata,"",@progbits
; Kernel info:
; codeLenInByte = 2132
; TotalNumSgprs: 24
; NumVgprs: 41
; ScratchSize: 0
; MemoryBound: 0
; FloatMode: 240
; IeeeMode: 1
; LDSByteSize: 4096 bytes/workgroup (compile time only)
; SGPRBlocks: 2
; VGPRBlocks: 10
; NumSGPRsForWavesPerEU: 24
; NumVGPRsForWavesPerEU: 41
; Occupancy: 5
; WaveLimiterHint : 1
; COMPUTE_PGM_RSRC2:SCRATCH_EN: 0
; COMPUTE_PGM_RSRC2:USER_SGPR: 6
; COMPUTE_PGM_RSRC2:TRAP_HANDLER: 0
; COMPUTE_PGM_RSRC2:TGID_X_EN: 1
; COMPUTE_PGM_RSRC2:TGID_Y_EN: 1
; COMPUTE_PGM_RSRC2:TGID_Z_EN: 1
; COMPUTE_PGM_RSRC2:TIDIG_COMP_CNT: 1
	.section	.text._ZL37rocblas_syrkx_herkx_restricted_kernelIl19rocblas_complex_numIfELi16ELi32ELi8ELi1ELi1ELb1ELc67ELc85EKPKS1_KPS1_EviT_PT9_S7_lS9_S7_lPT10_S7_li,"axG",@progbits,_ZL37rocblas_syrkx_herkx_restricted_kernelIl19rocblas_complex_numIfELi16ELi32ELi8ELi1ELi1ELb1ELc67ELc85EKPKS1_KPS1_EviT_PT9_S7_lS9_S7_lPT10_S7_li,comdat
	.globl	_ZL37rocblas_syrkx_herkx_restricted_kernelIl19rocblas_complex_numIfELi16ELi32ELi8ELi1ELi1ELb1ELc67ELc85EKPKS1_KPS1_EviT_PT9_S7_lS9_S7_lPT10_S7_li ; -- Begin function _ZL37rocblas_syrkx_herkx_restricted_kernelIl19rocblas_complex_numIfELi16ELi32ELi8ELi1ELi1ELb1ELc67ELc85EKPKS1_KPS1_EviT_PT9_S7_lS9_S7_lPT10_S7_li
	.p2align	8
	.type	_ZL37rocblas_syrkx_herkx_restricted_kernelIl19rocblas_complex_numIfELi16ELi32ELi8ELi1ELi1ELb1ELc67ELc85EKPKS1_KPS1_EviT_PT9_S7_lS9_S7_lPT10_S7_li,@function
_ZL37rocblas_syrkx_herkx_restricted_kernelIl19rocblas_complex_numIfELi16ELi32ELi8ELi1ELi1ELb1ELc67ELc85EKPKS1_KPS1_EviT_PT9_S7_lS9_S7_lPT10_S7_li: ; @_ZL37rocblas_syrkx_herkx_restricted_kernelIl19rocblas_complex_numIfELi16ELi32ELi8ELi1ELi1ELb1ELc67ELc85EKPKS1_KPS1_EviT_PT9_S7_lS9_S7_lPT10_S7_li
; %bb.0:
	s_load_dwordx4 s[0:3], s[4:5], 0x40
	s_load_dwordx4 s[12:15], s[4:5], 0x8
	s_mov_b32 s9, 0
	s_lshl_b64 s[10:11], s[8:9], 3
	s_waitcnt lgkmcnt(0)
	s_add_u32 s0, s0, s10
	s_addc_u32 s1, s1, s11
	s_load_dwordx2 s[8:9], s[0:1], 0x0
	v_cmp_lt_i64_e64 s[0:1], s[12:13], 1
	s_lshl_b32 s6, s6, 5
	s_lshl_b32 s7, s7, 5
	s_and_b64 vcc, exec, s[0:1]
	s_cbranch_vccnz .LBB1700_3
; %bb.1:
	s_load_dwordx2 s[0:1], s[4:5], 0x18
	s_load_dwordx4 s[16:19], s[4:5], 0x28
	v_lshl_add_u32 v4, v1, 4, v0
	v_lshrrev_b32_e32 v6, 3, v4
	v_add_u32_e32 v2, s7, v6
	v_ashrrev_i32_e32 v3, 31, v2
	v_and_b32_e32 v9, 7, v0
	v_mov_b32_e32 v10, 0
	s_waitcnt lgkmcnt(0)
	v_mul_lo_u32 v5, s18, v3
	v_mul_lo_u32 v7, s19, v2
	v_mad_u64_u32 v[2:3], s[18:19], s18, v2, v[9:10]
	s_add_u32 s14, s14, s10
	s_addc_u32 s15, s15, s11
	v_add3_u32 v3, v7, v3, v5
	v_and_b32_e32 v7, 31, v4
	v_lshrrev_b32_e32 v4, 5, v4
	v_lshlrev_b32_e32 v8, 3, v7
	v_lshl_or_b32 v11, v4, 8, v8
	v_lshlrev_b32_e32 v8, 3, v9
	v_lshl_or_b32 v6, v6, 6, v8
	v_add_u32_e32 v12, 0x800, v6
	v_add_u32_e32 v6, s6, v7
	s_add_u32 s10, s16, s10
	v_mov_b32_e32 v5, v10
	v_ashrrev_i32_e32 v7, 31, v6
	s_addc_u32 s11, s17, s11
	v_mul_lo_u32 v7, s0, v7
	v_mad_u64_u32 v[4:5], s[16:17], s0, v6, v[4:5]
	v_mul_lo_u32 v6, s1, v6
	s_load_dwordx2 s[14:15], s[14:15], 0x0
	v_lshlrev_b64 v[2:3], 3, v[2:3]
	s_load_dwordx2 s[10:11], s[10:11], 0x0
	v_add3_u32 v5, v6, v5, v7
	v_lshlrev_b64 v[4:5], 3, v[4:5]
	s_waitcnt lgkmcnt(0)
	v_mov_b32_e32 v7, s15
	v_add_co_u32_e32 v6, vcc, s14, v4
	v_mov_b32_e32 v8, 0x800
	v_addc_co_u32_e32 v7, vcc, v7, v5, vcc
	v_lshl_add_u32 v14, v1, 6, v8
	v_mov_b32_e32 v4, s11
	v_add_co_u32_e32 v8, vcc, s10, v2
	v_lshlrev_b32_e32 v13, 3, v0
	v_addc_co_u32_e32 v9, vcc, v4, v3, vcc
	s_mov_b64 s[0:1], 0
	v_mov_b32_e32 v15, v10
	v_mov_b32_e32 v16, v10
	;; [unrolled: 1-line block ×7, first 2 shown]
.LBB1700_2:                             ; =>This Inner Loop Header: Depth=1
	flat_load_dwordx2 v[2:3], v[6:7]
	v_add_co_u32_e32 v6, vcc, 64, v6
	s_add_u32 s0, s0, 8
	v_addc_co_u32_e32 v7, vcc, 0, v7, vcc
	s_addc_u32 s1, s1, 0
	s_waitcnt vmcnt(0) lgkmcnt(0)
	v_xor_b32_e32 v3, 0x80000000, v3
	ds_write_b64 v11, v[2:3]
	flat_load_dwordx2 v[2:3], v[8:9]
	v_add_co_u32_e32 v8, vcc, 64, v8
	v_addc_co_u32_e32 v9, vcc, 0, v9, vcc
	s_waitcnt vmcnt(0) lgkmcnt(0)
	ds_write_b64 v12, v[2:3]
	s_waitcnt lgkmcnt(0)
	s_barrier
	ds_read_b128 v[22:25], v14
	ds_read_b128 v[26:29], v14 offset:16
	ds_read_b128 v[30:33], v14 offset:32
	;; [unrolled: 1-line block ×3, first 2 shown]
	ds_read2_b64 v[34:37], v13 offset1:16
	s_waitcnt lgkmcnt(0)
	v_mul_f32_e32 v38, v23, v35
	v_mul_f32_e32 v39, v22, v35
	v_fma_f32 v38, v22, v34, -v38
	v_fmac_f32_e32 v39, v23, v34
	v_add_f32_e32 v38, v20, v38
	v_add_f32_e32 v39, v21, v39
	v_mul_f32_e32 v20, v23, v37
	v_mul_f32_e32 v21, v22, v37
	v_fma_f32 v20, v22, v36, -v20
	v_fmac_f32_e32 v21, v23, v36
	v_add_f32_e32 v22, v19, v20
	v_add_f32_e32 v23, v18, v21
	ds_read_b128 v[18:21], v14 offset:1024
	s_waitcnt lgkmcnt(0)
	v_mul_f32_e32 v40, v19, v35
	v_mul_f32_e32 v35, v18, v35
	v_fma_f32 v40, v18, v34, -v40
	v_fmac_f32_e32 v35, v19, v34
	v_add_f32_e32 v34, v17, v40
	v_add_f32_e32 v35, v16, v35
	v_mul_f32_e32 v16, v19, v37
	v_mul_f32_e32 v17, v18, v37
	v_fma_f32 v16, v18, v36, -v16
	v_fmac_f32_e32 v17, v19, v36
	v_add_f32_e32 v19, v15, v16
	v_add_f32_e32 v10, v10, v17
	ds_read2_b64 v[15:18], v13 offset0:32 offset1:48
	s_waitcnt lgkmcnt(0)
	v_mul_f32_e32 v36, v25, v16
	v_fma_f32 v36, v24, v15, -v36
	v_add_f32_e32 v36, v38, v36
	v_mul_f32_e32 v38, v25, v18
	v_mul_f32_e32 v37, v24, v16
	v_fma_f32 v38, v24, v17, -v38
	v_mul_f32_e32 v24, v24, v18
	v_fmac_f32_e32 v24, v25, v17
	v_add_f32_e32 v23, v23, v24
	v_mul_f32_e32 v24, v21, v16
	v_mul_f32_e32 v16, v20, v16
	v_fmac_f32_e32 v16, v21, v15
	v_fmac_f32_e32 v37, v25, v15
	v_fma_f32 v24, v20, v15, -v24
	v_add_f32_e32 v25, v35, v16
	v_mul_f32_e32 v15, v21, v18
	v_mul_f32_e32 v16, v20, v18
	v_fma_f32 v15, v20, v17, -v15
	v_fmac_f32_e32 v16, v21, v17
	v_add_f32_e32 v24, v34, v24
	v_add_f32_e32 v34, v19, v15
	;; [unrolled: 1-line block ×3, first 2 shown]
	ds_read2_b64 v[15:18], v13 offset0:64 offset1:80
	v_add_f32_e32 v37, v39, v37
	v_add_f32_e32 v22, v22, v38
	s_waitcnt lgkmcnt(0)
	v_mul_f32_e32 v19, v27, v16
	v_mul_f32_e32 v20, v26, v16
	v_fma_f32 v19, v26, v15, -v19
	v_fmac_f32_e32 v20, v27, v15
	v_add_f32_e32 v35, v36, v19
	v_add_f32_e32 v36, v37, v20
	v_mul_f32_e32 v19, v27, v18
	v_mul_f32_e32 v20, v26, v18
	v_fma_f32 v19, v26, v17, -v19
	v_fmac_f32_e32 v20, v27, v17
	v_add_f32_e32 v26, v22, v19
	v_add_f32_e32 v23, v23, v20
	ds_read_b128 v[19:22], v14 offset:1040
	s_waitcnt lgkmcnt(0)
	v_mul_f32_e32 v27, v20, v16
	v_mul_f32_e32 v16, v19, v16
	v_fmac_f32_e32 v16, v20, v15
	v_fma_f32 v27, v19, v15, -v27
	v_add_f32_e32 v25, v25, v16
	v_mul_f32_e32 v15, v20, v18
	v_mul_f32_e32 v16, v19, v18
	v_fma_f32 v15, v19, v17, -v15
	v_fmac_f32_e32 v16, v20, v17
	v_add_f32_e32 v19, v34, v15
	v_add_f32_e32 v10, v10, v16
	ds_read2_b64 v[15:18], v13 offset0:96 offset1:112
	v_add_f32_e32 v24, v24, v27
	s_waitcnt lgkmcnt(0)
	v_mul_f32_e32 v20, v29, v16
	v_mul_f32_e32 v34, v29, v18
	v_fma_f32 v20, v28, v15, -v20
	v_mul_f32_e32 v27, v28, v16
	v_fma_f32 v34, v28, v17, -v34
	v_mul_f32_e32 v28, v28, v18
	v_fmac_f32_e32 v28, v29, v17
	v_add_f32_e32 v23, v23, v28
	v_mul_f32_e32 v28, v22, v16
	v_mul_f32_e32 v16, v21, v16
	v_fmac_f32_e32 v16, v22, v15
	v_fmac_f32_e32 v27, v29, v15
	v_fma_f32 v28, v21, v15, -v28
	v_add_f32_e32 v25, v25, v16
	v_mul_f32_e32 v15, v22, v18
	v_mul_f32_e32 v16, v21, v18
	v_fma_f32 v15, v21, v17, -v15
	v_fmac_f32_e32 v16, v22, v17
	v_add_f32_e32 v24, v24, v28
	v_add_f32_e32 v28, v19, v15
	;; [unrolled: 1-line block ×3, first 2 shown]
	ds_read2_b64 v[15:18], v13 offset0:128 offset1:144
	v_add_f32_e32 v20, v35, v20
	v_add_f32_e32 v27, v36, v27
	;; [unrolled: 1-line block ×3, first 2 shown]
	s_waitcnt lgkmcnt(0)
	v_mul_f32_e32 v19, v31, v16
	v_fma_f32 v19, v30, v15, -v19
	v_mul_f32_e32 v21, v30, v16
	v_add_f32_e32 v29, v20, v19
	v_mul_f32_e32 v19, v31, v18
	v_mul_f32_e32 v20, v30, v18
	v_fmac_f32_e32 v21, v31, v15
	v_fma_f32 v19, v30, v17, -v19
	v_fmac_f32_e32 v20, v31, v17
	v_add_f32_e32 v27, v27, v21
	v_add_f32_e32 v26, v26, v19
	;; [unrolled: 1-line block ×3, first 2 shown]
	ds_read_b128 v[19:22], v14 offset:1056
	s_waitcnt lgkmcnt(0)
	v_mul_f32_e32 v30, v20, v16
	v_mul_f32_e32 v16, v19, v16
	v_fmac_f32_e32 v16, v20, v15
	v_fma_f32 v30, v19, v15, -v30
	v_add_f32_e32 v25, v25, v16
	v_mul_f32_e32 v15, v20, v18
	v_mul_f32_e32 v16, v19, v18
	v_fma_f32 v15, v19, v17, -v15
	v_fmac_f32_e32 v16, v20, v17
	v_add_f32_e32 v19, v28, v15
	v_add_f32_e32 v10, v10, v16
	ds_read2_b64 v[15:18], v13 offset0:160 offset1:176
	v_add_f32_e32 v24, v24, v30
	s_waitcnt lgkmcnt(0)
	v_mul_f32_e32 v28, v32, v16
	v_fmac_f32_e32 v28, v33, v15
	v_add_f32_e32 v27, v27, v28
	v_mul_f32_e32 v28, v33, v18
	v_fma_f32 v28, v32, v17, -v28
	v_mul_f32_e32 v20, v33, v16
	v_add_f32_e32 v26, v26, v28
	v_mul_f32_e32 v28, v22, v16
	v_mul_f32_e32 v16, v21, v16
	v_fmac_f32_e32 v16, v22, v15
	v_fma_f32 v20, v32, v15, -v20
	v_fma_f32 v28, v21, v15, -v28
	v_add_f32_e32 v25, v25, v16
	v_mul_f32_e32 v15, v22, v18
	v_mul_f32_e32 v16, v21, v18
	v_add_f32_e32 v20, v29, v20
	v_mul_f32_e32 v29, v32, v18
	v_fma_f32 v15, v21, v17, -v15
	v_fmac_f32_e32 v16, v22, v17
	v_fmac_f32_e32 v29, v33, v17
	v_add_f32_e32 v19, v19, v15
	v_add_f32_e32 v10, v10, v16
	ds_read2_b64 v[15:18], v13 offset0:192 offset1:208
	v_add_f32_e32 v24, v24, v28
	v_add_f32_e32 v23, v23, v29
	s_waitcnt lgkmcnt(0)
	v_mul_f32_e32 v21, v3, v16
	v_fma_f32 v21, v2, v15, -v21
	v_add_f32_e32 v28, v20, v21
	v_mul_f32_e32 v20, v3, v18
	v_mul_f32_e32 v22, v2, v16
	v_fma_f32 v20, v2, v17, -v20
	v_mul_f32_e32 v2, v2, v18
	v_fmac_f32_e32 v22, v3, v15
	v_fmac_f32_e32 v2, v3, v17
	v_add_f32_e32 v29, v27, v22
	v_add_f32_e32 v3, v26, v20
	;; [unrolled: 1-line block ×3, first 2 shown]
	ds_read_b128 v[20:23], v14 offset:1072
	s_waitcnt lgkmcnt(0)
	v_mul_f32_e32 v26, v21, v16
	v_fma_f32 v26, v20, v15, -v26
	v_mul_f32_e32 v16, v20, v16
	v_fmac_f32_e32 v16, v21, v15
	v_add_f32_e32 v15, v24, v26
	v_mul_f32_e32 v24, v21, v18
	v_fma_f32 v24, v20, v17, -v24
	v_add_f32_e32 v16, v25, v16
	v_add_f32_e32 v30, v19, v24
	ds_read2_b64 v[24:27], v13 offset0:224 offset1:240
	v_mul_f32_e32 v18, v20, v18
	v_fmac_f32_e32 v18, v21, v17
	v_add_f32_e32 v10, v10, v18
	s_waitcnt lgkmcnt(0)
	v_mul_f32_e32 v17, v5, v25
	v_fma_f32 v17, v4, v24, -v17
	v_add_f32_e32 v20, v28, v17
	v_mul_f32_e32 v17, v5, v27
	v_mul_f32_e32 v18, v4, v25
	v_fma_f32 v17, v4, v26, -v17
	v_mul_f32_e32 v4, v4, v27
	v_fmac_f32_e32 v18, v5, v24
	v_fmac_f32_e32 v4, v5, v26
	v_add_f32_e32 v21, v29, v18
	v_add_f32_e32 v19, v3, v17
	;; [unrolled: 1-line block ×3, first 2 shown]
	v_mul_f32_e32 v2, v23, v25
	v_mul_f32_e32 v3, v22, v25
	v_fma_f32 v2, v22, v24, -v2
	v_fmac_f32_e32 v3, v23, v24
	v_add_f32_e32 v17, v15, v2
	v_add_f32_e32 v16, v16, v3
	v_mul_f32_e32 v2, v23, v27
	v_mul_f32_e32 v3, v22, v27
	v_fma_f32 v2, v22, v26, -v2
	v_fmac_f32_e32 v3, v23, v26
	v_add_f32_e32 v15, v30, v2
	v_add_f32_e32 v10, v10, v3
	v_mov_b32_e32 v3, s1
	v_mov_b32_e32 v2, s0
	v_cmp_le_u64_e32 vcc, s[12:13], v[2:3]
	s_barrier
	s_cbranch_vccz .LBB1700_2
	s_branch .LBB1700_4
.LBB1700_3:
	v_mov_b32_e32 v20, 0
	v_mov_b32_e32 v21, 0
	;; [unrolled: 1-line block ×8, first 2 shown]
.LBB1700_4:
	v_add_u32_e32 v5, s7, v1
	v_ashrrev_i32_e32 v1, 31, v5
	v_mul_lo_u32 v3, s2, v1
	v_mul_lo_u32 v4, s3, v5
	v_mad_u64_u32 v[1:2], s[0:1], s2, v5, 0
	s_load_dword s10, s[4:5], 0x0
	v_add_u32_e32 v0, s6, v0
	v_add3_u32 v2, v2, v3, v4
	v_lshlrev_b64 v[1:2], 3, v[1:2]
	s_waitcnt lgkmcnt(0)
	v_mov_b32_e32 v3, s9
	v_add_co_u32_e64 v4, s[0:1], s8, v1
	v_addc_co_u32_e64 v6, s[0:1], v3, v2, s[0:1]
	v_cmp_gt_i32_e32 vcc, s10, v5
	v_cmp_le_i32_e64 s[0:1], v0, v5
	s_and_b64 s[0:1], vcc, s[0:1]
	s_and_saveexec_b64 s[4:5], s[0:1]
	s_cbranch_execz .LBB1700_7
; %bb.5:
	v_ashrrev_i32_e32 v1, 31, v0
	v_lshlrev_b64 v[1:2], 3, v[0:1]
	v_add_co_u32_e64 v1, s[0:1], v4, v1
	v_addc_co_u32_e64 v2, s[0:1], v6, v2, s[0:1]
	flat_load_dwordx2 v[7:8], v[1:2]
	v_cmp_eq_u32_e64 s[0:1], v5, v0
	s_waitcnt vmcnt(0) lgkmcnt(0)
	v_add_f32_e32 v7, v20, v7
	v_add_f32_e32 v8, v21, v8
	flat_store_dwordx2 v[1:2], v[7:8]
	s_and_b64 exec, exec, s[0:1]
	s_cbranch_execz .LBB1700_7
; %bb.6:
	v_mov_b32_e32 v3, 0
	flat_store_dword v[1:2], v3 offset:4
.LBB1700_7:
	s_or_b64 exec, exec, s[4:5]
	v_add_u32_e32 v2, 16, v0
	v_cmp_le_i32_e64 s[0:1], v2, v5
	s_and_b64 s[4:5], vcc, s[0:1]
	s_and_saveexec_b64 s[0:1], s[4:5]
	s_cbranch_execz .LBB1700_10
; %bb.8:
	v_ashrrev_i32_e32 v3, 31, v2
	v_lshlrev_b64 v[7:8], 3, v[2:3]
	v_add_co_u32_e32 v3, vcc, v4, v7
	v_addc_co_u32_e32 v4, vcc, v6, v8, vcc
	flat_load_dwordx2 v[6:7], v[3:4]
	v_cmp_eq_u32_e32 vcc, v5, v2
	s_waitcnt vmcnt(0) lgkmcnt(0)
	v_add_f32_e32 v6, v19, v6
	v_add_f32_e32 v7, v18, v7
	flat_store_dwordx2 v[3:4], v[6:7]
	s_and_b64 exec, exec, vcc
	s_cbranch_execz .LBB1700_10
; %bb.9:
	v_mov_b32_e32 v1, 0
	flat_store_dword v[3:4], v1 offset:4
.LBB1700_10:
	s_or_b64 exec, exec, s[0:1]
	v_add_u32_e32 v6, 16, v5
	v_ashrrev_i32_e32 v1, 31, v6
	v_mul_lo_u32 v1, s2, v1
	v_mul_lo_u32 v7, s3, v6
	v_mad_u64_u32 v[3:4], s[0:1], s2, v6, 0
	v_cmp_gt_i32_e32 vcc, s10, v6
	v_add3_u32 v4, v4, v1, v7
	v_lshlrev_b64 v[3:4], 3, v[3:4]
	v_mov_b32_e32 v1, s9
	v_add_co_u32_e64 v7, s[0:1], s8, v3
	v_addc_co_u32_e64 v8, s[0:1], v1, v4, s[0:1]
	v_cmp_le_i32_e64 s[0:1], v0, v6
	s_and_b64 s[0:1], vcc, s[0:1]
	s_and_saveexec_b64 s[2:3], s[0:1]
	s_cbranch_execz .LBB1700_13
; %bb.11:
	v_ashrrev_i32_e32 v1, 31, v0
	v_lshlrev_b64 v[3:4], 3, v[0:1]
	v_add_co_u32_e64 v3, s[0:1], v7, v3
	v_addc_co_u32_e64 v4, s[0:1], v8, v4, s[0:1]
	flat_load_dwordx2 v[11:12], v[3:4]
	v_cmp_eq_u32_e64 s[0:1], v6, v0
	s_waitcnt vmcnt(0) lgkmcnt(0)
	v_add_f32_e32 v11, v17, v11
	v_add_f32_e32 v12, v16, v12
	flat_store_dwordx2 v[3:4], v[11:12]
	s_and_b64 exec, exec, s[0:1]
	s_cbranch_execz .LBB1700_13
; %bb.12:
	v_mov_b32_e32 v1, 0
	flat_store_dword v[3:4], v1 offset:4
.LBB1700_13:
	s_or_b64 exec, exec, s[2:3]
	v_cmp_le_i32_e64 s[0:1], v2, v6
	s_and_b64 s[0:1], vcc, s[0:1]
	s_and_saveexec_b64 s[2:3], s[0:1]
	s_cbranch_execz .LBB1700_16
; %bb.14:
	v_ashrrev_i32_e32 v3, 31, v2
	v_lshlrev_b64 v[1:2], 3, v[2:3]
	v_add_co_u32_e32 v1, vcc, v7, v1
	v_addc_co_u32_e32 v2, vcc, v8, v2, vcc
	flat_load_dwordx2 v[3:4], v[1:2]
	v_cmp_eq_u32_e32 vcc, v5, v0
	s_waitcnt vmcnt(0) lgkmcnt(0)
	v_add_f32_e32 v3, v15, v3
	v_add_f32_e32 v4, v10, v4
	flat_store_dwordx2 v[1:2], v[3:4]
	s_and_b64 exec, exec, vcc
	s_cbranch_execz .LBB1700_16
; %bb.15:
	v_mov_b32_e32 v0, 0
	flat_store_dword v[1:2], v0 offset:4
.LBB1700_16:
	s_endpgm
	.section	.rodata,"a",@progbits
	.p2align	6, 0x0
	.amdhsa_kernel _ZL37rocblas_syrkx_herkx_restricted_kernelIl19rocblas_complex_numIfELi16ELi32ELi8ELi1ELi1ELb1ELc67ELc85EKPKS1_KPS1_EviT_PT9_S7_lS9_S7_lPT10_S7_li
		.amdhsa_group_segment_fixed_size 4096
		.amdhsa_private_segment_fixed_size 0
		.amdhsa_kernarg_size 92
		.amdhsa_user_sgpr_count 6
		.amdhsa_user_sgpr_private_segment_buffer 1
		.amdhsa_user_sgpr_dispatch_ptr 0
		.amdhsa_user_sgpr_queue_ptr 0
		.amdhsa_user_sgpr_kernarg_segment_ptr 1
		.amdhsa_user_sgpr_dispatch_id 0
		.amdhsa_user_sgpr_flat_scratch_init 0
		.amdhsa_user_sgpr_private_segment_size 0
		.amdhsa_uses_dynamic_stack 0
		.amdhsa_system_sgpr_private_segment_wavefront_offset 0
		.amdhsa_system_sgpr_workgroup_id_x 1
		.amdhsa_system_sgpr_workgroup_id_y 1
		.amdhsa_system_sgpr_workgroup_id_z 1
		.amdhsa_system_sgpr_workgroup_info 0
		.amdhsa_system_vgpr_workitem_id 1
		.amdhsa_next_free_vgpr 41
		.amdhsa_next_free_sgpr 20
		.amdhsa_reserve_vcc 1
		.amdhsa_reserve_flat_scratch 0
		.amdhsa_float_round_mode_32 0
		.amdhsa_float_round_mode_16_64 0
		.amdhsa_float_denorm_mode_32 3
		.amdhsa_float_denorm_mode_16_64 3
		.amdhsa_dx10_clamp 1
		.amdhsa_ieee_mode 1
		.amdhsa_fp16_overflow 0
		.amdhsa_exception_fp_ieee_invalid_op 0
		.amdhsa_exception_fp_denorm_src 0
		.amdhsa_exception_fp_ieee_div_zero 0
		.amdhsa_exception_fp_ieee_overflow 0
		.amdhsa_exception_fp_ieee_underflow 0
		.amdhsa_exception_fp_ieee_inexact 0
		.amdhsa_exception_int_div_zero 0
	.end_amdhsa_kernel
	.section	.text._ZL37rocblas_syrkx_herkx_restricted_kernelIl19rocblas_complex_numIfELi16ELi32ELi8ELi1ELi1ELb1ELc67ELc85EKPKS1_KPS1_EviT_PT9_S7_lS9_S7_lPT10_S7_li,"axG",@progbits,_ZL37rocblas_syrkx_herkx_restricted_kernelIl19rocblas_complex_numIfELi16ELi32ELi8ELi1ELi1ELb1ELc67ELc85EKPKS1_KPS1_EviT_PT9_S7_lS9_S7_lPT10_S7_li,comdat
.Lfunc_end1700:
	.size	_ZL37rocblas_syrkx_herkx_restricted_kernelIl19rocblas_complex_numIfELi16ELi32ELi8ELi1ELi1ELb1ELc67ELc85EKPKS1_KPS1_EviT_PT9_S7_lS9_S7_lPT10_S7_li, .Lfunc_end1700-_ZL37rocblas_syrkx_herkx_restricted_kernelIl19rocblas_complex_numIfELi16ELi32ELi8ELi1ELi1ELb1ELc67ELc85EKPKS1_KPS1_EviT_PT9_S7_lS9_S7_lPT10_S7_li
                                        ; -- End function
	.set _ZL37rocblas_syrkx_herkx_restricted_kernelIl19rocblas_complex_numIfELi16ELi32ELi8ELi1ELi1ELb1ELc67ELc85EKPKS1_KPS1_EviT_PT9_S7_lS9_S7_lPT10_S7_li.num_vgpr, 41
	.set _ZL37rocblas_syrkx_herkx_restricted_kernelIl19rocblas_complex_numIfELi16ELi32ELi8ELi1ELi1ELb1ELc67ELc85EKPKS1_KPS1_EviT_PT9_S7_lS9_S7_lPT10_S7_li.num_agpr, 0
	.set _ZL37rocblas_syrkx_herkx_restricted_kernelIl19rocblas_complex_numIfELi16ELi32ELi8ELi1ELi1ELb1ELc67ELc85EKPKS1_KPS1_EviT_PT9_S7_lS9_S7_lPT10_S7_li.numbered_sgpr, 20
	.set _ZL37rocblas_syrkx_herkx_restricted_kernelIl19rocblas_complex_numIfELi16ELi32ELi8ELi1ELi1ELb1ELc67ELc85EKPKS1_KPS1_EviT_PT9_S7_lS9_S7_lPT10_S7_li.num_named_barrier, 0
	.set _ZL37rocblas_syrkx_herkx_restricted_kernelIl19rocblas_complex_numIfELi16ELi32ELi8ELi1ELi1ELb1ELc67ELc85EKPKS1_KPS1_EviT_PT9_S7_lS9_S7_lPT10_S7_li.private_seg_size, 0
	.set _ZL37rocblas_syrkx_herkx_restricted_kernelIl19rocblas_complex_numIfELi16ELi32ELi8ELi1ELi1ELb1ELc67ELc85EKPKS1_KPS1_EviT_PT9_S7_lS9_S7_lPT10_S7_li.uses_vcc, 1
	.set _ZL37rocblas_syrkx_herkx_restricted_kernelIl19rocblas_complex_numIfELi16ELi32ELi8ELi1ELi1ELb1ELc67ELc85EKPKS1_KPS1_EviT_PT9_S7_lS9_S7_lPT10_S7_li.uses_flat_scratch, 0
	.set _ZL37rocblas_syrkx_herkx_restricted_kernelIl19rocblas_complex_numIfELi16ELi32ELi8ELi1ELi1ELb1ELc67ELc85EKPKS1_KPS1_EviT_PT9_S7_lS9_S7_lPT10_S7_li.has_dyn_sized_stack, 0
	.set _ZL37rocblas_syrkx_herkx_restricted_kernelIl19rocblas_complex_numIfELi16ELi32ELi8ELi1ELi1ELb1ELc67ELc85EKPKS1_KPS1_EviT_PT9_S7_lS9_S7_lPT10_S7_li.has_recursion, 0
	.set _ZL37rocblas_syrkx_herkx_restricted_kernelIl19rocblas_complex_numIfELi16ELi32ELi8ELi1ELi1ELb1ELc67ELc85EKPKS1_KPS1_EviT_PT9_S7_lS9_S7_lPT10_S7_li.has_indirect_call, 0
	.section	.AMDGPU.csdata,"",@progbits
; Kernel info:
; codeLenInByte = 2140
; TotalNumSgprs: 24
; NumVgprs: 41
; ScratchSize: 0
; MemoryBound: 0
; FloatMode: 240
; IeeeMode: 1
; LDSByteSize: 4096 bytes/workgroup (compile time only)
; SGPRBlocks: 2
; VGPRBlocks: 10
; NumSGPRsForWavesPerEU: 24
; NumVGPRsForWavesPerEU: 41
; Occupancy: 5
; WaveLimiterHint : 1
; COMPUTE_PGM_RSRC2:SCRATCH_EN: 0
; COMPUTE_PGM_RSRC2:USER_SGPR: 6
; COMPUTE_PGM_RSRC2:TRAP_HANDLER: 0
; COMPUTE_PGM_RSRC2:TGID_X_EN: 1
; COMPUTE_PGM_RSRC2:TGID_Y_EN: 1
; COMPUTE_PGM_RSRC2:TGID_Z_EN: 1
; COMPUTE_PGM_RSRC2:TIDIG_COMP_CNT: 1
	.section	.text._ZL37rocblas_syrkx_herkx_restricted_kernelIl19rocblas_complex_numIfELi16ELi32ELi8ELi1ELi1ELb1ELc78ELc85EKPKS1_KPS1_EviT_PT9_S7_lS9_S7_lPT10_S7_li,"axG",@progbits,_ZL37rocblas_syrkx_herkx_restricted_kernelIl19rocblas_complex_numIfELi16ELi32ELi8ELi1ELi1ELb1ELc78ELc85EKPKS1_KPS1_EviT_PT9_S7_lS9_S7_lPT10_S7_li,comdat
	.globl	_ZL37rocblas_syrkx_herkx_restricted_kernelIl19rocblas_complex_numIfELi16ELi32ELi8ELi1ELi1ELb1ELc78ELc85EKPKS1_KPS1_EviT_PT9_S7_lS9_S7_lPT10_S7_li ; -- Begin function _ZL37rocblas_syrkx_herkx_restricted_kernelIl19rocblas_complex_numIfELi16ELi32ELi8ELi1ELi1ELb1ELc78ELc85EKPKS1_KPS1_EviT_PT9_S7_lS9_S7_lPT10_S7_li
	.p2align	8
	.type	_ZL37rocblas_syrkx_herkx_restricted_kernelIl19rocblas_complex_numIfELi16ELi32ELi8ELi1ELi1ELb1ELc78ELc85EKPKS1_KPS1_EviT_PT9_S7_lS9_S7_lPT10_S7_li,@function
_ZL37rocblas_syrkx_herkx_restricted_kernelIl19rocblas_complex_numIfELi16ELi32ELi8ELi1ELi1ELb1ELc78ELc85EKPKS1_KPS1_EviT_PT9_S7_lS9_S7_lPT10_S7_li: ; @_ZL37rocblas_syrkx_herkx_restricted_kernelIl19rocblas_complex_numIfELi16ELi32ELi8ELi1ELi1ELb1ELc78ELc85EKPKS1_KPS1_EviT_PT9_S7_lS9_S7_lPT10_S7_li
; %bb.0:
	s_load_dwordx4 s[0:3], s[4:5], 0x40
	s_load_dwordx4 s[12:15], s[4:5], 0x8
	s_mov_b32 s9, 0
	s_lshl_b64 s[18:19], s[8:9], 3
	s_waitcnt lgkmcnt(0)
	s_add_u32 s0, s0, s18
	s_addc_u32 s1, s1, s19
	s_load_dwordx2 s[16:17], s[0:1], 0x0
	v_cmp_lt_i64_e64 s[0:1], s[12:13], 1
	s_lshl_b32 s20, s6, 5
	s_lshl_b32 s21, s7, 5
	s_and_b64 vcc, exec, s[0:1]
	s_cbranch_vccnz .LBB1701_3
; %bb.1:
	s_load_dwordx2 s[0:1], s[4:5], 0x18
	s_load_dwordx4 s[8:11], s[4:5], 0x28
	v_lshl_add_u32 v5, v1, 4, v0
	v_lshrrev_b32_e32 v7, 3, v5
	v_add_u32_e32 v2, s21, v7
	v_and_b32_e32 v6, 7, v0
	v_ashrrev_i32_e32 v3, 31, v2
	s_waitcnt lgkmcnt(0)
	v_mad_u64_u32 v[2:3], s[6:7], s10, v6, v[2:3]
	s_add_u32 s6, s14, s18
	s_addc_u32 s7, s15, s19
	v_mad_u64_u32 v[3:4], s[14:15], s11, v6, v[3:4]
	v_and_b32_e32 v4, 31, v5
	v_lshrrev_b32_e32 v8, 5, v5
	v_lshlrev_b32_e32 v5, 3, v4
	v_add_u32_e32 v4, s20, v4
	v_lshl_or_b32 v10, v8, 8, v5
	v_ashrrev_i32_e32 v5, 31, v4
	v_mad_u64_u32 v[4:5], s[14:15], s0, v8, v[4:5]
	v_lshlrev_b32_e32 v6, 3, v6
	v_lshl_or_b32 v6, v7, 6, v6
	v_add_u32_e32 v11, 0x800, v6
	v_mad_u64_u32 v[5:6], s[14:15], s1, v8, v[5:6]
	s_load_dwordx2 s[6:7], s[6:7], 0x0
	s_add_u32 s8, s8, s18
	s_addc_u32 s9, s9, s19
	s_load_dwordx2 s[8:9], s[8:9], 0x0
	v_lshlrev_b64 v[4:5], 3, v[4:5]
	v_mov_b32_e32 v6, 0x800
	v_lshl_add_u32 v13, v1, 6, v6
	s_waitcnt lgkmcnt(0)
	v_mov_b32_e32 v7, s7
	v_add_co_u32_e32 v6, vcc, s6, v4
	v_lshlrev_b64 v[2:3], 3, v[2:3]
	v_addc_co_u32_e32 v7, vcc, v7, v5, vcc
	s_lshl_b64 s[0:1], s[0:1], 6
	v_mov_b32_e32 v4, s9
	v_add_co_u32_e32 v8, vcc, s8, v2
	s_lshl_b64 s[6:7], s[10:11], 6
	v_lshlrev_b32_e32 v12, 3, v0
	v_addc_co_u32_e32 v9, vcc, v4, v3, vcc
	v_mov_b32_e32 v16, 0
	s_mov_b64 s[8:9], 0
	v_mov_b32_e32 v14, s1
	v_mov_b32_e32 v15, s7
	;; [unrolled: 1-line block ×9, first 2 shown]
.LBB1701_2:                             ; =>This Inner Loop Header: Depth=1
	flat_load_dwordx2 v[2:3], v[6:7]
	v_add_co_u32_e32 v6, vcc, s0, v6
	s_add_u32 s8, s8, 8
	v_addc_co_u32_e32 v7, vcc, v7, v14, vcc
	s_addc_u32 s9, s9, 0
	s_waitcnt vmcnt(0) lgkmcnt(0)
	ds_write_b64 v10, v[2:3]
	flat_load_dwordx2 v[2:3], v[8:9]
	v_add_co_u32_e32 v8, vcc, s6, v8
	v_addc_co_u32_e32 v9, vcc, v9, v15, vcc
	s_waitcnt vmcnt(0) lgkmcnt(0)
	v_xor_b32_e32 v3, 0x80000000, v3
	ds_write_b64 v11, v[2:3]
	s_waitcnt lgkmcnt(0)
	s_barrier
	ds_read_b128 v[24:27], v13
	ds_read_b128 v[28:31], v13 offset:16
	ds_read_b128 v[32:35], v13 offset:32
	;; [unrolled: 1-line block ×3, first 2 shown]
	ds_read2_b64 v[36:39], v12 offset1:16
	s_waitcnt lgkmcnt(0)
	v_mul_f32_e32 v40, v25, v37
	v_mul_f32_e32 v41, v24, v37
	v_fma_f32 v40, v24, v36, -v40
	v_fmac_f32_e32 v41, v25, v36
	v_add_f32_e32 v40, v22, v40
	v_add_f32_e32 v41, v23, v41
	v_mul_f32_e32 v22, v25, v39
	v_mul_f32_e32 v23, v24, v39
	v_fma_f32 v22, v24, v38, -v22
	v_fmac_f32_e32 v23, v25, v38
	v_add_f32_e32 v24, v21, v22
	v_add_f32_e32 v25, v20, v23
	ds_read_b128 v[20:23], v13 offset:1024
	s_waitcnt lgkmcnt(0)
	v_mul_f32_e32 v42, v21, v37
	v_mul_f32_e32 v37, v20, v37
	v_fma_f32 v42, v20, v36, -v42
	v_fmac_f32_e32 v37, v21, v36
	v_add_f32_e32 v36, v19, v42
	v_add_f32_e32 v37, v18, v37
	v_mul_f32_e32 v18, v21, v39
	v_mul_f32_e32 v19, v20, v39
	v_fma_f32 v18, v20, v38, -v18
	v_fmac_f32_e32 v19, v21, v38
	v_add_f32_e32 v20, v17, v18
	v_add_f32_e32 v21, v16, v19
	ds_read2_b64 v[16:19], v12 offset0:32 offset1:48
	s_waitcnt lgkmcnt(0)
	v_mul_f32_e32 v38, v27, v17
	v_fma_f32 v38, v26, v16, -v38
	v_add_f32_e32 v38, v40, v38
	v_mul_f32_e32 v40, v27, v19
	v_mul_f32_e32 v39, v26, v17
	v_fma_f32 v40, v26, v18, -v40
	v_mul_f32_e32 v26, v26, v19
	v_fmac_f32_e32 v26, v27, v18
	v_add_f32_e32 v25, v25, v26
	v_mul_f32_e32 v26, v23, v17
	v_mul_f32_e32 v17, v22, v17
	v_fmac_f32_e32 v17, v23, v16
	v_fmac_f32_e32 v39, v27, v16
	v_fma_f32 v26, v22, v16, -v26
	v_add_f32_e32 v27, v37, v17
	v_mul_f32_e32 v16, v23, v19
	v_mul_f32_e32 v17, v22, v19
	v_fma_f32 v16, v22, v18, -v16
	v_fmac_f32_e32 v17, v23, v18
	v_add_f32_e32 v26, v36, v26
	v_add_f32_e32 v36, v20, v16
	;; [unrolled: 1-line block ×3, first 2 shown]
	ds_read2_b64 v[16:19], v12 offset0:64 offset1:80
	v_add_f32_e32 v39, v41, v39
	v_add_f32_e32 v24, v24, v40
	s_waitcnt lgkmcnt(0)
	v_mul_f32_e32 v20, v29, v17
	v_mul_f32_e32 v21, v28, v17
	v_fma_f32 v20, v28, v16, -v20
	v_fmac_f32_e32 v21, v29, v16
	v_add_f32_e32 v38, v38, v20
	v_add_f32_e32 v39, v39, v21
	v_mul_f32_e32 v20, v29, v19
	v_mul_f32_e32 v21, v28, v19
	v_fma_f32 v20, v28, v18, -v20
	v_fmac_f32_e32 v21, v29, v18
	v_add_f32_e32 v24, v24, v20
	v_add_f32_e32 v25, v25, v21
	ds_read_b128 v[20:23], v13 offset:1040
	s_waitcnt lgkmcnt(0)
	v_mul_f32_e32 v28, v21, v17
	v_mul_f32_e32 v17, v20, v17
	v_fmac_f32_e32 v17, v21, v16
	v_fma_f32 v28, v20, v16, -v28
	v_add_f32_e32 v27, v27, v17
	v_mul_f32_e32 v16, v21, v19
	v_mul_f32_e32 v17, v20, v19
	v_fma_f32 v16, v20, v18, -v16
	v_fmac_f32_e32 v17, v21, v18
	v_add_f32_e32 v20, v36, v16
	v_add_f32_e32 v21, v37, v17
	ds_read2_b64 v[16:19], v12 offset0:96 offset1:112
	v_add_f32_e32 v26, v26, v28
	s_waitcnt lgkmcnt(0)
	v_mul_f32_e32 v28, v31, v17
	v_mul_f32_e32 v36, v31, v19
	v_fma_f32 v28, v30, v16, -v28
	v_mul_f32_e32 v29, v30, v17
	v_fma_f32 v36, v30, v18, -v36
	v_mul_f32_e32 v30, v30, v19
	v_fmac_f32_e32 v30, v31, v18
	v_add_f32_e32 v25, v25, v30
	v_mul_f32_e32 v30, v23, v17
	v_mul_f32_e32 v17, v22, v17
	v_fmac_f32_e32 v17, v23, v16
	v_fmac_f32_e32 v29, v31, v16
	v_fma_f32 v30, v22, v16, -v30
	v_add_f32_e32 v27, v27, v17
	v_mul_f32_e32 v16, v23, v19
	v_mul_f32_e32 v17, v22, v19
	v_fma_f32 v16, v22, v18, -v16
	v_fmac_f32_e32 v17, v23, v18
	v_add_f32_e32 v26, v26, v30
	v_add_f32_e32 v30, v20, v16
	;; [unrolled: 1-line block ×3, first 2 shown]
	ds_read2_b64 v[16:19], v12 offset0:128 offset1:144
	v_add_f32_e32 v28, v38, v28
	v_add_f32_e32 v29, v39, v29
	;; [unrolled: 1-line block ×3, first 2 shown]
	s_waitcnt lgkmcnt(0)
	v_mul_f32_e32 v20, v33, v17
	v_mul_f32_e32 v21, v32, v17
	v_fma_f32 v20, v32, v16, -v20
	v_fmac_f32_e32 v21, v33, v16
	v_add_f32_e32 v28, v28, v20
	v_add_f32_e32 v29, v29, v21
	v_mul_f32_e32 v20, v33, v19
	v_mul_f32_e32 v21, v32, v19
	v_fma_f32 v20, v32, v18, -v20
	v_fmac_f32_e32 v21, v33, v18
	v_add_f32_e32 v24, v24, v20
	v_add_f32_e32 v25, v25, v21
	ds_read_b128 v[20:23], v13 offset:1056
	s_waitcnt lgkmcnt(0)
	v_mul_f32_e32 v32, v21, v17
	v_mul_f32_e32 v17, v20, v17
	v_fmac_f32_e32 v17, v21, v16
	v_fma_f32 v32, v20, v16, -v32
	v_add_f32_e32 v27, v27, v17
	v_mul_f32_e32 v16, v21, v19
	v_mul_f32_e32 v17, v20, v19
	v_fma_f32 v16, v20, v18, -v16
	v_fmac_f32_e32 v17, v21, v18
	v_add_f32_e32 v20, v30, v16
	v_add_f32_e32 v21, v31, v17
	ds_read2_b64 v[16:19], v12 offset0:160 offset1:176
	v_add_f32_e32 v26, v26, v32
	s_waitcnt lgkmcnt(0)
	v_mul_f32_e32 v30, v35, v17
	v_fma_f32 v30, v34, v16, -v30
	v_add_f32_e32 v28, v28, v30
	v_mul_f32_e32 v30, v35, v19
	v_fma_f32 v30, v34, v18, -v30
	v_mul_f32_e32 v31, v34, v17
	v_add_f32_e32 v24, v24, v30
	v_mul_f32_e32 v30, v23, v17
	v_mul_f32_e32 v17, v22, v17
	v_fmac_f32_e32 v17, v23, v16
	v_fmac_f32_e32 v31, v35, v16
	v_fma_f32 v30, v22, v16, -v30
	v_add_f32_e32 v27, v27, v17
	v_mul_f32_e32 v16, v23, v19
	v_mul_f32_e32 v17, v22, v19
	v_add_f32_e32 v29, v29, v31
	v_mul_f32_e32 v31, v34, v19
	v_fma_f32 v16, v22, v18, -v16
	v_fmac_f32_e32 v17, v23, v18
	v_fmac_f32_e32 v31, v35, v18
	v_add_f32_e32 v20, v20, v16
	v_add_f32_e32 v21, v21, v17
	ds_read2_b64 v[16:19], v12 offset0:192 offset1:208
	v_add_f32_e32 v26, v26, v30
	v_add_f32_e32 v25, v25, v31
	s_waitcnt lgkmcnt(0)
	v_mul_f32_e32 v22, v3, v17
	v_fma_f32 v22, v2, v16, -v22
	v_add_f32_e32 v30, v28, v22
	v_mul_f32_e32 v22, v3, v19
	v_mul_f32_e32 v23, v2, v17
	v_fma_f32 v22, v2, v18, -v22
	v_mul_f32_e32 v2, v2, v19
	v_fmac_f32_e32 v23, v3, v16
	v_fmac_f32_e32 v2, v3, v18
	v_add_f32_e32 v31, v29, v23
	v_add_f32_e32 v3, v24, v22
	;; [unrolled: 1-line block ×3, first 2 shown]
	ds_read_b128 v[22:25], v13 offset:1072
	s_waitcnt lgkmcnt(0)
	v_mul_f32_e32 v28, v23, v17
	v_fma_f32 v28, v22, v16, -v28
	v_mul_f32_e32 v17, v22, v17
	v_fmac_f32_e32 v17, v23, v16
	v_add_f32_e32 v16, v26, v28
	v_mul_f32_e32 v26, v23, v19
	v_fma_f32 v26, v22, v18, -v26
	v_add_f32_e32 v17, v27, v17
	v_add_f32_e32 v32, v20, v26
	ds_read2_b64 v[26:29], v12 offset0:224 offset1:240
	v_mul_f32_e32 v19, v22, v19
	v_fmac_f32_e32 v19, v23, v18
	v_add_f32_e32 v33, v21, v19
	s_waitcnt lgkmcnt(0)
	v_mul_f32_e32 v18, v5, v27
	v_fma_f32 v18, v4, v26, -v18
	v_add_f32_e32 v22, v30, v18
	v_mul_f32_e32 v18, v5, v29
	v_mul_f32_e32 v19, v4, v27
	v_fma_f32 v18, v4, v28, -v18
	v_mul_f32_e32 v4, v4, v29
	v_fmac_f32_e32 v4, v5, v28
	v_add_f32_e32 v21, v3, v18
	v_add_f32_e32 v20, v2, v4
	v_mul_f32_e32 v2, v25, v27
	v_mul_f32_e32 v3, v24, v27
	v_fmac_f32_e32 v19, v5, v26
	v_fma_f32 v2, v24, v26, -v2
	v_fmac_f32_e32 v3, v25, v26
	v_add_f32_e32 v23, v31, v19
	v_add_f32_e32 v19, v16, v2
	v_add_f32_e32 v18, v17, v3
	v_mul_f32_e32 v2, v25, v29
	v_mul_f32_e32 v3, v24, v29
	v_fma_f32 v2, v24, v28, -v2
	v_fmac_f32_e32 v3, v25, v28
	v_add_f32_e32 v17, v32, v2
	v_add_f32_e32 v16, v33, v3
	v_mov_b32_e32 v2, s8
	v_mov_b32_e32 v3, s9
	v_cmp_le_u64_e32 vcc, s[12:13], v[2:3]
	s_barrier
	s_cbranch_vccz .LBB1701_2
	s_branch .LBB1701_4
.LBB1701_3:
	v_mov_b32_e32 v22, 0
	v_mov_b32_e32 v23, 0
	;; [unrolled: 1-line block ×8, first 2 shown]
.LBB1701_4:
	v_add_u32_e32 v5, s21, v1
	v_ashrrev_i32_e32 v1, 31, v5
	v_mul_lo_u32 v3, s2, v1
	v_mul_lo_u32 v4, s3, v5
	v_mad_u64_u32 v[1:2], s[0:1], s2, v5, 0
	s_load_dword s6, s[4:5], 0x0
	v_add_u32_e32 v0, s20, v0
	v_add3_u32 v2, v2, v3, v4
	v_lshlrev_b64 v[1:2], 3, v[1:2]
	s_waitcnt lgkmcnt(0)
	v_mov_b32_e32 v3, s17
	v_add_co_u32_e64 v4, s[0:1], s16, v1
	v_addc_co_u32_e64 v6, s[0:1], v3, v2, s[0:1]
	v_cmp_gt_i32_e32 vcc, s6, v5
	v_cmp_le_i32_e64 s[0:1], v0, v5
	s_and_b64 s[0:1], vcc, s[0:1]
	s_and_saveexec_b64 s[4:5], s[0:1]
	s_cbranch_execz .LBB1701_7
; %bb.5:
	v_ashrrev_i32_e32 v1, 31, v0
	v_lshlrev_b64 v[1:2], 3, v[0:1]
	v_add_co_u32_e64 v1, s[0:1], v4, v1
	v_addc_co_u32_e64 v2, s[0:1], v6, v2, s[0:1]
	flat_load_dwordx2 v[7:8], v[1:2]
	v_cmp_eq_u32_e64 s[0:1], v5, v0
	s_waitcnt vmcnt(0) lgkmcnt(0)
	v_add_f32_e32 v7, v22, v7
	v_add_f32_e32 v8, v23, v8
	flat_store_dwordx2 v[1:2], v[7:8]
	s_and_b64 exec, exec, s[0:1]
	s_cbranch_execz .LBB1701_7
; %bb.6:
	v_mov_b32_e32 v3, 0
	flat_store_dword v[1:2], v3 offset:4
.LBB1701_7:
	s_or_b64 exec, exec, s[4:5]
	v_add_u32_e32 v2, 16, v0
	v_cmp_le_i32_e64 s[0:1], v2, v5
	s_and_b64 s[4:5], vcc, s[0:1]
	s_and_saveexec_b64 s[0:1], s[4:5]
	s_cbranch_execz .LBB1701_10
; %bb.8:
	v_ashrrev_i32_e32 v3, 31, v2
	v_lshlrev_b64 v[7:8], 3, v[2:3]
	v_add_co_u32_e32 v3, vcc, v4, v7
	v_addc_co_u32_e32 v4, vcc, v6, v8, vcc
	flat_load_dwordx2 v[6:7], v[3:4]
	v_cmp_eq_u32_e32 vcc, v5, v2
	s_waitcnt vmcnt(0) lgkmcnt(0)
	v_add_f32_e32 v6, v21, v6
	v_add_f32_e32 v7, v20, v7
	flat_store_dwordx2 v[3:4], v[6:7]
	s_and_b64 exec, exec, vcc
	s_cbranch_execz .LBB1701_10
; %bb.9:
	v_mov_b32_e32 v1, 0
	flat_store_dword v[3:4], v1 offset:4
.LBB1701_10:
	s_or_b64 exec, exec, s[0:1]
	v_add_u32_e32 v6, 16, v5
	v_ashrrev_i32_e32 v1, 31, v6
	v_mul_lo_u32 v1, s2, v1
	v_mul_lo_u32 v7, s3, v6
	v_mad_u64_u32 v[3:4], s[0:1], s2, v6, 0
	v_cmp_gt_i32_e32 vcc, s6, v6
	v_add3_u32 v4, v4, v1, v7
	v_lshlrev_b64 v[3:4], 3, v[3:4]
	v_mov_b32_e32 v1, s17
	v_add_co_u32_e64 v7, s[0:1], s16, v3
	v_addc_co_u32_e64 v8, s[0:1], v1, v4, s[0:1]
	v_cmp_le_i32_e64 s[0:1], v0, v6
	s_and_b64 s[0:1], vcc, s[0:1]
	s_and_saveexec_b64 s[2:3], s[0:1]
	s_cbranch_execz .LBB1701_13
; %bb.11:
	v_ashrrev_i32_e32 v1, 31, v0
	v_lshlrev_b64 v[3:4], 3, v[0:1]
	v_add_co_u32_e64 v3, s[0:1], v7, v3
	v_addc_co_u32_e64 v4, s[0:1], v8, v4, s[0:1]
	flat_load_dwordx2 v[9:10], v[3:4]
	v_cmp_eq_u32_e64 s[0:1], v6, v0
	s_waitcnt vmcnt(0) lgkmcnt(0)
	v_add_f32_e32 v9, v19, v9
	v_add_f32_e32 v10, v18, v10
	flat_store_dwordx2 v[3:4], v[9:10]
	s_and_b64 exec, exec, s[0:1]
	s_cbranch_execz .LBB1701_13
; %bb.12:
	v_mov_b32_e32 v1, 0
	flat_store_dword v[3:4], v1 offset:4
.LBB1701_13:
	s_or_b64 exec, exec, s[2:3]
	v_cmp_le_i32_e64 s[0:1], v2, v6
	s_and_b64 s[0:1], vcc, s[0:1]
	s_and_saveexec_b64 s[2:3], s[0:1]
	s_cbranch_execz .LBB1701_16
; %bb.14:
	v_ashrrev_i32_e32 v3, 31, v2
	v_lshlrev_b64 v[1:2], 3, v[2:3]
	v_add_co_u32_e32 v1, vcc, v7, v1
	v_addc_co_u32_e32 v2, vcc, v8, v2, vcc
	flat_load_dwordx2 v[3:4], v[1:2]
	v_cmp_eq_u32_e32 vcc, v5, v0
	s_waitcnt vmcnt(0) lgkmcnt(0)
	v_add_f32_e32 v3, v17, v3
	v_add_f32_e32 v4, v16, v4
	flat_store_dwordx2 v[1:2], v[3:4]
	s_and_b64 exec, exec, vcc
	s_cbranch_execz .LBB1701_16
; %bb.15:
	v_mov_b32_e32 v0, 0
	flat_store_dword v[1:2], v0 offset:4
.LBB1701_16:
	s_endpgm
	.section	.rodata,"a",@progbits
	.p2align	6, 0x0
	.amdhsa_kernel _ZL37rocblas_syrkx_herkx_restricted_kernelIl19rocblas_complex_numIfELi16ELi32ELi8ELi1ELi1ELb1ELc78ELc85EKPKS1_KPS1_EviT_PT9_S7_lS9_S7_lPT10_S7_li
		.amdhsa_group_segment_fixed_size 4096
		.amdhsa_private_segment_fixed_size 0
		.amdhsa_kernarg_size 92
		.amdhsa_user_sgpr_count 6
		.amdhsa_user_sgpr_private_segment_buffer 1
		.amdhsa_user_sgpr_dispatch_ptr 0
		.amdhsa_user_sgpr_queue_ptr 0
		.amdhsa_user_sgpr_kernarg_segment_ptr 1
		.amdhsa_user_sgpr_dispatch_id 0
		.amdhsa_user_sgpr_flat_scratch_init 0
		.amdhsa_user_sgpr_private_segment_size 0
		.amdhsa_uses_dynamic_stack 0
		.amdhsa_system_sgpr_private_segment_wavefront_offset 0
		.amdhsa_system_sgpr_workgroup_id_x 1
		.amdhsa_system_sgpr_workgroup_id_y 1
		.amdhsa_system_sgpr_workgroup_id_z 1
		.amdhsa_system_sgpr_workgroup_info 0
		.amdhsa_system_vgpr_workitem_id 1
		.amdhsa_next_free_vgpr 43
		.amdhsa_next_free_sgpr 22
		.amdhsa_reserve_vcc 1
		.amdhsa_reserve_flat_scratch 0
		.amdhsa_float_round_mode_32 0
		.amdhsa_float_round_mode_16_64 0
		.amdhsa_float_denorm_mode_32 3
		.amdhsa_float_denorm_mode_16_64 3
		.amdhsa_dx10_clamp 1
		.amdhsa_ieee_mode 1
		.amdhsa_fp16_overflow 0
		.amdhsa_exception_fp_ieee_invalid_op 0
		.amdhsa_exception_fp_denorm_src 0
		.amdhsa_exception_fp_ieee_div_zero 0
		.amdhsa_exception_fp_ieee_overflow 0
		.amdhsa_exception_fp_ieee_underflow 0
		.amdhsa_exception_fp_ieee_inexact 0
		.amdhsa_exception_int_div_zero 0
	.end_amdhsa_kernel
	.section	.text._ZL37rocblas_syrkx_herkx_restricted_kernelIl19rocblas_complex_numIfELi16ELi32ELi8ELi1ELi1ELb1ELc78ELc85EKPKS1_KPS1_EviT_PT9_S7_lS9_S7_lPT10_S7_li,"axG",@progbits,_ZL37rocblas_syrkx_herkx_restricted_kernelIl19rocblas_complex_numIfELi16ELi32ELi8ELi1ELi1ELb1ELc78ELc85EKPKS1_KPS1_EviT_PT9_S7_lS9_S7_lPT10_S7_li,comdat
.Lfunc_end1701:
	.size	_ZL37rocblas_syrkx_herkx_restricted_kernelIl19rocblas_complex_numIfELi16ELi32ELi8ELi1ELi1ELb1ELc78ELc85EKPKS1_KPS1_EviT_PT9_S7_lS9_S7_lPT10_S7_li, .Lfunc_end1701-_ZL37rocblas_syrkx_herkx_restricted_kernelIl19rocblas_complex_numIfELi16ELi32ELi8ELi1ELi1ELb1ELc78ELc85EKPKS1_KPS1_EviT_PT9_S7_lS9_S7_lPT10_S7_li
                                        ; -- End function
	.set _ZL37rocblas_syrkx_herkx_restricted_kernelIl19rocblas_complex_numIfELi16ELi32ELi8ELi1ELi1ELb1ELc78ELc85EKPKS1_KPS1_EviT_PT9_S7_lS9_S7_lPT10_S7_li.num_vgpr, 43
	.set _ZL37rocblas_syrkx_herkx_restricted_kernelIl19rocblas_complex_numIfELi16ELi32ELi8ELi1ELi1ELb1ELc78ELc85EKPKS1_KPS1_EviT_PT9_S7_lS9_S7_lPT10_S7_li.num_agpr, 0
	.set _ZL37rocblas_syrkx_herkx_restricted_kernelIl19rocblas_complex_numIfELi16ELi32ELi8ELi1ELi1ELb1ELc78ELc85EKPKS1_KPS1_EviT_PT9_S7_lS9_S7_lPT10_S7_li.numbered_sgpr, 22
	.set _ZL37rocblas_syrkx_herkx_restricted_kernelIl19rocblas_complex_numIfELi16ELi32ELi8ELi1ELi1ELb1ELc78ELc85EKPKS1_KPS1_EviT_PT9_S7_lS9_S7_lPT10_S7_li.num_named_barrier, 0
	.set _ZL37rocblas_syrkx_herkx_restricted_kernelIl19rocblas_complex_numIfELi16ELi32ELi8ELi1ELi1ELb1ELc78ELc85EKPKS1_KPS1_EviT_PT9_S7_lS9_S7_lPT10_S7_li.private_seg_size, 0
	.set _ZL37rocblas_syrkx_herkx_restricted_kernelIl19rocblas_complex_numIfELi16ELi32ELi8ELi1ELi1ELb1ELc78ELc85EKPKS1_KPS1_EviT_PT9_S7_lS9_S7_lPT10_S7_li.uses_vcc, 1
	.set _ZL37rocblas_syrkx_herkx_restricted_kernelIl19rocblas_complex_numIfELi16ELi32ELi8ELi1ELi1ELb1ELc78ELc85EKPKS1_KPS1_EviT_PT9_S7_lS9_S7_lPT10_S7_li.uses_flat_scratch, 0
	.set _ZL37rocblas_syrkx_herkx_restricted_kernelIl19rocblas_complex_numIfELi16ELi32ELi8ELi1ELi1ELb1ELc78ELc85EKPKS1_KPS1_EviT_PT9_S7_lS9_S7_lPT10_S7_li.has_dyn_sized_stack, 0
	.set _ZL37rocblas_syrkx_herkx_restricted_kernelIl19rocblas_complex_numIfELi16ELi32ELi8ELi1ELi1ELb1ELc78ELc85EKPKS1_KPS1_EviT_PT9_S7_lS9_S7_lPT10_S7_li.has_recursion, 0
	.set _ZL37rocblas_syrkx_herkx_restricted_kernelIl19rocblas_complex_numIfELi16ELi32ELi8ELi1ELi1ELb1ELc78ELc85EKPKS1_KPS1_EviT_PT9_S7_lS9_S7_lPT10_S7_li.has_indirect_call, 0
	.section	.AMDGPU.csdata,"",@progbits
; Kernel info:
; codeLenInByte = 2120
; TotalNumSgprs: 26
; NumVgprs: 43
; ScratchSize: 0
; MemoryBound: 0
; FloatMode: 240
; IeeeMode: 1
; LDSByteSize: 4096 bytes/workgroup (compile time only)
; SGPRBlocks: 3
; VGPRBlocks: 10
; NumSGPRsForWavesPerEU: 26
; NumVGPRsForWavesPerEU: 43
; Occupancy: 5
; WaveLimiterHint : 1
; COMPUTE_PGM_RSRC2:SCRATCH_EN: 0
; COMPUTE_PGM_RSRC2:USER_SGPR: 6
; COMPUTE_PGM_RSRC2:TRAP_HANDLER: 0
; COMPUTE_PGM_RSRC2:TGID_X_EN: 1
; COMPUTE_PGM_RSRC2:TGID_Y_EN: 1
; COMPUTE_PGM_RSRC2:TGID_Z_EN: 1
; COMPUTE_PGM_RSRC2:TIDIG_COMP_CNT: 1
	.section	.text._ZL37rocblas_syrkx_herkx_restricted_kernelIl19rocblas_complex_numIfELi16ELi32ELi8ELi1ELin1ELb1ELc84ELc76EKPKS1_KPS1_EviT_PT9_S7_lS9_S7_lPT10_S7_li,"axG",@progbits,_ZL37rocblas_syrkx_herkx_restricted_kernelIl19rocblas_complex_numIfELi16ELi32ELi8ELi1ELin1ELb1ELc84ELc76EKPKS1_KPS1_EviT_PT9_S7_lS9_S7_lPT10_S7_li,comdat
	.globl	_ZL37rocblas_syrkx_herkx_restricted_kernelIl19rocblas_complex_numIfELi16ELi32ELi8ELi1ELin1ELb1ELc84ELc76EKPKS1_KPS1_EviT_PT9_S7_lS9_S7_lPT10_S7_li ; -- Begin function _ZL37rocblas_syrkx_herkx_restricted_kernelIl19rocblas_complex_numIfELi16ELi32ELi8ELi1ELin1ELb1ELc84ELc76EKPKS1_KPS1_EviT_PT9_S7_lS9_S7_lPT10_S7_li
	.p2align	8
	.type	_ZL37rocblas_syrkx_herkx_restricted_kernelIl19rocblas_complex_numIfELi16ELi32ELi8ELi1ELin1ELb1ELc84ELc76EKPKS1_KPS1_EviT_PT9_S7_lS9_S7_lPT10_S7_li,@function
_ZL37rocblas_syrkx_herkx_restricted_kernelIl19rocblas_complex_numIfELi16ELi32ELi8ELi1ELin1ELb1ELc84ELc76EKPKS1_KPS1_EviT_PT9_S7_lS9_S7_lPT10_S7_li: ; @_ZL37rocblas_syrkx_herkx_restricted_kernelIl19rocblas_complex_numIfELi16ELi32ELi8ELi1ELin1ELb1ELc84ELc76EKPKS1_KPS1_EviT_PT9_S7_lS9_S7_lPT10_S7_li
; %bb.0:
	s_load_dwordx4 s[12:15], s[4:5], 0x40
	s_load_dwordx4 s[0:3], s[4:5], 0x8
	s_mov_b32 s9, 0
	s_lshl_b64 s[10:11], s[8:9], 3
	s_waitcnt lgkmcnt(0)
	s_add_u32 s8, s12, s10
	s_addc_u32 s9, s13, s11
	s_load_dwordx2 s[8:9], s[8:9], 0x0
	v_cmp_lt_i64_e64 s[12:13], s[0:1], 1
	s_lshl_b32 s6, s6, 5
	s_lshl_b32 s7, s7, 5
	s_and_b64 vcc, exec, s[12:13]
	s_cbranch_vccnz .LBB1702_3
; %bb.1:
	s_load_dwordx2 s[12:13], s[4:5], 0x18
	s_load_dwordx4 s[16:19], s[4:5], 0x28
	v_lshl_add_u32 v4, v1, 4, v0
	v_lshrrev_b32_e32 v6, 3, v4
	v_add_u32_e32 v2, s7, v6
	v_ashrrev_i32_e32 v3, 31, v2
	v_and_b32_e32 v9, 7, v0
	v_mov_b32_e32 v10, 0
	s_waitcnt lgkmcnt(0)
	v_mul_lo_u32 v5, s18, v3
	v_mul_lo_u32 v7, s19, v2
	v_mad_u64_u32 v[2:3], s[18:19], s18, v2, v[9:10]
	s_add_u32 s2, s2, s10
	s_addc_u32 s3, s3, s11
	v_add3_u32 v3, v7, v3, v5
	v_and_b32_e32 v7, 31, v4
	v_lshrrev_b32_e32 v4, 5, v4
	v_lshlrev_b32_e32 v8, 3, v7
	v_lshl_or_b32 v11, v4, 8, v8
	v_lshlrev_b32_e32 v8, 3, v9
	v_lshl_or_b32 v6, v6, 6, v8
	v_add_u32_e32 v12, 0x800, v6
	v_add_u32_e32 v6, s6, v7
	s_add_u32 s10, s16, s10
	v_mov_b32_e32 v5, v10
	v_ashrrev_i32_e32 v7, 31, v6
	s_addc_u32 s11, s17, s11
	v_mul_lo_u32 v7, s12, v7
	v_mad_u64_u32 v[4:5], s[16:17], s12, v6, v[4:5]
	v_mul_lo_u32 v6, s13, v6
	s_load_dwordx2 s[2:3], s[2:3], 0x0
	v_lshlrev_b64 v[2:3], 3, v[2:3]
	s_load_dwordx2 s[10:11], s[10:11], 0x0
	v_add3_u32 v5, v6, v5, v7
	v_lshlrev_b64 v[4:5], 3, v[4:5]
	s_waitcnt lgkmcnt(0)
	v_mov_b32_e32 v7, s3
	v_add_co_u32_e32 v6, vcc, s2, v4
	v_mov_b32_e32 v8, 0x800
	v_addc_co_u32_e32 v7, vcc, v7, v5, vcc
	v_lshl_add_u32 v14, v1, 6, v8
	v_mov_b32_e32 v4, s11
	v_add_co_u32_e32 v8, vcc, s10, v2
	v_lshlrev_b32_e32 v13, 3, v0
	v_addc_co_u32_e32 v9, vcc, v4, v3, vcc
	s_mov_b64 s[2:3], 0
	v_mov_b32_e32 v15, v10
	v_mov_b32_e32 v16, v10
	;; [unrolled: 1-line block ×7, first 2 shown]
.LBB1702_2:                             ; =>This Inner Loop Header: Depth=1
	flat_load_dwordx2 v[2:3], v[6:7]
	v_add_co_u32_e32 v6, vcc, 64, v6
	s_add_u32 s2, s2, 8
	v_addc_co_u32_e32 v7, vcc, 0, v7, vcc
	s_addc_u32 s3, s3, 0
	s_waitcnt vmcnt(0) lgkmcnt(0)
	ds_write_b64 v11, v[2:3]
	flat_load_dwordx2 v[2:3], v[8:9]
	v_add_co_u32_e32 v8, vcc, 64, v8
	v_addc_co_u32_e32 v9, vcc, 0, v9, vcc
	s_waitcnt vmcnt(0) lgkmcnt(0)
	ds_write_b64 v12, v[2:3]
	s_waitcnt lgkmcnt(0)
	s_barrier
	ds_read_b128 v[22:25], v14
	ds_read_b128 v[26:29], v14 offset:16
	ds_read_b128 v[30:33], v14 offset:32
	;; [unrolled: 1-line block ×3, first 2 shown]
	ds_read2_b64 v[34:37], v13 offset1:16
	s_waitcnt lgkmcnt(0)
	v_mul_f32_e32 v38, v23, v35
	v_mul_f32_e32 v39, v22, v35
	v_fma_f32 v38, v22, v34, -v38
	v_fmac_f32_e32 v39, v23, v34
	v_add_f32_e32 v38, v20, v38
	v_add_f32_e32 v39, v21, v39
	v_mul_f32_e32 v20, v23, v37
	v_mul_f32_e32 v21, v22, v37
	v_fma_f32 v20, v22, v36, -v20
	v_fmac_f32_e32 v21, v23, v36
	v_add_f32_e32 v22, v19, v20
	v_add_f32_e32 v23, v18, v21
	ds_read_b128 v[18:21], v14 offset:1024
	s_waitcnt lgkmcnt(0)
	v_mul_f32_e32 v40, v19, v35
	v_mul_f32_e32 v35, v18, v35
	v_fma_f32 v40, v18, v34, -v40
	v_fmac_f32_e32 v35, v19, v34
	v_add_f32_e32 v34, v17, v40
	v_add_f32_e32 v35, v16, v35
	v_mul_f32_e32 v16, v19, v37
	v_mul_f32_e32 v17, v18, v37
	v_fma_f32 v16, v18, v36, -v16
	v_fmac_f32_e32 v17, v19, v36
	v_add_f32_e32 v19, v15, v16
	v_add_f32_e32 v10, v10, v17
	ds_read2_b64 v[15:18], v13 offset0:32 offset1:48
	s_waitcnt lgkmcnt(0)
	v_mul_f32_e32 v36, v25, v16
	v_fma_f32 v36, v24, v15, -v36
	v_add_f32_e32 v36, v38, v36
	v_mul_f32_e32 v38, v25, v18
	v_mul_f32_e32 v37, v24, v16
	v_fma_f32 v38, v24, v17, -v38
	v_mul_f32_e32 v24, v24, v18
	v_fmac_f32_e32 v24, v25, v17
	v_add_f32_e32 v23, v23, v24
	v_mul_f32_e32 v24, v21, v16
	v_mul_f32_e32 v16, v20, v16
	v_fmac_f32_e32 v16, v21, v15
	v_fmac_f32_e32 v37, v25, v15
	v_fma_f32 v24, v20, v15, -v24
	v_add_f32_e32 v25, v35, v16
	v_mul_f32_e32 v15, v21, v18
	v_mul_f32_e32 v16, v20, v18
	v_fma_f32 v15, v20, v17, -v15
	v_fmac_f32_e32 v16, v21, v17
	v_add_f32_e32 v24, v34, v24
	v_add_f32_e32 v34, v19, v15
	;; [unrolled: 1-line block ×3, first 2 shown]
	ds_read2_b64 v[15:18], v13 offset0:64 offset1:80
	v_add_f32_e32 v37, v39, v37
	v_add_f32_e32 v22, v22, v38
	s_waitcnt lgkmcnt(0)
	v_mul_f32_e32 v19, v27, v16
	v_mul_f32_e32 v20, v26, v16
	v_fma_f32 v19, v26, v15, -v19
	v_fmac_f32_e32 v20, v27, v15
	v_add_f32_e32 v35, v36, v19
	v_add_f32_e32 v36, v37, v20
	v_mul_f32_e32 v19, v27, v18
	v_mul_f32_e32 v20, v26, v18
	v_fma_f32 v19, v26, v17, -v19
	v_fmac_f32_e32 v20, v27, v17
	v_add_f32_e32 v26, v22, v19
	v_add_f32_e32 v23, v23, v20
	ds_read_b128 v[19:22], v14 offset:1040
	s_waitcnt lgkmcnt(0)
	v_mul_f32_e32 v27, v20, v16
	v_mul_f32_e32 v16, v19, v16
	v_fmac_f32_e32 v16, v20, v15
	v_fma_f32 v27, v19, v15, -v27
	v_add_f32_e32 v25, v25, v16
	v_mul_f32_e32 v15, v20, v18
	v_mul_f32_e32 v16, v19, v18
	v_fma_f32 v15, v19, v17, -v15
	v_fmac_f32_e32 v16, v20, v17
	v_add_f32_e32 v19, v34, v15
	v_add_f32_e32 v10, v10, v16
	ds_read2_b64 v[15:18], v13 offset0:96 offset1:112
	v_add_f32_e32 v24, v24, v27
	s_waitcnt lgkmcnt(0)
	v_mul_f32_e32 v20, v29, v16
	v_mul_f32_e32 v34, v29, v18
	v_fma_f32 v20, v28, v15, -v20
	v_mul_f32_e32 v27, v28, v16
	v_fma_f32 v34, v28, v17, -v34
	v_mul_f32_e32 v28, v28, v18
	v_fmac_f32_e32 v28, v29, v17
	v_add_f32_e32 v23, v23, v28
	v_mul_f32_e32 v28, v22, v16
	v_mul_f32_e32 v16, v21, v16
	v_fmac_f32_e32 v16, v22, v15
	v_fmac_f32_e32 v27, v29, v15
	v_fma_f32 v28, v21, v15, -v28
	v_add_f32_e32 v25, v25, v16
	v_mul_f32_e32 v15, v22, v18
	v_mul_f32_e32 v16, v21, v18
	v_fma_f32 v15, v21, v17, -v15
	v_fmac_f32_e32 v16, v22, v17
	v_add_f32_e32 v24, v24, v28
	v_add_f32_e32 v28, v19, v15
	;; [unrolled: 1-line block ×3, first 2 shown]
	ds_read2_b64 v[15:18], v13 offset0:128 offset1:144
	v_add_f32_e32 v20, v35, v20
	v_add_f32_e32 v27, v36, v27
	v_add_f32_e32 v26, v26, v34
	s_waitcnt lgkmcnt(0)
	v_mul_f32_e32 v19, v31, v16
	v_fma_f32 v19, v30, v15, -v19
	v_mul_f32_e32 v21, v30, v16
	v_add_f32_e32 v29, v20, v19
	v_mul_f32_e32 v19, v31, v18
	v_mul_f32_e32 v20, v30, v18
	v_fmac_f32_e32 v21, v31, v15
	v_fma_f32 v19, v30, v17, -v19
	v_fmac_f32_e32 v20, v31, v17
	v_add_f32_e32 v27, v27, v21
	v_add_f32_e32 v26, v26, v19
	v_add_f32_e32 v23, v23, v20
	ds_read_b128 v[19:22], v14 offset:1056
	s_waitcnt lgkmcnt(0)
	v_mul_f32_e32 v30, v20, v16
	v_mul_f32_e32 v16, v19, v16
	v_fmac_f32_e32 v16, v20, v15
	v_fma_f32 v30, v19, v15, -v30
	v_add_f32_e32 v25, v25, v16
	v_mul_f32_e32 v15, v20, v18
	v_mul_f32_e32 v16, v19, v18
	v_fma_f32 v15, v19, v17, -v15
	v_fmac_f32_e32 v16, v20, v17
	v_add_f32_e32 v19, v28, v15
	v_add_f32_e32 v10, v10, v16
	ds_read2_b64 v[15:18], v13 offset0:160 offset1:176
	v_add_f32_e32 v24, v24, v30
	s_waitcnt lgkmcnt(0)
	v_mul_f32_e32 v28, v32, v16
	v_fmac_f32_e32 v28, v33, v15
	v_add_f32_e32 v27, v27, v28
	v_mul_f32_e32 v28, v33, v18
	v_fma_f32 v28, v32, v17, -v28
	v_mul_f32_e32 v20, v33, v16
	v_add_f32_e32 v26, v26, v28
	v_mul_f32_e32 v28, v22, v16
	v_mul_f32_e32 v16, v21, v16
	v_fmac_f32_e32 v16, v22, v15
	v_fma_f32 v20, v32, v15, -v20
	v_fma_f32 v28, v21, v15, -v28
	v_add_f32_e32 v25, v25, v16
	v_mul_f32_e32 v15, v22, v18
	v_mul_f32_e32 v16, v21, v18
	v_add_f32_e32 v20, v29, v20
	v_mul_f32_e32 v29, v32, v18
	v_fma_f32 v15, v21, v17, -v15
	v_fmac_f32_e32 v16, v22, v17
	v_fmac_f32_e32 v29, v33, v17
	v_add_f32_e32 v19, v19, v15
	v_add_f32_e32 v10, v10, v16
	ds_read2_b64 v[15:18], v13 offset0:192 offset1:208
	v_add_f32_e32 v24, v24, v28
	v_add_f32_e32 v23, v23, v29
	s_waitcnt lgkmcnt(0)
	v_mul_f32_e32 v21, v3, v16
	v_fma_f32 v21, v2, v15, -v21
	v_add_f32_e32 v28, v20, v21
	v_mul_f32_e32 v20, v3, v18
	v_mul_f32_e32 v22, v2, v16
	v_fma_f32 v20, v2, v17, -v20
	v_mul_f32_e32 v2, v2, v18
	v_fmac_f32_e32 v22, v3, v15
	v_fmac_f32_e32 v2, v3, v17
	v_add_f32_e32 v29, v27, v22
	v_add_f32_e32 v3, v26, v20
	;; [unrolled: 1-line block ×3, first 2 shown]
	ds_read_b128 v[20:23], v14 offset:1072
	s_waitcnt lgkmcnt(0)
	v_mul_f32_e32 v26, v21, v16
	v_fma_f32 v26, v20, v15, -v26
	v_mul_f32_e32 v16, v20, v16
	v_fmac_f32_e32 v16, v21, v15
	v_add_f32_e32 v15, v24, v26
	v_mul_f32_e32 v24, v21, v18
	v_fma_f32 v24, v20, v17, -v24
	v_add_f32_e32 v16, v25, v16
	v_add_f32_e32 v30, v19, v24
	ds_read2_b64 v[24:27], v13 offset0:224 offset1:240
	v_mul_f32_e32 v18, v20, v18
	v_fmac_f32_e32 v18, v21, v17
	v_add_f32_e32 v10, v10, v18
	s_waitcnt lgkmcnt(0)
	v_mul_f32_e32 v17, v5, v25
	v_fma_f32 v17, v4, v24, -v17
	v_add_f32_e32 v20, v28, v17
	v_mul_f32_e32 v17, v5, v27
	v_mul_f32_e32 v18, v4, v25
	v_fma_f32 v17, v4, v26, -v17
	v_mul_f32_e32 v4, v4, v27
	v_fmac_f32_e32 v18, v5, v24
	v_fmac_f32_e32 v4, v5, v26
	v_add_f32_e32 v21, v29, v18
	v_add_f32_e32 v19, v3, v17
	;; [unrolled: 1-line block ×3, first 2 shown]
	v_mul_f32_e32 v2, v23, v25
	v_mul_f32_e32 v3, v22, v25
	v_fma_f32 v2, v22, v24, -v2
	v_fmac_f32_e32 v3, v23, v24
	v_add_f32_e32 v17, v15, v2
	v_add_f32_e32 v16, v16, v3
	v_mul_f32_e32 v2, v23, v27
	v_mul_f32_e32 v3, v22, v27
	v_fma_f32 v2, v22, v26, -v2
	v_fmac_f32_e32 v3, v23, v26
	v_add_f32_e32 v15, v30, v2
	v_add_f32_e32 v10, v10, v3
	v_mov_b32_e32 v2, s2
	v_mov_b32_e32 v3, s3
	v_cmp_le_u64_e32 vcc, s[0:1], v[2:3]
	s_barrier
	s_cbranch_vccz .LBB1702_2
	s_branch .LBB1702_4
.LBB1702_3:
	v_mov_b32_e32 v20, 0
	v_mov_b32_e32 v21, 0
	;; [unrolled: 1-line block ×8, first 2 shown]
.LBB1702_4:
	v_add_u32_e32 v5, s7, v1
	v_ashrrev_i32_e32 v1, 31, v5
	v_mul_lo_u32 v3, s14, v1
	v_mul_lo_u32 v4, s15, v5
	v_mad_u64_u32 v[1:2], s[0:1], s14, v5, 0
	s_load_dword s4, s[4:5], 0x0
	v_add_u32_e32 v0, s6, v0
	v_add3_u32 v2, v2, v3, v4
	v_lshlrev_b64 v[1:2], 3, v[1:2]
	s_waitcnt lgkmcnt(0)
	v_mov_b32_e32 v3, s9
	v_add_co_u32_e32 v4, vcc, s8, v1
	v_addc_co_u32_e32 v6, vcc, v3, v2, vcc
	v_cmp_le_i32_e64 s[0:1], v5, v0
	v_cmp_gt_i32_e32 vcc, s4, v0
	s_and_b64 s[0:1], s[0:1], vcc
	s_and_saveexec_b64 s[2:3], s[0:1]
	s_cbranch_execz .LBB1702_7
; %bb.5:
	v_ashrrev_i32_e32 v1, 31, v0
	v_lshlrev_b64 v[1:2], 3, v[0:1]
	v_add_co_u32_e64 v1, s[0:1], v4, v1
	v_addc_co_u32_e64 v2, s[0:1], v6, v2, s[0:1]
	flat_load_dwordx2 v[7:8], v[1:2]
	v_cmp_eq_u32_e64 s[0:1], v5, v0
	s_waitcnt vmcnt(0) lgkmcnt(0)
	v_sub_f32_e32 v7, v20, v7
	v_sub_f32_e32 v8, v21, v8
	flat_store_dwordx2 v[1:2], v[7:8]
	s_and_b64 exec, exec, s[0:1]
	s_cbranch_execz .LBB1702_7
; %bb.6:
	v_mov_b32_e32 v3, 0
	flat_store_dword v[1:2], v3 offset:4
.LBB1702_7:
	s_or_b64 exec, exec, s[2:3]
	v_add_u32_e32 v2, 16, v0
	v_cmp_le_i32_e64 s[2:3], v5, v2
	v_cmp_gt_i32_e64 s[0:1], s4, v2
	s_and_b64 s[2:3], s[2:3], s[0:1]
	s_and_saveexec_b64 s[4:5], s[2:3]
	s_cbranch_execz .LBB1702_10
; %bb.8:
	v_ashrrev_i32_e32 v3, 31, v2
	v_lshlrev_b64 v[7:8], 3, v[2:3]
	v_add_co_u32_e64 v3, s[2:3], v4, v7
	v_addc_co_u32_e64 v4, s[2:3], v6, v8, s[2:3]
	flat_load_dwordx2 v[6:7], v[3:4]
	v_cmp_eq_u32_e64 s[2:3], v5, v2
	s_waitcnt vmcnt(0) lgkmcnt(0)
	v_sub_f32_e32 v6, v19, v6
	v_sub_f32_e32 v7, v18, v7
	flat_store_dwordx2 v[3:4], v[6:7]
	s_and_b64 exec, exec, s[2:3]
	s_cbranch_execz .LBB1702_10
; %bb.9:
	v_mov_b32_e32 v1, 0
	flat_store_dword v[3:4], v1 offset:4
.LBB1702_10:
	s_or_b64 exec, exec, s[4:5]
	v_add_u32_e32 v6, 16, v5
	v_ashrrev_i32_e32 v1, 31, v6
	v_mul_lo_u32 v7, s15, v6
	v_mad_u64_u32 v[3:4], s[2:3], s14, v6, 0
	v_mul_lo_u32 v1, s14, v1
	v_add3_u32 v4, v4, v1, v7
	v_lshlrev_b64 v[3:4], 3, v[3:4]
	v_mov_b32_e32 v1, s9
	v_add_co_u32_e64 v7, s[2:3], s8, v3
	v_addc_co_u32_e64 v8, s[2:3], v1, v4, s[2:3]
	v_cmp_le_i32_e64 s[2:3], v6, v0
	s_and_b64 s[4:5], s[2:3], vcc
	s_and_saveexec_b64 s[2:3], s[4:5]
	s_cbranch_execz .LBB1702_13
; %bb.11:
	v_ashrrev_i32_e32 v1, 31, v0
	v_lshlrev_b64 v[3:4], 3, v[0:1]
	v_add_co_u32_e32 v3, vcc, v7, v3
	v_addc_co_u32_e32 v4, vcc, v8, v4, vcc
	flat_load_dwordx2 v[11:12], v[3:4]
	v_cmp_eq_u32_e32 vcc, v6, v0
	s_waitcnt vmcnt(0) lgkmcnt(0)
	v_sub_f32_e32 v11, v17, v11
	v_sub_f32_e32 v12, v16, v12
	flat_store_dwordx2 v[3:4], v[11:12]
	s_and_b64 exec, exec, vcc
	s_cbranch_execz .LBB1702_13
; %bb.12:
	v_mov_b32_e32 v1, 0
	flat_store_dword v[3:4], v1 offset:4
.LBB1702_13:
	s_or_b64 exec, exec, s[2:3]
	v_cmp_le_i32_e32 vcc, v6, v2
	s_and_b64 s[0:1], vcc, s[0:1]
	s_and_saveexec_b64 s[2:3], s[0:1]
	s_cbranch_execz .LBB1702_16
; %bb.14:
	v_ashrrev_i32_e32 v3, 31, v2
	v_lshlrev_b64 v[1:2], 3, v[2:3]
	v_add_co_u32_e32 v1, vcc, v7, v1
	v_addc_co_u32_e32 v2, vcc, v8, v2, vcc
	flat_load_dwordx2 v[3:4], v[1:2]
	v_cmp_eq_u32_e32 vcc, v5, v0
	s_waitcnt vmcnt(0) lgkmcnt(0)
	v_sub_f32_e32 v3, v15, v3
	v_sub_f32_e32 v4, v10, v4
	flat_store_dwordx2 v[1:2], v[3:4]
	s_and_b64 exec, exec, vcc
	s_cbranch_execz .LBB1702_16
; %bb.15:
	v_mov_b32_e32 v0, 0
	flat_store_dword v[1:2], v0 offset:4
.LBB1702_16:
	s_endpgm
	.section	.rodata,"a",@progbits
	.p2align	6, 0x0
	.amdhsa_kernel _ZL37rocblas_syrkx_herkx_restricted_kernelIl19rocblas_complex_numIfELi16ELi32ELi8ELi1ELin1ELb1ELc84ELc76EKPKS1_KPS1_EviT_PT9_S7_lS9_S7_lPT10_S7_li
		.amdhsa_group_segment_fixed_size 4096
		.amdhsa_private_segment_fixed_size 0
		.amdhsa_kernarg_size 92
		.amdhsa_user_sgpr_count 6
		.amdhsa_user_sgpr_private_segment_buffer 1
		.amdhsa_user_sgpr_dispatch_ptr 0
		.amdhsa_user_sgpr_queue_ptr 0
		.amdhsa_user_sgpr_kernarg_segment_ptr 1
		.amdhsa_user_sgpr_dispatch_id 0
		.amdhsa_user_sgpr_flat_scratch_init 0
		.amdhsa_user_sgpr_private_segment_size 0
		.amdhsa_uses_dynamic_stack 0
		.amdhsa_system_sgpr_private_segment_wavefront_offset 0
		.amdhsa_system_sgpr_workgroup_id_x 1
		.amdhsa_system_sgpr_workgroup_id_y 1
		.amdhsa_system_sgpr_workgroup_id_z 1
		.amdhsa_system_sgpr_workgroup_info 0
		.amdhsa_system_vgpr_workitem_id 1
		.amdhsa_next_free_vgpr 41
		.amdhsa_next_free_sgpr 20
		.amdhsa_reserve_vcc 1
		.amdhsa_reserve_flat_scratch 0
		.amdhsa_float_round_mode_32 0
		.amdhsa_float_round_mode_16_64 0
		.amdhsa_float_denorm_mode_32 3
		.amdhsa_float_denorm_mode_16_64 3
		.amdhsa_dx10_clamp 1
		.amdhsa_ieee_mode 1
		.amdhsa_fp16_overflow 0
		.amdhsa_exception_fp_ieee_invalid_op 0
		.amdhsa_exception_fp_denorm_src 0
		.amdhsa_exception_fp_ieee_div_zero 0
		.amdhsa_exception_fp_ieee_overflow 0
		.amdhsa_exception_fp_ieee_underflow 0
		.amdhsa_exception_fp_ieee_inexact 0
		.amdhsa_exception_int_div_zero 0
	.end_amdhsa_kernel
	.section	.text._ZL37rocblas_syrkx_herkx_restricted_kernelIl19rocblas_complex_numIfELi16ELi32ELi8ELi1ELin1ELb1ELc84ELc76EKPKS1_KPS1_EviT_PT9_S7_lS9_S7_lPT10_S7_li,"axG",@progbits,_ZL37rocblas_syrkx_herkx_restricted_kernelIl19rocblas_complex_numIfELi16ELi32ELi8ELi1ELin1ELb1ELc84ELc76EKPKS1_KPS1_EviT_PT9_S7_lS9_S7_lPT10_S7_li,comdat
.Lfunc_end1702:
	.size	_ZL37rocblas_syrkx_herkx_restricted_kernelIl19rocblas_complex_numIfELi16ELi32ELi8ELi1ELin1ELb1ELc84ELc76EKPKS1_KPS1_EviT_PT9_S7_lS9_S7_lPT10_S7_li, .Lfunc_end1702-_ZL37rocblas_syrkx_herkx_restricted_kernelIl19rocblas_complex_numIfELi16ELi32ELi8ELi1ELin1ELb1ELc84ELc76EKPKS1_KPS1_EviT_PT9_S7_lS9_S7_lPT10_S7_li
                                        ; -- End function
	.set _ZL37rocblas_syrkx_herkx_restricted_kernelIl19rocblas_complex_numIfELi16ELi32ELi8ELi1ELin1ELb1ELc84ELc76EKPKS1_KPS1_EviT_PT9_S7_lS9_S7_lPT10_S7_li.num_vgpr, 41
	.set _ZL37rocblas_syrkx_herkx_restricted_kernelIl19rocblas_complex_numIfELi16ELi32ELi8ELi1ELin1ELb1ELc84ELc76EKPKS1_KPS1_EviT_PT9_S7_lS9_S7_lPT10_S7_li.num_agpr, 0
	.set _ZL37rocblas_syrkx_herkx_restricted_kernelIl19rocblas_complex_numIfELi16ELi32ELi8ELi1ELin1ELb1ELc84ELc76EKPKS1_KPS1_EviT_PT9_S7_lS9_S7_lPT10_S7_li.numbered_sgpr, 20
	.set _ZL37rocblas_syrkx_herkx_restricted_kernelIl19rocblas_complex_numIfELi16ELi32ELi8ELi1ELin1ELb1ELc84ELc76EKPKS1_KPS1_EviT_PT9_S7_lS9_S7_lPT10_S7_li.num_named_barrier, 0
	.set _ZL37rocblas_syrkx_herkx_restricted_kernelIl19rocblas_complex_numIfELi16ELi32ELi8ELi1ELin1ELb1ELc84ELc76EKPKS1_KPS1_EviT_PT9_S7_lS9_S7_lPT10_S7_li.private_seg_size, 0
	.set _ZL37rocblas_syrkx_herkx_restricted_kernelIl19rocblas_complex_numIfELi16ELi32ELi8ELi1ELin1ELb1ELc84ELc76EKPKS1_KPS1_EviT_PT9_S7_lS9_S7_lPT10_S7_li.uses_vcc, 1
	.set _ZL37rocblas_syrkx_herkx_restricted_kernelIl19rocblas_complex_numIfELi16ELi32ELi8ELi1ELin1ELb1ELc84ELc76EKPKS1_KPS1_EviT_PT9_S7_lS9_S7_lPT10_S7_li.uses_flat_scratch, 0
	.set _ZL37rocblas_syrkx_herkx_restricted_kernelIl19rocblas_complex_numIfELi16ELi32ELi8ELi1ELin1ELb1ELc84ELc76EKPKS1_KPS1_EviT_PT9_S7_lS9_S7_lPT10_S7_li.has_dyn_sized_stack, 0
	.set _ZL37rocblas_syrkx_herkx_restricted_kernelIl19rocblas_complex_numIfELi16ELi32ELi8ELi1ELin1ELb1ELc84ELc76EKPKS1_KPS1_EviT_PT9_S7_lS9_S7_lPT10_S7_li.has_recursion, 0
	.set _ZL37rocblas_syrkx_herkx_restricted_kernelIl19rocblas_complex_numIfELi16ELi32ELi8ELi1ELin1ELb1ELc84ELc76EKPKS1_KPS1_EviT_PT9_S7_lS9_S7_lPT10_S7_li.has_indirect_call, 0
	.section	.AMDGPU.csdata,"",@progbits
; Kernel info:
; codeLenInByte = 2124
; TotalNumSgprs: 24
; NumVgprs: 41
; ScratchSize: 0
; MemoryBound: 0
; FloatMode: 240
; IeeeMode: 1
; LDSByteSize: 4096 bytes/workgroup (compile time only)
; SGPRBlocks: 2
; VGPRBlocks: 10
; NumSGPRsForWavesPerEU: 24
; NumVGPRsForWavesPerEU: 41
; Occupancy: 5
; WaveLimiterHint : 1
; COMPUTE_PGM_RSRC2:SCRATCH_EN: 0
; COMPUTE_PGM_RSRC2:USER_SGPR: 6
; COMPUTE_PGM_RSRC2:TRAP_HANDLER: 0
; COMPUTE_PGM_RSRC2:TGID_X_EN: 1
; COMPUTE_PGM_RSRC2:TGID_Y_EN: 1
; COMPUTE_PGM_RSRC2:TGID_Z_EN: 1
; COMPUTE_PGM_RSRC2:TIDIG_COMP_CNT: 1
	.section	.text._ZL37rocblas_syrkx_herkx_restricted_kernelIl19rocblas_complex_numIfELi16ELi32ELi8ELi1ELin1ELb1ELc67ELc76EKPKS1_KPS1_EviT_PT9_S7_lS9_S7_lPT10_S7_li,"axG",@progbits,_ZL37rocblas_syrkx_herkx_restricted_kernelIl19rocblas_complex_numIfELi16ELi32ELi8ELi1ELin1ELb1ELc67ELc76EKPKS1_KPS1_EviT_PT9_S7_lS9_S7_lPT10_S7_li,comdat
	.globl	_ZL37rocblas_syrkx_herkx_restricted_kernelIl19rocblas_complex_numIfELi16ELi32ELi8ELi1ELin1ELb1ELc67ELc76EKPKS1_KPS1_EviT_PT9_S7_lS9_S7_lPT10_S7_li ; -- Begin function _ZL37rocblas_syrkx_herkx_restricted_kernelIl19rocblas_complex_numIfELi16ELi32ELi8ELi1ELin1ELb1ELc67ELc76EKPKS1_KPS1_EviT_PT9_S7_lS9_S7_lPT10_S7_li
	.p2align	8
	.type	_ZL37rocblas_syrkx_herkx_restricted_kernelIl19rocblas_complex_numIfELi16ELi32ELi8ELi1ELin1ELb1ELc67ELc76EKPKS1_KPS1_EviT_PT9_S7_lS9_S7_lPT10_S7_li,@function
_ZL37rocblas_syrkx_herkx_restricted_kernelIl19rocblas_complex_numIfELi16ELi32ELi8ELi1ELin1ELb1ELc67ELc76EKPKS1_KPS1_EviT_PT9_S7_lS9_S7_lPT10_S7_li: ; @_ZL37rocblas_syrkx_herkx_restricted_kernelIl19rocblas_complex_numIfELi16ELi32ELi8ELi1ELin1ELb1ELc67ELc76EKPKS1_KPS1_EviT_PT9_S7_lS9_S7_lPT10_S7_li
; %bb.0:
	s_load_dwordx4 s[12:15], s[4:5], 0x40
	s_load_dwordx4 s[0:3], s[4:5], 0x8
	s_mov_b32 s9, 0
	s_lshl_b64 s[10:11], s[8:9], 3
	s_waitcnt lgkmcnt(0)
	s_add_u32 s8, s12, s10
	s_addc_u32 s9, s13, s11
	s_load_dwordx2 s[8:9], s[8:9], 0x0
	v_cmp_lt_i64_e64 s[12:13], s[0:1], 1
	s_lshl_b32 s6, s6, 5
	s_lshl_b32 s7, s7, 5
	s_and_b64 vcc, exec, s[12:13]
	s_cbranch_vccnz .LBB1703_3
; %bb.1:
	s_load_dwordx2 s[12:13], s[4:5], 0x18
	s_load_dwordx4 s[16:19], s[4:5], 0x28
	v_lshl_add_u32 v4, v1, 4, v0
	v_lshrrev_b32_e32 v6, 3, v4
	v_add_u32_e32 v2, s7, v6
	v_ashrrev_i32_e32 v3, 31, v2
	v_and_b32_e32 v9, 7, v0
	v_mov_b32_e32 v10, 0
	s_waitcnt lgkmcnt(0)
	v_mul_lo_u32 v5, s18, v3
	v_mul_lo_u32 v7, s19, v2
	v_mad_u64_u32 v[2:3], s[18:19], s18, v2, v[9:10]
	s_add_u32 s2, s2, s10
	s_addc_u32 s3, s3, s11
	v_add3_u32 v3, v7, v3, v5
	v_and_b32_e32 v7, 31, v4
	v_lshrrev_b32_e32 v4, 5, v4
	v_lshlrev_b32_e32 v8, 3, v7
	v_lshl_or_b32 v11, v4, 8, v8
	v_lshlrev_b32_e32 v8, 3, v9
	v_lshl_or_b32 v6, v6, 6, v8
	v_add_u32_e32 v12, 0x800, v6
	v_add_u32_e32 v6, s6, v7
	s_add_u32 s10, s16, s10
	v_mov_b32_e32 v5, v10
	v_ashrrev_i32_e32 v7, 31, v6
	s_addc_u32 s11, s17, s11
	v_mul_lo_u32 v7, s12, v7
	v_mad_u64_u32 v[4:5], s[16:17], s12, v6, v[4:5]
	v_mul_lo_u32 v6, s13, v6
	s_load_dwordx2 s[2:3], s[2:3], 0x0
	v_lshlrev_b64 v[2:3], 3, v[2:3]
	s_load_dwordx2 s[10:11], s[10:11], 0x0
	v_add3_u32 v5, v6, v5, v7
	v_lshlrev_b64 v[4:5], 3, v[4:5]
	s_waitcnt lgkmcnt(0)
	v_mov_b32_e32 v7, s3
	v_add_co_u32_e32 v6, vcc, s2, v4
	v_mov_b32_e32 v8, 0x800
	v_addc_co_u32_e32 v7, vcc, v7, v5, vcc
	v_lshl_add_u32 v14, v1, 6, v8
	v_mov_b32_e32 v4, s11
	v_add_co_u32_e32 v8, vcc, s10, v2
	v_lshlrev_b32_e32 v13, 3, v0
	v_addc_co_u32_e32 v9, vcc, v4, v3, vcc
	s_mov_b64 s[2:3], 0
	v_mov_b32_e32 v15, v10
	v_mov_b32_e32 v16, v10
	;; [unrolled: 1-line block ×7, first 2 shown]
.LBB1703_2:                             ; =>This Inner Loop Header: Depth=1
	flat_load_dwordx2 v[2:3], v[6:7]
	v_add_co_u32_e32 v6, vcc, 64, v6
	v_addc_co_u32_e32 v7, vcc, 0, v7, vcc
	s_add_u32 s2, s2, 8
	s_addc_u32 s3, s3, 0
	s_waitcnt vmcnt(0) lgkmcnt(0)
	v_xor_b32_e32 v3, 0x80000000, v3
	ds_write_b64 v11, v[2:3]
	flat_load_dwordx2 v[2:3], v[8:9]
	v_add_co_u32_e32 v8, vcc, 64, v8
	v_addc_co_u32_e32 v9, vcc, 0, v9, vcc
	s_waitcnt vmcnt(0) lgkmcnt(0)
	ds_write_b64 v12, v[2:3]
	s_waitcnt lgkmcnt(0)
	s_barrier
	ds_read_b128 v[22:25], v14
	ds_read_b128 v[26:29], v14 offset:16
	ds_read_b128 v[30:33], v14 offset:32
	;; [unrolled: 1-line block ×3, first 2 shown]
	ds_read2_b64 v[34:37], v13 offset1:16
	s_waitcnt lgkmcnt(0)
	v_mul_f32_e32 v38, v23, v35
	v_mul_f32_e32 v39, v22, v35
	v_fma_f32 v38, v22, v34, -v38
	v_fmac_f32_e32 v39, v23, v34
	v_add_f32_e32 v38, v20, v38
	v_add_f32_e32 v39, v21, v39
	v_mul_f32_e32 v20, v23, v37
	v_mul_f32_e32 v21, v22, v37
	v_fma_f32 v20, v22, v36, -v20
	v_fmac_f32_e32 v21, v23, v36
	v_add_f32_e32 v22, v19, v20
	v_add_f32_e32 v23, v18, v21
	ds_read_b128 v[18:21], v14 offset:1024
	s_waitcnt lgkmcnt(0)
	v_mul_f32_e32 v40, v19, v35
	v_mul_f32_e32 v35, v18, v35
	v_fma_f32 v40, v18, v34, -v40
	v_fmac_f32_e32 v35, v19, v34
	v_add_f32_e32 v34, v17, v40
	v_add_f32_e32 v35, v16, v35
	v_mul_f32_e32 v16, v19, v37
	v_mul_f32_e32 v17, v18, v37
	v_fma_f32 v16, v18, v36, -v16
	v_fmac_f32_e32 v17, v19, v36
	v_add_f32_e32 v19, v15, v16
	v_add_f32_e32 v10, v10, v17
	ds_read2_b64 v[15:18], v13 offset0:32 offset1:48
	s_waitcnt lgkmcnt(0)
	v_mul_f32_e32 v36, v25, v16
	v_fma_f32 v36, v24, v15, -v36
	v_add_f32_e32 v36, v38, v36
	v_mul_f32_e32 v38, v25, v18
	v_mul_f32_e32 v37, v24, v16
	v_fma_f32 v38, v24, v17, -v38
	v_mul_f32_e32 v24, v24, v18
	v_fmac_f32_e32 v24, v25, v17
	v_add_f32_e32 v23, v23, v24
	v_mul_f32_e32 v24, v21, v16
	v_mul_f32_e32 v16, v20, v16
	v_fmac_f32_e32 v16, v21, v15
	v_fmac_f32_e32 v37, v25, v15
	v_fma_f32 v24, v20, v15, -v24
	v_add_f32_e32 v25, v35, v16
	v_mul_f32_e32 v15, v21, v18
	v_mul_f32_e32 v16, v20, v18
	v_fma_f32 v15, v20, v17, -v15
	v_fmac_f32_e32 v16, v21, v17
	v_add_f32_e32 v24, v34, v24
	v_add_f32_e32 v34, v19, v15
	;; [unrolled: 1-line block ×3, first 2 shown]
	ds_read2_b64 v[15:18], v13 offset0:64 offset1:80
	v_add_f32_e32 v37, v39, v37
	v_add_f32_e32 v22, v22, v38
	s_waitcnt lgkmcnt(0)
	v_mul_f32_e32 v19, v27, v16
	v_mul_f32_e32 v20, v26, v16
	v_fma_f32 v19, v26, v15, -v19
	v_fmac_f32_e32 v20, v27, v15
	v_add_f32_e32 v35, v36, v19
	v_add_f32_e32 v36, v37, v20
	v_mul_f32_e32 v19, v27, v18
	v_mul_f32_e32 v20, v26, v18
	v_fma_f32 v19, v26, v17, -v19
	v_fmac_f32_e32 v20, v27, v17
	v_add_f32_e32 v26, v22, v19
	v_add_f32_e32 v23, v23, v20
	ds_read_b128 v[19:22], v14 offset:1040
	s_waitcnt lgkmcnt(0)
	v_mul_f32_e32 v27, v20, v16
	v_mul_f32_e32 v16, v19, v16
	v_fmac_f32_e32 v16, v20, v15
	v_fma_f32 v27, v19, v15, -v27
	v_add_f32_e32 v25, v25, v16
	v_mul_f32_e32 v15, v20, v18
	v_mul_f32_e32 v16, v19, v18
	v_fma_f32 v15, v19, v17, -v15
	v_fmac_f32_e32 v16, v20, v17
	v_add_f32_e32 v19, v34, v15
	v_add_f32_e32 v10, v10, v16
	ds_read2_b64 v[15:18], v13 offset0:96 offset1:112
	v_add_f32_e32 v24, v24, v27
	s_waitcnt lgkmcnt(0)
	v_mul_f32_e32 v20, v29, v16
	v_mul_f32_e32 v34, v29, v18
	v_fma_f32 v20, v28, v15, -v20
	v_mul_f32_e32 v27, v28, v16
	v_fma_f32 v34, v28, v17, -v34
	v_mul_f32_e32 v28, v28, v18
	v_fmac_f32_e32 v28, v29, v17
	v_add_f32_e32 v23, v23, v28
	v_mul_f32_e32 v28, v22, v16
	v_mul_f32_e32 v16, v21, v16
	v_fmac_f32_e32 v16, v22, v15
	v_fmac_f32_e32 v27, v29, v15
	v_fma_f32 v28, v21, v15, -v28
	v_add_f32_e32 v25, v25, v16
	v_mul_f32_e32 v15, v22, v18
	v_mul_f32_e32 v16, v21, v18
	v_fma_f32 v15, v21, v17, -v15
	v_fmac_f32_e32 v16, v22, v17
	v_add_f32_e32 v24, v24, v28
	v_add_f32_e32 v28, v19, v15
	;; [unrolled: 1-line block ×3, first 2 shown]
	ds_read2_b64 v[15:18], v13 offset0:128 offset1:144
	v_add_f32_e32 v20, v35, v20
	v_add_f32_e32 v27, v36, v27
	;; [unrolled: 1-line block ×3, first 2 shown]
	s_waitcnt lgkmcnt(0)
	v_mul_f32_e32 v19, v31, v16
	v_fma_f32 v19, v30, v15, -v19
	v_mul_f32_e32 v21, v30, v16
	v_add_f32_e32 v29, v20, v19
	v_mul_f32_e32 v19, v31, v18
	v_mul_f32_e32 v20, v30, v18
	v_fmac_f32_e32 v21, v31, v15
	v_fma_f32 v19, v30, v17, -v19
	v_fmac_f32_e32 v20, v31, v17
	v_add_f32_e32 v27, v27, v21
	v_add_f32_e32 v26, v26, v19
	;; [unrolled: 1-line block ×3, first 2 shown]
	ds_read_b128 v[19:22], v14 offset:1056
	s_waitcnt lgkmcnt(0)
	v_mul_f32_e32 v30, v20, v16
	v_mul_f32_e32 v16, v19, v16
	v_fmac_f32_e32 v16, v20, v15
	v_fma_f32 v30, v19, v15, -v30
	v_add_f32_e32 v25, v25, v16
	v_mul_f32_e32 v15, v20, v18
	v_mul_f32_e32 v16, v19, v18
	v_fma_f32 v15, v19, v17, -v15
	v_fmac_f32_e32 v16, v20, v17
	v_add_f32_e32 v19, v28, v15
	v_add_f32_e32 v10, v10, v16
	ds_read2_b64 v[15:18], v13 offset0:160 offset1:176
	v_add_f32_e32 v24, v24, v30
	s_waitcnt lgkmcnt(0)
	v_mul_f32_e32 v28, v32, v16
	v_fmac_f32_e32 v28, v33, v15
	v_add_f32_e32 v27, v27, v28
	v_mul_f32_e32 v28, v33, v18
	v_fma_f32 v28, v32, v17, -v28
	v_mul_f32_e32 v20, v33, v16
	v_add_f32_e32 v26, v26, v28
	v_mul_f32_e32 v28, v22, v16
	v_mul_f32_e32 v16, v21, v16
	v_fmac_f32_e32 v16, v22, v15
	v_fma_f32 v20, v32, v15, -v20
	v_fma_f32 v28, v21, v15, -v28
	v_add_f32_e32 v25, v25, v16
	v_mul_f32_e32 v15, v22, v18
	v_mul_f32_e32 v16, v21, v18
	v_add_f32_e32 v20, v29, v20
	v_mul_f32_e32 v29, v32, v18
	v_fma_f32 v15, v21, v17, -v15
	v_fmac_f32_e32 v16, v22, v17
	v_fmac_f32_e32 v29, v33, v17
	v_add_f32_e32 v19, v19, v15
	v_add_f32_e32 v10, v10, v16
	ds_read2_b64 v[15:18], v13 offset0:192 offset1:208
	v_add_f32_e32 v24, v24, v28
	v_add_f32_e32 v23, v23, v29
	s_waitcnt lgkmcnt(0)
	v_mul_f32_e32 v21, v3, v16
	v_fma_f32 v21, v2, v15, -v21
	v_add_f32_e32 v28, v20, v21
	v_mul_f32_e32 v20, v3, v18
	v_mul_f32_e32 v22, v2, v16
	v_fma_f32 v20, v2, v17, -v20
	v_mul_f32_e32 v2, v2, v18
	v_fmac_f32_e32 v22, v3, v15
	v_fmac_f32_e32 v2, v3, v17
	v_add_f32_e32 v29, v27, v22
	v_add_f32_e32 v3, v26, v20
	;; [unrolled: 1-line block ×3, first 2 shown]
	ds_read_b128 v[20:23], v14 offset:1072
	s_waitcnt lgkmcnt(0)
	v_mul_f32_e32 v26, v21, v16
	v_fma_f32 v26, v20, v15, -v26
	v_mul_f32_e32 v16, v20, v16
	v_fmac_f32_e32 v16, v21, v15
	v_add_f32_e32 v15, v24, v26
	v_mul_f32_e32 v24, v21, v18
	v_fma_f32 v24, v20, v17, -v24
	v_add_f32_e32 v16, v25, v16
	v_add_f32_e32 v30, v19, v24
	ds_read2_b64 v[24:27], v13 offset0:224 offset1:240
	v_mul_f32_e32 v18, v20, v18
	v_fmac_f32_e32 v18, v21, v17
	v_add_f32_e32 v10, v10, v18
	s_waitcnt lgkmcnt(0)
	v_mul_f32_e32 v17, v5, v25
	v_fma_f32 v17, v4, v24, -v17
	v_add_f32_e32 v20, v28, v17
	v_mul_f32_e32 v17, v5, v27
	v_mul_f32_e32 v18, v4, v25
	v_fma_f32 v17, v4, v26, -v17
	v_mul_f32_e32 v4, v4, v27
	v_fmac_f32_e32 v18, v5, v24
	v_fmac_f32_e32 v4, v5, v26
	v_add_f32_e32 v21, v29, v18
	v_add_f32_e32 v19, v3, v17
	;; [unrolled: 1-line block ×3, first 2 shown]
	v_mul_f32_e32 v2, v23, v25
	v_mul_f32_e32 v3, v22, v25
	v_fma_f32 v2, v22, v24, -v2
	v_fmac_f32_e32 v3, v23, v24
	v_add_f32_e32 v17, v15, v2
	v_add_f32_e32 v16, v16, v3
	v_mul_f32_e32 v2, v23, v27
	v_mul_f32_e32 v3, v22, v27
	v_fma_f32 v2, v22, v26, -v2
	v_fmac_f32_e32 v3, v23, v26
	v_add_f32_e32 v15, v30, v2
	v_add_f32_e32 v10, v10, v3
	v_mov_b32_e32 v2, s2
	v_mov_b32_e32 v3, s3
	v_cmp_le_u64_e32 vcc, s[0:1], v[2:3]
	s_barrier
	s_cbranch_vccz .LBB1703_2
	s_branch .LBB1703_4
.LBB1703_3:
	v_mov_b32_e32 v20, 0
	v_mov_b32_e32 v21, 0
	;; [unrolled: 1-line block ×8, first 2 shown]
.LBB1703_4:
	v_add_u32_e32 v5, s7, v1
	v_ashrrev_i32_e32 v1, 31, v5
	v_mul_lo_u32 v3, s14, v1
	v_mul_lo_u32 v4, s15, v5
	v_mad_u64_u32 v[1:2], s[0:1], s14, v5, 0
	s_load_dword s4, s[4:5], 0x0
	v_add_u32_e32 v0, s6, v0
	v_add3_u32 v2, v2, v3, v4
	v_lshlrev_b64 v[1:2], 3, v[1:2]
	s_waitcnt lgkmcnt(0)
	v_mov_b32_e32 v3, s9
	v_add_co_u32_e32 v4, vcc, s8, v1
	v_addc_co_u32_e32 v6, vcc, v3, v2, vcc
	v_cmp_le_i32_e64 s[0:1], v5, v0
	v_cmp_gt_i32_e32 vcc, s4, v0
	s_and_b64 s[0:1], s[0:1], vcc
	s_and_saveexec_b64 s[2:3], s[0:1]
	s_cbranch_execz .LBB1703_7
; %bb.5:
	v_ashrrev_i32_e32 v1, 31, v0
	v_lshlrev_b64 v[1:2], 3, v[0:1]
	v_add_co_u32_e64 v1, s[0:1], v4, v1
	v_addc_co_u32_e64 v2, s[0:1], v6, v2, s[0:1]
	flat_load_dwordx2 v[7:8], v[1:2]
	v_cmp_eq_u32_e64 s[0:1], v5, v0
	s_waitcnt vmcnt(0) lgkmcnt(0)
	v_sub_f32_e32 v7, v20, v7
	v_sub_f32_e32 v8, v21, v8
	flat_store_dwordx2 v[1:2], v[7:8]
	s_and_b64 exec, exec, s[0:1]
	s_cbranch_execz .LBB1703_7
; %bb.6:
	v_mov_b32_e32 v3, 0
	flat_store_dword v[1:2], v3 offset:4
.LBB1703_7:
	s_or_b64 exec, exec, s[2:3]
	v_add_u32_e32 v2, 16, v0
	v_cmp_le_i32_e64 s[2:3], v5, v2
	v_cmp_gt_i32_e64 s[0:1], s4, v2
	s_and_b64 s[2:3], s[2:3], s[0:1]
	s_and_saveexec_b64 s[4:5], s[2:3]
	s_cbranch_execz .LBB1703_10
; %bb.8:
	v_ashrrev_i32_e32 v3, 31, v2
	v_lshlrev_b64 v[7:8], 3, v[2:3]
	v_add_co_u32_e64 v3, s[2:3], v4, v7
	v_addc_co_u32_e64 v4, s[2:3], v6, v8, s[2:3]
	flat_load_dwordx2 v[6:7], v[3:4]
	v_cmp_eq_u32_e64 s[2:3], v5, v2
	s_waitcnt vmcnt(0) lgkmcnt(0)
	v_sub_f32_e32 v6, v19, v6
	v_sub_f32_e32 v7, v18, v7
	flat_store_dwordx2 v[3:4], v[6:7]
	s_and_b64 exec, exec, s[2:3]
	s_cbranch_execz .LBB1703_10
; %bb.9:
	v_mov_b32_e32 v1, 0
	flat_store_dword v[3:4], v1 offset:4
.LBB1703_10:
	s_or_b64 exec, exec, s[4:5]
	v_add_u32_e32 v6, 16, v5
	v_ashrrev_i32_e32 v1, 31, v6
	v_mul_lo_u32 v7, s15, v6
	v_mad_u64_u32 v[3:4], s[2:3], s14, v6, 0
	v_mul_lo_u32 v1, s14, v1
	v_add3_u32 v4, v4, v1, v7
	v_lshlrev_b64 v[3:4], 3, v[3:4]
	v_mov_b32_e32 v1, s9
	v_add_co_u32_e64 v7, s[2:3], s8, v3
	v_addc_co_u32_e64 v8, s[2:3], v1, v4, s[2:3]
	v_cmp_le_i32_e64 s[2:3], v6, v0
	s_and_b64 s[4:5], s[2:3], vcc
	s_and_saveexec_b64 s[2:3], s[4:5]
	s_cbranch_execz .LBB1703_13
; %bb.11:
	v_ashrrev_i32_e32 v1, 31, v0
	v_lshlrev_b64 v[3:4], 3, v[0:1]
	v_add_co_u32_e32 v3, vcc, v7, v3
	v_addc_co_u32_e32 v4, vcc, v8, v4, vcc
	flat_load_dwordx2 v[11:12], v[3:4]
	v_cmp_eq_u32_e32 vcc, v6, v0
	s_waitcnt vmcnt(0) lgkmcnt(0)
	v_sub_f32_e32 v11, v17, v11
	v_sub_f32_e32 v12, v16, v12
	flat_store_dwordx2 v[3:4], v[11:12]
	s_and_b64 exec, exec, vcc
	s_cbranch_execz .LBB1703_13
; %bb.12:
	v_mov_b32_e32 v1, 0
	flat_store_dword v[3:4], v1 offset:4
.LBB1703_13:
	s_or_b64 exec, exec, s[2:3]
	v_cmp_le_i32_e32 vcc, v6, v2
	s_and_b64 s[0:1], vcc, s[0:1]
	s_and_saveexec_b64 s[2:3], s[0:1]
	s_cbranch_execz .LBB1703_16
; %bb.14:
	v_ashrrev_i32_e32 v3, 31, v2
	v_lshlrev_b64 v[1:2], 3, v[2:3]
	v_add_co_u32_e32 v1, vcc, v7, v1
	v_addc_co_u32_e32 v2, vcc, v8, v2, vcc
	flat_load_dwordx2 v[3:4], v[1:2]
	v_cmp_eq_u32_e32 vcc, v5, v0
	s_waitcnt vmcnt(0) lgkmcnt(0)
	v_sub_f32_e32 v3, v15, v3
	v_sub_f32_e32 v4, v10, v4
	flat_store_dwordx2 v[1:2], v[3:4]
	s_and_b64 exec, exec, vcc
	s_cbranch_execz .LBB1703_16
; %bb.15:
	v_mov_b32_e32 v0, 0
	flat_store_dword v[1:2], v0 offset:4
.LBB1703_16:
	s_endpgm
	.section	.rodata,"a",@progbits
	.p2align	6, 0x0
	.amdhsa_kernel _ZL37rocblas_syrkx_herkx_restricted_kernelIl19rocblas_complex_numIfELi16ELi32ELi8ELi1ELin1ELb1ELc67ELc76EKPKS1_KPS1_EviT_PT9_S7_lS9_S7_lPT10_S7_li
		.amdhsa_group_segment_fixed_size 4096
		.amdhsa_private_segment_fixed_size 0
		.amdhsa_kernarg_size 92
		.amdhsa_user_sgpr_count 6
		.amdhsa_user_sgpr_private_segment_buffer 1
		.amdhsa_user_sgpr_dispatch_ptr 0
		.amdhsa_user_sgpr_queue_ptr 0
		.amdhsa_user_sgpr_kernarg_segment_ptr 1
		.amdhsa_user_sgpr_dispatch_id 0
		.amdhsa_user_sgpr_flat_scratch_init 0
		.amdhsa_user_sgpr_private_segment_size 0
		.amdhsa_uses_dynamic_stack 0
		.amdhsa_system_sgpr_private_segment_wavefront_offset 0
		.amdhsa_system_sgpr_workgroup_id_x 1
		.amdhsa_system_sgpr_workgroup_id_y 1
		.amdhsa_system_sgpr_workgroup_id_z 1
		.amdhsa_system_sgpr_workgroup_info 0
		.amdhsa_system_vgpr_workitem_id 1
		.amdhsa_next_free_vgpr 41
		.amdhsa_next_free_sgpr 20
		.amdhsa_reserve_vcc 1
		.amdhsa_reserve_flat_scratch 0
		.amdhsa_float_round_mode_32 0
		.amdhsa_float_round_mode_16_64 0
		.amdhsa_float_denorm_mode_32 3
		.amdhsa_float_denorm_mode_16_64 3
		.amdhsa_dx10_clamp 1
		.amdhsa_ieee_mode 1
		.amdhsa_fp16_overflow 0
		.amdhsa_exception_fp_ieee_invalid_op 0
		.amdhsa_exception_fp_denorm_src 0
		.amdhsa_exception_fp_ieee_div_zero 0
		.amdhsa_exception_fp_ieee_overflow 0
		.amdhsa_exception_fp_ieee_underflow 0
		.amdhsa_exception_fp_ieee_inexact 0
		.amdhsa_exception_int_div_zero 0
	.end_amdhsa_kernel
	.section	.text._ZL37rocblas_syrkx_herkx_restricted_kernelIl19rocblas_complex_numIfELi16ELi32ELi8ELi1ELin1ELb1ELc67ELc76EKPKS1_KPS1_EviT_PT9_S7_lS9_S7_lPT10_S7_li,"axG",@progbits,_ZL37rocblas_syrkx_herkx_restricted_kernelIl19rocblas_complex_numIfELi16ELi32ELi8ELi1ELin1ELb1ELc67ELc76EKPKS1_KPS1_EviT_PT9_S7_lS9_S7_lPT10_S7_li,comdat
.Lfunc_end1703:
	.size	_ZL37rocblas_syrkx_herkx_restricted_kernelIl19rocblas_complex_numIfELi16ELi32ELi8ELi1ELin1ELb1ELc67ELc76EKPKS1_KPS1_EviT_PT9_S7_lS9_S7_lPT10_S7_li, .Lfunc_end1703-_ZL37rocblas_syrkx_herkx_restricted_kernelIl19rocblas_complex_numIfELi16ELi32ELi8ELi1ELin1ELb1ELc67ELc76EKPKS1_KPS1_EviT_PT9_S7_lS9_S7_lPT10_S7_li
                                        ; -- End function
	.set _ZL37rocblas_syrkx_herkx_restricted_kernelIl19rocblas_complex_numIfELi16ELi32ELi8ELi1ELin1ELb1ELc67ELc76EKPKS1_KPS1_EviT_PT9_S7_lS9_S7_lPT10_S7_li.num_vgpr, 41
	.set _ZL37rocblas_syrkx_herkx_restricted_kernelIl19rocblas_complex_numIfELi16ELi32ELi8ELi1ELin1ELb1ELc67ELc76EKPKS1_KPS1_EviT_PT9_S7_lS9_S7_lPT10_S7_li.num_agpr, 0
	.set _ZL37rocblas_syrkx_herkx_restricted_kernelIl19rocblas_complex_numIfELi16ELi32ELi8ELi1ELin1ELb1ELc67ELc76EKPKS1_KPS1_EviT_PT9_S7_lS9_S7_lPT10_S7_li.numbered_sgpr, 20
	.set _ZL37rocblas_syrkx_herkx_restricted_kernelIl19rocblas_complex_numIfELi16ELi32ELi8ELi1ELin1ELb1ELc67ELc76EKPKS1_KPS1_EviT_PT9_S7_lS9_S7_lPT10_S7_li.num_named_barrier, 0
	.set _ZL37rocblas_syrkx_herkx_restricted_kernelIl19rocblas_complex_numIfELi16ELi32ELi8ELi1ELin1ELb1ELc67ELc76EKPKS1_KPS1_EviT_PT9_S7_lS9_S7_lPT10_S7_li.private_seg_size, 0
	.set _ZL37rocblas_syrkx_herkx_restricted_kernelIl19rocblas_complex_numIfELi16ELi32ELi8ELi1ELin1ELb1ELc67ELc76EKPKS1_KPS1_EviT_PT9_S7_lS9_S7_lPT10_S7_li.uses_vcc, 1
	.set _ZL37rocblas_syrkx_herkx_restricted_kernelIl19rocblas_complex_numIfELi16ELi32ELi8ELi1ELin1ELb1ELc67ELc76EKPKS1_KPS1_EviT_PT9_S7_lS9_S7_lPT10_S7_li.uses_flat_scratch, 0
	.set _ZL37rocblas_syrkx_herkx_restricted_kernelIl19rocblas_complex_numIfELi16ELi32ELi8ELi1ELin1ELb1ELc67ELc76EKPKS1_KPS1_EviT_PT9_S7_lS9_S7_lPT10_S7_li.has_dyn_sized_stack, 0
	.set _ZL37rocblas_syrkx_herkx_restricted_kernelIl19rocblas_complex_numIfELi16ELi32ELi8ELi1ELin1ELb1ELc67ELc76EKPKS1_KPS1_EviT_PT9_S7_lS9_S7_lPT10_S7_li.has_recursion, 0
	.set _ZL37rocblas_syrkx_herkx_restricted_kernelIl19rocblas_complex_numIfELi16ELi32ELi8ELi1ELin1ELb1ELc67ELc76EKPKS1_KPS1_EviT_PT9_S7_lS9_S7_lPT10_S7_li.has_indirect_call, 0
	.section	.AMDGPU.csdata,"",@progbits
; Kernel info:
; codeLenInByte = 2132
; TotalNumSgprs: 24
; NumVgprs: 41
; ScratchSize: 0
; MemoryBound: 0
; FloatMode: 240
; IeeeMode: 1
; LDSByteSize: 4096 bytes/workgroup (compile time only)
; SGPRBlocks: 2
; VGPRBlocks: 10
; NumSGPRsForWavesPerEU: 24
; NumVGPRsForWavesPerEU: 41
; Occupancy: 5
; WaveLimiterHint : 1
; COMPUTE_PGM_RSRC2:SCRATCH_EN: 0
; COMPUTE_PGM_RSRC2:USER_SGPR: 6
; COMPUTE_PGM_RSRC2:TRAP_HANDLER: 0
; COMPUTE_PGM_RSRC2:TGID_X_EN: 1
; COMPUTE_PGM_RSRC2:TGID_Y_EN: 1
; COMPUTE_PGM_RSRC2:TGID_Z_EN: 1
; COMPUTE_PGM_RSRC2:TIDIG_COMP_CNT: 1
	.section	.text._ZL37rocblas_syrkx_herkx_restricted_kernelIl19rocblas_complex_numIfELi16ELi32ELi8ELi1ELin1ELb1ELc78ELc76EKPKS1_KPS1_EviT_PT9_S7_lS9_S7_lPT10_S7_li,"axG",@progbits,_ZL37rocblas_syrkx_herkx_restricted_kernelIl19rocblas_complex_numIfELi16ELi32ELi8ELi1ELin1ELb1ELc78ELc76EKPKS1_KPS1_EviT_PT9_S7_lS9_S7_lPT10_S7_li,comdat
	.globl	_ZL37rocblas_syrkx_herkx_restricted_kernelIl19rocblas_complex_numIfELi16ELi32ELi8ELi1ELin1ELb1ELc78ELc76EKPKS1_KPS1_EviT_PT9_S7_lS9_S7_lPT10_S7_li ; -- Begin function _ZL37rocblas_syrkx_herkx_restricted_kernelIl19rocblas_complex_numIfELi16ELi32ELi8ELi1ELin1ELb1ELc78ELc76EKPKS1_KPS1_EviT_PT9_S7_lS9_S7_lPT10_S7_li
	.p2align	8
	.type	_ZL37rocblas_syrkx_herkx_restricted_kernelIl19rocblas_complex_numIfELi16ELi32ELi8ELi1ELin1ELb1ELc78ELc76EKPKS1_KPS1_EviT_PT9_S7_lS9_S7_lPT10_S7_li,@function
_ZL37rocblas_syrkx_herkx_restricted_kernelIl19rocblas_complex_numIfELi16ELi32ELi8ELi1ELin1ELb1ELc78ELc76EKPKS1_KPS1_EviT_PT9_S7_lS9_S7_lPT10_S7_li: ; @_ZL37rocblas_syrkx_herkx_restricted_kernelIl19rocblas_complex_numIfELi16ELi32ELi8ELi1ELin1ELb1ELc78ELc76EKPKS1_KPS1_EviT_PT9_S7_lS9_S7_lPT10_S7_li
; %bb.0:
	s_load_dwordx4 s[12:15], s[4:5], 0x40
	s_load_dwordx4 s[0:3], s[4:5], 0x8
	s_mov_b32 s9, 0
	s_lshl_b64 s[16:17], s[8:9], 3
	s_waitcnt lgkmcnt(0)
	s_add_u32 s8, s12, s16
	s_addc_u32 s9, s13, s17
	s_load_dwordx2 s[12:13], s[8:9], 0x0
	v_cmp_lt_i64_e64 s[8:9], s[0:1], 1
	s_lshl_b32 s18, s6, 5
	s_lshl_b32 s19, s7, 5
	s_and_b64 vcc, exec, s[8:9]
	s_cbranch_vccnz .LBB1704_3
; %bb.1:
	s_load_dwordx2 s[6:7], s[4:5], 0x18
	s_load_dwordx4 s[8:11], s[4:5], 0x28
	v_lshl_add_u32 v5, v1, 4, v0
	v_lshrrev_b32_e32 v7, 3, v5
	v_add_u32_e32 v2, s19, v7
	v_and_b32_e32 v6, 7, v0
	v_ashrrev_i32_e32 v3, 31, v2
	s_waitcnt lgkmcnt(0)
	v_mad_u64_u32 v[2:3], s[20:21], s10, v6, v[2:3]
	s_add_u32 s2, s2, s16
	s_addc_u32 s3, s3, s17
	v_mad_u64_u32 v[3:4], s[20:21], s11, v6, v[3:4]
	v_and_b32_e32 v4, 31, v5
	v_lshrrev_b32_e32 v8, 5, v5
	v_lshlrev_b32_e32 v5, 3, v4
	v_add_u32_e32 v4, s18, v4
	s_add_u32 s8, s8, s16
	v_lshl_or_b32 v10, v8, 8, v5
	v_ashrrev_i32_e32 v5, 31, v4
	s_addc_u32 s9, s9, s17
	v_mad_u64_u32 v[4:5], s[16:17], s6, v8, v[4:5]
	v_lshlrev_b32_e32 v6, 3, v6
	v_lshl_or_b32 v6, v7, 6, v6
	v_add_u32_e32 v11, 0x800, v6
	v_mad_u64_u32 v[5:6], s[16:17], s7, v8, v[5:6]
	s_load_dwordx2 s[2:3], s[2:3], 0x0
	v_mov_b32_e32 v6, 0x800
	s_load_dwordx2 s[8:9], s[8:9], 0x0
	v_lshlrev_b64 v[4:5], 3, v[4:5]
	v_lshl_add_u32 v13, v1, 6, v6
	s_waitcnt lgkmcnt(0)
	v_mov_b32_e32 v7, s3
	v_add_co_u32_e32 v6, vcc, s2, v4
	v_lshlrev_b64 v[2:3], 3, v[2:3]
	v_addc_co_u32_e32 v7, vcc, v7, v5, vcc
	s_lshl_b64 s[2:3], s[6:7], 6
	v_mov_b32_e32 v4, s9
	v_add_co_u32_e32 v8, vcc, s8, v2
	s_lshl_b64 s[6:7], s[10:11], 6
	v_lshlrev_b32_e32 v12, 3, v0
	v_addc_co_u32_e32 v9, vcc, v4, v3, vcc
	v_mov_b32_e32 v16, 0
	s_mov_b64 s[8:9], 0
	v_mov_b32_e32 v14, s3
	v_mov_b32_e32 v15, s7
	;; [unrolled: 1-line block ×9, first 2 shown]
.LBB1704_2:                             ; =>This Inner Loop Header: Depth=1
	flat_load_dwordx2 v[2:3], v[6:7]
	v_add_co_u32_e32 v6, vcc, s2, v6
	s_add_u32 s8, s8, 8
	v_addc_co_u32_e32 v7, vcc, v7, v14, vcc
	s_addc_u32 s9, s9, 0
	s_waitcnt vmcnt(0) lgkmcnt(0)
	ds_write_b64 v10, v[2:3]
	flat_load_dwordx2 v[2:3], v[8:9]
	v_add_co_u32_e32 v8, vcc, s6, v8
	v_addc_co_u32_e32 v9, vcc, v9, v15, vcc
	s_waitcnt vmcnt(0) lgkmcnt(0)
	v_xor_b32_e32 v3, 0x80000000, v3
	ds_write_b64 v11, v[2:3]
	s_waitcnt lgkmcnt(0)
	s_barrier
	ds_read_b128 v[24:27], v13
	ds_read_b128 v[28:31], v13 offset:16
	ds_read_b128 v[32:35], v13 offset:32
	;; [unrolled: 1-line block ×3, first 2 shown]
	ds_read2_b64 v[36:39], v12 offset1:16
	s_waitcnt lgkmcnt(0)
	v_mul_f32_e32 v40, v25, v37
	v_mul_f32_e32 v41, v24, v37
	v_fma_f32 v40, v24, v36, -v40
	v_fmac_f32_e32 v41, v25, v36
	v_add_f32_e32 v40, v22, v40
	v_add_f32_e32 v41, v23, v41
	v_mul_f32_e32 v22, v25, v39
	v_mul_f32_e32 v23, v24, v39
	v_fma_f32 v22, v24, v38, -v22
	v_fmac_f32_e32 v23, v25, v38
	v_add_f32_e32 v24, v21, v22
	v_add_f32_e32 v25, v20, v23
	ds_read_b128 v[20:23], v13 offset:1024
	s_waitcnt lgkmcnt(0)
	v_mul_f32_e32 v42, v21, v37
	v_mul_f32_e32 v37, v20, v37
	v_fma_f32 v42, v20, v36, -v42
	v_fmac_f32_e32 v37, v21, v36
	v_add_f32_e32 v36, v19, v42
	v_add_f32_e32 v37, v18, v37
	v_mul_f32_e32 v18, v21, v39
	v_mul_f32_e32 v19, v20, v39
	v_fma_f32 v18, v20, v38, -v18
	v_fmac_f32_e32 v19, v21, v38
	v_add_f32_e32 v20, v17, v18
	v_add_f32_e32 v21, v16, v19
	ds_read2_b64 v[16:19], v12 offset0:32 offset1:48
	s_waitcnt lgkmcnt(0)
	v_mul_f32_e32 v38, v27, v17
	v_fma_f32 v38, v26, v16, -v38
	v_add_f32_e32 v38, v40, v38
	v_mul_f32_e32 v40, v27, v19
	v_mul_f32_e32 v39, v26, v17
	v_fma_f32 v40, v26, v18, -v40
	v_mul_f32_e32 v26, v26, v19
	v_fmac_f32_e32 v26, v27, v18
	v_add_f32_e32 v25, v25, v26
	v_mul_f32_e32 v26, v23, v17
	v_mul_f32_e32 v17, v22, v17
	v_fmac_f32_e32 v17, v23, v16
	v_fmac_f32_e32 v39, v27, v16
	v_fma_f32 v26, v22, v16, -v26
	v_add_f32_e32 v27, v37, v17
	v_mul_f32_e32 v16, v23, v19
	v_mul_f32_e32 v17, v22, v19
	v_fma_f32 v16, v22, v18, -v16
	v_fmac_f32_e32 v17, v23, v18
	v_add_f32_e32 v26, v36, v26
	v_add_f32_e32 v36, v20, v16
	;; [unrolled: 1-line block ×3, first 2 shown]
	ds_read2_b64 v[16:19], v12 offset0:64 offset1:80
	v_add_f32_e32 v39, v41, v39
	v_add_f32_e32 v24, v24, v40
	s_waitcnt lgkmcnt(0)
	v_mul_f32_e32 v20, v29, v17
	v_mul_f32_e32 v21, v28, v17
	v_fma_f32 v20, v28, v16, -v20
	v_fmac_f32_e32 v21, v29, v16
	v_add_f32_e32 v38, v38, v20
	v_add_f32_e32 v39, v39, v21
	v_mul_f32_e32 v20, v29, v19
	v_mul_f32_e32 v21, v28, v19
	v_fma_f32 v20, v28, v18, -v20
	v_fmac_f32_e32 v21, v29, v18
	v_add_f32_e32 v24, v24, v20
	v_add_f32_e32 v25, v25, v21
	ds_read_b128 v[20:23], v13 offset:1040
	s_waitcnt lgkmcnt(0)
	v_mul_f32_e32 v28, v21, v17
	v_mul_f32_e32 v17, v20, v17
	v_fmac_f32_e32 v17, v21, v16
	v_fma_f32 v28, v20, v16, -v28
	v_add_f32_e32 v27, v27, v17
	v_mul_f32_e32 v16, v21, v19
	v_mul_f32_e32 v17, v20, v19
	v_fma_f32 v16, v20, v18, -v16
	v_fmac_f32_e32 v17, v21, v18
	v_add_f32_e32 v20, v36, v16
	v_add_f32_e32 v21, v37, v17
	ds_read2_b64 v[16:19], v12 offset0:96 offset1:112
	v_add_f32_e32 v26, v26, v28
	s_waitcnt lgkmcnt(0)
	v_mul_f32_e32 v28, v31, v17
	v_mul_f32_e32 v36, v31, v19
	v_fma_f32 v28, v30, v16, -v28
	v_mul_f32_e32 v29, v30, v17
	v_fma_f32 v36, v30, v18, -v36
	v_mul_f32_e32 v30, v30, v19
	v_fmac_f32_e32 v30, v31, v18
	v_add_f32_e32 v25, v25, v30
	v_mul_f32_e32 v30, v23, v17
	v_mul_f32_e32 v17, v22, v17
	v_fmac_f32_e32 v17, v23, v16
	v_fmac_f32_e32 v29, v31, v16
	v_fma_f32 v30, v22, v16, -v30
	v_add_f32_e32 v27, v27, v17
	v_mul_f32_e32 v16, v23, v19
	v_mul_f32_e32 v17, v22, v19
	v_fma_f32 v16, v22, v18, -v16
	v_fmac_f32_e32 v17, v23, v18
	v_add_f32_e32 v26, v26, v30
	v_add_f32_e32 v30, v20, v16
	;; [unrolled: 1-line block ×3, first 2 shown]
	ds_read2_b64 v[16:19], v12 offset0:128 offset1:144
	v_add_f32_e32 v28, v38, v28
	v_add_f32_e32 v29, v39, v29
	;; [unrolled: 1-line block ×3, first 2 shown]
	s_waitcnt lgkmcnt(0)
	v_mul_f32_e32 v20, v33, v17
	v_mul_f32_e32 v21, v32, v17
	v_fma_f32 v20, v32, v16, -v20
	v_fmac_f32_e32 v21, v33, v16
	v_add_f32_e32 v28, v28, v20
	v_add_f32_e32 v29, v29, v21
	v_mul_f32_e32 v20, v33, v19
	v_mul_f32_e32 v21, v32, v19
	v_fma_f32 v20, v32, v18, -v20
	v_fmac_f32_e32 v21, v33, v18
	v_add_f32_e32 v24, v24, v20
	v_add_f32_e32 v25, v25, v21
	ds_read_b128 v[20:23], v13 offset:1056
	s_waitcnt lgkmcnt(0)
	v_mul_f32_e32 v32, v21, v17
	v_mul_f32_e32 v17, v20, v17
	v_fmac_f32_e32 v17, v21, v16
	v_fma_f32 v32, v20, v16, -v32
	v_add_f32_e32 v27, v27, v17
	v_mul_f32_e32 v16, v21, v19
	v_mul_f32_e32 v17, v20, v19
	v_fma_f32 v16, v20, v18, -v16
	v_fmac_f32_e32 v17, v21, v18
	v_add_f32_e32 v20, v30, v16
	v_add_f32_e32 v21, v31, v17
	ds_read2_b64 v[16:19], v12 offset0:160 offset1:176
	v_add_f32_e32 v26, v26, v32
	s_waitcnt lgkmcnt(0)
	v_mul_f32_e32 v30, v35, v17
	v_fma_f32 v30, v34, v16, -v30
	v_add_f32_e32 v28, v28, v30
	v_mul_f32_e32 v30, v35, v19
	v_fma_f32 v30, v34, v18, -v30
	v_mul_f32_e32 v31, v34, v17
	v_add_f32_e32 v24, v24, v30
	v_mul_f32_e32 v30, v23, v17
	v_mul_f32_e32 v17, v22, v17
	v_fmac_f32_e32 v17, v23, v16
	v_fmac_f32_e32 v31, v35, v16
	v_fma_f32 v30, v22, v16, -v30
	v_add_f32_e32 v27, v27, v17
	v_mul_f32_e32 v16, v23, v19
	v_mul_f32_e32 v17, v22, v19
	v_add_f32_e32 v29, v29, v31
	v_mul_f32_e32 v31, v34, v19
	v_fma_f32 v16, v22, v18, -v16
	v_fmac_f32_e32 v17, v23, v18
	v_fmac_f32_e32 v31, v35, v18
	v_add_f32_e32 v20, v20, v16
	v_add_f32_e32 v21, v21, v17
	ds_read2_b64 v[16:19], v12 offset0:192 offset1:208
	v_add_f32_e32 v26, v26, v30
	v_add_f32_e32 v25, v25, v31
	s_waitcnt lgkmcnt(0)
	v_mul_f32_e32 v22, v3, v17
	v_fma_f32 v22, v2, v16, -v22
	v_add_f32_e32 v30, v28, v22
	v_mul_f32_e32 v22, v3, v19
	v_mul_f32_e32 v23, v2, v17
	v_fma_f32 v22, v2, v18, -v22
	v_mul_f32_e32 v2, v2, v19
	v_fmac_f32_e32 v23, v3, v16
	v_fmac_f32_e32 v2, v3, v18
	v_add_f32_e32 v31, v29, v23
	v_add_f32_e32 v3, v24, v22
	;; [unrolled: 1-line block ×3, first 2 shown]
	ds_read_b128 v[22:25], v13 offset:1072
	s_waitcnt lgkmcnt(0)
	v_mul_f32_e32 v28, v23, v17
	v_fma_f32 v28, v22, v16, -v28
	v_mul_f32_e32 v17, v22, v17
	v_fmac_f32_e32 v17, v23, v16
	v_add_f32_e32 v16, v26, v28
	v_mul_f32_e32 v26, v23, v19
	v_fma_f32 v26, v22, v18, -v26
	v_add_f32_e32 v17, v27, v17
	v_add_f32_e32 v32, v20, v26
	ds_read2_b64 v[26:29], v12 offset0:224 offset1:240
	v_mul_f32_e32 v19, v22, v19
	v_fmac_f32_e32 v19, v23, v18
	v_add_f32_e32 v33, v21, v19
	s_waitcnt lgkmcnt(0)
	v_mul_f32_e32 v18, v5, v27
	v_fma_f32 v18, v4, v26, -v18
	v_add_f32_e32 v22, v30, v18
	v_mul_f32_e32 v18, v5, v29
	v_mul_f32_e32 v19, v4, v27
	v_fma_f32 v18, v4, v28, -v18
	v_mul_f32_e32 v4, v4, v29
	v_fmac_f32_e32 v4, v5, v28
	v_add_f32_e32 v21, v3, v18
	v_add_f32_e32 v20, v2, v4
	v_mul_f32_e32 v2, v25, v27
	v_mul_f32_e32 v3, v24, v27
	v_fmac_f32_e32 v19, v5, v26
	v_fma_f32 v2, v24, v26, -v2
	v_fmac_f32_e32 v3, v25, v26
	v_add_f32_e32 v23, v31, v19
	v_add_f32_e32 v19, v16, v2
	;; [unrolled: 1-line block ×3, first 2 shown]
	v_mul_f32_e32 v2, v25, v29
	v_mul_f32_e32 v3, v24, v29
	v_fma_f32 v2, v24, v28, -v2
	v_fmac_f32_e32 v3, v25, v28
	v_add_f32_e32 v17, v32, v2
	v_add_f32_e32 v16, v33, v3
	v_mov_b32_e32 v2, s8
	v_mov_b32_e32 v3, s9
	v_cmp_le_u64_e32 vcc, s[0:1], v[2:3]
	s_barrier
	s_cbranch_vccz .LBB1704_2
	s_branch .LBB1704_4
.LBB1704_3:
	v_mov_b32_e32 v22, 0
	v_mov_b32_e32 v23, 0
	;; [unrolled: 1-line block ×8, first 2 shown]
.LBB1704_4:
	v_add_u32_e32 v5, s19, v1
	v_ashrrev_i32_e32 v1, 31, v5
	v_mul_lo_u32 v3, s14, v1
	v_mul_lo_u32 v4, s15, v5
	v_mad_u64_u32 v[1:2], s[0:1], s14, v5, 0
	s_load_dword s4, s[4:5], 0x0
	v_add_u32_e32 v0, s18, v0
	v_add3_u32 v2, v2, v3, v4
	v_lshlrev_b64 v[1:2], 3, v[1:2]
	s_waitcnt lgkmcnt(0)
	v_mov_b32_e32 v3, s13
	v_add_co_u32_e32 v4, vcc, s12, v1
	v_addc_co_u32_e32 v6, vcc, v3, v2, vcc
	v_cmp_le_i32_e64 s[0:1], v5, v0
	v_cmp_gt_i32_e32 vcc, s4, v0
	s_and_b64 s[0:1], s[0:1], vcc
	s_and_saveexec_b64 s[2:3], s[0:1]
	s_cbranch_execz .LBB1704_7
; %bb.5:
	v_ashrrev_i32_e32 v1, 31, v0
	v_lshlrev_b64 v[1:2], 3, v[0:1]
	v_add_co_u32_e64 v1, s[0:1], v4, v1
	v_addc_co_u32_e64 v2, s[0:1], v6, v2, s[0:1]
	flat_load_dwordx2 v[7:8], v[1:2]
	v_cmp_eq_u32_e64 s[0:1], v5, v0
	s_waitcnt vmcnt(0) lgkmcnt(0)
	v_sub_f32_e32 v7, v22, v7
	v_sub_f32_e32 v8, v23, v8
	flat_store_dwordx2 v[1:2], v[7:8]
	s_and_b64 exec, exec, s[0:1]
	s_cbranch_execz .LBB1704_7
; %bb.6:
	v_mov_b32_e32 v3, 0
	flat_store_dword v[1:2], v3 offset:4
.LBB1704_7:
	s_or_b64 exec, exec, s[2:3]
	v_add_u32_e32 v2, 16, v0
	v_cmp_le_i32_e64 s[2:3], v5, v2
	v_cmp_gt_i32_e64 s[0:1], s4, v2
	s_and_b64 s[2:3], s[2:3], s[0:1]
	s_and_saveexec_b64 s[4:5], s[2:3]
	s_cbranch_execz .LBB1704_10
; %bb.8:
	v_ashrrev_i32_e32 v3, 31, v2
	v_lshlrev_b64 v[7:8], 3, v[2:3]
	v_add_co_u32_e64 v3, s[2:3], v4, v7
	v_addc_co_u32_e64 v4, s[2:3], v6, v8, s[2:3]
	flat_load_dwordx2 v[6:7], v[3:4]
	v_cmp_eq_u32_e64 s[2:3], v5, v2
	s_waitcnt vmcnt(0) lgkmcnt(0)
	v_sub_f32_e32 v6, v21, v6
	v_sub_f32_e32 v7, v20, v7
	flat_store_dwordx2 v[3:4], v[6:7]
	s_and_b64 exec, exec, s[2:3]
	s_cbranch_execz .LBB1704_10
; %bb.9:
	v_mov_b32_e32 v1, 0
	flat_store_dword v[3:4], v1 offset:4
.LBB1704_10:
	s_or_b64 exec, exec, s[4:5]
	v_add_u32_e32 v6, 16, v5
	v_ashrrev_i32_e32 v1, 31, v6
	v_mul_lo_u32 v7, s15, v6
	v_mad_u64_u32 v[3:4], s[2:3], s14, v6, 0
	v_mul_lo_u32 v1, s14, v1
	v_add3_u32 v4, v4, v1, v7
	v_lshlrev_b64 v[3:4], 3, v[3:4]
	v_mov_b32_e32 v1, s13
	v_add_co_u32_e64 v7, s[2:3], s12, v3
	v_addc_co_u32_e64 v8, s[2:3], v1, v4, s[2:3]
	v_cmp_le_i32_e64 s[2:3], v6, v0
	s_and_b64 s[4:5], s[2:3], vcc
	s_and_saveexec_b64 s[2:3], s[4:5]
	s_cbranch_execz .LBB1704_13
; %bb.11:
	v_ashrrev_i32_e32 v1, 31, v0
	v_lshlrev_b64 v[3:4], 3, v[0:1]
	v_add_co_u32_e32 v3, vcc, v7, v3
	v_addc_co_u32_e32 v4, vcc, v8, v4, vcc
	flat_load_dwordx2 v[9:10], v[3:4]
	v_cmp_eq_u32_e32 vcc, v6, v0
	s_waitcnt vmcnt(0) lgkmcnt(0)
	v_sub_f32_e32 v9, v19, v9
	v_sub_f32_e32 v10, v18, v10
	flat_store_dwordx2 v[3:4], v[9:10]
	s_and_b64 exec, exec, vcc
	s_cbranch_execz .LBB1704_13
; %bb.12:
	v_mov_b32_e32 v1, 0
	flat_store_dword v[3:4], v1 offset:4
.LBB1704_13:
	s_or_b64 exec, exec, s[2:3]
	v_cmp_le_i32_e32 vcc, v6, v2
	s_and_b64 s[0:1], vcc, s[0:1]
	s_and_saveexec_b64 s[2:3], s[0:1]
	s_cbranch_execz .LBB1704_16
; %bb.14:
	v_ashrrev_i32_e32 v3, 31, v2
	v_lshlrev_b64 v[1:2], 3, v[2:3]
	v_add_co_u32_e32 v1, vcc, v7, v1
	v_addc_co_u32_e32 v2, vcc, v8, v2, vcc
	flat_load_dwordx2 v[3:4], v[1:2]
	v_cmp_eq_u32_e32 vcc, v5, v0
	s_waitcnt vmcnt(0) lgkmcnt(0)
	v_sub_f32_e32 v3, v17, v3
	v_sub_f32_e32 v4, v16, v4
	flat_store_dwordx2 v[1:2], v[3:4]
	s_and_b64 exec, exec, vcc
	s_cbranch_execz .LBB1704_16
; %bb.15:
	v_mov_b32_e32 v0, 0
	flat_store_dword v[1:2], v0 offset:4
.LBB1704_16:
	s_endpgm
	.section	.rodata,"a",@progbits
	.p2align	6, 0x0
	.amdhsa_kernel _ZL37rocblas_syrkx_herkx_restricted_kernelIl19rocblas_complex_numIfELi16ELi32ELi8ELi1ELin1ELb1ELc78ELc76EKPKS1_KPS1_EviT_PT9_S7_lS9_S7_lPT10_S7_li
		.amdhsa_group_segment_fixed_size 4096
		.amdhsa_private_segment_fixed_size 0
		.amdhsa_kernarg_size 92
		.amdhsa_user_sgpr_count 6
		.amdhsa_user_sgpr_private_segment_buffer 1
		.amdhsa_user_sgpr_dispatch_ptr 0
		.amdhsa_user_sgpr_queue_ptr 0
		.amdhsa_user_sgpr_kernarg_segment_ptr 1
		.amdhsa_user_sgpr_dispatch_id 0
		.amdhsa_user_sgpr_flat_scratch_init 0
		.amdhsa_user_sgpr_private_segment_size 0
		.amdhsa_uses_dynamic_stack 0
		.amdhsa_system_sgpr_private_segment_wavefront_offset 0
		.amdhsa_system_sgpr_workgroup_id_x 1
		.amdhsa_system_sgpr_workgroup_id_y 1
		.amdhsa_system_sgpr_workgroup_id_z 1
		.amdhsa_system_sgpr_workgroup_info 0
		.amdhsa_system_vgpr_workitem_id 1
		.amdhsa_next_free_vgpr 43
		.amdhsa_next_free_sgpr 22
		.amdhsa_reserve_vcc 1
		.amdhsa_reserve_flat_scratch 0
		.amdhsa_float_round_mode_32 0
		.amdhsa_float_round_mode_16_64 0
		.amdhsa_float_denorm_mode_32 3
		.amdhsa_float_denorm_mode_16_64 3
		.amdhsa_dx10_clamp 1
		.amdhsa_ieee_mode 1
		.amdhsa_fp16_overflow 0
		.amdhsa_exception_fp_ieee_invalid_op 0
		.amdhsa_exception_fp_denorm_src 0
		.amdhsa_exception_fp_ieee_div_zero 0
		.amdhsa_exception_fp_ieee_overflow 0
		.amdhsa_exception_fp_ieee_underflow 0
		.amdhsa_exception_fp_ieee_inexact 0
		.amdhsa_exception_int_div_zero 0
	.end_amdhsa_kernel
	.section	.text._ZL37rocblas_syrkx_herkx_restricted_kernelIl19rocblas_complex_numIfELi16ELi32ELi8ELi1ELin1ELb1ELc78ELc76EKPKS1_KPS1_EviT_PT9_S7_lS9_S7_lPT10_S7_li,"axG",@progbits,_ZL37rocblas_syrkx_herkx_restricted_kernelIl19rocblas_complex_numIfELi16ELi32ELi8ELi1ELin1ELb1ELc78ELc76EKPKS1_KPS1_EviT_PT9_S7_lS9_S7_lPT10_S7_li,comdat
.Lfunc_end1704:
	.size	_ZL37rocblas_syrkx_herkx_restricted_kernelIl19rocblas_complex_numIfELi16ELi32ELi8ELi1ELin1ELb1ELc78ELc76EKPKS1_KPS1_EviT_PT9_S7_lS9_S7_lPT10_S7_li, .Lfunc_end1704-_ZL37rocblas_syrkx_herkx_restricted_kernelIl19rocblas_complex_numIfELi16ELi32ELi8ELi1ELin1ELb1ELc78ELc76EKPKS1_KPS1_EviT_PT9_S7_lS9_S7_lPT10_S7_li
                                        ; -- End function
	.set _ZL37rocblas_syrkx_herkx_restricted_kernelIl19rocblas_complex_numIfELi16ELi32ELi8ELi1ELin1ELb1ELc78ELc76EKPKS1_KPS1_EviT_PT9_S7_lS9_S7_lPT10_S7_li.num_vgpr, 43
	.set _ZL37rocblas_syrkx_herkx_restricted_kernelIl19rocblas_complex_numIfELi16ELi32ELi8ELi1ELin1ELb1ELc78ELc76EKPKS1_KPS1_EviT_PT9_S7_lS9_S7_lPT10_S7_li.num_agpr, 0
	.set _ZL37rocblas_syrkx_herkx_restricted_kernelIl19rocblas_complex_numIfELi16ELi32ELi8ELi1ELin1ELb1ELc78ELc76EKPKS1_KPS1_EviT_PT9_S7_lS9_S7_lPT10_S7_li.numbered_sgpr, 22
	.set _ZL37rocblas_syrkx_herkx_restricted_kernelIl19rocblas_complex_numIfELi16ELi32ELi8ELi1ELin1ELb1ELc78ELc76EKPKS1_KPS1_EviT_PT9_S7_lS9_S7_lPT10_S7_li.num_named_barrier, 0
	.set _ZL37rocblas_syrkx_herkx_restricted_kernelIl19rocblas_complex_numIfELi16ELi32ELi8ELi1ELin1ELb1ELc78ELc76EKPKS1_KPS1_EviT_PT9_S7_lS9_S7_lPT10_S7_li.private_seg_size, 0
	.set _ZL37rocblas_syrkx_herkx_restricted_kernelIl19rocblas_complex_numIfELi16ELi32ELi8ELi1ELin1ELb1ELc78ELc76EKPKS1_KPS1_EviT_PT9_S7_lS9_S7_lPT10_S7_li.uses_vcc, 1
	.set _ZL37rocblas_syrkx_herkx_restricted_kernelIl19rocblas_complex_numIfELi16ELi32ELi8ELi1ELin1ELb1ELc78ELc76EKPKS1_KPS1_EviT_PT9_S7_lS9_S7_lPT10_S7_li.uses_flat_scratch, 0
	.set _ZL37rocblas_syrkx_herkx_restricted_kernelIl19rocblas_complex_numIfELi16ELi32ELi8ELi1ELin1ELb1ELc78ELc76EKPKS1_KPS1_EviT_PT9_S7_lS9_S7_lPT10_S7_li.has_dyn_sized_stack, 0
	.set _ZL37rocblas_syrkx_herkx_restricted_kernelIl19rocblas_complex_numIfELi16ELi32ELi8ELi1ELin1ELb1ELc78ELc76EKPKS1_KPS1_EviT_PT9_S7_lS9_S7_lPT10_S7_li.has_recursion, 0
	.set _ZL37rocblas_syrkx_herkx_restricted_kernelIl19rocblas_complex_numIfELi16ELi32ELi8ELi1ELin1ELb1ELc78ELc76EKPKS1_KPS1_EviT_PT9_S7_lS9_S7_lPT10_S7_li.has_indirect_call, 0
	.section	.AMDGPU.csdata,"",@progbits
; Kernel info:
; codeLenInByte = 2112
; TotalNumSgprs: 26
; NumVgprs: 43
; ScratchSize: 0
; MemoryBound: 0
; FloatMode: 240
; IeeeMode: 1
; LDSByteSize: 4096 bytes/workgroup (compile time only)
; SGPRBlocks: 3
; VGPRBlocks: 10
; NumSGPRsForWavesPerEU: 26
; NumVGPRsForWavesPerEU: 43
; Occupancy: 5
; WaveLimiterHint : 1
; COMPUTE_PGM_RSRC2:SCRATCH_EN: 0
; COMPUTE_PGM_RSRC2:USER_SGPR: 6
; COMPUTE_PGM_RSRC2:TRAP_HANDLER: 0
; COMPUTE_PGM_RSRC2:TGID_X_EN: 1
; COMPUTE_PGM_RSRC2:TGID_Y_EN: 1
; COMPUTE_PGM_RSRC2:TGID_Z_EN: 1
; COMPUTE_PGM_RSRC2:TIDIG_COMP_CNT: 1
	.section	.text._ZL37rocblas_syrkx_herkx_restricted_kernelIl19rocblas_complex_numIfELi16ELi32ELi8ELi1ELin1ELb1ELc84ELc85EKPKS1_KPS1_EviT_PT9_S7_lS9_S7_lPT10_S7_li,"axG",@progbits,_ZL37rocblas_syrkx_herkx_restricted_kernelIl19rocblas_complex_numIfELi16ELi32ELi8ELi1ELin1ELb1ELc84ELc85EKPKS1_KPS1_EviT_PT9_S7_lS9_S7_lPT10_S7_li,comdat
	.globl	_ZL37rocblas_syrkx_herkx_restricted_kernelIl19rocblas_complex_numIfELi16ELi32ELi8ELi1ELin1ELb1ELc84ELc85EKPKS1_KPS1_EviT_PT9_S7_lS9_S7_lPT10_S7_li ; -- Begin function _ZL37rocblas_syrkx_herkx_restricted_kernelIl19rocblas_complex_numIfELi16ELi32ELi8ELi1ELin1ELb1ELc84ELc85EKPKS1_KPS1_EviT_PT9_S7_lS9_S7_lPT10_S7_li
	.p2align	8
	.type	_ZL37rocblas_syrkx_herkx_restricted_kernelIl19rocblas_complex_numIfELi16ELi32ELi8ELi1ELin1ELb1ELc84ELc85EKPKS1_KPS1_EviT_PT9_S7_lS9_S7_lPT10_S7_li,@function
_ZL37rocblas_syrkx_herkx_restricted_kernelIl19rocblas_complex_numIfELi16ELi32ELi8ELi1ELin1ELb1ELc84ELc85EKPKS1_KPS1_EviT_PT9_S7_lS9_S7_lPT10_S7_li: ; @_ZL37rocblas_syrkx_herkx_restricted_kernelIl19rocblas_complex_numIfELi16ELi32ELi8ELi1ELin1ELb1ELc84ELc85EKPKS1_KPS1_EviT_PT9_S7_lS9_S7_lPT10_S7_li
; %bb.0:
	s_load_dwordx4 s[0:3], s[4:5], 0x40
	s_load_dwordx4 s[12:15], s[4:5], 0x8
	s_mov_b32 s9, 0
	s_lshl_b64 s[10:11], s[8:9], 3
	s_waitcnt lgkmcnt(0)
	s_add_u32 s0, s0, s10
	s_addc_u32 s1, s1, s11
	s_load_dwordx2 s[8:9], s[0:1], 0x0
	v_cmp_lt_i64_e64 s[0:1], s[12:13], 1
	s_lshl_b32 s6, s6, 5
	s_lshl_b32 s7, s7, 5
	s_and_b64 vcc, exec, s[0:1]
	s_cbranch_vccnz .LBB1705_3
; %bb.1:
	s_load_dwordx2 s[0:1], s[4:5], 0x18
	s_load_dwordx4 s[16:19], s[4:5], 0x28
	v_lshl_add_u32 v4, v1, 4, v0
	v_lshrrev_b32_e32 v6, 3, v4
	v_add_u32_e32 v2, s7, v6
	v_ashrrev_i32_e32 v3, 31, v2
	v_and_b32_e32 v9, 7, v0
	v_mov_b32_e32 v10, 0
	s_waitcnt lgkmcnt(0)
	v_mul_lo_u32 v5, s18, v3
	v_mul_lo_u32 v7, s19, v2
	v_mad_u64_u32 v[2:3], s[18:19], s18, v2, v[9:10]
	s_add_u32 s14, s14, s10
	s_addc_u32 s15, s15, s11
	v_add3_u32 v3, v7, v3, v5
	v_and_b32_e32 v7, 31, v4
	v_lshrrev_b32_e32 v4, 5, v4
	v_lshlrev_b32_e32 v8, 3, v7
	v_lshl_or_b32 v11, v4, 8, v8
	v_lshlrev_b32_e32 v8, 3, v9
	v_lshl_or_b32 v6, v6, 6, v8
	v_add_u32_e32 v12, 0x800, v6
	v_add_u32_e32 v6, s6, v7
	s_add_u32 s10, s16, s10
	v_mov_b32_e32 v5, v10
	v_ashrrev_i32_e32 v7, 31, v6
	s_addc_u32 s11, s17, s11
	v_mul_lo_u32 v7, s0, v7
	v_mad_u64_u32 v[4:5], s[16:17], s0, v6, v[4:5]
	v_mul_lo_u32 v6, s1, v6
	s_load_dwordx2 s[14:15], s[14:15], 0x0
	v_lshlrev_b64 v[2:3], 3, v[2:3]
	s_load_dwordx2 s[10:11], s[10:11], 0x0
	v_add3_u32 v5, v6, v5, v7
	v_lshlrev_b64 v[4:5], 3, v[4:5]
	s_waitcnt lgkmcnt(0)
	v_mov_b32_e32 v7, s15
	v_add_co_u32_e32 v6, vcc, s14, v4
	v_mov_b32_e32 v8, 0x800
	v_addc_co_u32_e32 v7, vcc, v7, v5, vcc
	v_lshl_add_u32 v14, v1, 6, v8
	v_mov_b32_e32 v4, s11
	v_add_co_u32_e32 v8, vcc, s10, v2
	v_lshlrev_b32_e32 v13, 3, v0
	v_addc_co_u32_e32 v9, vcc, v4, v3, vcc
	s_mov_b64 s[0:1], 0
	v_mov_b32_e32 v15, v10
	v_mov_b32_e32 v16, v10
	;; [unrolled: 1-line block ×7, first 2 shown]
.LBB1705_2:                             ; =>This Inner Loop Header: Depth=1
	flat_load_dwordx2 v[2:3], v[6:7]
	s_add_u32 s0, s0, 8
	v_add_co_u32_e32 v6, vcc, 64, v6
	s_addc_u32 s1, s1, 0
	v_addc_co_u32_e32 v7, vcc, 0, v7, vcc
	s_waitcnt vmcnt(0) lgkmcnt(0)
	ds_write_b64 v11, v[2:3]
	flat_load_dwordx2 v[2:3], v[8:9]
	v_add_co_u32_e32 v8, vcc, 64, v8
	v_addc_co_u32_e32 v9, vcc, 0, v9, vcc
	s_waitcnt vmcnt(0) lgkmcnt(0)
	ds_write_b64 v12, v[2:3]
	s_waitcnt lgkmcnt(0)
	s_barrier
	ds_read_b128 v[22:25], v14
	ds_read_b128 v[26:29], v14 offset:16
	ds_read_b128 v[30:33], v14 offset:32
	;; [unrolled: 1-line block ×3, first 2 shown]
	ds_read2_b64 v[34:37], v13 offset1:16
	s_waitcnt lgkmcnt(0)
	v_mul_f32_e32 v38, v23, v35
	v_mul_f32_e32 v39, v22, v35
	v_fma_f32 v38, v22, v34, -v38
	v_fmac_f32_e32 v39, v23, v34
	v_add_f32_e32 v38, v20, v38
	v_add_f32_e32 v39, v21, v39
	v_mul_f32_e32 v20, v23, v37
	v_mul_f32_e32 v21, v22, v37
	v_fma_f32 v20, v22, v36, -v20
	v_fmac_f32_e32 v21, v23, v36
	v_add_f32_e32 v22, v19, v20
	v_add_f32_e32 v23, v18, v21
	ds_read_b128 v[18:21], v14 offset:1024
	s_waitcnt lgkmcnt(0)
	v_mul_f32_e32 v40, v19, v35
	v_mul_f32_e32 v35, v18, v35
	v_fma_f32 v40, v18, v34, -v40
	v_fmac_f32_e32 v35, v19, v34
	v_add_f32_e32 v34, v17, v40
	v_add_f32_e32 v35, v16, v35
	v_mul_f32_e32 v16, v19, v37
	v_mul_f32_e32 v17, v18, v37
	v_fma_f32 v16, v18, v36, -v16
	v_fmac_f32_e32 v17, v19, v36
	v_add_f32_e32 v19, v15, v16
	v_add_f32_e32 v10, v10, v17
	ds_read2_b64 v[15:18], v13 offset0:32 offset1:48
	s_waitcnt lgkmcnt(0)
	v_mul_f32_e32 v36, v25, v16
	v_fma_f32 v36, v24, v15, -v36
	v_add_f32_e32 v36, v38, v36
	v_mul_f32_e32 v38, v25, v18
	v_mul_f32_e32 v37, v24, v16
	v_fma_f32 v38, v24, v17, -v38
	v_mul_f32_e32 v24, v24, v18
	v_fmac_f32_e32 v24, v25, v17
	v_add_f32_e32 v23, v23, v24
	v_mul_f32_e32 v24, v21, v16
	v_mul_f32_e32 v16, v20, v16
	v_fmac_f32_e32 v16, v21, v15
	v_fmac_f32_e32 v37, v25, v15
	v_fma_f32 v24, v20, v15, -v24
	v_add_f32_e32 v25, v35, v16
	v_mul_f32_e32 v15, v21, v18
	v_mul_f32_e32 v16, v20, v18
	v_fma_f32 v15, v20, v17, -v15
	v_fmac_f32_e32 v16, v21, v17
	v_add_f32_e32 v24, v34, v24
	v_add_f32_e32 v34, v19, v15
	;; [unrolled: 1-line block ×3, first 2 shown]
	ds_read2_b64 v[15:18], v13 offset0:64 offset1:80
	v_add_f32_e32 v37, v39, v37
	v_add_f32_e32 v22, v22, v38
	s_waitcnt lgkmcnt(0)
	v_mul_f32_e32 v19, v27, v16
	v_mul_f32_e32 v20, v26, v16
	v_fma_f32 v19, v26, v15, -v19
	v_fmac_f32_e32 v20, v27, v15
	v_add_f32_e32 v35, v36, v19
	v_add_f32_e32 v36, v37, v20
	v_mul_f32_e32 v19, v27, v18
	v_mul_f32_e32 v20, v26, v18
	v_fma_f32 v19, v26, v17, -v19
	v_fmac_f32_e32 v20, v27, v17
	v_add_f32_e32 v26, v22, v19
	v_add_f32_e32 v23, v23, v20
	ds_read_b128 v[19:22], v14 offset:1040
	s_waitcnt lgkmcnt(0)
	v_mul_f32_e32 v27, v20, v16
	v_mul_f32_e32 v16, v19, v16
	v_fmac_f32_e32 v16, v20, v15
	v_fma_f32 v27, v19, v15, -v27
	v_add_f32_e32 v25, v25, v16
	v_mul_f32_e32 v15, v20, v18
	v_mul_f32_e32 v16, v19, v18
	v_fma_f32 v15, v19, v17, -v15
	v_fmac_f32_e32 v16, v20, v17
	v_add_f32_e32 v19, v34, v15
	v_add_f32_e32 v10, v10, v16
	ds_read2_b64 v[15:18], v13 offset0:96 offset1:112
	v_add_f32_e32 v24, v24, v27
	s_waitcnt lgkmcnt(0)
	v_mul_f32_e32 v20, v29, v16
	v_mul_f32_e32 v34, v29, v18
	v_fma_f32 v20, v28, v15, -v20
	v_mul_f32_e32 v27, v28, v16
	v_fma_f32 v34, v28, v17, -v34
	v_mul_f32_e32 v28, v28, v18
	v_fmac_f32_e32 v28, v29, v17
	v_add_f32_e32 v23, v23, v28
	v_mul_f32_e32 v28, v22, v16
	v_mul_f32_e32 v16, v21, v16
	v_fmac_f32_e32 v16, v22, v15
	v_fmac_f32_e32 v27, v29, v15
	v_fma_f32 v28, v21, v15, -v28
	v_add_f32_e32 v25, v25, v16
	v_mul_f32_e32 v15, v22, v18
	v_mul_f32_e32 v16, v21, v18
	v_fma_f32 v15, v21, v17, -v15
	v_fmac_f32_e32 v16, v22, v17
	v_add_f32_e32 v24, v24, v28
	v_add_f32_e32 v28, v19, v15
	;; [unrolled: 1-line block ×3, first 2 shown]
	ds_read2_b64 v[15:18], v13 offset0:128 offset1:144
	v_add_f32_e32 v20, v35, v20
	v_add_f32_e32 v27, v36, v27
	;; [unrolled: 1-line block ×3, first 2 shown]
	s_waitcnt lgkmcnt(0)
	v_mul_f32_e32 v19, v31, v16
	v_fma_f32 v19, v30, v15, -v19
	v_mul_f32_e32 v21, v30, v16
	v_add_f32_e32 v29, v20, v19
	v_mul_f32_e32 v19, v31, v18
	v_mul_f32_e32 v20, v30, v18
	v_fmac_f32_e32 v21, v31, v15
	v_fma_f32 v19, v30, v17, -v19
	v_fmac_f32_e32 v20, v31, v17
	v_add_f32_e32 v27, v27, v21
	v_add_f32_e32 v26, v26, v19
	;; [unrolled: 1-line block ×3, first 2 shown]
	ds_read_b128 v[19:22], v14 offset:1056
	s_waitcnt lgkmcnt(0)
	v_mul_f32_e32 v30, v20, v16
	v_mul_f32_e32 v16, v19, v16
	v_fmac_f32_e32 v16, v20, v15
	v_fma_f32 v30, v19, v15, -v30
	v_add_f32_e32 v25, v25, v16
	v_mul_f32_e32 v15, v20, v18
	v_mul_f32_e32 v16, v19, v18
	v_fma_f32 v15, v19, v17, -v15
	v_fmac_f32_e32 v16, v20, v17
	v_add_f32_e32 v19, v28, v15
	v_add_f32_e32 v10, v10, v16
	ds_read2_b64 v[15:18], v13 offset0:160 offset1:176
	v_add_f32_e32 v24, v24, v30
	s_waitcnt lgkmcnt(0)
	v_mul_f32_e32 v28, v32, v16
	v_fmac_f32_e32 v28, v33, v15
	v_add_f32_e32 v27, v27, v28
	v_mul_f32_e32 v28, v33, v18
	v_fma_f32 v28, v32, v17, -v28
	v_mul_f32_e32 v20, v33, v16
	v_add_f32_e32 v26, v26, v28
	v_mul_f32_e32 v28, v22, v16
	v_mul_f32_e32 v16, v21, v16
	v_fmac_f32_e32 v16, v22, v15
	v_fma_f32 v20, v32, v15, -v20
	v_fma_f32 v28, v21, v15, -v28
	v_add_f32_e32 v25, v25, v16
	v_mul_f32_e32 v15, v22, v18
	v_mul_f32_e32 v16, v21, v18
	v_add_f32_e32 v20, v29, v20
	v_mul_f32_e32 v29, v32, v18
	v_fma_f32 v15, v21, v17, -v15
	v_fmac_f32_e32 v16, v22, v17
	v_fmac_f32_e32 v29, v33, v17
	v_add_f32_e32 v19, v19, v15
	v_add_f32_e32 v10, v10, v16
	ds_read2_b64 v[15:18], v13 offset0:192 offset1:208
	v_add_f32_e32 v24, v24, v28
	v_add_f32_e32 v23, v23, v29
	s_waitcnt lgkmcnt(0)
	v_mul_f32_e32 v21, v3, v16
	v_fma_f32 v21, v2, v15, -v21
	v_add_f32_e32 v28, v20, v21
	v_mul_f32_e32 v20, v3, v18
	v_mul_f32_e32 v22, v2, v16
	v_fma_f32 v20, v2, v17, -v20
	v_mul_f32_e32 v2, v2, v18
	v_fmac_f32_e32 v22, v3, v15
	v_fmac_f32_e32 v2, v3, v17
	v_add_f32_e32 v29, v27, v22
	v_add_f32_e32 v3, v26, v20
	;; [unrolled: 1-line block ×3, first 2 shown]
	ds_read_b128 v[20:23], v14 offset:1072
	s_waitcnt lgkmcnt(0)
	v_mul_f32_e32 v26, v21, v16
	v_fma_f32 v26, v20, v15, -v26
	v_mul_f32_e32 v16, v20, v16
	v_fmac_f32_e32 v16, v21, v15
	v_add_f32_e32 v15, v24, v26
	v_mul_f32_e32 v24, v21, v18
	v_fma_f32 v24, v20, v17, -v24
	v_add_f32_e32 v16, v25, v16
	v_add_f32_e32 v30, v19, v24
	ds_read2_b64 v[24:27], v13 offset0:224 offset1:240
	v_mul_f32_e32 v18, v20, v18
	v_fmac_f32_e32 v18, v21, v17
	v_add_f32_e32 v10, v10, v18
	s_waitcnt lgkmcnt(0)
	v_mul_f32_e32 v17, v5, v25
	v_fma_f32 v17, v4, v24, -v17
	v_add_f32_e32 v20, v28, v17
	v_mul_f32_e32 v17, v5, v27
	v_mul_f32_e32 v18, v4, v25
	v_fma_f32 v17, v4, v26, -v17
	v_mul_f32_e32 v4, v4, v27
	v_fmac_f32_e32 v18, v5, v24
	v_fmac_f32_e32 v4, v5, v26
	v_add_f32_e32 v21, v29, v18
	v_add_f32_e32 v19, v3, v17
	v_add_f32_e32 v18, v2, v4
	v_mul_f32_e32 v2, v23, v25
	v_mul_f32_e32 v3, v22, v25
	v_fma_f32 v2, v22, v24, -v2
	v_fmac_f32_e32 v3, v23, v24
	v_add_f32_e32 v17, v15, v2
	v_add_f32_e32 v16, v16, v3
	v_mul_f32_e32 v2, v23, v27
	v_mul_f32_e32 v3, v22, v27
	v_fma_f32 v2, v22, v26, -v2
	v_fmac_f32_e32 v3, v23, v26
	v_add_f32_e32 v15, v30, v2
	v_add_f32_e32 v10, v10, v3
	v_mov_b32_e32 v3, s1
	v_mov_b32_e32 v2, s0
	v_cmp_le_u64_e32 vcc, s[12:13], v[2:3]
	s_barrier
	s_cbranch_vccz .LBB1705_2
	s_branch .LBB1705_4
.LBB1705_3:
	v_mov_b32_e32 v20, 0
	v_mov_b32_e32 v21, 0
	;; [unrolled: 1-line block ×8, first 2 shown]
.LBB1705_4:
	v_add_u32_e32 v5, s7, v1
	v_ashrrev_i32_e32 v1, 31, v5
	v_mul_lo_u32 v3, s2, v1
	v_mul_lo_u32 v4, s3, v5
	v_mad_u64_u32 v[1:2], s[0:1], s2, v5, 0
	s_load_dword s10, s[4:5], 0x0
	v_add_u32_e32 v0, s6, v0
	v_add3_u32 v2, v2, v3, v4
	v_lshlrev_b64 v[1:2], 3, v[1:2]
	s_waitcnt lgkmcnt(0)
	v_mov_b32_e32 v3, s9
	v_add_co_u32_e64 v4, s[0:1], s8, v1
	v_addc_co_u32_e64 v6, s[0:1], v3, v2, s[0:1]
	v_cmp_gt_i32_e32 vcc, s10, v5
	v_cmp_le_i32_e64 s[0:1], v0, v5
	s_and_b64 s[0:1], vcc, s[0:1]
	s_and_saveexec_b64 s[4:5], s[0:1]
	s_cbranch_execz .LBB1705_7
; %bb.5:
	v_ashrrev_i32_e32 v1, 31, v0
	v_lshlrev_b64 v[1:2], 3, v[0:1]
	v_add_co_u32_e64 v1, s[0:1], v4, v1
	v_addc_co_u32_e64 v2, s[0:1], v6, v2, s[0:1]
	flat_load_dwordx2 v[7:8], v[1:2]
	v_cmp_eq_u32_e64 s[0:1], v5, v0
	s_waitcnt vmcnt(0) lgkmcnt(0)
	v_sub_f32_e32 v7, v20, v7
	v_sub_f32_e32 v8, v21, v8
	flat_store_dwordx2 v[1:2], v[7:8]
	s_and_b64 exec, exec, s[0:1]
	s_cbranch_execz .LBB1705_7
; %bb.6:
	v_mov_b32_e32 v3, 0
	flat_store_dword v[1:2], v3 offset:4
.LBB1705_7:
	s_or_b64 exec, exec, s[4:5]
	v_add_u32_e32 v2, 16, v0
	v_cmp_le_i32_e64 s[0:1], v2, v5
	s_and_b64 s[4:5], vcc, s[0:1]
	s_and_saveexec_b64 s[0:1], s[4:5]
	s_cbranch_execz .LBB1705_10
; %bb.8:
	v_ashrrev_i32_e32 v3, 31, v2
	v_lshlrev_b64 v[7:8], 3, v[2:3]
	v_add_co_u32_e32 v3, vcc, v4, v7
	v_addc_co_u32_e32 v4, vcc, v6, v8, vcc
	flat_load_dwordx2 v[6:7], v[3:4]
	v_cmp_eq_u32_e32 vcc, v5, v2
	s_waitcnt vmcnt(0) lgkmcnt(0)
	v_sub_f32_e32 v6, v19, v6
	v_sub_f32_e32 v7, v18, v7
	flat_store_dwordx2 v[3:4], v[6:7]
	s_and_b64 exec, exec, vcc
	s_cbranch_execz .LBB1705_10
; %bb.9:
	v_mov_b32_e32 v1, 0
	flat_store_dword v[3:4], v1 offset:4
.LBB1705_10:
	s_or_b64 exec, exec, s[0:1]
	v_add_u32_e32 v6, 16, v5
	v_ashrrev_i32_e32 v1, 31, v6
	v_mul_lo_u32 v1, s2, v1
	v_mul_lo_u32 v7, s3, v6
	v_mad_u64_u32 v[3:4], s[0:1], s2, v6, 0
	v_cmp_gt_i32_e32 vcc, s10, v6
	v_add3_u32 v4, v4, v1, v7
	v_lshlrev_b64 v[3:4], 3, v[3:4]
	v_mov_b32_e32 v1, s9
	v_add_co_u32_e64 v7, s[0:1], s8, v3
	v_addc_co_u32_e64 v8, s[0:1], v1, v4, s[0:1]
	v_cmp_le_i32_e64 s[0:1], v0, v6
	s_and_b64 s[0:1], vcc, s[0:1]
	s_and_saveexec_b64 s[2:3], s[0:1]
	s_cbranch_execz .LBB1705_13
; %bb.11:
	v_ashrrev_i32_e32 v1, 31, v0
	v_lshlrev_b64 v[3:4], 3, v[0:1]
	v_add_co_u32_e64 v3, s[0:1], v7, v3
	v_addc_co_u32_e64 v4, s[0:1], v8, v4, s[0:1]
	flat_load_dwordx2 v[11:12], v[3:4]
	v_cmp_eq_u32_e64 s[0:1], v6, v0
	s_waitcnt vmcnt(0) lgkmcnt(0)
	v_sub_f32_e32 v11, v17, v11
	v_sub_f32_e32 v12, v16, v12
	flat_store_dwordx2 v[3:4], v[11:12]
	s_and_b64 exec, exec, s[0:1]
	s_cbranch_execz .LBB1705_13
; %bb.12:
	v_mov_b32_e32 v1, 0
	flat_store_dword v[3:4], v1 offset:4
.LBB1705_13:
	s_or_b64 exec, exec, s[2:3]
	v_cmp_le_i32_e64 s[0:1], v2, v6
	s_and_b64 s[0:1], vcc, s[0:1]
	s_and_saveexec_b64 s[2:3], s[0:1]
	s_cbranch_execz .LBB1705_16
; %bb.14:
	v_ashrrev_i32_e32 v3, 31, v2
	v_lshlrev_b64 v[1:2], 3, v[2:3]
	v_add_co_u32_e32 v1, vcc, v7, v1
	v_addc_co_u32_e32 v2, vcc, v8, v2, vcc
	flat_load_dwordx2 v[3:4], v[1:2]
	v_cmp_eq_u32_e32 vcc, v5, v0
	s_waitcnt vmcnt(0) lgkmcnt(0)
	v_sub_f32_e32 v3, v15, v3
	v_sub_f32_e32 v4, v10, v4
	flat_store_dwordx2 v[1:2], v[3:4]
	s_and_b64 exec, exec, vcc
	s_cbranch_execz .LBB1705_16
; %bb.15:
	v_mov_b32_e32 v0, 0
	flat_store_dword v[1:2], v0 offset:4
.LBB1705_16:
	s_endpgm
	.section	.rodata,"a",@progbits
	.p2align	6, 0x0
	.amdhsa_kernel _ZL37rocblas_syrkx_herkx_restricted_kernelIl19rocblas_complex_numIfELi16ELi32ELi8ELi1ELin1ELb1ELc84ELc85EKPKS1_KPS1_EviT_PT9_S7_lS9_S7_lPT10_S7_li
		.amdhsa_group_segment_fixed_size 4096
		.amdhsa_private_segment_fixed_size 0
		.amdhsa_kernarg_size 92
		.amdhsa_user_sgpr_count 6
		.amdhsa_user_sgpr_private_segment_buffer 1
		.amdhsa_user_sgpr_dispatch_ptr 0
		.amdhsa_user_sgpr_queue_ptr 0
		.amdhsa_user_sgpr_kernarg_segment_ptr 1
		.amdhsa_user_sgpr_dispatch_id 0
		.amdhsa_user_sgpr_flat_scratch_init 0
		.amdhsa_user_sgpr_private_segment_size 0
		.amdhsa_uses_dynamic_stack 0
		.amdhsa_system_sgpr_private_segment_wavefront_offset 0
		.amdhsa_system_sgpr_workgroup_id_x 1
		.amdhsa_system_sgpr_workgroup_id_y 1
		.amdhsa_system_sgpr_workgroup_id_z 1
		.amdhsa_system_sgpr_workgroup_info 0
		.amdhsa_system_vgpr_workitem_id 1
		.amdhsa_next_free_vgpr 41
		.amdhsa_next_free_sgpr 20
		.amdhsa_reserve_vcc 1
		.amdhsa_reserve_flat_scratch 0
		.amdhsa_float_round_mode_32 0
		.amdhsa_float_round_mode_16_64 0
		.amdhsa_float_denorm_mode_32 3
		.amdhsa_float_denorm_mode_16_64 3
		.amdhsa_dx10_clamp 1
		.amdhsa_ieee_mode 1
		.amdhsa_fp16_overflow 0
		.amdhsa_exception_fp_ieee_invalid_op 0
		.amdhsa_exception_fp_denorm_src 0
		.amdhsa_exception_fp_ieee_div_zero 0
		.amdhsa_exception_fp_ieee_overflow 0
		.amdhsa_exception_fp_ieee_underflow 0
		.amdhsa_exception_fp_ieee_inexact 0
		.amdhsa_exception_int_div_zero 0
	.end_amdhsa_kernel
	.section	.text._ZL37rocblas_syrkx_herkx_restricted_kernelIl19rocblas_complex_numIfELi16ELi32ELi8ELi1ELin1ELb1ELc84ELc85EKPKS1_KPS1_EviT_PT9_S7_lS9_S7_lPT10_S7_li,"axG",@progbits,_ZL37rocblas_syrkx_herkx_restricted_kernelIl19rocblas_complex_numIfELi16ELi32ELi8ELi1ELin1ELb1ELc84ELc85EKPKS1_KPS1_EviT_PT9_S7_lS9_S7_lPT10_S7_li,comdat
.Lfunc_end1705:
	.size	_ZL37rocblas_syrkx_herkx_restricted_kernelIl19rocblas_complex_numIfELi16ELi32ELi8ELi1ELin1ELb1ELc84ELc85EKPKS1_KPS1_EviT_PT9_S7_lS9_S7_lPT10_S7_li, .Lfunc_end1705-_ZL37rocblas_syrkx_herkx_restricted_kernelIl19rocblas_complex_numIfELi16ELi32ELi8ELi1ELin1ELb1ELc84ELc85EKPKS1_KPS1_EviT_PT9_S7_lS9_S7_lPT10_S7_li
                                        ; -- End function
	.set _ZL37rocblas_syrkx_herkx_restricted_kernelIl19rocblas_complex_numIfELi16ELi32ELi8ELi1ELin1ELb1ELc84ELc85EKPKS1_KPS1_EviT_PT9_S7_lS9_S7_lPT10_S7_li.num_vgpr, 41
	.set _ZL37rocblas_syrkx_herkx_restricted_kernelIl19rocblas_complex_numIfELi16ELi32ELi8ELi1ELin1ELb1ELc84ELc85EKPKS1_KPS1_EviT_PT9_S7_lS9_S7_lPT10_S7_li.num_agpr, 0
	.set _ZL37rocblas_syrkx_herkx_restricted_kernelIl19rocblas_complex_numIfELi16ELi32ELi8ELi1ELin1ELb1ELc84ELc85EKPKS1_KPS1_EviT_PT9_S7_lS9_S7_lPT10_S7_li.numbered_sgpr, 20
	.set _ZL37rocblas_syrkx_herkx_restricted_kernelIl19rocblas_complex_numIfELi16ELi32ELi8ELi1ELin1ELb1ELc84ELc85EKPKS1_KPS1_EviT_PT9_S7_lS9_S7_lPT10_S7_li.num_named_barrier, 0
	.set _ZL37rocblas_syrkx_herkx_restricted_kernelIl19rocblas_complex_numIfELi16ELi32ELi8ELi1ELin1ELb1ELc84ELc85EKPKS1_KPS1_EviT_PT9_S7_lS9_S7_lPT10_S7_li.private_seg_size, 0
	.set _ZL37rocblas_syrkx_herkx_restricted_kernelIl19rocblas_complex_numIfELi16ELi32ELi8ELi1ELin1ELb1ELc84ELc85EKPKS1_KPS1_EviT_PT9_S7_lS9_S7_lPT10_S7_li.uses_vcc, 1
	.set _ZL37rocblas_syrkx_herkx_restricted_kernelIl19rocblas_complex_numIfELi16ELi32ELi8ELi1ELin1ELb1ELc84ELc85EKPKS1_KPS1_EviT_PT9_S7_lS9_S7_lPT10_S7_li.uses_flat_scratch, 0
	.set _ZL37rocblas_syrkx_herkx_restricted_kernelIl19rocblas_complex_numIfELi16ELi32ELi8ELi1ELin1ELb1ELc84ELc85EKPKS1_KPS1_EviT_PT9_S7_lS9_S7_lPT10_S7_li.has_dyn_sized_stack, 0
	.set _ZL37rocblas_syrkx_herkx_restricted_kernelIl19rocblas_complex_numIfELi16ELi32ELi8ELi1ELin1ELb1ELc84ELc85EKPKS1_KPS1_EviT_PT9_S7_lS9_S7_lPT10_S7_li.has_recursion, 0
	.set _ZL37rocblas_syrkx_herkx_restricted_kernelIl19rocblas_complex_numIfELi16ELi32ELi8ELi1ELin1ELb1ELc84ELc85EKPKS1_KPS1_EviT_PT9_S7_lS9_S7_lPT10_S7_li.has_indirect_call, 0
	.section	.AMDGPU.csdata,"",@progbits
; Kernel info:
; codeLenInByte = 2132
; TotalNumSgprs: 24
; NumVgprs: 41
; ScratchSize: 0
; MemoryBound: 0
; FloatMode: 240
; IeeeMode: 1
; LDSByteSize: 4096 bytes/workgroup (compile time only)
; SGPRBlocks: 2
; VGPRBlocks: 10
; NumSGPRsForWavesPerEU: 24
; NumVGPRsForWavesPerEU: 41
; Occupancy: 5
; WaveLimiterHint : 1
; COMPUTE_PGM_RSRC2:SCRATCH_EN: 0
; COMPUTE_PGM_RSRC2:USER_SGPR: 6
; COMPUTE_PGM_RSRC2:TRAP_HANDLER: 0
; COMPUTE_PGM_RSRC2:TGID_X_EN: 1
; COMPUTE_PGM_RSRC2:TGID_Y_EN: 1
; COMPUTE_PGM_RSRC2:TGID_Z_EN: 1
; COMPUTE_PGM_RSRC2:TIDIG_COMP_CNT: 1
	.section	.text._ZL37rocblas_syrkx_herkx_restricted_kernelIl19rocblas_complex_numIfELi16ELi32ELi8ELi1ELin1ELb1ELc67ELc85EKPKS1_KPS1_EviT_PT9_S7_lS9_S7_lPT10_S7_li,"axG",@progbits,_ZL37rocblas_syrkx_herkx_restricted_kernelIl19rocblas_complex_numIfELi16ELi32ELi8ELi1ELin1ELb1ELc67ELc85EKPKS1_KPS1_EviT_PT9_S7_lS9_S7_lPT10_S7_li,comdat
	.globl	_ZL37rocblas_syrkx_herkx_restricted_kernelIl19rocblas_complex_numIfELi16ELi32ELi8ELi1ELin1ELb1ELc67ELc85EKPKS1_KPS1_EviT_PT9_S7_lS9_S7_lPT10_S7_li ; -- Begin function _ZL37rocblas_syrkx_herkx_restricted_kernelIl19rocblas_complex_numIfELi16ELi32ELi8ELi1ELin1ELb1ELc67ELc85EKPKS1_KPS1_EviT_PT9_S7_lS9_S7_lPT10_S7_li
	.p2align	8
	.type	_ZL37rocblas_syrkx_herkx_restricted_kernelIl19rocblas_complex_numIfELi16ELi32ELi8ELi1ELin1ELb1ELc67ELc85EKPKS1_KPS1_EviT_PT9_S7_lS9_S7_lPT10_S7_li,@function
_ZL37rocblas_syrkx_herkx_restricted_kernelIl19rocblas_complex_numIfELi16ELi32ELi8ELi1ELin1ELb1ELc67ELc85EKPKS1_KPS1_EviT_PT9_S7_lS9_S7_lPT10_S7_li: ; @_ZL37rocblas_syrkx_herkx_restricted_kernelIl19rocblas_complex_numIfELi16ELi32ELi8ELi1ELin1ELb1ELc67ELc85EKPKS1_KPS1_EviT_PT9_S7_lS9_S7_lPT10_S7_li
; %bb.0:
	s_load_dwordx4 s[0:3], s[4:5], 0x40
	s_load_dwordx4 s[12:15], s[4:5], 0x8
	s_mov_b32 s9, 0
	s_lshl_b64 s[10:11], s[8:9], 3
	s_waitcnt lgkmcnt(0)
	s_add_u32 s0, s0, s10
	s_addc_u32 s1, s1, s11
	s_load_dwordx2 s[8:9], s[0:1], 0x0
	v_cmp_lt_i64_e64 s[0:1], s[12:13], 1
	s_lshl_b32 s6, s6, 5
	s_lshl_b32 s7, s7, 5
	s_and_b64 vcc, exec, s[0:1]
	s_cbranch_vccnz .LBB1706_3
; %bb.1:
	s_load_dwordx2 s[0:1], s[4:5], 0x18
	s_load_dwordx4 s[16:19], s[4:5], 0x28
	v_lshl_add_u32 v4, v1, 4, v0
	v_lshrrev_b32_e32 v6, 3, v4
	v_add_u32_e32 v2, s7, v6
	v_ashrrev_i32_e32 v3, 31, v2
	v_and_b32_e32 v9, 7, v0
	v_mov_b32_e32 v10, 0
	s_waitcnt lgkmcnt(0)
	v_mul_lo_u32 v5, s18, v3
	v_mul_lo_u32 v7, s19, v2
	v_mad_u64_u32 v[2:3], s[18:19], s18, v2, v[9:10]
	s_add_u32 s14, s14, s10
	s_addc_u32 s15, s15, s11
	v_add3_u32 v3, v7, v3, v5
	v_and_b32_e32 v7, 31, v4
	v_lshrrev_b32_e32 v4, 5, v4
	v_lshlrev_b32_e32 v8, 3, v7
	v_lshl_or_b32 v11, v4, 8, v8
	v_lshlrev_b32_e32 v8, 3, v9
	v_lshl_or_b32 v6, v6, 6, v8
	v_add_u32_e32 v12, 0x800, v6
	v_add_u32_e32 v6, s6, v7
	s_add_u32 s10, s16, s10
	v_mov_b32_e32 v5, v10
	v_ashrrev_i32_e32 v7, 31, v6
	s_addc_u32 s11, s17, s11
	v_mul_lo_u32 v7, s0, v7
	v_mad_u64_u32 v[4:5], s[16:17], s0, v6, v[4:5]
	v_mul_lo_u32 v6, s1, v6
	s_load_dwordx2 s[14:15], s[14:15], 0x0
	v_lshlrev_b64 v[2:3], 3, v[2:3]
	s_load_dwordx2 s[10:11], s[10:11], 0x0
	v_add3_u32 v5, v6, v5, v7
	v_lshlrev_b64 v[4:5], 3, v[4:5]
	s_waitcnt lgkmcnt(0)
	v_mov_b32_e32 v7, s15
	v_add_co_u32_e32 v6, vcc, s14, v4
	v_mov_b32_e32 v8, 0x800
	v_addc_co_u32_e32 v7, vcc, v7, v5, vcc
	v_lshl_add_u32 v14, v1, 6, v8
	v_mov_b32_e32 v4, s11
	v_add_co_u32_e32 v8, vcc, s10, v2
	v_lshlrev_b32_e32 v13, 3, v0
	v_addc_co_u32_e32 v9, vcc, v4, v3, vcc
	s_mov_b64 s[0:1], 0
	v_mov_b32_e32 v15, v10
	v_mov_b32_e32 v16, v10
	;; [unrolled: 1-line block ×7, first 2 shown]
.LBB1706_2:                             ; =>This Inner Loop Header: Depth=1
	flat_load_dwordx2 v[2:3], v[6:7]
	v_add_co_u32_e32 v6, vcc, 64, v6
	s_add_u32 s0, s0, 8
	v_addc_co_u32_e32 v7, vcc, 0, v7, vcc
	s_addc_u32 s1, s1, 0
	s_waitcnt vmcnt(0) lgkmcnt(0)
	v_xor_b32_e32 v3, 0x80000000, v3
	ds_write_b64 v11, v[2:3]
	flat_load_dwordx2 v[2:3], v[8:9]
	v_add_co_u32_e32 v8, vcc, 64, v8
	v_addc_co_u32_e32 v9, vcc, 0, v9, vcc
	s_waitcnt vmcnt(0) lgkmcnt(0)
	ds_write_b64 v12, v[2:3]
	s_waitcnt lgkmcnt(0)
	s_barrier
	ds_read_b128 v[22:25], v14
	ds_read_b128 v[26:29], v14 offset:16
	ds_read_b128 v[30:33], v14 offset:32
	;; [unrolled: 1-line block ×3, first 2 shown]
	ds_read2_b64 v[34:37], v13 offset1:16
	s_waitcnt lgkmcnt(0)
	v_mul_f32_e32 v38, v23, v35
	v_mul_f32_e32 v39, v22, v35
	v_fma_f32 v38, v22, v34, -v38
	v_fmac_f32_e32 v39, v23, v34
	v_add_f32_e32 v38, v20, v38
	v_add_f32_e32 v39, v21, v39
	v_mul_f32_e32 v20, v23, v37
	v_mul_f32_e32 v21, v22, v37
	v_fma_f32 v20, v22, v36, -v20
	v_fmac_f32_e32 v21, v23, v36
	v_add_f32_e32 v22, v19, v20
	v_add_f32_e32 v23, v18, v21
	ds_read_b128 v[18:21], v14 offset:1024
	s_waitcnt lgkmcnt(0)
	v_mul_f32_e32 v40, v19, v35
	v_mul_f32_e32 v35, v18, v35
	v_fma_f32 v40, v18, v34, -v40
	v_fmac_f32_e32 v35, v19, v34
	v_add_f32_e32 v34, v17, v40
	v_add_f32_e32 v35, v16, v35
	v_mul_f32_e32 v16, v19, v37
	v_mul_f32_e32 v17, v18, v37
	v_fma_f32 v16, v18, v36, -v16
	v_fmac_f32_e32 v17, v19, v36
	v_add_f32_e32 v19, v15, v16
	v_add_f32_e32 v10, v10, v17
	ds_read2_b64 v[15:18], v13 offset0:32 offset1:48
	s_waitcnt lgkmcnt(0)
	v_mul_f32_e32 v36, v25, v16
	v_fma_f32 v36, v24, v15, -v36
	v_add_f32_e32 v36, v38, v36
	v_mul_f32_e32 v38, v25, v18
	v_mul_f32_e32 v37, v24, v16
	v_fma_f32 v38, v24, v17, -v38
	v_mul_f32_e32 v24, v24, v18
	v_fmac_f32_e32 v24, v25, v17
	v_add_f32_e32 v23, v23, v24
	v_mul_f32_e32 v24, v21, v16
	v_mul_f32_e32 v16, v20, v16
	v_fmac_f32_e32 v16, v21, v15
	v_fmac_f32_e32 v37, v25, v15
	v_fma_f32 v24, v20, v15, -v24
	v_add_f32_e32 v25, v35, v16
	v_mul_f32_e32 v15, v21, v18
	v_mul_f32_e32 v16, v20, v18
	v_fma_f32 v15, v20, v17, -v15
	v_fmac_f32_e32 v16, v21, v17
	v_add_f32_e32 v24, v34, v24
	v_add_f32_e32 v34, v19, v15
	;; [unrolled: 1-line block ×3, first 2 shown]
	ds_read2_b64 v[15:18], v13 offset0:64 offset1:80
	v_add_f32_e32 v37, v39, v37
	v_add_f32_e32 v22, v22, v38
	s_waitcnt lgkmcnt(0)
	v_mul_f32_e32 v19, v27, v16
	v_mul_f32_e32 v20, v26, v16
	v_fma_f32 v19, v26, v15, -v19
	v_fmac_f32_e32 v20, v27, v15
	v_add_f32_e32 v35, v36, v19
	v_add_f32_e32 v36, v37, v20
	v_mul_f32_e32 v19, v27, v18
	v_mul_f32_e32 v20, v26, v18
	v_fma_f32 v19, v26, v17, -v19
	v_fmac_f32_e32 v20, v27, v17
	v_add_f32_e32 v26, v22, v19
	v_add_f32_e32 v23, v23, v20
	ds_read_b128 v[19:22], v14 offset:1040
	s_waitcnt lgkmcnt(0)
	v_mul_f32_e32 v27, v20, v16
	v_mul_f32_e32 v16, v19, v16
	v_fmac_f32_e32 v16, v20, v15
	v_fma_f32 v27, v19, v15, -v27
	v_add_f32_e32 v25, v25, v16
	v_mul_f32_e32 v15, v20, v18
	v_mul_f32_e32 v16, v19, v18
	v_fma_f32 v15, v19, v17, -v15
	v_fmac_f32_e32 v16, v20, v17
	v_add_f32_e32 v19, v34, v15
	v_add_f32_e32 v10, v10, v16
	ds_read2_b64 v[15:18], v13 offset0:96 offset1:112
	v_add_f32_e32 v24, v24, v27
	s_waitcnt lgkmcnt(0)
	v_mul_f32_e32 v20, v29, v16
	v_mul_f32_e32 v34, v29, v18
	v_fma_f32 v20, v28, v15, -v20
	v_mul_f32_e32 v27, v28, v16
	v_fma_f32 v34, v28, v17, -v34
	v_mul_f32_e32 v28, v28, v18
	v_fmac_f32_e32 v28, v29, v17
	v_add_f32_e32 v23, v23, v28
	v_mul_f32_e32 v28, v22, v16
	v_mul_f32_e32 v16, v21, v16
	v_fmac_f32_e32 v16, v22, v15
	v_fmac_f32_e32 v27, v29, v15
	v_fma_f32 v28, v21, v15, -v28
	v_add_f32_e32 v25, v25, v16
	v_mul_f32_e32 v15, v22, v18
	v_mul_f32_e32 v16, v21, v18
	v_fma_f32 v15, v21, v17, -v15
	v_fmac_f32_e32 v16, v22, v17
	v_add_f32_e32 v24, v24, v28
	v_add_f32_e32 v28, v19, v15
	;; [unrolled: 1-line block ×3, first 2 shown]
	ds_read2_b64 v[15:18], v13 offset0:128 offset1:144
	v_add_f32_e32 v20, v35, v20
	v_add_f32_e32 v27, v36, v27
	;; [unrolled: 1-line block ×3, first 2 shown]
	s_waitcnt lgkmcnt(0)
	v_mul_f32_e32 v19, v31, v16
	v_fma_f32 v19, v30, v15, -v19
	v_mul_f32_e32 v21, v30, v16
	v_add_f32_e32 v29, v20, v19
	v_mul_f32_e32 v19, v31, v18
	v_mul_f32_e32 v20, v30, v18
	v_fmac_f32_e32 v21, v31, v15
	v_fma_f32 v19, v30, v17, -v19
	v_fmac_f32_e32 v20, v31, v17
	v_add_f32_e32 v27, v27, v21
	v_add_f32_e32 v26, v26, v19
	;; [unrolled: 1-line block ×3, first 2 shown]
	ds_read_b128 v[19:22], v14 offset:1056
	s_waitcnt lgkmcnt(0)
	v_mul_f32_e32 v30, v20, v16
	v_mul_f32_e32 v16, v19, v16
	v_fmac_f32_e32 v16, v20, v15
	v_fma_f32 v30, v19, v15, -v30
	v_add_f32_e32 v25, v25, v16
	v_mul_f32_e32 v15, v20, v18
	v_mul_f32_e32 v16, v19, v18
	v_fma_f32 v15, v19, v17, -v15
	v_fmac_f32_e32 v16, v20, v17
	v_add_f32_e32 v19, v28, v15
	v_add_f32_e32 v10, v10, v16
	ds_read2_b64 v[15:18], v13 offset0:160 offset1:176
	v_add_f32_e32 v24, v24, v30
	s_waitcnt lgkmcnt(0)
	v_mul_f32_e32 v28, v32, v16
	v_fmac_f32_e32 v28, v33, v15
	v_add_f32_e32 v27, v27, v28
	v_mul_f32_e32 v28, v33, v18
	v_fma_f32 v28, v32, v17, -v28
	v_mul_f32_e32 v20, v33, v16
	v_add_f32_e32 v26, v26, v28
	v_mul_f32_e32 v28, v22, v16
	v_mul_f32_e32 v16, v21, v16
	v_fmac_f32_e32 v16, v22, v15
	v_fma_f32 v20, v32, v15, -v20
	v_fma_f32 v28, v21, v15, -v28
	v_add_f32_e32 v25, v25, v16
	v_mul_f32_e32 v15, v22, v18
	v_mul_f32_e32 v16, v21, v18
	v_add_f32_e32 v20, v29, v20
	v_mul_f32_e32 v29, v32, v18
	v_fma_f32 v15, v21, v17, -v15
	v_fmac_f32_e32 v16, v22, v17
	v_fmac_f32_e32 v29, v33, v17
	v_add_f32_e32 v19, v19, v15
	v_add_f32_e32 v10, v10, v16
	ds_read2_b64 v[15:18], v13 offset0:192 offset1:208
	v_add_f32_e32 v24, v24, v28
	v_add_f32_e32 v23, v23, v29
	s_waitcnt lgkmcnt(0)
	v_mul_f32_e32 v21, v3, v16
	v_fma_f32 v21, v2, v15, -v21
	v_add_f32_e32 v28, v20, v21
	v_mul_f32_e32 v20, v3, v18
	v_mul_f32_e32 v22, v2, v16
	v_fma_f32 v20, v2, v17, -v20
	v_mul_f32_e32 v2, v2, v18
	v_fmac_f32_e32 v22, v3, v15
	v_fmac_f32_e32 v2, v3, v17
	v_add_f32_e32 v29, v27, v22
	v_add_f32_e32 v3, v26, v20
	;; [unrolled: 1-line block ×3, first 2 shown]
	ds_read_b128 v[20:23], v14 offset:1072
	s_waitcnt lgkmcnt(0)
	v_mul_f32_e32 v26, v21, v16
	v_fma_f32 v26, v20, v15, -v26
	v_mul_f32_e32 v16, v20, v16
	v_fmac_f32_e32 v16, v21, v15
	v_add_f32_e32 v15, v24, v26
	v_mul_f32_e32 v24, v21, v18
	v_fma_f32 v24, v20, v17, -v24
	v_add_f32_e32 v16, v25, v16
	v_add_f32_e32 v30, v19, v24
	ds_read2_b64 v[24:27], v13 offset0:224 offset1:240
	v_mul_f32_e32 v18, v20, v18
	v_fmac_f32_e32 v18, v21, v17
	v_add_f32_e32 v10, v10, v18
	s_waitcnt lgkmcnt(0)
	v_mul_f32_e32 v17, v5, v25
	v_fma_f32 v17, v4, v24, -v17
	v_add_f32_e32 v20, v28, v17
	v_mul_f32_e32 v17, v5, v27
	v_mul_f32_e32 v18, v4, v25
	v_fma_f32 v17, v4, v26, -v17
	v_mul_f32_e32 v4, v4, v27
	v_fmac_f32_e32 v18, v5, v24
	v_fmac_f32_e32 v4, v5, v26
	v_add_f32_e32 v21, v29, v18
	v_add_f32_e32 v19, v3, v17
	;; [unrolled: 1-line block ×3, first 2 shown]
	v_mul_f32_e32 v2, v23, v25
	v_mul_f32_e32 v3, v22, v25
	v_fma_f32 v2, v22, v24, -v2
	v_fmac_f32_e32 v3, v23, v24
	v_add_f32_e32 v17, v15, v2
	v_add_f32_e32 v16, v16, v3
	v_mul_f32_e32 v2, v23, v27
	v_mul_f32_e32 v3, v22, v27
	v_fma_f32 v2, v22, v26, -v2
	v_fmac_f32_e32 v3, v23, v26
	v_add_f32_e32 v15, v30, v2
	v_add_f32_e32 v10, v10, v3
	v_mov_b32_e32 v3, s1
	v_mov_b32_e32 v2, s0
	v_cmp_le_u64_e32 vcc, s[12:13], v[2:3]
	s_barrier
	s_cbranch_vccz .LBB1706_2
	s_branch .LBB1706_4
.LBB1706_3:
	v_mov_b32_e32 v20, 0
	v_mov_b32_e32 v21, 0
	v_mov_b32_e32 v19, 0
	v_mov_b32_e32 v18, 0
	v_mov_b32_e32 v17, 0
	v_mov_b32_e32 v16, 0
	v_mov_b32_e32 v15, 0
	v_mov_b32_e32 v10, 0
.LBB1706_4:
	v_add_u32_e32 v5, s7, v1
	v_ashrrev_i32_e32 v1, 31, v5
	v_mul_lo_u32 v3, s2, v1
	v_mul_lo_u32 v4, s3, v5
	v_mad_u64_u32 v[1:2], s[0:1], s2, v5, 0
	s_load_dword s10, s[4:5], 0x0
	v_add_u32_e32 v0, s6, v0
	v_add3_u32 v2, v2, v3, v4
	v_lshlrev_b64 v[1:2], 3, v[1:2]
	s_waitcnt lgkmcnt(0)
	v_mov_b32_e32 v3, s9
	v_add_co_u32_e64 v4, s[0:1], s8, v1
	v_addc_co_u32_e64 v6, s[0:1], v3, v2, s[0:1]
	v_cmp_gt_i32_e32 vcc, s10, v5
	v_cmp_le_i32_e64 s[0:1], v0, v5
	s_and_b64 s[0:1], vcc, s[0:1]
	s_and_saveexec_b64 s[4:5], s[0:1]
	s_cbranch_execz .LBB1706_7
; %bb.5:
	v_ashrrev_i32_e32 v1, 31, v0
	v_lshlrev_b64 v[1:2], 3, v[0:1]
	v_add_co_u32_e64 v1, s[0:1], v4, v1
	v_addc_co_u32_e64 v2, s[0:1], v6, v2, s[0:1]
	flat_load_dwordx2 v[7:8], v[1:2]
	v_cmp_eq_u32_e64 s[0:1], v5, v0
	s_waitcnt vmcnt(0) lgkmcnt(0)
	v_sub_f32_e32 v7, v20, v7
	v_sub_f32_e32 v8, v21, v8
	flat_store_dwordx2 v[1:2], v[7:8]
	s_and_b64 exec, exec, s[0:1]
	s_cbranch_execz .LBB1706_7
; %bb.6:
	v_mov_b32_e32 v3, 0
	flat_store_dword v[1:2], v3 offset:4
.LBB1706_7:
	s_or_b64 exec, exec, s[4:5]
	v_add_u32_e32 v2, 16, v0
	v_cmp_le_i32_e64 s[0:1], v2, v5
	s_and_b64 s[4:5], vcc, s[0:1]
	s_and_saveexec_b64 s[0:1], s[4:5]
	s_cbranch_execz .LBB1706_10
; %bb.8:
	v_ashrrev_i32_e32 v3, 31, v2
	v_lshlrev_b64 v[7:8], 3, v[2:3]
	v_add_co_u32_e32 v3, vcc, v4, v7
	v_addc_co_u32_e32 v4, vcc, v6, v8, vcc
	flat_load_dwordx2 v[6:7], v[3:4]
	v_cmp_eq_u32_e32 vcc, v5, v2
	s_waitcnt vmcnt(0) lgkmcnt(0)
	v_sub_f32_e32 v6, v19, v6
	v_sub_f32_e32 v7, v18, v7
	flat_store_dwordx2 v[3:4], v[6:7]
	s_and_b64 exec, exec, vcc
	s_cbranch_execz .LBB1706_10
; %bb.9:
	v_mov_b32_e32 v1, 0
	flat_store_dword v[3:4], v1 offset:4
.LBB1706_10:
	s_or_b64 exec, exec, s[0:1]
	v_add_u32_e32 v6, 16, v5
	v_ashrrev_i32_e32 v1, 31, v6
	v_mul_lo_u32 v1, s2, v1
	v_mul_lo_u32 v7, s3, v6
	v_mad_u64_u32 v[3:4], s[0:1], s2, v6, 0
	v_cmp_gt_i32_e32 vcc, s10, v6
	v_add3_u32 v4, v4, v1, v7
	v_lshlrev_b64 v[3:4], 3, v[3:4]
	v_mov_b32_e32 v1, s9
	v_add_co_u32_e64 v7, s[0:1], s8, v3
	v_addc_co_u32_e64 v8, s[0:1], v1, v4, s[0:1]
	v_cmp_le_i32_e64 s[0:1], v0, v6
	s_and_b64 s[0:1], vcc, s[0:1]
	s_and_saveexec_b64 s[2:3], s[0:1]
	s_cbranch_execz .LBB1706_13
; %bb.11:
	v_ashrrev_i32_e32 v1, 31, v0
	v_lshlrev_b64 v[3:4], 3, v[0:1]
	v_add_co_u32_e64 v3, s[0:1], v7, v3
	v_addc_co_u32_e64 v4, s[0:1], v8, v4, s[0:1]
	flat_load_dwordx2 v[11:12], v[3:4]
	v_cmp_eq_u32_e64 s[0:1], v6, v0
	s_waitcnt vmcnt(0) lgkmcnt(0)
	v_sub_f32_e32 v11, v17, v11
	v_sub_f32_e32 v12, v16, v12
	flat_store_dwordx2 v[3:4], v[11:12]
	s_and_b64 exec, exec, s[0:1]
	s_cbranch_execz .LBB1706_13
; %bb.12:
	v_mov_b32_e32 v1, 0
	flat_store_dword v[3:4], v1 offset:4
.LBB1706_13:
	s_or_b64 exec, exec, s[2:3]
	v_cmp_le_i32_e64 s[0:1], v2, v6
	s_and_b64 s[0:1], vcc, s[0:1]
	s_and_saveexec_b64 s[2:3], s[0:1]
	s_cbranch_execz .LBB1706_16
; %bb.14:
	v_ashrrev_i32_e32 v3, 31, v2
	v_lshlrev_b64 v[1:2], 3, v[2:3]
	v_add_co_u32_e32 v1, vcc, v7, v1
	v_addc_co_u32_e32 v2, vcc, v8, v2, vcc
	flat_load_dwordx2 v[3:4], v[1:2]
	v_cmp_eq_u32_e32 vcc, v5, v0
	s_waitcnt vmcnt(0) lgkmcnt(0)
	v_sub_f32_e32 v3, v15, v3
	v_sub_f32_e32 v4, v10, v4
	flat_store_dwordx2 v[1:2], v[3:4]
	s_and_b64 exec, exec, vcc
	s_cbranch_execz .LBB1706_16
; %bb.15:
	v_mov_b32_e32 v0, 0
	flat_store_dword v[1:2], v0 offset:4
.LBB1706_16:
	s_endpgm
	.section	.rodata,"a",@progbits
	.p2align	6, 0x0
	.amdhsa_kernel _ZL37rocblas_syrkx_herkx_restricted_kernelIl19rocblas_complex_numIfELi16ELi32ELi8ELi1ELin1ELb1ELc67ELc85EKPKS1_KPS1_EviT_PT9_S7_lS9_S7_lPT10_S7_li
		.amdhsa_group_segment_fixed_size 4096
		.amdhsa_private_segment_fixed_size 0
		.amdhsa_kernarg_size 92
		.amdhsa_user_sgpr_count 6
		.amdhsa_user_sgpr_private_segment_buffer 1
		.amdhsa_user_sgpr_dispatch_ptr 0
		.amdhsa_user_sgpr_queue_ptr 0
		.amdhsa_user_sgpr_kernarg_segment_ptr 1
		.amdhsa_user_sgpr_dispatch_id 0
		.amdhsa_user_sgpr_flat_scratch_init 0
		.amdhsa_user_sgpr_private_segment_size 0
		.amdhsa_uses_dynamic_stack 0
		.amdhsa_system_sgpr_private_segment_wavefront_offset 0
		.amdhsa_system_sgpr_workgroup_id_x 1
		.amdhsa_system_sgpr_workgroup_id_y 1
		.amdhsa_system_sgpr_workgroup_id_z 1
		.amdhsa_system_sgpr_workgroup_info 0
		.amdhsa_system_vgpr_workitem_id 1
		.amdhsa_next_free_vgpr 41
		.amdhsa_next_free_sgpr 20
		.amdhsa_reserve_vcc 1
		.amdhsa_reserve_flat_scratch 0
		.amdhsa_float_round_mode_32 0
		.amdhsa_float_round_mode_16_64 0
		.amdhsa_float_denorm_mode_32 3
		.amdhsa_float_denorm_mode_16_64 3
		.amdhsa_dx10_clamp 1
		.amdhsa_ieee_mode 1
		.amdhsa_fp16_overflow 0
		.amdhsa_exception_fp_ieee_invalid_op 0
		.amdhsa_exception_fp_denorm_src 0
		.amdhsa_exception_fp_ieee_div_zero 0
		.amdhsa_exception_fp_ieee_overflow 0
		.amdhsa_exception_fp_ieee_underflow 0
		.amdhsa_exception_fp_ieee_inexact 0
		.amdhsa_exception_int_div_zero 0
	.end_amdhsa_kernel
	.section	.text._ZL37rocblas_syrkx_herkx_restricted_kernelIl19rocblas_complex_numIfELi16ELi32ELi8ELi1ELin1ELb1ELc67ELc85EKPKS1_KPS1_EviT_PT9_S7_lS9_S7_lPT10_S7_li,"axG",@progbits,_ZL37rocblas_syrkx_herkx_restricted_kernelIl19rocblas_complex_numIfELi16ELi32ELi8ELi1ELin1ELb1ELc67ELc85EKPKS1_KPS1_EviT_PT9_S7_lS9_S7_lPT10_S7_li,comdat
.Lfunc_end1706:
	.size	_ZL37rocblas_syrkx_herkx_restricted_kernelIl19rocblas_complex_numIfELi16ELi32ELi8ELi1ELin1ELb1ELc67ELc85EKPKS1_KPS1_EviT_PT9_S7_lS9_S7_lPT10_S7_li, .Lfunc_end1706-_ZL37rocblas_syrkx_herkx_restricted_kernelIl19rocblas_complex_numIfELi16ELi32ELi8ELi1ELin1ELb1ELc67ELc85EKPKS1_KPS1_EviT_PT9_S7_lS9_S7_lPT10_S7_li
                                        ; -- End function
	.set _ZL37rocblas_syrkx_herkx_restricted_kernelIl19rocblas_complex_numIfELi16ELi32ELi8ELi1ELin1ELb1ELc67ELc85EKPKS1_KPS1_EviT_PT9_S7_lS9_S7_lPT10_S7_li.num_vgpr, 41
	.set _ZL37rocblas_syrkx_herkx_restricted_kernelIl19rocblas_complex_numIfELi16ELi32ELi8ELi1ELin1ELb1ELc67ELc85EKPKS1_KPS1_EviT_PT9_S7_lS9_S7_lPT10_S7_li.num_agpr, 0
	.set _ZL37rocblas_syrkx_herkx_restricted_kernelIl19rocblas_complex_numIfELi16ELi32ELi8ELi1ELin1ELb1ELc67ELc85EKPKS1_KPS1_EviT_PT9_S7_lS9_S7_lPT10_S7_li.numbered_sgpr, 20
	.set _ZL37rocblas_syrkx_herkx_restricted_kernelIl19rocblas_complex_numIfELi16ELi32ELi8ELi1ELin1ELb1ELc67ELc85EKPKS1_KPS1_EviT_PT9_S7_lS9_S7_lPT10_S7_li.num_named_barrier, 0
	.set _ZL37rocblas_syrkx_herkx_restricted_kernelIl19rocblas_complex_numIfELi16ELi32ELi8ELi1ELin1ELb1ELc67ELc85EKPKS1_KPS1_EviT_PT9_S7_lS9_S7_lPT10_S7_li.private_seg_size, 0
	.set _ZL37rocblas_syrkx_herkx_restricted_kernelIl19rocblas_complex_numIfELi16ELi32ELi8ELi1ELin1ELb1ELc67ELc85EKPKS1_KPS1_EviT_PT9_S7_lS9_S7_lPT10_S7_li.uses_vcc, 1
	.set _ZL37rocblas_syrkx_herkx_restricted_kernelIl19rocblas_complex_numIfELi16ELi32ELi8ELi1ELin1ELb1ELc67ELc85EKPKS1_KPS1_EviT_PT9_S7_lS9_S7_lPT10_S7_li.uses_flat_scratch, 0
	.set _ZL37rocblas_syrkx_herkx_restricted_kernelIl19rocblas_complex_numIfELi16ELi32ELi8ELi1ELin1ELb1ELc67ELc85EKPKS1_KPS1_EviT_PT9_S7_lS9_S7_lPT10_S7_li.has_dyn_sized_stack, 0
	.set _ZL37rocblas_syrkx_herkx_restricted_kernelIl19rocblas_complex_numIfELi16ELi32ELi8ELi1ELin1ELb1ELc67ELc85EKPKS1_KPS1_EviT_PT9_S7_lS9_S7_lPT10_S7_li.has_recursion, 0
	.set _ZL37rocblas_syrkx_herkx_restricted_kernelIl19rocblas_complex_numIfELi16ELi32ELi8ELi1ELin1ELb1ELc67ELc85EKPKS1_KPS1_EviT_PT9_S7_lS9_S7_lPT10_S7_li.has_indirect_call, 0
	.section	.AMDGPU.csdata,"",@progbits
; Kernel info:
; codeLenInByte = 2140
; TotalNumSgprs: 24
; NumVgprs: 41
; ScratchSize: 0
; MemoryBound: 0
; FloatMode: 240
; IeeeMode: 1
; LDSByteSize: 4096 bytes/workgroup (compile time only)
; SGPRBlocks: 2
; VGPRBlocks: 10
; NumSGPRsForWavesPerEU: 24
; NumVGPRsForWavesPerEU: 41
; Occupancy: 5
; WaveLimiterHint : 1
; COMPUTE_PGM_RSRC2:SCRATCH_EN: 0
; COMPUTE_PGM_RSRC2:USER_SGPR: 6
; COMPUTE_PGM_RSRC2:TRAP_HANDLER: 0
; COMPUTE_PGM_RSRC2:TGID_X_EN: 1
; COMPUTE_PGM_RSRC2:TGID_Y_EN: 1
; COMPUTE_PGM_RSRC2:TGID_Z_EN: 1
; COMPUTE_PGM_RSRC2:TIDIG_COMP_CNT: 1
	.section	.text._ZL37rocblas_syrkx_herkx_restricted_kernelIl19rocblas_complex_numIfELi16ELi32ELi8ELi1ELin1ELb1ELc78ELc85EKPKS1_KPS1_EviT_PT9_S7_lS9_S7_lPT10_S7_li,"axG",@progbits,_ZL37rocblas_syrkx_herkx_restricted_kernelIl19rocblas_complex_numIfELi16ELi32ELi8ELi1ELin1ELb1ELc78ELc85EKPKS1_KPS1_EviT_PT9_S7_lS9_S7_lPT10_S7_li,comdat
	.globl	_ZL37rocblas_syrkx_herkx_restricted_kernelIl19rocblas_complex_numIfELi16ELi32ELi8ELi1ELin1ELb1ELc78ELc85EKPKS1_KPS1_EviT_PT9_S7_lS9_S7_lPT10_S7_li ; -- Begin function _ZL37rocblas_syrkx_herkx_restricted_kernelIl19rocblas_complex_numIfELi16ELi32ELi8ELi1ELin1ELb1ELc78ELc85EKPKS1_KPS1_EviT_PT9_S7_lS9_S7_lPT10_S7_li
	.p2align	8
	.type	_ZL37rocblas_syrkx_herkx_restricted_kernelIl19rocblas_complex_numIfELi16ELi32ELi8ELi1ELin1ELb1ELc78ELc85EKPKS1_KPS1_EviT_PT9_S7_lS9_S7_lPT10_S7_li,@function
_ZL37rocblas_syrkx_herkx_restricted_kernelIl19rocblas_complex_numIfELi16ELi32ELi8ELi1ELin1ELb1ELc78ELc85EKPKS1_KPS1_EviT_PT9_S7_lS9_S7_lPT10_S7_li: ; @_ZL37rocblas_syrkx_herkx_restricted_kernelIl19rocblas_complex_numIfELi16ELi32ELi8ELi1ELin1ELb1ELc78ELc85EKPKS1_KPS1_EviT_PT9_S7_lS9_S7_lPT10_S7_li
; %bb.0:
	s_load_dwordx4 s[0:3], s[4:5], 0x40
	s_load_dwordx4 s[12:15], s[4:5], 0x8
	s_mov_b32 s9, 0
	s_lshl_b64 s[18:19], s[8:9], 3
	s_waitcnt lgkmcnt(0)
	s_add_u32 s0, s0, s18
	s_addc_u32 s1, s1, s19
	s_load_dwordx2 s[16:17], s[0:1], 0x0
	v_cmp_lt_i64_e64 s[0:1], s[12:13], 1
	s_lshl_b32 s20, s6, 5
	s_lshl_b32 s21, s7, 5
	s_and_b64 vcc, exec, s[0:1]
	s_cbranch_vccnz .LBB1707_3
; %bb.1:
	s_load_dwordx2 s[0:1], s[4:5], 0x18
	s_load_dwordx4 s[8:11], s[4:5], 0x28
	v_lshl_add_u32 v5, v1, 4, v0
	v_lshrrev_b32_e32 v7, 3, v5
	v_add_u32_e32 v2, s21, v7
	v_and_b32_e32 v6, 7, v0
	v_ashrrev_i32_e32 v3, 31, v2
	s_waitcnt lgkmcnt(0)
	v_mad_u64_u32 v[2:3], s[6:7], s10, v6, v[2:3]
	s_add_u32 s6, s14, s18
	s_addc_u32 s7, s15, s19
	v_mad_u64_u32 v[3:4], s[14:15], s11, v6, v[3:4]
	v_and_b32_e32 v4, 31, v5
	v_lshrrev_b32_e32 v8, 5, v5
	v_lshlrev_b32_e32 v5, 3, v4
	v_add_u32_e32 v4, s20, v4
	v_lshl_or_b32 v10, v8, 8, v5
	v_ashrrev_i32_e32 v5, 31, v4
	v_mad_u64_u32 v[4:5], s[14:15], s0, v8, v[4:5]
	v_lshlrev_b32_e32 v6, 3, v6
	v_lshl_or_b32 v6, v7, 6, v6
	v_add_u32_e32 v11, 0x800, v6
	v_mad_u64_u32 v[5:6], s[14:15], s1, v8, v[5:6]
	s_load_dwordx2 s[6:7], s[6:7], 0x0
	s_add_u32 s8, s8, s18
	s_addc_u32 s9, s9, s19
	s_load_dwordx2 s[8:9], s[8:9], 0x0
	v_lshlrev_b64 v[4:5], 3, v[4:5]
	v_mov_b32_e32 v6, 0x800
	v_lshl_add_u32 v13, v1, 6, v6
	s_waitcnt lgkmcnt(0)
	v_mov_b32_e32 v7, s7
	v_add_co_u32_e32 v6, vcc, s6, v4
	v_lshlrev_b64 v[2:3], 3, v[2:3]
	v_addc_co_u32_e32 v7, vcc, v7, v5, vcc
	s_lshl_b64 s[0:1], s[0:1], 6
	v_mov_b32_e32 v4, s9
	v_add_co_u32_e32 v8, vcc, s8, v2
	s_lshl_b64 s[6:7], s[10:11], 6
	v_lshlrev_b32_e32 v12, 3, v0
	v_addc_co_u32_e32 v9, vcc, v4, v3, vcc
	v_mov_b32_e32 v16, 0
	s_mov_b64 s[8:9], 0
	v_mov_b32_e32 v14, s1
	v_mov_b32_e32 v15, s7
	v_mov_b32_e32 v17, 0
	v_mov_b32_e32 v18, 0
	v_mov_b32_e32 v19, 0
	v_mov_b32_e32 v20, 0
	v_mov_b32_e32 v21, 0
	v_mov_b32_e32 v23, 0
	v_mov_b32_e32 v22, 0
.LBB1707_2:                             ; =>This Inner Loop Header: Depth=1
	flat_load_dwordx2 v[2:3], v[6:7]
	v_add_co_u32_e32 v6, vcc, s0, v6
	s_add_u32 s8, s8, 8
	v_addc_co_u32_e32 v7, vcc, v7, v14, vcc
	s_addc_u32 s9, s9, 0
	s_waitcnt vmcnt(0) lgkmcnt(0)
	ds_write_b64 v10, v[2:3]
	flat_load_dwordx2 v[2:3], v[8:9]
	v_add_co_u32_e32 v8, vcc, s6, v8
	v_addc_co_u32_e32 v9, vcc, v9, v15, vcc
	s_waitcnt vmcnt(0) lgkmcnt(0)
	v_xor_b32_e32 v3, 0x80000000, v3
	ds_write_b64 v11, v[2:3]
	s_waitcnt lgkmcnt(0)
	s_barrier
	ds_read_b128 v[24:27], v13
	ds_read_b128 v[28:31], v13 offset:16
	ds_read_b128 v[32:35], v13 offset:32
	;; [unrolled: 1-line block ×3, first 2 shown]
	ds_read2_b64 v[36:39], v12 offset1:16
	s_waitcnt lgkmcnt(0)
	v_mul_f32_e32 v40, v25, v37
	v_mul_f32_e32 v41, v24, v37
	v_fma_f32 v40, v24, v36, -v40
	v_fmac_f32_e32 v41, v25, v36
	v_add_f32_e32 v40, v22, v40
	v_add_f32_e32 v41, v23, v41
	v_mul_f32_e32 v22, v25, v39
	v_mul_f32_e32 v23, v24, v39
	v_fma_f32 v22, v24, v38, -v22
	v_fmac_f32_e32 v23, v25, v38
	v_add_f32_e32 v24, v21, v22
	v_add_f32_e32 v25, v20, v23
	ds_read_b128 v[20:23], v13 offset:1024
	s_waitcnt lgkmcnt(0)
	v_mul_f32_e32 v42, v21, v37
	v_mul_f32_e32 v37, v20, v37
	v_fma_f32 v42, v20, v36, -v42
	v_fmac_f32_e32 v37, v21, v36
	v_add_f32_e32 v36, v19, v42
	v_add_f32_e32 v37, v18, v37
	v_mul_f32_e32 v18, v21, v39
	v_mul_f32_e32 v19, v20, v39
	v_fma_f32 v18, v20, v38, -v18
	v_fmac_f32_e32 v19, v21, v38
	v_add_f32_e32 v20, v17, v18
	v_add_f32_e32 v21, v16, v19
	ds_read2_b64 v[16:19], v12 offset0:32 offset1:48
	s_waitcnt lgkmcnt(0)
	v_mul_f32_e32 v38, v27, v17
	v_fma_f32 v38, v26, v16, -v38
	v_add_f32_e32 v38, v40, v38
	v_mul_f32_e32 v40, v27, v19
	v_mul_f32_e32 v39, v26, v17
	v_fma_f32 v40, v26, v18, -v40
	v_mul_f32_e32 v26, v26, v19
	v_fmac_f32_e32 v26, v27, v18
	v_add_f32_e32 v25, v25, v26
	v_mul_f32_e32 v26, v23, v17
	v_mul_f32_e32 v17, v22, v17
	v_fmac_f32_e32 v17, v23, v16
	v_fmac_f32_e32 v39, v27, v16
	v_fma_f32 v26, v22, v16, -v26
	v_add_f32_e32 v27, v37, v17
	v_mul_f32_e32 v16, v23, v19
	v_mul_f32_e32 v17, v22, v19
	v_fma_f32 v16, v22, v18, -v16
	v_fmac_f32_e32 v17, v23, v18
	v_add_f32_e32 v26, v36, v26
	v_add_f32_e32 v36, v20, v16
	;; [unrolled: 1-line block ×3, first 2 shown]
	ds_read2_b64 v[16:19], v12 offset0:64 offset1:80
	v_add_f32_e32 v39, v41, v39
	v_add_f32_e32 v24, v24, v40
	s_waitcnt lgkmcnt(0)
	v_mul_f32_e32 v20, v29, v17
	v_mul_f32_e32 v21, v28, v17
	v_fma_f32 v20, v28, v16, -v20
	v_fmac_f32_e32 v21, v29, v16
	v_add_f32_e32 v38, v38, v20
	v_add_f32_e32 v39, v39, v21
	v_mul_f32_e32 v20, v29, v19
	v_mul_f32_e32 v21, v28, v19
	v_fma_f32 v20, v28, v18, -v20
	v_fmac_f32_e32 v21, v29, v18
	v_add_f32_e32 v24, v24, v20
	v_add_f32_e32 v25, v25, v21
	ds_read_b128 v[20:23], v13 offset:1040
	s_waitcnt lgkmcnt(0)
	v_mul_f32_e32 v28, v21, v17
	v_mul_f32_e32 v17, v20, v17
	v_fmac_f32_e32 v17, v21, v16
	v_fma_f32 v28, v20, v16, -v28
	v_add_f32_e32 v27, v27, v17
	v_mul_f32_e32 v16, v21, v19
	v_mul_f32_e32 v17, v20, v19
	v_fma_f32 v16, v20, v18, -v16
	v_fmac_f32_e32 v17, v21, v18
	v_add_f32_e32 v20, v36, v16
	v_add_f32_e32 v21, v37, v17
	ds_read2_b64 v[16:19], v12 offset0:96 offset1:112
	v_add_f32_e32 v26, v26, v28
	s_waitcnt lgkmcnt(0)
	v_mul_f32_e32 v28, v31, v17
	v_mul_f32_e32 v36, v31, v19
	v_fma_f32 v28, v30, v16, -v28
	v_mul_f32_e32 v29, v30, v17
	v_fma_f32 v36, v30, v18, -v36
	v_mul_f32_e32 v30, v30, v19
	v_fmac_f32_e32 v30, v31, v18
	v_add_f32_e32 v25, v25, v30
	v_mul_f32_e32 v30, v23, v17
	v_mul_f32_e32 v17, v22, v17
	v_fmac_f32_e32 v17, v23, v16
	v_fmac_f32_e32 v29, v31, v16
	v_fma_f32 v30, v22, v16, -v30
	v_add_f32_e32 v27, v27, v17
	v_mul_f32_e32 v16, v23, v19
	v_mul_f32_e32 v17, v22, v19
	v_fma_f32 v16, v22, v18, -v16
	v_fmac_f32_e32 v17, v23, v18
	v_add_f32_e32 v26, v26, v30
	v_add_f32_e32 v30, v20, v16
	;; [unrolled: 1-line block ×3, first 2 shown]
	ds_read2_b64 v[16:19], v12 offset0:128 offset1:144
	v_add_f32_e32 v28, v38, v28
	v_add_f32_e32 v29, v39, v29
	;; [unrolled: 1-line block ×3, first 2 shown]
	s_waitcnt lgkmcnt(0)
	v_mul_f32_e32 v20, v33, v17
	v_mul_f32_e32 v21, v32, v17
	v_fma_f32 v20, v32, v16, -v20
	v_fmac_f32_e32 v21, v33, v16
	v_add_f32_e32 v28, v28, v20
	v_add_f32_e32 v29, v29, v21
	v_mul_f32_e32 v20, v33, v19
	v_mul_f32_e32 v21, v32, v19
	v_fma_f32 v20, v32, v18, -v20
	v_fmac_f32_e32 v21, v33, v18
	v_add_f32_e32 v24, v24, v20
	v_add_f32_e32 v25, v25, v21
	ds_read_b128 v[20:23], v13 offset:1056
	s_waitcnt lgkmcnt(0)
	v_mul_f32_e32 v32, v21, v17
	v_mul_f32_e32 v17, v20, v17
	v_fmac_f32_e32 v17, v21, v16
	v_fma_f32 v32, v20, v16, -v32
	v_add_f32_e32 v27, v27, v17
	v_mul_f32_e32 v16, v21, v19
	v_mul_f32_e32 v17, v20, v19
	v_fma_f32 v16, v20, v18, -v16
	v_fmac_f32_e32 v17, v21, v18
	v_add_f32_e32 v20, v30, v16
	v_add_f32_e32 v21, v31, v17
	ds_read2_b64 v[16:19], v12 offset0:160 offset1:176
	v_add_f32_e32 v26, v26, v32
	s_waitcnt lgkmcnt(0)
	v_mul_f32_e32 v30, v35, v17
	v_fma_f32 v30, v34, v16, -v30
	v_add_f32_e32 v28, v28, v30
	v_mul_f32_e32 v30, v35, v19
	v_fma_f32 v30, v34, v18, -v30
	v_mul_f32_e32 v31, v34, v17
	v_add_f32_e32 v24, v24, v30
	v_mul_f32_e32 v30, v23, v17
	v_mul_f32_e32 v17, v22, v17
	v_fmac_f32_e32 v17, v23, v16
	v_fmac_f32_e32 v31, v35, v16
	v_fma_f32 v30, v22, v16, -v30
	v_add_f32_e32 v27, v27, v17
	v_mul_f32_e32 v16, v23, v19
	v_mul_f32_e32 v17, v22, v19
	v_add_f32_e32 v29, v29, v31
	v_mul_f32_e32 v31, v34, v19
	v_fma_f32 v16, v22, v18, -v16
	v_fmac_f32_e32 v17, v23, v18
	v_fmac_f32_e32 v31, v35, v18
	v_add_f32_e32 v20, v20, v16
	v_add_f32_e32 v21, v21, v17
	ds_read2_b64 v[16:19], v12 offset0:192 offset1:208
	v_add_f32_e32 v26, v26, v30
	v_add_f32_e32 v25, v25, v31
	s_waitcnt lgkmcnt(0)
	v_mul_f32_e32 v22, v3, v17
	v_fma_f32 v22, v2, v16, -v22
	v_add_f32_e32 v30, v28, v22
	v_mul_f32_e32 v22, v3, v19
	v_mul_f32_e32 v23, v2, v17
	v_fma_f32 v22, v2, v18, -v22
	v_mul_f32_e32 v2, v2, v19
	v_fmac_f32_e32 v23, v3, v16
	v_fmac_f32_e32 v2, v3, v18
	v_add_f32_e32 v31, v29, v23
	v_add_f32_e32 v3, v24, v22
	;; [unrolled: 1-line block ×3, first 2 shown]
	ds_read_b128 v[22:25], v13 offset:1072
	s_waitcnt lgkmcnt(0)
	v_mul_f32_e32 v28, v23, v17
	v_fma_f32 v28, v22, v16, -v28
	v_mul_f32_e32 v17, v22, v17
	v_fmac_f32_e32 v17, v23, v16
	v_add_f32_e32 v16, v26, v28
	v_mul_f32_e32 v26, v23, v19
	v_fma_f32 v26, v22, v18, -v26
	v_add_f32_e32 v17, v27, v17
	v_add_f32_e32 v32, v20, v26
	ds_read2_b64 v[26:29], v12 offset0:224 offset1:240
	v_mul_f32_e32 v19, v22, v19
	v_fmac_f32_e32 v19, v23, v18
	v_add_f32_e32 v33, v21, v19
	s_waitcnt lgkmcnt(0)
	v_mul_f32_e32 v18, v5, v27
	v_fma_f32 v18, v4, v26, -v18
	v_add_f32_e32 v22, v30, v18
	v_mul_f32_e32 v18, v5, v29
	v_mul_f32_e32 v19, v4, v27
	v_fma_f32 v18, v4, v28, -v18
	v_mul_f32_e32 v4, v4, v29
	v_fmac_f32_e32 v4, v5, v28
	v_add_f32_e32 v21, v3, v18
	v_add_f32_e32 v20, v2, v4
	v_mul_f32_e32 v2, v25, v27
	v_mul_f32_e32 v3, v24, v27
	v_fmac_f32_e32 v19, v5, v26
	v_fma_f32 v2, v24, v26, -v2
	v_fmac_f32_e32 v3, v25, v26
	v_add_f32_e32 v23, v31, v19
	v_add_f32_e32 v19, v16, v2
	v_add_f32_e32 v18, v17, v3
	v_mul_f32_e32 v2, v25, v29
	v_mul_f32_e32 v3, v24, v29
	v_fma_f32 v2, v24, v28, -v2
	v_fmac_f32_e32 v3, v25, v28
	v_add_f32_e32 v17, v32, v2
	v_add_f32_e32 v16, v33, v3
	v_mov_b32_e32 v2, s8
	v_mov_b32_e32 v3, s9
	v_cmp_le_u64_e32 vcc, s[12:13], v[2:3]
	s_barrier
	s_cbranch_vccz .LBB1707_2
	s_branch .LBB1707_4
.LBB1707_3:
	v_mov_b32_e32 v22, 0
	v_mov_b32_e32 v23, 0
	;; [unrolled: 1-line block ×8, first 2 shown]
.LBB1707_4:
	v_add_u32_e32 v5, s21, v1
	v_ashrrev_i32_e32 v1, 31, v5
	v_mul_lo_u32 v3, s2, v1
	v_mul_lo_u32 v4, s3, v5
	v_mad_u64_u32 v[1:2], s[0:1], s2, v5, 0
	s_load_dword s6, s[4:5], 0x0
	v_add_u32_e32 v0, s20, v0
	v_add3_u32 v2, v2, v3, v4
	v_lshlrev_b64 v[1:2], 3, v[1:2]
	s_waitcnt lgkmcnt(0)
	v_mov_b32_e32 v3, s17
	v_add_co_u32_e64 v4, s[0:1], s16, v1
	v_addc_co_u32_e64 v6, s[0:1], v3, v2, s[0:1]
	v_cmp_gt_i32_e32 vcc, s6, v5
	v_cmp_le_i32_e64 s[0:1], v0, v5
	s_and_b64 s[0:1], vcc, s[0:1]
	s_and_saveexec_b64 s[4:5], s[0:1]
	s_cbranch_execz .LBB1707_7
; %bb.5:
	v_ashrrev_i32_e32 v1, 31, v0
	v_lshlrev_b64 v[1:2], 3, v[0:1]
	v_add_co_u32_e64 v1, s[0:1], v4, v1
	v_addc_co_u32_e64 v2, s[0:1], v6, v2, s[0:1]
	flat_load_dwordx2 v[7:8], v[1:2]
	v_cmp_eq_u32_e64 s[0:1], v5, v0
	s_waitcnt vmcnt(0) lgkmcnt(0)
	v_sub_f32_e32 v7, v22, v7
	v_sub_f32_e32 v8, v23, v8
	flat_store_dwordx2 v[1:2], v[7:8]
	s_and_b64 exec, exec, s[0:1]
	s_cbranch_execz .LBB1707_7
; %bb.6:
	v_mov_b32_e32 v3, 0
	flat_store_dword v[1:2], v3 offset:4
.LBB1707_7:
	s_or_b64 exec, exec, s[4:5]
	v_add_u32_e32 v2, 16, v0
	v_cmp_le_i32_e64 s[0:1], v2, v5
	s_and_b64 s[4:5], vcc, s[0:1]
	s_and_saveexec_b64 s[0:1], s[4:5]
	s_cbranch_execz .LBB1707_10
; %bb.8:
	v_ashrrev_i32_e32 v3, 31, v2
	v_lshlrev_b64 v[7:8], 3, v[2:3]
	v_add_co_u32_e32 v3, vcc, v4, v7
	v_addc_co_u32_e32 v4, vcc, v6, v8, vcc
	flat_load_dwordx2 v[6:7], v[3:4]
	v_cmp_eq_u32_e32 vcc, v5, v2
	s_waitcnt vmcnt(0) lgkmcnt(0)
	v_sub_f32_e32 v6, v21, v6
	v_sub_f32_e32 v7, v20, v7
	flat_store_dwordx2 v[3:4], v[6:7]
	s_and_b64 exec, exec, vcc
	s_cbranch_execz .LBB1707_10
; %bb.9:
	v_mov_b32_e32 v1, 0
	flat_store_dword v[3:4], v1 offset:4
.LBB1707_10:
	s_or_b64 exec, exec, s[0:1]
	v_add_u32_e32 v6, 16, v5
	v_ashrrev_i32_e32 v1, 31, v6
	v_mul_lo_u32 v1, s2, v1
	v_mul_lo_u32 v7, s3, v6
	v_mad_u64_u32 v[3:4], s[0:1], s2, v6, 0
	v_cmp_gt_i32_e32 vcc, s6, v6
	v_add3_u32 v4, v4, v1, v7
	v_lshlrev_b64 v[3:4], 3, v[3:4]
	v_mov_b32_e32 v1, s17
	v_add_co_u32_e64 v7, s[0:1], s16, v3
	v_addc_co_u32_e64 v8, s[0:1], v1, v4, s[0:1]
	v_cmp_le_i32_e64 s[0:1], v0, v6
	s_and_b64 s[0:1], vcc, s[0:1]
	s_and_saveexec_b64 s[2:3], s[0:1]
	s_cbranch_execz .LBB1707_13
; %bb.11:
	v_ashrrev_i32_e32 v1, 31, v0
	v_lshlrev_b64 v[3:4], 3, v[0:1]
	v_add_co_u32_e64 v3, s[0:1], v7, v3
	v_addc_co_u32_e64 v4, s[0:1], v8, v4, s[0:1]
	flat_load_dwordx2 v[9:10], v[3:4]
	v_cmp_eq_u32_e64 s[0:1], v6, v0
	s_waitcnt vmcnt(0) lgkmcnt(0)
	v_sub_f32_e32 v9, v19, v9
	v_sub_f32_e32 v10, v18, v10
	flat_store_dwordx2 v[3:4], v[9:10]
	s_and_b64 exec, exec, s[0:1]
	s_cbranch_execz .LBB1707_13
; %bb.12:
	v_mov_b32_e32 v1, 0
	flat_store_dword v[3:4], v1 offset:4
.LBB1707_13:
	s_or_b64 exec, exec, s[2:3]
	v_cmp_le_i32_e64 s[0:1], v2, v6
	s_and_b64 s[0:1], vcc, s[0:1]
	s_and_saveexec_b64 s[2:3], s[0:1]
	s_cbranch_execz .LBB1707_16
; %bb.14:
	v_ashrrev_i32_e32 v3, 31, v2
	v_lshlrev_b64 v[1:2], 3, v[2:3]
	v_add_co_u32_e32 v1, vcc, v7, v1
	v_addc_co_u32_e32 v2, vcc, v8, v2, vcc
	flat_load_dwordx2 v[3:4], v[1:2]
	v_cmp_eq_u32_e32 vcc, v5, v0
	s_waitcnt vmcnt(0) lgkmcnt(0)
	v_sub_f32_e32 v3, v17, v3
	v_sub_f32_e32 v4, v16, v4
	flat_store_dwordx2 v[1:2], v[3:4]
	s_and_b64 exec, exec, vcc
	s_cbranch_execz .LBB1707_16
; %bb.15:
	v_mov_b32_e32 v0, 0
	flat_store_dword v[1:2], v0 offset:4
.LBB1707_16:
	s_endpgm
	.section	.rodata,"a",@progbits
	.p2align	6, 0x0
	.amdhsa_kernel _ZL37rocblas_syrkx_herkx_restricted_kernelIl19rocblas_complex_numIfELi16ELi32ELi8ELi1ELin1ELb1ELc78ELc85EKPKS1_KPS1_EviT_PT9_S7_lS9_S7_lPT10_S7_li
		.amdhsa_group_segment_fixed_size 4096
		.amdhsa_private_segment_fixed_size 0
		.amdhsa_kernarg_size 92
		.amdhsa_user_sgpr_count 6
		.amdhsa_user_sgpr_private_segment_buffer 1
		.amdhsa_user_sgpr_dispatch_ptr 0
		.amdhsa_user_sgpr_queue_ptr 0
		.amdhsa_user_sgpr_kernarg_segment_ptr 1
		.amdhsa_user_sgpr_dispatch_id 0
		.amdhsa_user_sgpr_flat_scratch_init 0
		.amdhsa_user_sgpr_private_segment_size 0
		.amdhsa_uses_dynamic_stack 0
		.amdhsa_system_sgpr_private_segment_wavefront_offset 0
		.amdhsa_system_sgpr_workgroup_id_x 1
		.amdhsa_system_sgpr_workgroup_id_y 1
		.amdhsa_system_sgpr_workgroup_id_z 1
		.amdhsa_system_sgpr_workgroup_info 0
		.amdhsa_system_vgpr_workitem_id 1
		.amdhsa_next_free_vgpr 43
		.amdhsa_next_free_sgpr 22
		.amdhsa_reserve_vcc 1
		.amdhsa_reserve_flat_scratch 0
		.amdhsa_float_round_mode_32 0
		.amdhsa_float_round_mode_16_64 0
		.amdhsa_float_denorm_mode_32 3
		.amdhsa_float_denorm_mode_16_64 3
		.amdhsa_dx10_clamp 1
		.amdhsa_ieee_mode 1
		.amdhsa_fp16_overflow 0
		.amdhsa_exception_fp_ieee_invalid_op 0
		.amdhsa_exception_fp_denorm_src 0
		.amdhsa_exception_fp_ieee_div_zero 0
		.amdhsa_exception_fp_ieee_overflow 0
		.amdhsa_exception_fp_ieee_underflow 0
		.amdhsa_exception_fp_ieee_inexact 0
		.amdhsa_exception_int_div_zero 0
	.end_amdhsa_kernel
	.section	.text._ZL37rocblas_syrkx_herkx_restricted_kernelIl19rocblas_complex_numIfELi16ELi32ELi8ELi1ELin1ELb1ELc78ELc85EKPKS1_KPS1_EviT_PT9_S7_lS9_S7_lPT10_S7_li,"axG",@progbits,_ZL37rocblas_syrkx_herkx_restricted_kernelIl19rocblas_complex_numIfELi16ELi32ELi8ELi1ELin1ELb1ELc78ELc85EKPKS1_KPS1_EviT_PT9_S7_lS9_S7_lPT10_S7_li,comdat
.Lfunc_end1707:
	.size	_ZL37rocblas_syrkx_herkx_restricted_kernelIl19rocblas_complex_numIfELi16ELi32ELi8ELi1ELin1ELb1ELc78ELc85EKPKS1_KPS1_EviT_PT9_S7_lS9_S7_lPT10_S7_li, .Lfunc_end1707-_ZL37rocblas_syrkx_herkx_restricted_kernelIl19rocblas_complex_numIfELi16ELi32ELi8ELi1ELin1ELb1ELc78ELc85EKPKS1_KPS1_EviT_PT9_S7_lS9_S7_lPT10_S7_li
                                        ; -- End function
	.set _ZL37rocblas_syrkx_herkx_restricted_kernelIl19rocblas_complex_numIfELi16ELi32ELi8ELi1ELin1ELb1ELc78ELc85EKPKS1_KPS1_EviT_PT9_S7_lS9_S7_lPT10_S7_li.num_vgpr, 43
	.set _ZL37rocblas_syrkx_herkx_restricted_kernelIl19rocblas_complex_numIfELi16ELi32ELi8ELi1ELin1ELb1ELc78ELc85EKPKS1_KPS1_EviT_PT9_S7_lS9_S7_lPT10_S7_li.num_agpr, 0
	.set _ZL37rocblas_syrkx_herkx_restricted_kernelIl19rocblas_complex_numIfELi16ELi32ELi8ELi1ELin1ELb1ELc78ELc85EKPKS1_KPS1_EviT_PT9_S7_lS9_S7_lPT10_S7_li.numbered_sgpr, 22
	.set _ZL37rocblas_syrkx_herkx_restricted_kernelIl19rocblas_complex_numIfELi16ELi32ELi8ELi1ELin1ELb1ELc78ELc85EKPKS1_KPS1_EviT_PT9_S7_lS9_S7_lPT10_S7_li.num_named_barrier, 0
	.set _ZL37rocblas_syrkx_herkx_restricted_kernelIl19rocblas_complex_numIfELi16ELi32ELi8ELi1ELin1ELb1ELc78ELc85EKPKS1_KPS1_EviT_PT9_S7_lS9_S7_lPT10_S7_li.private_seg_size, 0
	.set _ZL37rocblas_syrkx_herkx_restricted_kernelIl19rocblas_complex_numIfELi16ELi32ELi8ELi1ELin1ELb1ELc78ELc85EKPKS1_KPS1_EviT_PT9_S7_lS9_S7_lPT10_S7_li.uses_vcc, 1
	.set _ZL37rocblas_syrkx_herkx_restricted_kernelIl19rocblas_complex_numIfELi16ELi32ELi8ELi1ELin1ELb1ELc78ELc85EKPKS1_KPS1_EviT_PT9_S7_lS9_S7_lPT10_S7_li.uses_flat_scratch, 0
	.set _ZL37rocblas_syrkx_herkx_restricted_kernelIl19rocblas_complex_numIfELi16ELi32ELi8ELi1ELin1ELb1ELc78ELc85EKPKS1_KPS1_EviT_PT9_S7_lS9_S7_lPT10_S7_li.has_dyn_sized_stack, 0
	.set _ZL37rocblas_syrkx_herkx_restricted_kernelIl19rocblas_complex_numIfELi16ELi32ELi8ELi1ELin1ELb1ELc78ELc85EKPKS1_KPS1_EviT_PT9_S7_lS9_S7_lPT10_S7_li.has_recursion, 0
	.set _ZL37rocblas_syrkx_herkx_restricted_kernelIl19rocblas_complex_numIfELi16ELi32ELi8ELi1ELin1ELb1ELc78ELc85EKPKS1_KPS1_EviT_PT9_S7_lS9_S7_lPT10_S7_li.has_indirect_call, 0
	.section	.AMDGPU.csdata,"",@progbits
; Kernel info:
; codeLenInByte = 2120
; TotalNumSgprs: 26
; NumVgprs: 43
; ScratchSize: 0
; MemoryBound: 0
; FloatMode: 240
; IeeeMode: 1
; LDSByteSize: 4096 bytes/workgroup (compile time only)
; SGPRBlocks: 3
; VGPRBlocks: 10
; NumSGPRsForWavesPerEU: 26
; NumVGPRsForWavesPerEU: 43
; Occupancy: 5
; WaveLimiterHint : 1
; COMPUTE_PGM_RSRC2:SCRATCH_EN: 0
; COMPUTE_PGM_RSRC2:USER_SGPR: 6
; COMPUTE_PGM_RSRC2:TRAP_HANDLER: 0
; COMPUTE_PGM_RSRC2:TGID_X_EN: 1
; COMPUTE_PGM_RSRC2:TGID_Y_EN: 1
; COMPUTE_PGM_RSRC2:TGID_Z_EN: 1
; COMPUTE_PGM_RSRC2:TIDIG_COMP_CNT: 1
	.section	.text._ZL37rocblas_syrkx_herkx_restricted_kernelIl19rocblas_complex_numIfELi16ELi32ELi8ELi1ELi0ELb1ELc84ELc76EKPKS1_KPS1_EviT_PT9_S7_lS9_S7_lPT10_S7_li,"axG",@progbits,_ZL37rocblas_syrkx_herkx_restricted_kernelIl19rocblas_complex_numIfELi16ELi32ELi8ELi1ELi0ELb1ELc84ELc76EKPKS1_KPS1_EviT_PT9_S7_lS9_S7_lPT10_S7_li,comdat
	.globl	_ZL37rocblas_syrkx_herkx_restricted_kernelIl19rocblas_complex_numIfELi16ELi32ELi8ELi1ELi0ELb1ELc84ELc76EKPKS1_KPS1_EviT_PT9_S7_lS9_S7_lPT10_S7_li ; -- Begin function _ZL37rocblas_syrkx_herkx_restricted_kernelIl19rocblas_complex_numIfELi16ELi32ELi8ELi1ELi0ELb1ELc84ELc76EKPKS1_KPS1_EviT_PT9_S7_lS9_S7_lPT10_S7_li
	.p2align	8
	.type	_ZL37rocblas_syrkx_herkx_restricted_kernelIl19rocblas_complex_numIfELi16ELi32ELi8ELi1ELi0ELb1ELc84ELc76EKPKS1_KPS1_EviT_PT9_S7_lS9_S7_lPT10_S7_li,@function
_ZL37rocblas_syrkx_herkx_restricted_kernelIl19rocblas_complex_numIfELi16ELi32ELi8ELi1ELi0ELb1ELc84ELc76EKPKS1_KPS1_EviT_PT9_S7_lS9_S7_lPT10_S7_li: ; @_ZL37rocblas_syrkx_herkx_restricted_kernelIl19rocblas_complex_numIfELi16ELi32ELi8ELi1ELi0ELb1ELc84ELc76EKPKS1_KPS1_EviT_PT9_S7_lS9_S7_lPT10_S7_li
; %bb.0:
	s_load_dwordx4 s[12:15], s[4:5], 0x40
	s_load_dwordx4 s[0:3], s[4:5], 0x8
	s_mov_b32 s9, 0
	s_lshl_b64 s[10:11], s[8:9], 3
	s_waitcnt lgkmcnt(0)
	s_add_u32 s8, s12, s10
	s_addc_u32 s9, s13, s11
	s_load_dwordx2 s[8:9], s[8:9], 0x0
	v_cmp_lt_i64_e64 s[12:13], s[0:1], 1
	s_lshl_b32 s6, s6, 5
	s_lshl_b32 s7, s7, 5
	s_and_b64 vcc, exec, s[12:13]
	s_cbranch_vccnz .LBB1708_3
; %bb.1:
	s_load_dwordx2 s[12:13], s[4:5], 0x18
	s_load_dwordx4 s[16:19], s[4:5], 0x28
	v_lshl_add_u32 v4, v1, 4, v0
	v_lshrrev_b32_e32 v6, 3, v4
	v_add_u32_e32 v2, s7, v6
	v_ashrrev_i32_e32 v3, 31, v2
	v_and_b32_e32 v9, 7, v0
	v_mov_b32_e32 v10, 0
	s_waitcnt lgkmcnt(0)
	v_mul_lo_u32 v5, s18, v3
	v_mul_lo_u32 v7, s19, v2
	v_mad_u64_u32 v[2:3], s[18:19], s18, v2, v[9:10]
	s_add_u32 s2, s2, s10
	s_addc_u32 s3, s3, s11
	v_add3_u32 v3, v7, v3, v5
	v_and_b32_e32 v7, 31, v4
	v_lshrrev_b32_e32 v4, 5, v4
	v_lshlrev_b32_e32 v8, 3, v7
	v_lshl_or_b32 v15, v4, 8, v8
	v_lshlrev_b32_e32 v8, 3, v9
	v_lshl_or_b32 v6, v6, 6, v8
	v_add_u32_e32 v16, 0x800, v6
	v_add_u32_e32 v6, s6, v7
	s_add_u32 s10, s16, s10
	v_mov_b32_e32 v5, v10
	v_ashrrev_i32_e32 v7, 31, v6
	s_addc_u32 s11, s17, s11
	v_mul_lo_u32 v7, s12, v7
	v_mad_u64_u32 v[4:5], s[16:17], s12, v6, v[4:5]
	v_mul_lo_u32 v6, s13, v6
	s_load_dwordx2 s[2:3], s[2:3], 0x0
	v_lshlrev_b64 v[2:3], 3, v[2:3]
	s_load_dwordx2 s[10:11], s[10:11], 0x0
	v_add3_u32 v5, v6, v5, v7
	v_lshlrev_b64 v[4:5], 3, v[4:5]
	s_waitcnt lgkmcnt(0)
	v_mov_b32_e32 v7, s3
	v_add_co_u32_e32 v6, vcc, s2, v4
	v_mov_b32_e32 v8, 0x800
	v_addc_co_u32_e32 v7, vcc, v7, v5, vcc
	v_lshl_add_u32 v18, v1, 6, v8
	v_mov_b32_e32 v4, s11
	v_add_co_u32_e32 v8, vcc, s10, v2
	v_lshlrev_b32_e32 v17, 3, v0
	v_addc_co_u32_e32 v9, vcc, v4, v3, vcc
	s_mov_b64 s[2:3], 0
	v_mov_b32_e32 v11, v10
	v_mov_b32_e32 v19, v10
	;; [unrolled: 1-line block ×7, first 2 shown]
.LBB1708_2:                             ; =>This Inner Loop Header: Depth=1
	flat_load_dwordx2 v[2:3], v[6:7]
	v_add_co_u32_e32 v6, vcc, 64, v6
	s_add_u32 s2, s2, 8
	v_addc_co_u32_e32 v7, vcc, 0, v7, vcc
	s_addc_u32 s3, s3, 0
	s_waitcnt vmcnt(0) lgkmcnt(0)
	ds_write_b64 v15, v[2:3]
	flat_load_dwordx2 v[2:3], v[8:9]
	v_add_co_u32_e32 v8, vcc, 64, v8
	v_addc_co_u32_e32 v9, vcc, 0, v9, vcc
	s_waitcnt vmcnt(0) lgkmcnt(0)
	ds_write_b64 v16, v[2:3]
	s_waitcnt lgkmcnt(0)
	s_barrier
	ds_read_b128 v[22:25], v18
	ds_read_b128 v[26:29], v18 offset:16
	ds_read_b128 v[30:33], v18 offset:32
	;; [unrolled: 1-line block ×3, first 2 shown]
	ds_read2_b64 v[34:37], v17 offset1:16
	s_waitcnt lgkmcnt(0)
	v_mul_f32_e32 v38, v23, v35
	v_mul_f32_e32 v39, v22, v35
	v_fma_f32 v38, v22, v34, -v38
	v_fmac_f32_e32 v39, v23, v34
	v_add_f32_e32 v14, v14, v38
	v_add_f32_e32 v38, v21, v39
	v_mul_f32_e32 v21, v23, v37
	v_fma_f32 v21, v22, v36, -v21
	v_mul_f32_e32 v22, v22, v37
	v_fmac_f32_e32 v22, v23, v36
	v_add_f32_e32 v39, v13, v21
	v_add_f32_e32 v40, v20, v22
	ds_read_b128 v[20:23], v18 offset:1024
	s_waitcnt lgkmcnt(0)
	v_mul_f32_e32 v13, v21, v35
	v_fma_f32 v13, v20, v34, -v13
	v_mul_f32_e32 v35, v20, v35
	v_fmac_f32_e32 v35, v21, v34
	v_add_f32_e32 v34, v12, v13
	v_mul_f32_e32 v12, v21, v37
	v_mul_f32_e32 v13, v20, v37
	v_fma_f32 v12, v20, v36, -v12
	v_fmac_f32_e32 v13, v21, v36
	v_add_f32_e32 v20, v11, v12
	v_add_f32_e32 v21, v10, v13
	ds_read2_b64 v[10:13], v17 offset0:32 offset1:48
	v_add_f32_e32 v19, v19, v35
	s_waitcnt lgkmcnt(0)
	v_mul_f32_e32 v35, v25, v11
	v_mul_f32_e32 v36, v24, v11
	v_fma_f32 v35, v24, v10, -v35
	v_fmac_f32_e32 v36, v25, v10
	v_add_f32_e32 v14, v14, v35
	v_add_f32_e32 v35, v38, v36
	v_mul_f32_e32 v36, v25, v13
	v_fma_f32 v36, v24, v12, -v36
	v_mul_f32_e32 v24, v24, v13
	v_fmac_f32_e32 v24, v25, v12
	v_add_f32_e32 v25, v39, v36
	v_mul_f32_e32 v36, v23, v11
	v_mul_f32_e32 v11, v22, v11
	v_fma_f32 v36, v22, v10, -v36
	v_fmac_f32_e32 v11, v23, v10
	v_add_f32_e32 v34, v34, v36
	v_add_f32_e32 v36, v19, v11
	v_mul_f32_e32 v10, v23, v13
	v_mul_f32_e32 v11, v22, v13
	v_fma_f32 v10, v22, v12, -v10
	v_fmac_f32_e32 v11, v23, v12
	v_add_f32_e32 v23, v20, v10
	v_add_f32_e32 v37, v21, v11
	ds_read2_b64 v[10:13], v17 offset0:64 offset1:80
	v_add_f32_e32 v24, v40, v24
	s_waitcnt lgkmcnt(0)
	v_mul_f32_e32 v19, v27, v11
	v_mul_f32_e32 v20, v26, v11
	v_fma_f32 v19, v26, v10, -v19
	v_fmac_f32_e32 v20, v27, v10
	v_add_f32_e32 v14, v14, v19
	v_add_f32_e32 v35, v35, v20
	v_mul_f32_e32 v19, v27, v13
	v_mul_f32_e32 v20, v26, v13
	v_fma_f32 v19, v26, v12, -v19
	v_fmac_f32_e32 v20, v27, v12
	v_add_f32_e32 v25, v25, v19
	v_add_f32_e32 v24, v24, v20
	ds_read_b128 v[19:22], v18 offset:1040
	s_waitcnt lgkmcnt(0)
	v_mul_f32_e32 v26, v20, v11
	v_mul_f32_e32 v11, v19, v11
	v_fmac_f32_e32 v11, v20, v10
	v_fma_f32 v26, v19, v10, -v26
	v_add_f32_e32 v27, v36, v11
	v_mul_f32_e32 v10, v20, v13
	v_mul_f32_e32 v11, v19, v13
	v_fma_f32 v10, v19, v12, -v10
	v_fmac_f32_e32 v11, v20, v12
	v_add_f32_e32 v19, v23, v10
	v_add_f32_e32 v20, v37, v11
	ds_read2_b64 v[10:13], v17 offset0:96 offset1:112
	v_add_f32_e32 v26, v34, v26
	s_waitcnt lgkmcnt(0)
	v_mul_f32_e32 v23, v29, v11
	v_mul_f32_e32 v34, v28, v11
	v_fma_f32 v23, v28, v10, -v23
	v_fmac_f32_e32 v34, v29, v10
	v_add_f32_e32 v14, v14, v23
	v_add_f32_e32 v23, v35, v34
	v_mul_f32_e32 v34, v29, v13
	v_fma_f32 v34, v28, v12, -v34
	v_mul_f32_e32 v28, v28, v13
	v_fmac_f32_e32 v28, v29, v12
	v_add_f32_e32 v24, v24, v28
	v_mul_f32_e32 v28, v22, v11
	v_mul_f32_e32 v11, v21, v11
	v_fmac_f32_e32 v11, v22, v10
	v_fma_f32 v28, v21, v10, -v28
	v_add_f32_e32 v27, v27, v11
	v_mul_f32_e32 v10, v22, v13
	v_mul_f32_e32 v11, v21, v13
	v_fma_f32 v10, v21, v12, -v10
	v_fmac_f32_e32 v11, v22, v12
	v_add_f32_e32 v26, v26, v28
	v_add_f32_e32 v28, v19, v10
	;; [unrolled: 1-line block ×3, first 2 shown]
	ds_read2_b64 v[10:13], v17 offset0:128 offset1:144
	v_add_f32_e32 v25, v25, v34
	s_waitcnt lgkmcnt(0)
	v_mul_f32_e32 v19, v31, v11
	v_mul_f32_e32 v20, v30, v11
	v_fma_f32 v19, v30, v10, -v19
	v_fmac_f32_e32 v20, v31, v10
	v_add_f32_e32 v14, v14, v19
	v_add_f32_e32 v23, v23, v20
	v_mul_f32_e32 v19, v31, v13
	v_mul_f32_e32 v20, v30, v13
	v_fma_f32 v19, v30, v12, -v19
	v_fmac_f32_e32 v20, v31, v12
	v_add_f32_e32 v25, v25, v19
	v_add_f32_e32 v24, v24, v20
	ds_read_b128 v[19:22], v18 offset:1056
	s_waitcnt lgkmcnt(0)
	v_mul_f32_e32 v30, v20, v11
	v_mul_f32_e32 v11, v19, v11
	v_fmac_f32_e32 v11, v20, v10
	v_fma_f32 v30, v19, v10, -v30
	v_add_f32_e32 v27, v27, v11
	v_mul_f32_e32 v10, v20, v13
	v_mul_f32_e32 v11, v19, v13
	v_fma_f32 v10, v19, v12, -v10
	v_fmac_f32_e32 v11, v20, v12
	v_add_f32_e32 v19, v28, v10
	v_add_f32_e32 v20, v29, v11
	ds_read2_b64 v[10:13], v17 offset0:160 offset1:176
	v_add_f32_e32 v26, v26, v30
	s_waitcnt lgkmcnt(0)
	v_mul_f32_e32 v28, v33, v11
	v_fma_f32 v28, v32, v10, -v28
	v_add_f32_e32 v14, v14, v28
	v_mul_f32_e32 v28, v33, v13
	v_fma_f32 v28, v32, v12, -v28
	v_mul_f32_e32 v29, v32, v11
	v_add_f32_e32 v25, v25, v28
	v_mul_f32_e32 v28, v22, v11
	v_mul_f32_e32 v11, v21, v11
	v_fmac_f32_e32 v11, v22, v10
	v_fmac_f32_e32 v29, v33, v10
	v_fma_f32 v28, v21, v10, -v28
	v_add_f32_e32 v27, v27, v11
	v_mul_f32_e32 v10, v22, v13
	v_mul_f32_e32 v11, v21, v13
	v_add_f32_e32 v23, v23, v29
	v_mul_f32_e32 v29, v32, v13
	v_fma_f32 v10, v21, v12, -v10
	v_fmac_f32_e32 v11, v22, v12
	v_fmac_f32_e32 v29, v33, v12
	v_add_f32_e32 v26, v26, v28
	v_add_f32_e32 v19, v19, v10
	;; [unrolled: 1-line block ×3, first 2 shown]
	ds_read2_b64 v[10:13], v17 offset0:192 offset1:208
	v_add_f32_e32 v24, v24, v29
	s_waitcnt lgkmcnt(0)
	v_mul_f32_e32 v20, v3, v11
	v_fma_f32 v20, v2, v10, -v20
	v_mul_f32_e32 v21, v2, v11
	v_add_f32_e32 v14, v14, v20
	v_mul_f32_e32 v20, v3, v13
	v_fmac_f32_e32 v21, v3, v10
	v_fma_f32 v20, v2, v12, -v20
	v_mul_f32_e32 v2, v2, v13
	v_add_f32_e32 v29, v23, v21
	v_fmac_f32_e32 v2, v3, v12
	v_add_f32_e32 v3, v25, v20
	ds_read_b128 v[20:23], v18 offset:1072
	v_add_f32_e32 v2, v24, v2
	s_waitcnt lgkmcnt(0)
	v_mul_f32_e32 v24, v21, v11
	v_fma_f32 v24, v20, v10, -v24
	v_mul_f32_e32 v11, v20, v11
	v_fmac_f32_e32 v11, v21, v10
	v_add_f32_e32 v10, v26, v24
	v_mul_f32_e32 v24, v21, v13
	v_fma_f32 v24, v20, v12, -v24
	v_add_f32_e32 v11, v27, v11
	v_add_f32_e32 v30, v19, v24
	ds_read2_b64 v[24:27], v17 offset0:224 offset1:240
	v_mul_f32_e32 v13, v20, v13
	v_fmac_f32_e32 v13, v21, v12
	v_add_f32_e32 v28, v28, v13
	s_waitcnt lgkmcnt(0)
	v_mul_f32_e32 v12, v5, v25
	v_fma_f32 v12, v4, v24, -v12
	v_add_f32_e32 v14, v14, v12
	v_mul_f32_e32 v12, v5, v27
	v_mul_f32_e32 v13, v4, v25
	v_fma_f32 v12, v4, v26, -v12
	v_mul_f32_e32 v4, v4, v27
	v_fmac_f32_e32 v13, v5, v24
	v_fmac_f32_e32 v4, v5, v26
	v_add_f32_e32 v21, v29, v13
	v_add_f32_e32 v13, v3, v12
	;; [unrolled: 1-line block ×3, first 2 shown]
	v_mul_f32_e32 v2, v23, v25
	v_mul_f32_e32 v3, v22, v25
	v_fma_f32 v2, v22, v24, -v2
	v_fmac_f32_e32 v3, v23, v24
	v_add_f32_e32 v12, v10, v2
	v_add_f32_e32 v19, v11, v3
	v_mul_f32_e32 v2, v23, v27
	v_mul_f32_e32 v3, v22, v27
	v_fma_f32 v2, v22, v26, -v2
	v_fmac_f32_e32 v3, v23, v26
	v_add_f32_e32 v11, v30, v2
	v_add_f32_e32 v10, v28, v3
	v_mov_b32_e32 v2, s2
	v_mov_b32_e32 v3, s3
	v_cmp_le_u64_e32 vcc, s[0:1], v[2:3]
	s_barrier
	s_cbranch_vccz .LBB1708_2
	s_branch .LBB1708_4
.LBB1708_3:
	v_mov_b32_e32 v21, 0
	v_mov_b32_e32 v14, 0
	;; [unrolled: 1-line block ×8, first 2 shown]
.LBB1708_4:
	v_add_u32_e32 v4, s7, v1
	v_ashrrev_i32_e32 v1, 31, v4
	v_mul_lo_u32 v3, s14, v1
	v_mul_lo_u32 v5, s15, v4
	v_mad_u64_u32 v[1:2], s[0:1], s14, v4, 0
	s_load_dword s4, s[4:5], 0x0
	v_add_u32_e32 v0, s6, v0
	v_add3_u32 v2, v2, v3, v5
	v_lshlrev_b64 v[1:2], 3, v[1:2]
	s_waitcnt lgkmcnt(0)
	v_mov_b32_e32 v3, s9
	v_add_co_u32_e32 v5, vcc, s8, v1
	v_addc_co_u32_e32 v6, vcc, v3, v2, vcc
	v_cmp_le_i32_e64 s[0:1], v4, v0
	v_cmp_gt_i32_e32 vcc, s4, v0
	s_and_b64 s[0:1], s[0:1], vcc
	s_and_saveexec_b64 s[2:3], s[0:1]
	s_cbranch_execz .LBB1708_6
; %bb.5:
	v_ashrrev_i32_e32 v1, 31, v0
	v_lshlrev_b64 v[1:2], 3, v[0:1]
	v_add_co_u32_e64 v1, s[0:1], v5, v1
	v_addc_co_u32_e64 v2, s[0:1], v6, v2, s[0:1]
	v_cmp_ne_u32_e64 s[0:1], v4, v0
	v_cndmask_b32_e64 v15, 0, v21, s[0:1]
	flat_store_dwordx2 v[1:2], v[14:15]
.LBB1708_6:
	s_or_b64 exec, exec, s[2:3]
	v_add_u32_e32 v2, 16, v0
	v_cmp_le_i32_e64 s[2:3], v4, v2
	v_cmp_gt_i32_e64 s[0:1], s4, v2
	s_and_b64 s[2:3], s[2:3], s[0:1]
	s_and_saveexec_b64 s[4:5], s[2:3]
	s_cbranch_execz .LBB1708_8
; %bb.7:
	v_ashrrev_i32_e32 v3, 31, v2
	v_lshlrev_b64 v[7:8], 3, v[2:3]
	v_add_co_u32_e64 v5, s[2:3], v5, v7
	v_addc_co_u32_e64 v6, s[2:3], v6, v8, s[2:3]
	v_cmp_ne_u32_e64 s[2:3], v4, v2
	v_cndmask_b32_e64 v14, 0, v20, s[2:3]
	flat_store_dwordx2 v[5:6], v[13:14]
.LBB1708_8:
	s_or_b64 exec, exec, s[4:5]
	v_add_u32_e32 v3, 16, v4
	v_ashrrev_i32_e32 v1, 31, v3
	v_mul_lo_u32 v7, s15, v3
	v_mad_u64_u32 v[5:6], s[2:3], s14, v3, 0
	v_mul_lo_u32 v1, s14, v1
	v_add3_u32 v6, v6, v1, v7
	v_lshlrev_b64 v[5:6], 3, v[5:6]
	v_mov_b32_e32 v1, s9
	v_add_co_u32_e64 v5, s[2:3], s8, v5
	v_addc_co_u32_e64 v6, s[2:3], v1, v6, s[2:3]
	v_cmp_le_i32_e64 s[2:3], v3, v0
	s_and_b64 s[4:5], s[2:3], vcc
	s_and_saveexec_b64 s[2:3], s[4:5]
	s_cbranch_execz .LBB1708_10
; %bb.9:
	v_ashrrev_i32_e32 v1, 31, v0
	v_lshlrev_b64 v[7:8], 3, v[0:1]
	v_add_co_u32_e32 v7, vcc, v5, v7
	v_addc_co_u32_e32 v8, vcc, v6, v8, vcc
	v_cmp_ne_u32_e32 vcc, v3, v0
	v_cndmask_b32_e32 v13, 0, v19, vcc
	flat_store_dwordx2 v[7:8], v[12:13]
.LBB1708_10:
	s_or_b64 exec, exec, s[2:3]
	v_cmp_le_i32_e32 vcc, v3, v2
	s_and_b64 s[0:1], vcc, s[0:1]
	s_and_saveexec_b64 s[2:3], s[0:1]
	s_cbranch_execz .LBB1708_12
; %bb.11:
	v_ashrrev_i32_e32 v3, 31, v2
	v_lshlrev_b64 v[1:2], 3, v[2:3]
	v_add_co_u32_e32 v1, vcc, v5, v1
	v_addc_co_u32_e32 v2, vcc, v6, v2, vcc
	v_cmp_ne_u32_e32 vcc, v4, v0
	v_cndmask_b32_e32 v12, 0, v10, vcc
	flat_store_dwordx2 v[1:2], v[11:12]
.LBB1708_12:
	s_endpgm
	.section	.rodata,"a",@progbits
	.p2align	6, 0x0
	.amdhsa_kernel _ZL37rocblas_syrkx_herkx_restricted_kernelIl19rocblas_complex_numIfELi16ELi32ELi8ELi1ELi0ELb1ELc84ELc76EKPKS1_KPS1_EviT_PT9_S7_lS9_S7_lPT10_S7_li
		.amdhsa_group_segment_fixed_size 4096
		.amdhsa_private_segment_fixed_size 0
		.amdhsa_kernarg_size 92
		.amdhsa_user_sgpr_count 6
		.amdhsa_user_sgpr_private_segment_buffer 1
		.amdhsa_user_sgpr_dispatch_ptr 0
		.amdhsa_user_sgpr_queue_ptr 0
		.amdhsa_user_sgpr_kernarg_segment_ptr 1
		.amdhsa_user_sgpr_dispatch_id 0
		.amdhsa_user_sgpr_flat_scratch_init 0
		.amdhsa_user_sgpr_private_segment_size 0
		.amdhsa_uses_dynamic_stack 0
		.amdhsa_system_sgpr_private_segment_wavefront_offset 0
		.amdhsa_system_sgpr_workgroup_id_x 1
		.amdhsa_system_sgpr_workgroup_id_y 1
		.amdhsa_system_sgpr_workgroup_id_z 1
		.amdhsa_system_sgpr_workgroup_info 0
		.amdhsa_system_vgpr_workitem_id 1
		.amdhsa_next_free_vgpr 41
		.amdhsa_next_free_sgpr 20
		.amdhsa_reserve_vcc 1
		.amdhsa_reserve_flat_scratch 0
		.amdhsa_float_round_mode_32 0
		.amdhsa_float_round_mode_16_64 0
		.amdhsa_float_denorm_mode_32 3
		.amdhsa_float_denorm_mode_16_64 3
		.amdhsa_dx10_clamp 1
		.amdhsa_ieee_mode 1
		.amdhsa_fp16_overflow 0
		.amdhsa_exception_fp_ieee_invalid_op 0
		.amdhsa_exception_fp_denorm_src 0
		.amdhsa_exception_fp_ieee_div_zero 0
		.amdhsa_exception_fp_ieee_overflow 0
		.amdhsa_exception_fp_ieee_underflow 0
		.amdhsa_exception_fp_ieee_inexact 0
		.amdhsa_exception_int_div_zero 0
	.end_amdhsa_kernel
	.section	.text._ZL37rocblas_syrkx_herkx_restricted_kernelIl19rocblas_complex_numIfELi16ELi32ELi8ELi1ELi0ELb1ELc84ELc76EKPKS1_KPS1_EviT_PT9_S7_lS9_S7_lPT10_S7_li,"axG",@progbits,_ZL37rocblas_syrkx_herkx_restricted_kernelIl19rocblas_complex_numIfELi16ELi32ELi8ELi1ELi0ELb1ELc84ELc76EKPKS1_KPS1_EviT_PT9_S7_lS9_S7_lPT10_S7_li,comdat
.Lfunc_end1708:
	.size	_ZL37rocblas_syrkx_herkx_restricted_kernelIl19rocblas_complex_numIfELi16ELi32ELi8ELi1ELi0ELb1ELc84ELc76EKPKS1_KPS1_EviT_PT9_S7_lS9_S7_lPT10_S7_li, .Lfunc_end1708-_ZL37rocblas_syrkx_herkx_restricted_kernelIl19rocblas_complex_numIfELi16ELi32ELi8ELi1ELi0ELb1ELc84ELc76EKPKS1_KPS1_EviT_PT9_S7_lS9_S7_lPT10_S7_li
                                        ; -- End function
	.set _ZL37rocblas_syrkx_herkx_restricted_kernelIl19rocblas_complex_numIfELi16ELi32ELi8ELi1ELi0ELb1ELc84ELc76EKPKS1_KPS1_EviT_PT9_S7_lS9_S7_lPT10_S7_li.num_vgpr, 41
	.set _ZL37rocblas_syrkx_herkx_restricted_kernelIl19rocblas_complex_numIfELi16ELi32ELi8ELi1ELi0ELb1ELc84ELc76EKPKS1_KPS1_EviT_PT9_S7_lS9_S7_lPT10_S7_li.num_agpr, 0
	.set _ZL37rocblas_syrkx_herkx_restricted_kernelIl19rocblas_complex_numIfELi16ELi32ELi8ELi1ELi0ELb1ELc84ELc76EKPKS1_KPS1_EviT_PT9_S7_lS9_S7_lPT10_S7_li.numbered_sgpr, 20
	.set _ZL37rocblas_syrkx_herkx_restricted_kernelIl19rocblas_complex_numIfELi16ELi32ELi8ELi1ELi0ELb1ELc84ELc76EKPKS1_KPS1_EviT_PT9_S7_lS9_S7_lPT10_S7_li.num_named_barrier, 0
	.set _ZL37rocblas_syrkx_herkx_restricted_kernelIl19rocblas_complex_numIfELi16ELi32ELi8ELi1ELi0ELb1ELc84ELc76EKPKS1_KPS1_EviT_PT9_S7_lS9_S7_lPT10_S7_li.private_seg_size, 0
	.set _ZL37rocblas_syrkx_herkx_restricted_kernelIl19rocblas_complex_numIfELi16ELi32ELi8ELi1ELi0ELb1ELc84ELc76EKPKS1_KPS1_EviT_PT9_S7_lS9_S7_lPT10_S7_li.uses_vcc, 1
	.set _ZL37rocblas_syrkx_herkx_restricted_kernelIl19rocblas_complex_numIfELi16ELi32ELi8ELi1ELi0ELb1ELc84ELc76EKPKS1_KPS1_EviT_PT9_S7_lS9_S7_lPT10_S7_li.uses_flat_scratch, 0
	.set _ZL37rocblas_syrkx_herkx_restricted_kernelIl19rocblas_complex_numIfELi16ELi32ELi8ELi1ELi0ELb1ELc84ELc76EKPKS1_KPS1_EviT_PT9_S7_lS9_S7_lPT10_S7_li.has_dyn_sized_stack, 0
	.set _ZL37rocblas_syrkx_herkx_restricted_kernelIl19rocblas_complex_numIfELi16ELi32ELi8ELi1ELi0ELb1ELc84ELc76EKPKS1_KPS1_EviT_PT9_S7_lS9_S7_lPT10_S7_li.has_recursion, 0
	.set _ZL37rocblas_syrkx_herkx_restricted_kernelIl19rocblas_complex_numIfELi16ELi32ELi8ELi1ELi0ELb1ELc84ELc76EKPKS1_KPS1_EviT_PT9_S7_lS9_S7_lPT10_S7_li.has_indirect_call, 0
	.section	.AMDGPU.csdata,"",@progbits
; Kernel info:
; codeLenInByte = 1988
; TotalNumSgprs: 24
; NumVgprs: 41
; ScratchSize: 0
; MemoryBound: 0
; FloatMode: 240
; IeeeMode: 1
; LDSByteSize: 4096 bytes/workgroup (compile time only)
; SGPRBlocks: 2
; VGPRBlocks: 10
; NumSGPRsForWavesPerEU: 24
; NumVGPRsForWavesPerEU: 41
; Occupancy: 5
; WaveLimiterHint : 1
; COMPUTE_PGM_RSRC2:SCRATCH_EN: 0
; COMPUTE_PGM_RSRC2:USER_SGPR: 6
; COMPUTE_PGM_RSRC2:TRAP_HANDLER: 0
; COMPUTE_PGM_RSRC2:TGID_X_EN: 1
; COMPUTE_PGM_RSRC2:TGID_Y_EN: 1
; COMPUTE_PGM_RSRC2:TGID_Z_EN: 1
; COMPUTE_PGM_RSRC2:TIDIG_COMP_CNT: 1
	.section	.text._ZL37rocblas_syrkx_herkx_restricted_kernelIl19rocblas_complex_numIfELi16ELi32ELi8ELi1ELi0ELb1ELc67ELc76EKPKS1_KPS1_EviT_PT9_S7_lS9_S7_lPT10_S7_li,"axG",@progbits,_ZL37rocblas_syrkx_herkx_restricted_kernelIl19rocblas_complex_numIfELi16ELi32ELi8ELi1ELi0ELb1ELc67ELc76EKPKS1_KPS1_EviT_PT9_S7_lS9_S7_lPT10_S7_li,comdat
	.globl	_ZL37rocblas_syrkx_herkx_restricted_kernelIl19rocblas_complex_numIfELi16ELi32ELi8ELi1ELi0ELb1ELc67ELc76EKPKS1_KPS1_EviT_PT9_S7_lS9_S7_lPT10_S7_li ; -- Begin function _ZL37rocblas_syrkx_herkx_restricted_kernelIl19rocblas_complex_numIfELi16ELi32ELi8ELi1ELi0ELb1ELc67ELc76EKPKS1_KPS1_EviT_PT9_S7_lS9_S7_lPT10_S7_li
	.p2align	8
	.type	_ZL37rocblas_syrkx_herkx_restricted_kernelIl19rocblas_complex_numIfELi16ELi32ELi8ELi1ELi0ELb1ELc67ELc76EKPKS1_KPS1_EviT_PT9_S7_lS9_S7_lPT10_S7_li,@function
_ZL37rocblas_syrkx_herkx_restricted_kernelIl19rocblas_complex_numIfELi16ELi32ELi8ELi1ELi0ELb1ELc67ELc76EKPKS1_KPS1_EviT_PT9_S7_lS9_S7_lPT10_S7_li: ; @_ZL37rocblas_syrkx_herkx_restricted_kernelIl19rocblas_complex_numIfELi16ELi32ELi8ELi1ELi0ELb1ELc67ELc76EKPKS1_KPS1_EviT_PT9_S7_lS9_S7_lPT10_S7_li
; %bb.0:
	s_load_dwordx4 s[12:15], s[4:5], 0x40
	s_load_dwordx4 s[0:3], s[4:5], 0x8
	s_mov_b32 s9, 0
	s_lshl_b64 s[10:11], s[8:9], 3
	s_waitcnt lgkmcnt(0)
	s_add_u32 s8, s12, s10
	s_addc_u32 s9, s13, s11
	s_load_dwordx2 s[8:9], s[8:9], 0x0
	v_cmp_lt_i64_e64 s[12:13], s[0:1], 1
	s_lshl_b32 s6, s6, 5
	s_lshl_b32 s7, s7, 5
	s_and_b64 vcc, exec, s[12:13]
	s_cbranch_vccnz .LBB1709_3
; %bb.1:
	s_load_dwordx2 s[12:13], s[4:5], 0x18
	s_load_dwordx4 s[16:19], s[4:5], 0x28
	v_lshl_add_u32 v4, v1, 4, v0
	v_lshrrev_b32_e32 v6, 3, v4
	v_add_u32_e32 v2, s7, v6
	v_ashrrev_i32_e32 v3, 31, v2
	v_and_b32_e32 v9, 7, v0
	v_mov_b32_e32 v10, 0
	s_waitcnt lgkmcnt(0)
	v_mul_lo_u32 v5, s18, v3
	v_mul_lo_u32 v7, s19, v2
	v_mad_u64_u32 v[2:3], s[18:19], s18, v2, v[9:10]
	s_add_u32 s2, s2, s10
	s_addc_u32 s3, s3, s11
	v_add3_u32 v3, v7, v3, v5
	v_and_b32_e32 v7, 31, v4
	v_lshrrev_b32_e32 v4, 5, v4
	v_lshlrev_b32_e32 v8, 3, v7
	v_lshl_or_b32 v15, v4, 8, v8
	v_lshlrev_b32_e32 v8, 3, v9
	v_lshl_or_b32 v6, v6, 6, v8
	v_add_u32_e32 v16, 0x800, v6
	v_add_u32_e32 v6, s6, v7
	s_add_u32 s10, s16, s10
	v_mov_b32_e32 v5, v10
	v_ashrrev_i32_e32 v7, 31, v6
	s_addc_u32 s11, s17, s11
	v_mul_lo_u32 v7, s12, v7
	v_mad_u64_u32 v[4:5], s[16:17], s12, v6, v[4:5]
	v_mul_lo_u32 v6, s13, v6
	s_load_dwordx2 s[2:3], s[2:3], 0x0
	v_lshlrev_b64 v[2:3], 3, v[2:3]
	s_load_dwordx2 s[10:11], s[10:11], 0x0
	v_add3_u32 v5, v6, v5, v7
	v_lshlrev_b64 v[4:5], 3, v[4:5]
	s_waitcnt lgkmcnt(0)
	v_mov_b32_e32 v7, s3
	v_add_co_u32_e32 v6, vcc, s2, v4
	v_mov_b32_e32 v8, 0x800
	v_addc_co_u32_e32 v7, vcc, v7, v5, vcc
	v_lshl_add_u32 v18, v1, 6, v8
	v_mov_b32_e32 v4, s11
	v_add_co_u32_e32 v8, vcc, s10, v2
	v_lshlrev_b32_e32 v17, 3, v0
	v_addc_co_u32_e32 v9, vcc, v4, v3, vcc
	s_mov_b64 s[2:3], 0
	v_mov_b32_e32 v11, v10
	v_mov_b32_e32 v19, v10
	;; [unrolled: 1-line block ×7, first 2 shown]
.LBB1709_2:                             ; =>This Inner Loop Header: Depth=1
	flat_load_dwordx2 v[2:3], v[6:7]
	v_add_co_u32_e32 v6, vcc, 64, v6
	v_addc_co_u32_e32 v7, vcc, 0, v7, vcc
	s_add_u32 s2, s2, 8
	s_addc_u32 s3, s3, 0
	s_waitcnt vmcnt(0) lgkmcnt(0)
	v_xor_b32_e32 v3, 0x80000000, v3
	ds_write_b64 v15, v[2:3]
	flat_load_dwordx2 v[2:3], v[8:9]
	v_add_co_u32_e32 v8, vcc, 64, v8
	v_addc_co_u32_e32 v9, vcc, 0, v9, vcc
	s_waitcnt vmcnt(0) lgkmcnt(0)
	ds_write_b64 v16, v[2:3]
	s_waitcnt lgkmcnt(0)
	s_barrier
	ds_read_b128 v[22:25], v18
	ds_read_b128 v[26:29], v18 offset:16
	ds_read_b128 v[30:33], v18 offset:32
	;; [unrolled: 1-line block ×3, first 2 shown]
	ds_read2_b64 v[34:37], v17 offset1:16
	s_waitcnt lgkmcnt(0)
	v_mul_f32_e32 v38, v23, v35
	v_mul_f32_e32 v39, v22, v35
	v_fma_f32 v38, v22, v34, -v38
	v_fmac_f32_e32 v39, v23, v34
	v_add_f32_e32 v14, v14, v38
	v_add_f32_e32 v38, v21, v39
	v_mul_f32_e32 v21, v23, v37
	v_fma_f32 v21, v22, v36, -v21
	v_mul_f32_e32 v22, v22, v37
	v_fmac_f32_e32 v22, v23, v36
	v_add_f32_e32 v39, v13, v21
	v_add_f32_e32 v40, v20, v22
	ds_read_b128 v[20:23], v18 offset:1024
	s_waitcnt lgkmcnt(0)
	v_mul_f32_e32 v13, v21, v35
	v_fma_f32 v13, v20, v34, -v13
	v_mul_f32_e32 v35, v20, v35
	v_fmac_f32_e32 v35, v21, v34
	v_add_f32_e32 v34, v12, v13
	v_mul_f32_e32 v12, v21, v37
	v_mul_f32_e32 v13, v20, v37
	v_fma_f32 v12, v20, v36, -v12
	v_fmac_f32_e32 v13, v21, v36
	v_add_f32_e32 v20, v11, v12
	v_add_f32_e32 v21, v10, v13
	ds_read2_b64 v[10:13], v17 offset0:32 offset1:48
	v_add_f32_e32 v19, v19, v35
	s_waitcnt lgkmcnt(0)
	v_mul_f32_e32 v35, v25, v11
	v_mul_f32_e32 v36, v24, v11
	v_fma_f32 v35, v24, v10, -v35
	v_fmac_f32_e32 v36, v25, v10
	v_add_f32_e32 v14, v14, v35
	v_add_f32_e32 v35, v38, v36
	v_mul_f32_e32 v36, v25, v13
	v_fma_f32 v36, v24, v12, -v36
	v_mul_f32_e32 v24, v24, v13
	v_fmac_f32_e32 v24, v25, v12
	v_add_f32_e32 v25, v39, v36
	v_mul_f32_e32 v36, v23, v11
	v_mul_f32_e32 v11, v22, v11
	v_fma_f32 v36, v22, v10, -v36
	v_fmac_f32_e32 v11, v23, v10
	v_add_f32_e32 v34, v34, v36
	v_add_f32_e32 v36, v19, v11
	v_mul_f32_e32 v10, v23, v13
	v_mul_f32_e32 v11, v22, v13
	v_fma_f32 v10, v22, v12, -v10
	v_fmac_f32_e32 v11, v23, v12
	v_add_f32_e32 v23, v20, v10
	v_add_f32_e32 v37, v21, v11
	ds_read2_b64 v[10:13], v17 offset0:64 offset1:80
	v_add_f32_e32 v24, v40, v24
	s_waitcnt lgkmcnt(0)
	v_mul_f32_e32 v19, v27, v11
	v_mul_f32_e32 v20, v26, v11
	v_fma_f32 v19, v26, v10, -v19
	v_fmac_f32_e32 v20, v27, v10
	v_add_f32_e32 v14, v14, v19
	v_add_f32_e32 v35, v35, v20
	v_mul_f32_e32 v19, v27, v13
	v_mul_f32_e32 v20, v26, v13
	v_fma_f32 v19, v26, v12, -v19
	v_fmac_f32_e32 v20, v27, v12
	v_add_f32_e32 v25, v25, v19
	v_add_f32_e32 v24, v24, v20
	ds_read_b128 v[19:22], v18 offset:1040
	s_waitcnt lgkmcnt(0)
	v_mul_f32_e32 v26, v20, v11
	v_mul_f32_e32 v11, v19, v11
	v_fmac_f32_e32 v11, v20, v10
	v_fma_f32 v26, v19, v10, -v26
	v_add_f32_e32 v27, v36, v11
	v_mul_f32_e32 v10, v20, v13
	v_mul_f32_e32 v11, v19, v13
	v_fma_f32 v10, v19, v12, -v10
	v_fmac_f32_e32 v11, v20, v12
	v_add_f32_e32 v19, v23, v10
	v_add_f32_e32 v20, v37, v11
	ds_read2_b64 v[10:13], v17 offset0:96 offset1:112
	v_add_f32_e32 v26, v34, v26
	s_waitcnt lgkmcnt(0)
	v_mul_f32_e32 v23, v29, v11
	v_mul_f32_e32 v34, v28, v11
	v_fma_f32 v23, v28, v10, -v23
	v_fmac_f32_e32 v34, v29, v10
	v_add_f32_e32 v14, v14, v23
	v_add_f32_e32 v23, v35, v34
	v_mul_f32_e32 v34, v29, v13
	v_fma_f32 v34, v28, v12, -v34
	v_mul_f32_e32 v28, v28, v13
	v_fmac_f32_e32 v28, v29, v12
	v_add_f32_e32 v24, v24, v28
	v_mul_f32_e32 v28, v22, v11
	v_mul_f32_e32 v11, v21, v11
	v_fmac_f32_e32 v11, v22, v10
	v_fma_f32 v28, v21, v10, -v28
	v_add_f32_e32 v27, v27, v11
	v_mul_f32_e32 v10, v22, v13
	v_mul_f32_e32 v11, v21, v13
	v_fma_f32 v10, v21, v12, -v10
	v_fmac_f32_e32 v11, v22, v12
	v_add_f32_e32 v26, v26, v28
	v_add_f32_e32 v28, v19, v10
	;; [unrolled: 1-line block ×3, first 2 shown]
	ds_read2_b64 v[10:13], v17 offset0:128 offset1:144
	v_add_f32_e32 v25, v25, v34
	s_waitcnt lgkmcnt(0)
	v_mul_f32_e32 v19, v31, v11
	v_mul_f32_e32 v20, v30, v11
	v_fma_f32 v19, v30, v10, -v19
	v_fmac_f32_e32 v20, v31, v10
	v_add_f32_e32 v14, v14, v19
	v_add_f32_e32 v23, v23, v20
	v_mul_f32_e32 v19, v31, v13
	v_mul_f32_e32 v20, v30, v13
	v_fma_f32 v19, v30, v12, -v19
	v_fmac_f32_e32 v20, v31, v12
	v_add_f32_e32 v25, v25, v19
	v_add_f32_e32 v24, v24, v20
	ds_read_b128 v[19:22], v18 offset:1056
	s_waitcnt lgkmcnt(0)
	v_mul_f32_e32 v30, v20, v11
	v_mul_f32_e32 v11, v19, v11
	v_fmac_f32_e32 v11, v20, v10
	v_fma_f32 v30, v19, v10, -v30
	v_add_f32_e32 v27, v27, v11
	v_mul_f32_e32 v10, v20, v13
	v_mul_f32_e32 v11, v19, v13
	v_fma_f32 v10, v19, v12, -v10
	v_fmac_f32_e32 v11, v20, v12
	v_add_f32_e32 v19, v28, v10
	v_add_f32_e32 v20, v29, v11
	ds_read2_b64 v[10:13], v17 offset0:160 offset1:176
	v_add_f32_e32 v26, v26, v30
	s_waitcnt lgkmcnt(0)
	v_mul_f32_e32 v28, v33, v11
	v_fma_f32 v28, v32, v10, -v28
	v_add_f32_e32 v14, v14, v28
	v_mul_f32_e32 v28, v33, v13
	v_fma_f32 v28, v32, v12, -v28
	v_mul_f32_e32 v29, v32, v11
	v_add_f32_e32 v25, v25, v28
	v_mul_f32_e32 v28, v22, v11
	v_mul_f32_e32 v11, v21, v11
	v_fmac_f32_e32 v11, v22, v10
	v_fmac_f32_e32 v29, v33, v10
	v_fma_f32 v28, v21, v10, -v28
	v_add_f32_e32 v27, v27, v11
	v_mul_f32_e32 v10, v22, v13
	v_mul_f32_e32 v11, v21, v13
	v_add_f32_e32 v23, v23, v29
	v_mul_f32_e32 v29, v32, v13
	v_fma_f32 v10, v21, v12, -v10
	v_fmac_f32_e32 v11, v22, v12
	v_fmac_f32_e32 v29, v33, v12
	v_add_f32_e32 v26, v26, v28
	v_add_f32_e32 v19, v19, v10
	;; [unrolled: 1-line block ×3, first 2 shown]
	ds_read2_b64 v[10:13], v17 offset0:192 offset1:208
	v_add_f32_e32 v24, v24, v29
	s_waitcnt lgkmcnt(0)
	v_mul_f32_e32 v20, v3, v11
	v_fma_f32 v20, v2, v10, -v20
	v_mul_f32_e32 v21, v2, v11
	v_add_f32_e32 v14, v14, v20
	v_mul_f32_e32 v20, v3, v13
	v_fmac_f32_e32 v21, v3, v10
	v_fma_f32 v20, v2, v12, -v20
	v_mul_f32_e32 v2, v2, v13
	v_add_f32_e32 v29, v23, v21
	v_fmac_f32_e32 v2, v3, v12
	v_add_f32_e32 v3, v25, v20
	ds_read_b128 v[20:23], v18 offset:1072
	v_add_f32_e32 v2, v24, v2
	s_waitcnt lgkmcnt(0)
	v_mul_f32_e32 v24, v21, v11
	v_fma_f32 v24, v20, v10, -v24
	v_mul_f32_e32 v11, v20, v11
	v_fmac_f32_e32 v11, v21, v10
	v_add_f32_e32 v10, v26, v24
	v_mul_f32_e32 v24, v21, v13
	v_fma_f32 v24, v20, v12, -v24
	v_add_f32_e32 v11, v27, v11
	v_add_f32_e32 v30, v19, v24
	ds_read2_b64 v[24:27], v17 offset0:224 offset1:240
	v_mul_f32_e32 v13, v20, v13
	v_fmac_f32_e32 v13, v21, v12
	v_add_f32_e32 v28, v28, v13
	s_waitcnt lgkmcnt(0)
	v_mul_f32_e32 v12, v5, v25
	v_fma_f32 v12, v4, v24, -v12
	v_add_f32_e32 v14, v14, v12
	v_mul_f32_e32 v12, v5, v27
	v_mul_f32_e32 v13, v4, v25
	v_fma_f32 v12, v4, v26, -v12
	v_mul_f32_e32 v4, v4, v27
	v_fmac_f32_e32 v13, v5, v24
	v_fmac_f32_e32 v4, v5, v26
	v_add_f32_e32 v21, v29, v13
	v_add_f32_e32 v13, v3, v12
	;; [unrolled: 1-line block ×3, first 2 shown]
	v_mul_f32_e32 v2, v23, v25
	v_mul_f32_e32 v3, v22, v25
	v_fma_f32 v2, v22, v24, -v2
	v_fmac_f32_e32 v3, v23, v24
	v_add_f32_e32 v12, v10, v2
	v_add_f32_e32 v19, v11, v3
	v_mul_f32_e32 v2, v23, v27
	v_mul_f32_e32 v3, v22, v27
	v_fma_f32 v2, v22, v26, -v2
	v_fmac_f32_e32 v3, v23, v26
	v_add_f32_e32 v11, v30, v2
	v_add_f32_e32 v10, v28, v3
	v_mov_b32_e32 v2, s2
	v_mov_b32_e32 v3, s3
	v_cmp_le_u64_e32 vcc, s[0:1], v[2:3]
	s_barrier
	s_cbranch_vccz .LBB1709_2
	s_branch .LBB1709_4
.LBB1709_3:
	v_mov_b32_e32 v21, 0
	v_mov_b32_e32 v14, 0
	;; [unrolled: 1-line block ×8, first 2 shown]
.LBB1709_4:
	v_add_u32_e32 v4, s7, v1
	v_ashrrev_i32_e32 v1, 31, v4
	v_mul_lo_u32 v3, s14, v1
	v_mul_lo_u32 v5, s15, v4
	v_mad_u64_u32 v[1:2], s[0:1], s14, v4, 0
	s_load_dword s4, s[4:5], 0x0
	v_add_u32_e32 v0, s6, v0
	v_add3_u32 v2, v2, v3, v5
	v_lshlrev_b64 v[1:2], 3, v[1:2]
	s_waitcnt lgkmcnt(0)
	v_mov_b32_e32 v3, s9
	v_add_co_u32_e32 v5, vcc, s8, v1
	v_addc_co_u32_e32 v6, vcc, v3, v2, vcc
	v_cmp_le_i32_e64 s[0:1], v4, v0
	v_cmp_gt_i32_e32 vcc, s4, v0
	s_and_b64 s[0:1], s[0:1], vcc
	s_and_saveexec_b64 s[2:3], s[0:1]
	s_cbranch_execz .LBB1709_6
; %bb.5:
	v_ashrrev_i32_e32 v1, 31, v0
	v_lshlrev_b64 v[1:2], 3, v[0:1]
	v_add_co_u32_e64 v1, s[0:1], v5, v1
	v_addc_co_u32_e64 v2, s[0:1], v6, v2, s[0:1]
	v_cmp_ne_u32_e64 s[0:1], v4, v0
	v_cndmask_b32_e64 v15, 0, v21, s[0:1]
	flat_store_dwordx2 v[1:2], v[14:15]
.LBB1709_6:
	s_or_b64 exec, exec, s[2:3]
	v_add_u32_e32 v2, 16, v0
	v_cmp_le_i32_e64 s[2:3], v4, v2
	v_cmp_gt_i32_e64 s[0:1], s4, v2
	s_and_b64 s[2:3], s[2:3], s[0:1]
	s_and_saveexec_b64 s[4:5], s[2:3]
	s_cbranch_execz .LBB1709_8
; %bb.7:
	v_ashrrev_i32_e32 v3, 31, v2
	v_lshlrev_b64 v[7:8], 3, v[2:3]
	v_add_co_u32_e64 v5, s[2:3], v5, v7
	v_addc_co_u32_e64 v6, s[2:3], v6, v8, s[2:3]
	v_cmp_ne_u32_e64 s[2:3], v4, v2
	v_cndmask_b32_e64 v14, 0, v20, s[2:3]
	flat_store_dwordx2 v[5:6], v[13:14]
.LBB1709_8:
	s_or_b64 exec, exec, s[4:5]
	v_add_u32_e32 v3, 16, v4
	v_ashrrev_i32_e32 v1, 31, v3
	v_mul_lo_u32 v7, s15, v3
	v_mad_u64_u32 v[5:6], s[2:3], s14, v3, 0
	v_mul_lo_u32 v1, s14, v1
	v_add3_u32 v6, v6, v1, v7
	v_lshlrev_b64 v[5:6], 3, v[5:6]
	v_mov_b32_e32 v1, s9
	v_add_co_u32_e64 v5, s[2:3], s8, v5
	v_addc_co_u32_e64 v6, s[2:3], v1, v6, s[2:3]
	v_cmp_le_i32_e64 s[2:3], v3, v0
	s_and_b64 s[4:5], s[2:3], vcc
	s_and_saveexec_b64 s[2:3], s[4:5]
	s_cbranch_execz .LBB1709_10
; %bb.9:
	v_ashrrev_i32_e32 v1, 31, v0
	v_lshlrev_b64 v[7:8], 3, v[0:1]
	v_add_co_u32_e32 v7, vcc, v5, v7
	v_addc_co_u32_e32 v8, vcc, v6, v8, vcc
	v_cmp_ne_u32_e32 vcc, v3, v0
	v_cndmask_b32_e32 v13, 0, v19, vcc
	flat_store_dwordx2 v[7:8], v[12:13]
.LBB1709_10:
	s_or_b64 exec, exec, s[2:3]
	v_cmp_le_i32_e32 vcc, v3, v2
	s_and_b64 s[0:1], vcc, s[0:1]
	s_and_saveexec_b64 s[2:3], s[0:1]
	s_cbranch_execz .LBB1709_12
; %bb.11:
	v_ashrrev_i32_e32 v3, 31, v2
	v_lshlrev_b64 v[1:2], 3, v[2:3]
	v_add_co_u32_e32 v1, vcc, v5, v1
	v_addc_co_u32_e32 v2, vcc, v6, v2, vcc
	v_cmp_ne_u32_e32 vcc, v4, v0
	v_cndmask_b32_e32 v12, 0, v10, vcc
	flat_store_dwordx2 v[1:2], v[11:12]
.LBB1709_12:
	s_endpgm
	.section	.rodata,"a",@progbits
	.p2align	6, 0x0
	.amdhsa_kernel _ZL37rocblas_syrkx_herkx_restricted_kernelIl19rocblas_complex_numIfELi16ELi32ELi8ELi1ELi0ELb1ELc67ELc76EKPKS1_KPS1_EviT_PT9_S7_lS9_S7_lPT10_S7_li
		.amdhsa_group_segment_fixed_size 4096
		.amdhsa_private_segment_fixed_size 0
		.amdhsa_kernarg_size 92
		.amdhsa_user_sgpr_count 6
		.amdhsa_user_sgpr_private_segment_buffer 1
		.amdhsa_user_sgpr_dispatch_ptr 0
		.amdhsa_user_sgpr_queue_ptr 0
		.amdhsa_user_sgpr_kernarg_segment_ptr 1
		.amdhsa_user_sgpr_dispatch_id 0
		.amdhsa_user_sgpr_flat_scratch_init 0
		.amdhsa_user_sgpr_private_segment_size 0
		.amdhsa_uses_dynamic_stack 0
		.amdhsa_system_sgpr_private_segment_wavefront_offset 0
		.amdhsa_system_sgpr_workgroup_id_x 1
		.amdhsa_system_sgpr_workgroup_id_y 1
		.amdhsa_system_sgpr_workgroup_id_z 1
		.amdhsa_system_sgpr_workgroup_info 0
		.amdhsa_system_vgpr_workitem_id 1
		.amdhsa_next_free_vgpr 41
		.amdhsa_next_free_sgpr 20
		.amdhsa_reserve_vcc 1
		.amdhsa_reserve_flat_scratch 0
		.amdhsa_float_round_mode_32 0
		.amdhsa_float_round_mode_16_64 0
		.amdhsa_float_denorm_mode_32 3
		.amdhsa_float_denorm_mode_16_64 3
		.amdhsa_dx10_clamp 1
		.amdhsa_ieee_mode 1
		.amdhsa_fp16_overflow 0
		.amdhsa_exception_fp_ieee_invalid_op 0
		.amdhsa_exception_fp_denorm_src 0
		.amdhsa_exception_fp_ieee_div_zero 0
		.amdhsa_exception_fp_ieee_overflow 0
		.amdhsa_exception_fp_ieee_underflow 0
		.amdhsa_exception_fp_ieee_inexact 0
		.amdhsa_exception_int_div_zero 0
	.end_amdhsa_kernel
	.section	.text._ZL37rocblas_syrkx_herkx_restricted_kernelIl19rocblas_complex_numIfELi16ELi32ELi8ELi1ELi0ELb1ELc67ELc76EKPKS1_KPS1_EviT_PT9_S7_lS9_S7_lPT10_S7_li,"axG",@progbits,_ZL37rocblas_syrkx_herkx_restricted_kernelIl19rocblas_complex_numIfELi16ELi32ELi8ELi1ELi0ELb1ELc67ELc76EKPKS1_KPS1_EviT_PT9_S7_lS9_S7_lPT10_S7_li,comdat
.Lfunc_end1709:
	.size	_ZL37rocblas_syrkx_herkx_restricted_kernelIl19rocblas_complex_numIfELi16ELi32ELi8ELi1ELi0ELb1ELc67ELc76EKPKS1_KPS1_EviT_PT9_S7_lS9_S7_lPT10_S7_li, .Lfunc_end1709-_ZL37rocblas_syrkx_herkx_restricted_kernelIl19rocblas_complex_numIfELi16ELi32ELi8ELi1ELi0ELb1ELc67ELc76EKPKS1_KPS1_EviT_PT9_S7_lS9_S7_lPT10_S7_li
                                        ; -- End function
	.set _ZL37rocblas_syrkx_herkx_restricted_kernelIl19rocblas_complex_numIfELi16ELi32ELi8ELi1ELi0ELb1ELc67ELc76EKPKS1_KPS1_EviT_PT9_S7_lS9_S7_lPT10_S7_li.num_vgpr, 41
	.set _ZL37rocblas_syrkx_herkx_restricted_kernelIl19rocblas_complex_numIfELi16ELi32ELi8ELi1ELi0ELb1ELc67ELc76EKPKS1_KPS1_EviT_PT9_S7_lS9_S7_lPT10_S7_li.num_agpr, 0
	.set _ZL37rocblas_syrkx_herkx_restricted_kernelIl19rocblas_complex_numIfELi16ELi32ELi8ELi1ELi0ELb1ELc67ELc76EKPKS1_KPS1_EviT_PT9_S7_lS9_S7_lPT10_S7_li.numbered_sgpr, 20
	.set _ZL37rocblas_syrkx_herkx_restricted_kernelIl19rocblas_complex_numIfELi16ELi32ELi8ELi1ELi0ELb1ELc67ELc76EKPKS1_KPS1_EviT_PT9_S7_lS9_S7_lPT10_S7_li.num_named_barrier, 0
	.set _ZL37rocblas_syrkx_herkx_restricted_kernelIl19rocblas_complex_numIfELi16ELi32ELi8ELi1ELi0ELb1ELc67ELc76EKPKS1_KPS1_EviT_PT9_S7_lS9_S7_lPT10_S7_li.private_seg_size, 0
	.set _ZL37rocblas_syrkx_herkx_restricted_kernelIl19rocblas_complex_numIfELi16ELi32ELi8ELi1ELi0ELb1ELc67ELc76EKPKS1_KPS1_EviT_PT9_S7_lS9_S7_lPT10_S7_li.uses_vcc, 1
	.set _ZL37rocblas_syrkx_herkx_restricted_kernelIl19rocblas_complex_numIfELi16ELi32ELi8ELi1ELi0ELb1ELc67ELc76EKPKS1_KPS1_EviT_PT9_S7_lS9_S7_lPT10_S7_li.uses_flat_scratch, 0
	.set _ZL37rocblas_syrkx_herkx_restricted_kernelIl19rocblas_complex_numIfELi16ELi32ELi8ELi1ELi0ELb1ELc67ELc76EKPKS1_KPS1_EviT_PT9_S7_lS9_S7_lPT10_S7_li.has_dyn_sized_stack, 0
	.set _ZL37rocblas_syrkx_herkx_restricted_kernelIl19rocblas_complex_numIfELi16ELi32ELi8ELi1ELi0ELb1ELc67ELc76EKPKS1_KPS1_EviT_PT9_S7_lS9_S7_lPT10_S7_li.has_recursion, 0
	.set _ZL37rocblas_syrkx_herkx_restricted_kernelIl19rocblas_complex_numIfELi16ELi32ELi8ELi1ELi0ELb1ELc67ELc76EKPKS1_KPS1_EviT_PT9_S7_lS9_S7_lPT10_S7_li.has_indirect_call, 0
	.section	.AMDGPU.csdata,"",@progbits
; Kernel info:
; codeLenInByte = 1996
; TotalNumSgprs: 24
; NumVgprs: 41
; ScratchSize: 0
; MemoryBound: 0
; FloatMode: 240
; IeeeMode: 1
; LDSByteSize: 4096 bytes/workgroup (compile time only)
; SGPRBlocks: 2
; VGPRBlocks: 10
; NumSGPRsForWavesPerEU: 24
; NumVGPRsForWavesPerEU: 41
; Occupancy: 5
; WaveLimiterHint : 1
; COMPUTE_PGM_RSRC2:SCRATCH_EN: 0
; COMPUTE_PGM_RSRC2:USER_SGPR: 6
; COMPUTE_PGM_RSRC2:TRAP_HANDLER: 0
; COMPUTE_PGM_RSRC2:TGID_X_EN: 1
; COMPUTE_PGM_RSRC2:TGID_Y_EN: 1
; COMPUTE_PGM_RSRC2:TGID_Z_EN: 1
; COMPUTE_PGM_RSRC2:TIDIG_COMP_CNT: 1
	.section	.text._ZL37rocblas_syrkx_herkx_restricted_kernelIl19rocblas_complex_numIfELi16ELi32ELi8ELi1ELi0ELb1ELc78ELc76EKPKS1_KPS1_EviT_PT9_S7_lS9_S7_lPT10_S7_li,"axG",@progbits,_ZL37rocblas_syrkx_herkx_restricted_kernelIl19rocblas_complex_numIfELi16ELi32ELi8ELi1ELi0ELb1ELc78ELc76EKPKS1_KPS1_EviT_PT9_S7_lS9_S7_lPT10_S7_li,comdat
	.globl	_ZL37rocblas_syrkx_herkx_restricted_kernelIl19rocblas_complex_numIfELi16ELi32ELi8ELi1ELi0ELb1ELc78ELc76EKPKS1_KPS1_EviT_PT9_S7_lS9_S7_lPT10_S7_li ; -- Begin function _ZL37rocblas_syrkx_herkx_restricted_kernelIl19rocblas_complex_numIfELi16ELi32ELi8ELi1ELi0ELb1ELc78ELc76EKPKS1_KPS1_EviT_PT9_S7_lS9_S7_lPT10_S7_li
	.p2align	8
	.type	_ZL37rocblas_syrkx_herkx_restricted_kernelIl19rocblas_complex_numIfELi16ELi32ELi8ELi1ELi0ELb1ELc78ELc76EKPKS1_KPS1_EviT_PT9_S7_lS9_S7_lPT10_S7_li,@function
_ZL37rocblas_syrkx_herkx_restricted_kernelIl19rocblas_complex_numIfELi16ELi32ELi8ELi1ELi0ELb1ELc78ELc76EKPKS1_KPS1_EviT_PT9_S7_lS9_S7_lPT10_S7_li: ; @_ZL37rocblas_syrkx_herkx_restricted_kernelIl19rocblas_complex_numIfELi16ELi32ELi8ELi1ELi0ELb1ELc78ELc76EKPKS1_KPS1_EviT_PT9_S7_lS9_S7_lPT10_S7_li
; %bb.0:
	s_load_dwordx4 s[12:15], s[4:5], 0x40
	s_load_dwordx4 s[0:3], s[4:5], 0x8
	s_mov_b32 s9, 0
	s_lshl_b64 s[16:17], s[8:9], 3
	s_waitcnt lgkmcnt(0)
	s_add_u32 s8, s12, s16
	s_addc_u32 s9, s13, s17
	s_load_dwordx2 s[12:13], s[8:9], 0x0
	v_cmp_lt_i64_e64 s[8:9], s[0:1], 1
	s_lshl_b32 s18, s6, 5
	s_lshl_b32 s19, s7, 5
	s_and_b64 vcc, exec, s[8:9]
	s_cbranch_vccnz .LBB1710_3
; %bb.1:
	s_load_dwordx2 s[6:7], s[4:5], 0x18
	s_load_dwordx4 s[8:11], s[4:5], 0x28
	v_lshl_add_u32 v5, v1, 4, v0
	v_lshrrev_b32_e32 v7, 3, v5
	v_add_u32_e32 v2, s19, v7
	v_and_b32_e32 v6, 7, v0
	v_ashrrev_i32_e32 v3, 31, v2
	s_waitcnt lgkmcnt(0)
	v_mad_u64_u32 v[2:3], s[20:21], s10, v6, v[2:3]
	s_add_u32 s2, s2, s16
	s_addc_u32 s3, s3, s17
	v_mad_u64_u32 v[3:4], s[20:21], s11, v6, v[3:4]
	v_and_b32_e32 v4, 31, v5
	v_lshrrev_b32_e32 v8, 5, v5
	v_lshlrev_b32_e32 v5, 3, v4
	v_add_u32_e32 v4, s18, v4
	s_add_u32 s8, s8, s16
	v_lshl_or_b32 v14, v8, 8, v5
	v_ashrrev_i32_e32 v5, 31, v4
	s_addc_u32 s9, s9, s17
	v_mad_u64_u32 v[4:5], s[16:17], s6, v8, v[4:5]
	v_lshlrev_b32_e32 v6, 3, v6
	v_lshl_or_b32 v6, v7, 6, v6
	v_add_u32_e32 v15, 0x800, v6
	v_mad_u64_u32 v[5:6], s[16:17], s7, v8, v[5:6]
	s_load_dwordx2 s[2:3], s[2:3], 0x0
	v_mov_b32_e32 v6, 0x800
	s_load_dwordx2 s[8:9], s[8:9], 0x0
	v_lshlrev_b64 v[4:5], 3, v[4:5]
	v_lshl_add_u32 v17, v1, 6, v6
	s_waitcnt lgkmcnt(0)
	v_mov_b32_e32 v7, s3
	v_add_co_u32_e32 v6, vcc, s2, v4
	v_lshlrev_b64 v[2:3], 3, v[2:3]
	v_addc_co_u32_e32 v7, vcc, v7, v5, vcc
	s_lshl_b64 s[2:3], s[6:7], 6
	v_mov_b32_e32 v4, s9
	v_add_co_u32_e32 v8, vcc, s8, v2
	s_lshl_b64 s[6:7], s[10:11], 6
	v_lshlrev_b32_e32 v16, 3, v0
	v_addc_co_u32_e32 v9, vcc, v4, v3, vcc
	v_mov_b32_e32 v20, 0
	s_mov_b64 s[8:9], 0
	v_mov_b32_e32 v18, s3
	v_mov_b32_e32 v19, s7
	;; [unrolled: 1-line block ×9, first 2 shown]
.LBB1710_2:                             ; =>This Inner Loop Header: Depth=1
	flat_load_dwordx2 v[2:3], v[6:7]
	v_add_co_u32_e32 v6, vcc, s2, v6
	s_add_u32 s8, s8, 8
	v_addc_co_u32_e32 v7, vcc, v7, v18, vcc
	s_addc_u32 s9, s9, 0
	s_waitcnt vmcnt(0) lgkmcnt(0)
	ds_write_b64 v14, v[2:3]
	flat_load_dwordx2 v[2:3], v[8:9]
	v_add_co_u32_e32 v8, vcc, s6, v8
	v_addc_co_u32_e32 v9, vcc, v9, v19, vcc
	s_waitcnt vmcnt(0) lgkmcnt(0)
	v_xor_b32_e32 v3, 0x80000000, v3
	ds_write_b64 v15, v[2:3]
	s_waitcnt lgkmcnt(0)
	s_barrier
	ds_read_b128 v[24:27], v17
	ds_read_b128 v[28:31], v17 offset:16
	ds_read_b128 v[32:35], v17 offset:32
	;; [unrolled: 1-line block ×3, first 2 shown]
	ds_read2_b64 v[36:39], v16 offset1:16
	s_waitcnt lgkmcnt(0)
	v_mul_f32_e32 v41, v24, v37
	v_mul_f32_e32 v40, v25, v37
	v_fmac_f32_e32 v41, v25, v36
	v_fma_f32 v40, v24, v36, -v40
	v_add_f32_e32 v41, v23, v41
	v_mul_f32_e32 v23, v24, v39
	v_add_f32_e32 v40, v13, v40
	v_mul_f32_e32 v13, v25, v39
	v_fmac_f32_e32 v23, v25, v38
	v_fma_f32 v13, v24, v38, -v13
	v_add_f32_e32 v43, v22, v23
	ds_read_b128 v[22:25], v17 offset:1024
	v_add_f32_e32 v42, v12, v13
	s_waitcnt lgkmcnt(0)
	v_mul_f32_e32 v12, v23, v37
	v_fma_f32 v12, v22, v36, -v12
	v_mul_f32_e32 v13, v22, v37
	v_fmac_f32_e32 v13, v23, v36
	v_add_f32_e32 v36, v11, v12
	v_mul_f32_e32 v11, v23, v39
	v_mul_f32_e32 v12, v22, v39
	v_fma_f32 v11, v22, v38, -v11
	v_fmac_f32_e32 v12, v23, v38
	v_add_f32_e32 v21, v21, v13
	v_add_f32_e32 v22, v10, v11
	;; [unrolled: 1-line block ×3, first 2 shown]
	ds_read2_b64 v[10:13], v16 offset0:32 offset1:48
	s_waitcnt lgkmcnt(0)
	v_mul_f32_e32 v23, v27, v11
	v_mul_f32_e32 v38, v27, v13
	v_fma_f32 v23, v26, v10, -v23
	v_mul_f32_e32 v37, v26, v11
	v_fma_f32 v38, v26, v12, -v38
	v_mul_f32_e32 v26, v26, v13
	v_fmac_f32_e32 v37, v27, v10
	v_fmac_f32_e32 v26, v27, v12
	v_add_f32_e32 v27, v42, v38
	v_mul_f32_e32 v38, v25, v11
	v_mul_f32_e32 v11, v24, v11
	v_fma_f32 v38, v24, v10, -v38
	v_fmac_f32_e32 v11, v25, v10
	v_add_f32_e32 v36, v36, v38
	v_add_f32_e32 v38, v21, v11
	v_mul_f32_e32 v10, v25, v13
	v_mul_f32_e32 v11, v24, v13
	v_fma_f32 v10, v24, v12, -v10
	v_fmac_f32_e32 v11, v25, v12
	v_add_f32_e32 v24, v22, v10
	v_add_f32_e32 v25, v20, v11
	ds_read2_b64 v[10:13], v16 offset0:64 offset1:80
	v_add_f32_e32 v23, v40, v23
	v_add_f32_e32 v37, v41, v37
	v_add_f32_e32 v26, v43, v26
	s_waitcnt lgkmcnt(0)
	v_mul_f32_e32 v20, v29, v11
	v_mul_f32_e32 v21, v28, v11
	v_fma_f32 v20, v28, v10, -v20
	v_fmac_f32_e32 v21, v29, v10
	v_add_f32_e32 v39, v23, v20
	v_add_f32_e32 v37, v37, v21
	v_mul_f32_e32 v20, v29, v13
	v_mul_f32_e32 v21, v28, v13
	v_fma_f32 v20, v28, v12, -v20
	v_fmac_f32_e32 v21, v29, v12
	v_add_f32_e32 v27, v27, v20
	v_add_f32_e32 v26, v26, v21
	ds_read_b128 v[20:23], v17 offset:1040
	s_waitcnt lgkmcnt(0)
	v_mul_f32_e32 v28, v21, v11
	v_mul_f32_e32 v11, v20, v11
	v_fmac_f32_e32 v11, v21, v10
	v_fma_f32 v28, v20, v10, -v28
	v_add_f32_e32 v29, v38, v11
	v_mul_f32_e32 v10, v21, v13
	v_mul_f32_e32 v11, v20, v13
	v_fma_f32 v10, v20, v12, -v10
	v_fmac_f32_e32 v11, v21, v12
	v_add_f32_e32 v20, v24, v10
	v_add_f32_e32 v21, v25, v11
	ds_read2_b64 v[10:13], v16 offset0:96 offset1:112
	v_add_f32_e32 v28, v36, v28
	s_waitcnt lgkmcnt(0)
	v_mul_f32_e32 v24, v31, v11
	v_mul_f32_e32 v36, v31, v13
	v_fma_f32 v24, v30, v10, -v24
	v_mul_f32_e32 v25, v30, v11
	v_fma_f32 v36, v30, v12, -v36
	v_mul_f32_e32 v30, v30, v13
	v_fmac_f32_e32 v30, v31, v12
	v_add_f32_e32 v26, v26, v30
	v_mul_f32_e32 v30, v23, v11
	v_mul_f32_e32 v11, v22, v11
	v_fmac_f32_e32 v11, v23, v10
	v_fmac_f32_e32 v25, v31, v10
	v_fma_f32 v30, v22, v10, -v30
	v_add_f32_e32 v29, v29, v11
	v_mul_f32_e32 v10, v23, v13
	v_mul_f32_e32 v11, v22, v13
	v_fma_f32 v10, v22, v12, -v10
	v_fmac_f32_e32 v11, v23, v12
	v_add_f32_e32 v28, v28, v30
	v_add_f32_e32 v30, v20, v10
	;; [unrolled: 1-line block ×3, first 2 shown]
	ds_read2_b64 v[10:13], v16 offset0:128 offset1:144
	v_add_f32_e32 v24, v39, v24
	v_add_f32_e32 v25, v37, v25
	;; [unrolled: 1-line block ×3, first 2 shown]
	s_waitcnt lgkmcnt(0)
	v_mul_f32_e32 v20, v33, v11
	v_mul_f32_e32 v21, v32, v11
	v_fma_f32 v20, v32, v10, -v20
	v_fmac_f32_e32 v21, v33, v10
	v_add_f32_e32 v24, v24, v20
	v_add_f32_e32 v25, v25, v21
	v_mul_f32_e32 v20, v33, v13
	v_mul_f32_e32 v21, v32, v13
	v_fma_f32 v20, v32, v12, -v20
	v_fmac_f32_e32 v21, v33, v12
	v_add_f32_e32 v27, v27, v20
	v_add_f32_e32 v26, v26, v21
	ds_read_b128 v[20:23], v17 offset:1056
	s_waitcnt lgkmcnt(0)
	v_mul_f32_e32 v32, v21, v11
	v_mul_f32_e32 v11, v20, v11
	v_fmac_f32_e32 v11, v21, v10
	v_fma_f32 v32, v20, v10, -v32
	v_add_f32_e32 v29, v29, v11
	v_mul_f32_e32 v10, v21, v13
	v_mul_f32_e32 v11, v20, v13
	v_fma_f32 v10, v20, v12, -v10
	v_fmac_f32_e32 v11, v21, v12
	v_add_f32_e32 v20, v30, v10
	v_add_f32_e32 v21, v31, v11
	ds_read2_b64 v[10:13], v16 offset0:160 offset1:176
	v_add_f32_e32 v28, v28, v32
	s_waitcnt lgkmcnt(0)
	v_mul_f32_e32 v30, v35, v11
	v_fma_f32 v30, v34, v10, -v30
	v_add_f32_e32 v24, v24, v30
	v_mul_f32_e32 v30, v35, v13
	v_fma_f32 v30, v34, v12, -v30
	v_mul_f32_e32 v31, v34, v11
	v_add_f32_e32 v27, v27, v30
	v_mul_f32_e32 v30, v23, v11
	v_mul_f32_e32 v11, v22, v11
	v_fmac_f32_e32 v11, v23, v10
	v_fmac_f32_e32 v31, v35, v10
	v_fma_f32 v30, v22, v10, -v30
	v_add_f32_e32 v29, v29, v11
	v_mul_f32_e32 v10, v23, v13
	v_mul_f32_e32 v11, v22, v13
	v_add_f32_e32 v25, v25, v31
	v_mul_f32_e32 v31, v34, v13
	v_fma_f32 v10, v22, v12, -v10
	v_fmac_f32_e32 v11, v23, v12
	v_fmac_f32_e32 v31, v35, v12
	v_add_f32_e32 v20, v20, v10
	v_add_f32_e32 v21, v21, v11
	ds_read2_b64 v[10:13], v16 offset0:192 offset1:208
	v_add_f32_e32 v28, v28, v30
	v_add_f32_e32 v26, v26, v31
	s_waitcnt lgkmcnt(0)
	v_mul_f32_e32 v22, v3, v11
	v_fma_f32 v22, v2, v10, -v22
	v_mul_f32_e32 v23, v2, v11
	v_add_f32_e32 v30, v24, v22
	v_mul_f32_e32 v22, v3, v13
	v_fmac_f32_e32 v23, v3, v10
	v_fma_f32 v22, v2, v12, -v22
	v_mul_f32_e32 v2, v2, v13
	v_add_f32_e32 v31, v25, v23
	v_fmac_f32_e32 v2, v3, v12
	v_add_f32_e32 v3, v27, v22
	ds_read_b128 v[22:25], v17 offset:1072
	v_add_f32_e32 v2, v26, v2
	s_waitcnt lgkmcnt(0)
	v_mul_f32_e32 v26, v23, v11
	v_mul_f32_e32 v11, v22, v11
	v_fma_f32 v26, v22, v10, -v26
	v_fmac_f32_e32 v11, v23, v10
	v_add_f32_e32 v10, v28, v26
	v_add_f32_e32 v32, v29, v11
	ds_read2_b64 v[26:29], v16 offset0:224 offset1:240
	v_mul_f32_e32 v11, v23, v13
	v_fma_f32 v11, v22, v12, -v11
	v_mul_f32_e32 v13, v22, v13
	v_add_f32_e32 v20, v20, v11
	s_waitcnt lgkmcnt(0)
	v_mul_f32_e32 v11, v5, v27
	v_fmac_f32_e32 v13, v23, v12
	v_fma_f32 v11, v4, v26, -v11
	v_add_f32_e32 v33, v21, v13
	v_add_f32_e32 v13, v30, v11
	v_mul_f32_e32 v11, v5, v29
	v_mul_f32_e32 v12, v4, v27
	v_fma_f32 v11, v4, v28, -v11
	v_mul_f32_e32 v4, v4, v29
	v_fmac_f32_e32 v12, v5, v26
	v_fmac_f32_e32 v4, v5, v28
	v_add_f32_e32 v23, v31, v12
	v_add_f32_e32 v12, v3, v11
	;; [unrolled: 1-line block ×3, first 2 shown]
	v_mul_f32_e32 v2, v25, v27
	v_mul_f32_e32 v3, v24, v27
	v_fma_f32 v2, v24, v26, -v2
	v_fmac_f32_e32 v3, v25, v26
	v_add_f32_e32 v11, v10, v2
	v_add_f32_e32 v21, v32, v3
	v_mul_f32_e32 v2, v25, v29
	v_mul_f32_e32 v3, v24, v29
	v_fma_f32 v2, v24, v28, -v2
	v_fmac_f32_e32 v3, v25, v28
	v_add_f32_e32 v10, v20, v2
	v_add_f32_e32 v20, v33, v3
	v_mov_b32_e32 v2, s8
	v_mov_b32_e32 v3, s9
	v_cmp_le_u64_e32 vcc, s[0:1], v[2:3]
	s_barrier
	s_cbranch_vccz .LBB1710_2
	s_branch .LBB1710_4
.LBB1710_3:
	v_mov_b32_e32 v23, 0
	v_mov_b32_e32 v13, 0
	;; [unrolled: 1-line block ×8, first 2 shown]
.LBB1710_4:
	v_add_u32_e32 v4, s19, v1
	v_ashrrev_i32_e32 v1, 31, v4
	v_mul_lo_u32 v3, s14, v1
	v_mul_lo_u32 v5, s15, v4
	v_mad_u64_u32 v[1:2], s[0:1], s14, v4, 0
	s_load_dword s4, s[4:5], 0x0
	v_add_u32_e32 v0, s18, v0
	v_add3_u32 v2, v2, v3, v5
	v_lshlrev_b64 v[1:2], 3, v[1:2]
	s_waitcnt lgkmcnt(0)
	v_mov_b32_e32 v3, s13
	v_add_co_u32_e32 v5, vcc, s12, v1
	v_addc_co_u32_e32 v6, vcc, v3, v2, vcc
	v_cmp_le_i32_e64 s[0:1], v4, v0
	v_cmp_gt_i32_e32 vcc, s4, v0
	s_and_b64 s[0:1], s[0:1], vcc
	s_and_saveexec_b64 s[2:3], s[0:1]
	s_cbranch_execz .LBB1710_6
; %bb.5:
	v_ashrrev_i32_e32 v1, 31, v0
	v_lshlrev_b64 v[1:2], 3, v[0:1]
	v_add_co_u32_e64 v1, s[0:1], v5, v1
	v_addc_co_u32_e64 v2, s[0:1], v6, v2, s[0:1]
	v_cmp_ne_u32_e64 s[0:1], v4, v0
	v_cndmask_b32_e64 v14, 0, v23, s[0:1]
	flat_store_dwordx2 v[1:2], v[13:14]
.LBB1710_6:
	s_or_b64 exec, exec, s[2:3]
	v_add_u32_e32 v2, 16, v0
	v_cmp_le_i32_e64 s[2:3], v4, v2
	v_cmp_gt_i32_e64 s[0:1], s4, v2
	s_and_b64 s[2:3], s[2:3], s[0:1]
	s_and_saveexec_b64 s[4:5], s[2:3]
	s_cbranch_execz .LBB1710_8
; %bb.7:
	v_ashrrev_i32_e32 v3, 31, v2
	v_lshlrev_b64 v[7:8], 3, v[2:3]
	v_add_co_u32_e64 v5, s[2:3], v5, v7
	v_addc_co_u32_e64 v6, s[2:3], v6, v8, s[2:3]
	v_cmp_ne_u32_e64 s[2:3], v4, v2
	v_cndmask_b32_e64 v13, 0, v22, s[2:3]
	flat_store_dwordx2 v[5:6], v[12:13]
.LBB1710_8:
	s_or_b64 exec, exec, s[4:5]
	v_add_u32_e32 v3, 16, v4
	v_ashrrev_i32_e32 v1, 31, v3
	v_mul_lo_u32 v7, s15, v3
	v_mad_u64_u32 v[5:6], s[2:3], s14, v3, 0
	v_mul_lo_u32 v1, s14, v1
	v_add3_u32 v6, v6, v1, v7
	v_lshlrev_b64 v[5:6], 3, v[5:6]
	v_mov_b32_e32 v1, s13
	v_add_co_u32_e64 v5, s[2:3], s12, v5
	v_addc_co_u32_e64 v6, s[2:3], v1, v6, s[2:3]
	v_cmp_le_i32_e64 s[2:3], v3, v0
	s_and_b64 s[4:5], s[2:3], vcc
	s_and_saveexec_b64 s[2:3], s[4:5]
	s_cbranch_execz .LBB1710_10
; %bb.9:
	v_ashrrev_i32_e32 v1, 31, v0
	v_lshlrev_b64 v[7:8], 3, v[0:1]
	v_add_co_u32_e32 v7, vcc, v5, v7
	v_addc_co_u32_e32 v8, vcc, v6, v8, vcc
	v_cmp_ne_u32_e32 vcc, v3, v0
	v_cndmask_b32_e32 v12, 0, v21, vcc
	flat_store_dwordx2 v[7:8], v[11:12]
.LBB1710_10:
	s_or_b64 exec, exec, s[2:3]
	v_cmp_le_i32_e32 vcc, v3, v2
	s_and_b64 s[0:1], vcc, s[0:1]
	s_and_saveexec_b64 s[2:3], s[0:1]
	s_cbranch_execz .LBB1710_12
; %bb.11:
	v_ashrrev_i32_e32 v3, 31, v2
	v_lshlrev_b64 v[1:2], 3, v[2:3]
	v_add_co_u32_e32 v1, vcc, v5, v1
	v_addc_co_u32_e32 v2, vcc, v6, v2, vcc
	v_cmp_ne_u32_e32 vcc, v4, v0
	v_cndmask_b32_e32 v11, 0, v20, vcc
	flat_store_dwordx2 v[1:2], v[10:11]
.LBB1710_12:
	s_endpgm
	.section	.rodata,"a",@progbits
	.p2align	6, 0x0
	.amdhsa_kernel _ZL37rocblas_syrkx_herkx_restricted_kernelIl19rocblas_complex_numIfELi16ELi32ELi8ELi1ELi0ELb1ELc78ELc76EKPKS1_KPS1_EviT_PT9_S7_lS9_S7_lPT10_S7_li
		.amdhsa_group_segment_fixed_size 4096
		.amdhsa_private_segment_fixed_size 0
		.amdhsa_kernarg_size 92
		.amdhsa_user_sgpr_count 6
		.amdhsa_user_sgpr_private_segment_buffer 1
		.amdhsa_user_sgpr_dispatch_ptr 0
		.amdhsa_user_sgpr_queue_ptr 0
		.amdhsa_user_sgpr_kernarg_segment_ptr 1
		.amdhsa_user_sgpr_dispatch_id 0
		.amdhsa_user_sgpr_flat_scratch_init 0
		.amdhsa_user_sgpr_private_segment_size 0
		.amdhsa_uses_dynamic_stack 0
		.amdhsa_system_sgpr_private_segment_wavefront_offset 0
		.amdhsa_system_sgpr_workgroup_id_x 1
		.amdhsa_system_sgpr_workgroup_id_y 1
		.amdhsa_system_sgpr_workgroup_id_z 1
		.amdhsa_system_sgpr_workgroup_info 0
		.amdhsa_system_vgpr_workitem_id 1
		.amdhsa_next_free_vgpr 44
		.amdhsa_next_free_sgpr 22
		.amdhsa_reserve_vcc 1
		.amdhsa_reserve_flat_scratch 0
		.amdhsa_float_round_mode_32 0
		.amdhsa_float_round_mode_16_64 0
		.amdhsa_float_denorm_mode_32 3
		.amdhsa_float_denorm_mode_16_64 3
		.amdhsa_dx10_clamp 1
		.amdhsa_ieee_mode 1
		.amdhsa_fp16_overflow 0
		.amdhsa_exception_fp_ieee_invalid_op 0
		.amdhsa_exception_fp_denorm_src 0
		.amdhsa_exception_fp_ieee_div_zero 0
		.amdhsa_exception_fp_ieee_overflow 0
		.amdhsa_exception_fp_ieee_underflow 0
		.amdhsa_exception_fp_ieee_inexact 0
		.amdhsa_exception_int_div_zero 0
	.end_amdhsa_kernel
	.section	.text._ZL37rocblas_syrkx_herkx_restricted_kernelIl19rocblas_complex_numIfELi16ELi32ELi8ELi1ELi0ELb1ELc78ELc76EKPKS1_KPS1_EviT_PT9_S7_lS9_S7_lPT10_S7_li,"axG",@progbits,_ZL37rocblas_syrkx_herkx_restricted_kernelIl19rocblas_complex_numIfELi16ELi32ELi8ELi1ELi0ELb1ELc78ELc76EKPKS1_KPS1_EviT_PT9_S7_lS9_S7_lPT10_S7_li,comdat
.Lfunc_end1710:
	.size	_ZL37rocblas_syrkx_herkx_restricted_kernelIl19rocblas_complex_numIfELi16ELi32ELi8ELi1ELi0ELb1ELc78ELc76EKPKS1_KPS1_EviT_PT9_S7_lS9_S7_lPT10_S7_li, .Lfunc_end1710-_ZL37rocblas_syrkx_herkx_restricted_kernelIl19rocblas_complex_numIfELi16ELi32ELi8ELi1ELi0ELb1ELc78ELc76EKPKS1_KPS1_EviT_PT9_S7_lS9_S7_lPT10_S7_li
                                        ; -- End function
	.set _ZL37rocblas_syrkx_herkx_restricted_kernelIl19rocblas_complex_numIfELi16ELi32ELi8ELi1ELi0ELb1ELc78ELc76EKPKS1_KPS1_EviT_PT9_S7_lS9_S7_lPT10_S7_li.num_vgpr, 44
	.set _ZL37rocblas_syrkx_herkx_restricted_kernelIl19rocblas_complex_numIfELi16ELi32ELi8ELi1ELi0ELb1ELc78ELc76EKPKS1_KPS1_EviT_PT9_S7_lS9_S7_lPT10_S7_li.num_agpr, 0
	.set _ZL37rocblas_syrkx_herkx_restricted_kernelIl19rocblas_complex_numIfELi16ELi32ELi8ELi1ELi0ELb1ELc78ELc76EKPKS1_KPS1_EviT_PT9_S7_lS9_S7_lPT10_S7_li.numbered_sgpr, 22
	.set _ZL37rocblas_syrkx_herkx_restricted_kernelIl19rocblas_complex_numIfELi16ELi32ELi8ELi1ELi0ELb1ELc78ELc76EKPKS1_KPS1_EviT_PT9_S7_lS9_S7_lPT10_S7_li.num_named_barrier, 0
	.set _ZL37rocblas_syrkx_herkx_restricted_kernelIl19rocblas_complex_numIfELi16ELi32ELi8ELi1ELi0ELb1ELc78ELc76EKPKS1_KPS1_EviT_PT9_S7_lS9_S7_lPT10_S7_li.private_seg_size, 0
	.set _ZL37rocblas_syrkx_herkx_restricted_kernelIl19rocblas_complex_numIfELi16ELi32ELi8ELi1ELi0ELb1ELc78ELc76EKPKS1_KPS1_EviT_PT9_S7_lS9_S7_lPT10_S7_li.uses_vcc, 1
	.set _ZL37rocblas_syrkx_herkx_restricted_kernelIl19rocblas_complex_numIfELi16ELi32ELi8ELi1ELi0ELb1ELc78ELc76EKPKS1_KPS1_EviT_PT9_S7_lS9_S7_lPT10_S7_li.uses_flat_scratch, 0
	.set _ZL37rocblas_syrkx_herkx_restricted_kernelIl19rocblas_complex_numIfELi16ELi32ELi8ELi1ELi0ELb1ELc78ELc76EKPKS1_KPS1_EviT_PT9_S7_lS9_S7_lPT10_S7_li.has_dyn_sized_stack, 0
	.set _ZL37rocblas_syrkx_herkx_restricted_kernelIl19rocblas_complex_numIfELi16ELi32ELi8ELi1ELi0ELb1ELc78ELc76EKPKS1_KPS1_EviT_PT9_S7_lS9_S7_lPT10_S7_li.has_recursion, 0
	.set _ZL37rocblas_syrkx_herkx_restricted_kernelIl19rocblas_complex_numIfELi16ELi32ELi8ELi1ELi0ELb1ELc78ELc76EKPKS1_KPS1_EviT_PT9_S7_lS9_S7_lPT10_S7_li.has_indirect_call, 0
	.section	.AMDGPU.csdata,"",@progbits
; Kernel info:
; codeLenInByte = 1976
; TotalNumSgprs: 26
; NumVgprs: 44
; ScratchSize: 0
; MemoryBound: 0
; FloatMode: 240
; IeeeMode: 1
; LDSByteSize: 4096 bytes/workgroup (compile time only)
; SGPRBlocks: 3
; VGPRBlocks: 10
; NumSGPRsForWavesPerEU: 26
; NumVGPRsForWavesPerEU: 44
; Occupancy: 5
; WaveLimiterHint : 1
; COMPUTE_PGM_RSRC2:SCRATCH_EN: 0
; COMPUTE_PGM_RSRC2:USER_SGPR: 6
; COMPUTE_PGM_RSRC2:TRAP_HANDLER: 0
; COMPUTE_PGM_RSRC2:TGID_X_EN: 1
; COMPUTE_PGM_RSRC2:TGID_Y_EN: 1
; COMPUTE_PGM_RSRC2:TGID_Z_EN: 1
; COMPUTE_PGM_RSRC2:TIDIG_COMP_CNT: 1
	.section	.text._ZL37rocblas_syrkx_herkx_restricted_kernelIl19rocblas_complex_numIfELi16ELi32ELi8ELi1ELi0ELb1ELc84ELc85EKPKS1_KPS1_EviT_PT9_S7_lS9_S7_lPT10_S7_li,"axG",@progbits,_ZL37rocblas_syrkx_herkx_restricted_kernelIl19rocblas_complex_numIfELi16ELi32ELi8ELi1ELi0ELb1ELc84ELc85EKPKS1_KPS1_EviT_PT9_S7_lS9_S7_lPT10_S7_li,comdat
	.globl	_ZL37rocblas_syrkx_herkx_restricted_kernelIl19rocblas_complex_numIfELi16ELi32ELi8ELi1ELi0ELb1ELc84ELc85EKPKS1_KPS1_EviT_PT9_S7_lS9_S7_lPT10_S7_li ; -- Begin function _ZL37rocblas_syrkx_herkx_restricted_kernelIl19rocblas_complex_numIfELi16ELi32ELi8ELi1ELi0ELb1ELc84ELc85EKPKS1_KPS1_EviT_PT9_S7_lS9_S7_lPT10_S7_li
	.p2align	8
	.type	_ZL37rocblas_syrkx_herkx_restricted_kernelIl19rocblas_complex_numIfELi16ELi32ELi8ELi1ELi0ELb1ELc84ELc85EKPKS1_KPS1_EviT_PT9_S7_lS9_S7_lPT10_S7_li,@function
_ZL37rocblas_syrkx_herkx_restricted_kernelIl19rocblas_complex_numIfELi16ELi32ELi8ELi1ELi0ELb1ELc84ELc85EKPKS1_KPS1_EviT_PT9_S7_lS9_S7_lPT10_S7_li: ; @_ZL37rocblas_syrkx_herkx_restricted_kernelIl19rocblas_complex_numIfELi16ELi32ELi8ELi1ELi0ELb1ELc84ELc85EKPKS1_KPS1_EviT_PT9_S7_lS9_S7_lPT10_S7_li
; %bb.0:
	s_load_dwordx4 s[0:3], s[4:5], 0x40
	s_load_dwordx4 s[12:15], s[4:5], 0x8
	s_mov_b32 s9, 0
	s_lshl_b64 s[10:11], s[8:9], 3
	s_waitcnt lgkmcnt(0)
	s_add_u32 s0, s0, s10
	s_addc_u32 s1, s1, s11
	s_load_dwordx2 s[8:9], s[0:1], 0x0
	v_cmp_lt_i64_e64 s[0:1], s[12:13], 1
	s_lshl_b32 s6, s6, 5
	s_lshl_b32 s7, s7, 5
	s_and_b64 vcc, exec, s[0:1]
	s_cbranch_vccnz .LBB1711_3
; %bb.1:
	s_load_dwordx2 s[0:1], s[4:5], 0x18
	s_load_dwordx4 s[16:19], s[4:5], 0x28
	v_lshl_add_u32 v4, v1, 4, v0
	v_lshrrev_b32_e32 v6, 3, v4
	v_add_u32_e32 v2, s7, v6
	v_ashrrev_i32_e32 v3, 31, v2
	v_and_b32_e32 v9, 7, v0
	v_mov_b32_e32 v10, 0
	s_waitcnt lgkmcnt(0)
	v_mul_lo_u32 v5, s18, v3
	v_mul_lo_u32 v7, s19, v2
	v_mad_u64_u32 v[2:3], s[18:19], s18, v2, v[9:10]
	s_add_u32 s14, s14, s10
	s_addc_u32 s15, s15, s11
	v_add3_u32 v3, v7, v3, v5
	v_and_b32_e32 v7, 31, v4
	v_lshrrev_b32_e32 v4, 5, v4
	v_lshlrev_b32_e32 v8, 3, v7
	v_lshl_or_b32 v15, v4, 8, v8
	v_lshlrev_b32_e32 v8, 3, v9
	v_lshl_or_b32 v6, v6, 6, v8
	v_add_u32_e32 v16, 0x800, v6
	v_add_u32_e32 v6, s6, v7
	s_add_u32 s10, s16, s10
	v_mov_b32_e32 v5, v10
	v_ashrrev_i32_e32 v7, 31, v6
	s_addc_u32 s11, s17, s11
	v_mul_lo_u32 v7, s0, v7
	v_mad_u64_u32 v[4:5], s[16:17], s0, v6, v[4:5]
	v_mul_lo_u32 v6, s1, v6
	s_load_dwordx2 s[14:15], s[14:15], 0x0
	v_lshlrev_b64 v[2:3], 3, v[2:3]
	s_load_dwordx2 s[10:11], s[10:11], 0x0
	v_add3_u32 v5, v6, v5, v7
	v_lshlrev_b64 v[4:5], 3, v[4:5]
	s_waitcnt lgkmcnt(0)
	v_mov_b32_e32 v7, s15
	v_add_co_u32_e32 v6, vcc, s14, v4
	v_mov_b32_e32 v8, 0x800
	v_addc_co_u32_e32 v7, vcc, v7, v5, vcc
	v_lshl_add_u32 v18, v1, 6, v8
	v_mov_b32_e32 v4, s11
	v_add_co_u32_e32 v8, vcc, s10, v2
	v_lshlrev_b32_e32 v17, 3, v0
	v_addc_co_u32_e32 v9, vcc, v4, v3, vcc
	s_mov_b64 s[0:1], 0
	v_mov_b32_e32 v11, v10
	v_mov_b32_e32 v19, v10
	;; [unrolled: 1-line block ×7, first 2 shown]
.LBB1711_2:                             ; =>This Inner Loop Header: Depth=1
	flat_load_dwordx2 v[2:3], v[6:7]
	s_add_u32 s0, s0, 8
	v_add_co_u32_e32 v6, vcc, 64, v6
	s_addc_u32 s1, s1, 0
	v_addc_co_u32_e32 v7, vcc, 0, v7, vcc
	s_waitcnt vmcnt(0) lgkmcnt(0)
	ds_write_b64 v15, v[2:3]
	flat_load_dwordx2 v[2:3], v[8:9]
	v_add_co_u32_e32 v8, vcc, 64, v8
	v_addc_co_u32_e32 v9, vcc, 0, v9, vcc
	s_waitcnt vmcnt(0) lgkmcnt(0)
	ds_write_b64 v16, v[2:3]
	s_waitcnt lgkmcnt(0)
	s_barrier
	ds_read_b128 v[22:25], v18
	ds_read_b128 v[26:29], v18 offset:16
	ds_read_b128 v[30:33], v18 offset:32
	;; [unrolled: 1-line block ×3, first 2 shown]
	ds_read2_b64 v[34:37], v17 offset1:16
	s_waitcnt lgkmcnt(0)
	v_mul_f32_e32 v38, v23, v35
	v_mul_f32_e32 v39, v22, v35
	v_fma_f32 v38, v22, v34, -v38
	v_fmac_f32_e32 v39, v23, v34
	v_add_f32_e32 v14, v14, v38
	v_add_f32_e32 v38, v21, v39
	v_mul_f32_e32 v21, v23, v37
	v_fma_f32 v21, v22, v36, -v21
	v_mul_f32_e32 v22, v22, v37
	v_fmac_f32_e32 v22, v23, v36
	v_add_f32_e32 v39, v13, v21
	v_add_f32_e32 v40, v20, v22
	ds_read_b128 v[20:23], v18 offset:1024
	s_waitcnt lgkmcnt(0)
	v_mul_f32_e32 v13, v21, v35
	v_fma_f32 v13, v20, v34, -v13
	v_mul_f32_e32 v35, v20, v35
	v_fmac_f32_e32 v35, v21, v34
	v_add_f32_e32 v34, v12, v13
	v_mul_f32_e32 v12, v21, v37
	v_mul_f32_e32 v13, v20, v37
	v_fma_f32 v12, v20, v36, -v12
	v_fmac_f32_e32 v13, v21, v36
	v_add_f32_e32 v20, v11, v12
	v_add_f32_e32 v21, v10, v13
	ds_read2_b64 v[10:13], v17 offset0:32 offset1:48
	v_add_f32_e32 v19, v19, v35
	s_waitcnt lgkmcnt(0)
	v_mul_f32_e32 v35, v25, v11
	v_mul_f32_e32 v36, v24, v11
	v_fma_f32 v35, v24, v10, -v35
	v_fmac_f32_e32 v36, v25, v10
	v_add_f32_e32 v14, v14, v35
	v_add_f32_e32 v35, v38, v36
	v_mul_f32_e32 v36, v25, v13
	v_fma_f32 v36, v24, v12, -v36
	v_mul_f32_e32 v24, v24, v13
	v_fmac_f32_e32 v24, v25, v12
	v_add_f32_e32 v25, v39, v36
	v_mul_f32_e32 v36, v23, v11
	v_mul_f32_e32 v11, v22, v11
	v_fma_f32 v36, v22, v10, -v36
	v_fmac_f32_e32 v11, v23, v10
	v_add_f32_e32 v34, v34, v36
	v_add_f32_e32 v36, v19, v11
	v_mul_f32_e32 v10, v23, v13
	v_mul_f32_e32 v11, v22, v13
	v_fma_f32 v10, v22, v12, -v10
	v_fmac_f32_e32 v11, v23, v12
	v_add_f32_e32 v23, v20, v10
	v_add_f32_e32 v37, v21, v11
	ds_read2_b64 v[10:13], v17 offset0:64 offset1:80
	v_add_f32_e32 v24, v40, v24
	s_waitcnt lgkmcnt(0)
	v_mul_f32_e32 v19, v27, v11
	v_mul_f32_e32 v20, v26, v11
	v_fma_f32 v19, v26, v10, -v19
	v_fmac_f32_e32 v20, v27, v10
	v_add_f32_e32 v14, v14, v19
	v_add_f32_e32 v35, v35, v20
	v_mul_f32_e32 v19, v27, v13
	v_mul_f32_e32 v20, v26, v13
	v_fma_f32 v19, v26, v12, -v19
	v_fmac_f32_e32 v20, v27, v12
	v_add_f32_e32 v25, v25, v19
	v_add_f32_e32 v24, v24, v20
	ds_read_b128 v[19:22], v18 offset:1040
	s_waitcnt lgkmcnt(0)
	v_mul_f32_e32 v26, v20, v11
	v_mul_f32_e32 v11, v19, v11
	v_fmac_f32_e32 v11, v20, v10
	v_fma_f32 v26, v19, v10, -v26
	v_add_f32_e32 v27, v36, v11
	v_mul_f32_e32 v10, v20, v13
	v_mul_f32_e32 v11, v19, v13
	v_fma_f32 v10, v19, v12, -v10
	v_fmac_f32_e32 v11, v20, v12
	v_add_f32_e32 v19, v23, v10
	v_add_f32_e32 v20, v37, v11
	ds_read2_b64 v[10:13], v17 offset0:96 offset1:112
	v_add_f32_e32 v26, v34, v26
	s_waitcnt lgkmcnt(0)
	v_mul_f32_e32 v23, v29, v11
	v_mul_f32_e32 v34, v28, v11
	v_fma_f32 v23, v28, v10, -v23
	v_fmac_f32_e32 v34, v29, v10
	v_add_f32_e32 v14, v14, v23
	v_add_f32_e32 v23, v35, v34
	v_mul_f32_e32 v34, v29, v13
	v_fma_f32 v34, v28, v12, -v34
	v_mul_f32_e32 v28, v28, v13
	v_fmac_f32_e32 v28, v29, v12
	v_add_f32_e32 v24, v24, v28
	v_mul_f32_e32 v28, v22, v11
	v_mul_f32_e32 v11, v21, v11
	v_fmac_f32_e32 v11, v22, v10
	v_fma_f32 v28, v21, v10, -v28
	v_add_f32_e32 v27, v27, v11
	v_mul_f32_e32 v10, v22, v13
	v_mul_f32_e32 v11, v21, v13
	v_fma_f32 v10, v21, v12, -v10
	v_fmac_f32_e32 v11, v22, v12
	v_add_f32_e32 v26, v26, v28
	v_add_f32_e32 v28, v19, v10
	;; [unrolled: 1-line block ×3, first 2 shown]
	ds_read2_b64 v[10:13], v17 offset0:128 offset1:144
	v_add_f32_e32 v25, v25, v34
	s_waitcnt lgkmcnt(0)
	v_mul_f32_e32 v19, v31, v11
	v_mul_f32_e32 v20, v30, v11
	v_fma_f32 v19, v30, v10, -v19
	v_fmac_f32_e32 v20, v31, v10
	v_add_f32_e32 v14, v14, v19
	v_add_f32_e32 v23, v23, v20
	v_mul_f32_e32 v19, v31, v13
	v_mul_f32_e32 v20, v30, v13
	v_fma_f32 v19, v30, v12, -v19
	v_fmac_f32_e32 v20, v31, v12
	v_add_f32_e32 v25, v25, v19
	v_add_f32_e32 v24, v24, v20
	ds_read_b128 v[19:22], v18 offset:1056
	s_waitcnt lgkmcnt(0)
	v_mul_f32_e32 v30, v20, v11
	v_mul_f32_e32 v11, v19, v11
	v_fmac_f32_e32 v11, v20, v10
	v_fma_f32 v30, v19, v10, -v30
	v_add_f32_e32 v27, v27, v11
	v_mul_f32_e32 v10, v20, v13
	v_mul_f32_e32 v11, v19, v13
	v_fma_f32 v10, v19, v12, -v10
	v_fmac_f32_e32 v11, v20, v12
	v_add_f32_e32 v19, v28, v10
	v_add_f32_e32 v20, v29, v11
	ds_read2_b64 v[10:13], v17 offset0:160 offset1:176
	v_add_f32_e32 v26, v26, v30
	s_waitcnt lgkmcnt(0)
	v_mul_f32_e32 v28, v33, v11
	v_fma_f32 v28, v32, v10, -v28
	v_add_f32_e32 v14, v14, v28
	v_mul_f32_e32 v28, v33, v13
	v_fma_f32 v28, v32, v12, -v28
	v_mul_f32_e32 v29, v32, v11
	v_add_f32_e32 v25, v25, v28
	v_mul_f32_e32 v28, v22, v11
	v_mul_f32_e32 v11, v21, v11
	v_fmac_f32_e32 v11, v22, v10
	v_fmac_f32_e32 v29, v33, v10
	v_fma_f32 v28, v21, v10, -v28
	v_add_f32_e32 v27, v27, v11
	v_mul_f32_e32 v10, v22, v13
	v_mul_f32_e32 v11, v21, v13
	v_add_f32_e32 v23, v23, v29
	v_mul_f32_e32 v29, v32, v13
	v_fma_f32 v10, v21, v12, -v10
	v_fmac_f32_e32 v11, v22, v12
	v_fmac_f32_e32 v29, v33, v12
	v_add_f32_e32 v26, v26, v28
	v_add_f32_e32 v19, v19, v10
	;; [unrolled: 1-line block ×3, first 2 shown]
	ds_read2_b64 v[10:13], v17 offset0:192 offset1:208
	v_add_f32_e32 v24, v24, v29
	s_waitcnt lgkmcnt(0)
	v_mul_f32_e32 v20, v3, v11
	v_fma_f32 v20, v2, v10, -v20
	v_mul_f32_e32 v21, v2, v11
	v_add_f32_e32 v14, v14, v20
	v_mul_f32_e32 v20, v3, v13
	v_fmac_f32_e32 v21, v3, v10
	v_fma_f32 v20, v2, v12, -v20
	v_mul_f32_e32 v2, v2, v13
	v_add_f32_e32 v29, v23, v21
	v_fmac_f32_e32 v2, v3, v12
	v_add_f32_e32 v3, v25, v20
	ds_read_b128 v[20:23], v18 offset:1072
	v_add_f32_e32 v2, v24, v2
	s_waitcnt lgkmcnt(0)
	v_mul_f32_e32 v24, v21, v11
	v_fma_f32 v24, v20, v10, -v24
	v_mul_f32_e32 v11, v20, v11
	v_fmac_f32_e32 v11, v21, v10
	v_add_f32_e32 v10, v26, v24
	v_mul_f32_e32 v24, v21, v13
	v_fma_f32 v24, v20, v12, -v24
	v_add_f32_e32 v11, v27, v11
	v_add_f32_e32 v30, v19, v24
	ds_read2_b64 v[24:27], v17 offset0:224 offset1:240
	v_mul_f32_e32 v13, v20, v13
	v_fmac_f32_e32 v13, v21, v12
	v_add_f32_e32 v28, v28, v13
	s_waitcnt lgkmcnt(0)
	v_mul_f32_e32 v12, v5, v25
	v_fma_f32 v12, v4, v24, -v12
	v_add_f32_e32 v14, v14, v12
	v_mul_f32_e32 v12, v5, v27
	v_mul_f32_e32 v13, v4, v25
	v_fma_f32 v12, v4, v26, -v12
	v_mul_f32_e32 v4, v4, v27
	v_fmac_f32_e32 v13, v5, v24
	v_fmac_f32_e32 v4, v5, v26
	v_add_f32_e32 v21, v29, v13
	v_add_f32_e32 v13, v3, v12
	;; [unrolled: 1-line block ×3, first 2 shown]
	v_mul_f32_e32 v2, v23, v25
	v_mul_f32_e32 v3, v22, v25
	v_fma_f32 v2, v22, v24, -v2
	v_fmac_f32_e32 v3, v23, v24
	v_add_f32_e32 v12, v10, v2
	v_add_f32_e32 v19, v11, v3
	v_mul_f32_e32 v2, v23, v27
	v_mul_f32_e32 v3, v22, v27
	v_fma_f32 v2, v22, v26, -v2
	v_fmac_f32_e32 v3, v23, v26
	v_add_f32_e32 v11, v30, v2
	v_add_f32_e32 v10, v28, v3
	v_mov_b32_e32 v3, s1
	v_mov_b32_e32 v2, s0
	v_cmp_le_u64_e32 vcc, s[12:13], v[2:3]
	s_barrier
	s_cbranch_vccz .LBB1711_2
	s_branch .LBB1711_4
.LBB1711_3:
	v_mov_b32_e32 v21, 0
	v_mov_b32_e32 v14, 0
	;; [unrolled: 1-line block ×8, first 2 shown]
.LBB1711_4:
	v_add_u32_e32 v4, s7, v1
	v_ashrrev_i32_e32 v1, 31, v4
	v_mul_lo_u32 v3, s2, v1
	v_mul_lo_u32 v5, s3, v4
	v_mad_u64_u32 v[1:2], s[0:1], s2, v4, 0
	s_load_dword s10, s[4:5], 0x0
	v_add_u32_e32 v0, s6, v0
	v_add3_u32 v2, v2, v3, v5
	v_lshlrev_b64 v[1:2], 3, v[1:2]
	s_waitcnt lgkmcnt(0)
	v_mov_b32_e32 v3, s9
	v_add_co_u32_e64 v5, s[0:1], s8, v1
	v_addc_co_u32_e64 v6, s[0:1], v3, v2, s[0:1]
	v_cmp_gt_i32_e32 vcc, s10, v4
	v_cmp_le_i32_e64 s[0:1], v0, v4
	s_and_b64 s[0:1], vcc, s[0:1]
	s_and_saveexec_b64 s[4:5], s[0:1]
	s_cbranch_execz .LBB1711_6
; %bb.5:
	v_ashrrev_i32_e32 v1, 31, v0
	v_lshlrev_b64 v[1:2], 3, v[0:1]
	v_add_co_u32_e64 v1, s[0:1], v5, v1
	v_addc_co_u32_e64 v2, s[0:1], v6, v2, s[0:1]
	v_cmp_ne_u32_e64 s[0:1], v4, v0
	v_cndmask_b32_e64 v15, 0, v21, s[0:1]
	flat_store_dwordx2 v[1:2], v[14:15]
.LBB1711_6:
	s_or_b64 exec, exec, s[4:5]
	v_add_u32_e32 v2, 16, v0
	v_cmp_le_i32_e64 s[0:1], v2, v4
	s_and_b64 s[4:5], vcc, s[0:1]
	s_and_saveexec_b64 s[0:1], s[4:5]
	s_cbranch_execz .LBB1711_8
; %bb.7:
	v_ashrrev_i32_e32 v3, 31, v2
	v_lshlrev_b64 v[7:8], 3, v[2:3]
	v_add_co_u32_e32 v5, vcc, v5, v7
	v_addc_co_u32_e32 v6, vcc, v6, v8, vcc
	v_cmp_ne_u32_e32 vcc, v4, v2
	v_cndmask_b32_e32 v14, 0, v20, vcc
	flat_store_dwordx2 v[5:6], v[13:14]
.LBB1711_8:
	s_or_b64 exec, exec, s[0:1]
	v_add_u32_e32 v3, 16, v4
	v_ashrrev_i32_e32 v1, 31, v3
	v_mul_lo_u32 v1, s2, v1
	v_mul_lo_u32 v7, s3, v3
	v_mad_u64_u32 v[5:6], s[0:1], s2, v3, 0
	v_cmp_gt_i32_e32 vcc, s10, v3
	v_add3_u32 v6, v6, v1, v7
	v_lshlrev_b64 v[5:6], 3, v[5:6]
	v_mov_b32_e32 v1, s9
	v_add_co_u32_e64 v5, s[0:1], s8, v5
	v_addc_co_u32_e64 v6, s[0:1], v1, v6, s[0:1]
	v_cmp_le_i32_e64 s[0:1], v0, v3
	s_and_b64 s[0:1], vcc, s[0:1]
	s_and_saveexec_b64 s[2:3], s[0:1]
	s_cbranch_execz .LBB1711_10
; %bb.9:
	v_ashrrev_i32_e32 v1, 31, v0
	v_lshlrev_b64 v[7:8], 3, v[0:1]
	v_add_co_u32_e64 v7, s[0:1], v5, v7
	v_addc_co_u32_e64 v8, s[0:1], v6, v8, s[0:1]
	v_cmp_ne_u32_e64 s[0:1], v3, v0
	v_cndmask_b32_e64 v13, 0, v19, s[0:1]
	flat_store_dwordx2 v[7:8], v[12:13]
.LBB1711_10:
	s_or_b64 exec, exec, s[2:3]
	v_cmp_le_i32_e64 s[0:1], v2, v3
	s_and_b64 s[0:1], vcc, s[0:1]
	s_and_saveexec_b64 s[2:3], s[0:1]
	s_cbranch_execz .LBB1711_12
; %bb.11:
	v_ashrrev_i32_e32 v3, 31, v2
	v_lshlrev_b64 v[1:2], 3, v[2:3]
	v_add_co_u32_e32 v1, vcc, v5, v1
	v_addc_co_u32_e32 v2, vcc, v6, v2, vcc
	v_cmp_ne_u32_e32 vcc, v4, v0
	v_cndmask_b32_e32 v12, 0, v10, vcc
	flat_store_dwordx2 v[1:2], v[11:12]
.LBB1711_12:
	s_endpgm
	.section	.rodata,"a",@progbits
	.p2align	6, 0x0
	.amdhsa_kernel _ZL37rocblas_syrkx_herkx_restricted_kernelIl19rocblas_complex_numIfELi16ELi32ELi8ELi1ELi0ELb1ELc84ELc85EKPKS1_KPS1_EviT_PT9_S7_lS9_S7_lPT10_S7_li
		.amdhsa_group_segment_fixed_size 4096
		.amdhsa_private_segment_fixed_size 0
		.amdhsa_kernarg_size 92
		.amdhsa_user_sgpr_count 6
		.amdhsa_user_sgpr_private_segment_buffer 1
		.amdhsa_user_sgpr_dispatch_ptr 0
		.amdhsa_user_sgpr_queue_ptr 0
		.amdhsa_user_sgpr_kernarg_segment_ptr 1
		.amdhsa_user_sgpr_dispatch_id 0
		.amdhsa_user_sgpr_flat_scratch_init 0
		.amdhsa_user_sgpr_private_segment_size 0
		.amdhsa_uses_dynamic_stack 0
		.amdhsa_system_sgpr_private_segment_wavefront_offset 0
		.amdhsa_system_sgpr_workgroup_id_x 1
		.amdhsa_system_sgpr_workgroup_id_y 1
		.amdhsa_system_sgpr_workgroup_id_z 1
		.amdhsa_system_sgpr_workgroup_info 0
		.amdhsa_system_vgpr_workitem_id 1
		.amdhsa_next_free_vgpr 41
		.amdhsa_next_free_sgpr 20
		.amdhsa_reserve_vcc 1
		.amdhsa_reserve_flat_scratch 0
		.amdhsa_float_round_mode_32 0
		.amdhsa_float_round_mode_16_64 0
		.amdhsa_float_denorm_mode_32 3
		.amdhsa_float_denorm_mode_16_64 3
		.amdhsa_dx10_clamp 1
		.amdhsa_ieee_mode 1
		.amdhsa_fp16_overflow 0
		.amdhsa_exception_fp_ieee_invalid_op 0
		.amdhsa_exception_fp_denorm_src 0
		.amdhsa_exception_fp_ieee_div_zero 0
		.amdhsa_exception_fp_ieee_overflow 0
		.amdhsa_exception_fp_ieee_underflow 0
		.amdhsa_exception_fp_ieee_inexact 0
		.amdhsa_exception_int_div_zero 0
	.end_amdhsa_kernel
	.section	.text._ZL37rocblas_syrkx_herkx_restricted_kernelIl19rocblas_complex_numIfELi16ELi32ELi8ELi1ELi0ELb1ELc84ELc85EKPKS1_KPS1_EviT_PT9_S7_lS9_S7_lPT10_S7_li,"axG",@progbits,_ZL37rocblas_syrkx_herkx_restricted_kernelIl19rocblas_complex_numIfELi16ELi32ELi8ELi1ELi0ELb1ELc84ELc85EKPKS1_KPS1_EviT_PT9_S7_lS9_S7_lPT10_S7_li,comdat
.Lfunc_end1711:
	.size	_ZL37rocblas_syrkx_herkx_restricted_kernelIl19rocblas_complex_numIfELi16ELi32ELi8ELi1ELi0ELb1ELc84ELc85EKPKS1_KPS1_EviT_PT9_S7_lS9_S7_lPT10_S7_li, .Lfunc_end1711-_ZL37rocblas_syrkx_herkx_restricted_kernelIl19rocblas_complex_numIfELi16ELi32ELi8ELi1ELi0ELb1ELc84ELc85EKPKS1_KPS1_EviT_PT9_S7_lS9_S7_lPT10_S7_li
                                        ; -- End function
	.set _ZL37rocblas_syrkx_herkx_restricted_kernelIl19rocblas_complex_numIfELi16ELi32ELi8ELi1ELi0ELb1ELc84ELc85EKPKS1_KPS1_EviT_PT9_S7_lS9_S7_lPT10_S7_li.num_vgpr, 41
	.set _ZL37rocblas_syrkx_herkx_restricted_kernelIl19rocblas_complex_numIfELi16ELi32ELi8ELi1ELi0ELb1ELc84ELc85EKPKS1_KPS1_EviT_PT9_S7_lS9_S7_lPT10_S7_li.num_agpr, 0
	.set _ZL37rocblas_syrkx_herkx_restricted_kernelIl19rocblas_complex_numIfELi16ELi32ELi8ELi1ELi0ELb1ELc84ELc85EKPKS1_KPS1_EviT_PT9_S7_lS9_S7_lPT10_S7_li.numbered_sgpr, 20
	.set _ZL37rocblas_syrkx_herkx_restricted_kernelIl19rocblas_complex_numIfELi16ELi32ELi8ELi1ELi0ELb1ELc84ELc85EKPKS1_KPS1_EviT_PT9_S7_lS9_S7_lPT10_S7_li.num_named_barrier, 0
	.set _ZL37rocblas_syrkx_herkx_restricted_kernelIl19rocblas_complex_numIfELi16ELi32ELi8ELi1ELi0ELb1ELc84ELc85EKPKS1_KPS1_EviT_PT9_S7_lS9_S7_lPT10_S7_li.private_seg_size, 0
	.set _ZL37rocblas_syrkx_herkx_restricted_kernelIl19rocblas_complex_numIfELi16ELi32ELi8ELi1ELi0ELb1ELc84ELc85EKPKS1_KPS1_EviT_PT9_S7_lS9_S7_lPT10_S7_li.uses_vcc, 1
	.set _ZL37rocblas_syrkx_herkx_restricted_kernelIl19rocblas_complex_numIfELi16ELi32ELi8ELi1ELi0ELb1ELc84ELc85EKPKS1_KPS1_EviT_PT9_S7_lS9_S7_lPT10_S7_li.uses_flat_scratch, 0
	.set _ZL37rocblas_syrkx_herkx_restricted_kernelIl19rocblas_complex_numIfELi16ELi32ELi8ELi1ELi0ELb1ELc84ELc85EKPKS1_KPS1_EviT_PT9_S7_lS9_S7_lPT10_S7_li.has_dyn_sized_stack, 0
	.set _ZL37rocblas_syrkx_herkx_restricted_kernelIl19rocblas_complex_numIfELi16ELi32ELi8ELi1ELi0ELb1ELc84ELc85EKPKS1_KPS1_EviT_PT9_S7_lS9_S7_lPT10_S7_li.has_recursion, 0
	.set _ZL37rocblas_syrkx_herkx_restricted_kernelIl19rocblas_complex_numIfELi16ELi32ELi8ELi1ELi0ELb1ELc84ELc85EKPKS1_KPS1_EviT_PT9_S7_lS9_S7_lPT10_S7_li.has_indirect_call, 0
	.section	.AMDGPU.csdata,"",@progbits
; Kernel info:
; codeLenInByte = 1996
; TotalNumSgprs: 24
; NumVgprs: 41
; ScratchSize: 0
; MemoryBound: 0
; FloatMode: 240
; IeeeMode: 1
; LDSByteSize: 4096 bytes/workgroup (compile time only)
; SGPRBlocks: 2
; VGPRBlocks: 10
; NumSGPRsForWavesPerEU: 24
; NumVGPRsForWavesPerEU: 41
; Occupancy: 5
; WaveLimiterHint : 1
; COMPUTE_PGM_RSRC2:SCRATCH_EN: 0
; COMPUTE_PGM_RSRC2:USER_SGPR: 6
; COMPUTE_PGM_RSRC2:TRAP_HANDLER: 0
; COMPUTE_PGM_RSRC2:TGID_X_EN: 1
; COMPUTE_PGM_RSRC2:TGID_Y_EN: 1
; COMPUTE_PGM_RSRC2:TGID_Z_EN: 1
; COMPUTE_PGM_RSRC2:TIDIG_COMP_CNT: 1
	.section	.text._ZL37rocblas_syrkx_herkx_restricted_kernelIl19rocblas_complex_numIfELi16ELi32ELi8ELi1ELi0ELb1ELc67ELc85EKPKS1_KPS1_EviT_PT9_S7_lS9_S7_lPT10_S7_li,"axG",@progbits,_ZL37rocblas_syrkx_herkx_restricted_kernelIl19rocblas_complex_numIfELi16ELi32ELi8ELi1ELi0ELb1ELc67ELc85EKPKS1_KPS1_EviT_PT9_S7_lS9_S7_lPT10_S7_li,comdat
	.globl	_ZL37rocblas_syrkx_herkx_restricted_kernelIl19rocblas_complex_numIfELi16ELi32ELi8ELi1ELi0ELb1ELc67ELc85EKPKS1_KPS1_EviT_PT9_S7_lS9_S7_lPT10_S7_li ; -- Begin function _ZL37rocblas_syrkx_herkx_restricted_kernelIl19rocblas_complex_numIfELi16ELi32ELi8ELi1ELi0ELb1ELc67ELc85EKPKS1_KPS1_EviT_PT9_S7_lS9_S7_lPT10_S7_li
	.p2align	8
	.type	_ZL37rocblas_syrkx_herkx_restricted_kernelIl19rocblas_complex_numIfELi16ELi32ELi8ELi1ELi0ELb1ELc67ELc85EKPKS1_KPS1_EviT_PT9_S7_lS9_S7_lPT10_S7_li,@function
_ZL37rocblas_syrkx_herkx_restricted_kernelIl19rocblas_complex_numIfELi16ELi32ELi8ELi1ELi0ELb1ELc67ELc85EKPKS1_KPS1_EviT_PT9_S7_lS9_S7_lPT10_S7_li: ; @_ZL37rocblas_syrkx_herkx_restricted_kernelIl19rocblas_complex_numIfELi16ELi32ELi8ELi1ELi0ELb1ELc67ELc85EKPKS1_KPS1_EviT_PT9_S7_lS9_S7_lPT10_S7_li
; %bb.0:
	s_load_dwordx4 s[0:3], s[4:5], 0x40
	s_load_dwordx4 s[12:15], s[4:5], 0x8
	s_mov_b32 s9, 0
	s_lshl_b64 s[10:11], s[8:9], 3
	s_waitcnt lgkmcnt(0)
	s_add_u32 s0, s0, s10
	s_addc_u32 s1, s1, s11
	s_load_dwordx2 s[8:9], s[0:1], 0x0
	v_cmp_lt_i64_e64 s[0:1], s[12:13], 1
	s_lshl_b32 s6, s6, 5
	s_lshl_b32 s7, s7, 5
	s_and_b64 vcc, exec, s[0:1]
	s_cbranch_vccnz .LBB1712_3
; %bb.1:
	s_load_dwordx2 s[0:1], s[4:5], 0x18
	s_load_dwordx4 s[16:19], s[4:5], 0x28
	v_lshl_add_u32 v4, v1, 4, v0
	v_lshrrev_b32_e32 v6, 3, v4
	v_add_u32_e32 v2, s7, v6
	v_ashrrev_i32_e32 v3, 31, v2
	v_and_b32_e32 v9, 7, v0
	v_mov_b32_e32 v10, 0
	s_waitcnt lgkmcnt(0)
	v_mul_lo_u32 v5, s18, v3
	v_mul_lo_u32 v7, s19, v2
	v_mad_u64_u32 v[2:3], s[18:19], s18, v2, v[9:10]
	s_add_u32 s14, s14, s10
	s_addc_u32 s15, s15, s11
	v_add3_u32 v3, v7, v3, v5
	v_and_b32_e32 v7, 31, v4
	v_lshrrev_b32_e32 v4, 5, v4
	v_lshlrev_b32_e32 v8, 3, v7
	v_lshl_or_b32 v15, v4, 8, v8
	v_lshlrev_b32_e32 v8, 3, v9
	v_lshl_or_b32 v6, v6, 6, v8
	v_add_u32_e32 v16, 0x800, v6
	v_add_u32_e32 v6, s6, v7
	s_add_u32 s10, s16, s10
	v_mov_b32_e32 v5, v10
	v_ashrrev_i32_e32 v7, 31, v6
	s_addc_u32 s11, s17, s11
	v_mul_lo_u32 v7, s0, v7
	v_mad_u64_u32 v[4:5], s[16:17], s0, v6, v[4:5]
	v_mul_lo_u32 v6, s1, v6
	s_load_dwordx2 s[14:15], s[14:15], 0x0
	v_lshlrev_b64 v[2:3], 3, v[2:3]
	s_load_dwordx2 s[10:11], s[10:11], 0x0
	v_add3_u32 v5, v6, v5, v7
	v_lshlrev_b64 v[4:5], 3, v[4:5]
	s_waitcnt lgkmcnt(0)
	v_mov_b32_e32 v7, s15
	v_add_co_u32_e32 v6, vcc, s14, v4
	v_mov_b32_e32 v8, 0x800
	v_addc_co_u32_e32 v7, vcc, v7, v5, vcc
	v_lshl_add_u32 v18, v1, 6, v8
	v_mov_b32_e32 v4, s11
	v_add_co_u32_e32 v8, vcc, s10, v2
	v_lshlrev_b32_e32 v17, 3, v0
	v_addc_co_u32_e32 v9, vcc, v4, v3, vcc
	s_mov_b64 s[0:1], 0
	v_mov_b32_e32 v11, v10
	v_mov_b32_e32 v19, v10
	;; [unrolled: 1-line block ×7, first 2 shown]
.LBB1712_2:                             ; =>This Inner Loop Header: Depth=1
	flat_load_dwordx2 v[2:3], v[6:7]
	v_add_co_u32_e32 v6, vcc, 64, v6
	s_add_u32 s0, s0, 8
	v_addc_co_u32_e32 v7, vcc, 0, v7, vcc
	s_addc_u32 s1, s1, 0
	s_waitcnt vmcnt(0) lgkmcnt(0)
	v_xor_b32_e32 v3, 0x80000000, v3
	ds_write_b64 v15, v[2:3]
	flat_load_dwordx2 v[2:3], v[8:9]
	v_add_co_u32_e32 v8, vcc, 64, v8
	v_addc_co_u32_e32 v9, vcc, 0, v9, vcc
	s_waitcnt vmcnt(0) lgkmcnt(0)
	ds_write_b64 v16, v[2:3]
	s_waitcnt lgkmcnt(0)
	s_barrier
	ds_read_b128 v[22:25], v18
	ds_read_b128 v[26:29], v18 offset:16
	ds_read_b128 v[30:33], v18 offset:32
	;; [unrolled: 1-line block ×3, first 2 shown]
	ds_read2_b64 v[34:37], v17 offset1:16
	s_waitcnt lgkmcnt(0)
	v_mul_f32_e32 v38, v23, v35
	v_mul_f32_e32 v39, v22, v35
	v_fma_f32 v38, v22, v34, -v38
	v_fmac_f32_e32 v39, v23, v34
	v_add_f32_e32 v14, v14, v38
	v_add_f32_e32 v38, v21, v39
	v_mul_f32_e32 v21, v23, v37
	v_fma_f32 v21, v22, v36, -v21
	v_mul_f32_e32 v22, v22, v37
	v_fmac_f32_e32 v22, v23, v36
	v_add_f32_e32 v39, v13, v21
	v_add_f32_e32 v40, v20, v22
	ds_read_b128 v[20:23], v18 offset:1024
	s_waitcnt lgkmcnt(0)
	v_mul_f32_e32 v13, v21, v35
	v_fma_f32 v13, v20, v34, -v13
	v_mul_f32_e32 v35, v20, v35
	v_fmac_f32_e32 v35, v21, v34
	v_add_f32_e32 v34, v12, v13
	v_mul_f32_e32 v12, v21, v37
	v_mul_f32_e32 v13, v20, v37
	v_fma_f32 v12, v20, v36, -v12
	v_fmac_f32_e32 v13, v21, v36
	v_add_f32_e32 v20, v11, v12
	v_add_f32_e32 v21, v10, v13
	ds_read2_b64 v[10:13], v17 offset0:32 offset1:48
	v_add_f32_e32 v19, v19, v35
	s_waitcnt lgkmcnt(0)
	v_mul_f32_e32 v35, v25, v11
	v_mul_f32_e32 v36, v24, v11
	v_fma_f32 v35, v24, v10, -v35
	v_fmac_f32_e32 v36, v25, v10
	v_add_f32_e32 v14, v14, v35
	v_add_f32_e32 v35, v38, v36
	v_mul_f32_e32 v36, v25, v13
	v_fma_f32 v36, v24, v12, -v36
	v_mul_f32_e32 v24, v24, v13
	v_fmac_f32_e32 v24, v25, v12
	v_add_f32_e32 v25, v39, v36
	v_mul_f32_e32 v36, v23, v11
	v_mul_f32_e32 v11, v22, v11
	v_fma_f32 v36, v22, v10, -v36
	v_fmac_f32_e32 v11, v23, v10
	v_add_f32_e32 v34, v34, v36
	v_add_f32_e32 v36, v19, v11
	v_mul_f32_e32 v10, v23, v13
	v_mul_f32_e32 v11, v22, v13
	v_fma_f32 v10, v22, v12, -v10
	v_fmac_f32_e32 v11, v23, v12
	v_add_f32_e32 v23, v20, v10
	v_add_f32_e32 v37, v21, v11
	ds_read2_b64 v[10:13], v17 offset0:64 offset1:80
	v_add_f32_e32 v24, v40, v24
	s_waitcnt lgkmcnt(0)
	v_mul_f32_e32 v19, v27, v11
	v_mul_f32_e32 v20, v26, v11
	v_fma_f32 v19, v26, v10, -v19
	v_fmac_f32_e32 v20, v27, v10
	v_add_f32_e32 v14, v14, v19
	v_add_f32_e32 v35, v35, v20
	v_mul_f32_e32 v19, v27, v13
	v_mul_f32_e32 v20, v26, v13
	v_fma_f32 v19, v26, v12, -v19
	v_fmac_f32_e32 v20, v27, v12
	v_add_f32_e32 v25, v25, v19
	v_add_f32_e32 v24, v24, v20
	ds_read_b128 v[19:22], v18 offset:1040
	s_waitcnt lgkmcnt(0)
	v_mul_f32_e32 v26, v20, v11
	v_mul_f32_e32 v11, v19, v11
	v_fmac_f32_e32 v11, v20, v10
	v_fma_f32 v26, v19, v10, -v26
	v_add_f32_e32 v27, v36, v11
	v_mul_f32_e32 v10, v20, v13
	v_mul_f32_e32 v11, v19, v13
	v_fma_f32 v10, v19, v12, -v10
	v_fmac_f32_e32 v11, v20, v12
	v_add_f32_e32 v19, v23, v10
	v_add_f32_e32 v20, v37, v11
	ds_read2_b64 v[10:13], v17 offset0:96 offset1:112
	v_add_f32_e32 v26, v34, v26
	s_waitcnt lgkmcnt(0)
	v_mul_f32_e32 v23, v29, v11
	v_mul_f32_e32 v34, v28, v11
	v_fma_f32 v23, v28, v10, -v23
	v_fmac_f32_e32 v34, v29, v10
	v_add_f32_e32 v14, v14, v23
	v_add_f32_e32 v23, v35, v34
	v_mul_f32_e32 v34, v29, v13
	v_fma_f32 v34, v28, v12, -v34
	v_mul_f32_e32 v28, v28, v13
	v_fmac_f32_e32 v28, v29, v12
	v_add_f32_e32 v24, v24, v28
	v_mul_f32_e32 v28, v22, v11
	v_mul_f32_e32 v11, v21, v11
	v_fmac_f32_e32 v11, v22, v10
	v_fma_f32 v28, v21, v10, -v28
	v_add_f32_e32 v27, v27, v11
	v_mul_f32_e32 v10, v22, v13
	v_mul_f32_e32 v11, v21, v13
	v_fma_f32 v10, v21, v12, -v10
	v_fmac_f32_e32 v11, v22, v12
	v_add_f32_e32 v26, v26, v28
	v_add_f32_e32 v28, v19, v10
	;; [unrolled: 1-line block ×3, first 2 shown]
	ds_read2_b64 v[10:13], v17 offset0:128 offset1:144
	v_add_f32_e32 v25, v25, v34
	s_waitcnt lgkmcnt(0)
	v_mul_f32_e32 v19, v31, v11
	v_mul_f32_e32 v20, v30, v11
	v_fma_f32 v19, v30, v10, -v19
	v_fmac_f32_e32 v20, v31, v10
	v_add_f32_e32 v14, v14, v19
	v_add_f32_e32 v23, v23, v20
	v_mul_f32_e32 v19, v31, v13
	v_mul_f32_e32 v20, v30, v13
	v_fma_f32 v19, v30, v12, -v19
	v_fmac_f32_e32 v20, v31, v12
	v_add_f32_e32 v25, v25, v19
	v_add_f32_e32 v24, v24, v20
	ds_read_b128 v[19:22], v18 offset:1056
	s_waitcnt lgkmcnt(0)
	v_mul_f32_e32 v30, v20, v11
	v_mul_f32_e32 v11, v19, v11
	v_fmac_f32_e32 v11, v20, v10
	v_fma_f32 v30, v19, v10, -v30
	v_add_f32_e32 v27, v27, v11
	v_mul_f32_e32 v10, v20, v13
	v_mul_f32_e32 v11, v19, v13
	v_fma_f32 v10, v19, v12, -v10
	v_fmac_f32_e32 v11, v20, v12
	v_add_f32_e32 v19, v28, v10
	v_add_f32_e32 v20, v29, v11
	ds_read2_b64 v[10:13], v17 offset0:160 offset1:176
	v_add_f32_e32 v26, v26, v30
	s_waitcnt lgkmcnt(0)
	v_mul_f32_e32 v28, v33, v11
	v_fma_f32 v28, v32, v10, -v28
	v_add_f32_e32 v14, v14, v28
	v_mul_f32_e32 v28, v33, v13
	v_fma_f32 v28, v32, v12, -v28
	v_mul_f32_e32 v29, v32, v11
	v_add_f32_e32 v25, v25, v28
	v_mul_f32_e32 v28, v22, v11
	v_mul_f32_e32 v11, v21, v11
	v_fmac_f32_e32 v11, v22, v10
	v_fmac_f32_e32 v29, v33, v10
	v_fma_f32 v28, v21, v10, -v28
	v_add_f32_e32 v27, v27, v11
	v_mul_f32_e32 v10, v22, v13
	v_mul_f32_e32 v11, v21, v13
	v_add_f32_e32 v23, v23, v29
	v_mul_f32_e32 v29, v32, v13
	v_fma_f32 v10, v21, v12, -v10
	v_fmac_f32_e32 v11, v22, v12
	v_fmac_f32_e32 v29, v33, v12
	v_add_f32_e32 v26, v26, v28
	v_add_f32_e32 v19, v19, v10
	;; [unrolled: 1-line block ×3, first 2 shown]
	ds_read2_b64 v[10:13], v17 offset0:192 offset1:208
	v_add_f32_e32 v24, v24, v29
	s_waitcnt lgkmcnt(0)
	v_mul_f32_e32 v20, v3, v11
	v_fma_f32 v20, v2, v10, -v20
	v_mul_f32_e32 v21, v2, v11
	v_add_f32_e32 v14, v14, v20
	v_mul_f32_e32 v20, v3, v13
	v_fmac_f32_e32 v21, v3, v10
	v_fma_f32 v20, v2, v12, -v20
	v_mul_f32_e32 v2, v2, v13
	v_add_f32_e32 v29, v23, v21
	v_fmac_f32_e32 v2, v3, v12
	v_add_f32_e32 v3, v25, v20
	ds_read_b128 v[20:23], v18 offset:1072
	v_add_f32_e32 v2, v24, v2
	s_waitcnt lgkmcnt(0)
	v_mul_f32_e32 v24, v21, v11
	v_fma_f32 v24, v20, v10, -v24
	v_mul_f32_e32 v11, v20, v11
	v_fmac_f32_e32 v11, v21, v10
	v_add_f32_e32 v10, v26, v24
	v_mul_f32_e32 v24, v21, v13
	v_fma_f32 v24, v20, v12, -v24
	v_add_f32_e32 v11, v27, v11
	v_add_f32_e32 v30, v19, v24
	ds_read2_b64 v[24:27], v17 offset0:224 offset1:240
	v_mul_f32_e32 v13, v20, v13
	v_fmac_f32_e32 v13, v21, v12
	v_add_f32_e32 v28, v28, v13
	s_waitcnt lgkmcnt(0)
	v_mul_f32_e32 v12, v5, v25
	v_fma_f32 v12, v4, v24, -v12
	v_add_f32_e32 v14, v14, v12
	v_mul_f32_e32 v12, v5, v27
	v_mul_f32_e32 v13, v4, v25
	v_fma_f32 v12, v4, v26, -v12
	v_mul_f32_e32 v4, v4, v27
	v_fmac_f32_e32 v13, v5, v24
	v_fmac_f32_e32 v4, v5, v26
	v_add_f32_e32 v21, v29, v13
	v_add_f32_e32 v13, v3, v12
	v_add_f32_e32 v20, v2, v4
	v_mul_f32_e32 v2, v23, v25
	v_mul_f32_e32 v3, v22, v25
	v_fma_f32 v2, v22, v24, -v2
	v_fmac_f32_e32 v3, v23, v24
	v_add_f32_e32 v12, v10, v2
	v_add_f32_e32 v19, v11, v3
	v_mul_f32_e32 v2, v23, v27
	v_mul_f32_e32 v3, v22, v27
	v_fma_f32 v2, v22, v26, -v2
	v_fmac_f32_e32 v3, v23, v26
	v_add_f32_e32 v11, v30, v2
	v_add_f32_e32 v10, v28, v3
	v_mov_b32_e32 v3, s1
	v_mov_b32_e32 v2, s0
	v_cmp_le_u64_e32 vcc, s[12:13], v[2:3]
	s_barrier
	s_cbranch_vccz .LBB1712_2
	s_branch .LBB1712_4
.LBB1712_3:
	v_mov_b32_e32 v21, 0
	v_mov_b32_e32 v14, 0
	v_mov_b32_e32 v13, 0
	v_mov_b32_e32 v20, 0
	v_mov_b32_e32 v12, 0
	v_mov_b32_e32 v19, 0
	v_mov_b32_e32 v11, 0
	v_mov_b32_e32 v10, 0
.LBB1712_4:
	v_add_u32_e32 v4, s7, v1
	v_ashrrev_i32_e32 v1, 31, v4
	v_mul_lo_u32 v3, s2, v1
	v_mul_lo_u32 v5, s3, v4
	v_mad_u64_u32 v[1:2], s[0:1], s2, v4, 0
	s_load_dword s10, s[4:5], 0x0
	v_add_u32_e32 v0, s6, v0
	v_add3_u32 v2, v2, v3, v5
	v_lshlrev_b64 v[1:2], 3, v[1:2]
	s_waitcnt lgkmcnt(0)
	v_mov_b32_e32 v3, s9
	v_add_co_u32_e64 v5, s[0:1], s8, v1
	v_addc_co_u32_e64 v6, s[0:1], v3, v2, s[0:1]
	v_cmp_gt_i32_e32 vcc, s10, v4
	v_cmp_le_i32_e64 s[0:1], v0, v4
	s_and_b64 s[0:1], vcc, s[0:1]
	s_and_saveexec_b64 s[4:5], s[0:1]
	s_cbranch_execz .LBB1712_6
; %bb.5:
	v_ashrrev_i32_e32 v1, 31, v0
	v_lshlrev_b64 v[1:2], 3, v[0:1]
	v_add_co_u32_e64 v1, s[0:1], v5, v1
	v_addc_co_u32_e64 v2, s[0:1], v6, v2, s[0:1]
	v_cmp_ne_u32_e64 s[0:1], v4, v0
	v_cndmask_b32_e64 v15, 0, v21, s[0:1]
	flat_store_dwordx2 v[1:2], v[14:15]
.LBB1712_6:
	s_or_b64 exec, exec, s[4:5]
	v_add_u32_e32 v2, 16, v0
	v_cmp_le_i32_e64 s[0:1], v2, v4
	s_and_b64 s[4:5], vcc, s[0:1]
	s_and_saveexec_b64 s[0:1], s[4:5]
	s_cbranch_execz .LBB1712_8
; %bb.7:
	v_ashrrev_i32_e32 v3, 31, v2
	v_lshlrev_b64 v[7:8], 3, v[2:3]
	v_add_co_u32_e32 v5, vcc, v5, v7
	v_addc_co_u32_e32 v6, vcc, v6, v8, vcc
	v_cmp_ne_u32_e32 vcc, v4, v2
	v_cndmask_b32_e32 v14, 0, v20, vcc
	flat_store_dwordx2 v[5:6], v[13:14]
.LBB1712_8:
	s_or_b64 exec, exec, s[0:1]
	v_add_u32_e32 v3, 16, v4
	v_ashrrev_i32_e32 v1, 31, v3
	v_mul_lo_u32 v1, s2, v1
	v_mul_lo_u32 v7, s3, v3
	v_mad_u64_u32 v[5:6], s[0:1], s2, v3, 0
	v_cmp_gt_i32_e32 vcc, s10, v3
	v_add3_u32 v6, v6, v1, v7
	v_lshlrev_b64 v[5:6], 3, v[5:6]
	v_mov_b32_e32 v1, s9
	v_add_co_u32_e64 v5, s[0:1], s8, v5
	v_addc_co_u32_e64 v6, s[0:1], v1, v6, s[0:1]
	v_cmp_le_i32_e64 s[0:1], v0, v3
	s_and_b64 s[0:1], vcc, s[0:1]
	s_and_saveexec_b64 s[2:3], s[0:1]
	s_cbranch_execz .LBB1712_10
; %bb.9:
	v_ashrrev_i32_e32 v1, 31, v0
	v_lshlrev_b64 v[7:8], 3, v[0:1]
	v_add_co_u32_e64 v7, s[0:1], v5, v7
	v_addc_co_u32_e64 v8, s[0:1], v6, v8, s[0:1]
	v_cmp_ne_u32_e64 s[0:1], v3, v0
	v_cndmask_b32_e64 v13, 0, v19, s[0:1]
	flat_store_dwordx2 v[7:8], v[12:13]
.LBB1712_10:
	s_or_b64 exec, exec, s[2:3]
	v_cmp_le_i32_e64 s[0:1], v2, v3
	s_and_b64 s[0:1], vcc, s[0:1]
	s_and_saveexec_b64 s[2:3], s[0:1]
	s_cbranch_execz .LBB1712_12
; %bb.11:
	v_ashrrev_i32_e32 v3, 31, v2
	v_lshlrev_b64 v[1:2], 3, v[2:3]
	v_add_co_u32_e32 v1, vcc, v5, v1
	v_addc_co_u32_e32 v2, vcc, v6, v2, vcc
	v_cmp_ne_u32_e32 vcc, v4, v0
	v_cndmask_b32_e32 v12, 0, v10, vcc
	flat_store_dwordx2 v[1:2], v[11:12]
.LBB1712_12:
	s_endpgm
	.section	.rodata,"a",@progbits
	.p2align	6, 0x0
	.amdhsa_kernel _ZL37rocblas_syrkx_herkx_restricted_kernelIl19rocblas_complex_numIfELi16ELi32ELi8ELi1ELi0ELb1ELc67ELc85EKPKS1_KPS1_EviT_PT9_S7_lS9_S7_lPT10_S7_li
		.amdhsa_group_segment_fixed_size 4096
		.amdhsa_private_segment_fixed_size 0
		.amdhsa_kernarg_size 92
		.amdhsa_user_sgpr_count 6
		.amdhsa_user_sgpr_private_segment_buffer 1
		.amdhsa_user_sgpr_dispatch_ptr 0
		.amdhsa_user_sgpr_queue_ptr 0
		.amdhsa_user_sgpr_kernarg_segment_ptr 1
		.amdhsa_user_sgpr_dispatch_id 0
		.amdhsa_user_sgpr_flat_scratch_init 0
		.amdhsa_user_sgpr_private_segment_size 0
		.amdhsa_uses_dynamic_stack 0
		.amdhsa_system_sgpr_private_segment_wavefront_offset 0
		.amdhsa_system_sgpr_workgroup_id_x 1
		.amdhsa_system_sgpr_workgroup_id_y 1
		.amdhsa_system_sgpr_workgroup_id_z 1
		.amdhsa_system_sgpr_workgroup_info 0
		.amdhsa_system_vgpr_workitem_id 1
		.amdhsa_next_free_vgpr 41
		.amdhsa_next_free_sgpr 20
		.amdhsa_reserve_vcc 1
		.amdhsa_reserve_flat_scratch 0
		.amdhsa_float_round_mode_32 0
		.amdhsa_float_round_mode_16_64 0
		.amdhsa_float_denorm_mode_32 3
		.amdhsa_float_denorm_mode_16_64 3
		.amdhsa_dx10_clamp 1
		.amdhsa_ieee_mode 1
		.amdhsa_fp16_overflow 0
		.amdhsa_exception_fp_ieee_invalid_op 0
		.amdhsa_exception_fp_denorm_src 0
		.amdhsa_exception_fp_ieee_div_zero 0
		.amdhsa_exception_fp_ieee_overflow 0
		.amdhsa_exception_fp_ieee_underflow 0
		.amdhsa_exception_fp_ieee_inexact 0
		.amdhsa_exception_int_div_zero 0
	.end_amdhsa_kernel
	.section	.text._ZL37rocblas_syrkx_herkx_restricted_kernelIl19rocblas_complex_numIfELi16ELi32ELi8ELi1ELi0ELb1ELc67ELc85EKPKS1_KPS1_EviT_PT9_S7_lS9_S7_lPT10_S7_li,"axG",@progbits,_ZL37rocblas_syrkx_herkx_restricted_kernelIl19rocblas_complex_numIfELi16ELi32ELi8ELi1ELi0ELb1ELc67ELc85EKPKS1_KPS1_EviT_PT9_S7_lS9_S7_lPT10_S7_li,comdat
.Lfunc_end1712:
	.size	_ZL37rocblas_syrkx_herkx_restricted_kernelIl19rocblas_complex_numIfELi16ELi32ELi8ELi1ELi0ELb1ELc67ELc85EKPKS1_KPS1_EviT_PT9_S7_lS9_S7_lPT10_S7_li, .Lfunc_end1712-_ZL37rocblas_syrkx_herkx_restricted_kernelIl19rocblas_complex_numIfELi16ELi32ELi8ELi1ELi0ELb1ELc67ELc85EKPKS1_KPS1_EviT_PT9_S7_lS9_S7_lPT10_S7_li
                                        ; -- End function
	.set _ZL37rocblas_syrkx_herkx_restricted_kernelIl19rocblas_complex_numIfELi16ELi32ELi8ELi1ELi0ELb1ELc67ELc85EKPKS1_KPS1_EviT_PT9_S7_lS9_S7_lPT10_S7_li.num_vgpr, 41
	.set _ZL37rocblas_syrkx_herkx_restricted_kernelIl19rocblas_complex_numIfELi16ELi32ELi8ELi1ELi0ELb1ELc67ELc85EKPKS1_KPS1_EviT_PT9_S7_lS9_S7_lPT10_S7_li.num_agpr, 0
	.set _ZL37rocblas_syrkx_herkx_restricted_kernelIl19rocblas_complex_numIfELi16ELi32ELi8ELi1ELi0ELb1ELc67ELc85EKPKS1_KPS1_EviT_PT9_S7_lS9_S7_lPT10_S7_li.numbered_sgpr, 20
	.set _ZL37rocblas_syrkx_herkx_restricted_kernelIl19rocblas_complex_numIfELi16ELi32ELi8ELi1ELi0ELb1ELc67ELc85EKPKS1_KPS1_EviT_PT9_S7_lS9_S7_lPT10_S7_li.num_named_barrier, 0
	.set _ZL37rocblas_syrkx_herkx_restricted_kernelIl19rocblas_complex_numIfELi16ELi32ELi8ELi1ELi0ELb1ELc67ELc85EKPKS1_KPS1_EviT_PT9_S7_lS9_S7_lPT10_S7_li.private_seg_size, 0
	.set _ZL37rocblas_syrkx_herkx_restricted_kernelIl19rocblas_complex_numIfELi16ELi32ELi8ELi1ELi0ELb1ELc67ELc85EKPKS1_KPS1_EviT_PT9_S7_lS9_S7_lPT10_S7_li.uses_vcc, 1
	.set _ZL37rocblas_syrkx_herkx_restricted_kernelIl19rocblas_complex_numIfELi16ELi32ELi8ELi1ELi0ELb1ELc67ELc85EKPKS1_KPS1_EviT_PT9_S7_lS9_S7_lPT10_S7_li.uses_flat_scratch, 0
	.set _ZL37rocblas_syrkx_herkx_restricted_kernelIl19rocblas_complex_numIfELi16ELi32ELi8ELi1ELi0ELb1ELc67ELc85EKPKS1_KPS1_EviT_PT9_S7_lS9_S7_lPT10_S7_li.has_dyn_sized_stack, 0
	.set _ZL37rocblas_syrkx_herkx_restricted_kernelIl19rocblas_complex_numIfELi16ELi32ELi8ELi1ELi0ELb1ELc67ELc85EKPKS1_KPS1_EviT_PT9_S7_lS9_S7_lPT10_S7_li.has_recursion, 0
	.set _ZL37rocblas_syrkx_herkx_restricted_kernelIl19rocblas_complex_numIfELi16ELi32ELi8ELi1ELi0ELb1ELc67ELc85EKPKS1_KPS1_EviT_PT9_S7_lS9_S7_lPT10_S7_li.has_indirect_call, 0
	.section	.AMDGPU.csdata,"",@progbits
; Kernel info:
; codeLenInByte = 2004
; TotalNumSgprs: 24
; NumVgprs: 41
; ScratchSize: 0
; MemoryBound: 0
; FloatMode: 240
; IeeeMode: 1
; LDSByteSize: 4096 bytes/workgroup (compile time only)
; SGPRBlocks: 2
; VGPRBlocks: 10
; NumSGPRsForWavesPerEU: 24
; NumVGPRsForWavesPerEU: 41
; Occupancy: 5
; WaveLimiterHint : 1
; COMPUTE_PGM_RSRC2:SCRATCH_EN: 0
; COMPUTE_PGM_RSRC2:USER_SGPR: 6
; COMPUTE_PGM_RSRC2:TRAP_HANDLER: 0
; COMPUTE_PGM_RSRC2:TGID_X_EN: 1
; COMPUTE_PGM_RSRC2:TGID_Y_EN: 1
; COMPUTE_PGM_RSRC2:TGID_Z_EN: 1
; COMPUTE_PGM_RSRC2:TIDIG_COMP_CNT: 1
	.section	.text._ZL37rocblas_syrkx_herkx_restricted_kernelIl19rocblas_complex_numIfELi16ELi32ELi8ELi1ELi0ELb1ELc78ELc85EKPKS1_KPS1_EviT_PT9_S7_lS9_S7_lPT10_S7_li,"axG",@progbits,_ZL37rocblas_syrkx_herkx_restricted_kernelIl19rocblas_complex_numIfELi16ELi32ELi8ELi1ELi0ELb1ELc78ELc85EKPKS1_KPS1_EviT_PT9_S7_lS9_S7_lPT10_S7_li,comdat
	.globl	_ZL37rocblas_syrkx_herkx_restricted_kernelIl19rocblas_complex_numIfELi16ELi32ELi8ELi1ELi0ELb1ELc78ELc85EKPKS1_KPS1_EviT_PT9_S7_lS9_S7_lPT10_S7_li ; -- Begin function _ZL37rocblas_syrkx_herkx_restricted_kernelIl19rocblas_complex_numIfELi16ELi32ELi8ELi1ELi0ELb1ELc78ELc85EKPKS1_KPS1_EviT_PT9_S7_lS9_S7_lPT10_S7_li
	.p2align	8
	.type	_ZL37rocblas_syrkx_herkx_restricted_kernelIl19rocblas_complex_numIfELi16ELi32ELi8ELi1ELi0ELb1ELc78ELc85EKPKS1_KPS1_EviT_PT9_S7_lS9_S7_lPT10_S7_li,@function
_ZL37rocblas_syrkx_herkx_restricted_kernelIl19rocblas_complex_numIfELi16ELi32ELi8ELi1ELi0ELb1ELc78ELc85EKPKS1_KPS1_EviT_PT9_S7_lS9_S7_lPT10_S7_li: ; @_ZL37rocblas_syrkx_herkx_restricted_kernelIl19rocblas_complex_numIfELi16ELi32ELi8ELi1ELi0ELb1ELc78ELc85EKPKS1_KPS1_EviT_PT9_S7_lS9_S7_lPT10_S7_li
; %bb.0:
	s_load_dwordx4 s[0:3], s[4:5], 0x40
	s_load_dwordx4 s[12:15], s[4:5], 0x8
	s_mov_b32 s9, 0
	s_lshl_b64 s[18:19], s[8:9], 3
	s_waitcnt lgkmcnt(0)
	s_add_u32 s0, s0, s18
	s_addc_u32 s1, s1, s19
	s_load_dwordx2 s[16:17], s[0:1], 0x0
	v_cmp_lt_i64_e64 s[0:1], s[12:13], 1
	s_lshl_b32 s20, s6, 5
	s_lshl_b32 s21, s7, 5
	s_and_b64 vcc, exec, s[0:1]
	s_cbranch_vccnz .LBB1713_3
; %bb.1:
	s_load_dwordx2 s[0:1], s[4:5], 0x18
	s_load_dwordx4 s[8:11], s[4:5], 0x28
	v_lshl_add_u32 v5, v1, 4, v0
	v_lshrrev_b32_e32 v7, 3, v5
	v_add_u32_e32 v2, s21, v7
	v_and_b32_e32 v6, 7, v0
	v_ashrrev_i32_e32 v3, 31, v2
	s_waitcnt lgkmcnt(0)
	v_mad_u64_u32 v[2:3], s[6:7], s10, v6, v[2:3]
	s_add_u32 s6, s14, s18
	s_addc_u32 s7, s15, s19
	v_mad_u64_u32 v[3:4], s[14:15], s11, v6, v[3:4]
	v_and_b32_e32 v4, 31, v5
	v_lshrrev_b32_e32 v8, 5, v5
	v_lshlrev_b32_e32 v5, 3, v4
	v_add_u32_e32 v4, s20, v4
	v_lshl_or_b32 v14, v8, 8, v5
	v_ashrrev_i32_e32 v5, 31, v4
	v_mad_u64_u32 v[4:5], s[14:15], s0, v8, v[4:5]
	v_lshlrev_b32_e32 v6, 3, v6
	v_lshl_or_b32 v6, v7, 6, v6
	v_add_u32_e32 v15, 0x800, v6
	v_mad_u64_u32 v[5:6], s[14:15], s1, v8, v[5:6]
	s_load_dwordx2 s[6:7], s[6:7], 0x0
	s_add_u32 s8, s8, s18
	s_addc_u32 s9, s9, s19
	s_load_dwordx2 s[8:9], s[8:9], 0x0
	v_lshlrev_b64 v[4:5], 3, v[4:5]
	v_mov_b32_e32 v6, 0x800
	v_lshl_add_u32 v17, v1, 6, v6
	s_waitcnt lgkmcnt(0)
	v_mov_b32_e32 v7, s7
	v_add_co_u32_e32 v6, vcc, s6, v4
	v_lshlrev_b64 v[2:3], 3, v[2:3]
	v_addc_co_u32_e32 v7, vcc, v7, v5, vcc
	s_lshl_b64 s[0:1], s[0:1], 6
	v_mov_b32_e32 v4, s9
	v_add_co_u32_e32 v8, vcc, s8, v2
	s_lshl_b64 s[6:7], s[10:11], 6
	v_lshlrev_b32_e32 v16, 3, v0
	v_addc_co_u32_e32 v9, vcc, v4, v3, vcc
	v_mov_b32_e32 v20, 0
	s_mov_b64 s[8:9], 0
	v_mov_b32_e32 v18, s1
	v_mov_b32_e32 v19, s7
	;; [unrolled: 1-line block ×9, first 2 shown]
.LBB1713_2:                             ; =>This Inner Loop Header: Depth=1
	flat_load_dwordx2 v[2:3], v[6:7]
	v_add_co_u32_e32 v6, vcc, s0, v6
	s_add_u32 s8, s8, 8
	v_addc_co_u32_e32 v7, vcc, v7, v18, vcc
	s_addc_u32 s9, s9, 0
	s_waitcnt vmcnt(0) lgkmcnt(0)
	ds_write_b64 v14, v[2:3]
	flat_load_dwordx2 v[2:3], v[8:9]
	v_add_co_u32_e32 v8, vcc, s6, v8
	v_addc_co_u32_e32 v9, vcc, v9, v19, vcc
	s_waitcnt vmcnt(0) lgkmcnt(0)
	v_xor_b32_e32 v3, 0x80000000, v3
	ds_write_b64 v15, v[2:3]
	s_waitcnt lgkmcnt(0)
	s_barrier
	ds_read_b128 v[24:27], v17
	ds_read_b128 v[28:31], v17 offset:16
	ds_read_b128 v[32:35], v17 offset:32
	;; [unrolled: 1-line block ×3, first 2 shown]
	ds_read2_b64 v[36:39], v16 offset1:16
	s_waitcnt lgkmcnt(0)
	v_mul_f32_e32 v41, v24, v37
	v_mul_f32_e32 v40, v25, v37
	v_fmac_f32_e32 v41, v25, v36
	v_fma_f32 v40, v24, v36, -v40
	v_add_f32_e32 v41, v23, v41
	v_mul_f32_e32 v23, v24, v39
	v_add_f32_e32 v40, v13, v40
	v_mul_f32_e32 v13, v25, v39
	v_fmac_f32_e32 v23, v25, v38
	v_fma_f32 v13, v24, v38, -v13
	v_add_f32_e32 v43, v22, v23
	ds_read_b128 v[22:25], v17 offset:1024
	v_add_f32_e32 v42, v12, v13
	s_waitcnt lgkmcnt(0)
	v_mul_f32_e32 v12, v23, v37
	v_fma_f32 v12, v22, v36, -v12
	v_mul_f32_e32 v13, v22, v37
	v_fmac_f32_e32 v13, v23, v36
	v_add_f32_e32 v36, v11, v12
	v_mul_f32_e32 v11, v23, v39
	v_mul_f32_e32 v12, v22, v39
	v_fma_f32 v11, v22, v38, -v11
	v_fmac_f32_e32 v12, v23, v38
	v_add_f32_e32 v21, v21, v13
	v_add_f32_e32 v22, v10, v11
	;; [unrolled: 1-line block ×3, first 2 shown]
	ds_read2_b64 v[10:13], v16 offset0:32 offset1:48
	s_waitcnt lgkmcnt(0)
	v_mul_f32_e32 v23, v27, v11
	v_mul_f32_e32 v38, v27, v13
	v_fma_f32 v23, v26, v10, -v23
	v_mul_f32_e32 v37, v26, v11
	v_fma_f32 v38, v26, v12, -v38
	v_mul_f32_e32 v26, v26, v13
	v_fmac_f32_e32 v37, v27, v10
	v_fmac_f32_e32 v26, v27, v12
	v_add_f32_e32 v27, v42, v38
	v_mul_f32_e32 v38, v25, v11
	v_mul_f32_e32 v11, v24, v11
	v_fma_f32 v38, v24, v10, -v38
	v_fmac_f32_e32 v11, v25, v10
	v_add_f32_e32 v36, v36, v38
	v_add_f32_e32 v38, v21, v11
	v_mul_f32_e32 v10, v25, v13
	v_mul_f32_e32 v11, v24, v13
	v_fma_f32 v10, v24, v12, -v10
	v_fmac_f32_e32 v11, v25, v12
	v_add_f32_e32 v24, v22, v10
	v_add_f32_e32 v25, v20, v11
	ds_read2_b64 v[10:13], v16 offset0:64 offset1:80
	v_add_f32_e32 v23, v40, v23
	v_add_f32_e32 v37, v41, v37
	;; [unrolled: 1-line block ×3, first 2 shown]
	s_waitcnt lgkmcnt(0)
	v_mul_f32_e32 v20, v29, v11
	v_mul_f32_e32 v21, v28, v11
	v_fma_f32 v20, v28, v10, -v20
	v_fmac_f32_e32 v21, v29, v10
	v_add_f32_e32 v39, v23, v20
	v_add_f32_e32 v37, v37, v21
	v_mul_f32_e32 v20, v29, v13
	v_mul_f32_e32 v21, v28, v13
	v_fma_f32 v20, v28, v12, -v20
	v_fmac_f32_e32 v21, v29, v12
	v_add_f32_e32 v27, v27, v20
	v_add_f32_e32 v26, v26, v21
	ds_read_b128 v[20:23], v17 offset:1040
	s_waitcnt lgkmcnt(0)
	v_mul_f32_e32 v28, v21, v11
	v_mul_f32_e32 v11, v20, v11
	v_fmac_f32_e32 v11, v21, v10
	v_fma_f32 v28, v20, v10, -v28
	v_add_f32_e32 v29, v38, v11
	v_mul_f32_e32 v10, v21, v13
	v_mul_f32_e32 v11, v20, v13
	v_fma_f32 v10, v20, v12, -v10
	v_fmac_f32_e32 v11, v21, v12
	v_add_f32_e32 v20, v24, v10
	v_add_f32_e32 v21, v25, v11
	ds_read2_b64 v[10:13], v16 offset0:96 offset1:112
	v_add_f32_e32 v28, v36, v28
	s_waitcnt lgkmcnt(0)
	v_mul_f32_e32 v24, v31, v11
	v_mul_f32_e32 v36, v31, v13
	v_fma_f32 v24, v30, v10, -v24
	v_mul_f32_e32 v25, v30, v11
	v_fma_f32 v36, v30, v12, -v36
	v_mul_f32_e32 v30, v30, v13
	v_fmac_f32_e32 v30, v31, v12
	v_add_f32_e32 v26, v26, v30
	v_mul_f32_e32 v30, v23, v11
	v_mul_f32_e32 v11, v22, v11
	v_fmac_f32_e32 v11, v23, v10
	v_fmac_f32_e32 v25, v31, v10
	v_fma_f32 v30, v22, v10, -v30
	v_add_f32_e32 v29, v29, v11
	v_mul_f32_e32 v10, v23, v13
	v_mul_f32_e32 v11, v22, v13
	v_fma_f32 v10, v22, v12, -v10
	v_fmac_f32_e32 v11, v23, v12
	v_add_f32_e32 v28, v28, v30
	v_add_f32_e32 v30, v20, v10
	v_add_f32_e32 v31, v21, v11
	ds_read2_b64 v[10:13], v16 offset0:128 offset1:144
	v_add_f32_e32 v24, v39, v24
	v_add_f32_e32 v25, v37, v25
	;; [unrolled: 1-line block ×3, first 2 shown]
	s_waitcnt lgkmcnt(0)
	v_mul_f32_e32 v20, v33, v11
	v_mul_f32_e32 v21, v32, v11
	v_fma_f32 v20, v32, v10, -v20
	v_fmac_f32_e32 v21, v33, v10
	v_add_f32_e32 v24, v24, v20
	v_add_f32_e32 v25, v25, v21
	v_mul_f32_e32 v20, v33, v13
	v_mul_f32_e32 v21, v32, v13
	v_fma_f32 v20, v32, v12, -v20
	v_fmac_f32_e32 v21, v33, v12
	v_add_f32_e32 v27, v27, v20
	v_add_f32_e32 v26, v26, v21
	ds_read_b128 v[20:23], v17 offset:1056
	s_waitcnt lgkmcnt(0)
	v_mul_f32_e32 v32, v21, v11
	v_mul_f32_e32 v11, v20, v11
	v_fmac_f32_e32 v11, v21, v10
	v_fma_f32 v32, v20, v10, -v32
	v_add_f32_e32 v29, v29, v11
	v_mul_f32_e32 v10, v21, v13
	v_mul_f32_e32 v11, v20, v13
	v_fma_f32 v10, v20, v12, -v10
	v_fmac_f32_e32 v11, v21, v12
	v_add_f32_e32 v20, v30, v10
	v_add_f32_e32 v21, v31, v11
	ds_read2_b64 v[10:13], v16 offset0:160 offset1:176
	v_add_f32_e32 v28, v28, v32
	s_waitcnt lgkmcnt(0)
	v_mul_f32_e32 v30, v35, v11
	v_fma_f32 v30, v34, v10, -v30
	v_add_f32_e32 v24, v24, v30
	v_mul_f32_e32 v30, v35, v13
	v_fma_f32 v30, v34, v12, -v30
	v_mul_f32_e32 v31, v34, v11
	v_add_f32_e32 v27, v27, v30
	v_mul_f32_e32 v30, v23, v11
	v_mul_f32_e32 v11, v22, v11
	v_fmac_f32_e32 v11, v23, v10
	v_fmac_f32_e32 v31, v35, v10
	v_fma_f32 v30, v22, v10, -v30
	v_add_f32_e32 v29, v29, v11
	v_mul_f32_e32 v10, v23, v13
	v_mul_f32_e32 v11, v22, v13
	v_add_f32_e32 v25, v25, v31
	v_mul_f32_e32 v31, v34, v13
	v_fma_f32 v10, v22, v12, -v10
	v_fmac_f32_e32 v11, v23, v12
	v_fmac_f32_e32 v31, v35, v12
	v_add_f32_e32 v20, v20, v10
	v_add_f32_e32 v21, v21, v11
	ds_read2_b64 v[10:13], v16 offset0:192 offset1:208
	v_add_f32_e32 v28, v28, v30
	v_add_f32_e32 v26, v26, v31
	s_waitcnt lgkmcnt(0)
	v_mul_f32_e32 v22, v3, v11
	v_fma_f32 v22, v2, v10, -v22
	v_mul_f32_e32 v23, v2, v11
	v_add_f32_e32 v30, v24, v22
	v_mul_f32_e32 v22, v3, v13
	v_fmac_f32_e32 v23, v3, v10
	v_fma_f32 v22, v2, v12, -v22
	v_mul_f32_e32 v2, v2, v13
	v_add_f32_e32 v31, v25, v23
	v_fmac_f32_e32 v2, v3, v12
	v_add_f32_e32 v3, v27, v22
	ds_read_b128 v[22:25], v17 offset:1072
	v_add_f32_e32 v2, v26, v2
	s_waitcnt lgkmcnt(0)
	v_mul_f32_e32 v26, v23, v11
	v_mul_f32_e32 v11, v22, v11
	v_fma_f32 v26, v22, v10, -v26
	v_fmac_f32_e32 v11, v23, v10
	v_add_f32_e32 v10, v28, v26
	v_add_f32_e32 v32, v29, v11
	ds_read2_b64 v[26:29], v16 offset0:224 offset1:240
	v_mul_f32_e32 v11, v23, v13
	v_fma_f32 v11, v22, v12, -v11
	v_mul_f32_e32 v13, v22, v13
	v_add_f32_e32 v20, v20, v11
	s_waitcnt lgkmcnt(0)
	v_mul_f32_e32 v11, v5, v27
	v_fmac_f32_e32 v13, v23, v12
	v_fma_f32 v11, v4, v26, -v11
	v_add_f32_e32 v33, v21, v13
	v_add_f32_e32 v13, v30, v11
	v_mul_f32_e32 v11, v5, v29
	v_mul_f32_e32 v12, v4, v27
	v_fma_f32 v11, v4, v28, -v11
	v_mul_f32_e32 v4, v4, v29
	v_fmac_f32_e32 v12, v5, v26
	v_fmac_f32_e32 v4, v5, v28
	v_add_f32_e32 v23, v31, v12
	v_add_f32_e32 v12, v3, v11
	;; [unrolled: 1-line block ×3, first 2 shown]
	v_mul_f32_e32 v2, v25, v27
	v_mul_f32_e32 v3, v24, v27
	v_fma_f32 v2, v24, v26, -v2
	v_fmac_f32_e32 v3, v25, v26
	v_add_f32_e32 v11, v10, v2
	v_add_f32_e32 v21, v32, v3
	v_mul_f32_e32 v2, v25, v29
	v_mul_f32_e32 v3, v24, v29
	v_fma_f32 v2, v24, v28, -v2
	v_fmac_f32_e32 v3, v25, v28
	v_add_f32_e32 v10, v20, v2
	v_add_f32_e32 v20, v33, v3
	v_mov_b32_e32 v2, s8
	v_mov_b32_e32 v3, s9
	v_cmp_le_u64_e32 vcc, s[12:13], v[2:3]
	s_barrier
	s_cbranch_vccz .LBB1713_2
	s_branch .LBB1713_4
.LBB1713_3:
	v_mov_b32_e32 v23, 0
	v_mov_b32_e32 v13, 0
	;; [unrolled: 1-line block ×8, first 2 shown]
.LBB1713_4:
	v_add_u32_e32 v4, s21, v1
	v_ashrrev_i32_e32 v1, 31, v4
	v_mul_lo_u32 v3, s2, v1
	v_mul_lo_u32 v5, s3, v4
	v_mad_u64_u32 v[1:2], s[0:1], s2, v4, 0
	s_load_dword s6, s[4:5], 0x0
	v_add_u32_e32 v0, s20, v0
	v_add3_u32 v2, v2, v3, v5
	v_lshlrev_b64 v[1:2], 3, v[1:2]
	s_waitcnt lgkmcnt(0)
	v_mov_b32_e32 v3, s17
	v_add_co_u32_e64 v5, s[0:1], s16, v1
	v_addc_co_u32_e64 v6, s[0:1], v3, v2, s[0:1]
	v_cmp_gt_i32_e32 vcc, s6, v4
	v_cmp_le_i32_e64 s[0:1], v0, v4
	s_and_b64 s[0:1], vcc, s[0:1]
	s_and_saveexec_b64 s[4:5], s[0:1]
	s_cbranch_execz .LBB1713_6
; %bb.5:
	v_ashrrev_i32_e32 v1, 31, v0
	v_lshlrev_b64 v[1:2], 3, v[0:1]
	v_add_co_u32_e64 v1, s[0:1], v5, v1
	v_addc_co_u32_e64 v2, s[0:1], v6, v2, s[0:1]
	v_cmp_ne_u32_e64 s[0:1], v4, v0
	v_cndmask_b32_e64 v14, 0, v23, s[0:1]
	flat_store_dwordx2 v[1:2], v[13:14]
.LBB1713_6:
	s_or_b64 exec, exec, s[4:5]
	v_add_u32_e32 v2, 16, v0
	v_cmp_le_i32_e64 s[0:1], v2, v4
	s_and_b64 s[4:5], vcc, s[0:1]
	s_and_saveexec_b64 s[0:1], s[4:5]
	s_cbranch_execz .LBB1713_8
; %bb.7:
	v_ashrrev_i32_e32 v3, 31, v2
	v_lshlrev_b64 v[7:8], 3, v[2:3]
	v_add_co_u32_e32 v5, vcc, v5, v7
	v_addc_co_u32_e32 v6, vcc, v6, v8, vcc
	v_cmp_ne_u32_e32 vcc, v4, v2
	v_cndmask_b32_e32 v13, 0, v22, vcc
	flat_store_dwordx2 v[5:6], v[12:13]
.LBB1713_8:
	s_or_b64 exec, exec, s[0:1]
	v_add_u32_e32 v3, 16, v4
	v_ashrrev_i32_e32 v1, 31, v3
	v_mul_lo_u32 v1, s2, v1
	v_mul_lo_u32 v7, s3, v3
	v_mad_u64_u32 v[5:6], s[0:1], s2, v3, 0
	v_cmp_gt_i32_e32 vcc, s6, v3
	v_add3_u32 v6, v6, v1, v7
	v_lshlrev_b64 v[5:6], 3, v[5:6]
	v_mov_b32_e32 v1, s17
	v_add_co_u32_e64 v5, s[0:1], s16, v5
	v_addc_co_u32_e64 v6, s[0:1], v1, v6, s[0:1]
	v_cmp_le_i32_e64 s[0:1], v0, v3
	s_and_b64 s[0:1], vcc, s[0:1]
	s_and_saveexec_b64 s[2:3], s[0:1]
	s_cbranch_execz .LBB1713_10
; %bb.9:
	v_ashrrev_i32_e32 v1, 31, v0
	v_lshlrev_b64 v[7:8], 3, v[0:1]
	v_add_co_u32_e64 v7, s[0:1], v5, v7
	v_addc_co_u32_e64 v8, s[0:1], v6, v8, s[0:1]
	v_cmp_ne_u32_e64 s[0:1], v3, v0
	v_cndmask_b32_e64 v12, 0, v21, s[0:1]
	flat_store_dwordx2 v[7:8], v[11:12]
.LBB1713_10:
	s_or_b64 exec, exec, s[2:3]
	v_cmp_le_i32_e64 s[0:1], v2, v3
	s_and_b64 s[0:1], vcc, s[0:1]
	s_and_saveexec_b64 s[2:3], s[0:1]
	s_cbranch_execz .LBB1713_12
; %bb.11:
	v_ashrrev_i32_e32 v3, 31, v2
	v_lshlrev_b64 v[1:2], 3, v[2:3]
	v_add_co_u32_e32 v1, vcc, v5, v1
	v_addc_co_u32_e32 v2, vcc, v6, v2, vcc
	v_cmp_ne_u32_e32 vcc, v4, v0
	v_cndmask_b32_e32 v11, 0, v20, vcc
	flat_store_dwordx2 v[1:2], v[10:11]
.LBB1713_12:
	s_endpgm
	.section	.rodata,"a",@progbits
	.p2align	6, 0x0
	.amdhsa_kernel _ZL37rocblas_syrkx_herkx_restricted_kernelIl19rocblas_complex_numIfELi16ELi32ELi8ELi1ELi0ELb1ELc78ELc85EKPKS1_KPS1_EviT_PT9_S7_lS9_S7_lPT10_S7_li
		.amdhsa_group_segment_fixed_size 4096
		.amdhsa_private_segment_fixed_size 0
		.amdhsa_kernarg_size 92
		.amdhsa_user_sgpr_count 6
		.amdhsa_user_sgpr_private_segment_buffer 1
		.amdhsa_user_sgpr_dispatch_ptr 0
		.amdhsa_user_sgpr_queue_ptr 0
		.amdhsa_user_sgpr_kernarg_segment_ptr 1
		.amdhsa_user_sgpr_dispatch_id 0
		.amdhsa_user_sgpr_flat_scratch_init 0
		.amdhsa_user_sgpr_private_segment_size 0
		.amdhsa_uses_dynamic_stack 0
		.amdhsa_system_sgpr_private_segment_wavefront_offset 0
		.amdhsa_system_sgpr_workgroup_id_x 1
		.amdhsa_system_sgpr_workgroup_id_y 1
		.amdhsa_system_sgpr_workgroup_id_z 1
		.amdhsa_system_sgpr_workgroup_info 0
		.amdhsa_system_vgpr_workitem_id 1
		.amdhsa_next_free_vgpr 44
		.amdhsa_next_free_sgpr 22
		.amdhsa_reserve_vcc 1
		.amdhsa_reserve_flat_scratch 0
		.amdhsa_float_round_mode_32 0
		.amdhsa_float_round_mode_16_64 0
		.amdhsa_float_denorm_mode_32 3
		.amdhsa_float_denorm_mode_16_64 3
		.amdhsa_dx10_clamp 1
		.amdhsa_ieee_mode 1
		.amdhsa_fp16_overflow 0
		.amdhsa_exception_fp_ieee_invalid_op 0
		.amdhsa_exception_fp_denorm_src 0
		.amdhsa_exception_fp_ieee_div_zero 0
		.amdhsa_exception_fp_ieee_overflow 0
		.amdhsa_exception_fp_ieee_underflow 0
		.amdhsa_exception_fp_ieee_inexact 0
		.amdhsa_exception_int_div_zero 0
	.end_amdhsa_kernel
	.section	.text._ZL37rocblas_syrkx_herkx_restricted_kernelIl19rocblas_complex_numIfELi16ELi32ELi8ELi1ELi0ELb1ELc78ELc85EKPKS1_KPS1_EviT_PT9_S7_lS9_S7_lPT10_S7_li,"axG",@progbits,_ZL37rocblas_syrkx_herkx_restricted_kernelIl19rocblas_complex_numIfELi16ELi32ELi8ELi1ELi0ELb1ELc78ELc85EKPKS1_KPS1_EviT_PT9_S7_lS9_S7_lPT10_S7_li,comdat
.Lfunc_end1713:
	.size	_ZL37rocblas_syrkx_herkx_restricted_kernelIl19rocblas_complex_numIfELi16ELi32ELi8ELi1ELi0ELb1ELc78ELc85EKPKS1_KPS1_EviT_PT9_S7_lS9_S7_lPT10_S7_li, .Lfunc_end1713-_ZL37rocblas_syrkx_herkx_restricted_kernelIl19rocblas_complex_numIfELi16ELi32ELi8ELi1ELi0ELb1ELc78ELc85EKPKS1_KPS1_EviT_PT9_S7_lS9_S7_lPT10_S7_li
                                        ; -- End function
	.set _ZL37rocblas_syrkx_herkx_restricted_kernelIl19rocblas_complex_numIfELi16ELi32ELi8ELi1ELi0ELb1ELc78ELc85EKPKS1_KPS1_EviT_PT9_S7_lS9_S7_lPT10_S7_li.num_vgpr, 44
	.set _ZL37rocblas_syrkx_herkx_restricted_kernelIl19rocblas_complex_numIfELi16ELi32ELi8ELi1ELi0ELb1ELc78ELc85EKPKS1_KPS1_EviT_PT9_S7_lS9_S7_lPT10_S7_li.num_agpr, 0
	.set _ZL37rocblas_syrkx_herkx_restricted_kernelIl19rocblas_complex_numIfELi16ELi32ELi8ELi1ELi0ELb1ELc78ELc85EKPKS1_KPS1_EviT_PT9_S7_lS9_S7_lPT10_S7_li.numbered_sgpr, 22
	.set _ZL37rocblas_syrkx_herkx_restricted_kernelIl19rocblas_complex_numIfELi16ELi32ELi8ELi1ELi0ELb1ELc78ELc85EKPKS1_KPS1_EviT_PT9_S7_lS9_S7_lPT10_S7_li.num_named_barrier, 0
	.set _ZL37rocblas_syrkx_herkx_restricted_kernelIl19rocblas_complex_numIfELi16ELi32ELi8ELi1ELi0ELb1ELc78ELc85EKPKS1_KPS1_EviT_PT9_S7_lS9_S7_lPT10_S7_li.private_seg_size, 0
	.set _ZL37rocblas_syrkx_herkx_restricted_kernelIl19rocblas_complex_numIfELi16ELi32ELi8ELi1ELi0ELb1ELc78ELc85EKPKS1_KPS1_EviT_PT9_S7_lS9_S7_lPT10_S7_li.uses_vcc, 1
	.set _ZL37rocblas_syrkx_herkx_restricted_kernelIl19rocblas_complex_numIfELi16ELi32ELi8ELi1ELi0ELb1ELc78ELc85EKPKS1_KPS1_EviT_PT9_S7_lS9_S7_lPT10_S7_li.uses_flat_scratch, 0
	.set _ZL37rocblas_syrkx_herkx_restricted_kernelIl19rocblas_complex_numIfELi16ELi32ELi8ELi1ELi0ELb1ELc78ELc85EKPKS1_KPS1_EviT_PT9_S7_lS9_S7_lPT10_S7_li.has_dyn_sized_stack, 0
	.set _ZL37rocblas_syrkx_herkx_restricted_kernelIl19rocblas_complex_numIfELi16ELi32ELi8ELi1ELi0ELb1ELc78ELc85EKPKS1_KPS1_EviT_PT9_S7_lS9_S7_lPT10_S7_li.has_recursion, 0
	.set _ZL37rocblas_syrkx_herkx_restricted_kernelIl19rocblas_complex_numIfELi16ELi32ELi8ELi1ELi0ELb1ELc78ELc85EKPKS1_KPS1_EviT_PT9_S7_lS9_S7_lPT10_S7_li.has_indirect_call, 0
	.section	.AMDGPU.csdata,"",@progbits
; Kernel info:
; codeLenInByte = 1984
; TotalNumSgprs: 26
; NumVgprs: 44
; ScratchSize: 0
; MemoryBound: 0
; FloatMode: 240
; IeeeMode: 1
; LDSByteSize: 4096 bytes/workgroup (compile time only)
; SGPRBlocks: 3
; VGPRBlocks: 10
; NumSGPRsForWavesPerEU: 26
; NumVGPRsForWavesPerEU: 44
; Occupancy: 5
; WaveLimiterHint : 1
; COMPUTE_PGM_RSRC2:SCRATCH_EN: 0
; COMPUTE_PGM_RSRC2:USER_SGPR: 6
; COMPUTE_PGM_RSRC2:TRAP_HANDLER: 0
; COMPUTE_PGM_RSRC2:TGID_X_EN: 1
; COMPUTE_PGM_RSRC2:TGID_Y_EN: 1
; COMPUTE_PGM_RSRC2:TGID_Z_EN: 1
; COMPUTE_PGM_RSRC2:TIDIG_COMP_CNT: 1
	.section	.text._ZL37rocblas_syrkx_herkx_restricted_kernelIl19rocblas_complex_numIfELi16ELi32ELi8ELin1ELi0ELb1ELc84ELc76EKPKS1_KPS1_EviT_PT9_S7_lS9_S7_lPT10_S7_li,"axG",@progbits,_ZL37rocblas_syrkx_herkx_restricted_kernelIl19rocblas_complex_numIfELi16ELi32ELi8ELin1ELi0ELb1ELc84ELc76EKPKS1_KPS1_EviT_PT9_S7_lS9_S7_lPT10_S7_li,comdat
	.globl	_ZL37rocblas_syrkx_herkx_restricted_kernelIl19rocblas_complex_numIfELi16ELi32ELi8ELin1ELi0ELb1ELc84ELc76EKPKS1_KPS1_EviT_PT9_S7_lS9_S7_lPT10_S7_li ; -- Begin function _ZL37rocblas_syrkx_herkx_restricted_kernelIl19rocblas_complex_numIfELi16ELi32ELi8ELin1ELi0ELb1ELc84ELc76EKPKS1_KPS1_EviT_PT9_S7_lS9_S7_lPT10_S7_li
	.p2align	8
	.type	_ZL37rocblas_syrkx_herkx_restricted_kernelIl19rocblas_complex_numIfELi16ELi32ELi8ELin1ELi0ELb1ELc84ELc76EKPKS1_KPS1_EviT_PT9_S7_lS9_S7_lPT10_S7_li,@function
_ZL37rocblas_syrkx_herkx_restricted_kernelIl19rocblas_complex_numIfELi16ELi32ELi8ELin1ELi0ELb1ELc84ELc76EKPKS1_KPS1_EviT_PT9_S7_lS9_S7_lPT10_S7_li: ; @_ZL37rocblas_syrkx_herkx_restricted_kernelIl19rocblas_complex_numIfELi16ELi32ELi8ELin1ELi0ELb1ELc84ELc76EKPKS1_KPS1_EviT_PT9_S7_lS9_S7_lPT10_S7_li
; %bb.0:
	s_load_dwordx4 s[12:15], s[4:5], 0x40
	s_load_dwordx4 s[0:3], s[4:5], 0x8
	s_mov_b32 s9, 0
	s_lshl_b64 s[10:11], s[8:9], 3
	s_waitcnt lgkmcnt(0)
	s_add_u32 s8, s12, s10
	s_addc_u32 s9, s13, s11
	s_load_dwordx2 s[8:9], s[8:9], 0x0
	v_cmp_lt_i64_e64 s[12:13], s[0:1], 1
	s_lshl_b32 s6, s6, 5
	s_lshl_b32 s7, s7, 5
	s_and_b64 vcc, exec, s[12:13]
	s_cbranch_vccnz .LBB1714_3
; %bb.1:
	s_load_dwordx2 s[12:13], s[4:5], 0x18
	s_load_dwordx4 s[16:19], s[4:5], 0x28
	v_lshl_add_u32 v4, v1, 4, v0
	v_lshrrev_b32_e32 v6, 3, v4
	v_add_u32_e32 v2, s7, v6
	v_ashrrev_i32_e32 v3, 31, v2
	v_and_b32_e32 v9, 7, v0
	v_mov_b32_e32 v10, 0
	s_waitcnt lgkmcnt(0)
	v_mul_lo_u32 v5, s18, v3
	v_mul_lo_u32 v7, s19, v2
	v_mad_u64_u32 v[2:3], s[18:19], s18, v2, v[9:10]
	s_add_u32 s2, s2, s10
	s_addc_u32 s3, s3, s11
	v_add3_u32 v3, v7, v3, v5
	v_and_b32_e32 v7, 31, v4
	v_lshrrev_b32_e32 v4, 5, v4
	v_lshlrev_b32_e32 v8, 3, v7
	v_lshl_or_b32 v11, v4, 8, v8
	v_lshlrev_b32_e32 v8, 3, v9
	v_lshl_or_b32 v6, v6, 6, v8
	v_add_u32_e32 v12, 0x800, v6
	v_add_u32_e32 v6, s6, v7
	s_add_u32 s10, s16, s10
	v_mov_b32_e32 v5, v10
	v_ashrrev_i32_e32 v7, 31, v6
	s_addc_u32 s11, s17, s11
	v_mul_lo_u32 v7, s12, v7
	v_mad_u64_u32 v[4:5], s[16:17], s12, v6, v[4:5]
	v_mul_lo_u32 v6, s13, v6
	s_load_dwordx2 s[2:3], s[2:3], 0x0
	v_lshlrev_b64 v[2:3], 3, v[2:3]
	s_load_dwordx2 s[10:11], s[10:11], 0x0
	v_add3_u32 v5, v6, v5, v7
	v_lshlrev_b64 v[4:5], 3, v[4:5]
	s_waitcnt lgkmcnt(0)
	v_mov_b32_e32 v7, s3
	v_add_co_u32_e32 v6, vcc, s2, v4
	v_mov_b32_e32 v8, 0x800
	v_addc_co_u32_e32 v7, vcc, v7, v5, vcc
	v_lshl_add_u32 v14, v1, 6, v8
	v_mov_b32_e32 v4, s11
	v_add_co_u32_e32 v8, vcc, s10, v2
	v_lshlrev_b32_e32 v13, 3, v0
	v_addc_co_u32_e32 v9, vcc, v4, v3, vcc
	s_mov_b64 s[2:3], 0
	v_mov_b32_e32 v15, v10
	v_mov_b32_e32 v16, v10
	;; [unrolled: 1-line block ×7, first 2 shown]
.LBB1714_2:                             ; =>This Inner Loop Header: Depth=1
	flat_load_dwordx2 v[2:3], v[6:7]
	v_add_co_u32_e32 v6, vcc, 64, v6
	s_add_u32 s2, s2, 8
	v_addc_co_u32_e32 v7, vcc, 0, v7, vcc
	s_addc_u32 s3, s3, 0
	s_waitcnt vmcnt(0) lgkmcnt(0)
	ds_write_b64 v11, v[2:3]
	flat_load_dwordx2 v[2:3], v[8:9]
	v_add_co_u32_e32 v8, vcc, 64, v8
	v_addc_co_u32_e32 v9, vcc, 0, v9, vcc
	s_waitcnt vmcnt(0) lgkmcnt(0)
	ds_write_b64 v12, v[2:3]
	s_waitcnt lgkmcnt(0)
	s_barrier
	ds_read_b128 v[22:25], v14
	ds_read_b128 v[26:29], v14 offset:16
	ds_read_b128 v[30:33], v14 offset:32
	;; [unrolled: 1-line block ×3, first 2 shown]
	ds_read2_b64 v[34:37], v13 offset1:16
	s_waitcnt lgkmcnt(0)
	v_mul_f32_e32 v38, v23, v35
	v_mul_f32_e32 v39, v22, v35
	v_fma_f32 v38, v22, v34, -v38
	v_fmac_f32_e32 v39, v23, v34
	v_add_f32_e32 v38, v20, v38
	v_add_f32_e32 v39, v21, v39
	v_mul_f32_e32 v20, v23, v37
	v_mul_f32_e32 v21, v22, v37
	v_fma_f32 v20, v22, v36, -v20
	v_fmac_f32_e32 v21, v23, v36
	v_add_f32_e32 v22, v19, v20
	v_add_f32_e32 v23, v18, v21
	ds_read_b128 v[18:21], v14 offset:1024
	s_waitcnt lgkmcnt(0)
	v_mul_f32_e32 v40, v19, v35
	v_mul_f32_e32 v35, v18, v35
	v_fma_f32 v40, v18, v34, -v40
	v_fmac_f32_e32 v35, v19, v34
	v_add_f32_e32 v34, v17, v40
	v_add_f32_e32 v35, v16, v35
	v_mul_f32_e32 v16, v19, v37
	v_mul_f32_e32 v17, v18, v37
	v_fma_f32 v16, v18, v36, -v16
	v_fmac_f32_e32 v17, v19, v36
	v_add_f32_e32 v19, v15, v16
	v_add_f32_e32 v10, v10, v17
	ds_read2_b64 v[15:18], v13 offset0:32 offset1:48
	s_waitcnt lgkmcnt(0)
	v_mul_f32_e32 v36, v25, v16
	v_fma_f32 v36, v24, v15, -v36
	v_add_f32_e32 v36, v38, v36
	v_mul_f32_e32 v38, v25, v18
	v_mul_f32_e32 v37, v24, v16
	v_fma_f32 v38, v24, v17, -v38
	v_mul_f32_e32 v24, v24, v18
	v_fmac_f32_e32 v24, v25, v17
	v_add_f32_e32 v23, v23, v24
	v_mul_f32_e32 v24, v21, v16
	v_mul_f32_e32 v16, v20, v16
	v_fmac_f32_e32 v16, v21, v15
	v_fmac_f32_e32 v37, v25, v15
	v_fma_f32 v24, v20, v15, -v24
	v_add_f32_e32 v25, v35, v16
	v_mul_f32_e32 v15, v21, v18
	v_mul_f32_e32 v16, v20, v18
	v_fma_f32 v15, v20, v17, -v15
	v_fmac_f32_e32 v16, v21, v17
	v_add_f32_e32 v24, v34, v24
	v_add_f32_e32 v34, v19, v15
	;; [unrolled: 1-line block ×3, first 2 shown]
	ds_read2_b64 v[15:18], v13 offset0:64 offset1:80
	v_add_f32_e32 v37, v39, v37
	v_add_f32_e32 v22, v22, v38
	s_waitcnt lgkmcnt(0)
	v_mul_f32_e32 v19, v27, v16
	v_mul_f32_e32 v20, v26, v16
	v_fma_f32 v19, v26, v15, -v19
	v_fmac_f32_e32 v20, v27, v15
	v_add_f32_e32 v35, v36, v19
	v_add_f32_e32 v36, v37, v20
	v_mul_f32_e32 v19, v27, v18
	v_mul_f32_e32 v20, v26, v18
	v_fma_f32 v19, v26, v17, -v19
	v_fmac_f32_e32 v20, v27, v17
	v_add_f32_e32 v26, v22, v19
	v_add_f32_e32 v23, v23, v20
	ds_read_b128 v[19:22], v14 offset:1040
	s_waitcnt lgkmcnt(0)
	v_mul_f32_e32 v27, v20, v16
	v_mul_f32_e32 v16, v19, v16
	v_fmac_f32_e32 v16, v20, v15
	v_fma_f32 v27, v19, v15, -v27
	v_add_f32_e32 v25, v25, v16
	v_mul_f32_e32 v15, v20, v18
	v_mul_f32_e32 v16, v19, v18
	v_fma_f32 v15, v19, v17, -v15
	v_fmac_f32_e32 v16, v20, v17
	v_add_f32_e32 v19, v34, v15
	v_add_f32_e32 v10, v10, v16
	ds_read2_b64 v[15:18], v13 offset0:96 offset1:112
	v_add_f32_e32 v24, v24, v27
	s_waitcnt lgkmcnt(0)
	v_mul_f32_e32 v20, v29, v16
	v_mul_f32_e32 v34, v29, v18
	v_fma_f32 v20, v28, v15, -v20
	v_mul_f32_e32 v27, v28, v16
	v_fma_f32 v34, v28, v17, -v34
	v_mul_f32_e32 v28, v28, v18
	v_fmac_f32_e32 v28, v29, v17
	v_add_f32_e32 v23, v23, v28
	v_mul_f32_e32 v28, v22, v16
	v_mul_f32_e32 v16, v21, v16
	v_fmac_f32_e32 v16, v22, v15
	v_fmac_f32_e32 v27, v29, v15
	v_fma_f32 v28, v21, v15, -v28
	v_add_f32_e32 v25, v25, v16
	v_mul_f32_e32 v15, v22, v18
	v_mul_f32_e32 v16, v21, v18
	v_fma_f32 v15, v21, v17, -v15
	v_fmac_f32_e32 v16, v22, v17
	v_add_f32_e32 v24, v24, v28
	v_add_f32_e32 v28, v19, v15
	;; [unrolled: 1-line block ×3, first 2 shown]
	ds_read2_b64 v[15:18], v13 offset0:128 offset1:144
	v_add_f32_e32 v20, v35, v20
	v_add_f32_e32 v27, v36, v27
	;; [unrolled: 1-line block ×3, first 2 shown]
	s_waitcnt lgkmcnt(0)
	v_mul_f32_e32 v19, v31, v16
	v_fma_f32 v19, v30, v15, -v19
	v_mul_f32_e32 v21, v30, v16
	v_add_f32_e32 v29, v20, v19
	v_mul_f32_e32 v19, v31, v18
	v_mul_f32_e32 v20, v30, v18
	v_fmac_f32_e32 v21, v31, v15
	v_fma_f32 v19, v30, v17, -v19
	v_fmac_f32_e32 v20, v31, v17
	v_add_f32_e32 v27, v27, v21
	v_add_f32_e32 v26, v26, v19
	v_add_f32_e32 v23, v23, v20
	ds_read_b128 v[19:22], v14 offset:1056
	s_waitcnt lgkmcnt(0)
	v_mul_f32_e32 v30, v20, v16
	v_mul_f32_e32 v16, v19, v16
	v_fmac_f32_e32 v16, v20, v15
	v_fma_f32 v30, v19, v15, -v30
	v_add_f32_e32 v25, v25, v16
	v_mul_f32_e32 v15, v20, v18
	v_mul_f32_e32 v16, v19, v18
	v_fma_f32 v15, v19, v17, -v15
	v_fmac_f32_e32 v16, v20, v17
	v_add_f32_e32 v19, v28, v15
	v_add_f32_e32 v10, v10, v16
	ds_read2_b64 v[15:18], v13 offset0:160 offset1:176
	v_add_f32_e32 v24, v24, v30
	s_waitcnt lgkmcnt(0)
	v_mul_f32_e32 v28, v32, v16
	v_fmac_f32_e32 v28, v33, v15
	v_add_f32_e32 v27, v27, v28
	v_mul_f32_e32 v28, v33, v18
	v_fma_f32 v28, v32, v17, -v28
	v_mul_f32_e32 v20, v33, v16
	v_add_f32_e32 v26, v26, v28
	v_mul_f32_e32 v28, v22, v16
	v_mul_f32_e32 v16, v21, v16
	v_fmac_f32_e32 v16, v22, v15
	v_fma_f32 v20, v32, v15, -v20
	v_fma_f32 v28, v21, v15, -v28
	v_add_f32_e32 v25, v25, v16
	v_mul_f32_e32 v15, v22, v18
	v_mul_f32_e32 v16, v21, v18
	v_add_f32_e32 v20, v29, v20
	v_mul_f32_e32 v29, v32, v18
	v_fma_f32 v15, v21, v17, -v15
	v_fmac_f32_e32 v16, v22, v17
	v_fmac_f32_e32 v29, v33, v17
	v_add_f32_e32 v19, v19, v15
	v_add_f32_e32 v10, v10, v16
	ds_read2_b64 v[15:18], v13 offset0:192 offset1:208
	v_add_f32_e32 v24, v24, v28
	v_add_f32_e32 v23, v23, v29
	s_waitcnt lgkmcnt(0)
	v_mul_f32_e32 v21, v3, v16
	v_fma_f32 v21, v2, v15, -v21
	v_add_f32_e32 v28, v20, v21
	v_mul_f32_e32 v20, v3, v18
	v_mul_f32_e32 v22, v2, v16
	v_fma_f32 v20, v2, v17, -v20
	v_mul_f32_e32 v2, v2, v18
	v_fmac_f32_e32 v22, v3, v15
	v_fmac_f32_e32 v2, v3, v17
	v_add_f32_e32 v29, v27, v22
	v_add_f32_e32 v3, v26, v20
	;; [unrolled: 1-line block ×3, first 2 shown]
	ds_read_b128 v[20:23], v14 offset:1072
	s_waitcnt lgkmcnt(0)
	v_mul_f32_e32 v26, v21, v16
	v_fma_f32 v26, v20, v15, -v26
	v_mul_f32_e32 v16, v20, v16
	v_fmac_f32_e32 v16, v21, v15
	v_add_f32_e32 v15, v24, v26
	v_mul_f32_e32 v24, v21, v18
	v_fma_f32 v24, v20, v17, -v24
	v_add_f32_e32 v16, v25, v16
	v_add_f32_e32 v30, v19, v24
	ds_read2_b64 v[24:27], v13 offset0:224 offset1:240
	v_mul_f32_e32 v18, v20, v18
	v_fmac_f32_e32 v18, v21, v17
	v_add_f32_e32 v10, v10, v18
	s_waitcnt lgkmcnt(0)
	v_mul_f32_e32 v17, v5, v25
	v_fma_f32 v17, v4, v24, -v17
	v_add_f32_e32 v20, v28, v17
	v_mul_f32_e32 v17, v5, v27
	v_mul_f32_e32 v18, v4, v25
	v_fma_f32 v17, v4, v26, -v17
	v_mul_f32_e32 v4, v4, v27
	v_fmac_f32_e32 v18, v5, v24
	v_fmac_f32_e32 v4, v5, v26
	v_add_f32_e32 v21, v29, v18
	v_add_f32_e32 v19, v3, v17
	v_add_f32_e32 v18, v2, v4
	v_mul_f32_e32 v2, v23, v25
	v_mul_f32_e32 v3, v22, v25
	v_fma_f32 v2, v22, v24, -v2
	v_fmac_f32_e32 v3, v23, v24
	v_add_f32_e32 v17, v15, v2
	v_add_f32_e32 v16, v16, v3
	v_mul_f32_e32 v2, v23, v27
	v_mul_f32_e32 v3, v22, v27
	v_fma_f32 v2, v22, v26, -v2
	v_fmac_f32_e32 v3, v23, v26
	v_add_f32_e32 v15, v30, v2
	v_add_f32_e32 v10, v10, v3
	v_mov_b32_e32 v2, s2
	v_mov_b32_e32 v3, s3
	v_cmp_le_u64_e32 vcc, s[0:1], v[2:3]
	s_barrier
	s_cbranch_vccz .LBB1714_2
	s_branch .LBB1714_4
.LBB1714_3:
	v_mov_b32_e32 v20, 0
	v_mov_b32_e32 v21, 0
	;; [unrolled: 1-line block ×8, first 2 shown]
.LBB1714_4:
	v_add_u32_e32 v5, s7, v1
	v_ashrrev_i32_e32 v1, 31, v5
	v_mul_lo_u32 v3, s14, v1
	v_mul_lo_u32 v4, s15, v5
	v_mad_u64_u32 v[1:2], s[0:1], s14, v5, 0
	s_load_dword s4, s[4:5], 0x0
	v_add_u32_e32 v0, s6, v0
	v_add3_u32 v2, v2, v3, v4
	v_lshlrev_b64 v[1:2], 3, v[1:2]
	s_waitcnt lgkmcnt(0)
	v_mov_b32_e32 v3, s9
	v_add_co_u32_e32 v4, vcc, s8, v1
	v_addc_co_u32_e32 v6, vcc, v3, v2, vcc
	v_cmp_le_i32_e64 s[0:1], v5, v0
	v_cmp_gt_i32_e32 vcc, s4, v0
	s_and_b64 s[0:1], s[0:1], vcc
	s_and_saveexec_b64 s[2:3], s[0:1]
	s_cbranch_execz .LBB1714_7
; %bb.5:
	v_ashrrev_i32_e32 v1, 31, v0
	v_lshlrev_b64 v[1:2], 3, v[0:1]
	v_xor_b32_e32 v7, 0x80000000, v20
	v_add_co_u32_e64 v1, s[0:1], v4, v1
	v_addc_co_u32_e64 v2, s[0:1], v6, v2, s[0:1]
	v_xor_b32_e32 v8, 0x80000000, v21
	v_cmp_eq_u32_e64 s[0:1], v5, v0
	flat_store_dwordx2 v[1:2], v[7:8]
	s_and_b64 exec, exec, s[0:1]
	s_cbranch_execz .LBB1714_7
; %bb.6:
	v_mov_b32_e32 v3, 0
	flat_store_dword v[1:2], v3 offset:4
.LBB1714_7:
	s_or_b64 exec, exec, s[2:3]
	v_add_u32_e32 v2, 16, v0
	v_cmp_le_i32_e64 s[2:3], v5, v2
	v_cmp_gt_i32_e64 s[0:1], s4, v2
	s_and_b64 s[2:3], s[2:3], s[0:1]
	s_and_saveexec_b64 s[4:5], s[2:3]
	s_cbranch_execz .LBB1714_10
; %bb.8:
	v_ashrrev_i32_e32 v3, 31, v2
	v_lshlrev_b64 v[11:12], 3, v[2:3]
	v_xor_b32_e32 v7, 0x80000000, v19
	v_add_co_u32_e64 v3, s[2:3], v4, v11
	v_addc_co_u32_e64 v4, s[2:3], v6, v12, s[2:3]
	v_xor_b32_e32 v8, 0x80000000, v18
	v_cmp_eq_u32_e64 s[2:3], v5, v2
	flat_store_dwordx2 v[3:4], v[7:8]
	s_and_b64 exec, exec, s[2:3]
	s_cbranch_execz .LBB1714_10
; %bb.9:
	v_mov_b32_e32 v1, 0
	flat_store_dword v[3:4], v1 offset:4
.LBB1714_10:
	s_or_b64 exec, exec, s[4:5]
	v_add_u32_e32 v8, 16, v5
	v_ashrrev_i32_e32 v1, 31, v8
	v_mul_lo_u32 v6, s15, v8
	v_mad_u64_u32 v[3:4], s[2:3], s14, v8, 0
	v_mul_lo_u32 v1, s14, v1
	v_add3_u32 v4, v4, v1, v6
	v_lshlrev_b64 v[3:4], 3, v[3:4]
	v_mov_b32_e32 v1, s9
	v_add_co_u32_e64 v6, s[2:3], s8, v3
	v_addc_co_u32_e64 v7, s[2:3], v1, v4, s[2:3]
	v_cmp_le_i32_e64 s[2:3], v8, v0
	s_and_b64 s[4:5], s[2:3], vcc
	s_and_saveexec_b64 s[2:3], s[4:5]
	s_cbranch_execz .LBB1714_13
; %bb.11:
	v_ashrrev_i32_e32 v1, 31, v0
	v_lshlrev_b64 v[3:4], 3, v[0:1]
	v_xor_b32_e32 v11, 0x80000000, v17
	v_add_co_u32_e32 v3, vcc, v6, v3
	v_addc_co_u32_e32 v4, vcc, v7, v4, vcc
	v_xor_b32_e32 v12, 0x80000000, v16
	v_cmp_eq_u32_e32 vcc, v8, v0
	flat_store_dwordx2 v[3:4], v[11:12]
	s_and_b64 exec, exec, vcc
	s_cbranch_execz .LBB1714_13
; %bb.12:
	v_mov_b32_e32 v1, 0
	flat_store_dword v[3:4], v1 offset:4
.LBB1714_13:
	s_or_b64 exec, exec, s[2:3]
	v_cmp_le_i32_e32 vcc, v8, v2
	s_and_b64 s[0:1], vcc, s[0:1]
	s_and_saveexec_b64 s[2:3], s[0:1]
	s_cbranch_execz .LBB1714_16
; %bb.14:
	v_ashrrev_i32_e32 v3, 31, v2
	v_lshlrev_b64 v[1:2], 3, v[2:3]
	v_xor_b32_e32 v8, 0x80000000, v15
	v_add_co_u32_e32 v1, vcc, v6, v1
	v_addc_co_u32_e32 v2, vcc, v7, v2, vcc
	v_xor_b32_e32 v9, 0x80000000, v10
	v_cmp_eq_u32_e32 vcc, v5, v0
	flat_store_dwordx2 v[1:2], v[8:9]
	s_and_b64 exec, exec, vcc
	s_cbranch_execz .LBB1714_16
; %bb.15:
	v_mov_b32_e32 v0, 0
	flat_store_dword v[1:2], v0 offset:4
.LBB1714_16:
	s_endpgm
	.section	.rodata,"a",@progbits
	.p2align	6, 0x0
	.amdhsa_kernel _ZL37rocblas_syrkx_herkx_restricted_kernelIl19rocblas_complex_numIfELi16ELi32ELi8ELin1ELi0ELb1ELc84ELc76EKPKS1_KPS1_EviT_PT9_S7_lS9_S7_lPT10_S7_li
		.amdhsa_group_segment_fixed_size 4096
		.amdhsa_private_segment_fixed_size 0
		.amdhsa_kernarg_size 92
		.amdhsa_user_sgpr_count 6
		.amdhsa_user_sgpr_private_segment_buffer 1
		.amdhsa_user_sgpr_dispatch_ptr 0
		.amdhsa_user_sgpr_queue_ptr 0
		.amdhsa_user_sgpr_kernarg_segment_ptr 1
		.amdhsa_user_sgpr_dispatch_id 0
		.amdhsa_user_sgpr_flat_scratch_init 0
		.amdhsa_user_sgpr_private_segment_size 0
		.amdhsa_uses_dynamic_stack 0
		.amdhsa_system_sgpr_private_segment_wavefront_offset 0
		.amdhsa_system_sgpr_workgroup_id_x 1
		.amdhsa_system_sgpr_workgroup_id_y 1
		.amdhsa_system_sgpr_workgroup_id_z 1
		.amdhsa_system_sgpr_workgroup_info 0
		.amdhsa_system_vgpr_workitem_id 1
		.amdhsa_next_free_vgpr 41
		.amdhsa_next_free_sgpr 20
		.amdhsa_reserve_vcc 1
		.amdhsa_reserve_flat_scratch 0
		.amdhsa_float_round_mode_32 0
		.amdhsa_float_round_mode_16_64 0
		.amdhsa_float_denorm_mode_32 3
		.amdhsa_float_denorm_mode_16_64 3
		.amdhsa_dx10_clamp 1
		.amdhsa_ieee_mode 1
		.amdhsa_fp16_overflow 0
		.amdhsa_exception_fp_ieee_invalid_op 0
		.amdhsa_exception_fp_denorm_src 0
		.amdhsa_exception_fp_ieee_div_zero 0
		.amdhsa_exception_fp_ieee_overflow 0
		.amdhsa_exception_fp_ieee_underflow 0
		.amdhsa_exception_fp_ieee_inexact 0
		.amdhsa_exception_int_div_zero 0
	.end_amdhsa_kernel
	.section	.text._ZL37rocblas_syrkx_herkx_restricted_kernelIl19rocblas_complex_numIfELi16ELi32ELi8ELin1ELi0ELb1ELc84ELc76EKPKS1_KPS1_EviT_PT9_S7_lS9_S7_lPT10_S7_li,"axG",@progbits,_ZL37rocblas_syrkx_herkx_restricted_kernelIl19rocblas_complex_numIfELi16ELi32ELi8ELin1ELi0ELb1ELc84ELc76EKPKS1_KPS1_EviT_PT9_S7_lS9_S7_lPT10_S7_li,comdat
.Lfunc_end1714:
	.size	_ZL37rocblas_syrkx_herkx_restricted_kernelIl19rocblas_complex_numIfELi16ELi32ELi8ELin1ELi0ELb1ELc84ELc76EKPKS1_KPS1_EviT_PT9_S7_lS9_S7_lPT10_S7_li, .Lfunc_end1714-_ZL37rocblas_syrkx_herkx_restricted_kernelIl19rocblas_complex_numIfELi16ELi32ELi8ELin1ELi0ELb1ELc84ELc76EKPKS1_KPS1_EviT_PT9_S7_lS9_S7_lPT10_S7_li
                                        ; -- End function
	.set _ZL37rocblas_syrkx_herkx_restricted_kernelIl19rocblas_complex_numIfELi16ELi32ELi8ELin1ELi0ELb1ELc84ELc76EKPKS1_KPS1_EviT_PT9_S7_lS9_S7_lPT10_S7_li.num_vgpr, 41
	.set _ZL37rocblas_syrkx_herkx_restricted_kernelIl19rocblas_complex_numIfELi16ELi32ELi8ELin1ELi0ELb1ELc84ELc76EKPKS1_KPS1_EviT_PT9_S7_lS9_S7_lPT10_S7_li.num_agpr, 0
	.set _ZL37rocblas_syrkx_herkx_restricted_kernelIl19rocblas_complex_numIfELi16ELi32ELi8ELin1ELi0ELb1ELc84ELc76EKPKS1_KPS1_EviT_PT9_S7_lS9_S7_lPT10_S7_li.numbered_sgpr, 20
	.set _ZL37rocblas_syrkx_herkx_restricted_kernelIl19rocblas_complex_numIfELi16ELi32ELi8ELin1ELi0ELb1ELc84ELc76EKPKS1_KPS1_EviT_PT9_S7_lS9_S7_lPT10_S7_li.num_named_barrier, 0
	.set _ZL37rocblas_syrkx_herkx_restricted_kernelIl19rocblas_complex_numIfELi16ELi32ELi8ELin1ELi0ELb1ELc84ELc76EKPKS1_KPS1_EviT_PT9_S7_lS9_S7_lPT10_S7_li.private_seg_size, 0
	.set _ZL37rocblas_syrkx_herkx_restricted_kernelIl19rocblas_complex_numIfELi16ELi32ELi8ELin1ELi0ELb1ELc84ELc76EKPKS1_KPS1_EviT_PT9_S7_lS9_S7_lPT10_S7_li.uses_vcc, 1
	.set _ZL37rocblas_syrkx_herkx_restricted_kernelIl19rocblas_complex_numIfELi16ELi32ELi8ELin1ELi0ELb1ELc84ELc76EKPKS1_KPS1_EviT_PT9_S7_lS9_S7_lPT10_S7_li.uses_flat_scratch, 0
	.set _ZL37rocblas_syrkx_herkx_restricted_kernelIl19rocblas_complex_numIfELi16ELi32ELi8ELin1ELi0ELb1ELc84ELc76EKPKS1_KPS1_EviT_PT9_S7_lS9_S7_lPT10_S7_li.has_dyn_sized_stack, 0
	.set _ZL37rocblas_syrkx_herkx_restricted_kernelIl19rocblas_complex_numIfELi16ELi32ELi8ELin1ELi0ELb1ELc84ELc76EKPKS1_KPS1_EviT_PT9_S7_lS9_S7_lPT10_S7_li.has_recursion, 0
	.set _ZL37rocblas_syrkx_herkx_restricted_kernelIl19rocblas_complex_numIfELi16ELi32ELi8ELin1ELi0ELb1ELc84ELc76EKPKS1_KPS1_EviT_PT9_S7_lS9_S7_lPT10_S7_li.has_indirect_call, 0
	.section	.AMDGPU.csdata,"",@progbits
; Kernel info:
; codeLenInByte = 2108
; TotalNumSgprs: 24
; NumVgprs: 41
; ScratchSize: 0
; MemoryBound: 0
; FloatMode: 240
; IeeeMode: 1
; LDSByteSize: 4096 bytes/workgroup (compile time only)
; SGPRBlocks: 2
; VGPRBlocks: 10
; NumSGPRsForWavesPerEU: 24
; NumVGPRsForWavesPerEU: 41
; Occupancy: 5
; WaveLimiterHint : 1
; COMPUTE_PGM_RSRC2:SCRATCH_EN: 0
; COMPUTE_PGM_RSRC2:USER_SGPR: 6
; COMPUTE_PGM_RSRC2:TRAP_HANDLER: 0
; COMPUTE_PGM_RSRC2:TGID_X_EN: 1
; COMPUTE_PGM_RSRC2:TGID_Y_EN: 1
; COMPUTE_PGM_RSRC2:TGID_Z_EN: 1
; COMPUTE_PGM_RSRC2:TIDIG_COMP_CNT: 1
	.section	.text._ZL37rocblas_syrkx_herkx_restricted_kernelIl19rocblas_complex_numIfELi16ELi32ELi8ELin1ELi0ELb1ELc67ELc76EKPKS1_KPS1_EviT_PT9_S7_lS9_S7_lPT10_S7_li,"axG",@progbits,_ZL37rocblas_syrkx_herkx_restricted_kernelIl19rocblas_complex_numIfELi16ELi32ELi8ELin1ELi0ELb1ELc67ELc76EKPKS1_KPS1_EviT_PT9_S7_lS9_S7_lPT10_S7_li,comdat
	.globl	_ZL37rocblas_syrkx_herkx_restricted_kernelIl19rocblas_complex_numIfELi16ELi32ELi8ELin1ELi0ELb1ELc67ELc76EKPKS1_KPS1_EviT_PT9_S7_lS9_S7_lPT10_S7_li ; -- Begin function _ZL37rocblas_syrkx_herkx_restricted_kernelIl19rocblas_complex_numIfELi16ELi32ELi8ELin1ELi0ELb1ELc67ELc76EKPKS1_KPS1_EviT_PT9_S7_lS9_S7_lPT10_S7_li
	.p2align	8
	.type	_ZL37rocblas_syrkx_herkx_restricted_kernelIl19rocblas_complex_numIfELi16ELi32ELi8ELin1ELi0ELb1ELc67ELc76EKPKS1_KPS1_EviT_PT9_S7_lS9_S7_lPT10_S7_li,@function
_ZL37rocblas_syrkx_herkx_restricted_kernelIl19rocblas_complex_numIfELi16ELi32ELi8ELin1ELi0ELb1ELc67ELc76EKPKS1_KPS1_EviT_PT9_S7_lS9_S7_lPT10_S7_li: ; @_ZL37rocblas_syrkx_herkx_restricted_kernelIl19rocblas_complex_numIfELi16ELi32ELi8ELin1ELi0ELb1ELc67ELc76EKPKS1_KPS1_EviT_PT9_S7_lS9_S7_lPT10_S7_li
; %bb.0:
	s_load_dwordx4 s[12:15], s[4:5], 0x40
	s_load_dwordx4 s[0:3], s[4:5], 0x8
	s_mov_b32 s9, 0
	s_lshl_b64 s[10:11], s[8:9], 3
	s_waitcnt lgkmcnt(0)
	s_add_u32 s8, s12, s10
	s_addc_u32 s9, s13, s11
	s_load_dwordx2 s[8:9], s[8:9], 0x0
	v_cmp_lt_i64_e64 s[12:13], s[0:1], 1
	s_lshl_b32 s6, s6, 5
	s_lshl_b32 s7, s7, 5
	s_and_b64 vcc, exec, s[12:13]
	s_cbranch_vccnz .LBB1715_3
; %bb.1:
	s_load_dwordx2 s[12:13], s[4:5], 0x18
	s_load_dwordx4 s[16:19], s[4:5], 0x28
	v_lshl_add_u32 v4, v1, 4, v0
	v_lshrrev_b32_e32 v6, 3, v4
	v_add_u32_e32 v2, s7, v6
	v_ashrrev_i32_e32 v3, 31, v2
	v_and_b32_e32 v9, 7, v0
	v_mov_b32_e32 v10, 0
	s_waitcnt lgkmcnt(0)
	v_mul_lo_u32 v5, s18, v3
	v_mul_lo_u32 v7, s19, v2
	v_mad_u64_u32 v[2:3], s[18:19], s18, v2, v[9:10]
	s_add_u32 s2, s2, s10
	s_addc_u32 s3, s3, s11
	v_add3_u32 v3, v7, v3, v5
	v_and_b32_e32 v7, 31, v4
	v_lshrrev_b32_e32 v4, 5, v4
	v_lshlrev_b32_e32 v8, 3, v7
	v_lshl_or_b32 v11, v4, 8, v8
	v_lshlrev_b32_e32 v8, 3, v9
	v_lshl_or_b32 v6, v6, 6, v8
	v_add_u32_e32 v12, 0x800, v6
	v_add_u32_e32 v6, s6, v7
	s_add_u32 s10, s16, s10
	v_mov_b32_e32 v5, v10
	v_ashrrev_i32_e32 v7, 31, v6
	s_addc_u32 s11, s17, s11
	v_mul_lo_u32 v7, s12, v7
	v_mad_u64_u32 v[4:5], s[16:17], s12, v6, v[4:5]
	v_mul_lo_u32 v6, s13, v6
	s_load_dwordx2 s[2:3], s[2:3], 0x0
	v_lshlrev_b64 v[2:3], 3, v[2:3]
	s_load_dwordx2 s[10:11], s[10:11], 0x0
	v_add3_u32 v5, v6, v5, v7
	v_lshlrev_b64 v[4:5], 3, v[4:5]
	s_waitcnt lgkmcnt(0)
	v_mov_b32_e32 v7, s3
	v_add_co_u32_e32 v6, vcc, s2, v4
	v_mov_b32_e32 v8, 0x800
	v_addc_co_u32_e32 v7, vcc, v7, v5, vcc
	v_lshl_add_u32 v14, v1, 6, v8
	v_mov_b32_e32 v4, s11
	v_add_co_u32_e32 v8, vcc, s10, v2
	v_lshlrev_b32_e32 v13, 3, v0
	v_addc_co_u32_e32 v9, vcc, v4, v3, vcc
	s_mov_b64 s[2:3], 0
	v_mov_b32_e32 v15, v10
	v_mov_b32_e32 v16, v10
	;; [unrolled: 1-line block ×7, first 2 shown]
.LBB1715_2:                             ; =>This Inner Loop Header: Depth=1
	flat_load_dwordx2 v[2:3], v[6:7]
	v_add_co_u32_e32 v6, vcc, 64, v6
	v_addc_co_u32_e32 v7, vcc, 0, v7, vcc
	s_add_u32 s2, s2, 8
	s_addc_u32 s3, s3, 0
	s_waitcnt vmcnt(0) lgkmcnt(0)
	v_xor_b32_e32 v3, 0x80000000, v3
	ds_write_b64 v11, v[2:3]
	flat_load_dwordx2 v[2:3], v[8:9]
	v_add_co_u32_e32 v8, vcc, 64, v8
	v_addc_co_u32_e32 v9, vcc, 0, v9, vcc
	s_waitcnt vmcnt(0) lgkmcnt(0)
	ds_write_b64 v12, v[2:3]
	s_waitcnt lgkmcnt(0)
	s_barrier
	ds_read_b128 v[22:25], v14
	ds_read_b128 v[26:29], v14 offset:16
	ds_read_b128 v[30:33], v14 offset:32
	;; [unrolled: 1-line block ×3, first 2 shown]
	ds_read2_b64 v[34:37], v13 offset1:16
	s_waitcnt lgkmcnt(0)
	v_mul_f32_e32 v38, v23, v35
	v_mul_f32_e32 v39, v22, v35
	v_fma_f32 v38, v22, v34, -v38
	v_fmac_f32_e32 v39, v23, v34
	v_add_f32_e32 v38, v20, v38
	v_add_f32_e32 v39, v21, v39
	v_mul_f32_e32 v20, v23, v37
	v_mul_f32_e32 v21, v22, v37
	v_fma_f32 v20, v22, v36, -v20
	v_fmac_f32_e32 v21, v23, v36
	v_add_f32_e32 v22, v19, v20
	v_add_f32_e32 v23, v18, v21
	ds_read_b128 v[18:21], v14 offset:1024
	s_waitcnt lgkmcnt(0)
	v_mul_f32_e32 v40, v19, v35
	v_mul_f32_e32 v35, v18, v35
	v_fma_f32 v40, v18, v34, -v40
	v_fmac_f32_e32 v35, v19, v34
	v_add_f32_e32 v34, v17, v40
	v_add_f32_e32 v35, v16, v35
	v_mul_f32_e32 v16, v19, v37
	v_mul_f32_e32 v17, v18, v37
	v_fma_f32 v16, v18, v36, -v16
	v_fmac_f32_e32 v17, v19, v36
	v_add_f32_e32 v19, v15, v16
	v_add_f32_e32 v10, v10, v17
	ds_read2_b64 v[15:18], v13 offset0:32 offset1:48
	s_waitcnt lgkmcnt(0)
	v_mul_f32_e32 v36, v25, v16
	v_fma_f32 v36, v24, v15, -v36
	v_add_f32_e32 v36, v38, v36
	v_mul_f32_e32 v38, v25, v18
	v_mul_f32_e32 v37, v24, v16
	v_fma_f32 v38, v24, v17, -v38
	v_mul_f32_e32 v24, v24, v18
	v_fmac_f32_e32 v24, v25, v17
	v_add_f32_e32 v23, v23, v24
	v_mul_f32_e32 v24, v21, v16
	v_mul_f32_e32 v16, v20, v16
	v_fmac_f32_e32 v16, v21, v15
	v_fmac_f32_e32 v37, v25, v15
	v_fma_f32 v24, v20, v15, -v24
	v_add_f32_e32 v25, v35, v16
	v_mul_f32_e32 v15, v21, v18
	v_mul_f32_e32 v16, v20, v18
	v_fma_f32 v15, v20, v17, -v15
	v_fmac_f32_e32 v16, v21, v17
	v_add_f32_e32 v24, v34, v24
	v_add_f32_e32 v34, v19, v15
	;; [unrolled: 1-line block ×3, first 2 shown]
	ds_read2_b64 v[15:18], v13 offset0:64 offset1:80
	v_add_f32_e32 v37, v39, v37
	v_add_f32_e32 v22, v22, v38
	s_waitcnt lgkmcnt(0)
	v_mul_f32_e32 v19, v27, v16
	v_mul_f32_e32 v20, v26, v16
	v_fma_f32 v19, v26, v15, -v19
	v_fmac_f32_e32 v20, v27, v15
	v_add_f32_e32 v35, v36, v19
	v_add_f32_e32 v36, v37, v20
	v_mul_f32_e32 v19, v27, v18
	v_mul_f32_e32 v20, v26, v18
	v_fma_f32 v19, v26, v17, -v19
	v_fmac_f32_e32 v20, v27, v17
	v_add_f32_e32 v26, v22, v19
	v_add_f32_e32 v23, v23, v20
	ds_read_b128 v[19:22], v14 offset:1040
	s_waitcnt lgkmcnt(0)
	v_mul_f32_e32 v27, v20, v16
	v_mul_f32_e32 v16, v19, v16
	v_fmac_f32_e32 v16, v20, v15
	v_fma_f32 v27, v19, v15, -v27
	v_add_f32_e32 v25, v25, v16
	v_mul_f32_e32 v15, v20, v18
	v_mul_f32_e32 v16, v19, v18
	v_fma_f32 v15, v19, v17, -v15
	v_fmac_f32_e32 v16, v20, v17
	v_add_f32_e32 v19, v34, v15
	v_add_f32_e32 v10, v10, v16
	ds_read2_b64 v[15:18], v13 offset0:96 offset1:112
	v_add_f32_e32 v24, v24, v27
	s_waitcnt lgkmcnt(0)
	v_mul_f32_e32 v20, v29, v16
	v_mul_f32_e32 v34, v29, v18
	v_fma_f32 v20, v28, v15, -v20
	v_mul_f32_e32 v27, v28, v16
	v_fma_f32 v34, v28, v17, -v34
	v_mul_f32_e32 v28, v28, v18
	v_fmac_f32_e32 v28, v29, v17
	v_add_f32_e32 v23, v23, v28
	v_mul_f32_e32 v28, v22, v16
	v_mul_f32_e32 v16, v21, v16
	v_fmac_f32_e32 v16, v22, v15
	v_fmac_f32_e32 v27, v29, v15
	v_fma_f32 v28, v21, v15, -v28
	v_add_f32_e32 v25, v25, v16
	v_mul_f32_e32 v15, v22, v18
	v_mul_f32_e32 v16, v21, v18
	v_fma_f32 v15, v21, v17, -v15
	v_fmac_f32_e32 v16, v22, v17
	v_add_f32_e32 v24, v24, v28
	v_add_f32_e32 v28, v19, v15
	;; [unrolled: 1-line block ×3, first 2 shown]
	ds_read2_b64 v[15:18], v13 offset0:128 offset1:144
	v_add_f32_e32 v20, v35, v20
	v_add_f32_e32 v27, v36, v27
	;; [unrolled: 1-line block ×3, first 2 shown]
	s_waitcnt lgkmcnt(0)
	v_mul_f32_e32 v19, v31, v16
	v_fma_f32 v19, v30, v15, -v19
	v_mul_f32_e32 v21, v30, v16
	v_add_f32_e32 v29, v20, v19
	v_mul_f32_e32 v19, v31, v18
	v_mul_f32_e32 v20, v30, v18
	v_fmac_f32_e32 v21, v31, v15
	v_fma_f32 v19, v30, v17, -v19
	v_fmac_f32_e32 v20, v31, v17
	v_add_f32_e32 v27, v27, v21
	v_add_f32_e32 v26, v26, v19
	v_add_f32_e32 v23, v23, v20
	ds_read_b128 v[19:22], v14 offset:1056
	s_waitcnt lgkmcnt(0)
	v_mul_f32_e32 v30, v20, v16
	v_mul_f32_e32 v16, v19, v16
	v_fmac_f32_e32 v16, v20, v15
	v_fma_f32 v30, v19, v15, -v30
	v_add_f32_e32 v25, v25, v16
	v_mul_f32_e32 v15, v20, v18
	v_mul_f32_e32 v16, v19, v18
	v_fma_f32 v15, v19, v17, -v15
	v_fmac_f32_e32 v16, v20, v17
	v_add_f32_e32 v19, v28, v15
	v_add_f32_e32 v10, v10, v16
	ds_read2_b64 v[15:18], v13 offset0:160 offset1:176
	v_add_f32_e32 v24, v24, v30
	s_waitcnt lgkmcnt(0)
	v_mul_f32_e32 v28, v32, v16
	v_fmac_f32_e32 v28, v33, v15
	v_add_f32_e32 v27, v27, v28
	v_mul_f32_e32 v28, v33, v18
	v_fma_f32 v28, v32, v17, -v28
	v_mul_f32_e32 v20, v33, v16
	v_add_f32_e32 v26, v26, v28
	v_mul_f32_e32 v28, v22, v16
	v_mul_f32_e32 v16, v21, v16
	v_fmac_f32_e32 v16, v22, v15
	v_fma_f32 v20, v32, v15, -v20
	v_fma_f32 v28, v21, v15, -v28
	v_add_f32_e32 v25, v25, v16
	v_mul_f32_e32 v15, v22, v18
	v_mul_f32_e32 v16, v21, v18
	v_add_f32_e32 v20, v29, v20
	v_mul_f32_e32 v29, v32, v18
	v_fma_f32 v15, v21, v17, -v15
	v_fmac_f32_e32 v16, v22, v17
	v_fmac_f32_e32 v29, v33, v17
	v_add_f32_e32 v19, v19, v15
	v_add_f32_e32 v10, v10, v16
	ds_read2_b64 v[15:18], v13 offset0:192 offset1:208
	v_add_f32_e32 v24, v24, v28
	v_add_f32_e32 v23, v23, v29
	s_waitcnt lgkmcnt(0)
	v_mul_f32_e32 v21, v3, v16
	v_fma_f32 v21, v2, v15, -v21
	v_add_f32_e32 v28, v20, v21
	v_mul_f32_e32 v20, v3, v18
	v_mul_f32_e32 v22, v2, v16
	v_fma_f32 v20, v2, v17, -v20
	v_mul_f32_e32 v2, v2, v18
	v_fmac_f32_e32 v22, v3, v15
	v_fmac_f32_e32 v2, v3, v17
	v_add_f32_e32 v29, v27, v22
	v_add_f32_e32 v3, v26, v20
	;; [unrolled: 1-line block ×3, first 2 shown]
	ds_read_b128 v[20:23], v14 offset:1072
	s_waitcnt lgkmcnt(0)
	v_mul_f32_e32 v26, v21, v16
	v_fma_f32 v26, v20, v15, -v26
	v_mul_f32_e32 v16, v20, v16
	v_fmac_f32_e32 v16, v21, v15
	v_add_f32_e32 v15, v24, v26
	v_mul_f32_e32 v24, v21, v18
	v_fma_f32 v24, v20, v17, -v24
	v_add_f32_e32 v16, v25, v16
	v_add_f32_e32 v30, v19, v24
	ds_read2_b64 v[24:27], v13 offset0:224 offset1:240
	v_mul_f32_e32 v18, v20, v18
	v_fmac_f32_e32 v18, v21, v17
	v_add_f32_e32 v10, v10, v18
	s_waitcnt lgkmcnt(0)
	v_mul_f32_e32 v17, v5, v25
	v_fma_f32 v17, v4, v24, -v17
	v_add_f32_e32 v20, v28, v17
	v_mul_f32_e32 v17, v5, v27
	v_mul_f32_e32 v18, v4, v25
	v_fma_f32 v17, v4, v26, -v17
	v_mul_f32_e32 v4, v4, v27
	v_fmac_f32_e32 v18, v5, v24
	v_fmac_f32_e32 v4, v5, v26
	v_add_f32_e32 v21, v29, v18
	v_add_f32_e32 v19, v3, v17
	;; [unrolled: 1-line block ×3, first 2 shown]
	v_mul_f32_e32 v2, v23, v25
	v_mul_f32_e32 v3, v22, v25
	v_fma_f32 v2, v22, v24, -v2
	v_fmac_f32_e32 v3, v23, v24
	v_add_f32_e32 v17, v15, v2
	v_add_f32_e32 v16, v16, v3
	v_mul_f32_e32 v2, v23, v27
	v_mul_f32_e32 v3, v22, v27
	v_fma_f32 v2, v22, v26, -v2
	v_fmac_f32_e32 v3, v23, v26
	v_add_f32_e32 v15, v30, v2
	v_add_f32_e32 v10, v10, v3
	v_mov_b32_e32 v2, s2
	v_mov_b32_e32 v3, s3
	v_cmp_le_u64_e32 vcc, s[0:1], v[2:3]
	s_barrier
	s_cbranch_vccz .LBB1715_2
	s_branch .LBB1715_4
.LBB1715_3:
	v_mov_b32_e32 v20, 0
	v_mov_b32_e32 v21, 0
	;; [unrolled: 1-line block ×8, first 2 shown]
.LBB1715_4:
	v_add_u32_e32 v5, s7, v1
	v_ashrrev_i32_e32 v1, 31, v5
	v_mul_lo_u32 v3, s14, v1
	v_mul_lo_u32 v4, s15, v5
	v_mad_u64_u32 v[1:2], s[0:1], s14, v5, 0
	s_load_dword s4, s[4:5], 0x0
	v_add_u32_e32 v0, s6, v0
	v_add3_u32 v2, v2, v3, v4
	v_lshlrev_b64 v[1:2], 3, v[1:2]
	s_waitcnt lgkmcnt(0)
	v_mov_b32_e32 v3, s9
	v_add_co_u32_e32 v4, vcc, s8, v1
	v_addc_co_u32_e32 v6, vcc, v3, v2, vcc
	v_cmp_le_i32_e64 s[0:1], v5, v0
	v_cmp_gt_i32_e32 vcc, s4, v0
	s_and_b64 s[0:1], s[0:1], vcc
	s_and_saveexec_b64 s[2:3], s[0:1]
	s_cbranch_execz .LBB1715_7
; %bb.5:
	v_ashrrev_i32_e32 v1, 31, v0
	v_lshlrev_b64 v[1:2], 3, v[0:1]
	v_xor_b32_e32 v7, 0x80000000, v20
	v_add_co_u32_e64 v1, s[0:1], v4, v1
	v_addc_co_u32_e64 v2, s[0:1], v6, v2, s[0:1]
	v_xor_b32_e32 v8, 0x80000000, v21
	v_cmp_eq_u32_e64 s[0:1], v5, v0
	flat_store_dwordx2 v[1:2], v[7:8]
	s_and_b64 exec, exec, s[0:1]
	s_cbranch_execz .LBB1715_7
; %bb.6:
	v_mov_b32_e32 v3, 0
	flat_store_dword v[1:2], v3 offset:4
.LBB1715_7:
	s_or_b64 exec, exec, s[2:3]
	v_add_u32_e32 v2, 16, v0
	v_cmp_le_i32_e64 s[2:3], v5, v2
	v_cmp_gt_i32_e64 s[0:1], s4, v2
	s_and_b64 s[2:3], s[2:3], s[0:1]
	s_and_saveexec_b64 s[4:5], s[2:3]
	s_cbranch_execz .LBB1715_10
; %bb.8:
	v_ashrrev_i32_e32 v3, 31, v2
	v_lshlrev_b64 v[11:12], 3, v[2:3]
	v_xor_b32_e32 v7, 0x80000000, v19
	v_add_co_u32_e64 v3, s[2:3], v4, v11
	v_addc_co_u32_e64 v4, s[2:3], v6, v12, s[2:3]
	v_xor_b32_e32 v8, 0x80000000, v18
	v_cmp_eq_u32_e64 s[2:3], v5, v2
	flat_store_dwordx2 v[3:4], v[7:8]
	s_and_b64 exec, exec, s[2:3]
	s_cbranch_execz .LBB1715_10
; %bb.9:
	v_mov_b32_e32 v1, 0
	flat_store_dword v[3:4], v1 offset:4
.LBB1715_10:
	s_or_b64 exec, exec, s[4:5]
	v_add_u32_e32 v8, 16, v5
	v_ashrrev_i32_e32 v1, 31, v8
	v_mul_lo_u32 v6, s15, v8
	v_mad_u64_u32 v[3:4], s[2:3], s14, v8, 0
	v_mul_lo_u32 v1, s14, v1
	v_add3_u32 v4, v4, v1, v6
	v_lshlrev_b64 v[3:4], 3, v[3:4]
	v_mov_b32_e32 v1, s9
	v_add_co_u32_e64 v6, s[2:3], s8, v3
	v_addc_co_u32_e64 v7, s[2:3], v1, v4, s[2:3]
	v_cmp_le_i32_e64 s[2:3], v8, v0
	s_and_b64 s[4:5], s[2:3], vcc
	s_and_saveexec_b64 s[2:3], s[4:5]
	s_cbranch_execz .LBB1715_13
; %bb.11:
	v_ashrrev_i32_e32 v1, 31, v0
	v_lshlrev_b64 v[3:4], 3, v[0:1]
	v_xor_b32_e32 v11, 0x80000000, v17
	v_add_co_u32_e32 v3, vcc, v6, v3
	v_addc_co_u32_e32 v4, vcc, v7, v4, vcc
	v_xor_b32_e32 v12, 0x80000000, v16
	v_cmp_eq_u32_e32 vcc, v8, v0
	flat_store_dwordx2 v[3:4], v[11:12]
	s_and_b64 exec, exec, vcc
	s_cbranch_execz .LBB1715_13
; %bb.12:
	v_mov_b32_e32 v1, 0
	flat_store_dword v[3:4], v1 offset:4
.LBB1715_13:
	s_or_b64 exec, exec, s[2:3]
	v_cmp_le_i32_e32 vcc, v8, v2
	s_and_b64 s[0:1], vcc, s[0:1]
	s_and_saveexec_b64 s[2:3], s[0:1]
	s_cbranch_execz .LBB1715_16
; %bb.14:
	v_ashrrev_i32_e32 v3, 31, v2
	v_lshlrev_b64 v[1:2], 3, v[2:3]
	v_xor_b32_e32 v8, 0x80000000, v15
	v_add_co_u32_e32 v1, vcc, v6, v1
	v_addc_co_u32_e32 v2, vcc, v7, v2, vcc
	v_xor_b32_e32 v9, 0x80000000, v10
	v_cmp_eq_u32_e32 vcc, v5, v0
	flat_store_dwordx2 v[1:2], v[8:9]
	s_and_b64 exec, exec, vcc
	s_cbranch_execz .LBB1715_16
; %bb.15:
	v_mov_b32_e32 v0, 0
	flat_store_dword v[1:2], v0 offset:4
.LBB1715_16:
	s_endpgm
	.section	.rodata,"a",@progbits
	.p2align	6, 0x0
	.amdhsa_kernel _ZL37rocblas_syrkx_herkx_restricted_kernelIl19rocblas_complex_numIfELi16ELi32ELi8ELin1ELi0ELb1ELc67ELc76EKPKS1_KPS1_EviT_PT9_S7_lS9_S7_lPT10_S7_li
		.amdhsa_group_segment_fixed_size 4096
		.amdhsa_private_segment_fixed_size 0
		.amdhsa_kernarg_size 92
		.amdhsa_user_sgpr_count 6
		.amdhsa_user_sgpr_private_segment_buffer 1
		.amdhsa_user_sgpr_dispatch_ptr 0
		.amdhsa_user_sgpr_queue_ptr 0
		.amdhsa_user_sgpr_kernarg_segment_ptr 1
		.amdhsa_user_sgpr_dispatch_id 0
		.amdhsa_user_sgpr_flat_scratch_init 0
		.amdhsa_user_sgpr_private_segment_size 0
		.amdhsa_uses_dynamic_stack 0
		.amdhsa_system_sgpr_private_segment_wavefront_offset 0
		.amdhsa_system_sgpr_workgroup_id_x 1
		.amdhsa_system_sgpr_workgroup_id_y 1
		.amdhsa_system_sgpr_workgroup_id_z 1
		.amdhsa_system_sgpr_workgroup_info 0
		.amdhsa_system_vgpr_workitem_id 1
		.amdhsa_next_free_vgpr 41
		.amdhsa_next_free_sgpr 20
		.amdhsa_reserve_vcc 1
		.amdhsa_reserve_flat_scratch 0
		.amdhsa_float_round_mode_32 0
		.amdhsa_float_round_mode_16_64 0
		.amdhsa_float_denorm_mode_32 3
		.amdhsa_float_denorm_mode_16_64 3
		.amdhsa_dx10_clamp 1
		.amdhsa_ieee_mode 1
		.amdhsa_fp16_overflow 0
		.amdhsa_exception_fp_ieee_invalid_op 0
		.amdhsa_exception_fp_denorm_src 0
		.amdhsa_exception_fp_ieee_div_zero 0
		.amdhsa_exception_fp_ieee_overflow 0
		.amdhsa_exception_fp_ieee_underflow 0
		.amdhsa_exception_fp_ieee_inexact 0
		.amdhsa_exception_int_div_zero 0
	.end_amdhsa_kernel
	.section	.text._ZL37rocblas_syrkx_herkx_restricted_kernelIl19rocblas_complex_numIfELi16ELi32ELi8ELin1ELi0ELb1ELc67ELc76EKPKS1_KPS1_EviT_PT9_S7_lS9_S7_lPT10_S7_li,"axG",@progbits,_ZL37rocblas_syrkx_herkx_restricted_kernelIl19rocblas_complex_numIfELi16ELi32ELi8ELin1ELi0ELb1ELc67ELc76EKPKS1_KPS1_EviT_PT9_S7_lS9_S7_lPT10_S7_li,comdat
.Lfunc_end1715:
	.size	_ZL37rocblas_syrkx_herkx_restricted_kernelIl19rocblas_complex_numIfELi16ELi32ELi8ELin1ELi0ELb1ELc67ELc76EKPKS1_KPS1_EviT_PT9_S7_lS9_S7_lPT10_S7_li, .Lfunc_end1715-_ZL37rocblas_syrkx_herkx_restricted_kernelIl19rocblas_complex_numIfELi16ELi32ELi8ELin1ELi0ELb1ELc67ELc76EKPKS1_KPS1_EviT_PT9_S7_lS9_S7_lPT10_S7_li
                                        ; -- End function
	.set _ZL37rocblas_syrkx_herkx_restricted_kernelIl19rocblas_complex_numIfELi16ELi32ELi8ELin1ELi0ELb1ELc67ELc76EKPKS1_KPS1_EviT_PT9_S7_lS9_S7_lPT10_S7_li.num_vgpr, 41
	.set _ZL37rocblas_syrkx_herkx_restricted_kernelIl19rocblas_complex_numIfELi16ELi32ELi8ELin1ELi0ELb1ELc67ELc76EKPKS1_KPS1_EviT_PT9_S7_lS9_S7_lPT10_S7_li.num_agpr, 0
	.set _ZL37rocblas_syrkx_herkx_restricted_kernelIl19rocblas_complex_numIfELi16ELi32ELi8ELin1ELi0ELb1ELc67ELc76EKPKS1_KPS1_EviT_PT9_S7_lS9_S7_lPT10_S7_li.numbered_sgpr, 20
	.set _ZL37rocblas_syrkx_herkx_restricted_kernelIl19rocblas_complex_numIfELi16ELi32ELi8ELin1ELi0ELb1ELc67ELc76EKPKS1_KPS1_EviT_PT9_S7_lS9_S7_lPT10_S7_li.num_named_barrier, 0
	.set _ZL37rocblas_syrkx_herkx_restricted_kernelIl19rocblas_complex_numIfELi16ELi32ELi8ELin1ELi0ELb1ELc67ELc76EKPKS1_KPS1_EviT_PT9_S7_lS9_S7_lPT10_S7_li.private_seg_size, 0
	.set _ZL37rocblas_syrkx_herkx_restricted_kernelIl19rocblas_complex_numIfELi16ELi32ELi8ELin1ELi0ELb1ELc67ELc76EKPKS1_KPS1_EviT_PT9_S7_lS9_S7_lPT10_S7_li.uses_vcc, 1
	.set _ZL37rocblas_syrkx_herkx_restricted_kernelIl19rocblas_complex_numIfELi16ELi32ELi8ELin1ELi0ELb1ELc67ELc76EKPKS1_KPS1_EviT_PT9_S7_lS9_S7_lPT10_S7_li.uses_flat_scratch, 0
	.set _ZL37rocblas_syrkx_herkx_restricted_kernelIl19rocblas_complex_numIfELi16ELi32ELi8ELin1ELi0ELb1ELc67ELc76EKPKS1_KPS1_EviT_PT9_S7_lS9_S7_lPT10_S7_li.has_dyn_sized_stack, 0
	.set _ZL37rocblas_syrkx_herkx_restricted_kernelIl19rocblas_complex_numIfELi16ELi32ELi8ELin1ELi0ELb1ELc67ELc76EKPKS1_KPS1_EviT_PT9_S7_lS9_S7_lPT10_S7_li.has_recursion, 0
	.set _ZL37rocblas_syrkx_herkx_restricted_kernelIl19rocblas_complex_numIfELi16ELi32ELi8ELin1ELi0ELb1ELc67ELc76EKPKS1_KPS1_EviT_PT9_S7_lS9_S7_lPT10_S7_li.has_indirect_call, 0
	.section	.AMDGPU.csdata,"",@progbits
; Kernel info:
; codeLenInByte = 2116
; TotalNumSgprs: 24
; NumVgprs: 41
; ScratchSize: 0
; MemoryBound: 0
; FloatMode: 240
; IeeeMode: 1
; LDSByteSize: 4096 bytes/workgroup (compile time only)
; SGPRBlocks: 2
; VGPRBlocks: 10
; NumSGPRsForWavesPerEU: 24
; NumVGPRsForWavesPerEU: 41
; Occupancy: 5
; WaveLimiterHint : 1
; COMPUTE_PGM_RSRC2:SCRATCH_EN: 0
; COMPUTE_PGM_RSRC2:USER_SGPR: 6
; COMPUTE_PGM_RSRC2:TRAP_HANDLER: 0
; COMPUTE_PGM_RSRC2:TGID_X_EN: 1
; COMPUTE_PGM_RSRC2:TGID_Y_EN: 1
; COMPUTE_PGM_RSRC2:TGID_Z_EN: 1
; COMPUTE_PGM_RSRC2:TIDIG_COMP_CNT: 1
	.section	.text._ZL37rocblas_syrkx_herkx_restricted_kernelIl19rocblas_complex_numIfELi16ELi32ELi8ELin1ELi0ELb1ELc78ELc76EKPKS1_KPS1_EviT_PT9_S7_lS9_S7_lPT10_S7_li,"axG",@progbits,_ZL37rocblas_syrkx_herkx_restricted_kernelIl19rocblas_complex_numIfELi16ELi32ELi8ELin1ELi0ELb1ELc78ELc76EKPKS1_KPS1_EviT_PT9_S7_lS9_S7_lPT10_S7_li,comdat
	.globl	_ZL37rocblas_syrkx_herkx_restricted_kernelIl19rocblas_complex_numIfELi16ELi32ELi8ELin1ELi0ELb1ELc78ELc76EKPKS1_KPS1_EviT_PT9_S7_lS9_S7_lPT10_S7_li ; -- Begin function _ZL37rocblas_syrkx_herkx_restricted_kernelIl19rocblas_complex_numIfELi16ELi32ELi8ELin1ELi0ELb1ELc78ELc76EKPKS1_KPS1_EviT_PT9_S7_lS9_S7_lPT10_S7_li
	.p2align	8
	.type	_ZL37rocblas_syrkx_herkx_restricted_kernelIl19rocblas_complex_numIfELi16ELi32ELi8ELin1ELi0ELb1ELc78ELc76EKPKS1_KPS1_EviT_PT9_S7_lS9_S7_lPT10_S7_li,@function
_ZL37rocblas_syrkx_herkx_restricted_kernelIl19rocblas_complex_numIfELi16ELi32ELi8ELin1ELi0ELb1ELc78ELc76EKPKS1_KPS1_EviT_PT9_S7_lS9_S7_lPT10_S7_li: ; @_ZL37rocblas_syrkx_herkx_restricted_kernelIl19rocblas_complex_numIfELi16ELi32ELi8ELin1ELi0ELb1ELc78ELc76EKPKS1_KPS1_EviT_PT9_S7_lS9_S7_lPT10_S7_li
; %bb.0:
	s_load_dwordx4 s[12:15], s[4:5], 0x40
	s_load_dwordx4 s[0:3], s[4:5], 0x8
	s_mov_b32 s9, 0
	s_lshl_b64 s[16:17], s[8:9], 3
	s_waitcnt lgkmcnt(0)
	s_add_u32 s8, s12, s16
	s_addc_u32 s9, s13, s17
	s_load_dwordx2 s[12:13], s[8:9], 0x0
	v_cmp_lt_i64_e64 s[8:9], s[0:1], 1
	s_lshl_b32 s18, s6, 5
	s_lshl_b32 s19, s7, 5
	s_and_b64 vcc, exec, s[8:9]
	s_cbranch_vccnz .LBB1716_3
; %bb.1:
	s_load_dwordx2 s[6:7], s[4:5], 0x18
	s_load_dwordx4 s[8:11], s[4:5], 0x28
	v_lshl_add_u32 v5, v1, 4, v0
	v_lshrrev_b32_e32 v7, 3, v5
	v_add_u32_e32 v2, s19, v7
	v_and_b32_e32 v6, 7, v0
	v_ashrrev_i32_e32 v3, 31, v2
	s_waitcnt lgkmcnt(0)
	v_mad_u64_u32 v[2:3], s[20:21], s10, v6, v[2:3]
	s_add_u32 s2, s2, s16
	s_addc_u32 s3, s3, s17
	v_mad_u64_u32 v[3:4], s[20:21], s11, v6, v[3:4]
	v_and_b32_e32 v4, 31, v5
	v_lshrrev_b32_e32 v8, 5, v5
	v_lshlrev_b32_e32 v5, 3, v4
	v_add_u32_e32 v4, s18, v4
	s_add_u32 s8, s8, s16
	v_lshl_or_b32 v10, v8, 8, v5
	v_ashrrev_i32_e32 v5, 31, v4
	s_addc_u32 s9, s9, s17
	v_mad_u64_u32 v[4:5], s[16:17], s6, v8, v[4:5]
	v_lshlrev_b32_e32 v6, 3, v6
	v_lshl_or_b32 v6, v7, 6, v6
	v_add_u32_e32 v11, 0x800, v6
	v_mad_u64_u32 v[5:6], s[16:17], s7, v8, v[5:6]
	s_load_dwordx2 s[2:3], s[2:3], 0x0
	v_mov_b32_e32 v6, 0x800
	s_load_dwordx2 s[8:9], s[8:9], 0x0
	v_lshlrev_b64 v[4:5], 3, v[4:5]
	v_lshl_add_u32 v13, v1, 6, v6
	s_waitcnt lgkmcnt(0)
	v_mov_b32_e32 v7, s3
	v_add_co_u32_e32 v6, vcc, s2, v4
	v_lshlrev_b64 v[2:3], 3, v[2:3]
	v_addc_co_u32_e32 v7, vcc, v7, v5, vcc
	s_lshl_b64 s[2:3], s[6:7], 6
	v_mov_b32_e32 v4, s9
	v_add_co_u32_e32 v8, vcc, s8, v2
	s_lshl_b64 s[6:7], s[10:11], 6
	v_lshlrev_b32_e32 v12, 3, v0
	v_addc_co_u32_e32 v9, vcc, v4, v3, vcc
	v_mov_b32_e32 v16, 0
	s_mov_b64 s[8:9], 0
	v_mov_b32_e32 v14, s3
	v_mov_b32_e32 v15, s7
	;; [unrolled: 1-line block ×9, first 2 shown]
.LBB1716_2:                             ; =>This Inner Loop Header: Depth=1
	flat_load_dwordx2 v[2:3], v[6:7]
	v_add_co_u32_e32 v6, vcc, s2, v6
	s_add_u32 s8, s8, 8
	v_addc_co_u32_e32 v7, vcc, v7, v14, vcc
	s_addc_u32 s9, s9, 0
	s_waitcnt vmcnt(0) lgkmcnt(0)
	ds_write_b64 v10, v[2:3]
	flat_load_dwordx2 v[2:3], v[8:9]
	v_add_co_u32_e32 v8, vcc, s6, v8
	v_addc_co_u32_e32 v9, vcc, v9, v15, vcc
	s_waitcnt vmcnt(0) lgkmcnt(0)
	v_xor_b32_e32 v3, 0x80000000, v3
	ds_write_b64 v11, v[2:3]
	s_waitcnt lgkmcnt(0)
	s_barrier
	ds_read_b128 v[24:27], v13
	ds_read_b128 v[28:31], v13 offset:16
	ds_read_b128 v[32:35], v13 offset:32
	;; [unrolled: 1-line block ×3, first 2 shown]
	ds_read2_b64 v[36:39], v12 offset1:16
	s_waitcnt lgkmcnt(0)
	v_mul_f32_e32 v40, v25, v37
	v_mul_f32_e32 v41, v24, v37
	v_fma_f32 v40, v24, v36, -v40
	v_fmac_f32_e32 v41, v25, v36
	v_add_f32_e32 v40, v22, v40
	v_add_f32_e32 v41, v23, v41
	v_mul_f32_e32 v22, v25, v39
	v_mul_f32_e32 v23, v24, v39
	v_fma_f32 v22, v24, v38, -v22
	v_fmac_f32_e32 v23, v25, v38
	v_add_f32_e32 v24, v21, v22
	v_add_f32_e32 v25, v20, v23
	ds_read_b128 v[20:23], v13 offset:1024
	s_waitcnt lgkmcnt(0)
	v_mul_f32_e32 v42, v21, v37
	v_mul_f32_e32 v37, v20, v37
	v_fma_f32 v42, v20, v36, -v42
	v_fmac_f32_e32 v37, v21, v36
	v_add_f32_e32 v36, v19, v42
	v_add_f32_e32 v37, v18, v37
	v_mul_f32_e32 v18, v21, v39
	v_mul_f32_e32 v19, v20, v39
	v_fma_f32 v18, v20, v38, -v18
	v_fmac_f32_e32 v19, v21, v38
	v_add_f32_e32 v20, v17, v18
	v_add_f32_e32 v21, v16, v19
	ds_read2_b64 v[16:19], v12 offset0:32 offset1:48
	s_waitcnt lgkmcnt(0)
	v_mul_f32_e32 v38, v27, v17
	v_fma_f32 v38, v26, v16, -v38
	v_add_f32_e32 v38, v40, v38
	v_mul_f32_e32 v40, v27, v19
	v_mul_f32_e32 v39, v26, v17
	v_fma_f32 v40, v26, v18, -v40
	v_mul_f32_e32 v26, v26, v19
	v_fmac_f32_e32 v26, v27, v18
	v_add_f32_e32 v25, v25, v26
	v_mul_f32_e32 v26, v23, v17
	v_mul_f32_e32 v17, v22, v17
	v_fmac_f32_e32 v17, v23, v16
	v_fmac_f32_e32 v39, v27, v16
	v_fma_f32 v26, v22, v16, -v26
	v_add_f32_e32 v27, v37, v17
	v_mul_f32_e32 v16, v23, v19
	v_mul_f32_e32 v17, v22, v19
	v_fma_f32 v16, v22, v18, -v16
	v_fmac_f32_e32 v17, v23, v18
	v_add_f32_e32 v26, v36, v26
	v_add_f32_e32 v36, v20, v16
	v_add_f32_e32 v37, v21, v17
	ds_read2_b64 v[16:19], v12 offset0:64 offset1:80
	v_add_f32_e32 v39, v41, v39
	v_add_f32_e32 v24, v24, v40
	s_waitcnt lgkmcnt(0)
	v_mul_f32_e32 v20, v29, v17
	v_mul_f32_e32 v21, v28, v17
	v_fma_f32 v20, v28, v16, -v20
	v_fmac_f32_e32 v21, v29, v16
	v_add_f32_e32 v38, v38, v20
	v_add_f32_e32 v39, v39, v21
	v_mul_f32_e32 v20, v29, v19
	v_mul_f32_e32 v21, v28, v19
	v_fma_f32 v20, v28, v18, -v20
	v_fmac_f32_e32 v21, v29, v18
	v_add_f32_e32 v24, v24, v20
	v_add_f32_e32 v25, v25, v21
	ds_read_b128 v[20:23], v13 offset:1040
	s_waitcnt lgkmcnt(0)
	v_mul_f32_e32 v28, v21, v17
	v_mul_f32_e32 v17, v20, v17
	v_fmac_f32_e32 v17, v21, v16
	v_fma_f32 v28, v20, v16, -v28
	v_add_f32_e32 v27, v27, v17
	v_mul_f32_e32 v16, v21, v19
	v_mul_f32_e32 v17, v20, v19
	v_fma_f32 v16, v20, v18, -v16
	v_fmac_f32_e32 v17, v21, v18
	v_add_f32_e32 v20, v36, v16
	v_add_f32_e32 v21, v37, v17
	ds_read2_b64 v[16:19], v12 offset0:96 offset1:112
	v_add_f32_e32 v26, v26, v28
	s_waitcnt lgkmcnt(0)
	v_mul_f32_e32 v28, v31, v17
	v_mul_f32_e32 v36, v31, v19
	v_fma_f32 v28, v30, v16, -v28
	v_mul_f32_e32 v29, v30, v17
	v_fma_f32 v36, v30, v18, -v36
	v_mul_f32_e32 v30, v30, v19
	v_fmac_f32_e32 v30, v31, v18
	v_add_f32_e32 v25, v25, v30
	v_mul_f32_e32 v30, v23, v17
	v_mul_f32_e32 v17, v22, v17
	v_fmac_f32_e32 v17, v23, v16
	v_fmac_f32_e32 v29, v31, v16
	v_fma_f32 v30, v22, v16, -v30
	v_add_f32_e32 v27, v27, v17
	v_mul_f32_e32 v16, v23, v19
	v_mul_f32_e32 v17, v22, v19
	v_fma_f32 v16, v22, v18, -v16
	v_fmac_f32_e32 v17, v23, v18
	v_add_f32_e32 v26, v26, v30
	v_add_f32_e32 v30, v20, v16
	;; [unrolled: 1-line block ×3, first 2 shown]
	ds_read2_b64 v[16:19], v12 offset0:128 offset1:144
	v_add_f32_e32 v28, v38, v28
	v_add_f32_e32 v29, v39, v29
	;; [unrolled: 1-line block ×3, first 2 shown]
	s_waitcnt lgkmcnt(0)
	v_mul_f32_e32 v20, v33, v17
	v_mul_f32_e32 v21, v32, v17
	v_fma_f32 v20, v32, v16, -v20
	v_fmac_f32_e32 v21, v33, v16
	v_add_f32_e32 v28, v28, v20
	v_add_f32_e32 v29, v29, v21
	v_mul_f32_e32 v20, v33, v19
	v_mul_f32_e32 v21, v32, v19
	v_fma_f32 v20, v32, v18, -v20
	v_fmac_f32_e32 v21, v33, v18
	v_add_f32_e32 v24, v24, v20
	v_add_f32_e32 v25, v25, v21
	ds_read_b128 v[20:23], v13 offset:1056
	s_waitcnt lgkmcnt(0)
	v_mul_f32_e32 v32, v21, v17
	v_mul_f32_e32 v17, v20, v17
	v_fmac_f32_e32 v17, v21, v16
	v_fma_f32 v32, v20, v16, -v32
	v_add_f32_e32 v27, v27, v17
	v_mul_f32_e32 v16, v21, v19
	v_mul_f32_e32 v17, v20, v19
	v_fma_f32 v16, v20, v18, -v16
	v_fmac_f32_e32 v17, v21, v18
	v_add_f32_e32 v20, v30, v16
	v_add_f32_e32 v21, v31, v17
	ds_read2_b64 v[16:19], v12 offset0:160 offset1:176
	v_add_f32_e32 v26, v26, v32
	s_waitcnt lgkmcnt(0)
	v_mul_f32_e32 v30, v35, v17
	v_fma_f32 v30, v34, v16, -v30
	v_add_f32_e32 v28, v28, v30
	v_mul_f32_e32 v30, v35, v19
	v_fma_f32 v30, v34, v18, -v30
	v_mul_f32_e32 v31, v34, v17
	v_add_f32_e32 v24, v24, v30
	v_mul_f32_e32 v30, v23, v17
	v_mul_f32_e32 v17, v22, v17
	v_fmac_f32_e32 v17, v23, v16
	v_fmac_f32_e32 v31, v35, v16
	v_fma_f32 v30, v22, v16, -v30
	v_add_f32_e32 v27, v27, v17
	v_mul_f32_e32 v16, v23, v19
	v_mul_f32_e32 v17, v22, v19
	v_add_f32_e32 v29, v29, v31
	v_mul_f32_e32 v31, v34, v19
	v_fma_f32 v16, v22, v18, -v16
	v_fmac_f32_e32 v17, v23, v18
	v_fmac_f32_e32 v31, v35, v18
	v_add_f32_e32 v20, v20, v16
	v_add_f32_e32 v21, v21, v17
	ds_read2_b64 v[16:19], v12 offset0:192 offset1:208
	v_add_f32_e32 v26, v26, v30
	v_add_f32_e32 v25, v25, v31
	s_waitcnt lgkmcnt(0)
	v_mul_f32_e32 v22, v3, v17
	v_fma_f32 v22, v2, v16, -v22
	v_add_f32_e32 v30, v28, v22
	v_mul_f32_e32 v22, v3, v19
	v_mul_f32_e32 v23, v2, v17
	v_fma_f32 v22, v2, v18, -v22
	v_mul_f32_e32 v2, v2, v19
	v_fmac_f32_e32 v23, v3, v16
	v_fmac_f32_e32 v2, v3, v18
	v_add_f32_e32 v31, v29, v23
	v_add_f32_e32 v3, v24, v22
	;; [unrolled: 1-line block ×3, first 2 shown]
	ds_read_b128 v[22:25], v13 offset:1072
	s_waitcnt lgkmcnt(0)
	v_mul_f32_e32 v28, v23, v17
	v_fma_f32 v28, v22, v16, -v28
	v_mul_f32_e32 v17, v22, v17
	v_fmac_f32_e32 v17, v23, v16
	v_add_f32_e32 v16, v26, v28
	v_mul_f32_e32 v26, v23, v19
	v_fma_f32 v26, v22, v18, -v26
	v_add_f32_e32 v17, v27, v17
	v_add_f32_e32 v32, v20, v26
	ds_read2_b64 v[26:29], v12 offset0:224 offset1:240
	v_mul_f32_e32 v19, v22, v19
	v_fmac_f32_e32 v19, v23, v18
	v_add_f32_e32 v33, v21, v19
	s_waitcnt lgkmcnt(0)
	v_mul_f32_e32 v18, v5, v27
	v_fma_f32 v18, v4, v26, -v18
	v_add_f32_e32 v22, v30, v18
	v_mul_f32_e32 v18, v5, v29
	v_mul_f32_e32 v19, v4, v27
	v_fma_f32 v18, v4, v28, -v18
	v_mul_f32_e32 v4, v4, v29
	v_fmac_f32_e32 v4, v5, v28
	v_add_f32_e32 v21, v3, v18
	v_add_f32_e32 v20, v2, v4
	v_mul_f32_e32 v2, v25, v27
	v_mul_f32_e32 v3, v24, v27
	v_fmac_f32_e32 v19, v5, v26
	v_fma_f32 v2, v24, v26, -v2
	v_fmac_f32_e32 v3, v25, v26
	v_add_f32_e32 v23, v31, v19
	v_add_f32_e32 v19, v16, v2
	;; [unrolled: 1-line block ×3, first 2 shown]
	v_mul_f32_e32 v2, v25, v29
	v_mul_f32_e32 v3, v24, v29
	v_fma_f32 v2, v24, v28, -v2
	v_fmac_f32_e32 v3, v25, v28
	v_add_f32_e32 v17, v32, v2
	v_add_f32_e32 v16, v33, v3
	v_mov_b32_e32 v2, s8
	v_mov_b32_e32 v3, s9
	v_cmp_le_u64_e32 vcc, s[0:1], v[2:3]
	s_barrier
	s_cbranch_vccz .LBB1716_2
	s_branch .LBB1716_4
.LBB1716_3:
	v_mov_b32_e32 v22, 0
	v_mov_b32_e32 v23, 0
	;; [unrolled: 1-line block ×8, first 2 shown]
.LBB1716_4:
	v_add_u32_e32 v5, s19, v1
	v_ashrrev_i32_e32 v1, 31, v5
	v_mul_lo_u32 v3, s14, v1
	v_mul_lo_u32 v4, s15, v5
	v_mad_u64_u32 v[1:2], s[0:1], s14, v5, 0
	s_load_dword s4, s[4:5], 0x0
	v_add_u32_e32 v0, s18, v0
	v_add3_u32 v2, v2, v3, v4
	v_lshlrev_b64 v[1:2], 3, v[1:2]
	s_waitcnt lgkmcnt(0)
	v_mov_b32_e32 v3, s13
	v_add_co_u32_e32 v4, vcc, s12, v1
	v_addc_co_u32_e32 v6, vcc, v3, v2, vcc
	v_cmp_le_i32_e64 s[0:1], v5, v0
	v_cmp_gt_i32_e32 vcc, s4, v0
	s_and_b64 s[0:1], s[0:1], vcc
	s_and_saveexec_b64 s[2:3], s[0:1]
	s_cbranch_execz .LBB1716_7
; %bb.5:
	v_ashrrev_i32_e32 v1, 31, v0
	v_lshlrev_b64 v[1:2], 3, v[0:1]
	v_xor_b32_e32 v7, 0x80000000, v22
	v_add_co_u32_e64 v1, s[0:1], v4, v1
	v_addc_co_u32_e64 v2, s[0:1], v6, v2, s[0:1]
	v_xor_b32_e32 v8, 0x80000000, v23
	v_cmp_eq_u32_e64 s[0:1], v5, v0
	flat_store_dwordx2 v[1:2], v[7:8]
	s_and_b64 exec, exec, s[0:1]
	s_cbranch_execz .LBB1716_7
; %bb.6:
	v_mov_b32_e32 v3, 0
	flat_store_dword v[1:2], v3 offset:4
.LBB1716_7:
	s_or_b64 exec, exec, s[2:3]
	v_add_u32_e32 v2, 16, v0
	v_cmp_le_i32_e64 s[2:3], v5, v2
	v_cmp_gt_i32_e64 s[0:1], s4, v2
	s_and_b64 s[2:3], s[2:3], s[0:1]
	s_and_saveexec_b64 s[4:5], s[2:3]
	s_cbranch_execz .LBB1716_10
; %bb.8:
	v_ashrrev_i32_e32 v3, 31, v2
	v_lshlrev_b64 v[9:10], 3, v[2:3]
	v_xor_b32_e32 v7, 0x80000000, v21
	v_add_co_u32_e64 v3, s[2:3], v4, v9
	v_addc_co_u32_e64 v4, s[2:3], v6, v10, s[2:3]
	v_xor_b32_e32 v8, 0x80000000, v20
	v_cmp_eq_u32_e64 s[2:3], v5, v2
	flat_store_dwordx2 v[3:4], v[7:8]
	s_and_b64 exec, exec, s[2:3]
	s_cbranch_execz .LBB1716_10
; %bb.9:
	v_mov_b32_e32 v1, 0
	flat_store_dword v[3:4], v1 offset:4
.LBB1716_10:
	s_or_b64 exec, exec, s[4:5]
	v_add_u32_e32 v8, 16, v5
	v_ashrrev_i32_e32 v1, 31, v8
	v_mul_lo_u32 v6, s15, v8
	v_mad_u64_u32 v[3:4], s[2:3], s14, v8, 0
	v_mul_lo_u32 v1, s14, v1
	v_add3_u32 v4, v4, v1, v6
	v_lshlrev_b64 v[3:4], 3, v[3:4]
	v_mov_b32_e32 v1, s13
	v_add_co_u32_e64 v6, s[2:3], s12, v3
	v_addc_co_u32_e64 v7, s[2:3], v1, v4, s[2:3]
	v_cmp_le_i32_e64 s[2:3], v8, v0
	s_and_b64 s[4:5], s[2:3], vcc
	s_and_saveexec_b64 s[2:3], s[4:5]
	s_cbranch_execz .LBB1716_13
; %bb.11:
	v_ashrrev_i32_e32 v1, 31, v0
	v_lshlrev_b64 v[3:4], 3, v[0:1]
	v_xor_b32_e32 v9, 0x80000000, v19
	v_add_co_u32_e32 v3, vcc, v6, v3
	v_addc_co_u32_e32 v4, vcc, v7, v4, vcc
	v_xor_b32_e32 v10, 0x80000000, v18
	v_cmp_eq_u32_e32 vcc, v8, v0
	flat_store_dwordx2 v[3:4], v[9:10]
	s_and_b64 exec, exec, vcc
	s_cbranch_execz .LBB1716_13
; %bb.12:
	v_mov_b32_e32 v1, 0
	flat_store_dword v[3:4], v1 offset:4
.LBB1716_13:
	s_or_b64 exec, exec, s[2:3]
	v_cmp_le_i32_e32 vcc, v8, v2
	s_and_b64 s[0:1], vcc, s[0:1]
	s_and_saveexec_b64 s[2:3], s[0:1]
	s_cbranch_execz .LBB1716_16
; %bb.14:
	v_ashrrev_i32_e32 v3, 31, v2
	v_lshlrev_b64 v[1:2], 3, v[2:3]
	v_xor_b32_e32 v8, 0x80000000, v17
	v_add_co_u32_e32 v1, vcc, v6, v1
	v_addc_co_u32_e32 v2, vcc, v7, v2, vcc
	v_xor_b32_e32 v9, 0x80000000, v16
	v_cmp_eq_u32_e32 vcc, v5, v0
	flat_store_dwordx2 v[1:2], v[8:9]
	s_and_b64 exec, exec, vcc
	s_cbranch_execz .LBB1716_16
; %bb.15:
	v_mov_b32_e32 v0, 0
	flat_store_dword v[1:2], v0 offset:4
.LBB1716_16:
	s_endpgm
	.section	.rodata,"a",@progbits
	.p2align	6, 0x0
	.amdhsa_kernel _ZL37rocblas_syrkx_herkx_restricted_kernelIl19rocblas_complex_numIfELi16ELi32ELi8ELin1ELi0ELb1ELc78ELc76EKPKS1_KPS1_EviT_PT9_S7_lS9_S7_lPT10_S7_li
		.amdhsa_group_segment_fixed_size 4096
		.amdhsa_private_segment_fixed_size 0
		.amdhsa_kernarg_size 92
		.amdhsa_user_sgpr_count 6
		.amdhsa_user_sgpr_private_segment_buffer 1
		.amdhsa_user_sgpr_dispatch_ptr 0
		.amdhsa_user_sgpr_queue_ptr 0
		.amdhsa_user_sgpr_kernarg_segment_ptr 1
		.amdhsa_user_sgpr_dispatch_id 0
		.amdhsa_user_sgpr_flat_scratch_init 0
		.amdhsa_user_sgpr_private_segment_size 0
		.amdhsa_uses_dynamic_stack 0
		.amdhsa_system_sgpr_private_segment_wavefront_offset 0
		.amdhsa_system_sgpr_workgroup_id_x 1
		.amdhsa_system_sgpr_workgroup_id_y 1
		.amdhsa_system_sgpr_workgroup_id_z 1
		.amdhsa_system_sgpr_workgroup_info 0
		.amdhsa_system_vgpr_workitem_id 1
		.amdhsa_next_free_vgpr 43
		.amdhsa_next_free_sgpr 22
		.amdhsa_reserve_vcc 1
		.amdhsa_reserve_flat_scratch 0
		.amdhsa_float_round_mode_32 0
		.amdhsa_float_round_mode_16_64 0
		.amdhsa_float_denorm_mode_32 3
		.amdhsa_float_denorm_mode_16_64 3
		.amdhsa_dx10_clamp 1
		.amdhsa_ieee_mode 1
		.amdhsa_fp16_overflow 0
		.amdhsa_exception_fp_ieee_invalid_op 0
		.amdhsa_exception_fp_denorm_src 0
		.amdhsa_exception_fp_ieee_div_zero 0
		.amdhsa_exception_fp_ieee_overflow 0
		.amdhsa_exception_fp_ieee_underflow 0
		.amdhsa_exception_fp_ieee_inexact 0
		.amdhsa_exception_int_div_zero 0
	.end_amdhsa_kernel
	.section	.text._ZL37rocblas_syrkx_herkx_restricted_kernelIl19rocblas_complex_numIfELi16ELi32ELi8ELin1ELi0ELb1ELc78ELc76EKPKS1_KPS1_EviT_PT9_S7_lS9_S7_lPT10_S7_li,"axG",@progbits,_ZL37rocblas_syrkx_herkx_restricted_kernelIl19rocblas_complex_numIfELi16ELi32ELi8ELin1ELi0ELb1ELc78ELc76EKPKS1_KPS1_EviT_PT9_S7_lS9_S7_lPT10_S7_li,comdat
.Lfunc_end1716:
	.size	_ZL37rocblas_syrkx_herkx_restricted_kernelIl19rocblas_complex_numIfELi16ELi32ELi8ELin1ELi0ELb1ELc78ELc76EKPKS1_KPS1_EviT_PT9_S7_lS9_S7_lPT10_S7_li, .Lfunc_end1716-_ZL37rocblas_syrkx_herkx_restricted_kernelIl19rocblas_complex_numIfELi16ELi32ELi8ELin1ELi0ELb1ELc78ELc76EKPKS1_KPS1_EviT_PT9_S7_lS9_S7_lPT10_S7_li
                                        ; -- End function
	.set _ZL37rocblas_syrkx_herkx_restricted_kernelIl19rocblas_complex_numIfELi16ELi32ELi8ELin1ELi0ELb1ELc78ELc76EKPKS1_KPS1_EviT_PT9_S7_lS9_S7_lPT10_S7_li.num_vgpr, 43
	.set _ZL37rocblas_syrkx_herkx_restricted_kernelIl19rocblas_complex_numIfELi16ELi32ELi8ELin1ELi0ELb1ELc78ELc76EKPKS1_KPS1_EviT_PT9_S7_lS9_S7_lPT10_S7_li.num_agpr, 0
	.set _ZL37rocblas_syrkx_herkx_restricted_kernelIl19rocblas_complex_numIfELi16ELi32ELi8ELin1ELi0ELb1ELc78ELc76EKPKS1_KPS1_EviT_PT9_S7_lS9_S7_lPT10_S7_li.numbered_sgpr, 22
	.set _ZL37rocblas_syrkx_herkx_restricted_kernelIl19rocblas_complex_numIfELi16ELi32ELi8ELin1ELi0ELb1ELc78ELc76EKPKS1_KPS1_EviT_PT9_S7_lS9_S7_lPT10_S7_li.num_named_barrier, 0
	.set _ZL37rocblas_syrkx_herkx_restricted_kernelIl19rocblas_complex_numIfELi16ELi32ELi8ELin1ELi0ELb1ELc78ELc76EKPKS1_KPS1_EviT_PT9_S7_lS9_S7_lPT10_S7_li.private_seg_size, 0
	.set _ZL37rocblas_syrkx_herkx_restricted_kernelIl19rocblas_complex_numIfELi16ELi32ELi8ELin1ELi0ELb1ELc78ELc76EKPKS1_KPS1_EviT_PT9_S7_lS9_S7_lPT10_S7_li.uses_vcc, 1
	.set _ZL37rocblas_syrkx_herkx_restricted_kernelIl19rocblas_complex_numIfELi16ELi32ELi8ELin1ELi0ELb1ELc78ELc76EKPKS1_KPS1_EviT_PT9_S7_lS9_S7_lPT10_S7_li.uses_flat_scratch, 0
	.set _ZL37rocblas_syrkx_herkx_restricted_kernelIl19rocblas_complex_numIfELi16ELi32ELi8ELin1ELi0ELb1ELc78ELc76EKPKS1_KPS1_EviT_PT9_S7_lS9_S7_lPT10_S7_li.has_dyn_sized_stack, 0
	.set _ZL37rocblas_syrkx_herkx_restricted_kernelIl19rocblas_complex_numIfELi16ELi32ELi8ELin1ELi0ELb1ELc78ELc76EKPKS1_KPS1_EviT_PT9_S7_lS9_S7_lPT10_S7_li.has_recursion, 0
	.set _ZL37rocblas_syrkx_herkx_restricted_kernelIl19rocblas_complex_numIfELi16ELi32ELi8ELin1ELi0ELb1ELc78ELc76EKPKS1_KPS1_EviT_PT9_S7_lS9_S7_lPT10_S7_li.has_indirect_call, 0
	.section	.AMDGPU.csdata,"",@progbits
; Kernel info:
; codeLenInByte = 2096
; TotalNumSgprs: 26
; NumVgprs: 43
; ScratchSize: 0
; MemoryBound: 0
; FloatMode: 240
; IeeeMode: 1
; LDSByteSize: 4096 bytes/workgroup (compile time only)
; SGPRBlocks: 3
; VGPRBlocks: 10
; NumSGPRsForWavesPerEU: 26
; NumVGPRsForWavesPerEU: 43
; Occupancy: 5
; WaveLimiterHint : 1
; COMPUTE_PGM_RSRC2:SCRATCH_EN: 0
; COMPUTE_PGM_RSRC2:USER_SGPR: 6
; COMPUTE_PGM_RSRC2:TRAP_HANDLER: 0
; COMPUTE_PGM_RSRC2:TGID_X_EN: 1
; COMPUTE_PGM_RSRC2:TGID_Y_EN: 1
; COMPUTE_PGM_RSRC2:TGID_Z_EN: 1
; COMPUTE_PGM_RSRC2:TIDIG_COMP_CNT: 1
	.section	.text._ZL37rocblas_syrkx_herkx_restricted_kernelIl19rocblas_complex_numIfELi16ELi32ELi8ELin1ELi0ELb1ELc84ELc85EKPKS1_KPS1_EviT_PT9_S7_lS9_S7_lPT10_S7_li,"axG",@progbits,_ZL37rocblas_syrkx_herkx_restricted_kernelIl19rocblas_complex_numIfELi16ELi32ELi8ELin1ELi0ELb1ELc84ELc85EKPKS1_KPS1_EviT_PT9_S7_lS9_S7_lPT10_S7_li,comdat
	.globl	_ZL37rocblas_syrkx_herkx_restricted_kernelIl19rocblas_complex_numIfELi16ELi32ELi8ELin1ELi0ELb1ELc84ELc85EKPKS1_KPS1_EviT_PT9_S7_lS9_S7_lPT10_S7_li ; -- Begin function _ZL37rocblas_syrkx_herkx_restricted_kernelIl19rocblas_complex_numIfELi16ELi32ELi8ELin1ELi0ELb1ELc84ELc85EKPKS1_KPS1_EviT_PT9_S7_lS9_S7_lPT10_S7_li
	.p2align	8
	.type	_ZL37rocblas_syrkx_herkx_restricted_kernelIl19rocblas_complex_numIfELi16ELi32ELi8ELin1ELi0ELb1ELc84ELc85EKPKS1_KPS1_EviT_PT9_S7_lS9_S7_lPT10_S7_li,@function
_ZL37rocblas_syrkx_herkx_restricted_kernelIl19rocblas_complex_numIfELi16ELi32ELi8ELin1ELi0ELb1ELc84ELc85EKPKS1_KPS1_EviT_PT9_S7_lS9_S7_lPT10_S7_li: ; @_ZL37rocblas_syrkx_herkx_restricted_kernelIl19rocblas_complex_numIfELi16ELi32ELi8ELin1ELi0ELb1ELc84ELc85EKPKS1_KPS1_EviT_PT9_S7_lS9_S7_lPT10_S7_li
; %bb.0:
	s_load_dwordx4 s[0:3], s[4:5], 0x40
	s_load_dwordx4 s[12:15], s[4:5], 0x8
	s_mov_b32 s9, 0
	s_lshl_b64 s[10:11], s[8:9], 3
	s_waitcnt lgkmcnt(0)
	s_add_u32 s0, s0, s10
	s_addc_u32 s1, s1, s11
	s_load_dwordx2 s[8:9], s[0:1], 0x0
	v_cmp_lt_i64_e64 s[0:1], s[12:13], 1
	s_lshl_b32 s6, s6, 5
	s_lshl_b32 s7, s7, 5
	s_and_b64 vcc, exec, s[0:1]
	s_cbranch_vccnz .LBB1717_3
; %bb.1:
	s_load_dwordx2 s[0:1], s[4:5], 0x18
	s_load_dwordx4 s[16:19], s[4:5], 0x28
	v_lshl_add_u32 v4, v1, 4, v0
	v_lshrrev_b32_e32 v6, 3, v4
	v_add_u32_e32 v2, s7, v6
	v_ashrrev_i32_e32 v3, 31, v2
	v_and_b32_e32 v9, 7, v0
	v_mov_b32_e32 v10, 0
	s_waitcnt lgkmcnt(0)
	v_mul_lo_u32 v5, s18, v3
	v_mul_lo_u32 v7, s19, v2
	v_mad_u64_u32 v[2:3], s[18:19], s18, v2, v[9:10]
	s_add_u32 s14, s14, s10
	s_addc_u32 s15, s15, s11
	v_add3_u32 v3, v7, v3, v5
	v_and_b32_e32 v7, 31, v4
	v_lshrrev_b32_e32 v4, 5, v4
	v_lshlrev_b32_e32 v8, 3, v7
	v_lshl_or_b32 v11, v4, 8, v8
	v_lshlrev_b32_e32 v8, 3, v9
	v_lshl_or_b32 v6, v6, 6, v8
	v_add_u32_e32 v12, 0x800, v6
	v_add_u32_e32 v6, s6, v7
	s_add_u32 s10, s16, s10
	v_mov_b32_e32 v5, v10
	v_ashrrev_i32_e32 v7, 31, v6
	s_addc_u32 s11, s17, s11
	v_mul_lo_u32 v7, s0, v7
	v_mad_u64_u32 v[4:5], s[16:17], s0, v6, v[4:5]
	v_mul_lo_u32 v6, s1, v6
	s_load_dwordx2 s[14:15], s[14:15], 0x0
	v_lshlrev_b64 v[2:3], 3, v[2:3]
	s_load_dwordx2 s[10:11], s[10:11], 0x0
	v_add3_u32 v5, v6, v5, v7
	v_lshlrev_b64 v[4:5], 3, v[4:5]
	s_waitcnt lgkmcnt(0)
	v_mov_b32_e32 v7, s15
	v_add_co_u32_e32 v6, vcc, s14, v4
	v_mov_b32_e32 v8, 0x800
	v_addc_co_u32_e32 v7, vcc, v7, v5, vcc
	v_lshl_add_u32 v14, v1, 6, v8
	v_mov_b32_e32 v4, s11
	v_add_co_u32_e32 v8, vcc, s10, v2
	v_lshlrev_b32_e32 v13, 3, v0
	v_addc_co_u32_e32 v9, vcc, v4, v3, vcc
	s_mov_b64 s[0:1], 0
	v_mov_b32_e32 v15, v10
	v_mov_b32_e32 v16, v10
	;; [unrolled: 1-line block ×7, first 2 shown]
.LBB1717_2:                             ; =>This Inner Loop Header: Depth=1
	flat_load_dwordx2 v[2:3], v[6:7]
	s_add_u32 s0, s0, 8
	v_add_co_u32_e32 v6, vcc, 64, v6
	s_addc_u32 s1, s1, 0
	v_addc_co_u32_e32 v7, vcc, 0, v7, vcc
	s_waitcnt vmcnt(0) lgkmcnt(0)
	ds_write_b64 v11, v[2:3]
	flat_load_dwordx2 v[2:3], v[8:9]
	v_add_co_u32_e32 v8, vcc, 64, v8
	v_addc_co_u32_e32 v9, vcc, 0, v9, vcc
	s_waitcnt vmcnt(0) lgkmcnt(0)
	ds_write_b64 v12, v[2:3]
	s_waitcnt lgkmcnt(0)
	s_barrier
	ds_read_b128 v[22:25], v14
	ds_read_b128 v[26:29], v14 offset:16
	ds_read_b128 v[30:33], v14 offset:32
	;; [unrolled: 1-line block ×3, first 2 shown]
	ds_read2_b64 v[34:37], v13 offset1:16
	s_waitcnt lgkmcnt(0)
	v_mul_f32_e32 v38, v23, v35
	v_mul_f32_e32 v39, v22, v35
	v_fma_f32 v38, v22, v34, -v38
	v_fmac_f32_e32 v39, v23, v34
	v_add_f32_e32 v38, v20, v38
	v_add_f32_e32 v39, v21, v39
	v_mul_f32_e32 v20, v23, v37
	v_mul_f32_e32 v21, v22, v37
	v_fma_f32 v20, v22, v36, -v20
	v_fmac_f32_e32 v21, v23, v36
	v_add_f32_e32 v22, v19, v20
	v_add_f32_e32 v23, v18, v21
	ds_read_b128 v[18:21], v14 offset:1024
	s_waitcnt lgkmcnt(0)
	v_mul_f32_e32 v40, v19, v35
	v_mul_f32_e32 v35, v18, v35
	v_fma_f32 v40, v18, v34, -v40
	v_fmac_f32_e32 v35, v19, v34
	v_add_f32_e32 v34, v17, v40
	v_add_f32_e32 v35, v16, v35
	v_mul_f32_e32 v16, v19, v37
	v_mul_f32_e32 v17, v18, v37
	v_fma_f32 v16, v18, v36, -v16
	v_fmac_f32_e32 v17, v19, v36
	v_add_f32_e32 v19, v15, v16
	v_add_f32_e32 v10, v10, v17
	ds_read2_b64 v[15:18], v13 offset0:32 offset1:48
	s_waitcnt lgkmcnt(0)
	v_mul_f32_e32 v36, v25, v16
	v_fma_f32 v36, v24, v15, -v36
	v_add_f32_e32 v36, v38, v36
	v_mul_f32_e32 v38, v25, v18
	v_mul_f32_e32 v37, v24, v16
	v_fma_f32 v38, v24, v17, -v38
	v_mul_f32_e32 v24, v24, v18
	v_fmac_f32_e32 v24, v25, v17
	v_add_f32_e32 v23, v23, v24
	v_mul_f32_e32 v24, v21, v16
	v_mul_f32_e32 v16, v20, v16
	v_fmac_f32_e32 v16, v21, v15
	v_fmac_f32_e32 v37, v25, v15
	v_fma_f32 v24, v20, v15, -v24
	v_add_f32_e32 v25, v35, v16
	v_mul_f32_e32 v15, v21, v18
	v_mul_f32_e32 v16, v20, v18
	v_fma_f32 v15, v20, v17, -v15
	v_fmac_f32_e32 v16, v21, v17
	v_add_f32_e32 v24, v34, v24
	v_add_f32_e32 v34, v19, v15
	;; [unrolled: 1-line block ×3, first 2 shown]
	ds_read2_b64 v[15:18], v13 offset0:64 offset1:80
	v_add_f32_e32 v37, v39, v37
	v_add_f32_e32 v22, v22, v38
	s_waitcnt lgkmcnt(0)
	v_mul_f32_e32 v19, v27, v16
	v_mul_f32_e32 v20, v26, v16
	v_fma_f32 v19, v26, v15, -v19
	v_fmac_f32_e32 v20, v27, v15
	v_add_f32_e32 v35, v36, v19
	v_add_f32_e32 v36, v37, v20
	v_mul_f32_e32 v19, v27, v18
	v_mul_f32_e32 v20, v26, v18
	v_fma_f32 v19, v26, v17, -v19
	v_fmac_f32_e32 v20, v27, v17
	v_add_f32_e32 v26, v22, v19
	v_add_f32_e32 v23, v23, v20
	ds_read_b128 v[19:22], v14 offset:1040
	s_waitcnt lgkmcnt(0)
	v_mul_f32_e32 v27, v20, v16
	v_mul_f32_e32 v16, v19, v16
	v_fmac_f32_e32 v16, v20, v15
	v_fma_f32 v27, v19, v15, -v27
	v_add_f32_e32 v25, v25, v16
	v_mul_f32_e32 v15, v20, v18
	v_mul_f32_e32 v16, v19, v18
	v_fma_f32 v15, v19, v17, -v15
	v_fmac_f32_e32 v16, v20, v17
	v_add_f32_e32 v19, v34, v15
	v_add_f32_e32 v10, v10, v16
	ds_read2_b64 v[15:18], v13 offset0:96 offset1:112
	v_add_f32_e32 v24, v24, v27
	s_waitcnt lgkmcnt(0)
	v_mul_f32_e32 v20, v29, v16
	v_mul_f32_e32 v34, v29, v18
	v_fma_f32 v20, v28, v15, -v20
	v_mul_f32_e32 v27, v28, v16
	v_fma_f32 v34, v28, v17, -v34
	v_mul_f32_e32 v28, v28, v18
	v_fmac_f32_e32 v28, v29, v17
	v_add_f32_e32 v23, v23, v28
	v_mul_f32_e32 v28, v22, v16
	v_mul_f32_e32 v16, v21, v16
	v_fmac_f32_e32 v16, v22, v15
	v_fmac_f32_e32 v27, v29, v15
	v_fma_f32 v28, v21, v15, -v28
	v_add_f32_e32 v25, v25, v16
	v_mul_f32_e32 v15, v22, v18
	v_mul_f32_e32 v16, v21, v18
	v_fma_f32 v15, v21, v17, -v15
	v_fmac_f32_e32 v16, v22, v17
	v_add_f32_e32 v24, v24, v28
	v_add_f32_e32 v28, v19, v15
	;; [unrolled: 1-line block ×3, first 2 shown]
	ds_read2_b64 v[15:18], v13 offset0:128 offset1:144
	v_add_f32_e32 v20, v35, v20
	v_add_f32_e32 v27, v36, v27
	;; [unrolled: 1-line block ×3, first 2 shown]
	s_waitcnt lgkmcnt(0)
	v_mul_f32_e32 v19, v31, v16
	v_fma_f32 v19, v30, v15, -v19
	v_mul_f32_e32 v21, v30, v16
	v_add_f32_e32 v29, v20, v19
	v_mul_f32_e32 v19, v31, v18
	v_mul_f32_e32 v20, v30, v18
	v_fmac_f32_e32 v21, v31, v15
	v_fma_f32 v19, v30, v17, -v19
	v_fmac_f32_e32 v20, v31, v17
	v_add_f32_e32 v27, v27, v21
	v_add_f32_e32 v26, v26, v19
	;; [unrolled: 1-line block ×3, first 2 shown]
	ds_read_b128 v[19:22], v14 offset:1056
	s_waitcnt lgkmcnt(0)
	v_mul_f32_e32 v30, v20, v16
	v_mul_f32_e32 v16, v19, v16
	v_fmac_f32_e32 v16, v20, v15
	v_fma_f32 v30, v19, v15, -v30
	v_add_f32_e32 v25, v25, v16
	v_mul_f32_e32 v15, v20, v18
	v_mul_f32_e32 v16, v19, v18
	v_fma_f32 v15, v19, v17, -v15
	v_fmac_f32_e32 v16, v20, v17
	v_add_f32_e32 v19, v28, v15
	v_add_f32_e32 v10, v10, v16
	ds_read2_b64 v[15:18], v13 offset0:160 offset1:176
	v_add_f32_e32 v24, v24, v30
	s_waitcnt lgkmcnt(0)
	v_mul_f32_e32 v28, v32, v16
	v_fmac_f32_e32 v28, v33, v15
	v_add_f32_e32 v27, v27, v28
	v_mul_f32_e32 v28, v33, v18
	v_fma_f32 v28, v32, v17, -v28
	v_mul_f32_e32 v20, v33, v16
	v_add_f32_e32 v26, v26, v28
	v_mul_f32_e32 v28, v22, v16
	v_mul_f32_e32 v16, v21, v16
	v_fmac_f32_e32 v16, v22, v15
	v_fma_f32 v20, v32, v15, -v20
	v_fma_f32 v28, v21, v15, -v28
	v_add_f32_e32 v25, v25, v16
	v_mul_f32_e32 v15, v22, v18
	v_mul_f32_e32 v16, v21, v18
	v_add_f32_e32 v20, v29, v20
	v_mul_f32_e32 v29, v32, v18
	v_fma_f32 v15, v21, v17, -v15
	v_fmac_f32_e32 v16, v22, v17
	v_fmac_f32_e32 v29, v33, v17
	v_add_f32_e32 v19, v19, v15
	v_add_f32_e32 v10, v10, v16
	ds_read2_b64 v[15:18], v13 offset0:192 offset1:208
	v_add_f32_e32 v24, v24, v28
	v_add_f32_e32 v23, v23, v29
	s_waitcnt lgkmcnt(0)
	v_mul_f32_e32 v21, v3, v16
	v_fma_f32 v21, v2, v15, -v21
	v_add_f32_e32 v28, v20, v21
	v_mul_f32_e32 v20, v3, v18
	v_mul_f32_e32 v22, v2, v16
	v_fma_f32 v20, v2, v17, -v20
	v_mul_f32_e32 v2, v2, v18
	v_fmac_f32_e32 v22, v3, v15
	v_fmac_f32_e32 v2, v3, v17
	v_add_f32_e32 v29, v27, v22
	v_add_f32_e32 v3, v26, v20
	;; [unrolled: 1-line block ×3, first 2 shown]
	ds_read_b128 v[20:23], v14 offset:1072
	s_waitcnt lgkmcnt(0)
	v_mul_f32_e32 v26, v21, v16
	v_fma_f32 v26, v20, v15, -v26
	v_mul_f32_e32 v16, v20, v16
	v_fmac_f32_e32 v16, v21, v15
	v_add_f32_e32 v15, v24, v26
	v_mul_f32_e32 v24, v21, v18
	v_fma_f32 v24, v20, v17, -v24
	v_add_f32_e32 v16, v25, v16
	v_add_f32_e32 v30, v19, v24
	ds_read2_b64 v[24:27], v13 offset0:224 offset1:240
	v_mul_f32_e32 v18, v20, v18
	v_fmac_f32_e32 v18, v21, v17
	v_add_f32_e32 v10, v10, v18
	s_waitcnt lgkmcnt(0)
	v_mul_f32_e32 v17, v5, v25
	v_fma_f32 v17, v4, v24, -v17
	v_add_f32_e32 v20, v28, v17
	v_mul_f32_e32 v17, v5, v27
	v_mul_f32_e32 v18, v4, v25
	v_fma_f32 v17, v4, v26, -v17
	v_mul_f32_e32 v4, v4, v27
	v_fmac_f32_e32 v18, v5, v24
	v_fmac_f32_e32 v4, v5, v26
	v_add_f32_e32 v21, v29, v18
	v_add_f32_e32 v19, v3, v17
	v_add_f32_e32 v18, v2, v4
	v_mul_f32_e32 v2, v23, v25
	v_mul_f32_e32 v3, v22, v25
	v_fma_f32 v2, v22, v24, -v2
	v_fmac_f32_e32 v3, v23, v24
	v_add_f32_e32 v17, v15, v2
	v_add_f32_e32 v16, v16, v3
	v_mul_f32_e32 v2, v23, v27
	v_mul_f32_e32 v3, v22, v27
	v_fma_f32 v2, v22, v26, -v2
	v_fmac_f32_e32 v3, v23, v26
	v_add_f32_e32 v15, v30, v2
	v_add_f32_e32 v10, v10, v3
	v_mov_b32_e32 v3, s1
	v_mov_b32_e32 v2, s0
	v_cmp_le_u64_e32 vcc, s[12:13], v[2:3]
	s_barrier
	s_cbranch_vccz .LBB1717_2
	s_branch .LBB1717_4
.LBB1717_3:
	v_mov_b32_e32 v20, 0
	v_mov_b32_e32 v21, 0
	;; [unrolled: 1-line block ×8, first 2 shown]
.LBB1717_4:
	v_add_u32_e32 v5, s7, v1
	v_ashrrev_i32_e32 v1, 31, v5
	v_mul_lo_u32 v3, s2, v1
	v_mul_lo_u32 v4, s3, v5
	v_mad_u64_u32 v[1:2], s[0:1], s2, v5, 0
	s_load_dword s10, s[4:5], 0x0
	v_add_u32_e32 v0, s6, v0
	v_add3_u32 v2, v2, v3, v4
	v_lshlrev_b64 v[1:2], 3, v[1:2]
	s_waitcnt lgkmcnt(0)
	v_mov_b32_e32 v3, s9
	v_add_co_u32_e64 v4, s[0:1], s8, v1
	v_addc_co_u32_e64 v6, s[0:1], v3, v2, s[0:1]
	v_cmp_gt_i32_e32 vcc, s10, v5
	v_cmp_le_i32_e64 s[0:1], v0, v5
	s_and_b64 s[0:1], vcc, s[0:1]
	s_and_saveexec_b64 s[4:5], s[0:1]
	s_cbranch_execz .LBB1717_7
; %bb.5:
	v_ashrrev_i32_e32 v1, 31, v0
	v_lshlrev_b64 v[1:2], 3, v[0:1]
	v_xor_b32_e32 v7, 0x80000000, v20
	v_add_co_u32_e64 v1, s[0:1], v4, v1
	v_addc_co_u32_e64 v2, s[0:1], v6, v2, s[0:1]
	v_xor_b32_e32 v8, 0x80000000, v21
	v_cmp_eq_u32_e64 s[0:1], v5, v0
	flat_store_dwordx2 v[1:2], v[7:8]
	s_and_b64 exec, exec, s[0:1]
	s_cbranch_execz .LBB1717_7
; %bb.6:
	v_mov_b32_e32 v3, 0
	flat_store_dword v[1:2], v3 offset:4
.LBB1717_7:
	s_or_b64 exec, exec, s[4:5]
	v_add_u32_e32 v2, 16, v0
	v_cmp_le_i32_e64 s[0:1], v2, v5
	s_and_b64 s[4:5], vcc, s[0:1]
	s_and_saveexec_b64 s[0:1], s[4:5]
	s_cbranch_execz .LBB1717_10
; %bb.8:
	v_ashrrev_i32_e32 v3, 31, v2
	v_lshlrev_b64 v[11:12], 3, v[2:3]
	v_xor_b32_e32 v7, 0x80000000, v19
	v_add_co_u32_e32 v3, vcc, v4, v11
	v_addc_co_u32_e32 v4, vcc, v6, v12, vcc
	v_xor_b32_e32 v8, 0x80000000, v18
	v_cmp_eq_u32_e32 vcc, v5, v2
	flat_store_dwordx2 v[3:4], v[7:8]
	s_and_b64 exec, exec, vcc
	s_cbranch_execz .LBB1717_10
; %bb.9:
	v_mov_b32_e32 v1, 0
	flat_store_dword v[3:4], v1 offset:4
.LBB1717_10:
	s_or_b64 exec, exec, s[0:1]
	v_add_u32_e32 v8, 16, v5
	v_ashrrev_i32_e32 v1, 31, v8
	v_mul_lo_u32 v1, s2, v1
	v_mul_lo_u32 v6, s3, v8
	v_mad_u64_u32 v[3:4], s[0:1], s2, v8, 0
	v_cmp_gt_i32_e32 vcc, s10, v8
	v_add3_u32 v4, v4, v1, v6
	v_lshlrev_b64 v[3:4], 3, v[3:4]
	v_mov_b32_e32 v1, s9
	v_add_co_u32_e64 v6, s[0:1], s8, v3
	v_addc_co_u32_e64 v7, s[0:1], v1, v4, s[0:1]
	v_cmp_le_i32_e64 s[0:1], v0, v8
	s_and_b64 s[0:1], vcc, s[0:1]
	s_and_saveexec_b64 s[2:3], s[0:1]
	s_cbranch_execz .LBB1717_13
; %bb.11:
	v_ashrrev_i32_e32 v1, 31, v0
	v_lshlrev_b64 v[3:4], 3, v[0:1]
	v_xor_b32_e32 v11, 0x80000000, v17
	v_add_co_u32_e64 v3, s[0:1], v6, v3
	v_addc_co_u32_e64 v4, s[0:1], v7, v4, s[0:1]
	v_xor_b32_e32 v12, 0x80000000, v16
	v_cmp_eq_u32_e64 s[0:1], v8, v0
	flat_store_dwordx2 v[3:4], v[11:12]
	s_and_b64 exec, exec, s[0:1]
	s_cbranch_execz .LBB1717_13
; %bb.12:
	v_mov_b32_e32 v1, 0
	flat_store_dword v[3:4], v1 offset:4
.LBB1717_13:
	s_or_b64 exec, exec, s[2:3]
	v_cmp_le_i32_e64 s[0:1], v2, v8
	s_and_b64 s[0:1], vcc, s[0:1]
	s_and_saveexec_b64 s[2:3], s[0:1]
	s_cbranch_execz .LBB1717_16
; %bb.14:
	v_ashrrev_i32_e32 v3, 31, v2
	v_lshlrev_b64 v[1:2], 3, v[2:3]
	v_xor_b32_e32 v8, 0x80000000, v15
	v_add_co_u32_e32 v1, vcc, v6, v1
	v_addc_co_u32_e32 v2, vcc, v7, v2, vcc
	v_xor_b32_e32 v9, 0x80000000, v10
	v_cmp_eq_u32_e32 vcc, v5, v0
	flat_store_dwordx2 v[1:2], v[8:9]
	s_and_b64 exec, exec, vcc
	s_cbranch_execz .LBB1717_16
; %bb.15:
	v_mov_b32_e32 v0, 0
	flat_store_dword v[1:2], v0 offset:4
.LBB1717_16:
	s_endpgm
	.section	.rodata,"a",@progbits
	.p2align	6, 0x0
	.amdhsa_kernel _ZL37rocblas_syrkx_herkx_restricted_kernelIl19rocblas_complex_numIfELi16ELi32ELi8ELin1ELi0ELb1ELc84ELc85EKPKS1_KPS1_EviT_PT9_S7_lS9_S7_lPT10_S7_li
		.amdhsa_group_segment_fixed_size 4096
		.amdhsa_private_segment_fixed_size 0
		.amdhsa_kernarg_size 92
		.amdhsa_user_sgpr_count 6
		.amdhsa_user_sgpr_private_segment_buffer 1
		.amdhsa_user_sgpr_dispatch_ptr 0
		.amdhsa_user_sgpr_queue_ptr 0
		.amdhsa_user_sgpr_kernarg_segment_ptr 1
		.amdhsa_user_sgpr_dispatch_id 0
		.amdhsa_user_sgpr_flat_scratch_init 0
		.amdhsa_user_sgpr_private_segment_size 0
		.amdhsa_uses_dynamic_stack 0
		.amdhsa_system_sgpr_private_segment_wavefront_offset 0
		.amdhsa_system_sgpr_workgroup_id_x 1
		.amdhsa_system_sgpr_workgroup_id_y 1
		.amdhsa_system_sgpr_workgroup_id_z 1
		.amdhsa_system_sgpr_workgroup_info 0
		.amdhsa_system_vgpr_workitem_id 1
		.amdhsa_next_free_vgpr 41
		.amdhsa_next_free_sgpr 20
		.amdhsa_reserve_vcc 1
		.amdhsa_reserve_flat_scratch 0
		.amdhsa_float_round_mode_32 0
		.amdhsa_float_round_mode_16_64 0
		.amdhsa_float_denorm_mode_32 3
		.amdhsa_float_denorm_mode_16_64 3
		.amdhsa_dx10_clamp 1
		.amdhsa_ieee_mode 1
		.amdhsa_fp16_overflow 0
		.amdhsa_exception_fp_ieee_invalid_op 0
		.amdhsa_exception_fp_denorm_src 0
		.amdhsa_exception_fp_ieee_div_zero 0
		.amdhsa_exception_fp_ieee_overflow 0
		.amdhsa_exception_fp_ieee_underflow 0
		.amdhsa_exception_fp_ieee_inexact 0
		.amdhsa_exception_int_div_zero 0
	.end_amdhsa_kernel
	.section	.text._ZL37rocblas_syrkx_herkx_restricted_kernelIl19rocblas_complex_numIfELi16ELi32ELi8ELin1ELi0ELb1ELc84ELc85EKPKS1_KPS1_EviT_PT9_S7_lS9_S7_lPT10_S7_li,"axG",@progbits,_ZL37rocblas_syrkx_herkx_restricted_kernelIl19rocblas_complex_numIfELi16ELi32ELi8ELin1ELi0ELb1ELc84ELc85EKPKS1_KPS1_EviT_PT9_S7_lS9_S7_lPT10_S7_li,comdat
.Lfunc_end1717:
	.size	_ZL37rocblas_syrkx_herkx_restricted_kernelIl19rocblas_complex_numIfELi16ELi32ELi8ELin1ELi0ELb1ELc84ELc85EKPKS1_KPS1_EviT_PT9_S7_lS9_S7_lPT10_S7_li, .Lfunc_end1717-_ZL37rocblas_syrkx_herkx_restricted_kernelIl19rocblas_complex_numIfELi16ELi32ELi8ELin1ELi0ELb1ELc84ELc85EKPKS1_KPS1_EviT_PT9_S7_lS9_S7_lPT10_S7_li
                                        ; -- End function
	.set _ZL37rocblas_syrkx_herkx_restricted_kernelIl19rocblas_complex_numIfELi16ELi32ELi8ELin1ELi0ELb1ELc84ELc85EKPKS1_KPS1_EviT_PT9_S7_lS9_S7_lPT10_S7_li.num_vgpr, 41
	.set _ZL37rocblas_syrkx_herkx_restricted_kernelIl19rocblas_complex_numIfELi16ELi32ELi8ELin1ELi0ELb1ELc84ELc85EKPKS1_KPS1_EviT_PT9_S7_lS9_S7_lPT10_S7_li.num_agpr, 0
	.set _ZL37rocblas_syrkx_herkx_restricted_kernelIl19rocblas_complex_numIfELi16ELi32ELi8ELin1ELi0ELb1ELc84ELc85EKPKS1_KPS1_EviT_PT9_S7_lS9_S7_lPT10_S7_li.numbered_sgpr, 20
	.set _ZL37rocblas_syrkx_herkx_restricted_kernelIl19rocblas_complex_numIfELi16ELi32ELi8ELin1ELi0ELb1ELc84ELc85EKPKS1_KPS1_EviT_PT9_S7_lS9_S7_lPT10_S7_li.num_named_barrier, 0
	.set _ZL37rocblas_syrkx_herkx_restricted_kernelIl19rocblas_complex_numIfELi16ELi32ELi8ELin1ELi0ELb1ELc84ELc85EKPKS1_KPS1_EviT_PT9_S7_lS9_S7_lPT10_S7_li.private_seg_size, 0
	.set _ZL37rocblas_syrkx_herkx_restricted_kernelIl19rocblas_complex_numIfELi16ELi32ELi8ELin1ELi0ELb1ELc84ELc85EKPKS1_KPS1_EviT_PT9_S7_lS9_S7_lPT10_S7_li.uses_vcc, 1
	.set _ZL37rocblas_syrkx_herkx_restricted_kernelIl19rocblas_complex_numIfELi16ELi32ELi8ELin1ELi0ELb1ELc84ELc85EKPKS1_KPS1_EviT_PT9_S7_lS9_S7_lPT10_S7_li.uses_flat_scratch, 0
	.set _ZL37rocblas_syrkx_herkx_restricted_kernelIl19rocblas_complex_numIfELi16ELi32ELi8ELin1ELi0ELb1ELc84ELc85EKPKS1_KPS1_EviT_PT9_S7_lS9_S7_lPT10_S7_li.has_dyn_sized_stack, 0
	.set _ZL37rocblas_syrkx_herkx_restricted_kernelIl19rocblas_complex_numIfELi16ELi32ELi8ELin1ELi0ELb1ELc84ELc85EKPKS1_KPS1_EviT_PT9_S7_lS9_S7_lPT10_S7_li.has_recursion, 0
	.set _ZL37rocblas_syrkx_herkx_restricted_kernelIl19rocblas_complex_numIfELi16ELi32ELi8ELin1ELi0ELb1ELc84ELc85EKPKS1_KPS1_EviT_PT9_S7_lS9_S7_lPT10_S7_li.has_indirect_call, 0
	.section	.AMDGPU.csdata,"",@progbits
; Kernel info:
; codeLenInByte = 2116
; TotalNumSgprs: 24
; NumVgprs: 41
; ScratchSize: 0
; MemoryBound: 0
; FloatMode: 240
; IeeeMode: 1
; LDSByteSize: 4096 bytes/workgroup (compile time only)
; SGPRBlocks: 2
; VGPRBlocks: 10
; NumSGPRsForWavesPerEU: 24
; NumVGPRsForWavesPerEU: 41
; Occupancy: 5
; WaveLimiterHint : 1
; COMPUTE_PGM_RSRC2:SCRATCH_EN: 0
; COMPUTE_PGM_RSRC2:USER_SGPR: 6
; COMPUTE_PGM_RSRC2:TRAP_HANDLER: 0
; COMPUTE_PGM_RSRC2:TGID_X_EN: 1
; COMPUTE_PGM_RSRC2:TGID_Y_EN: 1
; COMPUTE_PGM_RSRC2:TGID_Z_EN: 1
; COMPUTE_PGM_RSRC2:TIDIG_COMP_CNT: 1
	.section	.text._ZL37rocblas_syrkx_herkx_restricted_kernelIl19rocblas_complex_numIfELi16ELi32ELi8ELin1ELi0ELb1ELc67ELc85EKPKS1_KPS1_EviT_PT9_S7_lS9_S7_lPT10_S7_li,"axG",@progbits,_ZL37rocblas_syrkx_herkx_restricted_kernelIl19rocblas_complex_numIfELi16ELi32ELi8ELin1ELi0ELb1ELc67ELc85EKPKS1_KPS1_EviT_PT9_S7_lS9_S7_lPT10_S7_li,comdat
	.globl	_ZL37rocblas_syrkx_herkx_restricted_kernelIl19rocblas_complex_numIfELi16ELi32ELi8ELin1ELi0ELb1ELc67ELc85EKPKS1_KPS1_EviT_PT9_S7_lS9_S7_lPT10_S7_li ; -- Begin function _ZL37rocblas_syrkx_herkx_restricted_kernelIl19rocblas_complex_numIfELi16ELi32ELi8ELin1ELi0ELb1ELc67ELc85EKPKS1_KPS1_EviT_PT9_S7_lS9_S7_lPT10_S7_li
	.p2align	8
	.type	_ZL37rocblas_syrkx_herkx_restricted_kernelIl19rocblas_complex_numIfELi16ELi32ELi8ELin1ELi0ELb1ELc67ELc85EKPKS1_KPS1_EviT_PT9_S7_lS9_S7_lPT10_S7_li,@function
_ZL37rocblas_syrkx_herkx_restricted_kernelIl19rocblas_complex_numIfELi16ELi32ELi8ELin1ELi0ELb1ELc67ELc85EKPKS1_KPS1_EviT_PT9_S7_lS9_S7_lPT10_S7_li: ; @_ZL37rocblas_syrkx_herkx_restricted_kernelIl19rocblas_complex_numIfELi16ELi32ELi8ELin1ELi0ELb1ELc67ELc85EKPKS1_KPS1_EviT_PT9_S7_lS9_S7_lPT10_S7_li
; %bb.0:
	s_load_dwordx4 s[0:3], s[4:5], 0x40
	s_load_dwordx4 s[12:15], s[4:5], 0x8
	s_mov_b32 s9, 0
	s_lshl_b64 s[10:11], s[8:9], 3
	s_waitcnt lgkmcnt(0)
	s_add_u32 s0, s0, s10
	s_addc_u32 s1, s1, s11
	s_load_dwordx2 s[8:9], s[0:1], 0x0
	v_cmp_lt_i64_e64 s[0:1], s[12:13], 1
	s_lshl_b32 s6, s6, 5
	s_lshl_b32 s7, s7, 5
	s_and_b64 vcc, exec, s[0:1]
	s_cbranch_vccnz .LBB1718_3
; %bb.1:
	s_load_dwordx2 s[0:1], s[4:5], 0x18
	s_load_dwordx4 s[16:19], s[4:5], 0x28
	v_lshl_add_u32 v4, v1, 4, v0
	v_lshrrev_b32_e32 v6, 3, v4
	v_add_u32_e32 v2, s7, v6
	v_ashrrev_i32_e32 v3, 31, v2
	v_and_b32_e32 v9, 7, v0
	v_mov_b32_e32 v10, 0
	s_waitcnt lgkmcnt(0)
	v_mul_lo_u32 v5, s18, v3
	v_mul_lo_u32 v7, s19, v2
	v_mad_u64_u32 v[2:3], s[18:19], s18, v2, v[9:10]
	s_add_u32 s14, s14, s10
	s_addc_u32 s15, s15, s11
	v_add3_u32 v3, v7, v3, v5
	v_and_b32_e32 v7, 31, v4
	v_lshrrev_b32_e32 v4, 5, v4
	v_lshlrev_b32_e32 v8, 3, v7
	v_lshl_or_b32 v11, v4, 8, v8
	v_lshlrev_b32_e32 v8, 3, v9
	v_lshl_or_b32 v6, v6, 6, v8
	v_add_u32_e32 v12, 0x800, v6
	v_add_u32_e32 v6, s6, v7
	s_add_u32 s10, s16, s10
	v_mov_b32_e32 v5, v10
	v_ashrrev_i32_e32 v7, 31, v6
	s_addc_u32 s11, s17, s11
	v_mul_lo_u32 v7, s0, v7
	v_mad_u64_u32 v[4:5], s[16:17], s0, v6, v[4:5]
	v_mul_lo_u32 v6, s1, v6
	s_load_dwordx2 s[14:15], s[14:15], 0x0
	v_lshlrev_b64 v[2:3], 3, v[2:3]
	s_load_dwordx2 s[10:11], s[10:11], 0x0
	v_add3_u32 v5, v6, v5, v7
	v_lshlrev_b64 v[4:5], 3, v[4:5]
	s_waitcnt lgkmcnt(0)
	v_mov_b32_e32 v7, s15
	v_add_co_u32_e32 v6, vcc, s14, v4
	v_mov_b32_e32 v8, 0x800
	v_addc_co_u32_e32 v7, vcc, v7, v5, vcc
	v_lshl_add_u32 v14, v1, 6, v8
	v_mov_b32_e32 v4, s11
	v_add_co_u32_e32 v8, vcc, s10, v2
	v_lshlrev_b32_e32 v13, 3, v0
	v_addc_co_u32_e32 v9, vcc, v4, v3, vcc
	s_mov_b64 s[0:1], 0
	v_mov_b32_e32 v15, v10
	v_mov_b32_e32 v16, v10
	;; [unrolled: 1-line block ×7, first 2 shown]
.LBB1718_2:                             ; =>This Inner Loop Header: Depth=1
	flat_load_dwordx2 v[2:3], v[6:7]
	v_add_co_u32_e32 v6, vcc, 64, v6
	s_add_u32 s0, s0, 8
	v_addc_co_u32_e32 v7, vcc, 0, v7, vcc
	s_addc_u32 s1, s1, 0
	s_waitcnt vmcnt(0) lgkmcnt(0)
	v_xor_b32_e32 v3, 0x80000000, v3
	ds_write_b64 v11, v[2:3]
	flat_load_dwordx2 v[2:3], v[8:9]
	v_add_co_u32_e32 v8, vcc, 64, v8
	v_addc_co_u32_e32 v9, vcc, 0, v9, vcc
	s_waitcnt vmcnt(0) lgkmcnt(0)
	ds_write_b64 v12, v[2:3]
	s_waitcnt lgkmcnt(0)
	s_barrier
	ds_read_b128 v[22:25], v14
	ds_read_b128 v[26:29], v14 offset:16
	ds_read_b128 v[30:33], v14 offset:32
	;; [unrolled: 1-line block ×3, first 2 shown]
	ds_read2_b64 v[34:37], v13 offset1:16
	s_waitcnt lgkmcnt(0)
	v_mul_f32_e32 v38, v23, v35
	v_mul_f32_e32 v39, v22, v35
	v_fma_f32 v38, v22, v34, -v38
	v_fmac_f32_e32 v39, v23, v34
	v_add_f32_e32 v38, v20, v38
	v_add_f32_e32 v39, v21, v39
	v_mul_f32_e32 v20, v23, v37
	v_mul_f32_e32 v21, v22, v37
	v_fma_f32 v20, v22, v36, -v20
	v_fmac_f32_e32 v21, v23, v36
	v_add_f32_e32 v22, v19, v20
	v_add_f32_e32 v23, v18, v21
	ds_read_b128 v[18:21], v14 offset:1024
	s_waitcnt lgkmcnt(0)
	v_mul_f32_e32 v40, v19, v35
	v_mul_f32_e32 v35, v18, v35
	v_fma_f32 v40, v18, v34, -v40
	v_fmac_f32_e32 v35, v19, v34
	v_add_f32_e32 v34, v17, v40
	v_add_f32_e32 v35, v16, v35
	v_mul_f32_e32 v16, v19, v37
	v_mul_f32_e32 v17, v18, v37
	v_fma_f32 v16, v18, v36, -v16
	v_fmac_f32_e32 v17, v19, v36
	v_add_f32_e32 v19, v15, v16
	v_add_f32_e32 v10, v10, v17
	ds_read2_b64 v[15:18], v13 offset0:32 offset1:48
	s_waitcnt lgkmcnt(0)
	v_mul_f32_e32 v36, v25, v16
	v_fma_f32 v36, v24, v15, -v36
	v_add_f32_e32 v36, v38, v36
	v_mul_f32_e32 v38, v25, v18
	v_mul_f32_e32 v37, v24, v16
	v_fma_f32 v38, v24, v17, -v38
	v_mul_f32_e32 v24, v24, v18
	v_fmac_f32_e32 v24, v25, v17
	v_add_f32_e32 v23, v23, v24
	v_mul_f32_e32 v24, v21, v16
	v_mul_f32_e32 v16, v20, v16
	v_fmac_f32_e32 v16, v21, v15
	v_fmac_f32_e32 v37, v25, v15
	v_fma_f32 v24, v20, v15, -v24
	v_add_f32_e32 v25, v35, v16
	v_mul_f32_e32 v15, v21, v18
	v_mul_f32_e32 v16, v20, v18
	v_fma_f32 v15, v20, v17, -v15
	v_fmac_f32_e32 v16, v21, v17
	v_add_f32_e32 v24, v34, v24
	v_add_f32_e32 v34, v19, v15
	;; [unrolled: 1-line block ×3, first 2 shown]
	ds_read2_b64 v[15:18], v13 offset0:64 offset1:80
	v_add_f32_e32 v37, v39, v37
	v_add_f32_e32 v22, v22, v38
	s_waitcnt lgkmcnt(0)
	v_mul_f32_e32 v19, v27, v16
	v_mul_f32_e32 v20, v26, v16
	v_fma_f32 v19, v26, v15, -v19
	v_fmac_f32_e32 v20, v27, v15
	v_add_f32_e32 v35, v36, v19
	v_add_f32_e32 v36, v37, v20
	v_mul_f32_e32 v19, v27, v18
	v_mul_f32_e32 v20, v26, v18
	v_fma_f32 v19, v26, v17, -v19
	v_fmac_f32_e32 v20, v27, v17
	v_add_f32_e32 v26, v22, v19
	v_add_f32_e32 v23, v23, v20
	ds_read_b128 v[19:22], v14 offset:1040
	s_waitcnt lgkmcnt(0)
	v_mul_f32_e32 v27, v20, v16
	v_mul_f32_e32 v16, v19, v16
	v_fmac_f32_e32 v16, v20, v15
	v_fma_f32 v27, v19, v15, -v27
	v_add_f32_e32 v25, v25, v16
	v_mul_f32_e32 v15, v20, v18
	v_mul_f32_e32 v16, v19, v18
	v_fma_f32 v15, v19, v17, -v15
	v_fmac_f32_e32 v16, v20, v17
	v_add_f32_e32 v19, v34, v15
	v_add_f32_e32 v10, v10, v16
	ds_read2_b64 v[15:18], v13 offset0:96 offset1:112
	v_add_f32_e32 v24, v24, v27
	s_waitcnt lgkmcnt(0)
	v_mul_f32_e32 v20, v29, v16
	v_mul_f32_e32 v34, v29, v18
	v_fma_f32 v20, v28, v15, -v20
	v_mul_f32_e32 v27, v28, v16
	v_fma_f32 v34, v28, v17, -v34
	v_mul_f32_e32 v28, v28, v18
	v_fmac_f32_e32 v28, v29, v17
	v_add_f32_e32 v23, v23, v28
	v_mul_f32_e32 v28, v22, v16
	v_mul_f32_e32 v16, v21, v16
	v_fmac_f32_e32 v16, v22, v15
	v_fmac_f32_e32 v27, v29, v15
	v_fma_f32 v28, v21, v15, -v28
	v_add_f32_e32 v25, v25, v16
	v_mul_f32_e32 v15, v22, v18
	v_mul_f32_e32 v16, v21, v18
	v_fma_f32 v15, v21, v17, -v15
	v_fmac_f32_e32 v16, v22, v17
	v_add_f32_e32 v24, v24, v28
	v_add_f32_e32 v28, v19, v15
	;; [unrolled: 1-line block ×3, first 2 shown]
	ds_read2_b64 v[15:18], v13 offset0:128 offset1:144
	v_add_f32_e32 v20, v35, v20
	v_add_f32_e32 v27, v36, v27
	;; [unrolled: 1-line block ×3, first 2 shown]
	s_waitcnt lgkmcnt(0)
	v_mul_f32_e32 v19, v31, v16
	v_fma_f32 v19, v30, v15, -v19
	v_mul_f32_e32 v21, v30, v16
	v_add_f32_e32 v29, v20, v19
	v_mul_f32_e32 v19, v31, v18
	v_mul_f32_e32 v20, v30, v18
	v_fmac_f32_e32 v21, v31, v15
	v_fma_f32 v19, v30, v17, -v19
	v_fmac_f32_e32 v20, v31, v17
	v_add_f32_e32 v27, v27, v21
	v_add_f32_e32 v26, v26, v19
	;; [unrolled: 1-line block ×3, first 2 shown]
	ds_read_b128 v[19:22], v14 offset:1056
	s_waitcnt lgkmcnt(0)
	v_mul_f32_e32 v30, v20, v16
	v_mul_f32_e32 v16, v19, v16
	v_fmac_f32_e32 v16, v20, v15
	v_fma_f32 v30, v19, v15, -v30
	v_add_f32_e32 v25, v25, v16
	v_mul_f32_e32 v15, v20, v18
	v_mul_f32_e32 v16, v19, v18
	v_fma_f32 v15, v19, v17, -v15
	v_fmac_f32_e32 v16, v20, v17
	v_add_f32_e32 v19, v28, v15
	v_add_f32_e32 v10, v10, v16
	ds_read2_b64 v[15:18], v13 offset0:160 offset1:176
	v_add_f32_e32 v24, v24, v30
	s_waitcnt lgkmcnt(0)
	v_mul_f32_e32 v28, v32, v16
	v_fmac_f32_e32 v28, v33, v15
	v_add_f32_e32 v27, v27, v28
	v_mul_f32_e32 v28, v33, v18
	v_fma_f32 v28, v32, v17, -v28
	v_mul_f32_e32 v20, v33, v16
	v_add_f32_e32 v26, v26, v28
	v_mul_f32_e32 v28, v22, v16
	v_mul_f32_e32 v16, v21, v16
	v_fmac_f32_e32 v16, v22, v15
	v_fma_f32 v20, v32, v15, -v20
	v_fma_f32 v28, v21, v15, -v28
	v_add_f32_e32 v25, v25, v16
	v_mul_f32_e32 v15, v22, v18
	v_mul_f32_e32 v16, v21, v18
	v_add_f32_e32 v20, v29, v20
	v_mul_f32_e32 v29, v32, v18
	v_fma_f32 v15, v21, v17, -v15
	v_fmac_f32_e32 v16, v22, v17
	v_fmac_f32_e32 v29, v33, v17
	v_add_f32_e32 v19, v19, v15
	v_add_f32_e32 v10, v10, v16
	ds_read2_b64 v[15:18], v13 offset0:192 offset1:208
	v_add_f32_e32 v24, v24, v28
	v_add_f32_e32 v23, v23, v29
	s_waitcnt lgkmcnt(0)
	v_mul_f32_e32 v21, v3, v16
	v_fma_f32 v21, v2, v15, -v21
	v_add_f32_e32 v28, v20, v21
	v_mul_f32_e32 v20, v3, v18
	v_mul_f32_e32 v22, v2, v16
	v_fma_f32 v20, v2, v17, -v20
	v_mul_f32_e32 v2, v2, v18
	v_fmac_f32_e32 v22, v3, v15
	v_fmac_f32_e32 v2, v3, v17
	v_add_f32_e32 v29, v27, v22
	v_add_f32_e32 v3, v26, v20
	;; [unrolled: 1-line block ×3, first 2 shown]
	ds_read_b128 v[20:23], v14 offset:1072
	s_waitcnt lgkmcnt(0)
	v_mul_f32_e32 v26, v21, v16
	v_fma_f32 v26, v20, v15, -v26
	v_mul_f32_e32 v16, v20, v16
	v_fmac_f32_e32 v16, v21, v15
	v_add_f32_e32 v15, v24, v26
	v_mul_f32_e32 v24, v21, v18
	v_fma_f32 v24, v20, v17, -v24
	v_add_f32_e32 v16, v25, v16
	v_add_f32_e32 v30, v19, v24
	ds_read2_b64 v[24:27], v13 offset0:224 offset1:240
	v_mul_f32_e32 v18, v20, v18
	v_fmac_f32_e32 v18, v21, v17
	v_add_f32_e32 v10, v10, v18
	s_waitcnt lgkmcnt(0)
	v_mul_f32_e32 v17, v5, v25
	v_fma_f32 v17, v4, v24, -v17
	v_add_f32_e32 v20, v28, v17
	v_mul_f32_e32 v17, v5, v27
	v_mul_f32_e32 v18, v4, v25
	v_fma_f32 v17, v4, v26, -v17
	v_mul_f32_e32 v4, v4, v27
	v_fmac_f32_e32 v18, v5, v24
	v_fmac_f32_e32 v4, v5, v26
	v_add_f32_e32 v21, v29, v18
	v_add_f32_e32 v19, v3, v17
	;; [unrolled: 1-line block ×3, first 2 shown]
	v_mul_f32_e32 v2, v23, v25
	v_mul_f32_e32 v3, v22, v25
	v_fma_f32 v2, v22, v24, -v2
	v_fmac_f32_e32 v3, v23, v24
	v_add_f32_e32 v17, v15, v2
	v_add_f32_e32 v16, v16, v3
	v_mul_f32_e32 v2, v23, v27
	v_mul_f32_e32 v3, v22, v27
	v_fma_f32 v2, v22, v26, -v2
	v_fmac_f32_e32 v3, v23, v26
	v_add_f32_e32 v15, v30, v2
	v_add_f32_e32 v10, v10, v3
	v_mov_b32_e32 v3, s1
	v_mov_b32_e32 v2, s0
	v_cmp_le_u64_e32 vcc, s[12:13], v[2:3]
	s_barrier
	s_cbranch_vccz .LBB1718_2
	s_branch .LBB1718_4
.LBB1718_3:
	v_mov_b32_e32 v20, 0
	v_mov_b32_e32 v21, 0
	;; [unrolled: 1-line block ×8, first 2 shown]
.LBB1718_4:
	v_add_u32_e32 v5, s7, v1
	v_ashrrev_i32_e32 v1, 31, v5
	v_mul_lo_u32 v3, s2, v1
	v_mul_lo_u32 v4, s3, v5
	v_mad_u64_u32 v[1:2], s[0:1], s2, v5, 0
	s_load_dword s10, s[4:5], 0x0
	v_add_u32_e32 v0, s6, v0
	v_add3_u32 v2, v2, v3, v4
	v_lshlrev_b64 v[1:2], 3, v[1:2]
	s_waitcnt lgkmcnt(0)
	v_mov_b32_e32 v3, s9
	v_add_co_u32_e64 v4, s[0:1], s8, v1
	v_addc_co_u32_e64 v6, s[0:1], v3, v2, s[0:1]
	v_cmp_gt_i32_e32 vcc, s10, v5
	v_cmp_le_i32_e64 s[0:1], v0, v5
	s_and_b64 s[0:1], vcc, s[0:1]
	s_and_saveexec_b64 s[4:5], s[0:1]
	s_cbranch_execz .LBB1718_7
; %bb.5:
	v_ashrrev_i32_e32 v1, 31, v0
	v_lshlrev_b64 v[1:2], 3, v[0:1]
	v_xor_b32_e32 v7, 0x80000000, v20
	v_add_co_u32_e64 v1, s[0:1], v4, v1
	v_addc_co_u32_e64 v2, s[0:1], v6, v2, s[0:1]
	v_xor_b32_e32 v8, 0x80000000, v21
	v_cmp_eq_u32_e64 s[0:1], v5, v0
	flat_store_dwordx2 v[1:2], v[7:8]
	s_and_b64 exec, exec, s[0:1]
	s_cbranch_execz .LBB1718_7
; %bb.6:
	v_mov_b32_e32 v3, 0
	flat_store_dword v[1:2], v3 offset:4
.LBB1718_7:
	s_or_b64 exec, exec, s[4:5]
	v_add_u32_e32 v2, 16, v0
	v_cmp_le_i32_e64 s[0:1], v2, v5
	s_and_b64 s[4:5], vcc, s[0:1]
	s_and_saveexec_b64 s[0:1], s[4:5]
	s_cbranch_execz .LBB1718_10
; %bb.8:
	v_ashrrev_i32_e32 v3, 31, v2
	v_lshlrev_b64 v[11:12], 3, v[2:3]
	v_xor_b32_e32 v7, 0x80000000, v19
	v_add_co_u32_e32 v3, vcc, v4, v11
	v_addc_co_u32_e32 v4, vcc, v6, v12, vcc
	v_xor_b32_e32 v8, 0x80000000, v18
	v_cmp_eq_u32_e32 vcc, v5, v2
	flat_store_dwordx2 v[3:4], v[7:8]
	s_and_b64 exec, exec, vcc
	s_cbranch_execz .LBB1718_10
; %bb.9:
	v_mov_b32_e32 v1, 0
	flat_store_dword v[3:4], v1 offset:4
.LBB1718_10:
	s_or_b64 exec, exec, s[0:1]
	v_add_u32_e32 v8, 16, v5
	v_ashrrev_i32_e32 v1, 31, v8
	v_mul_lo_u32 v1, s2, v1
	v_mul_lo_u32 v6, s3, v8
	v_mad_u64_u32 v[3:4], s[0:1], s2, v8, 0
	v_cmp_gt_i32_e32 vcc, s10, v8
	v_add3_u32 v4, v4, v1, v6
	v_lshlrev_b64 v[3:4], 3, v[3:4]
	v_mov_b32_e32 v1, s9
	v_add_co_u32_e64 v6, s[0:1], s8, v3
	v_addc_co_u32_e64 v7, s[0:1], v1, v4, s[0:1]
	v_cmp_le_i32_e64 s[0:1], v0, v8
	s_and_b64 s[0:1], vcc, s[0:1]
	s_and_saveexec_b64 s[2:3], s[0:1]
	s_cbranch_execz .LBB1718_13
; %bb.11:
	v_ashrrev_i32_e32 v1, 31, v0
	v_lshlrev_b64 v[3:4], 3, v[0:1]
	v_xor_b32_e32 v11, 0x80000000, v17
	v_add_co_u32_e64 v3, s[0:1], v6, v3
	v_addc_co_u32_e64 v4, s[0:1], v7, v4, s[0:1]
	v_xor_b32_e32 v12, 0x80000000, v16
	v_cmp_eq_u32_e64 s[0:1], v8, v0
	flat_store_dwordx2 v[3:4], v[11:12]
	s_and_b64 exec, exec, s[0:1]
	s_cbranch_execz .LBB1718_13
; %bb.12:
	v_mov_b32_e32 v1, 0
	flat_store_dword v[3:4], v1 offset:4
.LBB1718_13:
	s_or_b64 exec, exec, s[2:3]
	v_cmp_le_i32_e64 s[0:1], v2, v8
	s_and_b64 s[0:1], vcc, s[0:1]
	s_and_saveexec_b64 s[2:3], s[0:1]
	s_cbranch_execz .LBB1718_16
; %bb.14:
	v_ashrrev_i32_e32 v3, 31, v2
	v_lshlrev_b64 v[1:2], 3, v[2:3]
	v_xor_b32_e32 v8, 0x80000000, v15
	v_add_co_u32_e32 v1, vcc, v6, v1
	v_addc_co_u32_e32 v2, vcc, v7, v2, vcc
	v_xor_b32_e32 v9, 0x80000000, v10
	v_cmp_eq_u32_e32 vcc, v5, v0
	flat_store_dwordx2 v[1:2], v[8:9]
	s_and_b64 exec, exec, vcc
	s_cbranch_execz .LBB1718_16
; %bb.15:
	v_mov_b32_e32 v0, 0
	flat_store_dword v[1:2], v0 offset:4
.LBB1718_16:
	s_endpgm
	.section	.rodata,"a",@progbits
	.p2align	6, 0x0
	.amdhsa_kernel _ZL37rocblas_syrkx_herkx_restricted_kernelIl19rocblas_complex_numIfELi16ELi32ELi8ELin1ELi0ELb1ELc67ELc85EKPKS1_KPS1_EviT_PT9_S7_lS9_S7_lPT10_S7_li
		.amdhsa_group_segment_fixed_size 4096
		.amdhsa_private_segment_fixed_size 0
		.amdhsa_kernarg_size 92
		.amdhsa_user_sgpr_count 6
		.amdhsa_user_sgpr_private_segment_buffer 1
		.amdhsa_user_sgpr_dispatch_ptr 0
		.amdhsa_user_sgpr_queue_ptr 0
		.amdhsa_user_sgpr_kernarg_segment_ptr 1
		.amdhsa_user_sgpr_dispatch_id 0
		.amdhsa_user_sgpr_flat_scratch_init 0
		.amdhsa_user_sgpr_private_segment_size 0
		.amdhsa_uses_dynamic_stack 0
		.amdhsa_system_sgpr_private_segment_wavefront_offset 0
		.amdhsa_system_sgpr_workgroup_id_x 1
		.amdhsa_system_sgpr_workgroup_id_y 1
		.amdhsa_system_sgpr_workgroup_id_z 1
		.amdhsa_system_sgpr_workgroup_info 0
		.amdhsa_system_vgpr_workitem_id 1
		.amdhsa_next_free_vgpr 41
		.amdhsa_next_free_sgpr 20
		.amdhsa_reserve_vcc 1
		.amdhsa_reserve_flat_scratch 0
		.amdhsa_float_round_mode_32 0
		.amdhsa_float_round_mode_16_64 0
		.amdhsa_float_denorm_mode_32 3
		.amdhsa_float_denorm_mode_16_64 3
		.amdhsa_dx10_clamp 1
		.amdhsa_ieee_mode 1
		.amdhsa_fp16_overflow 0
		.amdhsa_exception_fp_ieee_invalid_op 0
		.amdhsa_exception_fp_denorm_src 0
		.amdhsa_exception_fp_ieee_div_zero 0
		.amdhsa_exception_fp_ieee_overflow 0
		.amdhsa_exception_fp_ieee_underflow 0
		.amdhsa_exception_fp_ieee_inexact 0
		.amdhsa_exception_int_div_zero 0
	.end_amdhsa_kernel
	.section	.text._ZL37rocblas_syrkx_herkx_restricted_kernelIl19rocblas_complex_numIfELi16ELi32ELi8ELin1ELi0ELb1ELc67ELc85EKPKS1_KPS1_EviT_PT9_S7_lS9_S7_lPT10_S7_li,"axG",@progbits,_ZL37rocblas_syrkx_herkx_restricted_kernelIl19rocblas_complex_numIfELi16ELi32ELi8ELin1ELi0ELb1ELc67ELc85EKPKS1_KPS1_EviT_PT9_S7_lS9_S7_lPT10_S7_li,comdat
.Lfunc_end1718:
	.size	_ZL37rocblas_syrkx_herkx_restricted_kernelIl19rocblas_complex_numIfELi16ELi32ELi8ELin1ELi0ELb1ELc67ELc85EKPKS1_KPS1_EviT_PT9_S7_lS9_S7_lPT10_S7_li, .Lfunc_end1718-_ZL37rocblas_syrkx_herkx_restricted_kernelIl19rocblas_complex_numIfELi16ELi32ELi8ELin1ELi0ELb1ELc67ELc85EKPKS1_KPS1_EviT_PT9_S7_lS9_S7_lPT10_S7_li
                                        ; -- End function
	.set _ZL37rocblas_syrkx_herkx_restricted_kernelIl19rocblas_complex_numIfELi16ELi32ELi8ELin1ELi0ELb1ELc67ELc85EKPKS1_KPS1_EviT_PT9_S7_lS9_S7_lPT10_S7_li.num_vgpr, 41
	.set _ZL37rocblas_syrkx_herkx_restricted_kernelIl19rocblas_complex_numIfELi16ELi32ELi8ELin1ELi0ELb1ELc67ELc85EKPKS1_KPS1_EviT_PT9_S7_lS9_S7_lPT10_S7_li.num_agpr, 0
	.set _ZL37rocblas_syrkx_herkx_restricted_kernelIl19rocblas_complex_numIfELi16ELi32ELi8ELin1ELi0ELb1ELc67ELc85EKPKS1_KPS1_EviT_PT9_S7_lS9_S7_lPT10_S7_li.numbered_sgpr, 20
	.set _ZL37rocblas_syrkx_herkx_restricted_kernelIl19rocblas_complex_numIfELi16ELi32ELi8ELin1ELi0ELb1ELc67ELc85EKPKS1_KPS1_EviT_PT9_S7_lS9_S7_lPT10_S7_li.num_named_barrier, 0
	.set _ZL37rocblas_syrkx_herkx_restricted_kernelIl19rocblas_complex_numIfELi16ELi32ELi8ELin1ELi0ELb1ELc67ELc85EKPKS1_KPS1_EviT_PT9_S7_lS9_S7_lPT10_S7_li.private_seg_size, 0
	.set _ZL37rocblas_syrkx_herkx_restricted_kernelIl19rocblas_complex_numIfELi16ELi32ELi8ELin1ELi0ELb1ELc67ELc85EKPKS1_KPS1_EviT_PT9_S7_lS9_S7_lPT10_S7_li.uses_vcc, 1
	.set _ZL37rocblas_syrkx_herkx_restricted_kernelIl19rocblas_complex_numIfELi16ELi32ELi8ELin1ELi0ELb1ELc67ELc85EKPKS1_KPS1_EviT_PT9_S7_lS9_S7_lPT10_S7_li.uses_flat_scratch, 0
	.set _ZL37rocblas_syrkx_herkx_restricted_kernelIl19rocblas_complex_numIfELi16ELi32ELi8ELin1ELi0ELb1ELc67ELc85EKPKS1_KPS1_EviT_PT9_S7_lS9_S7_lPT10_S7_li.has_dyn_sized_stack, 0
	.set _ZL37rocblas_syrkx_herkx_restricted_kernelIl19rocblas_complex_numIfELi16ELi32ELi8ELin1ELi0ELb1ELc67ELc85EKPKS1_KPS1_EviT_PT9_S7_lS9_S7_lPT10_S7_li.has_recursion, 0
	.set _ZL37rocblas_syrkx_herkx_restricted_kernelIl19rocblas_complex_numIfELi16ELi32ELi8ELin1ELi0ELb1ELc67ELc85EKPKS1_KPS1_EviT_PT9_S7_lS9_S7_lPT10_S7_li.has_indirect_call, 0
	.section	.AMDGPU.csdata,"",@progbits
; Kernel info:
; codeLenInByte = 2124
; TotalNumSgprs: 24
; NumVgprs: 41
; ScratchSize: 0
; MemoryBound: 0
; FloatMode: 240
; IeeeMode: 1
; LDSByteSize: 4096 bytes/workgroup (compile time only)
; SGPRBlocks: 2
; VGPRBlocks: 10
; NumSGPRsForWavesPerEU: 24
; NumVGPRsForWavesPerEU: 41
; Occupancy: 5
; WaveLimiterHint : 1
; COMPUTE_PGM_RSRC2:SCRATCH_EN: 0
; COMPUTE_PGM_RSRC2:USER_SGPR: 6
; COMPUTE_PGM_RSRC2:TRAP_HANDLER: 0
; COMPUTE_PGM_RSRC2:TGID_X_EN: 1
; COMPUTE_PGM_RSRC2:TGID_Y_EN: 1
; COMPUTE_PGM_RSRC2:TGID_Z_EN: 1
; COMPUTE_PGM_RSRC2:TIDIG_COMP_CNT: 1
	.section	.text._ZL37rocblas_syrkx_herkx_restricted_kernelIl19rocblas_complex_numIfELi16ELi32ELi8ELin1ELi0ELb1ELc78ELc85EKPKS1_KPS1_EviT_PT9_S7_lS9_S7_lPT10_S7_li,"axG",@progbits,_ZL37rocblas_syrkx_herkx_restricted_kernelIl19rocblas_complex_numIfELi16ELi32ELi8ELin1ELi0ELb1ELc78ELc85EKPKS1_KPS1_EviT_PT9_S7_lS9_S7_lPT10_S7_li,comdat
	.globl	_ZL37rocblas_syrkx_herkx_restricted_kernelIl19rocblas_complex_numIfELi16ELi32ELi8ELin1ELi0ELb1ELc78ELc85EKPKS1_KPS1_EviT_PT9_S7_lS9_S7_lPT10_S7_li ; -- Begin function _ZL37rocblas_syrkx_herkx_restricted_kernelIl19rocblas_complex_numIfELi16ELi32ELi8ELin1ELi0ELb1ELc78ELc85EKPKS1_KPS1_EviT_PT9_S7_lS9_S7_lPT10_S7_li
	.p2align	8
	.type	_ZL37rocblas_syrkx_herkx_restricted_kernelIl19rocblas_complex_numIfELi16ELi32ELi8ELin1ELi0ELb1ELc78ELc85EKPKS1_KPS1_EviT_PT9_S7_lS9_S7_lPT10_S7_li,@function
_ZL37rocblas_syrkx_herkx_restricted_kernelIl19rocblas_complex_numIfELi16ELi32ELi8ELin1ELi0ELb1ELc78ELc85EKPKS1_KPS1_EviT_PT9_S7_lS9_S7_lPT10_S7_li: ; @_ZL37rocblas_syrkx_herkx_restricted_kernelIl19rocblas_complex_numIfELi16ELi32ELi8ELin1ELi0ELb1ELc78ELc85EKPKS1_KPS1_EviT_PT9_S7_lS9_S7_lPT10_S7_li
; %bb.0:
	s_load_dwordx4 s[0:3], s[4:5], 0x40
	s_load_dwordx4 s[12:15], s[4:5], 0x8
	s_mov_b32 s9, 0
	s_lshl_b64 s[18:19], s[8:9], 3
	s_waitcnt lgkmcnt(0)
	s_add_u32 s0, s0, s18
	s_addc_u32 s1, s1, s19
	s_load_dwordx2 s[16:17], s[0:1], 0x0
	v_cmp_lt_i64_e64 s[0:1], s[12:13], 1
	s_lshl_b32 s20, s6, 5
	s_lshl_b32 s21, s7, 5
	s_and_b64 vcc, exec, s[0:1]
	s_cbranch_vccnz .LBB1719_3
; %bb.1:
	s_load_dwordx2 s[0:1], s[4:5], 0x18
	s_load_dwordx4 s[8:11], s[4:5], 0x28
	v_lshl_add_u32 v5, v1, 4, v0
	v_lshrrev_b32_e32 v7, 3, v5
	v_add_u32_e32 v2, s21, v7
	v_and_b32_e32 v6, 7, v0
	v_ashrrev_i32_e32 v3, 31, v2
	s_waitcnt lgkmcnt(0)
	v_mad_u64_u32 v[2:3], s[6:7], s10, v6, v[2:3]
	s_add_u32 s6, s14, s18
	s_addc_u32 s7, s15, s19
	v_mad_u64_u32 v[3:4], s[14:15], s11, v6, v[3:4]
	v_and_b32_e32 v4, 31, v5
	v_lshrrev_b32_e32 v8, 5, v5
	v_lshlrev_b32_e32 v5, 3, v4
	v_add_u32_e32 v4, s20, v4
	v_lshl_or_b32 v10, v8, 8, v5
	v_ashrrev_i32_e32 v5, 31, v4
	v_mad_u64_u32 v[4:5], s[14:15], s0, v8, v[4:5]
	v_lshlrev_b32_e32 v6, 3, v6
	v_lshl_or_b32 v6, v7, 6, v6
	v_add_u32_e32 v11, 0x800, v6
	v_mad_u64_u32 v[5:6], s[14:15], s1, v8, v[5:6]
	s_load_dwordx2 s[6:7], s[6:7], 0x0
	s_add_u32 s8, s8, s18
	s_addc_u32 s9, s9, s19
	s_load_dwordx2 s[8:9], s[8:9], 0x0
	v_lshlrev_b64 v[4:5], 3, v[4:5]
	v_mov_b32_e32 v6, 0x800
	v_lshl_add_u32 v13, v1, 6, v6
	s_waitcnt lgkmcnt(0)
	v_mov_b32_e32 v7, s7
	v_add_co_u32_e32 v6, vcc, s6, v4
	v_lshlrev_b64 v[2:3], 3, v[2:3]
	v_addc_co_u32_e32 v7, vcc, v7, v5, vcc
	s_lshl_b64 s[0:1], s[0:1], 6
	v_mov_b32_e32 v4, s9
	v_add_co_u32_e32 v8, vcc, s8, v2
	s_lshl_b64 s[6:7], s[10:11], 6
	v_lshlrev_b32_e32 v12, 3, v0
	v_addc_co_u32_e32 v9, vcc, v4, v3, vcc
	v_mov_b32_e32 v16, 0
	s_mov_b64 s[8:9], 0
	v_mov_b32_e32 v14, s1
	v_mov_b32_e32 v15, s7
	;; [unrolled: 1-line block ×9, first 2 shown]
.LBB1719_2:                             ; =>This Inner Loop Header: Depth=1
	flat_load_dwordx2 v[2:3], v[6:7]
	v_add_co_u32_e32 v6, vcc, s0, v6
	s_add_u32 s8, s8, 8
	v_addc_co_u32_e32 v7, vcc, v7, v14, vcc
	s_addc_u32 s9, s9, 0
	s_waitcnt vmcnt(0) lgkmcnt(0)
	ds_write_b64 v10, v[2:3]
	flat_load_dwordx2 v[2:3], v[8:9]
	v_add_co_u32_e32 v8, vcc, s6, v8
	v_addc_co_u32_e32 v9, vcc, v9, v15, vcc
	s_waitcnt vmcnt(0) lgkmcnt(0)
	v_xor_b32_e32 v3, 0x80000000, v3
	ds_write_b64 v11, v[2:3]
	s_waitcnt lgkmcnt(0)
	s_barrier
	ds_read_b128 v[24:27], v13
	ds_read_b128 v[28:31], v13 offset:16
	ds_read_b128 v[32:35], v13 offset:32
	;; [unrolled: 1-line block ×3, first 2 shown]
	ds_read2_b64 v[36:39], v12 offset1:16
	s_waitcnt lgkmcnt(0)
	v_mul_f32_e32 v40, v25, v37
	v_mul_f32_e32 v41, v24, v37
	v_fma_f32 v40, v24, v36, -v40
	v_fmac_f32_e32 v41, v25, v36
	v_add_f32_e32 v40, v22, v40
	v_add_f32_e32 v41, v23, v41
	v_mul_f32_e32 v22, v25, v39
	v_mul_f32_e32 v23, v24, v39
	v_fma_f32 v22, v24, v38, -v22
	v_fmac_f32_e32 v23, v25, v38
	v_add_f32_e32 v24, v21, v22
	v_add_f32_e32 v25, v20, v23
	ds_read_b128 v[20:23], v13 offset:1024
	s_waitcnt lgkmcnt(0)
	v_mul_f32_e32 v42, v21, v37
	v_mul_f32_e32 v37, v20, v37
	v_fma_f32 v42, v20, v36, -v42
	v_fmac_f32_e32 v37, v21, v36
	v_add_f32_e32 v36, v19, v42
	v_add_f32_e32 v37, v18, v37
	v_mul_f32_e32 v18, v21, v39
	v_mul_f32_e32 v19, v20, v39
	v_fma_f32 v18, v20, v38, -v18
	v_fmac_f32_e32 v19, v21, v38
	v_add_f32_e32 v20, v17, v18
	v_add_f32_e32 v21, v16, v19
	ds_read2_b64 v[16:19], v12 offset0:32 offset1:48
	s_waitcnt lgkmcnt(0)
	v_mul_f32_e32 v38, v27, v17
	v_fma_f32 v38, v26, v16, -v38
	v_add_f32_e32 v38, v40, v38
	v_mul_f32_e32 v40, v27, v19
	v_mul_f32_e32 v39, v26, v17
	v_fma_f32 v40, v26, v18, -v40
	v_mul_f32_e32 v26, v26, v19
	v_fmac_f32_e32 v26, v27, v18
	v_add_f32_e32 v25, v25, v26
	v_mul_f32_e32 v26, v23, v17
	v_mul_f32_e32 v17, v22, v17
	v_fmac_f32_e32 v17, v23, v16
	v_fmac_f32_e32 v39, v27, v16
	v_fma_f32 v26, v22, v16, -v26
	v_add_f32_e32 v27, v37, v17
	v_mul_f32_e32 v16, v23, v19
	v_mul_f32_e32 v17, v22, v19
	v_fma_f32 v16, v22, v18, -v16
	v_fmac_f32_e32 v17, v23, v18
	v_add_f32_e32 v26, v36, v26
	v_add_f32_e32 v36, v20, v16
	;; [unrolled: 1-line block ×3, first 2 shown]
	ds_read2_b64 v[16:19], v12 offset0:64 offset1:80
	v_add_f32_e32 v39, v41, v39
	v_add_f32_e32 v24, v24, v40
	s_waitcnt lgkmcnt(0)
	v_mul_f32_e32 v20, v29, v17
	v_mul_f32_e32 v21, v28, v17
	v_fma_f32 v20, v28, v16, -v20
	v_fmac_f32_e32 v21, v29, v16
	v_add_f32_e32 v38, v38, v20
	v_add_f32_e32 v39, v39, v21
	v_mul_f32_e32 v20, v29, v19
	v_mul_f32_e32 v21, v28, v19
	v_fma_f32 v20, v28, v18, -v20
	v_fmac_f32_e32 v21, v29, v18
	v_add_f32_e32 v24, v24, v20
	v_add_f32_e32 v25, v25, v21
	ds_read_b128 v[20:23], v13 offset:1040
	s_waitcnt lgkmcnt(0)
	v_mul_f32_e32 v28, v21, v17
	v_mul_f32_e32 v17, v20, v17
	v_fmac_f32_e32 v17, v21, v16
	v_fma_f32 v28, v20, v16, -v28
	v_add_f32_e32 v27, v27, v17
	v_mul_f32_e32 v16, v21, v19
	v_mul_f32_e32 v17, v20, v19
	v_fma_f32 v16, v20, v18, -v16
	v_fmac_f32_e32 v17, v21, v18
	v_add_f32_e32 v20, v36, v16
	v_add_f32_e32 v21, v37, v17
	ds_read2_b64 v[16:19], v12 offset0:96 offset1:112
	v_add_f32_e32 v26, v26, v28
	s_waitcnt lgkmcnt(0)
	v_mul_f32_e32 v28, v31, v17
	v_mul_f32_e32 v36, v31, v19
	v_fma_f32 v28, v30, v16, -v28
	v_mul_f32_e32 v29, v30, v17
	v_fma_f32 v36, v30, v18, -v36
	v_mul_f32_e32 v30, v30, v19
	v_fmac_f32_e32 v30, v31, v18
	v_add_f32_e32 v25, v25, v30
	v_mul_f32_e32 v30, v23, v17
	v_mul_f32_e32 v17, v22, v17
	v_fmac_f32_e32 v17, v23, v16
	v_fmac_f32_e32 v29, v31, v16
	v_fma_f32 v30, v22, v16, -v30
	v_add_f32_e32 v27, v27, v17
	v_mul_f32_e32 v16, v23, v19
	v_mul_f32_e32 v17, v22, v19
	v_fma_f32 v16, v22, v18, -v16
	v_fmac_f32_e32 v17, v23, v18
	v_add_f32_e32 v26, v26, v30
	v_add_f32_e32 v30, v20, v16
	v_add_f32_e32 v31, v21, v17
	ds_read2_b64 v[16:19], v12 offset0:128 offset1:144
	v_add_f32_e32 v28, v38, v28
	v_add_f32_e32 v29, v39, v29
	;; [unrolled: 1-line block ×3, first 2 shown]
	s_waitcnt lgkmcnt(0)
	v_mul_f32_e32 v20, v33, v17
	v_mul_f32_e32 v21, v32, v17
	v_fma_f32 v20, v32, v16, -v20
	v_fmac_f32_e32 v21, v33, v16
	v_add_f32_e32 v28, v28, v20
	v_add_f32_e32 v29, v29, v21
	v_mul_f32_e32 v20, v33, v19
	v_mul_f32_e32 v21, v32, v19
	v_fma_f32 v20, v32, v18, -v20
	v_fmac_f32_e32 v21, v33, v18
	v_add_f32_e32 v24, v24, v20
	v_add_f32_e32 v25, v25, v21
	ds_read_b128 v[20:23], v13 offset:1056
	s_waitcnt lgkmcnt(0)
	v_mul_f32_e32 v32, v21, v17
	v_mul_f32_e32 v17, v20, v17
	v_fmac_f32_e32 v17, v21, v16
	v_fma_f32 v32, v20, v16, -v32
	v_add_f32_e32 v27, v27, v17
	v_mul_f32_e32 v16, v21, v19
	v_mul_f32_e32 v17, v20, v19
	v_fma_f32 v16, v20, v18, -v16
	v_fmac_f32_e32 v17, v21, v18
	v_add_f32_e32 v20, v30, v16
	v_add_f32_e32 v21, v31, v17
	ds_read2_b64 v[16:19], v12 offset0:160 offset1:176
	v_add_f32_e32 v26, v26, v32
	s_waitcnt lgkmcnt(0)
	v_mul_f32_e32 v30, v35, v17
	v_fma_f32 v30, v34, v16, -v30
	v_add_f32_e32 v28, v28, v30
	v_mul_f32_e32 v30, v35, v19
	v_fma_f32 v30, v34, v18, -v30
	v_mul_f32_e32 v31, v34, v17
	v_add_f32_e32 v24, v24, v30
	v_mul_f32_e32 v30, v23, v17
	v_mul_f32_e32 v17, v22, v17
	v_fmac_f32_e32 v17, v23, v16
	v_fmac_f32_e32 v31, v35, v16
	v_fma_f32 v30, v22, v16, -v30
	v_add_f32_e32 v27, v27, v17
	v_mul_f32_e32 v16, v23, v19
	v_mul_f32_e32 v17, v22, v19
	v_add_f32_e32 v29, v29, v31
	v_mul_f32_e32 v31, v34, v19
	v_fma_f32 v16, v22, v18, -v16
	v_fmac_f32_e32 v17, v23, v18
	v_fmac_f32_e32 v31, v35, v18
	v_add_f32_e32 v20, v20, v16
	v_add_f32_e32 v21, v21, v17
	ds_read2_b64 v[16:19], v12 offset0:192 offset1:208
	v_add_f32_e32 v26, v26, v30
	v_add_f32_e32 v25, v25, v31
	s_waitcnt lgkmcnt(0)
	v_mul_f32_e32 v22, v3, v17
	v_fma_f32 v22, v2, v16, -v22
	v_add_f32_e32 v30, v28, v22
	v_mul_f32_e32 v22, v3, v19
	v_mul_f32_e32 v23, v2, v17
	v_fma_f32 v22, v2, v18, -v22
	v_mul_f32_e32 v2, v2, v19
	v_fmac_f32_e32 v23, v3, v16
	v_fmac_f32_e32 v2, v3, v18
	v_add_f32_e32 v31, v29, v23
	v_add_f32_e32 v3, v24, v22
	;; [unrolled: 1-line block ×3, first 2 shown]
	ds_read_b128 v[22:25], v13 offset:1072
	s_waitcnt lgkmcnt(0)
	v_mul_f32_e32 v28, v23, v17
	v_fma_f32 v28, v22, v16, -v28
	v_mul_f32_e32 v17, v22, v17
	v_fmac_f32_e32 v17, v23, v16
	v_add_f32_e32 v16, v26, v28
	v_mul_f32_e32 v26, v23, v19
	v_fma_f32 v26, v22, v18, -v26
	v_add_f32_e32 v17, v27, v17
	v_add_f32_e32 v32, v20, v26
	ds_read2_b64 v[26:29], v12 offset0:224 offset1:240
	v_mul_f32_e32 v19, v22, v19
	v_fmac_f32_e32 v19, v23, v18
	v_add_f32_e32 v33, v21, v19
	s_waitcnt lgkmcnt(0)
	v_mul_f32_e32 v18, v5, v27
	v_fma_f32 v18, v4, v26, -v18
	v_add_f32_e32 v22, v30, v18
	v_mul_f32_e32 v18, v5, v29
	v_mul_f32_e32 v19, v4, v27
	v_fma_f32 v18, v4, v28, -v18
	v_mul_f32_e32 v4, v4, v29
	v_fmac_f32_e32 v4, v5, v28
	v_add_f32_e32 v21, v3, v18
	v_add_f32_e32 v20, v2, v4
	v_mul_f32_e32 v2, v25, v27
	v_mul_f32_e32 v3, v24, v27
	v_fmac_f32_e32 v19, v5, v26
	v_fma_f32 v2, v24, v26, -v2
	v_fmac_f32_e32 v3, v25, v26
	v_add_f32_e32 v23, v31, v19
	v_add_f32_e32 v19, v16, v2
	;; [unrolled: 1-line block ×3, first 2 shown]
	v_mul_f32_e32 v2, v25, v29
	v_mul_f32_e32 v3, v24, v29
	v_fma_f32 v2, v24, v28, -v2
	v_fmac_f32_e32 v3, v25, v28
	v_add_f32_e32 v17, v32, v2
	v_add_f32_e32 v16, v33, v3
	v_mov_b32_e32 v2, s8
	v_mov_b32_e32 v3, s9
	v_cmp_le_u64_e32 vcc, s[12:13], v[2:3]
	s_barrier
	s_cbranch_vccz .LBB1719_2
	s_branch .LBB1719_4
.LBB1719_3:
	v_mov_b32_e32 v22, 0
	v_mov_b32_e32 v23, 0
	;; [unrolled: 1-line block ×8, first 2 shown]
.LBB1719_4:
	v_add_u32_e32 v5, s21, v1
	v_ashrrev_i32_e32 v1, 31, v5
	v_mul_lo_u32 v3, s2, v1
	v_mul_lo_u32 v4, s3, v5
	v_mad_u64_u32 v[1:2], s[0:1], s2, v5, 0
	s_load_dword s6, s[4:5], 0x0
	v_add_u32_e32 v0, s20, v0
	v_add3_u32 v2, v2, v3, v4
	v_lshlrev_b64 v[1:2], 3, v[1:2]
	s_waitcnt lgkmcnt(0)
	v_mov_b32_e32 v3, s17
	v_add_co_u32_e64 v4, s[0:1], s16, v1
	v_addc_co_u32_e64 v6, s[0:1], v3, v2, s[0:1]
	v_cmp_gt_i32_e32 vcc, s6, v5
	v_cmp_le_i32_e64 s[0:1], v0, v5
	s_and_b64 s[0:1], vcc, s[0:1]
	s_and_saveexec_b64 s[4:5], s[0:1]
	s_cbranch_execz .LBB1719_7
; %bb.5:
	v_ashrrev_i32_e32 v1, 31, v0
	v_lshlrev_b64 v[1:2], 3, v[0:1]
	v_xor_b32_e32 v7, 0x80000000, v22
	v_add_co_u32_e64 v1, s[0:1], v4, v1
	v_addc_co_u32_e64 v2, s[0:1], v6, v2, s[0:1]
	v_xor_b32_e32 v8, 0x80000000, v23
	v_cmp_eq_u32_e64 s[0:1], v5, v0
	flat_store_dwordx2 v[1:2], v[7:8]
	s_and_b64 exec, exec, s[0:1]
	s_cbranch_execz .LBB1719_7
; %bb.6:
	v_mov_b32_e32 v3, 0
	flat_store_dword v[1:2], v3 offset:4
.LBB1719_7:
	s_or_b64 exec, exec, s[4:5]
	v_add_u32_e32 v2, 16, v0
	v_cmp_le_i32_e64 s[0:1], v2, v5
	s_and_b64 s[4:5], vcc, s[0:1]
	s_and_saveexec_b64 s[0:1], s[4:5]
	s_cbranch_execz .LBB1719_10
; %bb.8:
	v_ashrrev_i32_e32 v3, 31, v2
	v_lshlrev_b64 v[9:10], 3, v[2:3]
	v_xor_b32_e32 v7, 0x80000000, v21
	v_add_co_u32_e32 v3, vcc, v4, v9
	v_addc_co_u32_e32 v4, vcc, v6, v10, vcc
	v_xor_b32_e32 v8, 0x80000000, v20
	v_cmp_eq_u32_e32 vcc, v5, v2
	flat_store_dwordx2 v[3:4], v[7:8]
	s_and_b64 exec, exec, vcc
	s_cbranch_execz .LBB1719_10
; %bb.9:
	v_mov_b32_e32 v1, 0
	flat_store_dword v[3:4], v1 offset:4
.LBB1719_10:
	s_or_b64 exec, exec, s[0:1]
	v_add_u32_e32 v8, 16, v5
	v_ashrrev_i32_e32 v1, 31, v8
	v_mul_lo_u32 v1, s2, v1
	v_mul_lo_u32 v6, s3, v8
	v_mad_u64_u32 v[3:4], s[0:1], s2, v8, 0
	v_cmp_gt_i32_e32 vcc, s6, v8
	v_add3_u32 v4, v4, v1, v6
	v_lshlrev_b64 v[3:4], 3, v[3:4]
	v_mov_b32_e32 v1, s17
	v_add_co_u32_e64 v6, s[0:1], s16, v3
	v_addc_co_u32_e64 v7, s[0:1], v1, v4, s[0:1]
	v_cmp_le_i32_e64 s[0:1], v0, v8
	s_and_b64 s[0:1], vcc, s[0:1]
	s_and_saveexec_b64 s[2:3], s[0:1]
	s_cbranch_execz .LBB1719_13
; %bb.11:
	v_ashrrev_i32_e32 v1, 31, v0
	v_lshlrev_b64 v[3:4], 3, v[0:1]
	v_xor_b32_e32 v9, 0x80000000, v19
	v_add_co_u32_e64 v3, s[0:1], v6, v3
	v_addc_co_u32_e64 v4, s[0:1], v7, v4, s[0:1]
	v_xor_b32_e32 v10, 0x80000000, v18
	v_cmp_eq_u32_e64 s[0:1], v8, v0
	flat_store_dwordx2 v[3:4], v[9:10]
	s_and_b64 exec, exec, s[0:1]
	s_cbranch_execz .LBB1719_13
; %bb.12:
	v_mov_b32_e32 v1, 0
	flat_store_dword v[3:4], v1 offset:4
.LBB1719_13:
	s_or_b64 exec, exec, s[2:3]
	v_cmp_le_i32_e64 s[0:1], v2, v8
	s_and_b64 s[0:1], vcc, s[0:1]
	s_and_saveexec_b64 s[2:3], s[0:1]
	s_cbranch_execz .LBB1719_16
; %bb.14:
	v_ashrrev_i32_e32 v3, 31, v2
	v_lshlrev_b64 v[1:2], 3, v[2:3]
	v_xor_b32_e32 v8, 0x80000000, v17
	v_add_co_u32_e32 v1, vcc, v6, v1
	v_addc_co_u32_e32 v2, vcc, v7, v2, vcc
	v_xor_b32_e32 v9, 0x80000000, v16
	v_cmp_eq_u32_e32 vcc, v5, v0
	flat_store_dwordx2 v[1:2], v[8:9]
	s_and_b64 exec, exec, vcc
	s_cbranch_execz .LBB1719_16
; %bb.15:
	v_mov_b32_e32 v0, 0
	flat_store_dword v[1:2], v0 offset:4
.LBB1719_16:
	s_endpgm
	.section	.rodata,"a",@progbits
	.p2align	6, 0x0
	.amdhsa_kernel _ZL37rocblas_syrkx_herkx_restricted_kernelIl19rocblas_complex_numIfELi16ELi32ELi8ELin1ELi0ELb1ELc78ELc85EKPKS1_KPS1_EviT_PT9_S7_lS9_S7_lPT10_S7_li
		.amdhsa_group_segment_fixed_size 4096
		.amdhsa_private_segment_fixed_size 0
		.amdhsa_kernarg_size 92
		.amdhsa_user_sgpr_count 6
		.amdhsa_user_sgpr_private_segment_buffer 1
		.amdhsa_user_sgpr_dispatch_ptr 0
		.amdhsa_user_sgpr_queue_ptr 0
		.amdhsa_user_sgpr_kernarg_segment_ptr 1
		.amdhsa_user_sgpr_dispatch_id 0
		.amdhsa_user_sgpr_flat_scratch_init 0
		.amdhsa_user_sgpr_private_segment_size 0
		.amdhsa_uses_dynamic_stack 0
		.amdhsa_system_sgpr_private_segment_wavefront_offset 0
		.amdhsa_system_sgpr_workgroup_id_x 1
		.amdhsa_system_sgpr_workgroup_id_y 1
		.amdhsa_system_sgpr_workgroup_id_z 1
		.amdhsa_system_sgpr_workgroup_info 0
		.amdhsa_system_vgpr_workitem_id 1
		.amdhsa_next_free_vgpr 43
		.amdhsa_next_free_sgpr 22
		.amdhsa_reserve_vcc 1
		.amdhsa_reserve_flat_scratch 0
		.amdhsa_float_round_mode_32 0
		.amdhsa_float_round_mode_16_64 0
		.amdhsa_float_denorm_mode_32 3
		.amdhsa_float_denorm_mode_16_64 3
		.amdhsa_dx10_clamp 1
		.amdhsa_ieee_mode 1
		.amdhsa_fp16_overflow 0
		.amdhsa_exception_fp_ieee_invalid_op 0
		.amdhsa_exception_fp_denorm_src 0
		.amdhsa_exception_fp_ieee_div_zero 0
		.amdhsa_exception_fp_ieee_overflow 0
		.amdhsa_exception_fp_ieee_underflow 0
		.amdhsa_exception_fp_ieee_inexact 0
		.amdhsa_exception_int_div_zero 0
	.end_amdhsa_kernel
	.section	.text._ZL37rocblas_syrkx_herkx_restricted_kernelIl19rocblas_complex_numIfELi16ELi32ELi8ELin1ELi0ELb1ELc78ELc85EKPKS1_KPS1_EviT_PT9_S7_lS9_S7_lPT10_S7_li,"axG",@progbits,_ZL37rocblas_syrkx_herkx_restricted_kernelIl19rocblas_complex_numIfELi16ELi32ELi8ELin1ELi0ELb1ELc78ELc85EKPKS1_KPS1_EviT_PT9_S7_lS9_S7_lPT10_S7_li,comdat
.Lfunc_end1719:
	.size	_ZL37rocblas_syrkx_herkx_restricted_kernelIl19rocblas_complex_numIfELi16ELi32ELi8ELin1ELi0ELb1ELc78ELc85EKPKS1_KPS1_EviT_PT9_S7_lS9_S7_lPT10_S7_li, .Lfunc_end1719-_ZL37rocblas_syrkx_herkx_restricted_kernelIl19rocblas_complex_numIfELi16ELi32ELi8ELin1ELi0ELb1ELc78ELc85EKPKS1_KPS1_EviT_PT9_S7_lS9_S7_lPT10_S7_li
                                        ; -- End function
	.set _ZL37rocblas_syrkx_herkx_restricted_kernelIl19rocblas_complex_numIfELi16ELi32ELi8ELin1ELi0ELb1ELc78ELc85EKPKS1_KPS1_EviT_PT9_S7_lS9_S7_lPT10_S7_li.num_vgpr, 43
	.set _ZL37rocblas_syrkx_herkx_restricted_kernelIl19rocblas_complex_numIfELi16ELi32ELi8ELin1ELi0ELb1ELc78ELc85EKPKS1_KPS1_EviT_PT9_S7_lS9_S7_lPT10_S7_li.num_agpr, 0
	.set _ZL37rocblas_syrkx_herkx_restricted_kernelIl19rocblas_complex_numIfELi16ELi32ELi8ELin1ELi0ELb1ELc78ELc85EKPKS1_KPS1_EviT_PT9_S7_lS9_S7_lPT10_S7_li.numbered_sgpr, 22
	.set _ZL37rocblas_syrkx_herkx_restricted_kernelIl19rocblas_complex_numIfELi16ELi32ELi8ELin1ELi0ELb1ELc78ELc85EKPKS1_KPS1_EviT_PT9_S7_lS9_S7_lPT10_S7_li.num_named_barrier, 0
	.set _ZL37rocblas_syrkx_herkx_restricted_kernelIl19rocblas_complex_numIfELi16ELi32ELi8ELin1ELi0ELb1ELc78ELc85EKPKS1_KPS1_EviT_PT9_S7_lS9_S7_lPT10_S7_li.private_seg_size, 0
	.set _ZL37rocblas_syrkx_herkx_restricted_kernelIl19rocblas_complex_numIfELi16ELi32ELi8ELin1ELi0ELb1ELc78ELc85EKPKS1_KPS1_EviT_PT9_S7_lS9_S7_lPT10_S7_li.uses_vcc, 1
	.set _ZL37rocblas_syrkx_herkx_restricted_kernelIl19rocblas_complex_numIfELi16ELi32ELi8ELin1ELi0ELb1ELc78ELc85EKPKS1_KPS1_EviT_PT9_S7_lS9_S7_lPT10_S7_li.uses_flat_scratch, 0
	.set _ZL37rocblas_syrkx_herkx_restricted_kernelIl19rocblas_complex_numIfELi16ELi32ELi8ELin1ELi0ELb1ELc78ELc85EKPKS1_KPS1_EviT_PT9_S7_lS9_S7_lPT10_S7_li.has_dyn_sized_stack, 0
	.set _ZL37rocblas_syrkx_herkx_restricted_kernelIl19rocblas_complex_numIfELi16ELi32ELi8ELin1ELi0ELb1ELc78ELc85EKPKS1_KPS1_EviT_PT9_S7_lS9_S7_lPT10_S7_li.has_recursion, 0
	.set _ZL37rocblas_syrkx_herkx_restricted_kernelIl19rocblas_complex_numIfELi16ELi32ELi8ELin1ELi0ELb1ELc78ELc85EKPKS1_KPS1_EviT_PT9_S7_lS9_S7_lPT10_S7_li.has_indirect_call, 0
	.section	.AMDGPU.csdata,"",@progbits
; Kernel info:
; codeLenInByte = 2104
; TotalNumSgprs: 26
; NumVgprs: 43
; ScratchSize: 0
; MemoryBound: 0
; FloatMode: 240
; IeeeMode: 1
; LDSByteSize: 4096 bytes/workgroup (compile time only)
; SGPRBlocks: 3
; VGPRBlocks: 10
; NumSGPRsForWavesPerEU: 26
; NumVGPRsForWavesPerEU: 43
; Occupancy: 5
; WaveLimiterHint : 1
; COMPUTE_PGM_RSRC2:SCRATCH_EN: 0
; COMPUTE_PGM_RSRC2:USER_SGPR: 6
; COMPUTE_PGM_RSRC2:TRAP_HANDLER: 0
; COMPUTE_PGM_RSRC2:TGID_X_EN: 1
; COMPUTE_PGM_RSRC2:TGID_Y_EN: 1
; COMPUTE_PGM_RSRC2:TGID_Z_EN: 1
; COMPUTE_PGM_RSRC2:TIDIG_COMP_CNT: 1
	.section	.text._ZL37rocblas_syrkx_herkx_restricted_kernelIl19rocblas_complex_numIfELi16ELi32ELi8ELb1ELb1ELc84ELc76EKPKS1_KPS1_EviT_T0_PT8_S7_lSA_S7_lS8_PT9_S7_li,"axG",@progbits,_ZL37rocblas_syrkx_herkx_restricted_kernelIl19rocblas_complex_numIfELi16ELi32ELi8ELb1ELb1ELc84ELc76EKPKS1_KPS1_EviT_T0_PT8_S7_lSA_S7_lS8_PT9_S7_li,comdat
	.globl	_ZL37rocblas_syrkx_herkx_restricted_kernelIl19rocblas_complex_numIfELi16ELi32ELi8ELb1ELb1ELc84ELc76EKPKS1_KPS1_EviT_T0_PT8_S7_lSA_S7_lS8_PT9_S7_li ; -- Begin function _ZL37rocblas_syrkx_herkx_restricted_kernelIl19rocblas_complex_numIfELi16ELi32ELi8ELb1ELb1ELc84ELc76EKPKS1_KPS1_EviT_T0_PT8_S7_lSA_S7_lS8_PT9_S7_li
	.p2align	8
	.type	_ZL37rocblas_syrkx_herkx_restricted_kernelIl19rocblas_complex_numIfELi16ELi32ELi8ELb1ELb1ELc84ELc76EKPKS1_KPS1_EviT_T0_PT8_S7_lSA_S7_lS8_PT9_S7_li,@function
_ZL37rocblas_syrkx_herkx_restricted_kernelIl19rocblas_complex_numIfELi16ELi32ELi8ELb1ELb1ELc84ELc76EKPKS1_KPS1_EviT_T0_PT8_S7_lSA_S7_lS8_PT9_S7_li: ; @_ZL37rocblas_syrkx_herkx_restricted_kernelIl19rocblas_complex_numIfELi16ELi32ELi8ELb1ELb1ELc84ELc76EKPKS1_KPS1_EviT_T0_PT8_S7_lSA_S7_lS8_PT9_S7_li
; %bb.0:
	s_load_dwordx4 s[20:23], s[4:5], 0x50
	s_load_dwordx8 s[12:19], s[4:5], 0x8
	s_mov_b32 s9, 0
	s_lshl_b64 s[0:1], s[8:9], 3
	s_waitcnt lgkmcnt(0)
	s_add_u32 s2, s20, s0
	s_addc_u32 s3, s21, s1
	s_load_dwordx2 s[8:9], s[2:3], 0x0
	v_cmp_lt_i64_e64 s[10:11], s[12:13], 1
	s_lshl_b32 s2, s6, 5
	s_lshl_b32 s3, s7, 5
	s_and_b64 vcc, exec, s[10:11]
	s_cbranch_vccnz .LBB1720_3
; %bb.1:
	s_load_dwordx4 s[24:27], s[4:5], 0x30
	v_lshl_add_u32 v5, v1, 4, v0
	v_lshrrev_b32_e32 v6, 3, v5
	v_add_u32_e32 v2, s3, v6
	v_and_b32_e32 v9, 7, v0
	v_ashrrev_i32_e32 v3, 31, v2
	v_mov_b32_e32 v10, 0
	s_waitcnt lgkmcnt(0)
	v_mul_lo_u32 v7, s26, v3
	v_mul_lo_u32 v8, s27, v2
	v_mad_u64_u32 v[2:3], s[10:11], s26, v2, v[9:10]
	v_and_b32_e32 v13, 31, v5
	v_lshrrev_b32_e32 v4, 5, v5
	v_add3_u32 v3, v8, v3, v7
	v_lshlrev_b32_e32 v7, 3, v13
	v_lshl_or_b32 v11, v4, 8, v7
	v_lshlrev_b32_e32 v7, 3, v9
	v_lshl_or_b32 v6, v6, 6, v7
	v_add_u32_e32 v12, 0x800, v6
	v_add_u32_e32 v6, s2, v13
	v_mov_b32_e32 v5, v10
	v_ashrrev_i32_e32 v7, 31, v6
	s_add_u32 s6, s16, s0
	v_mul_lo_u32 v7, s18, v7
	v_mad_u64_u32 v[4:5], s[10:11], s18, v6, v[4:5]
	v_mul_lo_u32 v6, s19, v6
	s_addc_u32 s7, s17, s1
	s_load_dwordx2 s[6:7], s[6:7], 0x0
	s_add_u32 s0, s24, s0
	s_addc_u32 s1, s25, s1
	s_load_dwordx2 s[0:1], s[0:1], 0x0
	v_add3_u32 v5, v6, v5, v7
	v_lshlrev_b64 v[4:5], 3, v[4:5]
	s_waitcnt lgkmcnt(0)
	v_mov_b32_e32 v7, s7
	v_add_co_u32_e32 v6, vcc, s6, v4
	v_lshlrev_b64 v[2:3], 3, v[2:3]
	v_mov_b32_e32 v8, 0x800
	v_addc_co_u32_e32 v7, vcc, v7, v5, vcc
	v_lshl_add_u32 v14, v1, 6, v8
	v_mov_b32_e32 v4, s1
	v_add_co_u32_e32 v8, vcc, s0, v2
	v_lshlrev_b32_e32 v13, 3, v0
	v_addc_co_u32_e32 v9, vcc, v4, v3, vcc
	s_mov_b64 s[0:1], 0
	v_mov_b32_e32 v15, v10
	v_mov_b32_e32 v17, v10
	;; [unrolled: 1-line block ×7, first 2 shown]
.LBB1720_2:                             ; =>This Inner Loop Header: Depth=1
	flat_load_dwordx2 v[2:3], v[6:7]
	s_add_u32 s0, s0, 8
	v_add_co_u32_e32 v6, vcc, 64, v6
	s_addc_u32 s1, s1, 0
	v_addc_co_u32_e32 v7, vcc, 0, v7, vcc
	s_waitcnt vmcnt(0) lgkmcnt(0)
	ds_write_b64 v11, v[2:3]
	flat_load_dwordx2 v[2:3], v[8:9]
	v_add_co_u32_e32 v8, vcc, 64, v8
	v_addc_co_u32_e32 v9, vcc, 0, v9, vcc
	s_waitcnt vmcnt(0) lgkmcnt(0)
	ds_write_b64 v12, v[2:3]
	s_waitcnt lgkmcnt(0)
	s_barrier
	ds_read_b128 v[22:25], v14
	ds_read_b128 v[26:29], v14 offset:16
	ds_read_b128 v[30:33], v14 offset:32
	;; [unrolled: 1-line block ×3, first 2 shown]
	ds_read2_b64 v[34:37], v13 offset1:16
	s_waitcnt lgkmcnt(0)
	v_mul_f32_e32 v38, v23, v35
	v_mul_f32_e32 v39, v22, v35
	v_fma_f32 v38, v22, v34, -v38
	v_fmac_f32_e32 v39, v23, v34
	v_add_f32_e32 v38, v20, v38
	v_add_f32_e32 v39, v21, v39
	v_mul_f32_e32 v20, v23, v37
	v_mul_f32_e32 v21, v22, v37
	v_fma_f32 v20, v22, v36, -v20
	v_fmac_f32_e32 v21, v23, v36
	v_add_f32_e32 v22, v18, v20
	v_add_f32_e32 v23, v19, v21
	ds_read_b128 v[18:21], v14 offset:1024
	s_waitcnt lgkmcnt(0)
	v_mul_f32_e32 v40, v19, v35
	v_mul_f32_e32 v35, v18, v35
	v_fma_f32 v40, v18, v34, -v40
	v_fmac_f32_e32 v35, v19, v34
	v_add_f32_e32 v34, v16, v40
	v_add_f32_e32 v35, v17, v35
	v_mul_f32_e32 v16, v19, v37
	v_mul_f32_e32 v17, v18, v37
	v_fma_f32 v16, v18, v36, -v16
	v_fmac_f32_e32 v17, v19, v36
	v_add_f32_e32 v19, v15, v16
	v_add_f32_e32 v10, v10, v17
	ds_read2_b64 v[15:18], v13 offset0:32 offset1:48
	s_waitcnt lgkmcnt(0)
	v_mul_f32_e32 v36, v25, v16
	v_fma_f32 v36, v24, v15, -v36
	v_add_f32_e32 v36, v38, v36
	v_mul_f32_e32 v38, v25, v18
	v_mul_f32_e32 v37, v24, v16
	v_fma_f32 v38, v24, v17, -v38
	v_mul_f32_e32 v24, v24, v18
	v_fmac_f32_e32 v24, v25, v17
	v_add_f32_e32 v23, v23, v24
	v_mul_f32_e32 v24, v21, v16
	v_mul_f32_e32 v16, v20, v16
	v_fmac_f32_e32 v16, v21, v15
	v_fmac_f32_e32 v37, v25, v15
	v_fma_f32 v24, v20, v15, -v24
	v_add_f32_e32 v25, v35, v16
	v_mul_f32_e32 v15, v21, v18
	v_mul_f32_e32 v16, v20, v18
	v_fma_f32 v15, v20, v17, -v15
	v_fmac_f32_e32 v16, v21, v17
	v_add_f32_e32 v24, v34, v24
	v_add_f32_e32 v34, v19, v15
	;; [unrolled: 1-line block ×3, first 2 shown]
	ds_read2_b64 v[15:18], v13 offset0:64 offset1:80
	v_add_f32_e32 v37, v39, v37
	v_add_f32_e32 v22, v22, v38
	s_waitcnt lgkmcnt(0)
	v_mul_f32_e32 v19, v27, v16
	v_mul_f32_e32 v20, v26, v16
	v_fma_f32 v19, v26, v15, -v19
	v_fmac_f32_e32 v20, v27, v15
	v_add_f32_e32 v35, v36, v19
	v_add_f32_e32 v36, v37, v20
	v_mul_f32_e32 v19, v27, v18
	v_mul_f32_e32 v20, v26, v18
	v_fma_f32 v19, v26, v17, -v19
	v_fmac_f32_e32 v20, v27, v17
	v_add_f32_e32 v26, v22, v19
	v_add_f32_e32 v23, v23, v20
	ds_read_b128 v[19:22], v14 offset:1040
	s_waitcnt lgkmcnt(0)
	v_mul_f32_e32 v27, v20, v16
	v_mul_f32_e32 v16, v19, v16
	v_fmac_f32_e32 v16, v20, v15
	v_fma_f32 v27, v19, v15, -v27
	v_add_f32_e32 v25, v25, v16
	v_mul_f32_e32 v15, v20, v18
	v_mul_f32_e32 v16, v19, v18
	v_fma_f32 v15, v19, v17, -v15
	v_fmac_f32_e32 v16, v20, v17
	v_add_f32_e32 v19, v34, v15
	v_add_f32_e32 v10, v10, v16
	ds_read2_b64 v[15:18], v13 offset0:96 offset1:112
	v_add_f32_e32 v24, v24, v27
	s_waitcnt lgkmcnt(0)
	v_mul_f32_e32 v20, v29, v16
	v_mul_f32_e32 v34, v29, v18
	v_fma_f32 v20, v28, v15, -v20
	v_mul_f32_e32 v27, v28, v16
	v_fma_f32 v34, v28, v17, -v34
	v_mul_f32_e32 v28, v28, v18
	v_fmac_f32_e32 v28, v29, v17
	v_add_f32_e32 v23, v23, v28
	v_mul_f32_e32 v28, v22, v16
	v_mul_f32_e32 v16, v21, v16
	v_fmac_f32_e32 v16, v22, v15
	v_fmac_f32_e32 v27, v29, v15
	v_fma_f32 v28, v21, v15, -v28
	v_add_f32_e32 v25, v25, v16
	v_mul_f32_e32 v15, v22, v18
	v_mul_f32_e32 v16, v21, v18
	v_fma_f32 v15, v21, v17, -v15
	v_fmac_f32_e32 v16, v22, v17
	v_add_f32_e32 v24, v24, v28
	v_add_f32_e32 v28, v19, v15
	;; [unrolled: 1-line block ×3, first 2 shown]
	ds_read2_b64 v[15:18], v13 offset0:128 offset1:144
	v_add_f32_e32 v20, v35, v20
	v_add_f32_e32 v27, v36, v27
	;; [unrolled: 1-line block ×3, first 2 shown]
	s_waitcnt lgkmcnt(0)
	v_mul_f32_e32 v19, v31, v16
	v_fma_f32 v19, v30, v15, -v19
	v_mul_f32_e32 v21, v30, v16
	v_add_f32_e32 v29, v20, v19
	v_mul_f32_e32 v19, v31, v18
	v_mul_f32_e32 v20, v30, v18
	v_fmac_f32_e32 v21, v31, v15
	v_fma_f32 v19, v30, v17, -v19
	v_fmac_f32_e32 v20, v31, v17
	v_add_f32_e32 v27, v27, v21
	v_add_f32_e32 v26, v26, v19
	;; [unrolled: 1-line block ×3, first 2 shown]
	ds_read_b128 v[19:22], v14 offset:1056
	s_waitcnt lgkmcnt(0)
	v_mul_f32_e32 v30, v20, v16
	v_mul_f32_e32 v16, v19, v16
	v_fmac_f32_e32 v16, v20, v15
	v_fma_f32 v30, v19, v15, -v30
	v_add_f32_e32 v25, v25, v16
	v_mul_f32_e32 v15, v20, v18
	v_mul_f32_e32 v16, v19, v18
	v_fma_f32 v15, v19, v17, -v15
	v_fmac_f32_e32 v16, v20, v17
	v_add_f32_e32 v19, v28, v15
	v_add_f32_e32 v10, v10, v16
	ds_read2_b64 v[15:18], v13 offset0:160 offset1:176
	v_add_f32_e32 v24, v24, v30
	s_waitcnt lgkmcnt(0)
	v_mul_f32_e32 v28, v32, v16
	v_fmac_f32_e32 v28, v33, v15
	v_add_f32_e32 v27, v27, v28
	v_mul_f32_e32 v28, v33, v18
	v_fma_f32 v28, v32, v17, -v28
	v_mul_f32_e32 v20, v33, v16
	v_add_f32_e32 v26, v26, v28
	v_mul_f32_e32 v28, v22, v16
	v_mul_f32_e32 v16, v21, v16
	v_fmac_f32_e32 v16, v22, v15
	v_fma_f32 v20, v32, v15, -v20
	v_fma_f32 v28, v21, v15, -v28
	v_add_f32_e32 v25, v25, v16
	v_mul_f32_e32 v15, v22, v18
	v_mul_f32_e32 v16, v21, v18
	v_add_f32_e32 v20, v29, v20
	v_mul_f32_e32 v29, v32, v18
	v_fma_f32 v15, v21, v17, -v15
	v_fmac_f32_e32 v16, v22, v17
	v_fmac_f32_e32 v29, v33, v17
	v_add_f32_e32 v19, v19, v15
	v_add_f32_e32 v10, v10, v16
	ds_read2_b64 v[15:18], v13 offset0:192 offset1:208
	v_add_f32_e32 v24, v24, v28
	v_add_f32_e32 v23, v23, v29
	s_waitcnt lgkmcnt(0)
	v_mul_f32_e32 v21, v3, v16
	v_fma_f32 v21, v2, v15, -v21
	v_add_f32_e32 v28, v20, v21
	v_mul_f32_e32 v20, v3, v18
	v_mul_f32_e32 v22, v2, v16
	v_fma_f32 v20, v2, v17, -v20
	v_mul_f32_e32 v2, v2, v18
	v_fmac_f32_e32 v22, v3, v15
	v_fmac_f32_e32 v2, v3, v17
	v_add_f32_e32 v29, v27, v22
	v_add_f32_e32 v3, v26, v20
	;; [unrolled: 1-line block ×3, first 2 shown]
	ds_read_b128 v[20:23], v14 offset:1072
	s_waitcnt lgkmcnt(0)
	v_mul_f32_e32 v26, v21, v16
	v_mul_f32_e32 v16, v20, v16
	v_fma_f32 v26, v20, v15, -v26
	v_fmac_f32_e32 v16, v21, v15
	v_add_f32_e32 v15, v24, v26
	v_add_f32_e32 v30, v25, v16
	ds_read2_b64 v[24:27], v13 offset0:224 offset1:240
	v_mul_f32_e32 v16, v21, v18
	v_fma_f32 v16, v20, v17, -v16
	v_add_f32_e32 v31, v19, v16
	v_mul_f32_e32 v18, v20, v18
	s_waitcnt lgkmcnt(0)
	v_mul_f32_e32 v16, v5, v25
	v_fma_f32 v16, v4, v24, -v16
	v_add_f32_e32 v20, v28, v16
	v_mul_f32_e32 v16, v5, v27
	v_fmac_f32_e32 v18, v21, v17
	v_mul_f32_e32 v17, v4, v25
	v_fma_f32 v16, v4, v26, -v16
	v_mul_f32_e32 v4, v4, v27
	v_fmac_f32_e32 v4, v5, v26
	v_add_f32_e32 v10, v10, v18
	v_add_f32_e32 v18, v3, v16
	;; [unrolled: 1-line block ×3, first 2 shown]
	v_mul_f32_e32 v2, v23, v25
	v_mul_f32_e32 v3, v22, v25
	v_fmac_f32_e32 v17, v5, v24
	v_fma_f32 v2, v22, v24, -v2
	v_fmac_f32_e32 v3, v23, v24
	v_add_f32_e32 v21, v29, v17
	v_add_f32_e32 v16, v15, v2
	;; [unrolled: 1-line block ×3, first 2 shown]
	v_mul_f32_e32 v2, v23, v27
	v_mul_f32_e32 v3, v22, v27
	v_fma_f32 v2, v22, v26, -v2
	v_fmac_f32_e32 v3, v23, v26
	v_add_f32_e32 v15, v31, v2
	v_add_f32_e32 v10, v10, v3
	v_mov_b32_e32 v3, s1
	v_mov_b32_e32 v2, s0
	v_cmp_le_u64_e32 vcc, s[12:13], v[2:3]
	s_barrier
	s_cbranch_vccz .LBB1720_2
	s_branch .LBB1720_4
.LBB1720_3:
	v_mov_b32_e32 v20, 0
	v_mov_b32_e32 v21, 0
	;; [unrolled: 1-line block ×8, first 2 shown]
.LBB1720_4:
	v_add_u32_e32 v5, s3, v1
	v_ashrrev_i32_e32 v1, 31, v5
	v_mul_lo_u32 v3, s22, v1
	v_mul_lo_u32 v4, s23, v5
	v_mad_u64_u32 v[1:2], s[0:1], s22, v5, 0
	s_load_dword s4, s[4:5], 0x0
	v_add_u32_e32 v0, s2, v0
	v_add3_u32 v2, v2, v3, v4
	v_lshlrev_b64 v[1:2], 3, v[1:2]
	s_waitcnt lgkmcnt(0)
	v_mov_b32_e32 v3, s9
	v_add_co_u32_e32 v4, vcc, s8, v1
	v_addc_co_u32_e32 v6, vcc, v3, v2, vcc
	v_cmp_le_i32_e64 s[0:1], v5, v0
	v_cmp_gt_i32_e32 vcc, s4, v0
	s_and_b64 s[0:1], s[0:1], vcc
	s_and_saveexec_b64 s[2:3], s[0:1]
	s_cbranch_execz .LBB1720_7
; %bb.5:
	v_mul_f32_e32 v1, s15, v21
	v_fma_f32 v7, v20, s14, -v1
	v_ashrrev_i32_e32 v1, 31, v0
	v_lshlrev_b64 v[1:2], 3, v[0:1]
	v_mul_f32_e32 v8, s14, v21
	v_add_co_u32_e64 v1, s[0:1], v4, v1
	v_addc_co_u32_e64 v2, s[0:1], v6, v2, s[0:1]
	v_fmac_f32_e32 v8, s15, v20
	v_cmp_eq_u32_e64 s[0:1], v5, v0
	flat_store_dwordx2 v[1:2], v[7:8]
	s_and_b64 exec, exec, s[0:1]
	s_cbranch_execz .LBB1720_7
; %bb.6:
	v_mov_b32_e32 v3, 0
	flat_store_dword v[1:2], v3 offset:4
.LBB1720_7:
	s_or_b64 exec, exec, s[2:3]
	v_add_u32_e32 v2, 16, v0
	v_cmp_le_i32_e64 s[2:3], v5, v2
	v_cmp_gt_i32_e64 s[0:1], s4, v2
	s_and_b64 s[2:3], s[2:3], s[0:1]
	s_and_saveexec_b64 s[4:5], s[2:3]
	s_cbranch_execz .LBB1720_10
; %bb.8:
	v_ashrrev_i32_e32 v3, 31, v2
	v_lshlrev_b64 v[11:12], 3, v[2:3]
	v_mul_f32_e32 v1, s15, v19
	v_add_co_u32_e64 v3, s[2:3], v4, v11
	v_mul_f32_e32 v8, s14, v19
	v_addc_co_u32_e64 v4, s[2:3], v6, v12, s[2:3]
	v_fma_f32 v7, v18, s14, -v1
	v_fmac_f32_e32 v8, s15, v18
	v_cmp_eq_u32_e64 s[2:3], v5, v2
	flat_store_dwordx2 v[3:4], v[7:8]
	s_and_b64 exec, exec, s[2:3]
	s_cbranch_execz .LBB1720_10
; %bb.9:
	v_mov_b32_e32 v1, 0
	flat_store_dword v[3:4], v1 offset:4
.LBB1720_10:
	s_or_b64 exec, exec, s[4:5]
	v_add_u32_e32 v8, 16, v5
	v_ashrrev_i32_e32 v1, 31, v8
	v_mul_lo_u32 v6, s23, v8
	v_mad_u64_u32 v[3:4], s[2:3], s22, v8, 0
	v_mul_lo_u32 v1, s22, v1
	v_add3_u32 v4, v4, v1, v6
	v_lshlrev_b64 v[3:4], 3, v[3:4]
	v_mov_b32_e32 v1, s9
	v_add_co_u32_e64 v6, s[2:3], s8, v3
	v_addc_co_u32_e64 v7, s[2:3], v1, v4, s[2:3]
	v_cmp_le_i32_e64 s[2:3], v8, v0
	s_and_b64 s[4:5], s[2:3], vcc
	s_and_saveexec_b64 s[2:3], s[4:5]
	s_cbranch_execz .LBB1720_13
; %bb.11:
	v_mul_f32_e32 v1, s15, v17
	v_fma_f32 v11, v16, s14, -v1
	v_ashrrev_i32_e32 v1, 31, v0
	v_lshlrev_b64 v[3:4], 3, v[0:1]
	v_mul_f32_e32 v12, s14, v17
	v_add_co_u32_e32 v3, vcc, v6, v3
	v_addc_co_u32_e32 v4, vcc, v7, v4, vcc
	v_fmac_f32_e32 v12, s15, v16
	v_cmp_eq_u32_e32 vcc, v8, v0
	flat_store_dwordx2 v[3:4], v[11:12]
	s_and_b64 exec, exec, vcc
	s_cbranch_execz .LBB1720_13
; %bb.12:
	v_mov_b32_e32 v1, 0
	flat_store_dword v[3:4], v1 offset:4
.LBB1720_13:
	s_or_b64 exec, exec, s[2:3]
	v_cmp_le_i32_e32 vcc, v8, v2
	s_and_b64 s[0:1], vcc, s[0:1]
	s_and_saveexec_b64 s[2:3], s[0:1]
	s_cbranch_execz .LBB1720_16
; %bb.14:
	v_mul_f32_e32 v1, s15, v10
	v_ashrrev_i32_e32 v3, 31, v2
	v_fma_f32 v8, v15, s14, -v1
	v_lshlrev_b64 v[1:2], 3, v[2:3]
	v_mul_f32_e32 v9, s14, v10
	v_add_co_u32_e32 v1, vcc, v6, v1
	v_addc_co_u32_e32 v2, vcc, v7, v2, vcc
	v_fmac_f32_e32 v9, s15, v15
	v_cmp_eq_u32_e32 vcc, v5, v0
	flat_store_dwordx2 v[1:2], v[8:9]
	s_and_b64 exec, exec, vcc
	s_cbranch_execz .LBB1720_16
; %bb.15:
	v_mov_b32_e32 v0, 0
	flat_store_dword v[1:2], v0 offset:4
.LBB1720_16:
	s_endpgm
	.section	.rodata,"a",@progbits
	.p2align	6, 0x0
	.amdhsa_kernel _ZL37rocblas_syrkx_herkx_restricted_kernelIl19rocblas_complex_numIfELi16ELi32ELi8ELb1ELb1ELc84ELc76EKPKS1_KPS1_EviT_T0_PT8_S7_lSA_S7_lS8_PT9_S7_li
		.amdhsa_group_segment_fixed_size 4096
		.amdhsa_private_segment_fixed_size 0
		.amdhsa_kernarg_size 108
		.amdhsa_user_sgpr_count 6
		.amdhsa_user_sgpr_private_segment_buffer 1
		.amdhsa_user_sgpr_dispatch_ptr 0
		.amdhsa_user_sgpr_queue_ptr 0
		.amdhsa_user_sgpr_kernarg_segment_ptr 1
		.amdhsa_user_sgpr_dispatch_id 0
		.amdhsa_user_sgpr_flat_scratch_init 0
		.amdhsa_user_sgpr_private_segment_size 0
		.amdhsa_uses_dynamic_stack 0
		.amdhsa_system_sgpr_private_segment_wavefront_offset 0
		.amdhsa_system_sgpr_workgroup_id_x 1
		.amdhsa_system_sgpr_workgroup_id_y 1
		.amdhsa_system_sgpr_workgroup_id_z 1
		.amdhsa_system_sgpr_workgroup_info 0
		.amdhsa_system_vgpr_workitem_id 1
		.amdhsa_next_free_vgpr 41
		.amdhsa_next_free_sgpr 28
		.amdhsa_reserve_vcc 1
		.amdhsa_reserve_flat_scratch 0
		.amdhsa_float_round_mode_32 0
		.amdhsa_float_round_mode_16_64 0
		.amdhsa_float_denorm_mode_32 3
		.amdhsa_float_denorm_mode_16_64 3
		.amdhsa_dx10_clamp 1
		.amdhsa_ieee_mode 1
		.amdhsa_fp16_overflow 0
		.amdhsa_exception_fp_ieee_invalid_op 0
		.amdhsa_exception_fp_denorm_src 0
		.amdhsa_exception_fp_ieee_div_zero 0
		.amdhsa_exception_fp_ieee_overflow 0
		.amdhsa_exception_fp_ieee_underflow 0
		.amdhsa_exception_fp_ieee_inexact 0
		.amdhsa_exception_int_div_zero 0
	.end_amdhsa_kernel
	.section	.text._ZL37rocblas_syrkx_herkx_restricted_kernelIl19rocblas_complex_numIfELi16ELi32ELi8ELb1ELb1ELc84ELc76EKPKS1_KPS1_EviT_T0_PT8_S7_lSA_S7_lS8_PT9_S7_li,"axG",@progbits,_ZL37rocblas_syrkx_herkx_restricted_kernelIl19rocblas_complex_numIfELi16ELi32ELi8ELb1ELb1ELc84ELc76EKPKS1_KPS1_EviT_T0_PT8_S7_lSA_S7_lS8_PT9_S7_li,comdat
.Lfunc_end1720:
	.size	_ZL37rocblas_syrkx_herkx_restricted_kernelIl19rocblas_complex_numIfELi16ELi32ELi8ELb1ELb1ELc84ELc76EKPKS1_KPS1_EviT_T0_PT8_S7_lSA_S7_lS8_PT9_S7_li, .Lfunc_end1720-_ZL37rocblas_syrkx_herkx_restricted_kernelIl19rocblas_complex_numIfELi16ELi32ELi8ELb1ELb1ELc84ELc76EKPKS1_KPS1_EviT_T0_PT8_S7_lSA_S7_lS8_PT9_S7_li
                                        ; -- End function
	.set _ZL37rocblas_syrkx_herkx_restricted_kernelIl19rocblas_complex_numIfELi16ELi32ELi8ELb1ELb1ELc84ELc76EKPKS1_KPS1_EviT_T0_PT8_S7_lSA_S7_lS8_PT9_S7_li.num_vgpr, 41
	.set _ZL37rocblas_syrkx_herkx_restricted_kernelIl19rocblas_complex_numIfELi16ELi32ELi8ELb1ELb1ELc84ELc76EKPKS1_KPS1_EviT_T0_PT8_S7_lSA_S7_lS8_PT9_S7_li.num_agpr, 0
	.set _ZL37rocblas_syrkx_herkx_restricted_kernelIl19rocblas_complex_numIfELi16ELi32ELi8ELb1ELb1ELc84ELc76EKPKS1_KPS1_EviT_T0_PT8_S7_lSA_S7_lS8_PT9_S7_li.numbered_sgpr, 28
	.set _ZL37rocblas_syrkx_herkx_restricted_kernelIl19rocblas_complex_numIfELi16ELi32ELi8ELb1ELb1ELc84ELc76EKPKS1_KPS1_EviT_T0_PT8_S7_lSA_S7_lS8_PT9_S7_li.num_named_barrier, 0
	.set _ZL37rocblas_syrkx_herkx_restricted_kernelIl19rocblas_complex_numIfELi16ELi32ELi8ELb1ELb1ELc84ELc76EKPKS1_KPS1_EviT_T0_PT8_S7_lSA_S7_lS8_PT9_S7_li.private_seg_size, 0
	.set _ZL37rocblas_syrkx_herkx_restricted_kernelIl19rocblas_complex_numIfELi16ELi32ELi8ELb1ELb1ELc84ELc76EKPKS1_KPS1_EviT_T0_PT8_S7_lSA_S7_lS8_PT9_S7_li.uses_vcc, 1
	.set _ZL37rocblas_syrkx_herkx_restricted_kernelIl19rocblas_complex_numIfELi16ELi32ELi8ELb1ELb1ELc84ELc76EKPKS1_KPS1_EviT_T0_PT8_S7_lSA_S7_lS8_PT9_S7_li.uses_flat_scratch, 0
	.set _ZL37rocblas_syrkx_herkx_restricted_kernelIl19rocblas_complex_numIfELi16ELi32ELi8ELb1ELb1ELc84ELc76EKPKS1_KPS1_EviT_T0_PT8_S7_lSA_S7_lS8_PT9_S7_li.has_dyn_sized_stack, 0
	.set _ZL37rocblas_syrkx_herkx_restricted_kernelIl19rocblas_complex_numIfELi16ELi32ELi8ELb1ELb1ELc84ELc76EKPKS1_KPS1_EviT_T0_PT8_S7_lSA_S7_lS8_PT9_S7_li.has_recursion, 0
	.set _ZL37rocblas_syrkx_herkx_restricted_kernelIl19rocblas_complex_numIfELi16ELi32ELi8ELb1ELb1ELc84ELc76EKPKS1_KPS1_EviT_T0_PT8_S7_lSA_S7_lS8_PT9_S7_li.has_indirect_call, 0
	.section	.AMDGPU.csdata,"",@progbits
; Kernel info:
; codeLenInByte = 2116
; TotalNumSgprs: 32
; NumVgprs: 41
; ScratchSize: 0
; MemoryBound: 0
; FloatMode: 240
; IeeeMode: 1
; LDSByteSize: 4096 bytes/workgroup (compile time only)
; SGPRBlocks: 3
; VGPRBlocks: 10
; NumSGPRsForWavesPerEU: 32
; NumVGPRsForWavesPerEU: 41
; Occupancy: 5
; WaveLimiterHint : 1
; COMPUTE_PGM_RSRC2:SCRATCH_EN: 0
; COMPUTE_PGM_RSRC2:USER_SGPR: 6
; COMPUTE_PGM_RSRC2:TRAP_HANDLER: 0
; COMPUTE_PGM_RSRC2:TGID_X_EN: 1
; COMPUTE_PGM_RSRC2:TGID_Y_EN: 1
; COMPUTE_PGM_RSRC2:TGID_Z_EN: 1
; COMPUTE_PGM_RSRC2:TIDIG_COMP_CNT: 1
	.section	.text._ZL37rocblas_syrkx_herkx_restricted_kernelIl19rocblas_complex_numIfELi16ELi32ELi8ELb1ELb1ELc67ELc76EKPKS1_KPS1_EviT_T0_PT8_S7_lSA_S7_lS8_PT9_S7_li,"axG",@progbits,_ZL37rocblas_syrkx_herkx_restricted_kernelIl19rocblas_complex_numIfELi16ELi32ELi8ELb1ELb1ELc67ELc76EKPKS1_KPS1_EviT_T0_PT8_S7_lSA_S7_lS8_PT9_S7_li,comdat
	.globl	_ZL37rocblas_syrkx_herkx_restricted_kernelIl19rocblas_complex_numIfELi16ELi32ELi8ELb1ELb1ELc67ELc76EKPKS1_KPS1_EviT_T0_PT8_S7_lSA_S7_lS8_PT9_S7_li ; -- Begin function _ZL37rocblas_syrkx_herkx_restricted_kernelIl19rocblas_complex_numIfELi16ELi32ELi8ELb1ELb1ELc67ELc76EKPKS1_KPS1_EviT_T0_PT8_S7_lSA_S7_lS8_PT9_S7_li
	.p2align	8
	.type	_ZL37rocblas_syrkx_herkx_restricted_kernelIl19rocblas_complex_numIfELi16ELi32ELi8ELb1ELb1ELc67ELc76EKPKS1_KPS1_EviT_T0_PT8_S7_lSA_S7_lS8_PT9_S7_li,@function
_ZL37rocblas_syrkx_herkx_restricted_kernelIl19rocblas_complex_numIfELi16ELi32ELi8ELb1ELb1ELc67ELc76EKPKS1_KPS1_EviT_T0_PT8_S7_lSA_S7_lS8_PT9_S7_li: ; @_ZL37rocblas_syrkx_herkx_restricted_kernelIl19rocblas_complex_numIfELi16ELi32ELi8ELb1ELb1ELc67ELc76EKPKS1_KPS1_EviT_T0_PT8_S7_lSA_S7_lS8_PT9_S7_li
; %bb.0:
	s_load_dwordx4 s[20:23], s[4:5], 0x50
	s_load_dwordx8 s[12:19], s[4:5], 0x8
	s_mov_b32 s9, 0
	s_lshl_b64 s[0:1], s[8:9], 3
	s_waitcnt lgkmcnt(0)
	s_add_u32 s2, s20, s0
	s_addc_u32 s3, s21, s1
	s_load_dwordx2 s[8:9], s[2:3], 0x0
	v_cmp_lt_i64_e64 s[10:11], s[12:13], 1
	s_lshl_b32 s2, s6, 5
	s_lshl_b32 s3, s7, 5
	s_and_b64 vcc, exec, s[10:11]
	s_cbranch_vccnz .LBB1721_3
; %bb.1:
	s_load_dwordx4 s[24:27], s[4:5], 0x30
	v_lshl_add_u32 v5, v1, 4, v0
	v_lshrrev_b32_e32 v6, 3, v5
	v_add_u32_e32 v2, s3, v6
	v_and_b32_e32 v9, 7, v0
	v_ashrrev_i32_e32 v3, 31, v2
	v_mov_b32_e32 v10, 0
	s_waitcnt lgkmcnt(0)
	v_mul_lo_u32 v7, s26, v3
	v_mul_lo_u32 v8, s27, v2
	v_mad_u64_u32 v[2:3], s[10:11], s26, v2, v[9:10]
	v_and_b32_e32 v13, 31, v5
	v_lshrrev_b32_e32 v4, 5, v5
	v_add3_u32 v3, v8, v3, v7
	v_lshlrev_b32_e32 v7, 3, v13
	v_lshl_or_b32 v11, v4, 8, v7
	v_lshlrev_b32_e32 v7, 3, v9
	v_lshl_or_b32 v6, v6, 6, v7
	v_add_u32_e32 v12, 0x800, v6
	v_add_u32_e32 v6, s2, v13
	v_mov_b32_e32 v5, v10
	v_ashrrev_i32_e32 v7, 31, v6
	s_add_u32 s6, s16, s0
	v_mul_lo_u32 v7, s18, v7
	v_mad_u64_u32 v[4:5], s[10:11], s18, v6, v[4:5]
	v_mul_lo_u32 v6, s19, v6
	s_addc_u32 s7, s17, s1
	s_load_dwordx2 s[6:7], s[6:7], 0x0
	s_add_u32 s0, s24, s0
	s_addc_u32 s1, s25, s1
	s_load_dwordx2 s[0:1], s[0:1], 0x0
	v_add3_u32 v5, v6, v5, v7
	v_lshlrev_b64 v[4:5], 3, v[4:5]
	s_waitcnt lgkmcnt(0)
	v_mov_b32_e32 v7, s7
	v_add_co_u32_e32 v6, vcc, s6, v4
	v_lshlrev_b64 v[2:3], 3, v[2:3]
	v_mov_b32_e32 v8, 0x800
	v_addc_co_u32_e32 v7, vcc, v7, v5, vcc
	v_lshl_add_u32 v14, v1, 6, v8
	v_mov_b32_e32 v4, s1
	v_add_co_u32_e32 v8, vcc, s0, v2
	v_lshlrev_b32_e32 v13, 3, v0
	v_addc_co_u32_e32 v9, vcc, v4, v3, vcc
	s_mov_b64 s[0:1], 0
	v_mov_b32_e32 v15, v10
	v_mov_b32_e32 v17, v10
	;; [unrolled: 1-line block ×7, first 2 shown]
.LBB1721_2:                             ; =>This Inner Loop Header: Depth=1
	flat_load_dwordx2 v[2:3], v[6:7]
	v_add_co_u32_e32 v6, vcc, 64, v6
	s_add_u32 s0, s0, 8
	v_addc_co_u32_e32 v7, vcc, 0, v7, vcc
	s_addc_u32 s1, s1, 0
	s_waitcnt vmcnt(0) lgkmcnt(0)
	v_xor_b32_e32 v3, 0x80000000, v3
	ds_write_b64 v11, v[2:3]
	flat_load_dwordx2 v[2:3], v[8:9]
	v_add_co_u32_e32 v8, vcc, 64, v8
	v_addc_co_u32_e32 v9, vcc, 0, v9, vcc
	s_waitcnt vmcnt(0) lgkmcnt(0)
	ds_write_b64 v12, v[2:3]
	s_waitcnt lgkmcnt(0)
	s_barrier
	ds_read_b128 v[22:25], v14
	ds_read_b128 v[26:29], v14 offset:16
	ds_read_b128 v[30:33], v14 offset:32
	;; [unrolled: 1-line block ×3, first 2 shown]
	ds_read2_b64 v[34:37], v13 offset1:16
	s_waitcnt lgkmcnt(0)
	v_mul_f32_e32 v38, v23, v35
	v_mul_f32_e32 v39, v22, v35
	v_fma_f32 v38, v22, v34, -v38
	v_fmac_f32_e32 v39, v23, v34
	v_add_f32_e32 v38, v20, v38
	v_add_f32_e32 v39, v21, v39
	v_mul_f32_e32 v20, v23, v37
	v_mul_f32_e32 v21, v22, v37
	v_fma_f32 v20, v22, v36, -v20
	v_fmac_f32_e32 v21, v23, v36
	v_add_f32_e32 v22, v18, v20
	v_add_f32_e32 v23, v19, v21
	ds_read_b128 v[18:21], v14 offset:1024
	s_waitcnt lgkmcnt(0)
	v_mul_f32_e32 v40, v19, v35
	v_mul_f32_e32 v35, v18, v35
	v_fma_f32 v40, v18, v34, -v40
	v_fmac_f32_e32 v35, v19, v34
	v_add_f32_e32 v34, v16, v40
	v_add_f32_e32 v35, v17, v35
	v_mul_f32_e32 v16, v19, v37
	v_mul_f32_e32 v17, v18, v37
	v_fma_f32 v16, v18, v36, -v16
	v_fmac_f32_e32 v17, v19, v36
	v_add_f32_e32 v19, v15, v16
	v_add_f32_e32 v10, v10, v17
	ds_read2_b64 v[15:18], v13 offset0:32 offset1:48
	s_waitcnt lgkmcnt(0)
	v_mul_f32_e32 v36, v25, v16
	v_fma_f32 v36, v24, v15, -v36
	v_add_f32_e32 v36, v38, v36
	v_mul_f32_e32 v38, v25, v18
	v_mul_f32_e32 v37, v24, v16
	v_fma_f32 v38, v24, v17, -v38
	v_mul_f32_e32 v24, v24, v18
	v_fmac_f32_e32 v24, v25, v17
	v_add_f32_e32 v23, v23, v24
	v_mul_f32_e32 v24, v21, v16
	v_mul_f32_e32 v16, v20, v16
	v_fmac_f32_e32 v16, v21, v15
	v_fmac_f32_e32 v37, v25, v15
	v_fma_f32 v24, v20, v15, -v24
	v_add_f32_e32 v25, v35, v16
	v_mul_f32_e32 v15, v21, v18
	v_mul_f32_e32 v16, v20, v18
	v_fma_f32 v15, v20, v17, -v15
	v_fmac_f32_e32 v16, v21, v17
	v_add_f32_e32 v24, v34, v24
	v_add_f32_e32 v34, v19, v15
	;; [unrolled: 1-line block ×3, first 2 shown]
	ds_read2_b64 v[15:18], v13 offset0:64 offset1:80
	v_add_f32_e32 v37, v39, v37
	v_add_f32_e32 v22, v22, v38
	s_waitcnt lgkmcnt(0)
	v_mul_f32_e32 v19, v27, v16
	v_mul_f32_e32 v20, v26, v16
	v_fma_f32 v19, v26, v15, -v19
	v_fmac_f32_e32 v20, v27, v15
	v_add_f32_e32 v35, v36, v19
	v_add_f32_e32 v36, v37, v20
	v_mul_f32_e32 v19, v27, v18
	v_mul_f32_e32 v20, v26, v18
	v_fma_f32 v19, v26, v17, -v19
	v_fmac_f32_e32 v20, v27, v17
	v_add_f32_e32 v26, v22, v19
	v_add_f32_e32 v23, v23, v20
	ds_read_b128 v[19:22], v14 offset:1040
	s_waitcnt lgkmcnt(0)
	v_mul_f32_e32 v27, v20, v16
	v_mul_f32_e32 v16, v19, v16
	v_fmac_f32_e32 v16, v20, v15
	v_fma_f32 v27, v19, v15, -v27
	v_add_f32_e32 v25, v25, v16
	v_mul_f32_e32 v15, v20, v18
	v_mul_f32_e32 v16, v19, v18
	v_fma_f32 v15, v19, v17, -v15
	v_fmac_f32_e32 v16, v20, v17
	v_add_f32_e32 v19, v34, v15
	v_add_f32_e32 v10, v10, v16
	ds_read2_b64 v[15:18], v13 offset0:96 offset1:112
	v_add_f32_e32 v24, v24, v27
	s_waitcnt lgkmcnt(0)
	v_mul_f32_e32 v20, v29, v16
	v_mul_f32_e32 v34, v29, v18
	v_fma_f32 v20, v28, v15, -v20
	v_mul_f32_e32 v27, v28, v16
	v_fma_f32 v34, v28, v17, -v34
	v_mul_f32_e32 v28, v28, v18
	v_fmac_f32_e32 v28, v29, v17
	v_add_f32_e32 v23, v23, v28
	v_mul_f32_e32 v28, v22, v16
	v_mul_f32_e32 v16, v21, v16
	v_fmac_f32_e32 v16, v22, v15
	v_fmac_f32_e32 v27, v29, v15
	v_fma_f32 v28, v21, v15, -v28
	v_add_f32_e32 v25, v25, v16
	v_mul_f32_e32 v15, v22, v18
	v_mul_f32_e32 v16, v21, v18
	v_fma_f32 v15, v21, v17, -v15
	v_fmac_f32_e32 v16, v22, v17
	v_add_f32_e32 v24, v24, v28
	v_add_f32_e32 v28, v19, v15
	;; [unrolled: 1-line block ×3, first 2 shown]
	ds_read2_b64 v[15:18], v13 offset0:128 offset1:144
	v_add_f32_e32 v20, v35, v20
	v_add_f32_e32 v27, v36, v27
	;; [unrolled: 1-line block ×3, first 2 shown]
	s_waitcnt lgkmcnt(0)
	v_mul_f32_e32 v19, v31, v16
	v_fma_f32 v19, v30, v15, -v19
	v_mul_f32_e32 v21, v30, v16
	v_add_f32_e32 v29, v20, v19
	v_mul_f32_e32 v19, v31, v18
	v_mul_f32_e32 v20, v30, v18
	v_fmac_f32_e32 v21, v31, v15
	v_fma_f32 v19, v30, v17, -v19
	v_fmac_f32_e32 v20, v31, v17
	v_add_f32_e32 v27, v27, v21
	v_add_f32_e32 v26, v26, v19
	;; [unrolled: 1-line block ×3, first 2 shown]
	ds_read_b128 v[19:22], v14 offset:1056
	s_waitcnt lgkmcnt(0)
	v_mul_f32_e32 v30, v20, v16
	v_mul_f32_e32 v16, v19, v16
	v_fmac_f32_e32 v16, v20, v15
	v_fma_f32 v30, v19, v15, -v30
	v_add_f32_e32 v25, v25, v16
	v_mul_f32_e32 v15, v20, v18
	v_mul_f32_e32 v16, v19, v18
	v_fma_f32 v15, v19, v17, -v15
	v_fmac_f32_e32 v16, v20, v17
	v_add_f32_e32 v19, v28, v15
	v_add_f32_e32 v10, v10, v16
	ds_read2_b64 v[15:18], v13 offset0:160 offset1:176
	v_add_f32_e32 v24, v24, v30
	s_waitcnt lgkmcnt(0)
	v_mul_f32_e32 v28, v32, v16
	v_fmac_f32_e32 v28, v33, v15
	v_add_f32_e32 v27, v27, v28
	v_mul_f32_e32 v28, v33, v18
	v_fma_f32 v28, v32, v17, -v28
	v_mul_f32_e32 v20, v33, v16
	v_add_f32_e32 v26, v26, v28
	v_mul_f32_e32 v28, v22, v16
	v_mul_f32_e32 v16, v21, v16
	v_fmac_f32_e32 v16, v22, v15
	v_fma_f32 v20, v32, v15, -v20
	v_fma_f32 v28, v21, v15, -v28
	v_add_f32_e32 v25, v25, v16
	v_mul_f32_e32 v15, v22, v18
	v_mul_f32_e32 v16, v21, v18
	v_add_f32_e32 v20, v29, v20
	v_mul_f32_e32 v29, v32, v18
	v_fma_f32 v15, v21, v17, -v15
	v_fmac_f32_e32 v16, v22, v17
	v_fmac_f32_e32 v29, v33, v17
	v_add_f32_e32 v19, v19, v15
	v_add_f32_e32 v10, v10, v16
	ds_read2_b64 v[15:18], v13 offset0:192 offset1:208
	v_add_f32_e32 v24, v24, v28
	v_add_f32_e32 v23, v23, v29
	s_waitcnt lgkmcnt(0)
	v_mul_f32_e32 v21, v3, v16
	v_fma_f32 v21, v2, v15, -v21
	v_add_f32_e32 v28, v20, v21
	v_mul_f32_e32 v20, v3, v18
	v_mul_f32_e32 v22, v2, v16
	v_fma_f32 v20, v2, v17, -v20
	v_mul_f32_e32 v2, v2, v18
	v_fmac_f32_e32 v22, v3, v15
	v_fmac_f32_e32 v2, v3, v17
	v_add_f32_e32 v29, v27, v22
	v_add_f32_e32 v3, v26, v20
	;; [unrolled: 1-line block ×3, first 2 shown]
	ds_read_b128 v[20:23], v14 offset:1072
	s_waitcnt lgkmcnt(0)
	v_mul_f32_e32 v26, v21, v16
	v_mul_f32_e32 v16, v20, v16
	v_fma_f32 v26, v20, v15, -v26
	v_fmac_f32_e32 v16, v21, v15
	v_add_f32_e32 v15, v24, v26
	v_add_f32_e32 v30, v25, v16
	ds_read2_b64 v[24:27], v13 offset0:224 offset1:240
	v_mul_f32_e32 v16, v21, v18
	v_fma_f32 v16, v20, v17, -v16
	v_add_f32_e32 v31, v19, v16
	v_mul_f32_e32 v18, v20, v18
	s_waitcnt lgkmcnt(0)
	v_mul_f32_e32 v16, v5, v25
	v_fma_f32 v16, v4, v24, -v16
	v_add_f32_e32 v20, v28, v16
	v_mul_f32_e32 v16, v5, v27
	v_fmac_f32_e32 v18, v21, v17
	v_mul_f32_e32 v17, v4, v25
	v_fma_f32 v16, v4, v26, -v16
	v_mul_f32_e32 v4, v4, v27
	v_fmac_f32_e32 v4, v5, v26
	v_add_f32_e32 v10, v10, v18
	v_add_f32_e32 v18, v3, v16
	;; [unrolled: 1-line block ×3, first 2 shown]
	v_mul_f32_e32 v2, v23, v25
	v_mul_f32_e32 v3, v22, v25
	v_fmac_f32_e32 v17, v5, v24
	v_fma_f32 v2, v22, v24, -v2
	v_fmac_f32_e32 v3, v23, v24
	v_add_f32_e32 v21, v29, v17
	v_add_f32_e32 v16, v15, v2
	;; [unrolled: 1-line block ×3, first 2 shown]
	v_mul_f32_e32 v2, v23, v27
	v_mul_f32_e32 v3, v22, v27
	v_fma_f32 v2, v22, v26, -v2
	v_fmac_f32_e32 v3, v23, v26
	v_add_f32_e32 v15, v31, v2
	v_add_f32_e32 v10, v10, v3
	v_mov_b32_e32 v3, s1
	v_mov_b32_e32 v2, s0
	v_cmp_le_u64_e32 vcc, s[12:13], v[2:3]
	s_barrier
	s_cbranch_vccz .LBB1721_2
	s_branch .LBB1721_4
.LBB1721_3:
	v_mov_b32_e32 v20, 0
	v_mov_b32_e32 v21, 0
	;; [unrolled: 1-line block ×8, first 2 shown]
.LBB1721_4:
	v_add_u32_e32 v5, s3, v1
	v_ashrrev_i32_e32 v1, 31, v5
	v_mul_lo_u32 v3, s22, v1
	v_mul_lo_u32 v4, s23, v5
	v_mad_u64_u32 v[1:2], s[0:1], s22, v5, 0
	s_load_dword s4, s[4:5], 0x0
	v_add_u32_e32 v0, s2, v0
	v_add3_u32 v2, v2, v3, v4
	v_lshlrev_b64 v[1:2], 3, v[1:2]
	s_waitcnt lgkmcnt(0)
	v_mov_b32_e32 v3, s9
	v_add_co_u32_e32 v4, vcc, s8, v1
	v_addc_co_u32_e32 v6, vcc, v3, v2, vcc
	v_cmp_le_i32_e64 s[0:1], v5, v0
	v_cmp_gt_i32_e32 vcc, s4, v0
	s_and_b64 s[0:1], s[0:1], vcc
	s_and_saveexec_b64 s[2:3], s[0:1]
	s_cbranch_execz .LBB1721_7
; %bb.5:
	v_mul_f32_e32 v1, s15, v21
	v_fma_f32 v7, v20, s14, -v1
	v_ashrrev_i32_e32 v1, 31, v0
	v_lshlrev_b64 v[1:2], 3, v[0:1]
	v_mul_f32_e32 v8, s14, v21
	v_add_co_u32_e64 v1, s[0:1], v4, v1
	v_addc_co_u32_e64 v2, s[0:1], v6, v2, s[0:1]
	v_fmac_f32_e32 v8, s15, v20
	v_cmp_eq_u32_e64 s[0:1], v5, v0
	flat_store_dwordx2 v[1:2], v[7:8]
	s_and_b64 exec, exec, s[0:1]
	s_cbranch_execz .LBB1721_7
; %bb.6:
	v_mov_b32_e32 v3, 0
	flat_store_dword v[1:2], v3 offset:4
.LBB1721_7:
	s_or_b64 exec, exec, s[2:3]
	v_add_u32_e32 v2, 16, v0
	v_cmp_le_i32_e64 s[2:3], v5, v2
	v_cmp_gt_i32_e64 s[0:1], s4, v2
	s_and_b64 s[2:3], s[2:3], s[0:1]
	s_and_saveexec_b64 s[4:5], s[2:3]
	s_cbranch_execz .LBB1721_10
; %bb.8:
	v_ashrrev_i32_e32 v3, 31, v2
	v_lshlrev_b64 v[11:12], 3, v[2:3]
	v_mul_f32_e32 v1, s15, v19
	v_add_co_u32_e64 v3, s[2:3], v4, v11
	v_mul_f32_e32 v8, s14, v19
	v_addc_co_u32_e64 v4, s[2:3], v6, v12, s[2:3]
	v_fma_f32 v7, v18, s14, -v1
	v_fmac_f32_e32 v8, s15, v18
	v_cmp_eq_u32_e64 s[2:3], v5, v2
	flat_store_dwordx2 v[3:4], v[7:8]
	s_and_b64 exec, exec, s[2:3]
	s_cbranch_execz .LBB1721_10
; %bb.9:
	v_mov_b32_e32 v1, 0
	flat_store_dword v[3:4], v1 offset:4
.LBB1721_10:
	s_or_b64 exec, exec, s[4:5]
	v_add_u32_e32 v8, 16, v5
	v_ashrrev_i32_e32 v1, 31, v8
	v_mul_lo_u32 v6, s23, v8
	v_mad_u64_u32 v[3:4], s[2:3], s22, v8, 0
	v_mul_lo_u32 v1, s22, v1
	v_add3_u32 v4, v4, v1, v6
	v_lshlrev_b64 v[3:4], 3, v[3:4]
	v_mov_b32_e32 v1, s9
	v_add_co_u32_e64 v6, s[2:3], s8, v3
	v_addc_co_u32_e64 v7, s[2:3], v1, v4, s[2:3]
	v_cmp_le_i32_e64 s[2:3], v8, v0
	s_and_b64 s[4:5], s[2:3], vcc
	s_and_saveexec_b64 s[2:3], s[4:5]
	s_cbranch_execz .LBB1721_13
; %bb.11:
	v_mul_f32_e32 v1, s15, v17
	v_fma_f32 v11, v16, s14, -v1
	v_ashrrev_i32_e32 v1, 31, v0
	v_lshlrev_b64 v[3:4], 3, v[0:1]
	v_mul_f32_e32 v12, s14, v17
	v_add_co_u32_e32 v3, vcc, v6, v3
	v_addc_co_u32_e32 v4, vcc, v7, v4, vcc
	v_fmac_f32_e32 v12, s15, v16
	v_cmp_eq_u32_e32 vcc, v8, v0
	flat_store_dwordx2 v[3:4], v[11:12]
	s_and_b64 exec, exec, vcc
	s_cbranch_execz .LBB1721_13
; %bb.12:
	v_mov_b32_e32 v1, 0
	flat_store_dword v[3:4], v1 offset:4
.LBB1721_13:
	s_or_b64 exec, exec, s[2:3]
	v_cmp_le_i32_e32 vcc, v8, v2
	s_and_b64 s[0:1], vcc, s[0:1]
	s_and_saveexec_b64 s[2:3], s[0:1]
	s_cbranch_execz .LBB1721_16
; %bb.14:
	v_mul_f32_e32 v1, s15, v10
	v_ashrrev_i32_e32 v3, 31, v2
	v_fma_f32 v8, v15, s14, -v1
	v_lshlrev_b64 v[1:2], 3, v[2:3]
	v_mul_f32_e32 v9, s14, v10
	v_add_co_u32_e32 v1, vcc, v6, v1
	v_addc_co_u32_e32 v2, vcc, v7, v2, vcc
	v_fmac_f32_e32 v9, s15, v15
	v_cmp_eq_u32_e32 vcc, v5, v0
	flat_store_dwordx2 v[1:2], v[8:9]
	s_and_b64 exec, exec, vcc
	s_cbranch_execz .LBB1721_16
; %bb.15:
	v_mov_b32_e32 v0, 0
	flat_store_dword v[1:2], v0 offset:4
.LBB1721_16:
	s_endpgm
	.section	.rodata,"a",@progbits
	.p2align	6, 0x0
	.amdhsa_kernel _ZL37rocblas_syrkx_herkx_restricted_kernelIl19rocblas_complex_numIfELi16ELi32ELi8ELb1ELb1ELc67ELc76EKPKS1_KPS1_EviT_T0_PT8_S7_lSA_S7_lS8_PT9_S7_li
		.amdhsa_group_segment_fixed_size 4096
		.amdhsa_private_segment_fixed_size 0
		.amdhsa_kernarg_size 108
		.amdhsa_user_sgpr_count 6
		.amdhsa_user_sgpr_private_segment_buffer 1
		.amdhsa_user_sgpr_dispatch_ptr 0
		.amdhsa_user_sgpr_queue_ptr 0
		.amdhsa_user_sgpr_kernarg_segment_ptr 1
		.amdhsa_user_sgpr_dispatch_id 0
		.amdhsa_user_sgpr_flat_scratch_init 0
		.amdhsa_user_sgpr_private_segment_size 0
		.amdhsa_uses_dynamic_stack 0
		.amdhsa_system_sgpr_private_segment_wavefront_offset 0
		.amdhsa_system_sgpr_workgroup_id_x 1
		.amdhsa_system_sgpr_workgroup_id_y 1
		.amdhsa_system_sgpr_workgroup_id_z 1
		.amdhsa_system_sgpr_workgroup_info 0
		.amdhsa_system_vgpr_workitem_id 1
		.amdhsa_next_free_vgpr 41
		.amdhsa_next_free_sgpr 28
		.amdhsa_reserve_vcc 1
		.amdhsa_reserve_flat_scratch 0
		.amdhsa_float_round_mode_32 0
		.amdhsa_float_round_mode_16_64 0
		.amdhsa_float_denorm_mode_32 3
		.amdhsa_float_denorm_mode_16_64 3
		.amdhsa_dx10_clamp 1
		.amdhsa_ieee_mode 1
		.amdhsa_fp16_overflow 0
		.amdhsa_exception_fp_ieee_invalid_op 0
		.amdhsa_exception_fp_denorm_src 0
		.amdhsa_exception_fp_ieee_div_zero 0
		.amdhsa_exception_fp_ieee_overflow 0
		.amdhsa_exception_fp_ieee_underflow 0
		.amdhsa_exception_fp_ieee_inexact 0
		.amdhsa_exception_int_div_zero 0
	.end_amdhsa_kernel
	.section	.text._ZL37rocblas_syrkx_herkx_restricted_kernelIl19rocblas_complex_numIfELi16ELi32ELi8ELb1ELb1ELc67ELc76EKPKS1_KPS1_EviT_T0_PT8_S7_lSA_S7_lS8_PT9_S7_li,"axG",@progbits,_ZL37rocblas_syrkx_herkx_restricted_kernelIl19rocblas_complex_numIfELi16ELi32ELi8ELb1ELb1ELc67ELc76EKPKS1_KPS1_EviT_T0_PT8_S7_lSA_S7_lS8_PT9_S7_li,comdat
.Lfunc_end1721:
	.size	_ZL37rocblas_syrkx_herkx_restricted_kernelIl19rocblas_complex_numIfELi16ELi32ELi8ELb1ELb1ELc67ELc76EKPKS1_KPS1_EviT_T0_PT8_S7_lSA_S7_lS8_PT9_S7_li, .Lfunc_end1721-_ZL37rocblas_syrkx_herkx_restricted_kernelIl19rocblas_complex_numIfELi16ELi32ELi8ELb1ELb1ELc67ELc76EKPKS1_KPS1_EviT_T0_PT8_S7_lSA_S7_lS8_PT9_S7_li
                                        ; -- End function
	.set _ZL37rocblas_syrkx_herkx_restricted_kernelIl19rocblas_complex_numIfELi16ELi32ELi8ELb1ELb1ELc67ELc76EKPKS1_KPS1_EviT_T0_PT8_S7_lSA_S7_lS8_PT9_S7_li.num_vgpr, 41
	.set _ZL37rocblas_syrkx_herkx_restricted_kernelIl19rocblas_complex_numIfELi16ELi32ELi8ELb1ELb1ELc67ELc76EKPKS1_KPS1_EviT_T0_PT8_S7_lSA_S7_lS8_PT9_S7_li.num_agpr, 0
	.set _ZL37rocblas_syrkx_herkx_restricted_kernelIl19rocblas_complex_numIfELi16ELi32ELi8ELb1ELb1ELc67ELc76EKPKS1_KPS1_EviT_T0_PT8_S7_lSA_S7_lS8_PT9_S7_li.numbered_sgpr, 28
	.set _ZL37rocblas_syrkx_herkx_restricted_kernelIl19rocblas_complex_numIfELi16ELi32ELi8ELb1ELb1ELc67ELc76EKPKS1_KPS1_EviT_T0_PT8_S7_lSA_S7_lS8_PT9_S7_li.num_named_barrier, 0
	.set _ZL37rocblas_syrkx_herkx_restricted_kernelIl19rocblas_complex_numIfELi16ELi32ELi8ELb1ELb1ELc67ELc76EKPKS1_KPS1_EviT_T0_PT8_S7_lSA_S7_lS8_PT9_S7_li.private_seg_size, 0
	.set _ZL37rocblas_syrkx_herkx_restricted_kernelIl19rocblas_complex_numIfELi16ELi32ELi8ELb1ELb1ELc67ELc76EKPKS1_KPS1_EviT_T0_PT8_S7_lSA_S7_lS8_PT9_S7_li.uses_vcc, 1
	.set _ZL37rocblas_syrkx_herkx_restricted_kernelIl19rocblas_complex_numIfELi16ELi32ELi8ELb1ELb1ELc67ELc76EKPKS1_KPS1_EviT_T0_PT8_S7_lSA_S7_lS8_PT9_S7_li.uses_flat_scratch, 0
	.set _ZL37rocblas_syrkx_herkx_restricted_kernelIl19rocblas_complex_numIfELi16ELi32ELi8ELb1ELb1ELc67ELc76EKPKS1_KPS1_EviT_T0_PT8_S7_lSA_S7_lS8_PT9_S7_li.has_dyn_sized_stack, 0
	.set _ZL37rocblas_syrkx_herkx_restricted_kernelIl19rocblas_complex_numIfELi16ELi32ELi8ELb1ELb1ELc67ELc76EKPKS1_KPS1_EviT_T0_PT8_S7_lSA_S7_lS8_PT9_S7_li.has_recursion, 0
	.set _ZL37rocblas_syrkx_herkx_restricted_kernelIl19rocblas_complex_numIfELi16ELi32ELi8ELb1ELb1ELc67ELc76EKPKS1_KPS1_EviT_T0_PT8_S7_lSA_S7_lS8_PT9_S7_li.has_indirect_call, 0
	.section	.AMDGPU.csdata,"",@progbits
; Kernel info:
; codeLenInByte = 2124
; TotalNumSgprs: 32
; NumVgprs: 41
; ScratchSize: 0
; MemoryBound: 0
; FloatMode: 240
; IeeeMode: 1
; LDSByteSize: 4096 bytes/workgroup (compile time only)
; SGPRBlocks: 3
; VGPRBlocks: 10
; NumSGPRsForWavesPerEU: 32
; NumVGPRsForWavesPerEU: 41
; Occupancy: 5
; WaveLimiterHint : 1
; COMPUTE_PGM_RSRC2:SCRATCH_EN: 0
; COMPUTE_PGM_RSRC2:USER_SGPR: 6
; COMPUTE_PGM_RSRC2:TRAP_HANDLER: 0
; COMPUTE_PGM_RSRC2:TGID_X_EN: 1
; COMPUTE_PGM_RSRC2:TGID_Y_EN: 1
; COMPUTE_PGM_RSRC2:TGID_Z_EN: 1
; COMPUTE_PGM_RSRC2:TIDIG_COMP_CNT: 1
	.section	.text._ZL37rocblas_syrkx_herkx_restricted_kernelIl19rocblas_complex_numIfELi16ELi32ELi8ELb1ELb1ELc78ELc76EKPKS1_KPS1_EviT_T0_PT8_S7_lSA_S7_lS8_PT9_S7_li,"axG",@progbits,_ZL37rocblas_syrkx_herkx_restricted_kernelIl19rocblas_complex_numIfELi16ELi32ELi8ELb1ELb1ELc78ELc76EKPKS1_KPS1_EviT_T0_PT8_S7_lSA_S7_lS8_PT9_S7_li,comdat
	.globl	_ZL37rocblas_syrkx_herkx_restricted_kernelIl19rocblas_complex_numIfELi16ELi32ELi8ELb1ELb1ELc78ELc76EKPKS1_KPS1_EviT_T0_PT8_S7_lSA_S7_lS8_PT9_S7_li ; -- Begin function _ZL37rocblas_syrkx_herkx_restricted_kernelIl19rocblas_complex_numIfELi16ELi32ELi8ELb1ELb1ELc78ELc76EKPKS1_KPS1_EviT_T0_PT8_S7_lSA_S7_lS8_PT9_S7_li
	.p2align	8
	.type	_ZL37rocblas_syrkx_herkx_restricted_kernelIl19rocblas_complex_numIfELi16ELi32ELi8ELb1ELb1ELc78ELc76EKPKS1_KPS1_EviT_T0_PT8_S7_lSA_S7_lS8_PT9_S7_li,@function
_ZL37rocblas_syrkx_herkx_restricted_kernelIl19rocblas_complex_numIfELi16ELi32ELi8ELb1ELb1ELc78ELc76EKPKS1_KPS1_EviT_T0_PT8_S7_lSA_S7_lS8_PT9_S7_li: ; @_ZL37rocblas_syrkx_herkx_restricted_kernelIl19rocblas_complex_numIfELi16ELi32ELi8ELb1ELb1ELc78ELc76EKPKS1_KPS1_EviT_T0_PT8_S7_lSA_S7_lS8_PT9_S7_li
; %bb.0:
	s_load_dwordx4 s[20:23], s[4:5], 0x50
	s_load_dwordx8 s[12:19], s[4:5], 0x8
	s_mov_b32 s9, 0
	s_lshl_b64 s[10:11], s[8:9], 3
	s_waitcnt lgkmcnt(0)
	s_add_u32 s0, s20, s10
	s_addc_u32 s1, s21, s11
	s_load_dwordx2 s[8:9], s[0:1], 0x0
	v_cmp_lt_i64_e64 s[0:1], s[12:13], 1
	s_lshl_b32 s20, s6, 5
	s_lshl_b32 s21, s7, 5
	s_and_b64 vcc, exec, s[0:1]
	s_cbranch_vccnz .LBB1722_3
; %bb.1:
	s_load_dwordx4 s[0:3], s[4:5], 0x30
	v_lshl_add_u32 v5, v1, 4, v0
	v_lshrrev_b32_e32 v6, 3, v5
	v_add_u32_e32 v2, s21, v6
	s_add_u32 s6, s16, s10
	v_and_b32_e32 v7, 7, v0
	v_ashrrev_i32_e32 v3, 31, v2
	s_addc_u32 s7, s17, s11
	s_waitcnt lgkmcnt(0)
	v_mad_u64_u32 v[2:3], s[16:17], s2, v7, v[2:3]
	s_add_u32 s0, s0, s10
	s_addc_u32 s1, s1, s11
	v_mad_u64_u32 v[3:4], s[10:11], s3, v7, v[3:4]
	v_and_b32_e32 v4, 31, v5
	v_lshrrev_b32_e32 v8, 5, v5
	v_lshlrev_b32_e32 v5, 3, v4
	v_add_u32_e32 v4, s20, v4
	v_lshl_or_b32 v10, v8, 8, v5
	v_ashrrev_i32_e32 v5, 31, v4
	s_load_dwordx2 s[10:11], s[0:1], 0x0
	v_mad_u64_u32 v[4:5], s[0:1], s18, v8, v[4:5]
	v_lshlrev_b32_e32 v7, 3, v7
	v_lshl_or_b32 v6, v6, 6, v7
	v_add_u32_e32 v11, 0x800, v6
	v_mad_u64_u32 v[5:6], s[0:1], s19, v8, v[5:6]
	s_load_dwordx2 s[6:7], s[6:7], 0x0
	v_mov_b32_e32 v6, 0x800
	v_lshlrev_b64 v[4:5], 3, v[4:5]
	v_lshl_add_u32 v13, v1, 6, v6
	v_lshlrev_b64 v[2:3], 3, v[2:3]
	s_waitcnt lgkmcnt(0)
	v_mov_b32_e32 v7, s7
	v_add_co_u32_e32 v6, vcc, s6, v4
	v_addc_co_u32_e32 v7, vcc, v7, v5, vcc
	s_lshl_b64 s[0:1], s[18:19], 6
	v_mov_b32_e32 v4, s11
	v_add_co_u32_e32 v8, vcc, s10, v2
	s_lshl_b64 s[2:3], s[2:3], 6
	v_lshlrev_b32_e32 v12, 3, v0
	v_addc_co_u32_e32 v9, vcc, v4, v3, vcc
	v_mov_b32_e32 v16, 0
	s_mov_b64 s[6:7], 0
	v_mov_b32_e32 v14, s1
	v_mov_b32_e32 v15, s3
	;; [unrolled: 1-line block ×9, first 2 shown]
.LBB1722_2:                             ; =>This Inner Loop Header: Depth=1
	flat_load_dwordx2 v[2:3], v[6:7]
	v_add_co_u32_e32 v6, vcc, s0, v6
	s_add_u32 s6, s6, 8
	v_addc_co_u32_e32 v7, vcc, v7, v14, vcc
	s_addc_u32 s7, s7, 0
	s_waitcnt vmcnt(0) lgkmcnt(0)
	ds_write_b64 v10, v[2:3]
	flat_load_dwordx2 v[2:3], v[8:9]
	v_add_co_u32_e32 v8, vcc, s2, v8
	v_addc_co_u32_e32 v9, vcc, v9, v15, vcc
	s_waitcnt vmcnt(0) lgkmcnt(0)
	v_xor_b32_e32 v3, 0x80000000, v3
	ds_write_b64 v11, v[2:3]
	s_waitcnt lgkmcnt(0)
	s_barrier
	ds_read_b128 v[24:27], v13
	ds_read_b128 v[28:31], v13 offset:16
	ds_read_b128 v[32:35], v13 offset:32
	;; [unrolled: 1-line block ×3, first 2 shown]
	ds_read2_b64 v[36:39], v12 offset1:16
	s_waitcnt lgkmcnt(0)
	v_mul_f32_e32 v40, v25, v37
	v_mul_f32_e32 v41, v24, v37
	v_fma_f32 v40, v24, v36, -v40
	v_fmac_f32_e32 v41, v25, v36
	v_add_f32_e32 v40, v22, v40
	v_add_f32_e32 v41, v23, v41
	v_mul_f32_e32 v22, v25, v39
	v_mul_f32_e32 v23, v24, v39
	v_fma_f32 v22, v24, v38, -v22
	v_fmac_f32_e32 v23, v25, v38
	v_add_f32_e32 v24, v20, v22
	v_add_f32_e32 v25, v21, v23
	ds_read_b128 v[20:23], v13 offset:1024
	s_waitcnt lgkmcnt(0)
	v_mul_f32_e32 v42, v21, v37
	v_mul_f32_e32 v37, v20, v37
	v_fma_f32 v42, v20, v36, -v42
	v_fmac_f32_e32 v37, v21, v36
	v_add_f32_e32 v36, v18, v42
	v_add_f32_e32 v37, v19, v37
	v_mul_f32_e32 v18, v21, v39
	v_mul_f32_e32 v19, v20, v39
	v_fma_f32 v18, v20, v38, -v18
	v_fmac_f32_e32 v19, v21, v38
	v_add_f32_e32 v20, v17, v18
	v_add_f32_e32 v21, v16, v19
	ds_read2_b64 v[16:19], v12 offset0:32 offset1:48
	s_waitcnt lgkmcnt(0)
	v_mul_f32_e32 v38, v27, v17
	v_fma_f32 v38, v26, v16, -v38
	v_add_f32_e32 v38, v40, v38
	v_mul_f32_e32 v40, v27, v19
	v_mul_f32_e32 v39, v26, v17
	v_fma_f32 v40, v26, v18, -v40
	v_mul_f32_e32 v26, v26, v19
	v_fmac_f32_e32 v26, v27, v18
	v_add_f32_e32 v25, v25, v26
	v_mul_f32_e32 v26, v23, v17
	v_mul_f32_e32 v17, v22, v17
	v_fmac_f32_e32 v17, v23, v16
	v_fmac_f32_e32 v39, v27, v16
	v_fma_f32 v26, v22, v16, -v26
	v_add_f32_e32 v27, v37, v17
	v_mul_f32_e32 v16, v23, v19
	v_mul_f32_e32 v17, v22, v19
	v_fma_f32 v16, v22, v18, -v16
	v_fmac_f32_e32 v17, v23, v18
	v_add_f32_e32 v26, v36, v26
	v_add_f32_e32 v36, v20, v16
	;; [unrolled: 1-line block ×3, first 2 shown]
	ds_read2_b64 v[16:19], v12 offset0:64 offset1:80
	v_add_f32_e32 v39, v41, v39
	v_add_f32_e32 v24, v24, v40
	s_waitcnt lgkmcnt(0)
	v_mul_f32_e32 v20, v29, v17
	v_mul_f32_e32 v21, v28, v17
	v_fma_f32 v20, v28, v16, -v20
	v_fmac_f32_e32 v21, v29, v16
	v_add_f32_e32 v38, v38, v20
	v_add_f32_e32 v39, v39, v21
	v_mul_f32_e32 v20, v29, v19
	v_mul_f32_e32 v21, v28, v19
	v_fma_f32 v20, v28, v18, -v20
	v_fmac_f32_e32 v21, v29, v18
	v_add_f32_e32 v24, v24, v20
	v_add_f32_e32 v25, v25, v21
	ds_read_b128 v[20:23], v13 offset:1040
	s_waitcnt lgkmcnt(0)
	v_mul_f32_e32 v28, v21, v17
	v_mul_f32_e32 v17, v20, v17
	v_fmac_f32_e32 v17, v21, v16
	v_fma_f32 v28, v20, v16, -v28
	v_add_f32_e32 v27, v27, v17
	v_mul_f32_e32 v16, v21, v19
	v_mul_f32_e32 v17, v20, v19
	v_fma_f32 v16, v20, v18, -v16
	v_fmac_f32_e32 v17, v21, v18
	v_add_f32_e32 v20, v36, v16
	v_add_f32_e32 v21, v37, v17
	ds_read2_b64 v[16:19], v12 offset0:96 offset1:112
	v_add_f32_e32 v26, v26, v28
	s_waitcnt lgkmcnt(0)
	v_mul_f32_e32 v28, v31, v17
	v_mul_f32_e32 v36, v31, v19
	v_fma_f32 v28, v30, v16, -v28
	v_mul_f32_e32 v29, v30, v17
	v_fma_f32 v36, v30, v18, -v36
	v_mul_f32_e32 v30, v30, v19
	v_fmac_f32_e32 v30, v31, v18
	v_add_f32_e32 v25, v25, v30
	v_mul_f32_e32 v30, v23, v17
	v_mul_f32_e32 v17, v22, v17
	v_fmac_f32_e32 v17, v23, v16
	v_fmac_f32_e32 v29, v31, v16
	v_fma_f32 v30, v22, v16, -v30
	v_add_f32_e32 v27, v27, v17
	v_mul_f32_e32 v16, v23, v19
	v_mul_f32_e32 v17, v22, v19
	v_fma_f32 v16, v22, v18, -v16
	v_fmac_f32_e32 v17, v23, v18
	v_add_f32_e32 v26, v26, v30
	v_add_f32_e32 v30, v20, v16
	;; [unrolled: 1-line block ×3, first 2 shown]
	ds_read2_b64 v[16:19], v12 offset0:128 offset1:144
	v_add_f32_e32 v28, v38, v28
	v_add_f32_e32 v29, v39, v29
	;; [unrolled: 1-line block ×3, first 2 shown]
	s_waitcnt lgkmcnt(0)
	v_mul_f32_e32 v20, v33, v17
	v_mul_f32_e32 v21, v32, v17
	v_fma_f32 v20, v32, v16, -v20
	v_fmac_f32_e32 v21, v33, v16
	v_add_f32_e32 v28, v28, v20
	v_add_f32_e32 v29, v29, v21
	v_mul_f32_e32 v20, v33, v19
	v_mul_f32_e32 v21, v32, v19
	v_fma_f32 v20, v32, v18, -v20
	v_fmac_f32_e32 v21, v33, v18
	v_add_f32_e32 v24, v24, v20
	v_add_f32_e32 v25, v25, v21
	ds_read_b128 v[20:23], v13 offset:1056
	s_waitcnt lgkmcnt(0)
	v_mul_f32_e32 v32, v21, v17
	v_mul_f32_e32 v17, v20, v17
	v_fmac_f32_e32 v17, v21, v16
	v_fma_f32 v32, v20, v16, -v32
	v_add_f32_e32 v27, v27, v17
	v_mul_f32_e32 v16, v21, v19
	v_mul_f32_e32 v17, v20, v19
	v_fma_f32 v16, v20, v18, -v16
	v_fmac_f32_e32 v17, v21, v18
	v_add_f32_e32 v20, v30, v16
	v_add_f32_e32 v21, v31, v17
	ds_read2_b64 v[16:19], v12 offset0:160 offset1:176
	v_add_f32_e32 v26, v26, v32
	s_waitcnt lgkmcnt(0)
	v_mul_f32_e32 v30, v35, v17
	v_fma_f32 v30, v34, v16, -v30
	v_add_f32_e32 v28, v28, v30
	v_mul_f32_e32 v30, v35, v19
	v_fma_f32 v30, v34, v18, -v30
	v_mul_f32_e32 v31, v34, v17
	v_add_f32_e32 v24, v24, v30
	v_mul_f32_e32 v30, v23, v17
	v_mul_f32_e32 v17, v22, v17
	v_fmac_f32_e32 v17, v23, v16
	v_fmac_f32_e32 v31, v35, v16
	v_fma_f32 v30, v22, v16, -v30
	v_add_f32_e32 v27, v27, v17
	v_mul_f32_e32 v16, v23, v19
	v_mul_f32_e32 v17, v22, v19
	v_add_f32_e32 v29, v29, v31
	v_mul_f32_e32 v31, v34, v19
	v_fma_f32 v16, v22, v18, -v16
	v_fmac_f32_e32 v17, v23, v18
	v_fmac_f32_e32 v31, v35, v18
	v_add_f32_e32 v20, v20, v16
	v_add_f32_e32 v21, v21, v17
	ds_read2_b64 v[16:19], v12 offset0:192 offset1:208
	v_add_f32_e32 v26, v26, v30
	v_add_f32_e32 v25, v25, v31
	s_waitcnt lgkmcnt(0)
	v_mul_f32_e32 v22, v3, v17
	v_fma_f32 v22, v2, v16, -v22
	v_add_f32_e32 v30, v28, v22
	v_mul_f32_e32 v22, v3, v19
	v_mul_f32_e32 v23, v2, v17
	v_fma_f32 v22, v2, v18, -v22
	v_mul_f32_e32 v2, v2, v19
	v_fmac_f32_e32 v23, v3, v16
	v_fmac_f32_e32 v2, v3, v18
	v_add_f32_e32 v31, v29, v23
	v_add_f32_e32 v3, v24, v22
	;; [unrolled: 1-line block ×3, first 2 shown]
	ds_read_b128 v[22:25], v13 offset:1072
	s_waitcnt lgkmcnt(0)
	v_mul_f32_e32 v28, v23, v17
	v_fma_f32 v28, v22, v16, -v28
	v_mul_f32_e32 v17, v22, v17
	v_fmac_f32_e32 v17, v23, v16
	v_add_f32_e32 v16, v26, v28
	v_mul_f32_e32 v26, v23, v19
	v_fma_f32 v26, v22, v18, -v26
	v_add_f32_e32 v17, v27, v17
	v_add_f32_e32 v32, v20, v26
	ds_read2_b64 v[26:29], v12 offset0:224 offset1:240
	v_mul_f32_e32 v19, v22, v19
	v_fmac_f32_e32 v19, v23, v18
	v_add_f32_e32 v33, v21, v19
	s_waitcnt lgkmcnt(0)
	v_mul_f32_e32 v18, v5, v27
	v_fma_f32 v18, v4, v26, -v18
	v_add_f32_e32 v22, v30, v18
	v_mul_f32_e32 v18, v5, v29
	v_mul_f32_e32 v19, v4, v27
	v_fma_f32 v18, v4, v28, -v18
	v_mul_f32_e32 v4, v4, v29
	v_fmac_f32_e32 v4, v5, v28
	v_add_f32_e32 v20, v3, v18
	v_add_f32_e32 v21, v2, v4
	v_mul_f32_e32 v2, v25, v27
	v_mul_f32_e32 v3, v24, v27
	v_fmac_f32_e32 v19, v5, v26
	v_fma_f32 v2, v24, v26, -v2
	v_fmac_f32_e32 v3, v25, v26
	v_add_f32_e32 v23, v31, v19
	v_add_f32_e32 v18, v16, v2
	v_add_f32_e32 v19, v17, v3
	v_mul_f32_e32 v2, v25, v29
	v_mul_f32_e32 v3, v24, v29
	v_fma_f32 v2, v24, v28, -v2
	v_fmac_f32_e32 v3, v25, v28
	v_add_f32_e32 v17, v32, v2
	v_add_f32_e32 v16, v33, v3
	v_mov_b32_e32 v2, s6
	v_mov_b32_e32 v3, s7
	v_cmp_le_u64_e32 vcc, s[12:13], v[2:3]
	s_barrier
	s_cbranch_vccz .LBB1722_2
	s_branch .LBB1722_4
.LBB1722_3:
	v_mov_b32_e32 v22, 0
	v_mov_b32_e32 v23, 0
	;; [unrolled: 1-line block ×8, first 2 shown]
.LBB1722_4:
	v_add_u32_e32 v5, s21, v1
	v_ashrrev_i32_e32 v1, 31, v5
	v_mul_lo_u32 v3, s22, v1
	v_mul_lo_u32 v4, s23, v5
	v_mad_u64_u32 v[1:2], s[0:1], s22, v5, 0
	s_load_dword s4, s[4:5], 0x0
	v_add_u32_e32 v0, s20, v0
	v_add3_u32 v2, v2, v3, v4
	v_lshlrev_b64 v[1:2], 3, v[1:2]
	s_waitcnt lgkmcnt(0)
	v_mov_b32_e32 v3, s9
	v_add_co_u32_e32 v4, vcc, s8, v1
	v_addc_co_u32_e32 v6, vcc, v3, v2, vcc
	v_cmp_le_i32_e64 s[0:1], v5, v0
	v_cmp_gt_i32_e32 vcc, s4, v0
	s_and_b64 s[0:1], s[0:1], vcc
	s_and_saveexec_b64 s[2:3], s[0:1]
	s_cbranch_execz .LBB1722_7
; %bb.5:
	v_mul_f32_e32 v1, s15, v23
	v_fma_f32 v7, v22, s14, -v1
	v_ashrrev_i32_e32 v1, 31, v0
	v_lshlrev_b64 v[1:2], 3, v[0:1]
	v_mul_f32_e32 v8, s14, v23
	v_add_co_u32_e64 v1, s[0:1], v4, v1
	v_addc_co_u32_e64 v2, s[0:1], v6, v2, s[0:1]
	v_fmac_f32_e32 v8, s15, v22
	v_cmp_eq_u32_e64 s[0:1], v5, v0
	flat_store_dwordx2 v[1:2], v[7:8]
	s_and_b64 exec, exec, s[0:1]
	s_cbranch_execz .LBB1722_7
; %bb.6:
	v_mov_b32_e32 v3, 0
	flat_store_dword v[1:2], v3 offset:4
.LBB1722_7:
	s_or_b64 exec, exec, s[2:3]
	v_add_u32_e32 v2, 16, v0
	v_cmp_le_i32_e64 s[2:3], v5, v2
	v_cmp_gt_i32_e64 s[0:1], s4, v2
	s_and_b64 s[2:3], s[2:3], s[0:1]
	s_and_saveexec_b64 s[4:5], s[2:3]
	s_cbranch_execz .LBB1722_10
; %bb.8:
	v_ashrrev_i32_e32 v3, 31, v2
	v_lshlrev_b64 v[9:10], 3, v[2:3]
	v_mul_f32_e32 v1, s15, v21
	v_add_co_u32_e64 v3, s[2:3], v4, v9
	v_mul_f32_e32 v8, s14, v21
	v_addc_co_u32_e64 v4, s[2:3], v6, v10, s[2:3]
	v_fma_f32 v7, v20, s14, -v1
	v_fmac_f32_e32 v8, s15, v20
	v_cmp_eq_u32_e64 s[2:3], v5, v2
	flat_store_dwordx2 v[3:4], v[7:8]
	s_and_b64 exec, exec, s[2:3]
	s_cbranch_execz .LBB1722_10
; %bb.9:
	v_mov_b32_e32 v1, 0
	flat_store_dword v[3:4], v1 offset:4
.LBB1722_10:
	s_or_b64 exec, exec, s[4:5]
	v_add_u32_e32 v8, 16, v5
	v_ashrrev_i32_e32 v1, 31, v8
	v_mul_lo_u32 v6, s23, v8
	v_mad_u64_u32 v[3:4], s[2:3], s22, v8, 0
	v_mul_lo_u32 v1, s22, v1
	v_add3_u32 v4, v4, v1, v6
	v_lshlrev_b64 v[3:4], 3, v[3:4]
	v_mov_b32_e32 v1, s9
	v_add_co_u32_e64 v6, s[2:3], s8, v3
	v_addc_co_u32_e64 v7, s[2:3], v1, v4, s[2:3]
	v_cmp_le_i32_e64 s[2:3], v8, v0
	s_and_b64 s[4:5], s[2:3], vcc
	s_and_saveexec_b64 s[2:3], s[4:5]
	s_cbranch_execz .LBB1722_13
; %bb.11:
	v_mul_f32_e32 v1, s15, v19
	v_fma_f32 v9, v18, s14, -v1
	v_ashrrev_i32_e32 v1, 31, v0
	v_lshlrev_b64 v[3:4], 3, v[0:1]
	v_mul_f32_e32 v10, s14, v19
	v_add_co_u32_e32 v3, vcc, v6, v3
	v_addc_co_u32_e32 v4, vcc, v7, v4, vcc
	v_fmac_f32_e32 v10, s15, v18
	v_cmp_eq_u32_e32 vcc, v8, v0
	flat_store_dwordx2 v[3:4], v[9:10]
	s_and_b64 exec, exec, vcc
	s_cbranch_execz .LBB1722_13
; %bb.12:
	v_mov_b32_e32 v1, 0
	flat_store_dword v[3:4], v1 offset:4
.LBB1722_13:
	s_or_b64 exec, exec, s[2:3]
	v_cmp_le_i32_e32 vcc, v8, v2
	s_and_b64 s[0:1], vcc, s[0:1]
	s_and_saveexec_b64 s[2:3], s[0:1]
	s_cbranch_execz .LBB1722_16
; %bb.14:
	v_mul_f32_e32 v1, s15, v16
	v_ashrrev_i32_e32 v3, 31, v2
	v_fma_f32 v8, v17, s14, -v1
	v_lshlrev_b64 v[1:2], 3, v[2:3]
	v_mul_f32_e32 v9, s14, v16
	v_add_co_u32_e32 v1, vcc, v6, v1
	v_addc_co_u32_e32 v2, vcc, v7, v2, vcc
	v_fmac_f32_e32 v9, s15, v17
	v_cmp_eq_u32_e32 vcc, v5, v0
	flat_store_dwordx2 v[1:2], v[8:9]
	s_and_b64 exec, exec, vcc
	s_cbranch_execz .LBB1722_16
; %bb.15:
	v_mov_b32_e32 v0, 0
	flat_store_dword v[1:2], v0 offset:4
.LBB1722_16:
	s_endpgm
	.section	.rodata,"a",@progbits
	.p2align	6, 0x0
	.amdhsa_kernel _ZL37rocblas_syrkx_herkx_restricted_kernelIl19rocblas_complex_numIfELi16ELi32ELi8ELb1ELb1ELc78ELc76EKPKS1_KPS1_EviT_T0_PT8_S7_lSA_S7_lS8_PT9_S7_li
		.amdhsa_group_segment_fixed_size 4096
		.amdhsa_private_segment_fixed_size 0
		.amdhsa_kernarg_size 108
		.amdhsa_user_sgpr_count 6
		.amdhsa_user_sgpr_private_segment_buffer 1
		.amdhsa_user_sgpr_dispatch_ptr 0
		.amdhsa_user_sgpr_queue_ptr 0
		.amdhsa_user_sgpr_kernarg_segment_ptr 1
		.amdhsa_user_sgpr_dispatch_id 0
		.amdhsa_user_sgpr_flat_scratch_init 0
		.amdhsa_user_sgpr_private_segment_size 0
		.amdhsa_uses_dynamic_stack 0
		.amdhsa_system_sgpr_private_segment_wavefront_offset 0
		.amdhsa_system_sgpr_workgroup_id_x 1
		.amdhsa_system_sgpr_workgroup_id_y 1
		.amdhsa_system_sgpr_workgroup_id_z 1
		.amdhsa_system_sgpr_workgroup_info 0
		.amdhsa_system_vgpr_workitem_id 1
		.amdhsa_next_free_vgpr 43
		.amdhsa_next_free_sgpr 24
		.amdhsa_reserve_vcc 1
		.amdhsa_reserve_flat_scratch 0
		.amdhsa_float_round_mode_32 0
		.amdhsa_float_round_mode_16_64 0
		.amdhsa_float_denorm_mode_32 3
		.amdhsa_float_denorm_mode_16_64 3
		.amdhsa_dx10_clamp 1
		.amdhsa_ieee_mode 1
		.amdhsa_fp16_overflow 0
		.amdhsa_exception_fp_ieee_invalid_op 0
		.amdhsa_exception_fp_denorm_src 0
		.amdhsa_exception_fp_ieee_div_zero 0
		.amdhsa_exception_fp_ieee_overflow 0
		.amdhsa_exception_fp_ieee_underflow 0
		.amdhsa_exception_fp_ieee_inexact 0
		.amdhsa_exception_int_div_zero 0
	.end_amdhsa_kernel
	.section	.text._ZL37rocblas_syrkx_herkx_restricted_kernelIl19rocblas_complex_numIfELi16ELi32ELi8ELb1ELb1ELc78ELc76EKPKS1_KPS1_EviT_T0_PT8_S7_lSA_S7_lS8_PT9_S7_li,"axG",@progbits,_ZL37rocblas_syrkx_herkx_restricted_kernelIl19rocblas_complex_numIfELi16ELi32ELi8ELb1ELb1ELc78ELc76EKPKS1_KPS1_EviT_T0_PT8_S7_lSA_S7_lS8_PT9_S7_li,comdat
.Lfunc_end1722:
	.size	_ZL37rocblas_syrkx_herkx_restricted_kernelIl19rocblas_complex_numIfELi16ELi32ELi8ELb1ELb1ELc78ELc76EKPKS1_KPS1_EviT_T0_PT8_S7_lSA_S7_lS8_PT9_S7_li, .Lfunc_end1722-_ZL37rocblas_syrkx_herkx_restricted_kernelIl19rocblas_complex_numIfELi16ELi32ELi8ELb1ELb1ELc78ELc76EKPKS1_KPS1_EviT_T0_PT8_S7_lSA_S7_lS8_PT9_S7_li
                                        ; -- End function
	.set _ZL37rocblas_syrkx_herkx_restricted_kernelIl19rocblas_complex_numIfELi16ELi32ELi8ELb1ELb1ELc78ELc76EKPKS1_KPS1_EviT_T0_PT8_S7_lSA_S7_lS8_PT9_S7_li.num_vgpr, 43
	.set _ZL37rocblas_syrkx_herkx_restricted_kernelIl19rocblas_complex_numIfELi16ELi32ELi8ELb1ELb1ELc78ELc76EKPKS1_KPS1_EviT_T0_PT8_S7_lSA_S7_lS8_PT9_S7_li.num_agpr, 0
	.set _ZL37rocblas_syrkx_herkx_restricted_kernelIl19rocblas_complex_numIfELi16ELi32ELi8ELb1ELb1ELc78ELc76EKPKS1_KPS1_EviT_T0_PT8_S7_lSA_S7_lS8_PT9_S7_li.numbered_sgpr, 24
	.set _ZL37rocblas_syrkx_herkx_restricted_kernelIl19rocblas_complex_numIfELi16ELi32ELi8ELb1ELb1ELc78ELc76EKPKS1_KPS1_EviT_T0_PT8_S7_lSA_S7_lS8_PT9_S7_li.num_named_barrier, 0
	.set _ZL37rocblas_syrkx_herkx_restricted_kernelIl19rocblas_complex_numIfELi16ELi32ELi8ELb1ELb1ELc78ELc76EKPKS1_KPS1_EviT_T0_PT8_S7_lSA_S7_lS8_PT9_S7_li.private_seg_size, 0
	.set _ZL37rocblas_syrkx_herkx_restricted_kernelIl19rocblas_complex_numIfELi16ELi32ELi8ELb1ELb1ELc78ELc76EKPKS1_KPS1_EviT_T0_PT8_S7_lSA_S7_lS8_PT9_S7_li.uses_vcc, 1
	.set _ZL37rocblas_syrkx_herkx_restricted_kernelIl19rocblas_complex_numIfELi16ELi32ELi8ELb1ELb1ELc78ELc76EKPKS1_KPS1_EviT_T0_PT8_S7_lSA_S7_lS8_PT9_S7_li.uses_flat_scratch, 0
	.set _ZL37rocblas_syrkx_herkx_restricted_kernelIl19rocblas_complex_numIfELi16ELi32ELi8ELb1ELb1ELc78ELc76EKPKS1_KPS1_EviT_T0_PT8_S7_lSA_S7_lS8_PT9_S7_li.has_dyn_sized_stack, 0
	.set _ZL37rocblas_syrkx_herkx_restricted_kernelIl19rocblas_complex_numIfELi16ELi32ELi8ELb1ELb1ELc78ELc76EKPKS1_KPS1_EviT_T0_PT8_S7_lSA_S7_lS8_PT9_S7_li.has_recursion, 0
	.set _ZL37rocblas_syrkx_herkx_restricted_kernelIl19rocblas_complex_numIfELi16ELi32ELi8ELb1ELb1ELc78ELc76EKPKS1_KPS1_EviT_T0_PT8_S7_lSA_S7_lS8_PT9_S7_li.has_indirect_call, 0
	.section	.AMDGPU.csdata,"",@progbits
; Kernel info:
; codeLenInByte = 2104
; TotalNumSgprs: 28
; NumVgprs: 43
; ScratchSize: 0
; MemoryBound: 0
; FloatMode: 240
; IeeeMode: 1
; LDSByteSize: 4096 bytes/workgroup (compile time only)
; SGPRBlocks: 3
; VGPRBlocks: 10
; NumSGPRsForWavesPerEU: 28
; NumVGPRsForWavesPerEU: 43
; Occupancy: 5
; WaveLimiterHint : 1
; COMPUTE_PGM_RSRC2:SCRATCH_EN: 0
; COMPUTE_PGM_RSRC2:USER_SGPR: 6
; COMPUTE_PGM_RSRC2:TRAP_HANDLER: 0
; COMPUTE_PGM_RSRC2:TGID_X_EN: 1
; COMPUTE_PGM_RSRC2:TGID_Y_EN: 1
; COMPUTE_PGM_RSRC2:TGID_Z_EN: 1
; COMPUTE_PGM_RSRC2:TIDIG_COMP_CNT: 1
	.section	.text._ZL37rocblas_syrkx_herkx_restricted_kernelIl19rocblas_complex_numIfELi16ELi32ELi8ELb1ELb1ELc84ELc85EKPKS1_KPS1_EviT_T0_PT8_S7_lSA_S7_lS8_PT9_S7_li,"axG",@progbits,_ZL37rocblas_syrkx_herkx_restricted_kernelIl19rocblas_complex_numIfELi16ELi32ELi8ELb1ELb1ELc84ELc85EKPKS1_KPS1_EviT_T0_PT8_S7_lSA_S7_lS8_PT9_S7_li,comdat
	.globl	_ZL37rocblas_syrkx_herkx_restricted_kernelIl19rocblas_complex_numIfELi16ELi32ELi8ELb1ELb1ELc84ELc85EKPKS1_KPS1_EviT_T0_PT8_S7_lSA_S7_lS8_PT9_S7_li ; -- Begin function _ZL37rocblas_syrkx_herkx_restricted_kernelIl19rocblas_complex_numIfELi16ELi32ELi8ELb1ELb1ELc84ELc85EKPKS1_KPS1_EviT_T0_PT8_S7_lSA_S7_lS8_PT9_S7_li
	.p2align	8
	.type	_ZL37rocblas_syrkx_herkx_restricted_kernelIl19rocblas_complex_numIfELi16ELi32ELi8ELb1ELb1ELc84ELc85EKPKS1_KPS1_EviT_T0_PT8_S7_lSA_S7_lS8_PT9_S7_li,@function
_ZL37rocblas_syrkx_herkx_restricted_kernelIl19rocblas_complex_numIfELi16ELi32ELi8ELb1ELb1ELc84ELc85EKPKS1_KPS1_EviT_T0_PT8_S7_lSA_S7_lS8_PT9_S7_li: ; @_ZL37rocblas_syrkx_herkx_restricted_kernelIl19rocblas_complex_numIfELi16ELi32ELi8ELb1ELb1ELc84ELc85EKPKS1_KPS1_EviT_T0_PT8_S7_lSA_S7_lS8_PT9_S7_li
; %bb.0:
	s_load_dwordx4 s[0:3], s[4:5], 0x50
	s_load_dwordx8 s[12:19], s[4:5], 0x8
	s_mov_b32 s9, 0
	s_lshl_b64 s[10:11], s[8:9], 3
	s_waitcnt lgkmcnt(0)
	s_add_u32 s0, s0, s10
	s_addc_u32 s1, s1, s11
	s_load_dwordx2 s[8:9], s[0:1], 0x0
	v_cmp_lt_i64_e64 s[0:1], s[12:13], 1
	s_lshl_b32 s6, s6, 5
	s_lshl_b32 s7, s7, 5
	s_and_b64 vcc, exec, s[0:1]
	s_cbranch_vccnz .LBB1723_3
; %bb.1:
	s_load_dwordx4 s[20:23], s[4:5], 0x30
	v_lshl_add_u32 v5, v1, 4, v0
	v_lshrrev_b32_e32 v6, 3, v5
	v_add_u32_e32 v2, s7, v6
	s_add_u32 s0, s16, s10
	v_and_b32_e32 v9, 7, v0
	v_ashrrev_i32_e32 v3, 31, v2
	v_mov_b32_e32 v10, 0
	s_addc_u32 s1, s17, s11
	s_waitcnt lgkmcnt(0)
	v_mul_lo_u32 v7, s22, v3
	v_mul_lo_u32 v8, s23, v2
	v_mad_u64_u32 v[2:3], s[16:17], s22, v2, v[9:10]
	v_and_b32_e32 v13, 31, v5
	v_lshrrev_b32_e32 v4, 5, v5
	v_add3_u32 v3, v8, v3, v7
	v_lshlrev_b32_e32 v7, 3, v13
	v_lshl_or_b32 v11, v4, 8, v7
	v_lshlrev_b32_e32 v7, 3, v9
	v_lshl_or_b32 v6, v6, 6, v7
	v_add_u32_e32 v12, 0x800, v6
	v_add_u32_e32 v6, s6, v13
	v_mov_b32_e32 v5, v10
	v_ashrrev_i32_e32 v7, 31, v6
	v_mul_lo_u32 v7, s18, v7
	v_mad_u64_u32 v[4:5], s[16:17], s18, v6, v[4:5]
	v_mul_lo_u32 v6, s19, v6
	s_load_dwordx2 s[0:1], s[0:1], 0x0
	s_add_u32 s10, s20, s10
	s_addc_u32 s11, s21, s11
	s_load_dwordx2 s[10:11], s[10:11], 0x0
	v_add3_u32 v5, v6, v5, v7
	v_lshlrev_b64 v[4:5], 3, v[4:5]
	s_waitcnt lgkmcnt(0)
	v_mov_b32_e32 v7, s1
	v_add_co_u32_e32 v6, vcc, s0, v4
	v_lshlrev_b64 v[2:3], 3, v[2:3]
	v_mov_b32_e32 v8, 0x800
	v_addc_co_u32_e32 v7, vcc, v7, v5, vcc
	v_lshl_add_u32 v14, v1, 6, v8
	v_mov_b32_e32 v4, s11
	v_add_co_u32_e32 v8, vcc, s10, v2
	v_lshlrev_b32_e32 v13, 3, v0
	v_addc_co_u32_e32 v9, vcc, v4, v3, vcc
	s_mov_b64 s[0:1], 0
	v_mov_b32_e32 v15, v10
	v_mov_b32_e32 v17, v10
	;; [unrolled: 1-line block ×7, first 2 shown]
.LBB1723_2:                             ; =>This Inner Loop Header: Depth=1
	flat_load_dwordx2 v[2:3], v[6:7]
	s_add_u32 s0, s0, 8
	v_add_co_u32_e32 v6, vcc, 64, v6
	s_addc_u32 s1, s1, 0
	v_addc_co_u32_e32 v7, vcc, 0, v7, vcc
	s_waitcnt vmcnt(0) lgkmcnt(0)
	ds_write_b64 v11, v[2:3]
	flat_load_dwordx2 v[2:3], v[8:9]
	v_add_co_u32_e32 v8, vcc, 64, v8
	v_addc_co_u32_e32 v9, vcc, 0, v9, vcc
	s_waitcnt vmcnt(0) lgkmcnt(0)
	ds_write_b64 v12, v[2:3]
	s_waitcnt lgkmcnt(0)
	s_barrier
	ds_read_b128 v[22:25], v14
	ds_read_b128 v[26:29], v14 offset:16
	ds_read_b128 v[30:33], v14 offset:32
	;; [unrolled: 1-line block ×3, first 2 shown]
	ds_read2_b64 v[34:37], v13 offset1:16
	s_waitcnt lgkmcnt(0)
	v_mul_f32_e32 v38, v23, v35
	v_mul_f32_e32 v39, v22, v35
	v_fma_f32 v38, v22, v34, -v38
	v_fmac_f32_e32 v39, v23, v34
	v_add_f32_e32 v38, v20, v38
	v_add_f32_e32 v39, v21, v39
	v_mul_f32_e32 v20, v23, v37
	v_mul_f32_e32 v21, v22, v37
	v_fma_f32 v20, v22, v36, -v20
	v_fmac_f32_e32 v21, v23, v36
	v_add_f32_e32 v22, v18, v20
	v_add_f32_e32 v23, v19, v21
	ds_read_b128 v[18:21], v14 offset:1024
	s_waitcnt lgkmcnt(0)
	v_mul_f32_e32 v40, v19, v35
	v_mul_f32_e32 v35, v18, v35
	v_fma_f32 v40, v18, v34, -v40
	v_fmac_f32_e32 v35, v19, v34
	v_add_f32_e32 v34, v16, v40
	v_add_f32_e32 v35, v17, v35
	v_mul_f32_e32 v16, v19, v37
	v_mul_f32_e32 v17, v18, v37
	v_fma_f32 v16, v18, v36, -v16
	v_fmac_f32_e32 v17, v19, v36
	v_add_f32_e32 v19, v15, v16
	v_add_f32_e32 v10, v10, v17
	ds_read2_b64 v[15:18], v13 offset0:32 offset1:48
	s_waitcnt lgkmcnt(0)
	v_mul_f32_e32 v36, v25, v16
	v_fma_f32 v36, v24, v15, -v36
	v_add_f32_e32 v36, v38, v36
	v_mul_f32_e32 v38, v25, v18
	v_mul_f32_e32 v37, v24, v16
	v_fma_f32 v38, v24, v17, -v38
	v_mul_f32_e32 v24, v24, v18
	v_fmac_f32_e32 v24, v25, v17
	v_add_f32_e32 v23, v23, v24
	v_mul_f32_e32 v24, v21, v16
	v_mul_f32_e32 v16, v20, v16
	v_fmac_f32_e32 v16, v21, v15
	v_fmac_f32_e32 v37, v25, v15
	v_fma_f32 v24, v20, v15, -v24
	v_add_f32_e32 v25, v35, v16
	v_mul_f32_e32 v15, v21, v18
	v_mul_f32_e32 v16, v20, v18
	v_fma_f32 v15, v20, v17, -v15
	v_fmac_f32_e32 v16, v21, v17
	v_add_f32_e32 v24, v34, v24
	v_add_f32_e32 v34, v19, v15
	v_add_f32_e32 v10, v10, v16
	ds_read2_b64 v[15:18], v13 offset0:64 offset1:80
	v_add_f32_e32 v37, v39, v37
	v_add_f32_e32 v22, v22, v38
	s_waitcnt lgkmcnt(0)
	v_mul_f32_e32 v19, v27, v16
	v_mul_f32_e32 v20, v26, v16
	v_fma_f32 v19, v26, v15, -v19
	v_fmac_f32_e32 v20, v27, v15
	v_add_f32_e32 v35, v36, v19
	v_add_f32_e32 v36, v37, v20
	v_mul_f32_e32 v19, v27, v18
	v_mul_f32_e32 v20, v26, v18
	v_fma_f32 v19, v26, v17, -v19
	v_fmac_f32_e32 v20, v27, v17
	v_add_f32_e32 v26, v22, v19
	v_add_f32_e32 v23, v23, v20
	ds_read_b128 v[19:22], v14 offset:1040
	s_waitcnt lgkmcnt(0)
	v_mul_f32_e32 v27, v20, v16
	v_mul_f32_e32 v16, v19, v16
	v_fmac_f32_e32 v16, v20, v15
	v_fma_f32 v27, v19, v15, -v27
	v_add_f32_e32 v25, v25, v16
	v_mul_f32_e32 v15, v20, v18
	v_mul_f32_e32 v16, v19, v18
	v_fma_f32 v15, v19, v17, -v15
	v_fmac_f32_e32 v16, v20, v17
	v_add_f32_e32 v19, v34, v15
	v_add_f32_e32 v10, v10, v16
	ds_read2_b64 v[15:18], v13 offset0:96 offset1:112
	v_add_f32_e32 v24, v24, v27
	s_waitcnt lgkmcnt(0)
	v_mul_f32_e32 v20, v29, v16
	v_mul_f32_e32 v34, v29, v18
	v_fma_f32 v20, v28, v15, -v20
	v_mul_f32_e32 v27, v28, v16
	v_fma_f32 v34, v28, v17, -v34
	v_mul_f32_e32 v28, v28, v18
	v_fmac_f32_e32 v28, v29, v17
	v_add_f32_e32 v23, v23, v28
	v_mul_f32_e32 v28, v22, v16
	v_mul_f32_e32 v16, v21, v16
	v_fmac_f32_e32 v16, v22, v15
	v_fmac_f32_e32 v27, v29, v15
	v_fma_f32 v28, v21, v15, -v28
	v_add_f32_e32 v25, v25, v16
	v_mul_f32_e32 v15, v22, v18
	v_mul_f32_e32 v16, v21, v18
	v_fma_f32 v15, v21, v17, -v15
	v_fmac_f32_e32 v16, v22, v17
	v_add_f32_e32 v24, v24, v28
	v_add_f32_e32 v28, v19, v15
	;; [unrolled: 1-line block ×3, first 2 shown]
	ds_read2_b64 v[15:18], v13 offset0:128 offset1:144
	v_add_f32_e32 v20, v35, v20
	v_add_f32_e32 v27, v36, v27
	;; [unrolled: 1-line block ×3, first 2 shown]
	s_waitcnt lgkmcnt(0)
	v_mul_f32_e32 v19, v31, v16
	v_fma_f32 v19, v30, v15, -v19
	v_mul_f32_e32 v21, v30, v16
	v_add_f32_e32 v29, v20, v19
	v_mul_f32_e32 v19, v31, v18
	v_mul_f32_e32 v20, v30, v18
	v_fmac_f32_e32 v21, v31, v15
	v_fma_f32 v19, v30, v17, -v19
	v_fmac_f32_e32 v20, v31, v17
	v_add_f32_e32 v27, v27, v21
	v_add_f32_e32 v26, v26, v19
	;; [unrolled: 1-line block ×3, first 2 shown]
	ds_read_b128 v[19:22], v14 offset:1056
	s_waitcnt lgkmcnt(0)
	v_mul_f32_e32 v30, v20, v16
	v_mul_f32_e32 v16, v19, v16
	v_fmac_f32_e32 v16, v20, v15
	v_fma_f32 v30, v19, v15, -v30
	v_add_f32_e32 v25, v25, v16
	v_mul_f32_e32 v15, v20, v18
	v_mul_f32_e32 v16, v19, v18
	v_fma_f32 v15, v19, v17, -v15
	v_fmac_f32_e32 v16, v20, v17
	v_add_f32_e32 v19, v28, v15
	v_add_f32_e32 v10, v10, v16
	ds_read2_b64 v[15:18], v13 offset0:160 offset1:176
	v_add_f32_e32 v24, v24, v30
	s_waitcnt lgkmcnt(0)
	v_mul_f32_e32 v28, v32, v16
	v_fmac_f32_e32 v28, v33, v15
	v_add_f32_e32 v27, v27, v28
	v_mul_f32_e32 v28, v33, v18
	v_fma_f32 v28, v32, v17, -v28
	v_mul_f32_e32 v20, v33, v16
	v_add_f32_e32 v26, v26, v28
	v_mul_f32_e32 v28, v22, v16
	v_mul_f32_e32 v16, v21, v16
	v_fmac_f32_e32 v16, v22, v15
	v_fma_f32 v20, v32, v15, -v20
	v_fma_f32 v28, v21, v15, -v28
	v_add_f32_e32 v25, v25, v16
	v_mul_f32_e32 v15, v22, v18
	v_mul_f32_e32 v16, v21, v18
	v_add_f32_e32 v20, v29, v20
	v_mul_f32_e32 v29, v32, v18
	v_fma_f32 v15, v21, v17, -v15
	v_fmac_f32_e32 v16, v22, v17
	v_fmac_f32_e32 v29, v33, v17
	v_add_f32_e32 v19, v19, v15
	v_add_f32_e32 v10, v10, v16
	ds_read2_b64 v[15:18], v13 offset0:192 offset1:208
	v_add_f32_e32 v24, v24, v28
	v_add_f32_e32 v23, v23, v29
	s_waitcnt lgkmcnt(0)
	v_mul_f32_e32 v21, v3, v16
	v_fma_f32 v21, v2, v15, -v21
	v_add_f32_e32 v28, v20, v21
	v_mul_f32_e32 v20, v3, v18
	v_mul_f32_e32 v22, v2, v16
	v_fma_f32 v20, v2, v17, -v20
	v_mul_f32_e32 v2, v2, v18
	v_fmac_f32_e32 v22, v3, v15
	v_fmac_f32_e32 v2, v3, v17
	v_add_f32_e32 v29, v27, v22
	v_add_f32_e32 v3, v26, v20
	v_add_f32_e32 v2, v23, v2
	ds_read_b128 v[20:23], v14 offset:1072
	s_waitcnt lgkmcnt(0)
	v_mul_f32_e32 v26, v21, v16
	v_mul_f32_e32 v16, v20, v16
	v_fma_f32 v26, v20, v15, -v26
	v_fmac_f32_e32 v16, v21, v15
	v_add_f32_e32 v15, v24, v26
	v_add_f32_e32 v30, v25, v16
	ds_read2_b64 v[24:27], v13 offset0:224 offset1:240
	v_mul_f32_e32 v16, v21, v18
	v_fma_f32 v16, v20, v17, -v16
	v_add_f32_e32 v31, v19, v16
	v_mul_f32_e32 v18, v20, v18
	s_waitcnt lgkmcnt(0)
	v_mul_f32_e32 v16, v5, v25
	v_fma_f32 v16, v4, v24, -v16
	v_add_f32_e32 v20, v28, v16
	v_mul_f32_e32 v16, v5, v27
	v_fmac_f32_e32 v18, v21, v17
	v_mul_f32_e32 v17, v4, v25
	v_fma_f32 v16, v4, v26, -v16
	v_mul_f32_e32 v4, v4, v27
	v_fmac_f32_e32 v4, v5, v26
	v_add_f32_e32 v10, v10, v18
	v_add_f32_e32 v18, v3, v16
	;; [unrolled: 1-line block ×3, first 2 shown]
	v_mul_f32_e32 v2, v23, v25
	v_mul_f32_e32 v3, v22, v25
	v_fmac_f32_e32 v17, v5, v24
	v_fma_f32 v2, v22, v24, -v2
	v_fmac_f32_e32 v3, v23, v24
	v_add_f32_e32 v21, v29, v17
	v_add_f32_e32 v16, v15, v2
	;; [unrolled: 1-line block ×3, first 2 shown]
	v_mul_f32_e32 v2, v23, v27
	v_mul_f32_e32 v3, v22, v27
	v_fma_f32 v2, v22, v26, -v2
	v_fmac_f32_e32 v3, v23, v26
	v_add_f32_e32 v15, v31, v2
	v_add_f32_e32 v10, v10, v3
	v_mov_b32_e32 v3, s1
	v_mov_b32_e32 v2, s0
	v_cmp_le_u64_e32 vcc, s[12:13], v[2:3]
	s_barrier
	s_cbranch_vccz .LBB1723_2
	s_branch .LBB1723_4
.LBB1723_3:
	v_mov_b32_e32 v20, 0
	v_mov_b32_e32 v21, 0
	;; [unrolled: 1-line block ×8, first 2 shown]
.LBB1723_4:
	v_add_u32_e32 v5, s7, v1
	v_ashrrev_i32_e32 v1, 31, v5
	v_mul_lo_u32 v3, s2, v1
	v_mul_lo_u32 v4, s3, v5
	v_mad_u64_u32 v[1:2], s[0:1], s2, v5, 0
	s_load_dword s10, s[4:5], 0x0
	v_add_u32_e32 v0, s6, v0
	v_add3_u32 v2, v2, v3, v4
	v_lshlrev_b64 v[1:2], 3, v[1:2]
	s_waitcnt lgkmcnt(0)
	v_mov_b32_e32 v3, s9
	v_add_co_u32_e64 v4, s[0:1], s8, v1
	v_addc_co_u32_e64 v6, s[0:1], v3, v2, s[0:1]
	v_cmp_gt_i32_e32 vcc, s10, v5
	v_cmp_le_i32_e64 s[0:1], v0, v5
	s_and_b64 s[0:1], vcc, s[0:1]
	s_and_saveexec_b64 s[4:5], s[0:1]
	s_cbranch_execz .LBB1723_7
; %bb.5:
	v_mul_f32_e32 v1, s15, v21
	v_fma_f32 v7, v20, s14, -v1
	v_ashrrev_i32_e32 v1, 31, v0
	v_lshlrev_b64 v[1:2], 3, v[0:1]
	v_mul_f32_e32 v8, s14, v21
	v_add_co_u32_e64 v1, s[0:1], v4, v1
	v_addc_co_u32_e64 v2, s[0:1], v6, v2, s[0:1]
	v_fmac_f32_e32 v8, s15, v20
	v_cmp_eq_u32_e64 s[0:1], v5, v0
	flat_store_dwordx2 v[1:2], v[7:8]
	s_and_b64 exec, exec, s[0:1]
	s_cbranch_execz .LBB1723_7
; %bb.6:
	v_mov_b32_e32 v3, 0
	flat_store_dword v[1:2], v3 offset:4
.LBB1723_7:
	s_or_b64 exec, exec, s[4:5]
	v_add_u32_e32 v2, 16, v0
	v_cmp_le_i32_e64 s[0:1], v2, v5
	s_and_b64 s[4:5], vcc, s[0:1]
	s_and_saveexec_b64 s[0:1], s[4:5]
	s_cbranch_execz .LBB1723_10
; %bb.8:
	v_ashrrev_i32_e32 v3, 31, v2
	v_lshlrev_b64 v[11:12], 3, v[2:3]
	v_mul_f32_e32 v1, s15, v19
	v_add_co_u32_e32 v3, vcc, v4, v11
	v_mul_f32_e32 v8, s14, v19
	v_addc_co_u32_e32 v4, vcc, v6, v12, vcc
	v_fma_f32 v7, v18, s14, -v1
	v_fmac_f32_e32 v8, s15, v18
	v_cmp_eq_u32_e32 vcc, v5, v2
	flat_store_dwordx2 v[3:4], v[7:8]
	s_and_b64 exec, exec, vcc
	s_cbranch_execz .LBB1723_10
; %bb.9:
	v_mov_b32_e32 v1, 0
	flat_store_dword v[3:4], v1 offset:4
.LBB1723_10:
	s_or_b64 exec, exec, s[0:1]
	v_add_u32_e32 v8, 16, v5
	v_ashrrev_i32_e32 v1, 31, v8
	v_mul_lo_u32 v1, s2, v1
	v_mul_lo_u32 v6, s3, v8
	v_mad_u64_u32 v[3:4], s[0:1], s2, v8, 0
	v_cmp_gt_i32_e32 vcc, s10, v8
	v_add3_u32 v4, v4, v1, v6
	v_lshlrev_b64 v[3:4], 3, v[3:4]
	v_mov_b32_e32 v1, s9
	v_add_co_u32_e64 v6, s[0:1], s8, v3
	v_addc_co_u32_e64 v7, s[0:1], v1, v4, s[0:1]
	v_cmp_le_i32_e64 s[0:1], v0, v8
	s_and_b64 s[0:1], vcc, s[0:1]
	s_and_saveexec_b64 s[2:3], s[0:1]
	s_cbranch_execz .LBB1723_13
; %bb.11:
	v_mul_f32_e32 v1, s15, v17
	v_fma_f32 v11, v16, s14, -v1
	v_ashrrev_i32_e32 v1, 31, v0
	v_lshlrev_b64 v[3:4], 3, v[0:1]
	v_mul_f32_e32 v12, s14, v17
	v_add_co_u32_e64 v3, s[0:1], v6, v3
	v_addc_co_u32_e64 v4, s[0:1], v7, v4, s[0:1]
	v_fmac_f32_e32 v12, s15, v16
	v_cmp_eq_u32_e64 s[0:1], v8, v0
	flat_store_dwordx2 v[3:4], v[11:12]
	s_and_b64 exec, exec, s[0:1]
	s_cbranch_execz .LBB1723_13
; %bb.12:
	v_mov_b32_e32 v1, 0
	flat_store_dword v[3:4], v1 offset:4
.LBB1723_13:
	s_or_b64 exec, exec, s[2:3]
	v_cmp_le_i32_e64 s[0:1], v2, v8
	s_and_b64 s[0:1], vcc, s[0:1]
	s_and_saveexec_b64 s[2:3], s[0:1]
	s_cbranch_execz .LBB1723_16
; %bb.14:
	v_mul_f32_e32 v1, s15, v10
	v_ashrrev_i32_e32 v3, 31, v2
	v_fma_f32 v8, v15, s14, -v1
	v_lshlrev_b64 v[1:2], 3, v[2:3]
	v_mul_f32_e32 v9, s14, v10
	v_add_co_u32_e32 v1, vcc, v6, v1
	v_addc_co_u32_e32 v2, vcc, v7, v2, vcc
	v_fmac_f32_e32 v9, s15, v15
	v_cmp_eq_u32_e32 vcc, v5, v0
	flat_store_dwordx2 v[1:2], v[8:9]
	s_and_b64 exec, exec, vcc
	s_cbranch_execz .LBB1723_16
; %bb.15:
	v_mov_b32_e32 v0, 0
	flat_store_dword v[1:2], v0 offset:4
.LBB1723_16:
	s_endpgm
	.section	.rodata,"a",@progbits
	.p2align	6, 0x0
	.amdhsa_kernel _ZL37rocblas_syrkx_herkx_restricted_kernelIl19rocblas_complex_numIfELi16ELi32ELi8ELb1ELb1ELc84ELc85EKPKS1_KPS1_EviT_T0_PT8_S7_lSA_S7_lS8_PT9_S7_li
		.amdhsa_group_segment_fixed_size 4096
		.amdhsa_private_segment_fixed_size 0
		.amdhsa_kernarg_size 108
		.amdhsa_user_sgpr_count 6
		.amdhsa_user_sgpr_private_segment_buffer 1
		.amdhsa_user_sgpr_dispatch_ptr 0
		.amdhsa_user_sgpr_queue_ptr 0
		.amdhsa_user_sgpr_kernarg_segment_ptr 1
		.amdhsa_user_sgpr_dispatch_id 0
		.amdhsa_user_sgpr_flat_scratch_init 0
		.amdhsa_user_sgpr_private_segment_size 0
		.amdhsa_uses_dynamic_stack 0
		.amdhsa_system_sgpr_private_segment_wavefront_offset 0
		.amdhsa_system_sgpr_workgroup_id_x 1
		.amdhsa_system_sgpr_workgroup_id_y 1
		.amdhsa_system_sgpr_workgroup_id_z 1
		.amdhsa_system_sgpr_workgroup_info 0
		.amdhsa_system_vgpr_workitem_id 1
		.amdhsa_next_free_vgpr 41
		.amdhsa_next_free_sgpr 24
		.amdhsa_reserve_vcc 1
		.amdhsa_reserve_flat_scratch 0
		.amdhsa_float_round_mode_32 0
		.amdhsa_float_round_mode_16_64 0
		.amdhsa_float_denorm_mode_32 3
		.amdhsa_float_denorm_mode_16_64 3
		.amdhsa_dx10_clamp 1
		.amdhsa_ieee_mode 1
		.amdhsa_fp16_overflow 0
		.amdhsa_exception_fp_ieee_invalid_op 0
		.amdhsa_exception_fp_denorm_src 0
		.amdhsa_exception_fp_ieee_div_zero 0
		.amdhsa_exception_fp_ieee_overflow 0
		.amdhsa_exception_fp_ieee_underflow 0
		.amdhsa_exception_fp_ieee_inexact 0
		.amdhsa_exception_int_div_zero 0
	.end_amdhsa_kernel
	.section	.text._ZL37rocblas_syrkx_herkx_restricted_kernelIl19rocblas_complex_numIfELi16ELi32ELi8ELb1ELb1ELc84ELc85EKPKS1_KPS1_EviT_T0_PT8_S7_lSA_S7_lS8_PT9_S7_li,"axG",@progbits,_ZL37rocblas_syrkx_herkx_restricted_kernelIl19rocblas_complex_numIfELi16ELi32ELi8ELb1ELb1ELc84ELc85EKPKS1_KPS1_EviT_T0_PT8_S7_lSA_S7_lS8_PT9_S7_li,comdat
.Lfunc_end1723:
	.size	_ZL37rocblas_syrkx_herkx_restricted_kernelIl19rocblas_complex_numIfELi16ELi32ELi8ELb1ELb1ELc84ELc85EKPKS1_KPS1_EviT_T0_PT8_S7_lSA_S7_lS8_PT9_S7_li, .Lfunc_end1723-_ZL37rocblas_syrkx_herkx_restricted_kernelIl19rocblas_complex_numIfELi16ELi32ELi8ELb1ELb1ELc84ELc85EKPKS1_KPS1_EviT_T0_PT8_S7_lSA_S7_lS8_PT9_S7_li
                                        ; -- End function
	.set _ZL37rocblas_syrkx_herkx_restricted_kernelIl19rocblas_complex_numIfELi16ELi32ELi8ELb1ELb1ELc84ELc85EKPKS1_KPS1_EviT_T0_PT8_S7_lSA_S7_lS8_PT9_S7_li.num_vgpr, 41
	.set _ZL37rocblas_syrkx_herkx_restricted_kernelIl19rocblas_complex_numIfELi16ELi32ELi8ELb1ELb1ELc84ELc85EKPKS1_KPS1_EviT_T0_PT8_S7_lSA_S7_lS8_PT9_S7_li.num_agpr, 0
	.set _ZL37rocblas_syrkx_herkx_restricted_kernelIl19rocblas_complex_numIfELi16ELi32ELi8ELb1ELb1ELc84ELc85EKPKS1_KPS1_EviT_T0_PT8_S7_lSA_S7_lS8_PT9_S7_li.numbered_sgpr, 24
	.set _ZL37rocblas_syrkx_herkx_restricted_kernelIl19rocblas_complex_numIfELi16ELi32ELi8ELb1ELb1ELc84ELc85EKPKS1_KPS1_EviT_T0_PT8_S7_lSA_S7_lS8_PT9_S7_li.num_named_barrier, 0
	.set _ZL37rocblas_syrkx_herkx_restricted_kernelIl19rocblas_complex_numIfELi16ELi32ELi8ELb1ELb1ELc84ELc85EKPKS1_KPS1_EviT_T0_PT8_S7_lSA_S7_lS8_PT9_S7_li.private_seg_size, 0
	.set _ZL37rocblas_syrkx_herkx_restricted_kernelIl19rocblas_complex_numIfELi16ELi32ELi8ELb1ELb1ELc84ELc85EKPKS1_KPS1_EviT_T0_PT8_S7_lSA_S7_lS8_PT9_S7_li.uses_vcc, 1
	.set _ZL37rocblas_syrkx_herkx_restricted_kernelIl19rocblas_complex_numIfELi16ELi32ELi8ELb1ELb1ELc84ELc85EKPKS1_KPS1_EviT_T0_PT8_S7_lSA_S7_lS8_PT9_S7_li.uses_flat_scratch, 0
	.set _ZL37rocblas_syrkx_herkx_restricted_kernelIl19rocblas_complex_numIfELi16ELi32ELi8ELb1ELb1ELc84ELc85EKPKS1_KPS1_EviT_T0_PT8_S7_lSA_S7_lS8_PT9_S7_li.has_dyn_sized_stack, 0
	.set _ZL37rocblas_syrkx_herkx_restricted_kernelIl19rocblas_complex_numIfELi16ELi32ELi8ELb1ELb1ELc84ELc85EKPKS1_KPS1_EviT_T0_PT8_S7_lSA_S7_lS8_PT9_S7_li.has_recursion, 0
	.set _ZL37rocblas_syrkx_herkx_restricted_kernelIl19rocblas_complex_numIfELi16ELi32ELi8ELb1ELb1ELc84ELc85EKPKS1_KPS1_EviT_T0_PT8_S7_lSA_S7_lS8_PT9_S7_li.has_indirect_call, 0
	.section	.AMDGPU.csdata,"",@progbits
; Kernel info:
; codeLenInByte = 2124
; TotalNumSgprs: 28
; NumVgprs: 41
; ScratchSize: 0
; MemoryBound: 0
; FloatMode: 240
; IeeeMode: 1
; LDSByteSize: 4096 bytes/workgroup (compile time only)
; SGPRBlocks: 3
; VGPRBlocks: 10
; NumSGPRsForWavesPerEU: 28
; NumVGPRsForWavesPerEU: 41
; Occupancy: 5
; WaveLimiterHint : 1
; COMPUTE_PGM_RSRC2:SCRATCH_EN: 0
; COMPUTE_PGM_RSRC2:USER_SGPR: 6
; COMPUTE_PGM_RSRC2:TRAP_HANDLER: 0
; COMPUTE_PGM_RSRC2:TGID_X_EN: 1
; COMPUTE_PGM_RSRC2:TGID_Y_EN: 1
; COMPUTE_PGM_RSRC2:TGID_Z_EN: 1
; COMPUTE_PGM_RSRC2:TIDIG_COMP_CNT: 1
	.section	.text._ZL37rocblas_syrkx_herkx_restricted_kernelIl19rocblas_complex_numIfELi16ELi32ELi8ELb1ELb1ELc67ELc85EKPKS1_KPS1_EviT_T0_PT8_S7_lSA_S7_lS8_PT9_S7_li,"axG",@progbits,_ZL37rocblas_syrkx_herkx_restricted_kernelIl19rocblas_complex_numIfELi16ELi32ELi8ELb1ELb1ELc67ELc85EKPKS1_KPS1_EviT_T0_PT8_S7_lSA_S7_lS8_PT9_S7_li,comdat
	.globl	_ZL37rocblas_syrkx_herkx_restricted_kernelIl19rocblas_complex_numIfELi16ELi32ELi8ELb1ELb1ELc67ELc85EKPKS1_KPS1_EviT_T0_PT8_S7_lSA_S7_lS8_PT9_S7_li ; -- Begin function _ZL37rocblas_syrkx_herkx_restricted_kernelIl19rocblas_complex_numIfELi16ELi32ELi8ELb1ELb1ELc67ELc85EKPKS1_KPS1_EviT_T0_PT8_S7_lSA_S7_lS8_PT9_S7_li
	.p2align	8
	.type	_ZL37rocblas_syrkx_herkx_restricted_kernelIl19rocblas_complex_numIfELi16ELi32ELi8ELb1ELb1ELc67ELc85EKPKS1_KPS1_EviT_T0_PT8_S7_lSA_S7_lS8_PT9_S7_li,@function
_ZL37rocblas_syrkx_herkx_restricted_kernelIl19rocblas_complex_numIfELi16ELi32ELi8ELb1ELb1ELc67ELc85EKPKS1_KPS1_EviT_T0_PT8_S7_lSA_S7_lS8_PT9_S7_li: ; @_ZL37rocblas_syrkx_herkx_restricted_kernelIl19rocblas_complex_numIfELi16ELi32ELi8ELb1ELb1ELc67ELc85EKPKS1_KPS1_EviT_T0_PT8_S7_lSA_S7_lS8_PT9_S7_li
; %bb.0:
	s_load_dwordx4 s[0:3], s[4:5], 0x50
	s_load_dwordx8 s[12:19], s[4:5], 0x8
	s_mov_b32 s9, 0
	s_lshl_b64 s[10:11], s[8:9], 3
	s_waitcnt lgkmcnt(0)
	s_add_u32 s0, s0, s10
	s_addc_u32 s1, s1, s11
	s_load_dwordx2 s[8:9], s[0:1], 0x0
	v_cmp_lt_i64_e64 s[0:1], s[12:13], 1
	s_lshl_b32 s6, s6, 5
	s_lshl_b32 s7, s7, 5
	s_and_b64 vcc, exec, s[0:1]
	s_cbranch_vccnz .LBB1724_3
; %bb.1:
	s_load_dwordx4 s[20:23], s[4:5], 0x30
	v_lshl_add_u32 v5, v1, 4, v0
	v_lshrrev_b32_e32 v6, 3, v5
	v_add_u32_e32 v2, s7, v6
	s_add_u32 s0, s16, s10
	v_and_b32_e32 v9, 7, v0
	v_ashrrev_i32_e32 v3, 31, v2
	v_mov_b32_e32 v10, 0
	s_addc_u32 s1, s17, s11
	s_waitcnt lgkmcnt(0)
	v_mul_lo_u32 v7, s22, v3
	v_mul_lo_u32 v8, s23, v2
	v_mad_u64_u32 v[2:3], s[16:17], s22, v2, v[9:10]
	v_and_b32_e32 v13, 31, v5
	v_lshrrev_b32_e32 v4, 5, v5
	v_add3_u32 v3, v8, v3, v7
	v_lshlrev_b32_e32 v7, 3, v13
	v_lshl_or_b32 v11, v4, 8, v7
	v_lshlrev_b32_e32 v7, 3, v9
	v_lshl_or_b32 v6, v6, 6, v7
	v_add_u32_e32 v12, 0x800, v6
	v_add_u32_e32 v6, s6, v13
	v_mov_b32_e32 v5, v10
	v_ashrrev_i32_e32 v7, 31, v6
	v_mul_lo_u32 v7, s18, v7
	v_mad_u64_u32 v[4:5], s[16:17], s18, v6, v[4:5]
	v_mul_lo_u32 v6, s19, v6
	s_load_dwordx2 s[0:1], s[0:1], 0x0
	s_add_u32 s10, s20, s10
	s_addc_u32 s11, s21, s11
	s_load_dwordx2 s[10:11], s[10:11], 0x0
	v_add3_u32 v5, v6, v5, v7
	v_lshlrev_b64 v[4:5], 3, v[4:5]
	s_waitcnt lgkmcnt(0)
	v_mov_b32_e32 v7, s1
	v_add_co_u32_e32 v6, vcc, s0, v4
	v_lshlrev_b64 v[2:3], 3, v[2:3]
	v_mov_b32_e32 v8, 0x800
	v_addc_co_u32_e32 v7, vcc, v7, v5, vcc
	v_lshl_add_u32 v14, v1, 6, v8
	v_mov_b32_e32 v4, s11
	v_add_co_u32_e32 v8, vcc, s10, v2
	v_lshlrev_b32_e32 v13, 3, v0
	v_addc_co_u32_e32 v9, vcc, v4, v3, vcc
	s_mov_b64 s[0:1], 0
	v_mov_b32_e32 v15, v10
	v_mov_b32_e32 v17, v10
	;; [unrolled: 1-line block ×7, first 2 shown]
.LBB1724_2:                             ; =>This Inner Loop Header: Depth=1
	flat_load_dwordx2 v[2:3], v[6:7]
	v_add_co_u32_e32 v6, vcc, 64, v6
	s_add_u32 s0, s0, 8
	v_addc_co_u32_e32 v7, vcc, 0, v7, vcc
	s_addc_u32 s1, s1, 0
	s_waitcnt vmcnt(0) lgkmcnt(0)
	v_xor_b32_e32 v3, 0x80000000, v3
	ds_write_b64 v11, v[2:3]
	flat_load_dwordx2 v[2:3], v[8:9]
	v_add_co_u32_e32 v8, vcc, 64, v8
	v_addc_co_u32_e32 v9, vcc, 0, v9, vcc
	s_waitcnt vmcnt(0) lgkmcnt(0)
	ds_write_b64 v12, v[2:3]
	s_waitcnt lgkmcnt(0)
	s_barrier
	ds_read_b128 v[22:25], v14
	ds_read_b128 v[26:29], v14 offset:16
	ds_read_b128 v[30:33], v14 offset:32
	;; [unrolled: 1-line block ×3, first 2 shown]
	ds_read2_b64 v[34:37], v13 offset1:16
	s_waitcnt lgkmcnt(0)
	v_mul_f32_e32 v38, v23, v35
	v_mul_f32_e32 v39, v22, v35
	v_fma_f32 v38, v22, v34, -v38
	v_fmac_f32_e32 v39, v23, v34
	v_add_f32_e32 v38, v20, v38
	v_add_f32_e32 v39, v21, v39
	v_mul_f32_e32 v20, v23, v37
	v_mul_f32_e32 v21, v22, v37
	v_fma_f32 v20, v22, v36, -v20
	v_fmac_f32_e32 v21, v23, v36
	v_add_f32_e32 v22, v18, v20
	v_add_f32_e32 v23, v19, v21
	ds_read_b128 v[18:21], v14 offset:1024
	s_waitcnt lgkmcnt(0)
	v_mul_f32_e32 v40, v19, v35
	v_mul_f32_e32 v35, v18, v35
	v_fma_f32 v40, v18, v34, -v40
	v_fmac_f32_e32 v35, v19, v34
	v_add_f32_e32 v34, v16, v40
	v_add_f32_e32 v35, v17, v35
	v_mul_f32_e32 v16, v19, v37
	v_mul_f32_e32 v17, v18, v37
	v_fma_f32 v16, v18, v36, -v16
	v_fmac_f32_e32 v17, v19, v36
	v_add_f32_e32 v19, v15, v16
	v_add_f32_e32 v10, v10, v17
	ds_read2_b64 v[15:18], v13 offset0:32 offset1:48
	s_waitcnt lgkmcnt(0)
	v_mul_f32_e32 v36, v25, v16
	v_fma_f32 v36, v24, v15, -v36
	v_add_f32_e32 v36, v38, v36
	v_mul_f32_e32 v38, v25, v18
	v_mul_f32_e32 v37, v24, v16
	v_fma_f32 v38, v24, v17, -v38
	v_mul_f32_e32 v24, v24, v18
	v_fmac_f32_e32 v24, v25, v17
	v_add_f32_e32 v23, v23, v24
	v_mul_f32_e32 v24, v21, v16
	v_mul_f32_e32 v16, v20, v16
	v_fmac_f32_e32 v16, v21, v15
	v_fmac_f32_e32 v37, v25, v15
	v_fma_f32 v24, v20, v15, -v24
	v_add_f32_e32 v25, v35, v16
	v_mul_f32_e32 v15, v21, v18
	v_mul_f32_e32 v16, v20, v18
	v_fma_f32 v15, v20, v17, -v15
	v_fmac_f32_e32 v16, v21, v17
	v_add_f32_e32 v24, v34, v24
	v_add_f32_e32 v34, v19, v15
	;; [unrolled: 1-line block ×3, first 2 shown]
	ds_read2_b64 v[15:18], v13 offset0:64 offset1:80
	v_add_f32_e32 v37, v39, v37
	v_add_f32_e32 v22, v22, v38
	s_waitcnt lgkmcnt(0)
	v_mul_f32_e32 v19, v27, v16
	v_mul_f32_e32 v20, v26, v16
	v_fma_f32 v19, v26, v15, -v19
	v_fmac_f32_e32 v20, v27, v15
	v_add_f32_e32 v35, v36, v19
	v_add_f32_e32 v36, v37, v20
	v_mul_f32_e32 v19, v27, v18
	v_mul_f32_e32 v20, v26, v18
	v_fma_f32 v19, v26, v17, -v19
	v_fmac_f32_e32 v20, v27, v17
	v_add_f32_e32 v26, v22, v19
	v_add_f32_e32 v23, v23, v20
	ds_read_b128 v[19:22], v14 offset:1040
	s_waitcnt lgkmcnt(0)
	v_mul_f32_e32 v27, v20, v16
	v_mul_f32_e32 v16, v19, v16
	v_fmac_f32_e32 v16, v20, v15
	v_fma_f32 v27, v19, v15, -v27
	v_add_f32_e32 v25, v25, v16
	v_mul_f32_e32 v15, v20, v18
	v_mul_f32_e32 v16, v19, v18
	v_fma_f32 v15, v19, v17, -v15
	v_fmac_f32_e32 v16, v20, v17
	v_add_f32_e32 v19, v34, v15
	v_add_f32_e32 v10, v10, v16
	ds_read2_b64 v[15:18], v13 offset0:96 offset1:112
	v_add_f32_e32 v24, v24, v27
	s_waitcnt lgkmcnt(0)
	v_mul_f32_e32 v20, v29, v16
	v_mul_f32_e32 v34, v29, v18
	v_fma_f32 v20, v28, v15, -v20
	v_mul_f32_e32 v27, v28, v16
	v_fma_f32 v34, v28, v17, -v34
	v_mul_f32_e32 v28, v28, v18
	v_fmac_f32_e32 v28, v29, v17
	v_add_f32_e32 v23, v23, v28
	v_mul_f32_e32 v28, v22, v16
	v_mul_f32_e32 v16, v21, v16
	v_fmac_f32_e32 v16, v22, v15
	v_fmac_f32_e32 v27, v29, v15
	v_fma_f32 v28, v21, v15, -v28
	v_add_f32_e32 v25, v25, v16
	v_mul_f32_e32 v15, v22, v18
	v_mul_f32_e32 v16, v21, v18
	v_fma_f32 v15, v21, v17, -v15
	v_fmac_f32_e32 v16, v22, v17
	v_add_f32_e32 v24, v24, v28
	v_add_f32_e32 v28, v19, v15
	;; [unrolled: 1-line block ×3, first 2 shown]
	ds_read2_b64 v[15:18], v13 offset0:128 offset1:144
	v_add_f32_e32 v20, v35, v20
	v_add_f32_e32 v27, v36, v27
	;; [unrolled: 1-line block ×3, first 2 shown]
	s_waitcnt lgkmcnt(0)
	v_mul_f32_e32 v19, v31, v16
	v_fma_f32 v19, v30, v15, -v19
	v_mul_f32_e32 v21, v30, v16
	v_add_f32_e32 v29, v20, v19
	v_mul_f32_e32 v19, v31, v18
	v_mul_f32_e32 v20, v30, v18
	v_fmac_f32_e32 v21, v31, v15
	v_fma_f32 v19, v30, v17, -v19
	v_fmac_f32_e32 v20, v31, v17
	v_add_f32_e32 v27, v27, v21
	v_add_f32_e32 v26, v26, v19
	;; [unrolled: 1-line block ×3, first 2 shown]
	ds_read_b128 v[19:22], v14 offset:1056
	s_waitcnt lgkmcnt(0)
	v_mul_f32_e32 v30, v20, v16
	v_mul_f32_e32 v16, v19, v16
	v_fmac_f32_e32 v16, v20, v15
	v_fma_f32 v30, v19, v15, -v30
	v_add_f32_e32 v25, v25, v16
	v_mul_f32_e32 v15, v20, v18
	v_mul_f32_e32 v16, v19, v18
	v_fma_f32 v15, v19, v17, -v15
	v_fmac_f32_e32 v16, v20, v17
	v_add_f32_e32 v19, v28, v15
	v_add_f32_e32 v10, v10, v16
	ds_read2_b64 v[15:18], v13 offset0:160 offset1:176
	v_add_f32_e32 v24, v24, v30
	s_waitcnt lgkmcnt(0)
	v_mul_f32_e32 v28, v32, v16
	v_fmac_f32_e32 v28, v33, v15
	v_add_f32_e32 v27, v27, v28
	v_mul_f32_e32 v28, v33, v18
	v_fma_f32 v28, v32, v17, -v28
	v_mul_f32_e32 v20, v33, v16
	v_add_f32_e32 v26, v26, v28
	v_mul_f32_e32 v28, v22, v16
	v_mul_f32_e32 v16, v21, v16
	v_fmac_f32_e32 v16, v22, v15
	v_fma_f32 v20, v32, v15, -v20
	v_fma_f32 v28, v21, v15, -v28
	v_add_f32_e32 v25, v25, v16
	v_mul_f32_e32 v15, v22, v18
	v_mul_f32_e32 v16, v21, v18
	v_add_f32_e32 v20, v29, v20
	v_mul_f32_e32 v29, v32, v18
	v_fma_f32 v15, v21, v17, -v15
	v_fmac_f32_e32 v16, v22, v17
	v_fmac_f32_e32 v29, v33, v17
	v_add_f32_e32 v19, v19, v15
	v_add_f32_e32 v10, v10, v16
	ds_read2_b64 v[15:18], v13 offset0:192 offset1:208
	v_add_f32_e32 v24, v24, v28
	v_add_f32_e32 v23, v23, v29
	s_waitcnt lgkmcnt(0)
	v_mul_f32_e32 v21, v3, v16
	v_fma_f32 v21, v2, v15, -v21
	v_add_f32_e32 v28, v20, v21
	v_mul_f32_e32 v20, v3, v18
	v_mul_f32_e32 v22, v2, v16
	v_fma_f32 v20, v2, v17, -v20
	v_mul_f32_e32 v2, v2, v18
	v_fmac_f32_e32 v22, v3, v15
	v_fmac_f32_e32 v2, v3, v17
	v_add_f32_e32 v29, v27, v22
	v_add_f32_e32 v3, v26, v20
	;; [unrolled: 1-line block ×3, first 2 shown]
	ds_read_b128 v[20:23], v14 offset:1072
	s_waitcnt lgkmcnt(0)
	v_mul_f32_e32 v26, v21, v16
	v_mul_f32_e32 v16, v20, v16
	v_fma_f32 v26, v20, v15, -v26
	v_fmac_f32_e32 v16, v21, v15
	v_add_f32_e32 v15, v24, v26
	v_add_f32_e32 v30, v25, v16
	ds_read2_b64 v[24:27], v13 offset0:224 offset1:240
	v_mul_f32_e32 v16, v21, v18
	v_fma_f32 v16, v20, v17, -v16
	v_add_f32_e32 v31, v19, v16
	v_mul_f32_e32 v18, v20, v18
	s_waitcnt lgkmcnt(0)
	v_mul_f32_e32 v16, v5, v25
	v_fma_f32 v16, v4, v24, -v16
	v_add_f32_e32 v20, v28, v16
	v_mul_f32_e32 v16, v5, v27
	v_fmac_f32_e32 v18, v21, v17
	v_mul_f32_e32 v17, v4, v25
	v_fma_f32 v16, v4, v26, -v16
	v_mul_f32_e32 v4, v4, v27
	v_fmac_f32_e32 v4, v5, v26
	v_add_f32_e32 v10, v10, v18
	v_add_f32_e32 v18, v3, v16
	;; [unrolled: 1-line block ×3, first 2 shown]
	v_mul_f32_e32 v2, v23, v25
	v_mul_f32_e32 v3, v22, v25
	v_fmac_f32_e32 v17, v5, v24
	v_fma_f32 v2, v22, v24, -v2
	v_fmac_f32_e32 v3, v23, v24
	v_add_f32_e32 v21, v29, v17
	v_add_f32_e32 v16, v15, v2
	;; [unrolled: 1-line block ×3, first 2 shown]
	v_mul_f32_e32 v2, v23, v27
	v_mul_f32_e32 v3, v22, v27
	v_fma_f32 v2, v22, v26, -v2
	v_fmac_f32_e32 v3, v23, v26
	v_add_f32_e32 v15, v31, v2
	v_add_f32_e32 v10, v10, v3
	v_mov_b32_e32 v3, s1
	v_mov_b32_e32 v2, s0
	v_cmp_le_u64_e32 vcc, s[12:13], v[2:3]
	s_barrier
	s_cbranch_vccz .LBB1724_2
	s_branch .LBB1724_4
.LBB1724_3:
	v_mov_b32_e32 v20, 0
	v_mov_b32_e32 v21, 0
	;; [unrolled: 1-line block ×8, first 2 shown]
.LBB1724_4:
	v_add_u32_e32 v5, s7, v1
	v_ashrrev_i32_e32 v1, 31, v5
	v_mul_lo_u32 v3, s2, v1
	v_mul_lo_u32 v4, s3, v5
	v_mad_u64_u32 v[1:2], s[0:1], s2, v5, 0
	s_load_dword s10, s[4:5], 0x0
	v_add_u32_e32 v0, s6, v0
	v_add3_u32 v2, v2, v3, v4
	v_lshlrev_b64 v[1:2], 3, v[1:2]
	s_waitcnt lgkmcnt(0)
	v_mov_b32_e32 v3, s9
	v_add_co_u32_e64 v4, s[0:1], s8, v1
	v_addc_co_u32_e64 v6, s[0:1], v3, v2, s[0:1]
	v_cmp_gt_i32_e32 vcc, s10, v5
	v_cmp_le_i32_e64 s[0:1], v0, v5
	s_and_b64 s[0:1], vcc, s[0:1]
	s_and_saveexec_b64 s[4:5], s[0:1]
	s_cbranch_execz .LBB1724_7
; %bb.5:
	v_mul_f32_e32 v1, s15, v21
	v_fma_f32 v7, v20, s14, -v1
	v_ashrrev_i32_e32 v1, 31, v0
	v_lshlrev_b64 v[1:2], 3, v[0:1]
	v_mul_f32_e32 v8, s14, v21
	v_add_co_u32_e64 v1, s[0:1], v4, v1
	v_addc_co_u32_e64 v2, s[0:1], v6, v2, s[0:1]
	v_fmac_f32_e32 v8, s15, v20
	v_cmp_eq_u32_e64 s[0:1], v5, v0
	flat_store_dwordx2 v[1:2], v[7:8]
	s_and_b64 exec, exec, s[0:1]
	s_cbranch_execz .LBB1724_7
; %bb.6:
	v_mov_b32_e32 v3, 0
	flat_store_dword v[1:2], v3 offset:4
.LBB1724_7:
	s_or_b64 exec, exec, s[4:5]
	v_add_u32_e32 v2, 16, v0
	v_cmp_le_i32_e64 s[0:1], v2, v5
	s_and_b64 s[4:5], vcc, s[0:1]
	s_and_saveexec_b64 s[0:1], s[4:5]
	s_cbranch_execz .LBB1724_10
; %bb.8:
	v_ashrrev_i32_e32 v3, 31, v2
	v_lshlrev_b64 v[11:12], 3, v[2:3]
	v_mul_f32_e32 v1, s15, v19
	v_add_co_u32_e32 v3, vcc, v4, v11
	v_mul_f32_e32 v8, s14, v19
	v_addc_co_u32_e32 v4, vcc, v6, v12, vcc
	v_fma_f32 v7, v18, s14, -v1
	v_fmac_f32_e32 v8, s15, v18
	v_cmp_eq_u32_e32 vcc, v5, v2
	flat_store_dwordx2 v[3:4], v[7:8]
	s_and_b64 exec, exec, vcc
	s_cbranch_execz .LBB1724_10
; %bb.9:
	v_mov_b32_e32 v1, 0
	flat_store_dword v[3:4], v1 offset:4
.LBB1724_10:
	s_or_b64 exec, exec, s[0:1]
	v_add_u32_e32 v8, 16, v5
	v_ashrrev_i32_e32 v1, 31, v8
	v_mul_lo_u32 v1, s2, v1
	v_mul_lo_u32 v6, s3, v8
	v_mad_u64_u32 v[3:4], s[0:1], s2, v8, 0
	v_cmp_gt_i32_e32 vcc, s10, v8
	v_add3_u32 v4, v4, v1, v6
	v_lshlrev_b64 v[3:4], 3, v[3:4]
	v_mov_b32_e32 v1, s9
	v_add_co_u32_e64 v6, s[0:1], s8, v3
	v_addc_co_u32_e64 v7, s[0:1], v1, v4, s[0:1]
	v_cmp_le_i32_e64 s[0:1], v0, v8
	s_and_b64 s[0:1], vcc, s[0:1]
	s_and_saveexec_b64 s[2:3], s[0:1]
	s_cbranch_execz .LBB1724_13
; %bb.11:
	v_mul_f32_e32 v1, s15, v17
	v_fma_f32 v11, v16, s14, -v1
	v_ashrrev_i32_e32 v1, 31, v0
	v_lshlrev_b64 v[3:4], 3, v[0:1]
	v_mul_f32_e32 v12, s14, v17
	v_add_co_u32_e64 v3, s[0:1], v6, v3
	v_addc_co_u32_e64 v4, s[0:1], v7, v4, s[0:1]
	v_fmac_f32_e32 v12, s15, v16
	v_cmp_eq_u32_e64 s[0:1], v8, v0
	flat_store_dwordx2 v[3:4], v[11:12]
	s_and_b64 exec, exec, s[0:1]
	s_cbranch_execz .LBB1724_13
; %bb.12:
	v_mov_b32_e32 v1, 0
	flat_store_dword v[3:4], v1 offset:4
.LBB1724_13:
	s_or_b64 exec, exec, s[2:3]
	v_cmp_le_i32_e64 s[0:1], v2, v8
	s_and_b64 s[0:1], vcc, s[0:1]
	s_and_saveexec_b64 s[2:3], s[0:1]
	s_cbranch_execz .LBB1724_16
; %bb.14:
	v_mul_f32_e32 v1, s15, v10
	v_ashrrev_i32_e32 v3, 31, v2
	v_fma_f32 v8, v15, s14, -v1
	v_lshlrev_b64 v[1:2], 3, v[2:3]
	v_mul_f32_e32 v9, s14, v10
	v_add_co_u32_e32 v1, vcc, v6, v1
	v_addc_co_u32_e32 v2, vcc, v7, v2, vcc
	v_fmac_f32_e32 v9, s15, v15
	v_cmp_eq_u32_e32 vcc, v5, v0
	flat_store_dwordx2 v[1:2], v[8:9]
	s_and_b64 exec, exec, vcc
	s_cbranch_execz .LBB1724_16
; %bb.15:
	v_mov_b32_e32 v0, 0
	flat_store_dword v[1:2], v0 offset:4
.LBB1724_16:
	s_endpgm
	.section	.rodata,"a",@progbits
	.p2align	6, 0x0
	.amdhsa_kernel _ZL37rocblas_syrkx_herkx_restricted_kernelIl19rocblas_complex_numIfELi16ELi32ELi8ELb1ELb1ELc67ELc85EKPKS1_KPS1_EviT_T0_PT8_S7_lSA_S7_lS8_PT9_S7_li
		.amdhsa_group_segment_fixed_size 4096
		.amdhsa_private_segment_fixed_size 0
		.amdhsa_kernarg_size 108
		.amdhsa_user_sgpr_count 6
		.amdhsa_user_sgpr_private_segment_buffer 1
		.amdhsa_user_sgpr_dispatch_ptr 0
		.amdhsa_user_sgpr_queue_ptr 0
		.amdhsa_user_sgpr_kernarg_segment_ptr 1
		.amdhsa_user_sgpr_dispatch_id 0
		.amdhsa_user_sgpr_flat_scratch_init 0
		.amdhsa_user_sgpr_private_segment_size 0
		.amdhsa_uses_dynamic_stack 0
		.amdhsa_system_sgpr_private_segment_wavefront_offset 0
		.amdhsa_system_sgpr_workgroup_id_x 1
		.amdhsa_system_sgpr_workgroup_id_y 1
		.amdhsa_system_sgpr_workgroup_id_z 1
		.amdhsa_system_sgpr_workgroup_info 0
		.amdhsa_system_vgpr_workitem_id 1
		.amdhsa_next_free_vgpr 41
		.amdhsa_next_free_sgpr 24
		.amdhsa_reserve_vcc 1
		.amdhsa_reserve_flat_scratch 0
		.amdhsa_float_round_mode_32 0
		.amdhsa_float_round_mode_16_64 0
		.amdhsa_float_denorm_mode_32 3
		.amdhsa_float_denorm_mode_16_64 3
		.amdhsa_dx10_clamp 1
		.amdhsa_ieee_mode 1
		.amdhsa_fp16_overflow 0
		.amdhsa_exception_fp_ieee_invalid_op 0
		.amdhsa_exception_fp_denorm_src 0
		.amdhsa_exception_fp_ieee_div_zero 0
		.amdhsa_exception_fp_ieee_overflow 0
		.amdhsa_exception_fp_ieee_underflow 0
		.amdhsa_exception_fp_ieee_inexact 0
		.amdhsa_exception_int_div_zero 0
	.end_amdhsa_kernel
	.section	.text._ZL37rocblas_syrkx_herkx_restricted_kernelIl19rocblas_complex_numIfELi16ELi32ELi8ELb1ELb1ELc67ELc85EKPKS1_KPS1_EviT_T0_PT8_S7_lSA_S7_lS8_PT9_S7_li,"axG",@progbits,_ZL37rocblas_syrkx_herkx_restricted_kernelIl19rocblas_complex_numIfELi16ELi32ELi8ELb1ELb1ELc67ELc85EKPKS1_KPS1_EviT_T0_PT8_S7_lSA_S7_lS8_PT9_S7_li,comdat
.Lfunc_end1724:
	.size	_ZL37rocblas_syrkx_herkx_restricted_kernelIl19rocblas_complex_numIfELi16ELi32ELi8ELb1ELb1ELc67ELc85EKPKS1_KPS1_EviT_T0_PT8_S7_lSA_S7_lS8_PT9_S7_li, .Lfunc_end1724-_ZL37rocblas_syrkx_herkx_restricted_kernelIl19rocblas_complex_numIfELi16ELi32ELi8ELb1ELb1ELc67ELc85EKPKS1_KPS1_EviT_T0_PT8_S7_lSA_S7_lS8_PT9_S7_li
                                        ; -- End function
	.set _ZL37rocblas_syrkx_herkx_restricted_kernelIl19rocblas_complex_numIfELi16ELi32ELi8ELb1ELb1ELc67ELc85EKPKS1_KPS1_EviT_T0_PT8_S7_lSA_S7_lS8_PT9_S7_li.num_vgpr, 41
	.set _ZL37rocblas_syrkx_herkx_restricted_kernelIl19rocblas_complex_numIfELi16ELi32ELi8ELb1ELb1ELc67ELc85EKPKS1_KPS1_EviT_T0_PT8_S7_lSA_S7_lS8_PT9_S7_li.num_agpr, 0
	.set _ZL37rocblas_syrkx_herkx_restricted_kernelIl19rocblas_complex_numIfELi16ELi32ELi8ELb1ELb1ELc67ELc85EKPKS1_KPS1_EviT_T0_PT8_S7_lSA_S7_lS8_PT9_S7_li.numbered_sgpr, 24
	.set _ZL37rocblas_syrkx_herkx_restricted_kernelIl19rocblas_complex_numIfELi16ELi32ELi8ELb1ELb1ELc67ELc85EKPKS1_KPS1_EviT_T0_PT8_S7_lSA_S7_lS8_PT9_S7_li.num_named_barrier, 0
	.set _ZL37rocblas_syrkx_herkx_restricted_kernelIl19rocblas_complex_numIfELi16ELi32ELi8ELb1ELb1ELc67ELc85EKPKS1_KPS1_EviT_T0_PT8_S7_lSA_S7_lS8_PT9_S7_li.private_seg_size, 0
	.set _ZL37rocblas_syrkx_herkx_restricted_kernelIl19rocblas_complex_numIfELi16ELi32ELi8ELb1ELb1ELc67ELc85EKPKS1_KPS1_EviT_T0_PT8_S7_lSA_S7_lS8_PT9_S7_li.uses_vcc, 1
	.set _ZL37rocblas_syrkx_herkx_restricted_kernelIl19rocblas_complex_numIfELi16ELi32ELi8ELb1ELb1ELc67ELc85EKPKS1_KPS1_EviT_T0_PT8_S7_lSA_S7_lS8_PT9_S7_li.uses_flat_scratch, 0
	.set _ZL37rocblas_syrkx_herkx_restricted_kernelIl19rocblas_complex_numIfELi16ELi32ELi8ELb1ELb1ELc67ELc85EKPKS1_KPS1_EviT_T0_PT8_S7_lSA_S7_lS8_PT9_S7_li.has_dyn_sized_stack, 0
	.set _ZL37rocblas_syrkx_herkx_restricted_kernelIl19rocblas_complex_numIfELi16ELi32ELi8ELb1ELb1ELc67ELc85EKPKS1_KPS1_EviT_T0_PT8_S7_lSA_S7_lS8_PT9_S7_li.has_recursion, 0
	.set _ZL37rocblas_syrkx_herkx_restricted_kernelIl19rocblas_complex_numIfELi16ELi32ELi8ELb1ELb1ELc67ELc85EKPKS1_KPS1_EviT_T0_PT8_S7_lSA_S7_lS8_PT9_S7_li.has_indirect_call, 0
	.section	.AMDGPU.csdata,"",@progbits
; Kernel info:
; codeLenInByte = 2132
; TotalNumSgprs: 28
; NumVgprs: 41
; ScratchSize: 0
; MemoryBound: 0
; FloatMode: 240
; IeeeMode: 1
; LDSByteSize: 4096 bytes/workgroup (compile time only)
; SGPRBlocks: 3
; VGPRBlocks: 10
; NumSGPRsForWavesPerEU: 28
; NumVGPRsForWavesPerEU: 41
; Occupancy: 5
; WaveLimiterHint : 1
; COMPUTE_PGM_RSRC2:SCRATCH_EN: 0
; COMPUTE_PGM_RSRC2:USER_SGPR: 6
; COMPUTE_PGM_RSRC2:TRAP_HANDLER: 0
; COMPUTE_PGM_RSRC2:TGID_X_EN: 1
; COMPUTE_PGM_RSRC2:TGID_Y_EN: 1
; COMPUTE_PGM_RSRC2:TGID_Z_EN: 1
; COMPUTE_PGM_RSRC2:TIDIG_COMP_CNT: 1
	.section	.text._ZL37rocblas_syrkx_herkx_restricted_kernelIl19rocblas_complex_numIfELi16ELi32ELi8ELb1ELb1ELc78ELc85EKPKS1_KPS1_EviT_T0_PT8_S7_lSA_S7_lS8_PT9_S7_li,"axG",@progbits,_ZL37rocblas_syrkx_herkx_restricted_kernelIl19rocblas_complex_numIfELi16ELi32ELi8ELb1ELb1ELc78ELc85EKPKS1_KPS1_EviT_T0_PT8_S7_lSA_S7_lS8_PT9_S7_li,comdat
	.globl	_ZL37rocblas_syrkx_herkx_restricted_kernelIl19rocblas_complex_numIfELi16ELi32ELi8ELb1ELb1ELc78ELc85EKPKS1_KPS1_EviT_T0_PT8_S7_lSA_S7_lS8_PT9_S7_li ; -- Begin function _ZL37rocblas_syrkx_herkx_restricted_kernelIl19rocblas_complex_numIfELi16ELi32ELi8ELb1ELb1ELc78ELc85EKPKS1_KPS1_EviT_T0_PT8_S7_lSA_S7_lS8_PT9_S7_li
	.p2align	8
	.type	_ZL37rocblas_syrkx_herkx_restricted_kernelIl19rocblas_complex_numIfELi16ELi32ELi8ELb1ELb1ELc78ELc85EKPKS1_KPS1_EviT_T0_PT8_S7_lSA_S7_lS8_PT9_S7_li,@function
_ZL37rocblas_syrkx_herkx_restricted_kernelIl19rocblas_complex_numIfELi16ELi32ELi8ELb1ELb1ELc78ELc85EKPKS1_KPS1_EviT_T0_PT8_S7_lSA_S7_lS8_PT9_S7_li: ; @_ZL37rocblas_syrkx_herkx_restricted_kernelIl19rocblas_complex_numIfELi16ELi32ELi8ELb1ELb1ELc78ELc85EKPKS1_KPS1_EviT_T0_PT8_S7_lSA_S7_lS8_PT9_S7_li
; %bb.0:
	s_load_dwordx4 s[0:3], s[4:5], 0x50
	s_load_dwordx8 s[12:19], s[4:5], 0x8
	s_mov_b32 s9, 0
	s_lshl_b64 s[22:23], s[8:9], 3
	s_waitcnt lgkmcnt(0)
	s_add_u32 s0, s0, s22
	s_addc_u32 s1, s1, s23
	s_load_dwordx2 s[20:21], s[0:1], 0x0
	v_cmp_lt_i64_e64 s[0:1], s[12:13], 1
	s_lshl_b32 s24, s6, 5
	s_lshl_b32 s25, s7, 5
	s_and_b64 vcc, exec, s[0:1]
	s_cbranch_vccnz .LBB1725_3
; %bb.1:
	s_load_dwordx4 s[8:11], s[4:5], 0x30
	v_lshl_add_u32 v5, v1, 4, v0
	v_lshrrev_b32_e32 v6, 3, v5
	v_add_u32_e32 v2, s25, v6
	v_and_b32_e32 v7, 7, v0
	v_ashrrev_i32_e32 v3, 31, v2
	s_waitcnt lgkmcnt(0)
	v_mad_u64_u32 v[2:3], s[6:7], s10, v7, v[2:3]
	s_add_u32 s0, s16, s22
	s_addc_u32 s1, s17, s23
	s_add_u32 s6, s8, s22
	s_addc_u32 s7, s9, s23
	v_mad_u64_u32 v[3:4], s[8:9], s11, v7, v[3:4]
	v_and_b32_e32 v4, 31, v5
	v_lshrrev_b32_e32 v8, 5, v5
	v_lshlrev_b32_e32 v5, 3, v4
	v_add_u32_e32 v4, s24, v4
	v_lshl_or_b32 v10, v8, 8, v5
	v_ashrrev_i32_e32 v5, 31, v4
	v_mad_u64_u32 v[4:5], s[8:9], s18, v8, v[4:5]
	v_lshlrev_b32_e32 v7, 3, v7
	v_lshl_or_b32 v6, v6, 6, v7
	v_add_u32_e32 v11, 0x800, v6
	v_mad_u64_u32 v[5:6], s[8:9], s19, v8, v[5:6]
	s_load_dwordx2 s[0:1], s[0:1], 0x0
	v_mov_b32_e32 v6, 0x800
	s_load_dwordx2 s[6:7], s[6:7], 0x0
	v_lshlrev_b64 v[4:5], 3, v[4:5]
	v_lshl_add_u32 v13, v1, 6, v6
	s_waitcnt lgkmcnt(0)
	v_mov_b32_e32 v7, s1
	v_add_co_u32_e32 v6, vcc, s0, v4
	v_lshlrev_b64 v[2:3], 3, v[2:3]
	v_addc_co_u32_e32 v7, vcc, v7, v5, vcc
	s_lshl_b64 s[0:1], s[18:19], 6
	v_mov_b32_e32 v4, s7
	v_add_co_u32_e32 v8, vcc, s6, v2
	s_lshl_b64 s[6:7], s[10:11], 6
	v_lshlrev_b32_e32 v12, 3, v0
	v_addc_co_u32_e32 v9, vcc, v4, v3, vcc
	v_mov_b32_e32 v16, 0
	s_mov_b64 s[8:9], 0
	v_mov_b32_e32 v14, s1
	v_mov_b32_e32 v15, s7
	;; [unrolled: 1-line block ×9, first 2 shown]
.LBB1725_2:                             ; =>This Inner Loop Header: Depth=1
	flat_load_dwordx2 v[2:3], v[6:7]
	v_add_co_u32_e32 v6, vcc, s0, v6
	s_add_u32 s8, s8, 8
	v_addc_co_u32_e32 v7, vcc, v7, v14, vcc
	s_addc_u32 s9, s9, 0
	s_waitcnt vmcnt(0) lgkmcnt(0)
	ds_write_b64 v10, v[2:3]
	flat_load_dwordx2 v[2:3], v[8:9]
	v_add_co_u32_e32 v8, vcc, s6, v8
	v_addc_co_u32_e32 v9, vcc, v9, v15, vcc
	s_waitcnt vmcnt(0) lgkmcnt(0)
	v_xor_b32_e32 v3, 0x80000000, v3
	ds_write_b64 v11, v[2:3]
	s_waitcnt lgkmcnt(0)
	s_barrier
	ds_read_b128 v[24:27], v13
	ds_read_b128 v[28:31], v13 offset:16
	ds_read_b128 v[32:35], v13 offset:32
	ds_read_b128 v[2:5], v13 offset:48
	ds_read2_b64 v[36:39], v12 offset1:16
	s_waitcnt lgkmcnt(0)
	v_mul_f32_e32 v40, v25, v37
	v_mul_f32_e32 v41, v24, v37
	v_fma_f32 v40, v24, v36, -v40
	v_fmac_f32_e32 v41, v25, v36
	v_add_f32_e32 v40, v22, v40
	v_add_f32_e32 v41, v23, v41
	v_mul_f32_e32 v22, v25, v39
	v_mul_f32_e32 v23, v24, v39
	v_fma_f32 v22, v24, v38, -v22
	v_fmac_f32_e32 v23, v25, v38
	v_add_f32_e32 v24, v20, v22
	v_add_f32_e32 v25, v21, v23
	ds_read_b128 v[20:23], v13 offset:1024
	s_waitcnt lgkmcnt(0)
	v_mul_f32_e32 v42, v21, v37
	v_mul_f32_e32 v37, v20, v37
	v_fma_f32 v42, v20, v36, -v42
	v_fmac_f32_e32 v37, v21, v36
	v_add_f32_e32 v36, v18, v42
	v_add_f32_e32 v37, v19, v37
	v_mul_f32_e32 v18, v21, v39
	v_mul_f32_e32 v19, v20, v39
	v_fma_f32 v18, v20, v38, -v18
	v_fmac_f32_e32 v19, v21, v38
	v_add_f32_e32 v20, v17, v18
	v_add_f32_e32 v21, v16, v19
	ds_read2_b64 v[16:19], v12 offset0:32 offset1:48
	s_waitcnt lgkmcnt(0)
	v_mul_f32_e32 v38, v27, v17
	v_fma_f32 v38, v26, v16, -v38
	v_add_f32_e32 v38, v40, v38
	v_mul_f32_e32 v40, v27, v19
	v_mul_f32_e32 v39, v26, v17
	v_fma_f32 v40, v26, v18, -v40
	v_mul_f32_e32 v26, v26, v19
	v_fmac_f32_e32 v26, v27, v18
	v_add_f32_e32 v25, v25, v26
	v_mul_f32_e32 v26, v23, v17
	v_mul_f32_e32 v17, v22, v17
	v_fmac_f32_e32 v17, v23, v16
	v_fmac_f32_e32 v39, v27, v16
	v_fma_f32 v26, v22, v16, -v26
	v_add_f32_e32 v27, v37, v17
	v_mul_f32_e32 v16, v23, v19
	v_mul_f32_e32 v17, v22, v19
	v_fma_f32 v16, v22, v18, -v16
	v_fmac_f32_e32 v17, v23, v18
	v_add_f32_e32 v26, v36, v26
	v_add_f32_e32 v36, v20, v16
	v_add_f32_e32 v37, v21, v17
	ds_read2_b64 v[16:19], v12 offset0:64 offset1:80
	v_add_f32_e32 v39, v41, v39
	v_add_f32_e32 v24, v24, v40
	s_waitcnt lgkmcnt(0)
	v_mul_f32_e32 v20, v29, v17
	v_mul_f32_e32 v21, v28, v17
	v_fma_f32 v20, v28, v16, -v20
	v_fmac_f32_e32 v21, v29, v16
	v_add_f32_e32 v38, v38, v20
	v_add_f32_e32 v39, v39, v21
	v_mul_f32_e32 v20, v29, v19
	v_mul_f32_e32 v21, v28, v19
	v_fma_f32 v20, v28, v18, -v20
	v_fmac_f32_e32 v21, v29, v18
	v_add_f32_e32 v24, v24, v20
	v_add_f32_e32 v25, v25, v21
	ds_read_b128 v[20:23], v13 offset:1040
	s_waitcnt lgkmcnt(0)
	v_mul_f32_e32 v28, v21, v17
	v_mul_f32_e32 v17, v20, v17
	v_fmac_f32_e32 v17, v21, v16
	v_fma_f32 v28, v20, v16, -v28
	v_add_f32_e32 v27, v27, v17
	v_mul_f32_e32 v16, v21, v19
	v_mul_f32_e32 v17, v20, v19
	v_fma_f32 v16, v20, v18, -v16
	v_fmac_f32_e32 v17, v21, v18
	v_add_f32_e32 v20, v36, v16
	v_add_f32_e32 v21, v37, v17
	ds_read2_b64 v[16:19], v12 offset0:96 offset1:112
	v_add_f32_e32 v26, v26, v28
	s_waitcnt lgkmcnt(0)
	v_mul_f32_e32 v28, v31, v17
	v_mul_f32_e32 v36, v31, v19
	v_fma_f32 v28, v30, v16, -v28
	v_mul_f32_e32 v29, v30, v17
	v_fma_f32 v36, v30, v18, -v36
	v_mul_f32_e32 v30, v30, v19
	v_fmac_f32_e32 v30, v31, v18
	v_add_f32_e32 v25, v25, v30
	v_mul_f32_e32 v30, v23, v17
	v_mul_f32_e32 v17, v22, v17
	v_fmac_f32_e32 v17, v23, v16
	v_fmac_f32_e32 v29, v31, v16
	v_fma_f32 v30, v22, v16, -v30
	v_add_f32_e32 v27, v27, v17
	v_mul_f32_e32 v16, v23, v19
	v_mul_f32_e32 v17, v22, v19
	v_fma_f32 v16, v22, v18, -v16
	v_fmac_f32_e32 v17, v23, v18
	v_add_f32_e32 v26, v26, v30
	v_add_f32_e32 v30, v20, v16
	;; [unrolled: 1-line block ×3, first 2 shown]
	ds_read2_b64 v[16:19], v12 offset0:128 offset1:144
	v_add_f32_e32 v28, v38, v28
	v_add_f32_e32 v29, v39, v29
	v_add_f32_e32 v24, v24, v36
	s_waitcnt lgkmcnt(0)
	v_mul_f32_e32 v20, v33, v17
	v_mul_f32_e32 v21, v32, v17
	v_fma_f32 v20, v32, v16, -v20
	v_fmac_f32_e32 v21, v33, v16
	v_add_f32_e32 v28, v28, v20
	v_add_f32_e32 v29, v29, v21
	v_mul_f32_e32 v20, v33, v19
	v_mul_f32_e32 v21, v32, v19
	v_fma_f32 v20, v32, v18, -v20
	v_fmac_f32_e32 v21, v33, v18
	v_add_f32_e32 v24, v24, v20
	v_add_f32_e32 v25, v25, v21
	ds_read_b128 v[20:23], v13 offset:1056
	s_waitcnt lgkmcnt(0)
	v_mul_f32_e32 v32, v21, v17
	v_mul_f32_e32 v17, v20, v17
	v_fmac_f32_e32 v17, v21, v16
	v_fma_f32 v32, v20, v16, -v32
	v_add_f32_e32 v27, v27, v17
	v_mul_f32_e32 v16, v21, v19
	v_mul_f32_e32 v17, v20, v19
	v_fma_f32 v16, v20, v18, -v16
	v_fmac_f32_e32 v17, v21, v18
	v_add_f32_e32 v20, v30, v16
	v_add_f32_e32 v21, v31, v17
	ds_read2_b64 v[16:19], v12 offset0:160 offset1:176
	v_add_f32_e32 v26, v26, v32
	s_waitcnt lgkmcnt(0)
	v_mul_f32_e32 v30, v35, v17
	v_fma_f32 v30, v34, v16, -v30
	v_add_f32_e32 v28, v28, v30
	v_mul_f32_e32 v30, v35, v19
	v_fma_f32 v30, v34, v18, -v30
	v_mul_f32_e32 v31, v34, v17
	v_add_f32_e32 v24, v24, v30
	v_mul_f32_e32 v30, v23, v17
	v_mul_f32_e32 v17, v22, v17
	v_fmac_f32_e32 v17, v23, v16
	v_fmac_f32_e32 v31, v35, v16
	v_fma_f32 v30, v22, v16, -v30
	v_add_f32_e32 v27, v27, v17
	v_mul_f32_e32 v16, v23, v19
	v_mul_f32_e32 v17, v22, v19
	v_add_f32_e32 v29, v29, v31
	v_mul_f32_e32 v31, v34, v19
	v_fma_f32 v16, v22, v18, -v16
	v_fmac_f32_e32 v17, v23, v18
	v_fmac_f32_e32 v31, v35, v18
	v_add_f32_e32 v20, v20, v16
	v_add_f32_e32 v21, v21, v17
	ds_read2_b64 v[16:19], v12 offset0:192 offset1:208
	v_add_f32_e32 v26, v26, v30
	v_add_f32_e32 v25, v25, v31
	s_waitcnt lgkmcnt(0)
	v_mul_f32_e32 v22, v3, v17
	v_fma_f32 v22, v2, v16, -v22
	v_add_f32_e32 v30, v28, v22
	v_mul_f32_e32 v22, v3, v19
	v_mul_f32_e32 v23, v2, v17
	v_fma_f32 v22, v2, v18, -v22
	v_mul_f32_e32 v2, v2, v19
	v_fmac_f32_e32 v23, v3, v16
	v_fmac_f32_e32 v2, v3, v18
	v_add_f32_e32 v31, v29, v23
	v_add_f32_e32 v3, v24, v22
	;; [unrolled: 1-line block ×3, first 2 shown]
	ds_read_b128 v[22:25], v13 offset:1072
	s_waitcnt lgkmcnt(0)
	v_mul_f32_e32 v28, v23, v17
	v_fma_f32 v28, v22, v16, -v28
	v_mul_f32_e32 v17, v22, v17
	v_fmac_f32_e32 v17, v23, v16
	v_add_f32_e32 v16, v26, v28
	v_mul_f32_e32 v26, v23, v19
	v_fma_f32 v26, v22, v18, -v26
	v_add_f32_e32 v17, v27, v17
	v_add_f32_e32 v32, v20, v26
	ds_read2_b64 v[26:29], v12 offset0:224 offset1:240
	v_mul_f32_e32 v19, v22, v19
	v_fmac_f32_e32 v19, v23, v18
	v_add_f32_e32 v33, v21, v19
	s_waitcnt lgkmcnt(0)
	v_mul_f32_e32 v18, v5, v27
	v_fma_f32 v18, v4, v26, -v18
	v_add_f32_e32 v22, v30, v18
	v_mul_f32_e32 v18, v5, v29
	v_mul_f32_e32 v19, v4, v27
	v_fma_f32 v18, v4, v28, -v18
	v_mul_f32_e32 v4, v4, v29
	v_fmac_f32_e32 v4, v5, v28
	v_add_f32_e32 v20, v3, v18
	v_add_f32_e32 v21, v2, v4
	v_mul_f32_e32 v2, v25, v27
	v_mul_f32_e32 v3, v24, v27
	v_fmac_f32_e32 v19, v5, v26
	v_fma_f32 v2, v24, v26, -v2
	v_fmac_f32_e32 v3, v25, v26
	v_add_f32_e32 v23, v31, v19
	v_add_f32_e32 v18, v16, v2
	;; [unrolled: 1-line block ×3, first 2 shown]
	v_mul_f32_e32 v2, v25, v29
	v_mul_f32_e32 v3, v24, v29
	v_fma_f32 v2, v24, v28, -v2
	v_fmac_f32_e32 v3, v25, v28
	v_add_f32_e32 v17, v32, v2
	v_add_f32_e32 v16, v33, v3
	v_mov_b32_e32 v2, s8
	v_mov_b32_e32 v3, s9
	v_cmp_le_u64_e32 vcc, s[12:13], v[2:3]
	s_barrier
	s_cbranch_vccz .LBB1725_2
	s_branch .LBB1725_4
.LBB1725_3:
	v_mov_b32_e32 v22, 0
	v_mov_b32_e32 v23, 0
	;; [unrolled: 1-line block ×8, first 2 shown]
.LBB1725_4:
	v_add_u32_e32 v5, s25, v1
	v_ashrrev_i32_e32 v1, 31, v5
	v_mul_lo_u32 v3, s2, v1
	v_mul_lo_u32 v4, s3, v5
	v_mad_u64_u32 v[1:2], s[0:1], s2, v5, 0
	s_load_dword s6, s[4:5], 0x0
	v_add_u32_e32 v0, s24, v0
	v_add3_u32 v2, v2, v3, v4
	v_lshlrev_b64 v[1:2], 3, v[1:2]
	s_waitcnt lgkmcnt(0)
	v_mov_b32_e32 v3, s21
	v_add_co_u32_e64 v4, s[0:1], s20, v1
	v_addc_co_u32_e64 v6, s[0:1], v3, v2, s[0:1]
	v_cmp_gt_i32_e32 vcc, s6, v5
	v_cmp_le_i32_e64 s[0:1], v0, v5
	s_and_b64 s[0:1], vcc, s[0:1]
	s_and_saveexec_b64 s[4:5], s[0:1]
	s_cbranch_execz .LBB1725_7
; %bb.5:
	v_mul_f32_e32 v1, s15, v23
	v_fma_f32 v7, v22, s14, -v1
	v_ashrrev_i32_e32 v1, 31, v0
	v_lshlrev_b64 v[1:2], 3, v[0:1]
	v_mul_f32_e32 v8, s14, v23
	v_add_co_u32_e64 v1, s[0:1], v4, v1
	v_addc_co_u32_e64 v2, s[0:1], v6, v2, s[0:1]
	v_fmac_f32_e32 v8, s15, v22
	v_cmp_eq_u32_e64 s[0:1], v5, v0
	flat_store_dwordx2 v[1:2], v[7:8]
	s_and_b64 exec, exec, s[0:1]
	s_cbranch_execz .LBB1725_7
; %bb.6:
	v_mov_b32_e32 v3, 0
	flat_store_dword v[1:2], v3 offset:4
.LBB1725_7:
	s_or_b64 exec, exec, s[4:5]
	v_add_u32_e32 v2, 16, v0
	v_cmp_le_i32_e64 s[0:1], v2, v5
	s_and_b64 s[4:5], vcc, s[0:1]
	s_and_saveexec_b64 s[0:1], s[4:5]
	s_cbranch_execz .LBB1725_10
; %bb.8:
	v_ashrrev_i32_e32 v3, 31, v2
	v_lshlrev_b64 v[9:10], 3, v[2:3]
	v_mul_f32_e32 v1, s15, v21
	v_add_co_u32_e32 v3, vcc, v4, v9
	v_mul_f32_e32 v8, s14, v21
	v_addc_co_u32_e32 v4, vcc, v6, v10, vcc
	v_fma_f32 v7, v20, s14, -v1
	v_fmac_f32_e32 v8, s15, v20
	v_cmp_eq_u32_e32 vcc, v5, v2
	flat_store_dwordx2 v[3:4], v[7:8]
	s_and_b64 exec, exec, vcc
	s_cbranch_execz .LBB1725_10
; %bb.9:
	v_mov_b32_e32 v1, 0
	flat_store_dword v[3:4], v1 offset:4
.LBB1725_10:
	s_or_b64 exec, exec, s[0:1]
	v_add_u32_e32 v8, 16, v5
	v_ashrrev_i32_e32 v1, 31, v8
	v_mul_lo_u32 v1, s2, v1
	v_mul_lo_u32 v6, s3, v8
	v_mad_u64_u32 v[3:4], s[0:1], s2, v8, 0
	v_cmp_gt_i32_e32 vcc, s6, v8
	v_add3_u32 v4, v4, v1, v6
	v_lshlrev_b64 v[3:4], 3, v[3:4]
	v_mov_b32_e32 v1, s21
	v_add_co_u32_e64 v6, s[0:1], s20, v3
	v_addc_co_u32_e64 v7, s[0:1], v1, v4, s[0:1]
	v_cmp_le_i32_e64 s[0:1], v0, v8
	s_and_b64 s[0:1], vcc, s[0:1]
	s_and_saveexec_b64 s[2:3], s[0:1]
	s_cbranch_execz .LBB1725_13
; %bb.11:
	v_mul_f32_e32 v1, s15, v19
	v_fma_f32 v9, v18, s14, -v1
	v_ashrrev_i32_e32 v1, 31, v0
	v_lshlrev_b64 v[3:4], 3, v[0:1]
	v_mul_f32_e32 v10, s14, v19
	v_add_co_u32_e64 v3, s[0:1], v6, v3
	v_addc_co_u32_e64 v4, s[0:1], v7, v4, s[0:1]
	v_fmac_f32_e32 v10, s15, v18
	v_cmp_eq_u32_e64 s[0:1], v8, v0
	flat_store_dwordx2 v[3:4], v[9:10]
	s_and_b64 exec, exec, s[0:1]
	s_cbranch_execz .LBB1725_13
; %bb.12:
	v_mov_b32_e32 v1, 0
	flat_store_dword v[3:4], v1 offset:4
.LBB1725_13:
	s_or_b64 exec, exec, s[2:3]
	v_cmp_le_i32_e64 s[0:1], v2, v8
	s_and_b64 s[0:1], vcc, s[0:1]
	s_and_saveexec_b64 s[2:3], s[0:1]
	s_cbranch_execz .LBB1725_16
; %bb.14:
	v_mul_f32_e32 v1, s15, v16
	v_ashrrev_i32_e32 v3, 31, v2
	v_fma_f32 v8, v17, s14, -v1
	v_lshlrev_b64 v[1:2], 3, v[2:3]
	v_mul_f32_e32 v9, s14, v16
	v_add_co_u32_e32 v1, vcc, v6, v1
	v_addc_co_u32_e32 v2, vcc, v7, v2, vcc
	v_fmac_f32_e32 v9, s15, v17
	v_cmp_eq_u32_e32 vcc, v5, v0
	flat_store_dwordx2 v[1:2], v[8:9]
	s_and_b64 exec, exec, vcc
	s_cbranch_execz .LBB1725_16
; %bb.15:
	v_mov_b32_e32 v0, 0
	flat_store_dword v[1:2], v0 offset:4
.LBB1725_16:
	s_endpgm
	.section	.rodata,"a",@progbits
	.p2align	6, 0x0
	.amdhsa_kernel _ZL37rocblas_syrkx_herkx_restricted_kernelIl19rocblas_complex_numIfELi16ELi32ELi8ELb1ELb1ELc78ELc85EKPKS1_KPS1_EviT_T0_PT8_S7_lSA_S7_lS8_PT9_S7_li
		.amdhsa_group_segment_fixed_size 4096
		.amdhsa_private_segment_fixed_size 0
		.amdhsa_kernarg_size 108
		.amdhsa_user_sgpr_count 6
		.amdhsa_user_sgpr_private_segment_buffer 1
		.amdhsa_user_sgpr_dispatch_ptr 0
		.amdhsa_user_sgpr_queue_ptr 0
		.amdhsa_user_sgpr_kernarg_segment_ptr 1
		.amdhsa_user_sgpr_dispatch_id 0
		.amdhsa_user_sgpr_flat_scratch_init 0
		.amdhsa_user_sgpr_private_segment_size 0
		.amdhsa_uses_dynamic_stack 0
		.amdhsa_system_sgpr_private_segment_wavefront_offset 0
		.amdhsa_system_sgpr_workgroup_id_x 1
		.amdhsa_system_sgpr_workgroup_id_y 1
		.amdhsa_system_sgpr_workgroup_id_z 1
		.amdhsa_system_sgpr_workgroup_info 0
		.amdhsa_system_vgpr_workitem_id 1
		.amdhsa_next_free_vgpr 43
		.amdhsa_next_free_sgpr 26
		.amdhsa_reserve_vcc 1
		.amdhsa_reserve_flat_scratch 0
		.amdhsa_float_round_mode_32 0
		.amdhsa_float_round_mode_16_64 0
		.amdhsa_float_denorm_mode_32 3
		.amdhsa_float_denorm_mode_16_64 3
		.amdhsa_dx10_clamp 1
		.amdhsa_ieee_mode 1
		.amdhsa_fp16_overflow 0
		.amdhsa_exception_fp_ieee_invalid_op 0
		.amdhsa_exception_fp_denorm_src 0
		.amdhsa_exception_fp_ieee_div_zero 0
		.amdhsa_exception_fp_ieee_overflow 0
		.amdhsa_exception_fp_ieee_underflow 0
		.amdhsa_exception_fp_ieee_inexact 0
		.amdhsa_exception_int_div_zero 0
	.end_amdhsa_kernel
	.section	.text._ZL37rocblas_syrkx_herkx_restricted_kernelIl19rocblas_complex_numIfELi16ELi32ELi8ELb1ELb1ELc78ELc85EKPKS1_KPS1_EviT_T0_PT8_S7_lSA_S7_lS8_PT9_S7_li,"axG",@progbits,_ZL37rocblas_syrkx_herkx_restricted_kernelIl19rocblas_complex_numIfELi16ELi32ELi8ELb1ELb1ELc78ELc85EKPKS1_KPS1_EviT_T0_PT8_S7_lSA_S7_lS8_PT9_S7_li,comdat
.Lfunc_end1725:
	.size	_ZL37rocblas_syrkx_herkx_restricted_kernelIl19rocblas_complex_numIfELi16ELi32ELi8ELb1ELb1ELc78ELc85EKPKS1_KPS1_EviT_T0_PT8_S7_lSA_S7_lS8_PT9_S7_li, .Lfunc_end1725-_ZL37rocblas_syrkx_herkx_restricted_kernelIl19rocblas_complex_numIfELi16ELi32ELi8ELb1ELb1ELc78ELc85EKPKS1_KPS1_EviT_T0_PT8_S7_lSA_S7_lS8_PT9_S7_li
                                        ; -- End function
	.set _ZL37rocblas_syrkx_herkx_restricted_kernelIl19rocblas_complex_numIfELi16ELi32ELi8ELb1ELb1ELc78ELc85EKPKS1_KPS1_EviT_T0_PT8_S7_lSA_S7_lS8_PT9_S7_li.num_vgpr, 43
	.set _ZL37rocblas_syrkx_herkx_restricted_kernelIl19rocblas_complex_numIfELi16ELi32ELi8ELb1ELb1ELc78ELc85EKPKS1_KPS1_EviT_T0_PT8_S7_lSA_S7_lS8_PT9_S7_li.num_agpr, 0
	.set _ZL37rocblas_syrkx_herkx_restricted_kernelIl19rocblas_complex_numIfELi16ELi32ELi8ELb1ELb1ELc78ELc85EKPKS1_KPS1_EviT_T0_PT8_S7_lSA_S7_lS8_PT9_S7_li.numbered_sgpr, 26
	.set _ZL37rocblas_syrkx_herkx_restricted_kernelIl19rocblas_complex_numIfELi16ELi32ELi8ELb1ELb1ELc78ELc85EKPKS1_KPS1_EviT_T0_PT8_S7_lSA_S7_lS8_PT9_S7_li.num_named_barrier, 0
	.set _ZL37rocblas_syrkx_herkx_restricted_kernelIl19rocblas_complex_numIfELi16ELi32ELi8ELb1ELb1ELc78ELc85EKPKS1_KPS1_EviT_T0_PT8_S7_lSA_S7_lS8_PT9_S7_li.private_seg_size, 0
	.set _ZL37rocblas_syrkx_herkx_restricted_kernelIl19rocblas_complex_numIfELi16ELi32ELi8ELb1ELb1ELc78ELc85EKPKS1_KPS1_EviT_T0_PT8_S7_lSA_S7_lS8_PT9_S7_li.uses_vcc, 1
	.set _ZL37rocblas_syrkx_herkx_restricted_kernelIl19rocblas_complex_numIfELi16ELi32ELi8ELb1ELb1ELc78ELc85EKPKS1_KPS1_EviT_T0_PT8_S7_lSA_S7_lS8_PT9_S7_li.uses_flat_scratch, 0
	.set _ZL37rocblas_syrkx_herkx_restricted_kernelIl19rocblas_complex_numIfELi16ELi32ELi8ELb1ELb1ELc78ELc85EKPKS1_KPS1_EviT_T0_PT8_S7_lSA_S7_lS8_PT9_S7_li.has_dyn_sized_stack, 0
	.set _ZL37rocblas_syrkx_herkx_restricted_kernelIl19rocblas_complex_numIfELi16ELi32ELi8ELb1ELb1ELc78ELc85EKPKS1_KPS1_EviT_T0_PT8_S7_lSA_S7_lS8_PT9_S7_li.has_recursion, 0
	.set _ZL37rocblas_syrkx_herkx_restricted_kernelIl19rocblas_complex_numIfELi16ELi32ELi8ELb1ELb1ELc78ELc85EKPKS1_KPS1_EviT_T0_PT8_S7_lSA_S7_lS8_PT9_S7_li.has_indirect_call, 0
	.section	.AMDGPU.csdata,"",@progbits
; Kernel info:
; codeLenInByte = 2112
; TotalNumSgprs: 30
; NumVgprs: 43
; ScratchSize: 0
; MemoryBound: 0
; FloatMode: 240
; IeeeMode: 1
; LDSByteSize: 4096 bytes/workgroup (compile time only)
; SGPRBlocks: 3
; VGPRBlocks: 10
; NumSGPRsForWavesPerEU: 30
; NumVGPRsForWavesPerEU: 43
; Occupancy: 5
; WaveLimiterHint : 1
; COMPUTE_PGM_RSRC2:SCRATCH_EN: 0
; COMPUTE_PGM_RSRC2:USER_SGPR: 6
; COMPUTE_PGM_RSRC2:TRAP_HANDLER: 0
; COMPUTE_PGM_RSRC2:TGID_X_EN: 1
; COMPUTE_PGM_RSRC2:TGID_Y_EN: 1
; COMPUTE_PGM_RSRC2:TGID_Z_EN: 1
; COMPUTE_PGM_RSRC2:TIDIG_COMP_CNT: 1
	.section	.text._ZL37rocblas_syrkx_herkx_restricted_kernelIl19rocblas_complex_numIfELi16ELi32ELi8ELb0ELb1ELc84ELc76EKPKS1_KPS1_EviT_T0_PT8_S7_lSA_S7_lS8_PT9_S7_li,"axG",@progbits,_ZL37rocblas_syrkx_herkx_restricted_kernelIl19rocblas_complex_numIfELi16ELi32ELi8ELb0ELb1ELc84ELc76EKPKS1_KPS1_EviT_T0_PT8_S7_lSA_S7_lS8_PT9_S7_li,comdat
	.globl	_ZL37rocblas_syrkx_herkx_restricted_kernelIl19rocblas_complex_numIfELi16ELi32ELi8ELb0ELb1ELc84ELc76EKPKS1_KPS1_EviT_T0_PT8_S7_lSA_S7_lS8_PT9_S7_li ; -- Begin function _ZL37rocblas_syrkx_herkx_restricted_kernelIl19rocblas_complex_numIfELi16ELi32ELi8ELb0ELb1ELc84ELc76EKPKS1_KPS1_EviT_T0_PT8_S7_lSA_S7_lS8_PT9_S7_li
	.p2align	8
	.type	_ZL37rocblas_syrkx_herkx_restricted_kernelIl19rocblas_complex_numIfELi16ELi32ELi8ELb0ELb1ELc84ELc76EKPKS1_KPS1_EviT_T0_PT8_S7_lSA_S7_lS8_PT9_S7_li,@function
_ZL37rocblas_syrkx_herkx_restricted_kernelIl19rocblas_complex_numIfELi16ELi32ELi8ELb0ELb1ELc84ELc76EKPKS1_KPS1_EviT_T0_PT8_S7_lSA_S7_lS8_PT9_S7_li: ; @_ZL37rocblas_syrkx_herkx_restricted_kernelIl19rocblas_complex_numIfELi16ELi32ELi8ELb0ELb1ELc84ELc76EKPKS1_KPS1_EviT_T0_PT8_S7_lSA_S7_lS8_PT9_S7_li
; %bb.0:
	s_load_dwordx4 s[20:23], s[4:5], 0x48
	s_load_dwordx2 s[10:11], s[4:5], 0x58
	s_load_dwordx8 s[12:19], s[4:5], 0x8
	s_mov_b32 s9, 0
	s_lshl_b64 s[0:1], s[8:9], 3
	s_waitcnt lgkmcnt(0)
	s_add_u32 s2, s22, s0
	s_addc_u32 s3, s23, s1
	s_load_dwordx2 s[8:9], s[2:3], 0x0
	v_cmp_lt_i64_e64 s[22:23], s[12:13], 1
	s_lshl_b32 s2, s6, 5
	s_lshl_b32 s3, s7, 5
	s_and_b64 vcc, exec, s[22:23]
	s_cbranch_vccnz .LBB1726_3
; %bb.1:
	s_load_dwordx4 s[24:27], s[4:5], 0x30
	v_lshl_add_u32 v5, v1, 4, v0
	v_lshrrev_b32_e32 v6, 3, v5
	v_add_u32_e32 v2, s3, v6
	s_add_u32 s6, s16, s0
	v_and_b32_e32 v9, 7, v0
	v_ashrrev_i32_e32 v3, 31, v2
	v_mov_b32_e32 v10, 0
	s_addc_u32 s7, s17, s1
	s_waitcnt lgkmcnt(0)
	v_mul_lo_u32 v7, s26, v3
	v_mul_lo_u32 v8, s27, v2
	v_mad_u64_u32 v[2:3], s[16:17], s26, v2, v[9:10]
	v_and_b32_e32 v13, 31, v5
	v_lshrrev_b32_e32 v4, 5, v5
	v_add3_u32 v3, v8, v3, v7
	v_lshlrev_b32_e32 v7, 3, v13
	v_lshl_or_b32 v11, v4, 8, v7
	v_lshlrev_b32_e32 v7, 3, v9
	v_lshl_or_b32 v6, v6, 6, v7
	v_add_u32_e32 v12, 0x800, v6
	v_add_u32_e32 v6, s2, v13
	v_mov_b32_e32 v5, v10
	v_ashrrev_i32_e32 v7, 31, v6
	v_mul_lo_u32 v7, s18, v7
	v_mad_u64_u32 v[4:5], s[16:17], s18, v6, v[4:5]
	v_mul_lo_u32 v6, s19, v6
	s_load_dwordx2 s[6:7], s[6:7], 0x0
	s_add_u32 s0, s24, s0
	s_addc_u32 s1, s25, s1
	s_load_dwordx2 s[0:1], s[0:1], 0x0
	v_add3_u32 v5, v6, v5, v7
	v_lshlrev_b64 v[4:5], 3, v[4:5]
	s_waitcnt lgkmcnt(0)
	v_mov_b32_e32 v7, s7
	v_add_co_u32_e32 v6, vcc, s6, v4
	v_lshlrev_b64 v[2:3], 3, v[2:3]
	v_mov_b32_e32 v8, 0x800
	v_addc_co_u32_e32 v7, vcc, v7, v5, vcc
	v_lshl_add_u32 v14, v1, 6, v8
	v_mov_b32_e32 v4, s1
	v_add_co_u32_e32 v8, vcc, s0, v2
	v_lshlrev_b32_e32 v13, 3, v0
	v_addc_co_u32_e32 v9, vcc, v4, v3, vcc
	s_mov_b64 s[0:1], 0
	v_mov_b32_e32 v15, v10
	v_mov_b32_e32 v17, v10
	;; [unrolled: 1-line block ×7, first 2 shown]
.LBB1726_2:                             ; =>This Inner Loop Header: Depth=1
	flat_load_dwordx2 v[2:3], v[6:7]
	s_add_u32 s0, s0, 8
	v_add_co_u32_e32 v6, vcc, 64, v6
	s_addc_u32 s1, s1, 0
	v_addc_co_u32_e32 v7, vcc, 0, v7, vcc
	s_waitcnt vmcnt(0) lgkmcnt(0)
	ds_write_b64 v11, v[2:3]
	flat_load_dwordx2 v[2:3], v[8:9]
	v_add_co_u32_e32 v8, vcc, 64, v8
	v_addc_co_u32_e32 v9, vcc, 0, v9, vcc
	s_waitcnt vmcnt(0) lgkmcnt(0)
	ds_write_b64 v12, v[2:3]
	s_waitcnt lgkmcnt(0)
	s_barrier
	ds_read_b128 v[22:25], v14
	ds_read_b128 v[26:29], v14 offset:16
	ds_read_b128 v[30:33], v14 offset:32
	ds_read_b128 v[2:5], v14 offset:48
	ds_read2_b64 v[34:37], v13 offset1:16
	s_waitcnt lgkmcnt(0)
	v_mul_f32_e32 v38, v23, v35
	v_mul_f32_e32 v39, v22, v35
	v_fma_f32 v38, v22, v34, -v38
	v_fmac_f32_e32 v39, v23, v34
	v_add_f32_e32 v38, v20, v38
	v_add_f32_e32 v39, v21, v39
	v_mul_f32_e32 v20, v23, v37
	v_mul_f32_e32 v21, v22, v37
	v_fma_f32 v20, v22, v36, -v20
	v_fmac_f32_e32 v21, v23, v36
	v_add_f32_e32 v22, v18, v20
	v_add_f32_e32 v23, v19, v21
	ds_read_b128 v[18:21], v14 offset:1024
	s_waitcnt lgkmcnt(0)
	v_mul_f32_e32 v40, v19, v35
	v_mul_f32_e32 v35, v18, v35
	v_fma_f32 v40, v18, v34, -v40
	v_fmac_f32_e32 v35, v19, v34
	v_add_f32_e32 v34, v16, v40
	v_add_f32_e32 v35, v17, v35
	v_mul_f32_e32 v16, v19, v37
	v_mul_f32_e32 v17, v18, v37
	v_fma_f32 v16, v18, v36, -v16
	v_fmac_f32_e32 v17, v19, v36
	v_add_f32_e32 v19, v15, v16
	v_add_f32_e32 v10, v10, v17
	ds_read2_b64 v[15:18], v13 offset0:32 offset1:48
	s_waitcnt lgkmcnt(0)
	v_mul_f32_e32 v36, v25, v16
	v_fma_f32 v36, v24, v15, -v36
	v_add_f32_e32 v36, v38, v36
	v_mul_f32_e32 v38, v25, v18
	v_mul_f32_e32 v37, v24, v16
	v_fma_f32 v38, v24, v17, -v38
	v_mul_f32_e32 v24, v24, v18
	v_fmac_f32_e32 v24, v25, v17
	v_add_f32_e32 v23, v23, v24
	v_mul_f32_e32 v24, v21, v16
	v_mul_f32_e32 v16, v20, v16
	v_fmac_f32_e32 v16, v21, v15
	v_fmac_f32_e32 v37, v25, v15
	v_fma_f32 v24, v20, v15, -v24
	v_add_f32_e32 v25, v35, v16
	v_mul_f32_e32 v15, v21, v18
	v_mul_f32_e32 v16, v20, v18
	v_fma_f32 v15, v20, v17, -v15
	v_fmac_f32_e32 v16, v21, v17
	v_add_f32_e32 v24, v34, v24
	v_add_f32_e32 v34, v19, v15
	;; [unrolled: 1-line block ×3, first 2 shown]
	ds_read2_b64 v[15:18], v13 offset0:64 offset1:80
	v_add_f32_e32 v37, v39, v37
	v_add_f32_e32 v22, v22, v38
	s_waitcnt lgkmcnt(0)
	v_mul_f32_e32 v19, v27, v16
	v_mul_f32_e32 v20, v26, v16
	v_fma_f32 v19, v26, v15, -v19
	v_fmac_f32_e32 v20, v27, v15
	v_add_f32_e32 v35, v36, v19
	v_add_f32_e32 v36, v37, v20
	v_mul_f32_e32 v19, v27, v18
	v_mul_f32_e32 v20, v26, v18
	v_fma_f32 v19, v26, v17, -v19
	v_fmac_f32_e32 v20, v27, v17
	v_add_f32_e32 v26, v22, v19
	v_add_f32_e32 v23, v23, v20
	ds_read_b128 v[19:22], v14 offset:1040
	s_waitcnt lgkmcnt(0)
	v_mul_f32_e32 v27, v20, v16
	v_mul_f32_e32 v16, v19, v16
	v_fmac_f32_e32 v16, v20, v15
	v_fma_f32 v27, v19, v15, -v27
	v_add_f32_e32 v25, v25, v16
	v_mul_f32_e32 v15, v20, v18
	v_mul_f32_e32 v16, v19, v18
	v_fma_f32 v15, v19, v17, -v15
	v_fmac_f32_e32 v16, v20, v17
	v_add_f32_e32 v19, v34, v15
	v_add_f32_e32 v10, v10, v16
	ds_read2_b64 v[15:18], v13 offset0:96 offset1:112
	v_add_f32_e32 v24, v24, v27
	s_waitcnt lgkmcnt(0)
	v_mul_f32_e32 v20, v29, v16
	v_mul_f32_e32 v34, v29, v18
	v_fma_f32 v20, v28, v15, -v20
	v_mul_f32_e32 v27, v28, v16
	v_fma_f32 v34, v28, v17, -v34
	v_mul_f32_e32 v28, v28, v18
	v_fmac_f32_e32 v28, v29, v17
	v_add_f32_e32 v23, v23, v28
	v_mul_f32_e32 v28, v22, v16
	v_mul_f32_e32 v16, v21, v16
	v_fmac_f32_e32 v16, v22, v15
	v_fmac_f32_e32 v27, v29, v15
	v_fma_f32 v28, v21, v15, -v28
	v_add_f32_e32 v25, v25, v16
	v_mul_f32_e32 v15, v22, v18
	v_mul_f32_e32 v16, v21, v18
	v_fma_f32 v15, v21, v17, -v15
	v_fmac_f32_e32 v16, v22, v17
	v_add_f32_e32 v24, v24, v28
	v_add_f32_e32 v28, v19, v15
	;; [unrolled: 1-line block ×3, first 2 shown]
	ds_read2_b64 v[15:18], v13 offset0:128 offset1:144
	v_add_f32_e32 v20, v35, v20
	v_add_f32_e32 v27, v36, v27
	;; [unrolled: 1-line block ×3, first 2 shown]
	s_waitcnt lgkmcnt(0)
	v_mul_f32_e32 v19, v31, v16
	v_fma_f32 v19, v30, v15, -v19
	v_mul_f32_e32 v21, v30, v16
	v_add_f32_e32 v29, v20, v19
	v_mul_f32_e32 v19, v31, v18
	v_mul_f32_e32 v20, v30, v18
	v_fmac_f32_e32 v21, v31, v15
	v_fma_f32 v19, v30, v17, -v19
	v_fmac_f32_e32 v20, v31, v17
	v_add_f32_e32 v27, v27, v21
	v_add_f32_e32 v26, v26, v19
	;; [unrolled: 1-line block ×3, first 2 shown]
	ds_read_b128 v[19:22], v14 offset:1056
	s_waitcnt lgkmcnt(0)
	v_mul_f32_e32 v30, v20, v16
	v_mul_f32_e32 v16, v19, v16
	v_fmac_f32_e32 v16, v20, v15
	v_fma_f32 v30, v19, v15, -v30
	v_add_f32_e32 v25, v25, v16
	v_mul_f32_e32 v15, v20, v18
	v_mul_f32_e32 v16, v19, v18
	v_fma_f32 v15, v19, v17, -v15
	v_fmac_f32_e32 v16, v20, v17
	v_add_f32_e32 v19, v28, v15
	v_add_f32_e32 v10, v10, v16
	ds_read2_b64 v[15:18], v13 offset0:160 offset1:176
	v_add_f32_e32 v24, v24, v30
	s_waitcnt lgkmcnt(0)
	v_mul_f32_e32 v28, v32, v16
	v_fmac_f32_e32 v28, v33, v15
	v_add_f32_e32 v27, v27, v28
	v_mul_f32_e32 v28, v33, v18
	v_fma_f32 v28, v32, v17, -v28
	v_mul_f32_e32 v20, v33, v16
	v_add_f32_e32 v26, v26, v28
	v_mul_f32_e32 v28, v22, v16
	v_mul_f32_e32 v16, v21, v16
	v_fmac_f32_e32 v16, v22, v15
	v_fma_f32 v20, v32, v15, -v20
	v_fma_f32 v28, v21, v15, -v28
	v_add_f32_e32 v25, v25, v16
	v_mul_f32_e32 v15, v22, v18
	v_mul_f32_e32 v16, v21, v18
	v_add_f32_e32 v20, v29, v20
	v_mul_f32_e32 v29, v32, v18
	v_fma_f32 v15, v21, v17, -v15
	v_fmac_f32_e32 v16, v22, v17
	v_fmac_f32_e32 v29, v33, v17
	v_add_f32_e32 v19, v19, v15
	v_add_f32_e32 v10, v10, v16
	ds_read2_b64 v[15:18], v13 offset0:192 offset1:208
	v_add_f32_e32 v24, v24, v28
	v_add_f32_e32 v23, v23, v29
	s_waitcnt lgkmcnt(0)
	v_mul_f32_e32 v21, v3, v16
	v_fma_f32 v21, v2, v15, -v21
	v_add_f32_e32 v28, v20, v21
	v_mul_f32_e32 v20, v3, v18
	v_mul_f32_e32 v22, v2, v16
	v_fma_f32 v20, v2, v17, -v20
	v_mul_f32_e32 v2, v2, v18
	v_fmac_f32_e32 v22, v3, v15
	v_fmac_f32_e32 v2, v3, v17
	v_add_f32_e32 v29, v27, v22
	v_add_f32_e32 v3, v26, v20
	v_add_f32_e32 v2, v23, v2
	ds_read_b128 v[20:23], v14 offset:1072
	s_waitcnt lgkmcnt(0)
	v_mul_f32_e32 v26, v21, v16
	v_mul_f32_e32 v16, v20, v16
	v_fma_f32 v26, v20, v15, -v26
	v_fmac_f32_e32 v16, v21, v15
	v_add_f32_e32 v15, v24, v26
	v_add_f32_e32 v30, v25, v16
	ds_read2_b64 v[24:27], v13 offset0:224 offset1:240
	v_mul_f32_e32 v16, v21, v18
	v_fma_f32 v16, v20, v17, -v16
	v_add_f32_e32 v31, v19, v16
	v_mul_f32_e32 v18, v20, v18
	s_waitcnt lgkmcnt(0)
	v_mul_f32_e32 v16, v5, v25
	v_fma_f32 v16, v4, v24, -v16
	v_add_f32_e32 v20, v28, v16
	v_mul_f32_e32 v16, v5, v27
	v_fmac_f32_e32 v18, v21, v17
	v_mul_f32_e32 v17, v4, v25
	v_fma_f32 v16, v4, v26, -v16
	v_mul_f32_e32 v4, v4, v27
	v_fmac_f32_e32 v4, v5, v26
	v_add_f32_e32 v10, v10, v18
	v_add_f32_e32 v18, v3, v16
	;; [unrolled: 1-line block ×3, first 2 shown]
	v_mul_f32_e32 v2, v23, v25
	v_mul_f32_e32 v3, v22, v25
	v_fmac_f32_e32 v17, v5, v24
	v_fma_f32 v2, v22, v24, -v2
	v_fmac_f32_e32 v3, v23, v24
	v_add_f32_e32 v21, v29, v17
	v_add_f32_e32 v16, v15, v2
	;; [unrolled: 1-line block ×3, first 2 shown]
	v_mul_f32_e32 v2, v23, v27
	v_mul_f32_e32 v3, v22, v27
	v_fma_f32 v2, v22, v26, -v2
	v_fmac_f32_e32 v3, v23, v26
	v_add_f32_e32 v15, v31, v2
	v_add_f32_e32 v10, v10, v3
	v_mov_b32_e32 v3, s1
	v_mov_b32_e32 v2, s0
	v_cmp_le_u64_e32 vcc, s[12:13], v[2:3]
	s_barrier
	s_cbranch_vccz .LBB1726_2
	s_branch .LBB1726_4
.LBB1726_3:
	v_mov_b32_e32 v20, 0
	v_mov_b32_e32 v21, 0
	;; [unrolled: 1-line block ×8, first 2 shown]
.LBB1726_4:
	v_add_u32_e32 v5, s3, v1
	v_ashrrev_i32_e32 v1, 31, v5
	v_mul_lo_u32 v3, s10, v1
	v_mul_lo_u32 v4, s11, v5
	v_mad_u64_u32 v[1:2], s[0:1], s10, v5, 0
	s_load_dword s4, s[4:5], 0x0
	v_add_u32_e32 v0, s2, v0
	v_add3_u32 v2, v2, v3, v4
	v_lshlrev_b64 v[1:2], 3, v[1:2]
	s_waitcnt lgkmcnt(0)
	v_mov_b32_e32 v3, s9
	v_add_co_u32_e32 v4, vcc, s8, v1
	v_addc_co_u32_e32 v6, vcc, v3, v2, vcc
	v_cmp_le_i32_e64 s[0:1], v5, v0
	v_cmp_gt_i32_e32 vcc, s4, v0
	s_and_b64 s[0:1], s[0:1], vcc
	s_and_saveexec_b64 s[2:3], s[0:1]
	s_cbranch_execz .LBB1726_7
; %bb.5:
	v_ashrrev_i32_e32 v1, 31, v0
	v_lshlrev_b64 v[1:2], 3, v[0:1]
	v_mul_f32_e32 v3, s15, v21
	v_add_co_u32_e64 v1, s[0:1], v4, v1
	v_addc_co_u32_e64 v2, s[0:1], v6, v2, s[0:1]
	flat_load_dwordx2 v[7:8], v[1:2]
	v_mul_f32_e32 v9, s14, v21
	v_fma_f32 v3, v20, s14, -v3
	v_fmac_f32_e32 v9, s15, v20
	v_cmp_eq_u32_e64 s[0:1], v5, v0
	s_waitcnt vmcnt(0) lgkmcnt(0)
	v_mul_f32_e32 v11, s21, v8
	v_mul_f32_e32 v8, s20, v8
	v_fma_f32 v11, v7, s20, -v11
	v_fmac_f32_e32 v8, s21, v7
	v_add_f32_e32 v7, v3, v11
	v_add_f32_e32 v8, v9, v8
	flat_store_dwordx2 v[1:2], v[7:8]
	s_and_b64 exec, exec, s[0:1]
	s_cbranch_execz .LBB1726_7
; %bb.6:
	v_mov_b32_e32 v3, 0
	flat_store_dword v[1:2], v3 offset:4
.LBB1726_7:
	s_or_b64 exec, exec, s[2:3]
	v_add_u32_e32 v2, 16, v0
	v_cmp_le_i32_e64 s[2:3], v5, v2
	v_cmp_gt_i32_e64 s[0:1], s4, v2
	s_and_b64 s[2:3], s[2:3], s[0:1]
	s_and_saveexec_b64 s[4:5], s[2:3]
	s_cbranch_execz .LBB1726_10
; %bb.8:
	v_ashrrev_i32_e32 v3, 31, v2
	v_lshlrev_b64 v[7:8], 3, v[2:3]
	v_mul_f32_e32 v1, s15, v19
	v_add_co_u32_e64 v3, s[2:3], v4, v7
	v_addc_co_u32_e64 v4, s[2:3], v6, v8, s[2:3]
	flat_load_dwordx2 v[6:7], v[3:4]
	v_mul_f32_e32 v8, s14, v19
	v_fma_f32 v1, v18, s14, -v1
	v_fmac_f32_e32 v8, s15, v18
	v_cmp_eq_u32_e64 s[2:3], v5, v2
	s_waitcnt vmcnt(0) lgkmcnt(0)
	v_mul_f32_e32 v9, s21, v7
	v_mul_f32_e32 v7, s20, v7
	v_fma_f32 v9, v6, s20, -v9
	v_fmac_f32_e32 v7, s21, v6
	v_add_f32_e32 v6, v1, v9
	v_add_f32_e32 v7, v8, v7
	flat_store_dwordx2 v[3:4], v[6:7]
	s_and_b64 exec, exec, s[2:3]
	s_cbranch_execz .LBB1726_10
; %bb.9:
	v_mov_b32_e32 v1, 0
	flat_store_dword v[3:4], v1 offset:4
.LBB1726_10:
	s_or_b64 exec, exec, s[4:5]
	v_add_u32_e32 v8, 16, v5
	v_ashrrev_i32_e32 v1, 31, v8
	v_mul_lo_u32 v6, s11, v8
	v_mad_u64_u32 v[3:4], s[2:3], s10, v8, 0
	v_mul_lo_u32 v1, s10, v1
	v_add3_u32 v4, v4, v1, v6
	v_lshlrev_b64 v[3:4], 3, v[3:4]
	v_mov_b32_e32 v1, s9
	v_add_co_u32_e64 v6, s[2:3], s8, v3
	v_addc_co_u32_e64 v7, s[2:3], v1, v4, s[2:3]
	v_cmp_le_i32_e64 s[2:3], v8, v0
	s_and_b64 s[4:5], s[2:3], vcc
	s_and_saveexec_b64 s[2:3], s[4:5]
	s_cbranch_execz .LBB1726_13
; %bb.11:
	v_ashrrev_i32_e32 v1, 31, v0
	v_lshlrev_b64 v[3:4], 3, v[0:1]
	v_mul_f32_e32 v1, s15, v17
	v_add_co_u32_e32 v3, vcc, v6, v3
	v_addc_co_u32_e32 v4, vcc, v7, v4, vcc
	flat_load_dwordx2 v[11:12], v[3:4]
	v_mul_f32_e32 v9, s14, v17
	v_fma_f32 v1, v16, s14, -v1
	v_fmac_f32_e32 v9, s15, v16
	v_cmp_eq_u32_e32 vcc, v8, v0
	s_waitcnt vmcnt(0) lgkmcnt(0)
	v_mul_f32_e32 v13, s21, v12
	v_mul_f32_e32 v12, s20, v12
	v_fma_f32 v13, v11, s20, -v13
	v_fmac_f32_e32 v12, s21, v11
	v_add_f32_e32 v11, v1, v13
	v_add_f32_e32 v12, v9, v12
	flat_store_dwordx2 v[3:4], v[11:12]
	s_and_b64 exec, exec, vcc
	s_cbranch_execz .LBB1726_13
; %bb.12:
	v_mov_b32_e32 v1, 0
	flat_store_dword v[3:4], v1 offset:4
.LBB1726_13:
	s_or_b64 exec, exec, s[2:3]
	v_cmp_le_i32_e32 vcc, v8, v2
	s_and_b64 s[0:1], vcc, s[0:1]
	s_and_saveexec_b64 s[2:3], s[0:1]
	s_cbranch_execz .LBB1726_16
; %bb.14:
	v_ashrrev_i32_e32 v3, 31, v2
	v_lshlrev_b64 v[1:2], 3, v[2:3]
	v_add_co_u32_e32 v1, vcc, v6, v1
	v_addc_co_u32_e32 v2, vcc, v7, v2, vcc
	flat_load_dwordx2 v[3:4], v[1:2]
	v_mul_f32_e32 v6, s15, v10
	v_mul_f32_e32 v7, s14, v10
	v_fma_f32 v6, v15, s14, -v6
	v_fmac_f32_e32 v7, s15, v15
	v_cmp_eq_u32_e32 vcc, v5, v0
	s_waitcnt vmcnt(0) lgkmcnt(0)
	v_mul_f32_e32 v8, s21, v4
	v_mul_f32_e32 v4, s20, v4
	v_fma_f32 v8, v3, s20, -v8
	v_fmac_f32_e32 v4, s21, v3
	v_add_f32_e32 v3, v6, v8
	v_add_f32_e32 v4, v7, v4
	flat_store_dwordx2 v[1:2], v[3:4]
	s_and_b64 exec, exec, vcc
	s_cbranch_execz .LBB1726_16
; %bb.15:
	v_mov_b32_e32 v0, 0
	flat_store_dword v[1:2], v0 offset:4
.LBB1726_16:
	s_endpgm
	.section	.rodata,"a",@progbits
	.p2align	6, 0x0
	.amdhsa_kernel _ZL37rocblas_syrkx_herkx_restricted_kernelIl19rocblas_complex_numIfELi16ELi32ELi8ELb0ELb1ELc84ELc76EKPKS1_KPS1_EviT_T0_PT8_S7_lSA_S7_lS8_PT9_S7_li
		.amdhsa_group_segment_fixed_size 4096
		.amdhsa_private_segment_fixed_size 0
		.amdhsa_kernarg_size 108
		.amdhsa_user_sgpr_count 6
		.amdhsa_user_sgpr_private_segment_buffer 1
		.amdhsa_user_sgpr_dispatch_ptr 0
		.amdhsa_user_sgpr_queue_ptr 0
		.amdhsa_user_sgpr_kernarg_segment_ptr 1
		.amdhsa_user_sgpr_dispatch_id 0
		.amdhsa_user_sgpr_flat_scratch_init 0
		.amdhsa_user_sgpr_private_segment_size 0
		.amdhsa_uses_dynamic_stack 0
		.amdhsa_system_sgpr_private_segment_wavefront_offset 0
		.amdhsa_system_sgpr_workgroup_id_x 1
		.amdhsa_system_sgpr_workgroup_id_y 1
		.amdhsa_system_sgpr_workgroup_id_z 1
		.amdhsa_system_sgpr_workgroup_info 0
		.amdhsa_system_vgpr_workitem_id 1
		.amdhsa_next_free_vgpr 41
		.amdhsa_next_free_sgpr 28
		.amdhsa_reserve_vcc 1
		.amdhsa_reserve_flat_scratch 0
		.amdhsa_float_round_mode_32 0
		.amdhsa_float_round_mode_16_64 0
		.amdhsa_float_denorm_mode_32 3
		.amdhsa_float_denorm_mode_16_64 3
		.amdhsa_dx10_clamp 1
		.amdhsa_ieee_mode 1
		.amdhsa_fp16_overflow 0
		.amdhsa_exception_fp_ieee_invalid_op 0
		.amdhsa_exception_fp_denorm_src 0
		.amdhsa_exception_fp_ieee_div_zero 0
		.amdhsa_exception_fp_ieee_overflow 0
		.amdhsa_exception_fp_ieee_underflow 0
		.amdhsa_exception_fp_ieee_inexact 0
		.amdhsa_exception_int_div_zero 0
	.end_amdhsa_kernel
	.section	.text._ZL37rocblas_syrkx_herkx_restricted_kernelIl19rocblas_complex_numIfELi16ELi32ELi8ELb0ELb1ELc84ELc76EKPKS1_KPS1_EviT_T0_PT8_S7_lSA_S7_lS8_PT9_S7_li,"axG",@progbits,_ZL37rocblas_syrkx_herkx_restricted_kernelIl19rocblas_complex_numIfELi16ELi32ELi8ELb0ELb1ELc84ELc76EKPKS1_KPS1_EviT_T0_PT8_S7_lSA_S7_lS8_PT9_S7_li,comdat
.Lfunc_end1726:
	.size	_ZL37rocblas_syrkx_herkx_restricted_kernelIl19rocblas_complex_numIfELi16ELi32ELi8ELb0ELb1ELc84ELc76EKPKS1_KPS1_EviT_T0_PT8_S7_lSA_S7_lS8_PT9_S7_li, .Lfunc_end1726-_ZL37rocblas_syrkx_herkx_restricted_kernelIl19rocblas_complex_numIfELi16ELi32ELi8ELb0ELb1ELc84ELc76EKPKS1_KPS1_EviT_T0_PT8_S7_lSA_S7_lS8_PT9_S7_li
                                        ; -- End function
	.set _ZL37rocblas_syrkx_herkx_restricted_kernelIl19rocblas_complex_numIfELi16ELi32ELi8ELb0ELb1ELc84ELc76EKPKS1_KPS1_EviT_T0_PT8_S7_lSA_S7_lS8_PT9_S7_li.num_vgpr, 41
	.set _ZL37rocblas_syrkx_herkx_restricted_kernelIl19rocblas_complex_numIfELi16ELi32ELi8ELb0ELb1ELc84ELc76EKPKS1_KPS1_EviT_T0_PT8_S7_lSA_S7_lS8_PT9_S7_li.num_agpr, 0
	.set _ZL37rocblas_syrkx_herkx_restricted_kernelIl19rocblas_complex_numIfELi16ELi32ELi8ELb0ELb1ELc84ELc76EKPKS1_KPS1_EviT_T0_PT8_S7_lSA_S7_lS8_PT9_S7_li.numbered_sgpr, 28
	.set _ZL37rocblas_syrkx_herkx_restricted_kernelIl19rocblas_complex_numIfELi16ELi32ELi8ELb0ELb1ELc84ELc76EKPKS1_KPS1_EviT_T0_PT8_S7_lSA_S7_lS8_PT9_S7_li.num_named_barrier, 0
	.set _ZL37rocblas_syrkx_herkx_restricted_kernelIl19rocblas_complex_numIfELi16ELi32ELi8ELb0ELb1ELc84ELc76EKPKS1_KPS1_EviT_T0_PT8_S7_lSA_S7_lS8_PT9_S7_li.private_seg_size, 0
	.set _ZL37rocblas_syrkx_herkx_restricted_kernelIl19rocblas_complex_numIfELi16ELi32ELi8ELb0ELb1ELc84ELc76EKPKS1_KPS1_EviT_T0_PT8_S7_lSA_S7_lS8_PT9_S7_li.uses_vcc, 1
	.set _ZL37rocblas_syrkx_herkx_restricted_kernelIl19rocblas_complex_numIfELi16ELi32ELi8ELb0ELb1ELc84ELc76EKPKS1_KPS1_EviT_T0_PT8_S7_lSA_S7_lS8_PT9_S7_li.uses_flat_scratch, 0
	.set _ZL37rocblas_syrkx_herkx_restricted_kernelIl19rocblas_complex_numIfELi16ELi32ELi8ELb0ELb1ELc84ELc76EKPKS1_KPS1_EviT_T0_PT8_S7_lSA_S7_lS8_PT9_S7_li.has_dyn_sized_stack, 0
	.set _ZL37rocblas_syrkx_herkx_restricted_kernelIl19rocblas_complex_numIfELi16ELi32ELi8ELb0ELb1ELc84ELc76EKPKS1_KPS1_EviT_T0_PT8_S7_lSA_S7_lS8_PT9_S7_li.has_recursion, 0
	.set _ZL37rocblas_syrkx_herkx_restricted_kernelIl19rocblas_complex_numIfELi16ELi32ELi8ELb0ELb1ELc84ELc76EKPKS1_KPS1_EviT_T0_PT8_S7_lSA_S7_lS8_PT9_S7_li.has_indirect_call, 0
	.section	.AMDGPU.csdata,"",@progbits
; Kernel info:
; codeLenInByte = 2284
; TotalNumSgprs: 32
; NumVgprs: 41
; ScratchSize: 0
; MemoryBound: 0
; FloatMode: 240
; IeeeMode: 1
; LDSByteSize: 4096 bytes/workgroup (compile time only)
; SGPRBlocks: 3
; VGPRBlocks: 10
; NumSGPRsForWavesPerEU: 32
; NumVGPRsForWavesPerEU: 41
; Occupancy: 5
; WaveLimiterHint : 1
; COMPUTE_PGM_RSRC2:SCRATCH_EN: 0
; COMPUTE_PGM_RSRC2:USER_SGPR: 6
; COMPUTE_PGM_RSRC2:TRAP_HANDLER: 0
; COMPUTE_PGM_RSRC2:TGID_X_EN: 1
; COMPUTE_PGM_RSRC2:TGID_Y_EN: 1
; COMPUTE_PGM_RSRC2:TGID_Z_EN: 1
; COMPUTE_PGM_RSRC2:TIDIG_COMP_CNT: 1
	.section	.text._ZL37rocblas_syrkx_herkx_restricted_kernelIl19rocblas_complex_numIfELi16ELi32ELi8ELb0ELb1ELc67ELc76EKPKS1_KPS1_EviT_T0_PT8_S7_lSA_S7_lS8_PT9_S7_li,"axG",@progbits,_ZL37rocblas_syrkx_herkx_restricted_kernelIl19rocblas_complex_numIfELi16ELi32ELi8ELb0ELb1ELc67ELc76EKPKS1_KPS1_EviT_T0_PT8_S7_lSA_S7_lS8_PT9_S7_li,comdat
	.globl	_ZL37rocblas_syrkx_herkx_restricted_kernelIl19rocblas_complex_numIfELi16ELi32ELi8ELb0ELb1ELc67ELc76EKPKS1_KPS1_EviT_T0_PT8_S7_lSA_S7_lS8_PT9_S7_li ; -- Begin function _ZL37rocblas_syrkx_herkx_restricted_kernelIl19rocblas_complex_numIfELi16ELi32ELi8ELb0ELb1ELc67ELc76EKPKS1_KPS1_EviT_T0_PT8_S7_lSA_S7_lS8_PT9_S7_li
	.p2align	8
	.type	_ZL37rocblas_syrkx_herkx_restricted_kernelIl19rocblas_complex_numIfELi16ELi32ELi8ELb0ELb1ELc67ELc76EKPKS1_KPS1_EviT_T0_PT8_S7_lSA_S7_lS8_PT9_S7_li,@function
_ZL37rocblas_syrkx_herkx_restricted_kernelIl19rocblas_complex_numIfELi16ELi32ELi8ELb0ELb1ELc67ELc76EKPKS1_KPS1_EviT_T0_PT8_S7_lSA_S7_lS8_PT9_S7_li: ; @_ZL37rocblas_syrkx_herkx_restricted_kernelIl19rocblas_complex_numIfELi16ELi32ELi8ELb0ELb1ELc67ELc76EKPKS1_KPS1_EviT_T0_PT8_S7_lSA_S7_lS8_PT9_S7_li
; %bb.0:
	s_load_dwordx4 s[20:23], s[4:5], 0x48
	s_load_dwordx2 s[10:11], s[4:5], 0x58
	s_load_dwordx8 s[12:19], s[4:5], 0x8
	s_mov_b32 s9, 0
	s_lshl_b64 s[0:1], s[8:9], 3
	s_waitcnt lgkmcnt(0)
	s_add_u32 s2, s22, s0
	s_addc_u32 s3, s23, s1
	s_load_dwordx2 s[8:9], s[2:3], 0x0
	v_cmp_lt_i64_e64 s[22:23], s[12:13], 1
	s_lshl_b32 s2, s6, 5
	s_lshl_b32 s3, s7, 5
	s_and_b64 vcc, exec, s[22:23]
	s_cbranch_vccnz .LBB1727_3
; %bb.1:
	s_load_dwordx4 s[24:27], s[4:5], 0x30
	v_lshl_add_u32 v5, v1, 4, v0
	v_lshrrev_b32_e32 v6, 3, v5
	v_add_u32_e32 v2, s3, v6
	s_add_u32 s6, s16, s0
	v_and_b32_e32 v9, 7, v0
	v_ashrrev_i32_e32 v3, 31, v2
	v_mov_b32_e32 v10, 0
	s_addc_u32 s7, s17, s1
	s_waitcnt lgkmcnt(0)
	v_mul_lo_u32 v7, s26, v3
	v_mul_lo_u32 v8, s27, v2
	v_mad_u64_u32 v[2:3], s[16:17], s26, v2, v[9:10]
	v_and_b32_e32 v13, 31, v5
	v_lshrrev_b32_e32 v4, 5, v5
	v_add3_u32 v3, v8, v3, v7
	v_lshlrev_b32_e32 v7, 3, v13
	v_lshl_or_b32 v11, v4, 8, v7
	v_lshlrev_b32_e32 v7, 3, v9
	v_lshl_or_b32 v6, v6, 6, v7
	v_add_u32_e32 v12, 0x800, v6
	v_add_u32_e32 v6, s2, v13
	v_mov_b32_e32 v5, v10
	v_ashrrev_i32_e32 v7, 31, v6
	v_mul_lo_u32 v7, s18, v7
	v_mad_u64_u32 v[4:5], s[16:17], s18, v6, v[4:5]
	v_mul_lo_u32 v6, s19, v6
	s_load_dwordx2 s[6:7], s[6:7], 0x0
	s_add_u32 s0, s24, s0
	s_addc_u32 s1, s25, s1
	s_load_dwordx2 s[0:1], s[0:1], 0x0
	v_add3_u32 v5, v6, v5, v7
	v_lshlrev_b64 v[4:5], 3, v[4:5]
	s_waitcnt lgkmcnt(0)
	v_mov_b32_e32 v7, s7
	v_add_co_u32_e32 v6, vcc, s6, v4
	v_lshlrev_b64 v[2:3], 3, v[2:3]
	v_mov_b32_e32 v8, 0x800
	v_addc_co_u32_e32 v7, vcc, v7, v5, vcc
	v_lshl_add_u32 v14, v1, 6, v8
	v_mov_b32_e32 v4, s1
	v_add_co_u32_e32 v8, vcc, s0, v2
	v_lshlrev_b32_e32 v13, 3, v0
	v_addc_co_u32_e32 v9, vcc, v4, v3, vcc
	s_mov_b64 s[0:1], 0
	v_mov_b32_e32 v15, v10
	v_mov_b32_e32 v17, v10
	;; [unrolled: 1-line block ×7, first 2 shown]
.LBB1727_2:                             ; =>This Inner Loop Header: Depth=1
	flat_load_dwordx2 v[2:3], v[6:7]
	v_add_co_u32_e32 v6, vcc, 64, v6
	s_add_u32 s0, s0, 8
	v_addc_co_u32_e32 v7, vcc, 0, v7, vcc
	s_addc_u32 s1, s1, 0
	s_waitcnt vmcnt(0) lgkmcnt(0)
	v_xor_b32_e32 v3, 0x80000000, v3
	ds_write_b64 v11, v[2:3]
	flat_load_dwordx2 v[2:3], v[8:9]
	v_add_co_u32_e32 v8, vcc, 64, v8
	v_addc_co_u32_e32 v9, vcc, 0, v9, vcc
	s_waitcnt vmcnt(0) lgkmcnt(0)
	ds_write_b64 v12, v[2:3]
	s_waitcnt lgkmcnt(0)
	s_barrier
	ds_read_b128 v[22:25], v14
	ds_read_b128 v[26:29], v14 offset:16
	ds_read_b128 v[30:33], v14 offset:32
	;; [unrolled: 1-line block ×3, first 2 shown]
	ds_read2_b64 v[34:37], v13 offset1:16
	s_waitcnt lgkmcnt(0)
	v_mul_f32_e32 v38, v23, v35
	v_mul_f32_e32 v39, v22, v35
	v_fma_f32 v38, v22, v34, -v38
	v_fmac_f32_e32 v39, v23, v34
	v_add_f32_e32 v38, v20, v38
	v_add_f32_e32 v39, v21, v39
	v_mul_f32_e32 v20, v23, v37
	v_mul_f32_e32 v21, v22, v37
	v_fma_f32 v20, v22, v36, -v20
	v_fmac_f32_e32 v21, v23, v36
	v_add_f32_e32 v22, v18, v20
	v_add_f32_e32 v23, v19, v21
	ds_read_b128 v[18:21], v14 offset:1024
	s_waitcnt lgkmcnt(0)
	v_mul_f32_e32 v40, v19, v35
	v_mul_f32_e32 v35, v18, v35
	v_fma_f32 v40, v18, v34, -v40
	v_fmac_f32_e32 v35, v19, v34
	v_add_f32_e32 v34, v16, v40
	v_add_f32_e32 v35, v17, v35
	v_mul_f32_e32 v16, v19, v37
	v_mul_f32_e32 v17, v18, v37
	v_fma_f32 v16, v18, v36, -v16
	v_fmac_f32_e32 v17, v19, v36
	v_add_f32_e32 v19, v15, v16
	v_add_f32_e32 v10, v10, v17
	ds_read2_b64 v[15:18], v13 offset0:32 offset1:48
	s_waitcnt lgkmcnt(0)
	v_mul_f32_e32 v36, v25, v16
	v_fma_f32 v36, v24, v15, -v36
	v_add_f32_e32 v36, v38, v36
	v_mul_f32_e32 v38, v25, v18
	v_mul_f32_e32 v37, v24, v16
	v_fma_f32 v38, v24, v17, -v38
	v_mul_f32_e32 v24, v24, v18
	v_fmac_f32_e32 v24, v25, v17
	v_add_f32_e32 v23, v23, v24
	v_mul_f32_e32 v24, v21, v16
	v_mul_f32_e32 v16, v20, v16
	v_fmac_f32_e32 v16, v21, v15
	v_fmac_f32_e32 v37, v25, v15
	v_fma_f32 v24, v20, v15, -v24
	v_add_f32_e32 v25, v35, v16
	v_mul_f32_e32 v15, v21, v18
	v_mul_f32_e32 v16, v20, v18
	v_fma_f32 v15, v20, v17, -v15
	v_fmac_f32_e32 v16, v21, v17
	v_add_f32_e32 v24, v34, v24
	v_add_f32_e32 v34, v19, v15
	;; [unrolled: 1-line block ×3, first 2 shown]
	ds_read2_b64 v[15:18], v13 offset0:64 offset1:80
	v_add_f32_e32 v37, v39, v37
	v_add_f32_e32 v22, v22, v38
	s_waitcnt lgkmcnt(0)
	v_mul_f32_e32 v19, v27, v16
	v_mul_f32_e32 v20, v26, v16
	v_fma_f32 v19, v26, v15, -v19
	v_fmac_f32_e32 v20, v27, v15
	v_add_f32_e32 v35, v36, v19
	v_add_f32_e32 v36, v37, v20
	v_mul_f32_e32 v19, v27, v18
	v_mul_f32_e32 v20, v26, v18
	v_fma_f32 v19, v26, v17, -v19
	v_fmac_f32_e32 v20, v27, v17
	v_add_f32_e32 v26, v22, v19
	v_add_f32_e32 v23, v23, v20
	ds_read_b128 v[19:22], v14 offset:1040
	s_waitcnt lgkmcnt(0)
	v_mul_f32_e32 v27, v20, v16
	v_mul_f32_e32 v16, v19, v16
	v_fmac_f32_e32 v16, v20, v15
	v_fma_f32 v27, v19, v15, -v27
	v_add_f32_e32 v25, v25, v16
	v_mul_f32_e32 v15, v20, v18
	v_mul_f32_e32 v16, v19, v18
	v_fma_f32 v15, v19, v17, -v15
	v_fmac_f32_e32 v16, v20, v17
	v_add_f32_e32 v19, v34, v15
	v_add_f32_e32 v10, v10, v16
	ds_read2_b64 v[15:18], v13 offset0:96 offset1:112
	v_add_f32_e32 v24, v24, v27
	s_waitcnt lgkmcnt(0)
	v_mul_f32_e32 v20, v29, v16
	v_mul_f32_e32 v34, v29, v18
	v_fma_f32 v20, v28, v15, -v20
	v_mul_f32_e32 v27, v28, v16
	v_fma_f32 v34, v28, v17, -v34
	v_mul_f32_e32 v28, v28, v18
	v_fmac_f32_e32 v28, v29, v17
	v_add_f32_e32 v23, v23, v28
	v_mul_f32_e32 v28, v22, v16
	v_mul_f32_e32 v16, v21, v16
	v_fmac_f32_e32 v16, v22, v15
	v_fmac_f32_e32 v27, v29, v15
	v_fma_f32 v28, v21, v15, -v28
	v_add_f32_e32 v25, v25, v16
	v_mul_f32_e32 v15, v22, v18
	v_mul_f32_e32 v16, v21, v18
	v_fma_f32 v15, v21, v17, -v15
	v_fmac_f32_e32 v16, v22, v17
	v_add_f32_e32 v24, v24, v28
	v_add_f32_e32 v28, v19, v15
	;; [unrolled: 1-line block ×3, first 2 shown]
	ds_read2_b64 v[15:18], v13 offset0:128 offset1:144
	v_add_f32_e32 v20, v35, v20
	v_add_f32_e32 v27, v36, v27
	;; [unrolled: 1-line block ×3, first 2 shown]
	s_waitcnt lgkmcnt(0)
	v_mul_f32_e32 v19, v31, v16
	v_fma_f32 v19, v30, v15, -v19
	v_mul_f32_e32 v21, v30, v16
	v_add_f32_e32 v29, v20, v19
	v_mul_f32_e32 v19, v31, v18
	v_mul_f32_e32 v20, v30, v18
	v_fmac_f32_e32 v21, v31, v15
	v_fma_f32 v19, v30, v17, -v19
	v_fmac_f32_e32 v20, v31, v17
	v_add_f32_e32 v27, v27, v21
	v_add_f32_e32 v26, v26, v19
	;; [unrolled: 1-line block ×3, first 2 shown]
	ds_read_b128 v[19:22], v14 offset:1056
	s_waitcnt lgkmcnt(0)
	v_mul_f32_e32 v30, v20, v16
	v_mul_f32_e32 v16, v19, v16
	v_fmac_f32_e32 v16, v20, v15
	v_fma_f32 v30, v19, v15, -v30
	v_add_f32_e32 v25, v25, v16
	v_mul_f32_e32 v15, v20, v18
	v_mul_f32_e32 v16, v19, v18
	v_fma_f32 v15, v19, v17, -v15
	v_fmac_f32_e32 v16, v20, v17
	v_add_f32_e32 v19, v28, v15
	v_add_f32_e32 v10, v10, v16
	ds_read2_b64 v[15:18], v13 offset0:160 offset1:176
	v_add_f32_e32 v24, v24, v30
	s_waitcnt lgkmcnt(0)
	v_mul_f32_e32 v28, v32, v16
	v_fmac_f32_e32 v28, v33, v15
	v_add_f32_e32 v27, v27, v28
	v_mul_f32_e32 v28, v33, v18
	v_fma_f32 v28, v32, v17, -v28
	v_mul_f32_e32 v20, v33, v16
	v_add_f32_e32 v26, v26, v28
	v_mul_f32_e32 v28, v22, v16
	v_mul_f32_e32 v16, v21, v16
	v_fmac_f32_e32 v16, v22, v15
	v_fma_f32 v20, v32, v15, -v20
	v_fma_f32 v28, v21, v15, -v28
	v_add_f32_e32 v25, v25, v16
	v_mul_f32_e32 v15, v22, v18
	v_mul_f32_e32 v16, v21, v18
	v_add_f32_e32 v20, v29, v20
	v_mul_f32_e32 v29, v32, v18
	v_fma_f32 v15, v21, v17, -v15
	v_fmac_f32_e32 v16, v22, v17
	v_fmac_f32_e32 v29, v33, v17
	v_add_f32_e32 v19, v19, v15
	v_add_f32_e32 v10, v10, v16
	ds_read2_b64 v[15:18], v13 offset0:192 offset1:208
	v_add_f32_e32 v24, v24, v28
	v_add_f32_e32 v23, v23, v29
	s_waitcnt lgkmcnt(0)
	v_mul_f32_e32 v21, v3, v16
	v_fma_f32 v21, v2, v15, -v21
	v_add_f32_e32 v28, v20, v21
	v_mul_f32_e32 v20, v3, v18
	v_mul_f32_e32 v22, v2, v16
	v_fma_f32 v20, v2, v17, -v20
	v_mul_f32_e32 v2, v2, v18
	v_fmac_f32_e32 v22, v3, v15
	v_fmac_f32_e32 v2, v3, v17
	v_add_f32_e32 v29, v27, v22
	v_add_f32_e32 v3, v26, v20
	;; [unrolled: 1-line block ×3, first 2 shown]
	ds_read_b128 v[20:23], v14 offset:1072
	s_waitcnt lgkmcnt(0)
	v_mul_f32_e32 v26, v21, v16
	v_mul_f32_e32 v16, v20, v16
	v_fma_f32 v26, v20, v15, -v26
	v_fmac_f32_e32 v16, v21, v15
	v_add_f32_e32 v15, v24, v26
	v_add_f32_e32 v30, v25, v16
	ds_read2_b64 v[24:27], v13 offset0:224 offset1:240
	v_mul_f32_e32 v16, v21, v18
	v_fma_f32 v16, v20, v17, -v16
	v_add_f32_e32 v31, v19, v16
	v_mul_f32_e32 v18, v20, v18
	s_waitcnt lgkmcnt(0)
	v_mul_f32_e32 v16, v5, v25
	v_fma_f32 v16, v4, v24, -v16
	v_add_f32_e32 v20, v28, v16
	v_mul_f32_e32 v16, v5, v27
	v_fmac_f32_e32 v18, v21, v17
	v_mul_f32_e32 v17, v4, v25
	v_fma_f32 v16, v4, v26, -v16
	v_mul_f32_e32 v4, v4, v27
	v_fmac_f32_e32 v4, v5, v26
	v_add_f32_e32 v10, v10, v18
	v_add_f32_e32 v18, v3, v16
	;; [unrolled: 1-line block ×3, first 2 shown]
	v_mul_f32_e32 v2, v23, v25
	v_mul_f32_e32 v3, v22, v25
	v_fmac_f32_e32 v17, v5, v24
	v_fma_f32 v2, v22, v24, -v2
	v_fmac_f32_e32 v3, v23, v24
	v_add_f32_e32 v21, v29, v17
	v_add_f32_e32 v16, v15, v2
	;; [unrolled: 1-line block ×3, first 2 shown]
	v_mul_f32_e32 v2, v23, v27
	v_mul_f32_e32 v3, v22, v27
	v_fma_f32 v2, v22, v26, -v2
	v_fmac_f32_e32 v3, v23, v26
	v_add_f32_e32 v15, v31, v2
	v_add_f32_e32 v10, v10, v3
	v_mov_b32_e32 v3, s1
	v_mov_b32_e32 v2, s0
	v_cmp_le_u64_e32 vcc, s[12:13], v[2:3]
	s_barrier
	s_cbranch_vccz .LBB1727_2
	s_branch .LBB1727_4
.LBB1727_3:
	v_mov_b32_e32 v20, 0
	v_mov_b32_e32 v21, 0
	;; [unrolled: 1-line block ×8, first 2 shown]
.LBB1727_4:
	v_add_u32_e32 v5, s3, v1
	v_ashrrev_i32_e32 v1, 31, v5
	v_mul_lo_u32 v3, s10, v1
	v_mul_lo_u32 v4, s11, v5
	v_mad_u64_u32 v[1:2], s[0:1], s10, v5, 0
	s_load_dword s4, s[4:5], 0x0
	v_add_u32_e32 v0, s2, v0
	v_add3_u32 v2, v2, v3, v4
	v_lshlrev_b64 v[1:2], 3, v[1:2]
	s_waitcnt lgkmcnt(0)
	v_mov_b32_e32 v3, s9
	v_add_co_u32_e32 v4, vcc, s8, v1
	v_addc_co_u32_e32 v6, vcc, v3, v2, vcc
	v_cmp_le_i32_e64 s[0:1], v5, v0
	v_cmp_gt_i32_e32 vcc, s4, v0
	s_and_b64 s[0:1], s[0:1], vcc
	s_and_saveexec_b64 s[2:3], s[0:1]
	s_cbranch_execz .LBB1727_7
; %bb.5:
	v_ashrrev_i32_e32 v1, 31, v0
	v_lshlrev_b64 v[1:2], 3, v[0:1]
	v_mul_f32_e32 v3, s15, v21
	v_add_co_u32_e64 v1, s[0:1], v4, v1
	v_addc_co_u32_e64 v2, s[0:1], v6, v2, s[0:1]
	flat_load_dwordx2 v[7:8], v[1:2]
	v_mul_f32_e32 v9, s14, v21
	v_fma_f32 v3, v20, s14, -v3
	v_fmac_f32_e32 v9, s15, v20
	v_cmp_eq_u32_e64 s[0:1], v5, v0
	s_waitcnt vmcnt(0) lgkmcnt(0)
	v_mul_f32_e32 v11, s21, v8
	v_mul_f32_e32 v8, s20, v8
	v_fma_f32 v11, v7, s20, -v11
	v_fmac_f32_e32 v8, s21, v7
	v_add_f32_e32 v7, v3, v11
	v_add_f32_e32 v8, v9, v8
	flat_store_dwordx2 v[1:2], v[7:8]
	s_and_b64 exec, exec, s[0:1]
	s_cbranch_execz .LBB1727_7
; %bb.6:
	v_mov_b32_e32 v3, 0
	flat_store_dword v[1:2], v3 offset:4
.LBB1727_7:
	s_or_b64 exec, exec, s[2:3]
	v_add_u32_e32 v2, 16, v0
	v_cmp_le_i32_e64 s[2:3], v5, v2
	v_cmp_gt_i32_e64 s[0:1], s4, v2
	s_and_b64 s[2:3], s[2:3], s[0:1]
	s_and_saveexec_b64 s[4:5], s[2:3]
	s_cbranch_execz .LBB1727_10
; %bb.8:
	v_ashrrev_i32_e32 v3, 31, v2
	v_lshlrev_b64 v[7:8], 3, v[2:3]
	v_mul_f32_e32 v1, s15, v19
	v_add_co_u32_e64 v3, s[2:3], v4, v7
	v_addc_co_u32_e64 v4, s[2:3], v6, v8, s[2:3]
	flat_load_dwordx2 v[6:7], v[3:4]
	v_mul_f32_e32 v8, s14, v19
	v_fma_f32 v1, v18, s14, -v1
	v_fmac_f32_e32 v8, s15, v18
	v_cmp_eq_u32_e64 s[2:3], v5, v2
	s_waitcnt vmcnt(0) lgkmcnt(0)
	v_mul_f32_e32 v9, s21, v7
	v_mul_f32_e32 v7, s20, v7
	v_fma_f32 v9, v6, s20, -v9
	v_fmac_f32_e32 v7, s21, v6
	v_add_f32_e32 v6, v1, v9
	v_add_f32_e32 v7, v8, v7
	flat_store_dwordx2 v[3:4], v[6:7]
	s_and_b64 exec, exec, s[2:3]
	s_cbranch_execz .LBB1727_10
; %bb.9:
	v_mov_b32_e32 v1, 0
	flat_store_dword v[3:4], v1 offset:4
.LBB1727_10:
	s_or_b64 exec, exec, s[4:5]
	v_add_u32_e32 v8, 16, v5
	v_ashrrev_i32_e32 v1, 31, v8
	v_mul_lo_u32 v6, s11, v8
	v_mad_u64_u32 v[3:4], s[2:3], s10, v8, 0
	v_mul_lo_u32 v1, s10, v1
	v_add3_u32 v4, v4, v1, v6
	v_lshlrev_b64 v[3:4], 3, v[3:4]
	v_mov_b32_e32 v1, s9
	v_add_co_u32_e64 v6, s[2:3], s8, v3
	v_addc_co_u32_e64 v7, s[2:3], v1, v4, s[2:3]
	v_cmp_le_i32_e64 s[2:3], v8, v0
	s_and_b64 s[4:5], s[2:3], vcc
	s_and_saveexec_b64 s[2:3], s[4:5]
	s_cbranch_execz .LBB1727_13
; %bb.11:
	v_ashrrev_i32_e32 v1, 31, v0
	v_lshlrev_b64 v[3:4], 3, v[0:1]
	v_mul_f32_e32 v1, s15, v17
	v_add_co_u32_e32 v3, vcc, v6, v3
	v_addc_co_u32_e32 v4, vcc, v7, v4, vcc
	flat_load_dwordx2 v[11:12], v[3:4]
	v_mul_f32_e32 v9, s14, v17
	v_fma_f32 v1, v16, s14, -v1
	v_fmac_f32_e32 v9, s15, v16
	v_cmp_eq_u32_e32 vcc, v8, v0
	s_waitcnt vmcnt(0) lgkmcnt(0)
	v_mul_f32_e32 v13, s21, v12
	v_mul_f32_e32 v12, s20, v12
	v_fma_f32 v13, v11, s20, -v13
	v_fmac_f32_e32 v12, s21, v11
	v_add_f32_e32 v11, v1, v13
	v_add_f32_e32 v12, v9, v12
	flat_store_dwordx2 v[3:4], v[11:12]
	s_and_b64 exec, exec, vcc
	s_cbranch_execz .LBB1727_13
; %bb.12:
	v_mov_b32_e32 v1, 0
	flat_store_dword v[3:4], v1 offset:4
.LBB1727_13:
	s_or_b64 exec, exec, s[2:3]
	v_cmp_le_i32_e32 vcc, v8, v2
	s_and_b64 s[0:1], vcc, s[0:1]
	s_and_saveexec_b64 s[2:3], s[0:1]
	s_cbranch_execz .LBB1727_16
; %bb.14:
	v_ashrrev_i32_e32 v3, 31, v2
	v_lshlrev_b64 v[1:2], 3, v[2:3]
	v_add_co_u32_e32 v1, vcc, v6, v1
	v_addc_co_u32_e32 v2, vcc, v7, v2, vcc
	flat_load_dwordx2 v[3:4], v[1:2]
	v_mul_f32_e32 v6, s15, v10
	v_mul_f32_e32 v7, s14, v10
	v_fma_f32 v6, v15, s14, -v6
	v_fmac_f32_e32 v7, s15, v15
	v_cmp_eq_u32_e32 vcc, v5, v0
	s_waitcnt vmcnt(0) lgkmcnt(0)
	v_mul_f32_e32 v8, s21, v4
	v_mul_f32_e32 v4, s20, v4
	v_fma_f32 v8, v3, s20, -v8
	v_fmac_f32_e32 v4, s21, v3
	v_add_f32_e32 v3, v6, v8
	v_add_f32_e32 v4, v7, v4
	flat_store_dwordx2 v[1:2], v[3:4]
	s_and_b64 exec, exec, vcc
	s_cbranch_execz .LBB1727_16
; %bb.15:
	v_mov_b32_e32 v0, 0
	flat_store_dword v[1:2], v0 offset:4
.LBB1727_16:
	s_endpgm
	.section	.rodata,"a",@progbits
	.p2align	6, 0x0
	.amdhsa_kernel _ZL37rocblas_syrkx_herkx_restricted_kernelIl19rocblas_complex_numIfELi16ELi32ELi8ELb0ELb1ELc67ELc76EKPKS1_KPS1_EviT_T0_PT8_S7_lSA_S7_lS8_PT9_S7_li
		.amdhsa_group_segment_fixed_size 4096
		.amdhsa_private_segment_fixed_size 0
		.amdhsa_kernarg_size 108
		.amdhsa_user_sgpr_count 6
		.amdhsa_user_sgpr_private_segment_buffer 1
		.amdhsa_user_sgpr_dispatch_ptr 0
		.amdhsa_user_sgpr_queue_ptr 0
		.amdhsa_user_sgpr_kernarg_segment_ptr 1
		.amdhsa_user_sgpr_dispatch_id 0
		.amdhsa_user_sgpr_flat_scratch_init 0
		.amdhsa_user_sgpr_private_segment_size 0
		.amdhsa_uses_dynamic_stack 0
		.amdhsa_system_sgpr_private_segment_wavefront_offset 0
		.amdhsa_system_sgpr_workgroup_id_x 1
		.amdhsa_system_sgpr_workgroup_id_y 1
		.amdhsa_system_sgpr_workgroup_id_z 1
		.amdhsa_system_sgpr_workgroup_info 0
		.amdhsa_system_vgpr_workitem_id 1
		.amdhsa_next_free_vgpr 41
		.amdhsa_next_free_sgpr 28
		.amdhsa_reserve_vcc 1
		.amdhsa_reserve_flat_scratch 0
		.amdhsa_float_round_mode_32 0
		.amdhsa_float_round_mode_16_64 0
		.amdhsa_float_denorm_mode_32 3
		.amdhsa_float_denorm_mode_16_64 3
		.amdhsa_dx10_clamp 1
		.amdhsa_ieee_mode 1
		.amdhsa_fp16_overflow 0
		.amdhsa_exception_fp_ieee_invalid_op 0
		.amdhsa_exception_fp_denorm_src 0
		.amdhsa_exception_fp_ieee_div_zero 0
		.amdhsa_exception_fp_ieee_overflow 0
		.amdhsa_exception_fp_ieee_underflow 0
		.amdhsa_exception_fp_ieee_inexact 0
		.amdhsa_exception_int_div_zero 0
	.end_amdhsa_kernel
	.section	.text._ZL37rocblas_syrkx_herkx_restricted_kernelIl19rocblas_complex_numIfELi16ELi32ELi8ELb0ELb1ELc67ELc76EKPKS1_KPS1_EviT_T0_PT8_S7_lSA_S7_lS8_PT9_S7_li,"axG",@progbits,_ZL37rocblas_syrkx_herkx_restricted_kernelIl19rocblas_complex_numIfELi16ELi32ELi8ELb0ELb1ELc67ELc76EKPKS1_KPS1_EviT_T0_PT8_S7_lSA_S7_lS8_PT9_S7_li,comdat
.Lfunc_end1727:
	.size	_ZL37rocblas_syrkx_herkx_restricted_kernelIl19rocblas_complex_numIfELi16ELi32ELi8ELb0ELb1ELc67ELc76EKPKS1_KPS1_EviT_T0_PT8_S7_lSA_S7_lS8_PT9_S7_li, .Lfunc_end1727-_ZL37rocblas_syrkx_herkx_restricted_kernelIl19rocblas_complex_numIfELi16ELi32ELi8ELb0ELb1ELc67ELc76EKPKS1_KPS1_EviT_T0_PT8_S7_lSA_S7_lS8_PT9_S7_li
                                        ; -- End function
	.set _ZL37rocblas_syrkx_herkx_restricted_kernelIl19rocblas_complex_numIfELi16ELi32ELi8ELb0ELb1ELc67ELc76EKPKS1_KPS1_EviT_T0_PT8_S7_lSA_S7_lS8_PT9_S7_li.num_vgpr, 41
	.set _ZL37rocblas_syrkx_herkx_restricted_kernelIl19rocblas_complex_numIfELi16ELi32ELi8ELb0ELb1ELc67ELc76EKPKS1_KPS1_EviT_T0_PT8_S7_lSA_S7_lS8_PT9_S7_li.num_agpr, 0
	.set _ZL37rocblas_syrkx_herkx_restricted_kernelIl19rocblas_complex_numIfELi16ELi32ELi8ELb0ELb1ELc67ELc76EKPKS1_KPS1_EviT_T0_PT8_S7_lSA_S7_lS8_PT9_S7_li.numbered_sgpr, 28
	.set _ZL37rocblas_syrkx_herkx_restricted_kernelIl19rocblas_complex_numIfELi16ELi32ELi8ELb0ELb1ELc67ELc76EKPKS1_KPS1_EviT_T0_PT8_S7_lSA_S7_lS8_PT9_S7_li.num_named_barrier, 0
	.set _ZL37rocblas_syrkx_herkx_restricted_kernelIl19rocblas_complex_numIfELi16ELi32ELi8ELb0ELb1ELc67ELc76EKPKS1_KPS1_EviT_T0_PT8_S7_lSA_S7_lS8_PT9_S7_li.private_seg_size, 0
	.set _ZL37rocblas_syrkx_herkx_restricted_kernelIl19rocblas_complex_numIfELi16ELi32ELi8ELb0ELb1ELc67ELc76EKPKS1_KPS1_EviT_T0_PT8_S7_lSA_S7_lS8_PT9_S7_li.uses_vcc, 1
	.set _ZL37rocblas_syrkx_herkx_restricted_kernelIl19rocblas_complex_numIfELi16ELi32ELi8ELb0ELb1ELc67ELc76EKPKS1_KPS1_EviT_T0_PT8_S7_lSA_S7_lS8_PT9_S7_li.uses_flat_scratch, 0
	.set _ZL37rocblas_syrkx_herkx_restricted_kernelIl19rocblas_complex_numIfELi16ELi32ELi8ELb0ELb1ELc67ELc76EKPKS1_KPS1_EviT_T0_PT8_S7_lSA_S7_lS8_PT9_S7_li.has_dyn_sized_stack, 0
	.set _ZL37rocblas_syrkx_herkx_restricted_kernelIl19rocblas_complex_numIfELi16ELi32ELi8ELb0ELb1ELc67ELc76EKPKS1_KPS1_EviT_T0_PT8_S7_lSA_S7_lS8_PT9_S7_li.has_recursion, 0
	.set _ZL37rocblas_syrkx_herkx_restricted_kernelIl19rocblas_complex_numIfELi16ELi32ELi8ELb0ELb1ELc67ELc76EKPKS1_KPS1_EviT_T0_PT8_S7_lSA_S7_lS8_PT9_S7_li.has_indirect_call, 0
	.section	.AMDGPU.csdata,"",@progbits
; Kernel info:
; codeLenInByte = 2292
; TotalNumSgprs: 32
; NumVgprs: 41
; ScratchSize: 0
; MemoryBound: 0
; FloatMode: 240
; IeeeMode: 1
; LDSByteSize: 4096 bytes/workgroup (compile time only)
; SGPRBlocks: 3
; VGPRBlocks: 10
; NumSGPRsForWavesPerEU: 32
; NumVGPRsForWavesPerEU: 41
; Occupancy: 5
; WaveLimiterHint : 1
; COMPUTE_PGM_RSRC2:SCRATCH_EN: 0
; COMPUTE_PGM_RSRC2:USER_SGPR: 6
; COMPUTE_PGM_RSRC2:TRAP_HANDLER: 0
; COMPUTE_PGM_RSRC2:TGID_X_EN: 1
; COMPUTE_PGM_RSRC2:TGID_Y_EN: 1
; COMPUTE_PGM_RSRC2:TGID_Z_EN: 1
; COMPUTE_PGM_RSRC2:TIDIG_COMP_CNT: 1
	.section	.text._ZL37rocblas_syrkx_herkx_restricted_kernelIl19rocblas_complex_numIfELi16ELi32ELi8ELb0ELb1ELc78ELc76EKPKS1_KPS1_EviT_T0_PT8_S7_lSA_S7_lS8_PT9_S7_li,"axG",@progbits,_ZL37rocblas_syrkx_herkx_restricted_kernelIl19rocblas_complex_numIfELi16ELi32ELi8ELb0ELb1ELc78ELc76EKPKS1_KPS1_EviT_T0_PT8_S7_lSA_S7_lS8_PT9_S7_li,comdat
	.globl	_ZL37rocblas_syrkx_herkx_restricted_kernelIl19rocblas_complex_numIfELi16ELi32ELi8ELb0ELb1ELc78ELc76EKPKS1_KPS1_EviT_T0_PT8_S7_lSA_S7_lS8_PT9_S7_li ; -- Begin function _ZL37rocblas_syrkx_herkx_restricted_kernelIl19rocblas_complex_numIfELi16ELi32ELi8ELb0ELb1ELc78ELc76EKPKS1_KPS1_EviT_T0_PT8_S7_lSA_S7_lS8_PT9_S7_li
	.p2align	8
	.type	_ZL37rocblas_syrkx_herkx_restricted_kernelIl19rocblas_complex_numIfELi16ELi32ELi8ELb0ELb1ELc78ELc76EKPKS1_KPS1_EviT_T0_PT8_S7_lSA_S7_lS8_PT9_S7_li,@function
_ZL37rocblas_syrkx_herkx_restricted_kernelIl19rocblas_complex_numIfELi16ELi32ELi8ELb0ELb1ELc78ELc76EKPKS1_KPS1_EviT_T0_PT8_S7_lSA_S7_lS8_PT9_S7_li: ; @_ZL37rocblas_syrkx_herkx_restricted_kernelIl19rocblas_complex_numIfELi16ELi32ELi8ELb0ELb1ELc78ELc76EKPKS1_KPS1_EviT_T0_PT8_S7_lSA_S7_lS8_PT9_S7_li
; %bb.0:
	s_load_dwordx4 s[20:23], s[4:5], 0x48
	s_load_dwordx2 s[10:11], s[4:5], 0x58
	s_load_dwordx8 s[12:19], s[4:5], 0x8
	s_mov_b32 s9, 0
	s_lshl_b64 s[24:25], s[8:9], 3
	s_waitcnt lgkmcnt(0)
	s_add_u32 s0, s22, s24
	s_addc_u32 s1, s23, s25
	s_load_dwordx2 s[8:9], s[0:1], 0x0
	v_cmp_lt_i64_e64 s[0:1], s[12:13], 1
	s_lshl_b32 s22, s6, 5
	s_lshl_b32 s23, s7, 5
	s_and_b64 vcc, exec, s[0:1]
	s_cbranch_vccnz .LBB1728_3
; %bb.1:
	s_load_dwordx4 s[0:3], s[4:5], 0x30
	v_lshl_add_u32 v5, v1, 4, v0
	v_lshrrev_b32_e32 v6, 3, v5
	v_add_u32_e32 v2, s23, v6
	s_add_u32 s6, s16, s24
	v_and_b32_e32 v7, 7, v0
	v_ashrrev_i32_e32 v3, 31, v2
	s_addc_u32 s7, s17, s25
	s_waitcnt lgkmcnt(0)
	v_mad_u64_u32 v[2:3], s[16:17], s2, v7, v[2:3]
	s_add_u32 s0, s0, s24
	v_lshrrev_b32_e32 v8, 5, v5
	v_mad_u64_u32 v[3:4], s[16:17], s3, v7, v[3:4]
	v_and_b32_e32 v4, 31, v5
	v_lshlrev_b32_e32 v5, 3, v4
	v_add_u32_e32 v4, s22, v4
	s_addc_u32 s1, s1, s25
	v_lshl_or_b32 v10, v8, 8, v5
	v_ashrrev_i32_e32 v5, 31, v4
	s_load_dwordx2 s[16:17], s[0:1], 0x0
	v_mad_u64_u32 v[4:5], s[0:1], s18, v8, v[4:5]
	v_lshlrev_b32_e32 v7, 3, v7
	v_lshl_or_b32 v6, v6, 6, v7
	v_add_u32_e32 v11, 0x800, v6
	v_mad_u64_u32 v[5:6], s[0:1], s19, v8, v[5:6]
	s_load_dwordx2 s[6:7], s[6:7], 0x0
	v_mov_b32_e32 v6, 0x800
	v_lshlrev_b64 v[4:5], 3, v[4:5]
	v_lshl_add_u32 v13, v1, 6, v6
	v_lshlrev_b64 v[2:3], 3, v[2:3]
	s_waitcnt lgkmcnt(0)
	v_mov_b32_e32 v7, s7
	v_add_co_u32_e32 v6, vcc, s6, v4
	v_addc_co_u32_e32 v7, vcc, v7, v5, vcc
	s_lshl_b64 s[0:1], s[18:19], 6
	v_mov_b32_e32 v4, s17
	v_add_co_u32_e32 v8, vcc, s16, v2
	s_lshl_b64 s[2:3], s[2:3], 6
	v_lshlrev_b32_e32 v12, 3, v0
	v_addc_co_u32_e32 v9, vcc, v4, v3, vcc
	v_mov_b32_e32 v16, 0
	s_mov_b64 s[6:7], 0
	v_mov_b32_e32 v14, s1
	v_mov_b32_e32 v15, s3
	;; [unrolled: 1-line block ×9, first 2 shown]
.LBB1728_2:                             ; =>This Inner Loop Header: Depth=1
	flat_load_dwordx2 v[2:3], v[6:7]
	v_add_co_u32_e32 v6, vcc, s0, v6
	s_add_u32 s6, s6, 8
	v_addc_co_u32_e32 v7, vcc, v7, v14, vcc
	s_addc_u32 s7, s7, 0
	s_waitcnt vmcnt(0) lgkmcnt(0)
	ds_write_b64 v10, v[2:3]
	flat_load_dwordx2 v[2:3], v[8:9]
	v_add_co_u32_e32 v8, vcc, s2, v8
	v_addc_co_u32_e32 v9, vcc, v9, v15, vcc
	s_waitcnt vmcnt(0) lgkmcnt(0)
	v_xor_b32_e32 v3, 0x80000000, v3
	ds_write_b64 v11, v[2:3]
	s_waitcnt lgkmcnt(0)
	s_barrier
	ds_read_b128 v[24:27], v13
	ds_read_b128 v[28:31], v13 offset:16
	ds_read_b128 v[32:35], v13 offset:32
	;; [unrolled: 1-line block ×3, first 2 shown]
	ds_read2_b64 v[36:39], v12 offset1:16
	s_waitcnt lgkmcnt(0)
	v_mul_f32_e32 v40, v25, v37
	v_mul_f32_e32 v41, v24, v37
	v_fma_f32 v40, v24, v36, -v40
	v_fmac_f32_e32 v41, v25, v36
	v_add_f32_e32 v40, v22, v40
	v_add_f32_e32 v41, v23, v41
	v_mul_f32_e32 v22, v25, v39
	v_mul_f32_e32 v23, v24, v39
	v_fma_f32 v22, v24, v38, -v22
	v_fmac_f32_e32 v23, v25, v38
	v_add_f32_e32 v24, v20, v22
	v_add_f32_e32 v25, v21, v23
	ds_read_b128 v[20:23], v13 offset:1024
	s_waitcnt lgkmcnt(0)
	v_mul_f32_e32 v42, v21, v37
	v_mul_f32_e32 v37, v20, v37
	v_fma_f32 v42, v20, v36, -v42
	v_fmac_f32_e32 v37, v21, v36
	v_add_f32_e32 v36, v18, v42
	v_add_f32_e32 v37, v19, v37
	v_mul_f32_e32 v18, v21, v39
	v_mul_f32_e32 v19, v20, v39
	v_fma_f32 v18, v20, v38, -v18
	v_fmac_f32_e32 v19, v21, v38
	v_add_f32_e32 v20, v17, v18
	v_add_f32_e32 v21, v16, v19
	ds_read2_b64 v[16:19], v12 offset0:32 offset1:48
	s_waitcnt lgkmcnt(0)
	v_mul_f32_e32 v38, v27, v17
	v_fma_f32 v38, v26, v16, -v38
	v_add_f32_e32 v38, v40, v38
	v_mul_f32_e32 v40, v27, v19
	v_mul_f32_e32 v39, v26, v17
	v_fma_f32 v40, v26, v18, -v40
	v_mul_f32_e32 v26, v26, v19
	v_fmac_f32_e32 v26, v27, v18
	v_add_f32_e32 v25, v25, v26
	v_mul_f32_e32 v26, v23, v17
	v_mul_f32_e32 v17, v22, v17
	v_fmac_f32_e32 v17, v23, v16
	v_fmac_f32_e32 v39, v27, v16
	v_fma_f32 v26, v22, v16, -v26
	v_add_f32_e32 v27, v37, v17
	v_mul_f32_e32 v16, v23, v19
	v_mul_f32_e32 v17, v22, v19
	v_fma_f32 v16, v22, v18, -v16
	v_fmac_f32_e32 v17, v23, v18
	v_add_f32_e32 v26, v36, v26
	v_add_f32_e32 v36, v20, v16
	;; [unrolled: 1-line block ×3, first 2 shown]
	ds_read2_b64 v[16:19], v12 offset0:64 offset1:80
	v_add_f32_e32 v39, v41, v39
	v_add_f32_e32 v24, v24, v40
	s_waitcnt lgkmcnt(0)
	v_mul_f32_e32 v20, v29, v17
	v_mul_f32_e32 v21, v28, v17
	v_fma_f32 v20, v28, v16, -v20
	v_fmac_f32_e32 v21, v29, v16
	v_add_f32_e32 v38, v38, v20
	v_add_f32_e32 v39, v39, v21
	v_mul_f32_e32 v20, v29, v19
	v_mul_f32_e32 v21, v28, v19
	v_fma_f32 v20, v28, v18, -v20
	v_fmac_f32_e32 v21, v29, v18
	v_add_f32_e32 v24, v24, v20
	v_add_f32_e32 v25, v25, v21
	ds_read_b128 v[20:23], v13 offset:1040
	s_waitcnt lgkmcnt(0)
	v_mul_f32_e32 v28, v21, v17
	v_mul_f32_e32 v17, v20, v17
	v_fmac_f32_e32 v17, v21, v16
	v_fma_f32 v28, v20, v16, -v28
	v_add_f32_e32 v27, v27, v17
	v_mul_f32_e32 v16, v21, v19
	v_mul_f32_e32 v17, v20, v19
	v_fma_f32 v16, v20, v18, -v16
	v_fmac_f32_e32 v17, v21, v18
	v_add_f32_e32 v20, v36, v16
	v_add_f32_e32 v21, v37, v17
	ds_read2_b64 v[16:19], v12 offset0:96 offset1:112
	v_add_f32_e32 v26, v26, v28
	s_waitcnt lgkmcnt(0)
	v_mul_f32_e32 v28, v31, v17
	v_mul_f32_e32 v36, v31, v19
	v_fma_f32 v28, v30, v16, -v28
	v_mul_f32_e32 v29, v30, v17
	v_fma_f32 v36, v30, v18, -v36
	v_mul_f32_e32 v30, v30, v19
	v_fmac_f32_e32 v30, v31, v18
	v_add_f32_e32 v25, v25, v30
	v_mul_f32_e32 v30, v23, v17
	v_mul_f32_e32 v17, v22, v17
	v_fmac_f32_e32 v17, v23, v16
	v_fmac_f32_e32 v29, v31, v16
	v_fma_f32 v30, v22, v16, -v30
	v_add_f32_e32 v27, v27, v17
	v_mul_f32_e32 v16, v23, v19
	v_mul_f32_e32 v17, v22, v19
	v_fma_f32 v16, v22, v18, -v16
	v_fmac_f32_e32 v17, v23, v18
	v_add_f32_e32 v26, v26, v30
	v_add_f32_e32 v30, v20, v16
	;; [unrolled: 1-line block ×3, first 2 shown]
	ds_read2_b64 v[16:19], v12 offset0:128 offset1:144
	v_add_f32_e32 v28, v38, v28
	v_add_f32_e32 v29, v39, v29
	;; [unrolled: 1-line block ×3, first 2 shown]
	s_waitcnt lgkmcnt(0)
	v_mul_f32_e32 v20, v33, v17
	v_mul_f32_e32 v21, v32, v17
	v_fma_f32 v20, v32, v16, -v20
	v_fmac_f32_e32 v21, v33, v16
	v_add_f32_e32 v28, v28, v20
	v_add_f32_e32 v29, v29, v21
	v_mul_f32_e32 v20, v33, v19
	v_mul_f32_e32 v21, v32, v19
	v_fma_f32 v20, v32, v18, -v20
	v_fmac_f32_e32 v21, v33, v18
	v_add_f32_e32 v24, v24, v20
	v_add_f32_e32 v25, v25, v21
	ds_read_b128 v[20:23], v13 offset:1056
	s_waitcnt lgkmcnt(0)
	v_mul_f32_e32 v32, v21, v17
	v_mul_f32_e32 v17, v20, v17
	v_fmac_f32_e32 v17, v21, v16
	v_fma_f32 v32, v20, v16, -v32
	v_add_f32_e32 v27, v27, v17
	v_mul_f32_e32 v16, v21, v19
	v_mul_f32_e32 v17, v20, v19
	v_fma_f32 v16, v20, v18, -v16
	v_fmac_f32_e32 v17, v21, v18
	v_add_f32_e32 v20, v30, v16
	v_add_f32_e32 v21, v31, v17
	ds_read2_b64 v[16:19], v12 offset0:160 offset1:176
	v_add_f32_e32 v26, v26, v32
	s_waitcnt lgkmcnt(0)
	v_mul_f32_e32 v30, v35, v17
	v_fma_f32 v30, v34, v16, -v30
	v_add_f32_e32 v28, v28, v30
	v_mul_f32_e32 v30, v35, v19
	v_fma_f32 v30, v34, v18, -v30
	v_mul_f32_e32 v31, v34, v17
	v_add_f32_e32 v24, v24, v30
	v_mul_f32_e32 v30, v23, v17
	v_mul_f32_e32 v17, v22, v17
	v_fmac_f32_e32 v17, v23, v16
	v_fmac_f32_e32 v31, v35, v16
	v_fma_f32 v30, v22, v16, -v30
	v_add_f32_e32 v27, v27, v17
	v_mul_f32_e32 v16, v23, v19
	v_mul_f32_e32 v17, v22, v19
	v_add_f32_e32 v29, v29, v31
	v_mul_f32_e32 v31, v34, v19
	v_fma_f32 v16, v22, v18, -v16
	v_fmac_f32_e32 v17, v23, v18
	v_fmac_f32_e32 v31, v35, v18
	v_add_f32_e32 v20, v20, v16
	v_add_f32_e32 v21, v21, v17
	ds_read2_b64 v[16:19], v12 offset0:192 offset1:208
	v_add_f32_e32 v26, v26, v30
	v_add_f32_e32 v25, v25, v31
	s_waitcnt lgkmcnt(0)
	v_mul_f32_e32 v22, v3, v17
	v_fma_f32 v22, v2, v16, -v22
	v_add_f32_e32 v30, v28, v22
	v_mul_f32_e32 v22, v3, v19
	v_mul_f32_e32 v23, v2, v17
	v_fma_f32 v22, v2, v18, -v22
	v_mul_f32_e32 v2, v2, v19
	v_fmac_f32_e32 v23, v3, v16
	v_fmac_f32_e32 v2, v3, v18
	v_add_f32_e32 v31, v29, v23
	v_add_f32_e32 v3, v24, v22
	;; [unrolled: 1-line block ×3, first 2 shown]
	ds_read_b128 v[22:25], v13 offset:1072
	s_waitcnt lgkmcnt(0)
	v_mul_f32_e32 v28, v23, v17
	v_fma_f32 v28, v22, v16, -v28
	v_mul_f32_e32 v17, v22, v17
	v_fmac_f32_e32 v17, v23, v16
	v_add_f32_e32 v16, v26, v28
	v_mul_f32_e32 v26, v23, v19
	v_fma_f32 v26, v22, v18, -v26
	v_add_f32_e32 v17, v27, v17
	v_add_f32_e32 v32, v20, v26
	ds_read2_b64 v[26:29], v12 offset0:224 offset1:240
	v_mul_f32_e32 v19, v22, v19
	v_fmac_f32_e32 v19, v23, v18
	v_add_f32_e32 v33, v21, v19
	s_waitcnt lgkmcnt(0)
	v_mul_f32_e32 v18, v5, v27
	v_fma_f32 v18, v4, v26, -v18
	v_add_f32_e32 v22, v30, v18
	v_mul_f32_e32 v18, v5, v29
	v_mul_f32_e32 v19, v4, v27
	v_fma_f32 v18, v4, v28, -v18
	v_mul_f32_e32 v4, v4, v29
	v_fmac_f32_e32 v4, v5, v28
	v_add_f32_e32 v20, v3, v18
	v_add_f32_e32 v21, v2, v4
	v_mul_f32_e32 v2, v25, v27
	v_mul_f32_e32 v3, v24, v27
	v_fmac_f32_e32 v19, v5, v26
	v_fma_f32 v2, v24, v26, -v2
	v_fmac_f32_e32 v3, v25, v26
	v_add_f32_e32 v23, v31, v19
	v_add_f32_e32 v18, v16, v2
	;; [unrolled: 1-line block ×3, first 2 shown]
	v_mul_f32_e32 v2, v25, v29
	v_mul_f32_e32 v3, v24, v29
	v_fma_f32 v2, v24, v28, -v2
	v_fmac_f32_e32 v3, v25, v28
	v_add_f32_e32 v17, v32, v2
	v_add_f32_e32 v16, v33, v3
	v_mov_b32_e32 v2, s6
	v_mov_b32_e32 v3, s7
	v_cmp_le_u64_e32 vcc, s[12:13], v[2:3]
	s_barrier
	s_cbranch_vccz .LBB1728_2
	s_branch .LBB1728_4
.LBB1728_3:
	v_mov_b32_e32 v22, 0
	v_mov_b32_e32 v23, 0
	;; [unrolled: 1-line block ×8, first 2 shown]
.LBB1728_4:
	v_add_u32_e32 v5, s23, v1
	v_ashrrev_i32_e32 v1, 31, v5
	v_mul_lo_u32 v3, s10, v1
	v_mul_lo_u32 v4, s11, v5
	v_mad_u64_u32 v[1:2], s[0:1], s10, v5, 0
	s_load_dword s4, s[4:5], 0x0
	v_add_u32_e32 v0, s22, v0
	v_add3_u32 v2, v2, v3, v4
	v_lshlrev_b64 v[1:2], 3, v[1:2]
	s_waitcnt lgkmcnt(0)
	v_mov_b32_e32 v3, s9
	v_add_co_u32_e32 v4, vcc, s8, v1
	v_addc_co_u32_e32 v6, vcc, v3, v2, vcc
	v_cmp_le_i32_e64 s[0:1], v5, v0
	v_cmp_gt_i32_e32 vcc, s4, v0
	s_and_b64 s[0:1], s[0:1], vcc
	s_and_saveexec_b64 s[2:3], s[0:1]
	s_cbranch_execz .LBB1728_7
; %bb.5:
	v_ashrrev_i32_e32 v1, 31, v0
	v_lshlrev_b64 v[1:2], 3, v[0:1]
	v_mul_f32_e32 v3, s15, v23
	v_add_co_u32_e64 v1, s[0:1], v4, v1
	v_addc_co_u32_e64 v2, s[0:1], v6, v2, s[0:1]
	flat_load_dwordx2 v[7:8], v[1:2]
	v_mul_f32_e32 v9, s14, v23
	v_fma_f32 v3, v22, s14, -v3
	v_fmac_f32_e32 v9, s15, v22
	v_cmp_eq_u32_e64 s[0:1], v5, v0
	s_waitcnt vmcnt(0) lgkmcnt(0)
	v_mul_f32_e32 v10, s21, v8
	v_mul_f32_e32 v8, s20, v8
	v_fma_f32 v10, v7, s20, -v10
	v_fmac_f32_e32 v8, s21, v7
	v_add_f32_e32 v7, v3, v10
	v_add_f32_e32 v8, v9, v8
	flat_store_dwordx2 v[1:2], v[7:8]
	s_and_b64 exec, exec, s[0:1]
	s_cbranch_execz .LBB1728_7
; %bb.6:
	v_mov_b32_e32 v3, 0
	flat_store_dword v[1:2], v3 offset:4
.LBB1728_7:
	s_or_b64 exec, exec, s[2:3]
	v_add_u32_e32 v2, 16, v0
	v_cmp_le_i32_e64 s[2:3], v5, v2
	v_cmp_gt_i32_e64 s[0:1], s4, v2
	s_and_b64 s[2:3], s[2:3], s[0:1]
	s_and_saveexec_b64 s[4:5], s[2:3]
	s_cbranch_execz .LBB1728_10
; %bb.8:
	v_ashrrev_i32_e32 v3, 31, v2
	v_lshlrev_b64 v[7:8], 3, v[2:3]
	v_mul_f32_e32 v1, s15, v21
	v_add_co_u32_e64 v3, s[2:3], v4, v7
	v_addc_co_u32_e64 v4, s[2:3], v6, v8, s[2:3]
	flat_load_dwordx2 v[6:7], v[3:4]
	v_mul_f32_e32 v8, s14, v21
	v_fma_f32 v1, v20, s14, -v1
	v_fmac_f32_e32 v8, s15, v20
	v_cmp_eq_u32_e64 s[2:3], v5, v2
	s_waitcnt vmcnt(0) lgkmcnt(0)
	v_mul_f32_e32 v9, s21, v7
	v_mul_f32_e32 v7, s20, v7
	v_fma_f32 v9, v6, s20, -v9
	v_fmac_f32_e32 v7, s21, v6
	v_add_f32_e32 v6, v1, v9
	v_add_f32_e32 v7, v8, v7
	flat_store_dwordx2 v[3:4], v[6:7]
	s_and_b64 exec, exec, s[2:3]
	s_cbranch_execz .LBB1728_10
; %bb.9:
	v_mov_b32_e32 v1, 0
	flat_store_dword v[3:4], v1 offset:4
.LBB1728_10:
	s_or_b64 exec, exec, s[4:5]
	v_add_u32_e32 v8, 16, v5
	v_ashrrev_i32_e32 v1, 31, v8
	v_mul_lo_u32 v6, s11, v8
	v_mad_u64_u32 v[3:4], s[2:3], s10, v8, 0
	v_mul_lo_u32 v1, s10, v1
	v_add3_u32 v4, v4, v1, v6
	v_lshlrev_b64 v[3:4], 3, v[3:4]
	v_mov_b32_e32 v1, s9
	v_add_co_u32_e64 v6, s[2:3], s8, v3
	v_addc_co_u32_e64 v7, s[2:3], v1, v4, s[2:3]
	v_cmp_le_i32_e64 s[2:3], v8, v0
	s_and_b64 s[4:5], s[2:3], vcc
	s_and_saveexec_b64 s[2:3], s[4:5]
	s_cbranch_execz .LBB1728_13
; %bb.11:
	v_ashrrev_i32_e32 v1, 31, v0
	v_lshlrev_b64 v[3:4], 3, v[0:1]
	v_mul_f32_e32 v1, s15, v19
	v_add_co_u32_e32 v3, vcc, v6, v3
	v_addc_co_u32_e32 v4, vcc, v7, v4, vcc
	flat_load_dwordx2 v[9:10], v[3:4]
	v_mul_f32_e32 v11, s14, v19
	v_fma_f32 v1, v18, s14, -v1
	v_fmac_f32_e32 v11, s15, v18
	v_cmp_eq_u32_e32 vcc, v8, v0
	s_waitcnt vmcnt(0) lgkmcnt(0)
	v_mul_f32_e32 v12, s21, v10
	v_mul_f32_e32 v10, s20, v10
	v_fma_f32 v12, v9, s20, -v12
	v_fmac_f32_e32 v10, s21, v9
	v_add_f32_e32 v9, v1, v12
	v_add_f32_e32 v10, v11, v10
	flat_store_dwordx2 v[3:4], v[9:10]
	s_and_b64 exec, exec, vcc
	s_cbranch_execz .LBB1728_13
; %bb.12:
	v_mov_b32_e32 v1, 0
	flat_store_dword v[3:4], v1 offset:4
.LBB1728_13:
	s_or_b64 exec, exec, s[2:3]
	v_cmp_le_i32_e32 vcc, v8, v2
	s_and_b64 s[0:1], vcc, s[0:1]
	s_and_saveexec_b64 s[2:3], s[0:1]
	s_cbranch_execz .LBB1728_16
; %bb.14:
	v_ashrrev_i32_e32 v3, 31, v2
	v_lshlrev_b64 v[1:2], 3, v[2:3]
	v_add_co_u32_e32 v1, vcc, v6, v1
	v_addc_co_u32_e32 v2, vcc, v7, v2, vcc
	flat_load_dwordx2 v[3:4], v[1:2]
	v_mul_f32_e32 v6, s15, v16
	v_mul_f32_e32 v7, s14, v16
	v_fma_f32 v6, v17, s14, -v6
	v_fmac_f32_e32 v7, s15, v17
	v_cmp_eq_u32_e32 vcc, v5, v0
	s_waitcnt vmcnt(0) lgkmcnt(0)
	v_mul_f32_e32 v8, s21, v4
	v_mul_f32_e32 v4, s20, v4
	v_fma_f32 v8, v3, s20, -v8
	v_fmac_f32_e32 v4, s21, v3
	v_add_f32_e32 v3, v6, v8
	v_add_f32_e32 v4, v7, v4
	flat_store_dwordx2 v[1:2], v[3:4]
	s_and_b64 exec, exec, vcc
	s_cbranch_execz .LBB1728_16
; %bb.15:
	v_mov_b32_e32 v0, 0
	flat_store_dword v[1:2], v0 offset:4
.LBB1728_16:
	s_endpgm
	.section	.rodata,"a",@progbits
	.p2align	6, 0x0
	.amdhsa_kernel _ZL37rocblas_syrkx_herkx_restricted_kernelIl19rocblas_complex_numIfELi16ELi32ELi8ELb0ELb1ELc78ELc76EKPKS1_KPS1_EviT_T0_PT8_S7_lSA_S7_lS8_PT9_S7_li
		.amdhsa_group_segment_fixed_size 4096
		.amdhsa_private_segment_fixed_size 0
		.amdhsa_kernarg_size 108
		.amdhsa_user_sgpr_count 6
		.amdhsa_user_sgpr_private_segment_buffer 1
		.amdhsa_user_sgpr_dispatch_ptr 0
		.amdhsa_user_sgpr_queue_ptr 0
		.amdhsa_user_sgpr_kernarg_segment_ptr 1
		.amdhsa_user_sgpr_dispatch_id 0
		.amdhsa_user_sgpr_flat_scratch_init 0
		.amdhsa_user_sgpr_private_segment_size 0
		.amdhsa_uses_dynamic_stack 0
		.amdhsa_system_sgpr_private_segment_wavefront_offset 0
		.amdhsa_system_sgpr_workgroup_id_x 1
		.amdhsa_system_sgpr_workgroup_id_y 1
		.amdhsa_system_sgpr_workgroup_id_z 1
		.amdhsa_system_sgpr_workgroup_info 0
		.amdhsa_system_vgpr_workitem_id 1
		.amdhsa_next_free_vgpr 43
		.amdhsa_next_free_sgpr 26
		.amdhsa_reserve_vcc 1
		.amdhsa_reserve_flat_scratch 0
		.amdhsa_float_round_mode_32 0
		.amdhsa_float_round_mode_16_64 0
		.amdhsa_float_denorm_mode_32 3
		.amdhsa_float_denorm_mode_16_64 3
		.amdhsa_dx10_clamp 1
		.amdhsa_ieee_mode 1
		.amdhsa_fp16_overflow 0
		.amdhsa_exception_fp_ieee_invalid_op 0
		.amdhsa_exception_fp_denorm_src 0
		.amdhsa_exception_fp_ieee_div_zero 0
		.amdhsa_exception_fp_ieee_overflow 0
		.amdhsa_exception_fp_ieee_underflow 0
		.amdhsa_exception_fp_ieee_inexact 0
		.amdhsa_exception_int_div_zero 0
	.end_amdhsa_kernel
	.section	.text._ZL37rocblas_syrkx_herkx_restricted_kernelIl19rocblas_complex_numIfELi16ELi32ELi8ELb0ELb1ELc78ELc76EKPKS1_KPS1_EviT_T0_PT8_S7_lSA_S7_lS8_PT9_S7_li,"axG",@progbits,_ZL37rocblas_syrkx_herkx_restricted_kernelIl19rocblas_complex_numIfELi16ELi32ELi8ELb0ELb1ELc78ELc76EKPKS1_KPS1_EviT_T0_PT8_S7_lSA_S7_lS8_PT9_S7_li,comdat
.Lfunc_end1728:
	.size	_ZL37rocblas_syrkx_herkx_restricted_kernelIl19rocblas_complex_numIfELi16ELi32ELi8ELb0ELb1ELc78ELc76EKPKS1_KPS1_EviT_T0_PT8_S7_lSA_S7_lS8_PT9_S7_li, .Lfunc_end1728-_ZL37rocblas_syrkx_herkx_restricted_kernelIl19rocblas_complex_numIfELi16ELi32ELi8ELb0ELb1ELc78ELc76EKPKS1_KPS1_EviT_T0_PT8_S7_lSA_S7_lS8_PT9_S7_li
                                        ; -- End function
	.set _ZL37rocblas_syrkx_herkx_restricted_kernelIl19rocblas_complex_numIfELi16ELi32ELi8ELb0ELb1ELc78ELc76EKPKS1_KPS1_EviT_T0_PT8_S7_lSA_S7_lS8_PT9_S7_li.num_vgpr, 43
	.set _ZL37rocblas_syrkx_herkx_restricted_kernelIl19rocblas_complex_numIfELi16ELi32ELi8ELb0ELb1ELc78ELc76EKPKS1_KPS1_EviT_T0_PT8_S7_lSA_S7_lS8_PT9_S7_li.num_agpr, 0
	.set _ZL37rocblas_syrkx_herkx_restricted_kernelIl19rocblas_complex_numIfELi16ELi32ELi8ELb0ELb1ELc78ELc76EKPKS1_KPS1_EviT_T0_PT8_S7_lSA_S7_lS8_PT9_S7_li.numbered_sgpr, 26
	.set _ZL37rocblas_syrkx_herkx_restricted_kernelIl19rocblas_complex_numIfELi16ELi32ELi8ELb0ELb1ELc78ELc76EKPKS1_KPS1_EviT_T0_PT8_S7_lSA_S7_lS8_PT9_S7_li.num_named_barrier, 0
	.set _ZL37rocblas_syrkx_herkx_restricted_kernelIl19rocblas_complex_numIfELi16ELi32ELi8ELb0ELb1ELc78ELc76EKPKS1_KPS1_EviT_T0_PT8_S7_lSA_S7_lS8_PT9_S7_li.private_seg_size, 0
	.set _ZL37rocblas_syrkx_herkx_restricted_kernelIl19rocblas_complex_numIfELi16ELi32ELi8ELb0ELb1ELc78ELc76EKPKS1_KPS1_EviT_T0_PT8_S7_lSA_S7_lS8_PT9_S7_li.uses_vcc, 1
	.set _ZL37rocblas_syrkx_herkx_restricted_kernelIl19rocblas_complex_numIfELi16ELi32ELi8ELb0ELb1ELc78ELc76EKPKS1_KPS1_EviT_T0_PT8_S7_lSA_S7_lS8_PT9_S7_li.uses_flat_scratch, 0
	.set _ZL37rocblas_syrkx_herkx_restricted_kernelIl19rocblas_complex_numIfELi16ELi32ELi8ELb0ELb1ELc78ELc76EKPKS1_KPS1_EviT_T0_PT8_S7_lSA_S7_lS8_PT9_S7_li.has_dyn_sized_stack, 0
	.set _ZL37rocblas_syrkx_herkx_restricted_kernelIl19rocblas_complex_numIfELi16ELi32ELi8ELb0ELb1ELc78ELc76EKPKS1_KPS1_EviT_T0_PT8_S7_lSA_S7_lS8_PT9_S7_li.has_recursion, 0
	.set _ZL37rocblas_syrkx_herkx_restricted_kernelIl19rocblas_complex_numIfELi16ELi32ELi8ELb0ELb1ELc78ELc76EKPKS1_KPS1_EviT_T0_PT8_S7_lSA_S7_lS8_PT9_S7_li.has_indirect_call, 0
	.section	.AMDGPU.csdata,"",@progbits
; Kernel info:
; codeLenInByte = 2272
; TotalNumSgprs: 30
; NumVgprs: 43
; ScratchSize: 0
; MemoryBound: 0
; FloatMode: 240
; IeeeMode: 1
; LDSByteSize: 4096 bytes/workgroup (compile time only)
; SGPRBlocks: 3
; VGPRBlocks: 10
; NumSGPRsForWavesPerEU: 30
; NumVGPRsForWavesPerEU: 43
; Occupancy: 5
; WaveLimiterHint : 1
; COMPUTE_PGM_RSRC2:SCRATCH_EN: 0
; COMPUTE_PGM_RSRC2:USER_SGPR: 6
; COMPUTE_PGM_RSRC2:TRAP_HANDLER: 0
; COMPUTE_PGM_RSRC2:TGID_X_EN: 1
; COMPUTE_PGM_RSRC2:TGID_Y_EN: 1
; COMPUTE_PGM_RSRC2:TGID_Z_EN: 1
; COMPUTE_PGM_RSRC2:TIDIG_COMP_CNT: 1
	.section	.text._ZL37rocblas_syrkx_herkx_restricted_kernelIl19rocblas_complex_numIfELi16ELi32ELi8ELb0ELb1ELc84ELc85EKPKS1_KPS1_EviT_T0_PT8_S7_lSA_S7_lS8_PT9_S7_li,"axG",@progbits,_ZL37rocblas_syrkx_herkx_restricted_kernelIl19rocblas_complex_numIfELi16ELi32ELi8ELb0ELb1ELc84ELc85EKPKS1_KPS1_EviT_T0_PT8_S7_lSA_S7_lS8_PT9_S7_li,comdat
	.globl	_ZL37rocblas_syrkx_herkx_restricted_kernelIl19rocblas_complex_numIfELi16ELi32ELi8ELb0ELb1ELc84ELc85EKPKS1_KPS1_EviT_T0_PT8_S7_lSA_S7_lS8_PT9_S7_li ; -- Begin function _ZL37rocblas_syrkx_herkx_restricted_kernelIl19rocblas_complex_numIfELi16ELi32ELi8ELb0ELb1ELc84ELc85EKPKS1_KPS1_EviT_T0_PT8_S7_lSA_S7_lS8_PT9_S7_li
	.p2align	8
	.type	_ZL37rocblas_syrkx_herkx_restricted_kernelIl19rocblas_complex_numIfELi16ELi32ELi8ELb0ELb1ELc84ELc85EKPKS1_KPS1_EviT_T0_PT8_S7_lSA_S7_lS8_PT9_S7_li,@function
_ZL37rocblas_syrkx_herkx_restricted_kernelIl19rocblas_complex_numIfELi16ELi32ELi8ELb0ELb1ELc84ELc85EKPKS1_KPS1_EviT_T0_PT8_S7_lSA_S7_lS8_PT9_S7_li: ; @_ZL37rocblas_syrkx_herkx_restricted_kernelIl19rocblas_complex_numIfELi16ELi32ELi8ELb0ELb1ELc84ELc85EKPKS1_KPS1_EviT_T0_PT8_S7_lSA_S7_lS8_PT9_S7_li
; %bb.0:
	s_load_dwordx4 s[20:23], s[4:5], 0x48
	s_load_dwordx2 s[2:3], s[4:5], 0x58
	s_load_dwordx8 s[12:19], s[4:5], 0x8
	s_mov_b32 s9, 0
	s_lshl_b64 s[0:1], s[8:9], 3
	s_waitcnt lgkmcnt(0)
	s_add_u32 s8, s22, s0
	s_addc_u32 s9, s23, s1
	s_load_dwordx2 s[8:9], s[8:9], 0x0
	v_cmp_lt_i64_e64 s[10:11], s[12:13], 1
	s_lshl_b32 s6, s6, 5
	s_lshl_b32 s7, s7, 5
	s_and_b64 vcc, exec, s[10:11]
	s_cbranch_vccnz .LBB1729_3
; %bb.1:
	s_load_dwordx4 s[24:27], s[4:5], 0x30
	v_lshl_add_u32 v5, v1, 4, v0
	v_lshrrev_b32_e32 v6, 3, v5
	v_add_u32_e32 v2, s7, v6
	s_add_u32 s10, s16, s0
	v_and_b32_e32 v9, 7, v0
	v_ashrrev_i32_e32 v3, 31, v2
	v_mov_b32_e32 v10, 0
	s_addc_u32 s11, s17, s1
	s_waitcnt lgkmcnt(0)
	v_mul_lo_u32 v7, s26, v3
	v_mul_lo_u32 v8, s27, v2
	v_mad_u64_u32 v[2:3], s[16:17], s26, v2, v[9:10]
	v_and_b32_e32 v13, 31, v5
	v_lshrrev_b32_e32 v4, 5, v5
	v_add3_u32 v3, v8, v3, v7
	v_lshlrev_b32_e32 v7, 3, v13
	v_lshl_or_b32 v11, v4, 8, v7
	v_lshlrev_b32_e32 v7, 3, v9
	v_lshl_or_b32 v6, v6, 6, v7
	v_add_u32_e32 v12, 0x800, v6
	v_add_u32_e32 v6, s6, v13
	v_mov_b32_e32 v5, v10
	v_ashrrev_i32_e32 v7, 31, v6
	v_mul_lo_u32 v7, s18, v7
	v_mad_u64_u32 v[4:5], s[16:17], s18, v6, v[4:5]
	v_mul_lo_u32 v6, s19, v6
	s_load_dwordx2 s[10:11], s[10:11], 0x0
	s_add_u32 s0, s24, s0
	s_addc_u32 s1, s25, s1
	s_load_dwordx2 s[0:1], s[0:1], 0x0
	v_add3_u32 v5, v6, v5, v7
	v_lshlrev_b64 v[4:5], 3, v[4:5]
	s_waitcnt lgkmcnt(0)
	v_mov_b32_e32 v7, s11
	v_add_co_u32_e32 v6, vcc, s10, v4
	v_lshlrev_b64 v[2:3], 3, v[2:3]
	v_mov_b32_e32 v8, 0x800
	v_addc_co_u32_e32 v7, vcc, v7, v5, vcc
	v_lshl_add_u32 v14, v1, 6, v8
	v_mov_b32_e32 v4, s1
	v_add_co_u32_e32 v8, vcc, s0, v2
	v_lshlrev_b32_e32 v13, 3, v0
	v_addc_co_u32_e32 v9, vcc, v4, v3, vcc
	s_mov_b64 s[0:1], 0
	v_mov_b32_e32 v15, v10
	v_mov_b32_e32 v17, v10
	;; [unrolled: 1-line block ×7, first 2 shown]
.LBB1729_2:                             ; =>This Inner Loop Header: Depth=1
	flat_load_dwordx2 v[2:3], v[6:7]
	s_add_u32 s0, s0, 8
	v_add_co_u32_e32 v6, vcc, 64, v6
	s_addc_u32 s1, s1, 0
	v_addc_co_u32_e32 v7, vcc, 0, v7, vcc
	s_waitcnt vmcnt(0) lgkmcnt(0)
	ds_write_b64 v11, v[2:3]
	flat_load_dwordx2 v[2:3], v[8:9]
	v_add_co_u32_e32 v8, vcc, 64, v8
	v_addc_co_u32_e32 v9, vcc, 0, v9, vcc
	s_waitcnt vmcnt(0) lgkmcnt(0)
	ds_write_b64 v12, v[2:3]
	s_waitcnt lgkmcnt(0)
	s_barrier
	ds_read_b128 v[22:25], v14
	ds_read_b128 v[26:29], v14 offset:16
	ds_read_b128 v[30:33], v14 offset:32
	ds_read_b128 v[2:5], v14 offset:48
	ds_read2_b64 v[34:37], v13 offset1:16
	s_waitcnt lgkmcnt(0)
	v_mul_f32_e32 v38, v23, v35
	v_mul_f32_e32 v39, v22, v35
	v_fma_f32 v38, v22, v34, -v38
	v_fmac_f32_e32 v39, v23, v34
	v_add_f32_e32 v38, v20, v38
	v_add_f32_e32 v39, v21, v39
	v_mul_f32_e32 v20, v23, v37
	v_mul_f32_e32 v21, v22, v37
	v_fma_f32 v20, v22, v36, -v20
	v_fmac_f32_e32 v21, v23, v36
	v_add_f32_e32 v22, v18, v20
	v_add_f32_e32 v23, v19, v21
	ds_read_b128 v[18:21], v14 offset:1024
	s_waitcnt lgkmcnt(0)
	v_mul_f32_e32 v40, v19, v35
	v_mul_f32_e32 v35, v18, v35
	v_fma_f32 v40, v18, v34, -v40
	v_fmac_f32_e32 v35, v19, v34
	v_add_f32_e32 v34, v16, v40
	v_add_f32_e32 v35, v17, v35
	v_mul_f32_e32 v16, v19, v37
	v_mul_f32_e32 v17, v18, v37
	v_fma_f32 v16, v18, v36, -v16
	v_fmac_f32_e32 v17, v19, v36
	v_add_f32_e32 v19, v15, v16
	v_add_f32_e32 v10, v10, v17
	ds_read2_b64 v[15:18], v13 offset0:32 offset1:48
	s_waitcnt lgkmcnt(0)
	v_mul_f32_e32 v36, v25, v16
	v_fma_f32 v36, v24, v15, -v36
	v_add_f32_e32 v36, v38, v36
	v_mul_f32_e32 v38, v25, v18
	v_mul_f32_e32 v37, v24, v16
	v_fma_f32 v38, v24, v17, -v38
	v_mul_f32_e32 v24, v24, v18
	v_fmac_f32_e32 v24, v25, v17
	v_add_f32_e32 v23, v23, v24
	v_mul_f32_e32 v24, v21, v16
	v_mul_f32_e32 v16, v20, v16
	v_fmac_f32_e32 v16, v21, v15
	v_fmac_f32_e32 v37, v25, v15
	v_fma_f32 v24, v20, v15, -v24
	v_add_f32_e32 v25, v35, v16
	v_mul_f32_e32 v15, v21, v18
	v_mul_f32_e32 v16, v20, v18
	v_fma_f32 v15, v20, v17, -v15
	v_fmac_f32_e32 v16, v21, v17
	v_add_f32_e32 v24, v34, v24
	v_add_f32_e32 v34, v19, v15
	;; [unrolled: 1-line block ×3, first 2 shown]
	ds_read2_b64 v[15:18], v13 offset0:64 offset1:80
	v_add_f32_e32 v37, v39, v37
	v_add_f32_e32 v22, v22, v38
	s_waitcnt lgkmcnt(0)
	v_mul_f32_e32 v19, v27, v16
	v_mul_f32_e32 v20, v26, v16
	v_fma_f32 v19, v26, v15, -v19
	v_fmac_f32_e32 v20, v27, v15
	v_add_f32_e32 v35, v36, v19
	v_add_f32_e32 v36, v37, v20
	v_mul_f32_e32 v19, v27, v18
	v_mul_f32_e32 v20, v26, v18
	v_fma_f32 v19, v26, v17, -v19
	v_fmac_f32_e32 v20, v27, v17
	v_add_f32_e32 v26, v22, v19
	v_add_f32_e32 v23, v23, v20
	ds_read_b128 v[19:22], v14 offset:1040
	s_waitcnt lgkmcnt(0)
	v_mul_f32_e32 v27, v20, v16
	v_mul_f32_e32 v16, v19, v16
	v_fmac_f32_e32 v16, v20, v15
	v_fma_f32 v27, v19, v15, -v27
	v_add_f32_e32 v25, v25, v16
	v_mul_f32_e32 v15, v20, v18
	v_mul_f32_e32 v16, v19, v18
	v_fma_f32 v15, v19, v17, -v15
	v_fmac_f32_e32 v16, v20, v17
	v_add_f32_e32 v19, v34, v15
	v_add_f32_e32 v10, v10, v16
	ds_read2_b64 v[15:18], v13 offset0:96 offset1:112
	v_add_f32_e32 v24, v24, v27
	s_waitcnt lgkmcnt(0)
	v_mul_f32_e32 v20, v29, v16
	v_mul_f32_e32 v34, v29, v18
	v_fma_f32 v20, v28, v15, -v20
	v_mul_f32_e32 v27, v28, v16
	v_fma_f32 v34, v28, v17, -v34
	v_mul_f32_e32 v28, v28, v18
	v_fmac_f32_e32 v28, v29, v17
	v_add_f32_e32 v23, v23, v28
	v_mul_f32_e32 v28, v22, v16
	v_mul_f32_e32 v16, v21, v16
	v_fmac_f32_e32 v16, v22, v15
	v_fmac_f32_e32 v27, v29, v15
	v_fma_f32 v28, v21, v15, -v28
	v_add_f32_e32 v25, v25, v16
	v_mul_f32_e32 v15, v22, v18
	v_mul_f32_e32 v16, v21, v18
	v_fma_f32 v15, v21, v17, -v15
	v_fmac_f32_e32 v16, v22, v17
	v_add_f32_e32 v24, v24, v28
	v_add_f32_e32 v28, v19, v15
	;; [unrolled: 1-line block ×3, first 2 shown]
	ds_read2_b64 v[15:18], v13 offset0:128 offset1:144
	v_add_f32_e32 v20, v35, v20
	v_add_f32_e32 v27, v36, v27
	;; [unrolled: 1-line block ×3, first 2 shown]
	s_waitcnt lgkmcnt(0)
	v_mul_f32_e32 v19, v31, v16
	v_fma_f32 v19, v30, v15, -v19
	v_mul_f32_e32 v21, v30, v16
	v_add_f32_e32 v29, v20, v19
	v_mul_f32_e32 v19, v31, v18
	v_mul_f32_e32 v20, v30, v18
	v_fmac_f32_e32 v21, v31, v15
	v_fma_f32 v19, v30, v17, -v19
	v_fmac_f32_e32 v20, v31, v17
	v_add_f32_e32 v27, v27, v21
	v_add_f32_e32 v26, v26, v19
	;; [unrolled: 1-line block ×3, first 2 shown]
	ds_read_b128 v[19:22], v14 offset:1056
	s_waitcnt lgkmcnt(0)
	v_mul_f32_e32 v30, v20, v16
	v_mul_f32_e32 v16, v19, v16
	v_fmac_f32_e32 v16, v20, v15
	v_fma_f32 v30, v19, v15, -v30
	v_add_f32_e32 v25, v25, v16
	v_mul_f32_e32 v15, v20, v18
	v_mul_f32_e32 v16, v19, v18
	v_fma_f32 v15, v19, v17, -v15
	v_fmac_f32_e32 v16, v20, v17
	v_add_f32_e32 v19, v28, v15
	v_add_f32_e32 v10, v10, v16
	ds_read2_b64 v[15:18], v13 offset0:160 offset1:176
	v_add_f32_e32 v24, v24, v30
	s_waitcnt lgkmcnt(0)
	v_mul_f32_e32 v28, v32, v16
	v_fmac_f32_e32 v28, v33, v15
	v_add_f32_e32 v27, v27, v28
	v_mul_f32_e32 v28, v33, v18
	v_fma_f32 v28, v32, v17, -v28
	v_mul_f32_e32 v20, v33, v16
	v_add_f32_e32 v26, v26, v28
	v_mul_f32_e32 v28, v22, v16
	v_mul_f32_e32 v16, v21, v16
	v_fmac_f32_e32 v16, v22, v15
	v_fma_f32 v20, v32, v15, -v20
	v_fma_f32 v28, v21, v15, -v28
	v_add_f32_e32 v25, v25, v16
	v_mul_f32_e32 v15, v22, v18
	v_mul_f32_e32 v16, v21, v18
	v_add_f32_e32 v20, v29, v20
	v_mul_f32_e32 v29, v32, v18
	v_fma_f32 v15, v21, v17, -v15
	v_fmac_f32_e32 v16, v22, v17
	v_fmac_f32_e32 v29, v33, v17
	v_add_f32_e32 v19, v19, v15
	v_add_f32_e32 v10, v10, v16
	ds_read2_b64 v[15:18], v13 offset0:192 offset1:208
	v_add_f32_e32 v24, v24, v28
	v_add_f32_e32 v23, v23, v29
	s_waitcnt lgkmcnt(0)
	v_mul_f32_e32 v21, v3, v16
	v_fma_f32 v21, v2, v15, -v21
	v_add_f32_e32 v28, v20, v21
	v_mul_f32_e32 v20, v3, v18
	v_mul_f32_e32 v22, v2, v16
	v_fma_f32 v20, v2, v17, -v20
	v_mul_f32_e32 v2, v2, v18
	v_fmac_f32_e32 v22, v3, v15
	v_fmac_f32_e32 v2, v3, v17
	v_add_f32_e32 v29, v27, v22
	v_add_f32_e32 v3, v26, v20
	v_add_f32_e32 v2, v23, v2
	ds_read_b128 v[20:23], v14 offset:1072
	s_waitcnt lgkmcnt(0)
	v_mul_f32_e32 v26, v21, v16
	v_mul_f32_e32 v16, v20, v16
	v_fma_f32 v26, v20, v15, -v26
	v_fmac_f32_e32 v16, v21, v15
	v_add_f32_e32 v15, v24, v26
	v_add_f32_e32 v30, v25, v16
	ds_read2_b64 v[24:27], v13 offset0:224 offset1:240
	v_mul_f32_e32 v16, v21, v18
	v_fma_f32 v16, v20, v17, -v16
	v_add_f32_e32 v31, v19, v16
	v_mul_f32_e32 v18, v20, v18
	s_waitcnt lgkmcnt(0)
	v_mul_f32_e32 v16, v5, v25
	v_fma_f32 v16, v4, v24, -v16
	v_add_f32_e32 v20, v28, v16
	v_mul_f32_e32 v16, v5, v27
	v_fmac_f32_e32 v18, v21, v17
	v_mul_f32_e32 v17, v4, v25
	v_fma_f32 v16, v4, v26, -v16
	v_mul_f32_e32 v4, v4, v27
	v_fmac_f32_e32 v4, v5, v26
	v_add_f32_e32 v10, v10, v18
	v_add_f32_e32 v18, v3, v16
	;; [unrolled: 1-line block ×3, first 2 shown]
	v_mul_f32_e32 v2, v23, v25
	v_mul_f32_e32 v3, v22, v25
	v_fmac_f32_e32 v17, v5, v24
	v_fma_f32 v2, v22, v24, -v2
	v_fmac_f32_e32 v3, v23, v24
	v_add_f32_e32 v21, v29, v17
	v_add_f32_e32 v16, v15, v2
	v_add_f32_e32 v17, v30, v3
	v_mul_f32_e32 v2, v23, v27
	v_mul_f32_e32 v3, v22, v27
	v_fma_f32 v2, v22, v26, -v2
	v_fmac_f32_e32 v3, v23, v26
	v_add_f32_e32 v15, v31, v2
	v_add_f32_e32 v10, v10, v3
	v_mov_b32_e32 v3, s1
	v_mov_b32_e32 v2, s0
	v_cmp_le_u64_e32 vcc, s[12:13], v[2:3]
	s_barrier
	s_cbranch_vccz .LBB1729_2
	s_branch .LBB1729_4
.LBB1729_3:
	v_mov_b32_e32 v20, 0
	v_mov_b32_e32 v21, 0
	;; [unrolled: 1-line block ×8, first 2 shown]
.LBB1729_4:
	v_add_u32_e32 v5, s7, v1
	v_ashrrev_i32_e32 v1, 31, v5
	v_mul_lo_u32 v3, s2, v1
	v_mul_lo_u32 v4, s3, v5
	v_mad_u64_u32 v[1:2], s[0:1], s2, v5, 0
	s_load_dword s10, s[4:5], 0x0
	v_add_u32_e32 v0, s6, v0
	v_add3_u32 v2, v2, v3, v4
	v_lshlrev_b64 v[1:2], 3, v[1:2]
	s_waitcnt lgkmcnt(0)
	v_mov_b32_e32 v3, s9
	v_add_co_u32_e64 v4, s[0:1], s8, v1
	v_addc_co_u32_e64 v6, s[0:1], v3, v2, s[0:1]
	v_cmp_gt_i32_e32 vcc, s10, v5
	v_cmp_le_i32_e64 s[0:1], v0, v5
	s_and_b64 s[0:1], vcc, s[0:1]
	s_and_saveexec_b64 s[4:5], s[0:1]
	s_cbranch_execz .LBB1729_7
; %bb.5:
	v_ashrrev_i32_e32 v1, 31, v0
	v_lshlrev_b64 v[1:2], 3, v[0:1]
	v_mul_f32_e32 v3, s15, v21
	v_add_co_u32_e64 v1, s[0:1], v4, v1
	v_addc_co_u32_e64 v2, s[0:1], v6, v2, s[0:1]
	flat_load_dwordx2 v[7:8], v[1:2]
	v_mul_f32_e32 v9, s14, v21
	v_fma_f32 v3, v20, s14, -v3
	v_fmac_f32_e32 v9, s15, v20
	v_cmp_eq_u32_e64 s[0:1], v5, v0
	s_waitcnt vmcnt(0) lgkmcnt(0)
	v_mul_f32_e32 v11, s21, v8
	v_mul_f32_e32 v8, s20, v8
	v_fma_f32 v11, v7, s20, -v11
	v_fmac_f32_e32 v8, s21, v7
	v_add_f32_e32 v7, v3, v11
	v_add_f32_e32 v8, v9, v8
	flat_store_dwordx2 v[1:2], v[7:8]
	s_and_b64 exec, exec, s[0:1]
	s_cbranch_execz .LBB1729_7
; %bb.6:
	v_mov_b32_e32 v3, 0
	flat_store_dword v[1:2], v3 offset:4
.LBB1729_7:
	s_or_b64 exec, exec, s[4:5]
	v_add_u32_e32 v2, 16, v0
	v_cmp_le_i32_e64 s[0:1], v2, v5
	s_and_b64 s[4:5], vcc, s[0:1]
	s_and_saveexec_b64 s[0:1], s[4:5]
	s_cbranch_execz .LBB1729_10
; %bb.8:
	v_ashrrev_i32_e32 v3, 31, v2
	v_lshlrev_b64 v[7:8], 3, v[2:3]
	v_mul_f32_e32 v1, s15, v19
	v_add_co_u32_e32 v3, vcc, v4, v7
	v_addc_co_u32_e32 v4, vcc, v6, v8, vcc
	flat_load_dwordx2 v[6:7], v[3:4]
	v_mul_f32_e32 v8, s14, v19
	v_fma_f32 v1, v18, s14, -v1
	v_fmac_f32_e32 v8, s15, v18
	v_cmp_eq_u32_e32 vcc, v5, v2
	s_waitcnt vmcnt(0) lgkmcnt(0)
	v_mul_f32_e32 v9, s21, v7
	v_mul_f32_e32 v7, s20, v7
	v_fma_f32 v9, v6, s20, -v9
	v_fmac_f32_e32 v7, s21, v6
	v_add_f32_e32 v6, v1, v9
	v_add_f32_e32 v7, v8, v7
	flat_store_dwordx2 v[3:4], v[6:7]
	s_and_b64 exec, exec, vcc
	s_cbranch_execz .LBB1729_10
; %bb.9:
	v_mov_b32_e32 v1, 0
	flat_store_dword v[3:4], v1 offset:4
.LBB1729_10:
	s_or_b64 exec, exec, s[0:1]
	v_add_u32_e32 v8, 16, v5
	v_ashrrev_i32_e32 v1, 31, v8
	v_mul_lo_u32 v1, s2, v1
	v_mul_lo_u32 v6, s3, v8
	v_mad_u64_u32 v[3:4], s[0:1], s2, v8, 0
	v_cmp_gt_i32_e32 vcc, s10, v8
	v_add3_u32 v4, v4, v1, v6
	v_lshlrev_b64 v[3:4], 3, v[3:4]
	v_mov_b32_e32 v1, s9
	v_add_co_u32_e64 v6, s[0:1], s8, v3
	v_addc_co_u32_e64 v7, s[0:1], v1, v4, s[0:1]
	v_cmp_le_i32_e64 s[0:1], v0, v8
	s_and_b64 s[0:1], vcc, s[0:1]
	s_and_saveexec_b64 s[2:3], s[0:1]
	s_cbranch_execz .LBB1729_13
; %bb.11:
	v_ashrrev_i32_e32 v1, 31, v0
	v_lshlrev_b64 v[3:4], 3, v[0:1]
	v_mul_f32_e32 v1, s15, v17
	v_add_co_u32_e64 v3, s[0:1], v6, v3
	v_addc_co_u32_e64 v4, s[0:1], v7, v4, s[0:1]
	flat_load_dwordx2 v[11:12], v[3:4]
	v_mul_f32_e32 v9, s14, v17
	v_fma_f32 v1, v16, s14, -v1
	v_fmac_f32_e32 v9, s15, v16
	v_cmp_eq_u32_e64 s[0:1], v8, v0
	s_waitcnt vmcnt(0) lgkmcnt(0)
	v_mul_f32_e32 v13, s21, v12
	v_mul_f32_e32 v12, s20, v12
	v_fma_f32 v13, v11, s20, -v13
	v_fmac_f32_e32 v12, s21, v11
	v_add_f32_e32 v11, v1, v13
	v_add_f32_e32 v12, v9, v12
	flat_store_dwordx2 v[3:4], v[11:12]
	s_and_b64 exec, exec, s[0:1]
	s_cbranch_execz .LBB1729_13
; %bb.12:
	v_mov_b32_e32 v1, 0
	flat_store_dword v[3:4], v1 offset:4
.LBB1729_13:
	s_or_b64 exec, exec, s[2:3]
	v_cmp_le_i32_e64 s[0:1], v2, v8
	s_and_b64 s[0:1], vcc, s[0:1]
	s_and_saveexec_b64 s[2:3], s[0:1]
	s_cbranch_execz .LBB1729_16
; %bb.14:
	v_ashrrev_i32_e32 v3, 31, v2
	v_lshlrev_b64 v[1:2], 3, v[2:3]
	v_add_co_u32_e32 v1, vcc, v6, v1
	v_addc_co_u32_e32 v2, vcc, v7, v2, vcc
	flat_load_dwordx2 v[3:4], v[1:2]
	v_mul_f32_e32 v6, s15, v10
	v_mul_f32_e32 v7, s14, v10
	v_fma_f32 v6, v15, s14, -v6
	v_fmac_f32_e32 v7, s15, v15
	v_cmp_eq_u32_e32 vcc, v5, v0
	s_waitcnt vmcnt(0) lgkmcnt(0)
	v_mul_f32_e32 v8, s21, v4
	v_mul_f32_e32 v4, s20, v4
	v_fma_f32 v8, v3, s20, -v8
	v_fmac_f32_e32 v4, s21, v3
	v_add_f32_e32 v3, v6, v8
	v_add_f32_e32 v4, v7, v4
	flat_store_dwordx2 v[1:2], v[3:4]
	s_and_b64 exec, exec, vcc
	s_cbranch_execz .LBB1729_16
; %bb.15:
	v_mov_b32_e32 v0, 0
	flat_store_dword v[1:2], v0 offset:4
.LBB1729_16:
	s_endpgm
	.section	.rodata,"a",@progbits
	.p2align	6, 0x0
	.amdhsa_kernel _ZL37rocblas_syrkx_herkx_restricted_kernelIl19rocblas_complex_numIfELi16ELi32ELi8ELb0ELb1ELc84ELc85EKPKS1_KPS1_EviT_T0_PT8_S7_lSA_S7_lS8_PT9_S7_li
		.amdhsa_group_segment_fixed_size 4096
		.amdhsa_private_segment_fixed_size 0
		.amdhsa_kernarg_size 108
		.amdhsa_user_sgpr_count 6
		.amdhsa_user_sgpr_private_segment_buffer 1
		.amdhsa_user_sgpr_dispatch_ptr 0
		.amdhsa_user_sgpr_queue_ptr 0
		.amdhsa_user_sgpr_kernarg_segment_ptr 1
		.amdhsa_user_sgpr_dispatch_id 0
		.amdhsa_user_sgpr_flat_scratch_init 0
		.amdhsa_user_sgpr_private_segment_size 0
		.amdhsa_uses_dynamic_stack 0
		.amdhsa_system_sgpr_private_segment_wavefront_offset 0
		.amdhsa_system_sgpr_workgroup_id_x 1
		.amdhsa_system_sgpr_workgroup_id_y 1
		.amdhsa_system_sgpr_workgroup_id_z 1
		.amdhsa_system_sgpr_workgroup_info 0
		.amdhsa_system_vgpr_workitem_id 1
		.amdhsa_next_free_vgpr 41
		.amdhsa_next_free_sgpr 28
		.amdhsa_reserve_vcc 1
		.amdhsa_reserve_flat_scratch 0
		.amdhsa_float_round_mode_32 0
		.amdhsa_float_round_mode_16_64 0
		.amdhsa_float_denorm_mode_32 3
		.amdhsa_float_denorm_mode_16_64 3
		.amdhsa_dx10_clamp 1
		.amdhsa_ieee_mode 1
		.amdhsa_fp16_overflow 0
		.amdhsa_exception_fp_ieee_invalid_op 0
		.amdhsa_exception_fp_denorm_src 0
		.amdhsa_exception_fp_ieee_div_zero 0
		.amdhsa_exception_fp_ieee_overflow 0
		.amdhsa_exception_fp_ieee_underflow 0
		.amdhsa_exception_fp_ieee_inexact 0
		.amdhsa_exception_int_div_zero 0
	.end_amdhsa_kernel
	.section	.text._ZL37rocblas_syrkx_herkx_restricted_kernelIl19rocblas_complex_numIfELi16ELi32ELi8ELb0ELb1ELc84ELc85EKPKS1_KPS1_EviT_T0_PT8_S7_lSA_S7_lS8_PT9_S7_li,"axG",@progbits,_ZL37rocblas_syrkx_herkx_restricted_kernelIl19rocblas_complex_numIfELi16ELi32ELi8ELb0ELb1ELc84ELc85EKPKS1_KPS1_EviT_T0_PT8_S7_lSA_S7_lS8_PT9_S7_li,comdat
.Lfunc_end1729:
	.size	_ZL37rocblas_syrkx_herkx_restricted_kernelIl19rocblas_complex_numIfELi16ELi32ELi8ELb0ELb1ELc84ELc85EKPKS1_KPS1_EviT_T0_PT8_S7_lSA_S7_lS8_PT9_S7_li, .Lfunc_end1729-_ZL37rocblas_syrkx_herkx_restricted_kernelIl19rocblas_complex_numIfELi16ELi32ELi8ELb0ELb1ELc84ELc85EKPKS1_KPS1_EviT_T0_PT8_S7_lSA_S7_lS8_PT9_S7_li
                                        ; -- End function
	.set _ZL37rocblas_syrkx_herkx_restricted_kernelIl19rocblas_complex_numIfELi16ELi32ELi8ELb0ELb1ELc84ELc85EKPKS1_KPS1_EviT_T0_PT8_S7_lSA_S7_lS8_PT9_S7_li.num_vgpr, 41
	.set _ZL37rocblas_syrkx_herkx_restricted_kernelIl19rocblas_complex_numIfELi16ELi32ELi8ELb0ELb1ELc84ELc85EKPKS1_KPS1_EviT_T0_PT8_S7_lSA_S7_lS8_PT9_S7_li.num_agpr, 0
	.set _ZL37rocblas_syrkx_herkx_restricted_kernelIl19rocblas_complex_numIfELi16ELi32ELi8ELb0ELb1ELc84ELc85EKPKS1_KPS1_EviT_T0_PT8_S7_lSA_S7_lS8_PT9_S7_li.numbered_sgpr, 28
	.set _ZL37rocblas_syrkx_herkx_restricted_kernelIl19rocblas_complex_numIfELi16ELi32ELi8ELb0ELb1ELc84ELc85EKPKS1_KPS1_EviT_T0_PT8_S7_lSA_S7_lS8_PT9_S7_li.num_named_barrier, 0
	.set _ZL37rocblas_syrkx_herkx_restricted_kernelIl19rocblas_complex_numIfELi16ELi32ELi8ELb0ELb1ELc84ELc85EKPKS1_KPS1_EviT_T0_PT8_S7_lSA_S7_lS8_PT9_S7_li.private_seg_size, 0
	.set _ZL37rocblas_syrkx_herkx_restricted_kernelIl19rocblas_complex_numIfELi16ELi32ELi8ELb0ELb1ELc84ELc85EKPKS1_KPS1_EviT_T0_PT8_S7_lSA_S7_lS8_PT9_S7_li.uses_vcc, 1
	.set _ZL37rocblas_syrkx_herkx_restricted_kernelIl19rocblas_complex_numIfELi16ELi32ELi8ELb0ELb1ELc84ELc85EKPKS1_KPS1_EviT_T0_PT8_S7_lSA_S7_lS8_PT9_S7_li.uses_flat_scratch, 0
	.set _ZL37rocblas_syrkx_herkx_restricted_kernelIl19rocblas_complex_numIfELi16ELi32ELi8ELb0ELb1ELc84ELc85EKPKS1_KPS1_EviT_T0_PT8_S7_lSA_S7_lS8_PT9_S7_li.has_dyn_sized_stack, 0
	.set _ZL37rocblas_syrkx_herkx_restricted_kernelIl19rocblas_complex_numIfELi16ELi32ELi8ELb0ELb1ELc84ELc85EKPKS1_KPS1_EviT_T0_PT8_S7_lSA_S7_lS8_PT9_S7_li.has_recursion, 0
	.set _ZL37rocblas_syrkx_herkx_restricted_kernelIl19rocblas_complex_numIfELi16ELi32ELi8ELb0ELb1ELc84ELc85EKPKS1_KPS1_EviT_T0_PT8_S7_lSA_S7_lS8_PT9_S7_li.has_indirect_call, 0
	.section	.AMDGPU.csdata,"",@progbits
; Kernel info:
; codeLenInByte = 2292
; TotalNumSgprs: 32
; NumVgprs: 41
; ScratchSize: 0
; MemoryBound: 0
; FloatMode: 240
; IeeeMode: 1
; LDSByteSize: 4096 bytes/workgroup (compile time only)
; SGPRBlocks: 3
; VGPRBlocks: 10
; NumSGPRsForWavesPerEU: 32
; NumVGPRsForWavesPerEU: 41
; Occupancy: 5
; WaveLimiterHint : 1
; COMPUTE_PGM_RSRC2:SCRATCH_EN: 0
; COMPUTE_PGM_RSRC2:USER_SGPR: 6
; COMPUTE_PGM_RSRC2:TRAP_HANDLER: 0
; COMPUTE_PGM_RSRC2:TGID_X_EN: 1
; COMPUTE_PGM_RSRC2:TGID_Y_EN: 1
; COMPUTE_PGM_RSRC2:TGID_Z_EN: 1
; COMPUTE_PGM_RSRC2:TIDIG_COMP_CNT: 1
	.section	.text._ZL37rocblas_syrkx_herkx_restricted_kernelIl19rocblas_complex_numIfELi16ELi32ELi8ELb0ELb1ELc67ELc85EKPKS1_KPS1_EviT_T0_PT8_S7_lSA_S7_lS8_PT9_S7_li,"axG",@progbits,_ZL37rocblas_syrkx_herkx_restricted_kernelIl19rocblas_complex_numIfELi16ELi32ELi8ELb0ELb1ELc67ELc85EKPKS1_KPS1_EviT_T0_PT8_S7_lSA_S7_lS8_PT9_S7_li,comdat
	.globl	_ZL37rocblas_syrkx_herkx_restricted_kernelIl19rocblas_complex_numIfELi16ELi32ELi8ELb0ELb1ELc67ELc85EKPKS1_KPS1_EviT_T0_PT8_S7_lSA_S7_lS8_PT9_S7_li ; -- Begin function _ZL37rocblas_syrkx_herkx_restricted_kernelIl19rocblas_complex_numIfELi16ELi32ELi8ELb0ELb1ELc67ELc85EKPKS1_KPS1_EviT_T0_PT8_S7_lSA_S7_lS8_PT9_S7_li
	.p2align	8
	.type	_ZL37rocblas_syrkx_herkx_restricted_kernelIl19rocblas_complex_numIfELi16ELi32ELi8ELb0ELb1ELc67ELc85EKPKS1_KPS1_EviT_T0_PT8_S7_lSA_S7_lS8_PT9_S7_li,@function
_ZL37rocblas_syrkx_herkx_restricted_kernelIl19rocblas_complex_numIfELi16ELi32ELi8ELb0ELb1ELc67ELc85EKPKS1_KPS1_EviT_T0_PT8_S7_lSA_S7_lS8_PT9_S7_li: ; @_ZL37rocblas_syrkx_herkx_restricted_kernelIl19rocblas_complex_numIfELi16ELi32ELi8ELb0ELb1ELc67ELc85EKPKS1_KPS1_EviT_T0_PT8_S7_lSA_S7_lS8_PT9_S7_li
; %bb.0:
	s_load_dwordx4 s[20:23], s[4:5], 0x48
	s_load_dwordx2 s[2:3], s[4:5], 0x58
	s_load_dwordx8 s[12:19], s[4:5], 0x8
	s_mov_b32 s9, 0
	s_lshl_b64 s[0:1], s[8:9], 3
	s_waitcnt lgkmcnt(0)
	s_add_u32 s8, s22, s0
	s_addc_u32 s9, s23, s1
	s_load_dwordx2 s[8:9], s[8:9], 0x0
	v_cmp_lt_i64_e64 s[10:11], s[12:13], 1
	s_lshl_b32 s6, s6, 5
	s_lshl_b32 s7, s7, 5
	s_and_b64 vcc, exec, s[10:11]
	s_cbranch_vccnz .LBB1730_3
; %bb.1:
	s_load_dwordx4 s[24:27], s[4:5], 0x30
	v_lshl_add_u32 v5, v1, 4, v0
	v_lshrrev_b32_e32 v6, 3, v5
	v_add_u32_e32 v2, s7, v6
	s_add_u32 s10, s16, s0
	v_and_b32_e32 v9, 7, v0
	v_ashrrev_i32_e32 v3, 31, v2
	v_mov_b32_e32 v10, 0
	s_addc_u32 s11, s17, s1
	s_waitcnt lgkmcnt(0)
	v_mul_lo_u32 v7, s26, v3
	v_mul_lo_u32 v8, s27, v2
	v_mad_u64_u32 v[2:3], s[16:17], s26, v2, v[9:10]
	v_and_b32_e32 v13, 31, v5
	v_lshrrev_b32_e32 v4, 5, v5
	v_add3_u32 v3, v8, v3, v7
	v_lshlrev_b32_e32 v7, 3, v13
	v_lshl_or_b32 v11, v4, 8, v7
	v_lshlrev_b32_e32 v7, 3, v9
	v_lshl_or_b32 v6, v6, 6, v7
	v_add_u32_e32 v12, 0x800, v6
	v_add_u32_e32 v6, s6, v13
	v_mov_b32_e32 v5, v10
	v_ashrrev_i32_e32 v7, 31, v6
	v_mul_lo_u32 v7, s18, v7
	v_mad_u64_u32 v[4:5], s[16:17], s18, v6, v[4:5]
	v_mul_lo_u32 v6, s19, v6
	s_load_dwordx2 s[10:11], s[10:11], 0x0
	s_add_u32 s0, s24, s0
	s_addc_u32 s1, s25, s1
	s_load_dwordx2 s[0:1], s[0:1], 0x0
	v_add3_u32 v5, v6, v5, v7
	v_lshlrev_b64 v[4:5], 3, v[4:5]
	s_waitcnt lgkmcnt(0)
	v_mov_b32_e32 v7, s11
	v_add_co_u32_e32 v6, vcc, s10, v4
	v_lshlrev_b64 v[2:3], 3, v[2:3]
	v_mov_b32_e32 v8, 0x800
	v_addc_co_u32_e32 v7, vcc, v7, v5, vcc
	v_lshl_add_u32 v14, v1, 6, v8
	v_mov_b32_e32 v4, s1
	v_add_co_u32_e32 v8, vcc, s0, v2
	v_lshlrev_b32_e32 v13, 3, v0
	v_addc_co_u32_e32 v9, vcc, v4, v3, vcc
	s_mov_b64 s[0:1], 0
	v_mov_b32_e32 v15, v10
	v_mov_b32_e32 v17, v10
	;; [unrolled: 1-line block ×7, first 2 shown]
.LBB1730_2:                             ; =>This Inner Loop Header: Depth=1
	flat_load_dwordx2 v[2:3], v[6:7]
	v_add_co_u32_e32 v6, vcc, 64, v6
	s_add_u32 s0, s0, 8
	v_addc_co_u32_e32 v7, vcc, 0, v7, vcc
	s_addc_u32 s1, s1, 0
	s_waitcnt vmcnt(0) lgkmcnt(0)
	v_xor_b32_e32 v3, 0x80000000, v3
	ds_write_b64 v11, v[2:3]
	flat_load_dwordx2 v[2:3], v[8:9]
	v_add_co_u32_e32 v8, vcc, 64, v8
	v_addc_co_u32_e32 v9, vcc, 0, v9, vcc
	s_waitcnt vmcnt(0) lgkmcnt(0)
	ds_write_b64 v12, v[2:3]
	s_waitcnt lgkmcnt(0)
	s_barrier
	ds_read_b128 v[22:25], v14
	ds_read_b128 v[26:29], v14 offset:16
	ds_read_b128 v[30:33], v14 offset:32
	;; [unrolled: 1-line block ×3, first 2 shown]
	ds_read2_b64 v[34:37], v13 offset1:16
	s_waitcnt lgkmcnt(0)
	v_mul_f32_e32 v38, v23, v35
	v_mul_f32_e32 v39, v22, v35
	v_fma_f32 v38, v22, v34, -v38
	v_fmac_f32_e32 v39, v23, v34
	v_add_f32_e32 v38, v20, v38
	v_add_f32_e32 v39, v21, v39
	v_mul_f32_e32 v20, v23, v37
	v_mul_f32_e32 v21, v22, v37
	v_fma_f32 v20, v22, v36, -v20
	v_fmac_f32_e32 v21, v23, v36
	v_add_f32_e32 v22, v18, v20
	v_add_f32_e32 v23, v19, v21
	ds_read_b128 v[18:21], v14 offset:1024
	s_waitcnt lgkmcnt(0)
	v_mul_f32_e32 v40, v19, v35
	v_mul_f32_e32 v35, v18, v35
	v_fma_f32 v40, v18, v34, -v40
	v_fmac_f32_e32 v35, v19, v34
	v_add_f32_e32 v34, v16, v40
	v_add_f32_e32 v35, v17, v35
	v_mul_f32_e32 v16, v19, v37
	v_mul_f32_e32 v17, v18, v37
	v_fma_f32 v16, v18, v36, -v16
	v_fmac_f32_e32 v17, v19, v36
	v_add_f32_e32 v19, v15, v16
	v_add_f32_e32 v10, v10, v17
	ds_read2_b64 v[15:18], v13 offset0:32 offset1:48
	s_waitcnt lgkmcnt(0)
	v_mul_f32_e32 v36, v25, v16
	v_fma_f32 v36, v24, v15, -v36
	v_add_f32_e32 v36, v38, v36
	v_mul_f32_e32 v38, v25, v18
	v_mul_f32_e32 v37, v24, v16
	v_fma_f32 v38, v24, v17, -v38
	v_mul_f32_e32 v24, v24, v18
	v_fmac_f32_e32 v24, v25, v17
	v_add_f32_e32 v23, v23, v24
	v_mul_f32_e32 v24, v21, v16
	v_mul_f32_e32 v16, v20, v16
	v_fmac_f32_e32 v16, v21, v15
	v_fmac_f32_e32 v37, v25, v15
	v_fma_f32 v24, v20, v15, -v24
	v_add_f32_e32 v25, v35, v16
	v_mul_f32_e32 v15, v21, v18
	v_mul_f32_e32 v16, v20, v18
	v_fma_f32 v15, v20, v17, -v15
	v_fmac_f32_e32 v16, v21, v17
	v_add_f32_e32 v24, v34, v24
	v_add_f32_e32 v34, v19, v15
	;; [unrolled: 1-line block ×3, first 2 shown]
	ds_read2_b64 v[15:18], v13 offset0:64 offset1:80
	v_add_f32_e32 v37, v39, v37
	v_add_f32_e32 v22, v22, v38
	s_waitcnt lgkmcnt(0)
	v_mul_f32_e32 v19, v27, v16
	v_mul_f32_e32 v20, v26, v16
	v_fma_f32 v19, v26, v15, -v19
	v_fmac_f32_e32 v20, v27, v15
	v_add_f32_e32 v35, v36, v19
	v_add_f32_e32 v36, v37, v20
	v_mul_f32_e32 v19, v27, v18
	v_mul_f32_e32 v20, v26, v18
	v_fma_f32 v19, v26, v17, -v19
	v_fmac_f32_e32 v20, v27, v17
	v_add_f32_e32 v26, v22, v19
	v_add_f32_e32 v23, v23, v20
	ds_read_b128 v[19:22], v14 offset:1040
	s_waitcnt lgkmcnt(0)
	v_mul_f32_e32 v27, v20, v16
	v_mul_f32_e32 v16, v19, v16
	v_fmac_f32_e32 v16, v20, v15
	v_fma_f32 v27, v19, v15, -v27
	v_add_f32_e32 v25, v25, v16
	v_mul_f32_e32 v15, v20, v18
	v_mul_f32_e32 v16, v19, v18
	v_fma_f32 v15, v19, v17, -v15
	v_fmac_f32_e32 v16, v20, v17
	v_add_f32_e32 v19, v34, v15
	v_add_f32_e32 v10, v10, v16
	ds_read2_b64 v[15:18], v13 offset0:96 offset1:112
	v_add_f32_e32 v24, v24, v27
	s_waitcnt lgkmcnt(0)
	v_mul_f32_e32 v20, v29, v16
	v_mul_f32_e32 v34, v29, v18
	v_fma_f32 v20, v28, v15, -v20
	v_mul_f32_e32 v27, v28, v16
	v_fma_f32 v34, v28, v17, -v34
	v_mul_f32_e32 v28, v28, v18
	v_fmac_f32_e32 v28, v29, v17
	v_add_f32_e32 v23, v23, v28
	v_mul_f32_e32 v28, v22, v16
	v_mul_f32_e32 v16, v21, v16
	v_fmac_f32_e32 v16, v22, v15
	v_fmac_f32_e32 v27, v29, v15
	v_fma_f32 v28, v21, v15, -v28
	v_add_f32_e32 v25, v25, v16
	v_mul_f32_e32 v15, v22, v18
	v_mul_f32_e32 v16, v21, v18
	v_fma_f32 v15, v21, v17, -v15
	v_fmac_f32_e32 v16, v22, v17
	v_add_f32_e32 v24, v24, v28
	v_add_f32_e32 v28, v19, v15
	;; [unrolled: 1-line block ×3, first 2 shown]
	ds_read2_b64 v[15:18], v13 offset0:128 offset1:144
	v_add_f32_e32 v20, v35, v20
	v_add_f32_e32 v27, v36, v27
	;; [unrolled: 1-line block ×3, first 2 shown]
	s_waitcnt lgkmcnt(0)
	v_mul_f32_e32 v19, v31, v16
	v_fma_f32 v19, v30, v15, -v19
	v_mul_f32_e32 v21, v30, v16
	v_add_f32_e32 v29, v20, v19
	v_mul_f32_e32 v19, v31, v18
	v_mul_f32_e32 v20, v30, v18
	v_fmac_f32_e32 v21, v31, v15
	v_fma_f32 v19, v30, v17, -v19
	v_fmac_f32_e32 v20, v31, v17
	v_add_f32_e32 v27, v27, v21
	v_add_f32_e32 v26, v26, v19
	;; [unrolled: 1-line block ×3, first 2 shown]
	ds_read_b128 v[19:22], v14 offset:1056
	s_waitcnt lgkmcnt(0)
	v_mul_f32_e32 v30, v20, v16
	v_mul_f32_e32 v16, v19, v16
	v_fmac_f32_e32 v16, v20, v15
	v_fma_f32 v30, v19, v15, -v30
	v_add_f32_e32 v25, v25, v16
	v_mul_f32_e32 v15, v20, v18
	v_mul_f32_e32 v16, v19, v18
	v_fma_f32 v15, v19, v17, -v15
	v_fmac_f32_e32 v16, v20, v17
	v_add_f32_e32 v19, v28, v15
	v_add_f32_e32 v10, v10, v16
	ds_read2_b64 v[15:18], v13 offset0:160 offset1:176
	v_add_f32_e32 v24, v24, v30
	s_waitcnt lgkmcnt(0)
	v_mul_f32_e32 v28, v32, v16
	v_fmac_f32_e32 v28, v33, v15
	v_add_f32_e32 v27, v27, v28
	v_mul_f32_e32 v28, v33, v18
	v_fma_f32 v28, v32, v17, -v28
	v_mul_f32_e32 v20, v33, v16
	v_add_f32_e32 v26, v26, v28
	v_mul_f32_e32 v28, v22, v16
	v_mul_f32_e32 v16, v21, v16
	v_fmac_f32_e32 v16, v22, v15
	v_fma_f32 v20, v32, v15, -v20
	v_fma_f32 v28, v21, v15, -v28
	v_add_f32_e32 v25, v25, v16
	v_mul_f32_e32 v15, v22, v18
	v_mul_f32_e32 v16, v21, v18
	v_add_f32_e32 v20, v29, v20
	v_mul_f32_e32 v29, v32, v18
	v_fma_f32 v15, v21, v17, -v15
	v_fmac_f32_e32 v16, v22, v17
	v_fmac_f32_e32 v29, v33, v17
	v_add_f32_e32 v19, v19, v15
	v_add_f32_e32 v10, v10, v16
	ds_read2_b64 v[15:18], v13 offset0:192 offset1:208
	v_add_f32_e32 v24, v24, v28
	v_add_f32_e32 v23, v23, v29
	s_waitcnt lgkmcnt(0)
	v_mul_f32_e32 v21, v3, v16
	v_fma_f32 v21, v2, v15, -v21
	v_add_f32_e32 v28, v20, v21
	v_mul_f32_e32 v20, v3, v18
	v_mul_f32_e32 v22, v2, v16
	v_fma_f32 v20, v2, v17, -v20
	v_mul_f32_e32 v2, v2, v18
	v_fmac_f32_e32 v22, v3, v15
	v_fmac_f32_e32 v2, v3, v17
	v_add_f32_e32 v29, v27, v22
	v_add_f32_e32 v3, v26, v20
	;; [unrolled: 1-line block ×3, first 2 shown]
	ds_read_b128 v[20:23], v14 offset:1072
	s_waitcnt lgkmcnt(0)
	v_mul_f32_e32 v26, v21, v16
	v_mul_f32_e32 v16, v20, v16
	v_fma_f32 v26, v20, v15, -v26
	v_fmac_f32_e32 v16, v21, v15
	v_add_f32_e32 v15, v24, v26
	v_add_f32_e32 v30, v25, v16
	ds_read2_b64 v[24:27], v13 offset0:224 offset1:240
	v_mul_f32_e32 v16, v21, v18
	v_fma_f32 v16, v20, v17, -v16
	v_add_f32_e32 v31, v19, v16
	v_mul_f32_e32 v18, v20, v18
	s_waitcnt lgkmcnt(0)
	v_mul_f32_e32 v16, v5, v25
	v_fma_f32 v16, v4, v24, -v16
	v_add_f32_e32 v20, v28, v16
	v_mul_f32_e32 v16, v5, v27
	v_fmac_f32_e32 v18, v21, v17
	v_mul_f32_e32 v17, v4, v25
	v_fma_f32 v16, v4, v26, -v16
	v_mul_f32_e32 v4, v4, v27
	v_fmac_f32_e32 v4, v5, v26
	v_add_f32_e32 v10, v10, v18
	v_add_f32_e32 v18, v3, v16
	;; [unrolled: 1-line block ×3, first 2 shown]
	v_mul_f32_e32 v2, v23, v25
	v_mul_f32_e32 v3, v22, v25
	v_fmac_f32_e32 v17, v5, v24
	v_fma_f32 v2, v22, v24, -v2
	v_fmac_f32_e32 v3, v23, v24
	v_add_f32_e32 v21, v29, v17
	v_add_f32_e32 v16, v15, v2
	v_add_f32_e32 v17, v30, v3
	v_mul_f32_e32 v2, v23, v27
	v_mul_f32_e32 v3, v22, v27
	v_fma_f32 v2, v22, v26, -v2
	v_fmac_f32_e32 v3, v23, v26
	v_add_f32_e32 v15, v31, v2
	v_add_f32_e32 v10, v10, v3
	v_mov_b32_e32 v3, s1
	v_mov_b32_e32 v2, s0
	v_cmp_le_u64_e32 vcc, s[12:13], v[2:3]
	s_barrier
	s_cbranch_vccz .LBB1730_2
	s_branch .LBB1730_4
.LBB1730_3:
	v_mov_b32_e32 v20, 0
	v_mov_b32_e32 v21, 0
	;; [unrolled: 1-line block ×8, first 2 shown]
.LBB1730_4:
	v_add_u32_e32 v5, s7, v1
	v_ashrrev_i32_e32 v1, 31, v5
	v_mul_lo_u32 v3, s2, v1
	v_mul_lo_u32 v4, s3, v5
	v_mad_u64_u32 v[1:2], s[0:1], s2, v5, 0
	s_load_dword s10, s[4:5], 0x0
	v_add_u32_e32 v0, s6, v0
	v_add3_u32 v2, v2, v3, v4
	v_lshlrev_b64 v[1:2], 3, v[1:2]
	s_waitcnt lgkmcnt(0)
	v_mov_b32_e32 v3, s9
	v_add_co_u32_e64 v4, s[0:1], s8, v1
	v_addc_co_u32_e64 v6, s[0:1], v3, v2, s[0:1]
	v_cmp_gt_i32_e32 vcc, s10, v5
	v_cmp_le_i32_e64 s[0:1], v0, v5
	s_and_b64 s[0:1], vcc, s[0:1]
	s_and_saveexec_b64 s[4:5], s[0:1]
	s_cbranch_execz .LBB1730_7
; %bb.5:
	v_ashrrev_i32_e32 v1, 31, v0
	v_lshlrev_b64 v[1:2], 3, v[0:1]
	v_mul_f32_e32 v3, s15, v21
	v_add_co_u32_e64 v1, s[0:1], v4, v1
	v_addc_co_u32_e64 v2, s[0:1], v6, v2, s[0:1]
	flat_load_dwordx2 v[7:8], v[1:2]
	v_mul_f32_e32 v9, s14, v21
	v_fma_f32 v3, v20, s14, -v3
	v_fmac_f32_e32 v9, s15, v20
	v_cmp_eq_u32_e64 s[0:1], v5, v0
	s_waitcnt vmcnt(0) lgkmcnt(0)
	v_mul_f32_e32 v11, s21, v8
	v_mul_f32_e32 v8, s20, v8
	v_fma_f32 v11, v7, s20, -v11
	v_fmac_f32_e32 v8, s21, v7
	v_add_f32_e32 v7, v3, v11
	v_add_f32_e32 v8, v9, v8
	flat_store_dwordx2 v[1:2], v[7:8]
	s_and_b64 exec, exec, s[0:1]
	s_cbranch_execz .LBB1730_7
; %bb.6:
	v_mov_b32_e32 v3, 0
	flat_store_dword v[1:2], v3 offset:4
.LBB1730_7:
	s_or_b64 exec, exec, s[4:5]
	v_add_u32_e32 v2, 16, v0
	v_cmp_le_i32_e64 s[0:1], v2, v5
	s_and_b64 s[4:5], vcc, s[0:1]
	s_and_saveexec_b64 s[0:1], s[4:5]
	s_cbranch_execz .LBB1730_10
; %bb.8:
	v_ashrrev_i32_e32 v3, 31, v2
	v_lshlrev_b64 v[7:8], 3, v[2:3]
	v_mul_f32_e32 v1, s15, v19
	v_add_co_u32_e32 v3, vcc, v4, v7
	v_addc_co_u32_e32 v4, vcc, v6, v8, vcc
	flat_load_dwordx2 v[6:7], v[3:4]
	v_mul_f32_e32 v8, s14, v19
	v_fma_f32 v1, v18, s14, -v1
	v_fmac_f32_e32 v8, s15, v18
	v_cmp_eq_u32_e32 vcc, v5, v2
	s_waitcnt vmcnt(0) lgkmcnt(0)
	v_mul_f32_e32 v9, s21, v7
	v_mul_f32_e32 v7, s20, v7
	v_fma_f32 v9, v6, s20, -v9
	v_fmac_f32_e32 v7, s21, v6
	v_add_f32_e32 v6, v1, v9
	v_add_f32_e32 v7, v8, v7
	flat_store_dwordx2 v[3:4], v[6:7]
	s_and_b64 exec, exec, vcc
	s_cbranch_execz .LBB1730_10
; %bb.9:
	v_mov_b32_e32 v1, 0
	flat_store_dword v[3:4], v1 offset:4
.LBB1730_10:
	s_or_b64 exec, exec, s[0:1]
	v_add_u32_e32 v8, 16, v5
	v_ashrrev_i32_e32 v1, 31, v8
	v_mul_lo_u32 v1, s2, v1
	v_mul_lo_u32 v6, s3, v8
	v_mad_u64_u32 v[3:4], s[0:1], s2, v8, 0
	v_cmp_gt_i32_e32 vcc, s10, v8
	v_add3_u32 v4, v4, v1, v6
	v_lshlrev_b64 v[3:4], 3, v[3:4]
	v_mov_b32_e32 v1, s9
	v_add_co_u32_e64 v6, s[0:1], s8, v3
	v_addc_co_u32_e64 v7, s[0:1], v1, v4, s[0:1]
	v_cmp_le_i32_e64 s[0:1], v0, v8
	s_and_b64 s[0:1], vcc, s[0:1]
	s_and_saveexec_b64 s[2:3], s[0:1]
	s_cbranch_execz .LBB1730_13
; %bb.11:
	v_ashrrev_i32_e32 v1, 31, v0
	v_lshlrev_b64 v[3:4], 3, v[0:1]
	v_mul_f32_e32 v1, s15, v17
	v_add_co_u32_e64 v3, s[0:1], v6, v3
	v_addc_co_u32_e64 v4, s[0:1], v7, v4, s[0:1]
	flat_load_dwordx2 v[11:12], v[3:4]
	v_mul_f32_e32 v9, s14, v17
	v_fma_f32 v1, v16, s14, -v1
	v_fmac_f32_e32 v9, s15, v16
	v_cmp_eq_u32_e64 s[0:1], v8, v0
	s_waitcnt vmcnt(0) lgkmcnt(0)
	v_mul_f32_e32 v13, s21, v12
	v_mul_f32_e32 v12, s20, v12
	v_fma_f32 v13, v11, s20, -v13
	v_fmac_f32_e32 v12, s21, v11
	v_add_f32_e32 v11, v1, v13
	v_add_f32_e32 v12, v9, v12
	flat_store_dwordx2 v[3:4], v[11:12]
	s_and_b64 exec, exec, s[0:1]
	s_cbranch_execz .LBB1730_13
; %bb.12:
	v_mov_b32_e32 v1, 0
	flat_store_dword v[3:4], v1 offset:4
.LBB1730_13:
	s_or_b64 exec, exec, s[2:3]
	v_cmp_le_i32_e64 s[0:1], v2, v8
	s_and_b64 s[0:1], vcc, s[0:1]
	s_and_saveexec_b64 s[2:3], s[0:1]
	s_cbranch_execz .LBB1730_16
; %bb.14:
	v_ashrrev_i32_e32 v3, 31, v2
	v_lshlrev_b64 v[1:2], 3, v[2:3]
	v_add_co_u32_e32 v1, vcc, v6, v1
	v_addc_co_u32_e32 v2, vcc, v7, v2, vcc
	flat_load_dwordx2 v[3:4], v[1:2]
	v_mul_f32_e32 v6, s15, v10
	v_mul_f32_e32 v7, s14, v10
	v_fma_f32 v6, v15, s14, -v6
	v_fmac_f32_e32 v7, s15, v15
	v_cmp_eq_u32_e32 vcc, v5, v0
	s_waitcnt vmcnt(0) lgkmcnt(0)
	v_mul_f32_e32 v8, s21, v4
	v_mul_f32_e32 v4, s20, v4
	v_fma_f32 v8, v3, s20, -v8
	v_fmac_f32_e32 v4, s21, v3
	v_add_f32_e32 v3, v6, v8
	v_add_f32_e32 v4, v7, v4
	flat_store_dwordx2 v[1:2], v[3:4]
	s_and_b64 exec, exec, vcc
	s_cbranch_execz .LBB1730_16
; %bb.15:
	v_mov_b32_e32 v0, 0
	flat_store_dword v[1:2], v0 offset:4
.LBB1730_16:
	s_endpgm
	.section	.rodata,"a",@progbits
	.p2align	6, 0x0
	.amdhsa_kernel _ZL37rocblas_syrkx_herkx_restricted_kernelIl19rocblas_complex_numIfELi16ELi32ELi8ELb0ELb1ELc67ELc85EKPKS1_KPS1_EviT_T0_PT8_S7_lSA_S7_lS8_PT9_S7_li
		.amdhsa_group_segment_fixed_size 4096
		.amdhsa_private_segment_fixed_size 0
		.amdhsa_kernarg_size 108
		.amdhsa_user_sgpr_count 6
		.amdhsa_user_sgpr_private_segment_buffer 1
		.amdhsa_user_sgpr_dispatch_ptr 0
		.amdhsa_user_sgpr_queue_ptr 0
		.amdhsa_user_sgpr_kernarg_segment_ptr 1
		.amdhsa_user_sgpr_dispatch_id 0
		.amdhsa_user_sgpr_flat_scratch_init 0
		.amdhsa_user_sgpr_private_segment_size 0
		.amdhsa_uses_dynamic_stack 0
		.amdhsa_system_sgpr_private_segment_wavefront_offset 0
		.amdhsa_system_sgpr_workgroup_id_x 1
		.amdhsa_system_sgpr_workgroup_id_y 1
		.amdhsa_system_sgpr_workgroup_id_z 1
		.amdhsa_system_sgpr_workgroup_info 0
		.amdhsa_system_vgpr_workitem_id 1
		.amdhsa_next_free_vgpr 41
		.amdhsa_next_free_sgpr 28
		.amdhsa_reserve_vcc 1
		.amdhsa_reserve_flat_scratch 0
		.amdhsa_float_round_mode_32 0
		.amdhsa_float_round_mode_16_64 0
		.amdhsa_float_denorm_mode_32 3
		.amdhsa_float_denorm_mode_16_64 3
		.amdhsa_dx10_clamp 1
		.amdhsa_ieee_mode 1
		.amdhsa_fp16_overflow 0
		.amdhsa_exception_fp_ieee_invalid_op 0
		.amdhsa_exception_fp_denorm_src 0
		.amdhsa_exception_fp_ieee_div_zero 0
		.amdhsa_exception_fp_ieee_overflow 0
		.amdhsa_exception_fp_ieee_underflow 0
		.amdhsa_exception_fp_ieee_inexact 0
		.amdhsa_exception_int_div_zero 0
	.end_amdhsa_kernel
	.section	.text._ZL37rocblas_syrkx_herkx_restricted_kernelIl19rocblas_complex_numIfELi16ELi32ELi8ELb0ELb1ELc67ELc85EKPKS1_KPS1_EviT_T0_PT8_S7_lSA_S7_lS8_PT9_S7_li,"axG",@progbits,_ZL37rocblas_syrkx_herkx_restricted_kernelIl19rocblas_complex_numIfELi16ELi32ELi8ELb0ELb1ELc67ELc85EKPKS1_KPS1_EviT_T0_PT8_S7_lSA_S7_lS8_PT9_S7_li,comdat
.Lfunc_end1730:
	.size	_ZL37rocblas_syrkx_herkx_restricted_kernelIl19rocblas_complex_numIfELi16ELi32ELi8ELb0ELb1ELc67ELc85EKPKS1_KPS1_EviT_T0_PT8_S7_lSA_S7_lS8_PT9_S7_li, .Lfunc_end1730-_ZL37rocblas_syrkx_herkx_restricted_kernelIl19rocblas_complex_numIfELi16ELi32ELi8ELb0ELb1ELc67ELc85EKPKS1_KPS1_EviT_T0_PT8_S7_lSA_S7_lS8_PT9_S7_li
                                        ; -- End function
	.set _ZL37rocblas_syrkx_herkx_restricted_kernelIl19rocblas_complex_numIfELi16ELi32ELi8ELb0ELb1ELc67ELc85EKPKS1_KPS1_EviT_T0_PT8_S7_lSA_S7_lS8_PT9_S7_li.num_vgpr, 41
	.set _ZL37rocblas_syrkx_herkx_restricted_kernelIl19rocblas_complex_numIfELi16ELi32ELi8ELb0ELb1ELc67ELc85EKPKS1_KPS1_EviT_T0_PT8_S7_lSA_S7_lS8_PT9_S7_li.num_agpr, 0
	.set _ZL37rocblas_syrkx_herkx_restricted_kernelIl19rocblas_complex_numIfELi16ELi32ELi8ELb0ELb1ELc67ELc85EKPKS1_KPS1_EviT_T0_PT8_S7_lSA_S7_lS8_PT9_S7_li.numbered_sgpr, 28
	.set _ZL37rocblas_syrkx_herkx_restricted_kernelIl19rocblas_complex_numIfELi16ELi32ELi8ELb0ELb1ELc67ELc85EKPKS1_KPS1_EviT_T0_PT8_S7_lSA_S7_lS8_PT9_S7_li.num_named_barrier, 0
	.set _ZL37rocblas_syrkx_herkx_restricted_kernelIl19rocblas_complex_numIfELi16ELi32ELi8ELb0ELb1ELc67ELc85EKPKS1_KPS1_EviT_T0_PT8_S7_lSA_S7_lS8_PT9_S7_li.private_seg_size, 0
	.set _ZL37rocblas_syrkx_herkx_restricted_kernelIl19rocblas_complex_numIfELi16ELi32ELi8ELb0ELb1ELc67ELc85EKPKS1_KPS1_EviT_T0_PT8_S7_lSA_S7_lS8_PT9_S7_li.uses_vcc, 1
	.set _ZL37rocblas_syrkx_herkx_restricted_kernelIl19rocblas_complex_numIfELi16ELi32ELi8ELb0ELb1ELc67ELc85EKPKS1_KPS1_EviT_T0_PT8_S7_lSA_S7_lS8_PT9_S7_li.uses_flat_scratch, 0
	.set _ZL37rocblas_syrkx_herkx_restricted_kernelIl19rocblas_complex_numIfELi16ELi32ELi8ELb0ELb1ELc67ELc85EKPKS1_KPS1_EviT_T0_PT8_S7_lSA_S7_lS8_PT9_S7_li.has_dyn_sized_stack, 0
	.set _ZL37rocblas_syrkx_herkx_restricted_kernelIl19rocblas_complex_numIfELi16ELi32ELi8ELb0ELb1ELc67ELc85EKPKS1_KPS1_EviT_T0_PT8_S7_lSA_S7_lS8_PT9_S7_li.has_recursion, 0
	.set _ZL37rocblas_syrkx_herkx_restricted_kernelIl19rocblas_complex_numIfELi16ELi32ELi8ELb0ELb1ELc67ELc85EKPKS1_KPS1_EviT_T0_PT8_S7_lSA_S7_lS8_PT9_S7_li.has_indirect_call, 0
	.section	.AMDGPU.csdata,"",@progbits
; Kernel info:
; codeLenInByte = 2300
; TotalNumSgprs: 32
; NumVgprs: 41
; ScratchSize: 0
; MemoryBound: 0
; FloatMode: 240
; IeeeMode: 1
; LDSByteSize: 4096 bytes/workgroup (compile time only)
; SGPRBlocks: 3
; VGPRBlocks: 10
; NumSGPRsForWavesPerEU: 32
; NumVGPRsForWavesPerEU: 41
; Occupancy: 5
; WaveLimiterHint : 1
; COMPUTE_PGM_RSRC2:SCRATCH_EN: 0
; COMPUTE_PGM_RSRC2:USER_SGPR: 6
; COMPUTE_PGM_RSRC2:TRAP_HANDLER: 0
; COMPUTE_PGM_RSRC2:TGID_X_EN: 1
; COMPUTE_PGM_RSRC2:TGID_Y_EN: 1
; COMPUTE_PGM_RSRC2:TGID_Z_EN: 1
; COMPUTE_PGM_RSRC2:TIDIG_COMP_CNT: 1
	.section	.text._ZL37rocblas_syrkx_herkx_restricted_kernelIl19rocblas_complex_numIfELi16ELi32ELi8ELb0ELb1ELc78ELc85EKPKS1_KPS1_EviT_T0_PT8_S7_lSA_S7_lS8_PT9_S7_li,"axG",@progbits,_ZL37rocblas_syrkx_herkx_restricted_kernelIl19rocblas_complex_numIfELi16ELi32ELi8ELb0ELb1ELc78ELc85EKPKS1_KPS1_EviT_T0_PT8_S7_lSA_S7_lS8_PT9_S7_li,comdat
	.globl	_ZL37rocblas_syrkx_herkx_restricted_kernelIl19rocblas_complex_numIfELi16ELi32ELi8ELb0ELb1ELc78ELc85EKPKS1_KPS1_EviT_T0_PT8_S7_lSA_S7_lS8_PT9_S7_li ; -- Begin function _ZL37rocblas_syrkx_herkx_restricted_kernelIl19rocblas_complex_numIfELi16ELi32ELi8ELb0ELb1ELc78ELc85EKPKS1_KPS1_EviT_T0_PT8_S7_lSA_S7_lS8_PT9_S7_li
	.p2align	8
	.type	_ZL37rocblas_syrkx_herkx_restricted_kernelIl19rocblas_complex_numIfELi16ELi32ELi8ELb0ELb1ELc78ELc85EKPKS1_KPS1_EviT_T0_PT8_S7_lSA_S7_lS8_PT9_S7_li,@function
_ZL37rocblas_syrkx_herkx_restricted_kernelIl19rocblas_complex_numIfELi16ELi32ELi8ELb0ELb1ELc78ELc85EKPKS1_KPS1_EviT_T0_PT8_S7_lSA_S7_lS8_PT9_S7_li: ; @_ZL37rocblas_syrkx_herkx_restricted_kernelIl19rocblas_complex_numIfELi16ELi32ELi8ELb0ELb1ELc78ELc85EKPKS1_KPS1_EviT_T0_PT8_S7_lSA_S7_lS8_PT9_S7_li
; %bb.0:
	s_load_dwordx4 s[20:23], s[4:5], 0x48
	s_load_dwordx2 s[10:11], s[4:5], 0x58
	s_load_dwordx8 s[12:19], s[4:5], 0x8
	s_mov_b32 s9, 0
	s_lshl_b64 s[24:25], s[8:9], 3
	s_waitcnt lgkmcnt(0)
	s_add_u32 s0, s22, s24
	s_addc_u32 s1, s23, s25
	s_load_dwordx2 s[8:9], s[0:1], 0x0
	v_cmp_lt_i64_e64 s[0:1], s[12:13], 1
	s_lshl_b32 s22, s6, 5
	s_lshl_b32 s23, s7, 5
	s_and_b64 vcc, exec, s[0:1]
	s_cbranch_vccnz .LBB1731_3
; %bb.1:
	s_load_dwordx4 s[0:3], s[4:5], 0x30
	v_lshl_add_u32 v5, v1, 4, v0
	v_lshrrev_b32_e32 v6, 3, v5
	v_add_u32_e32 v2, s23, v6
	s_add_u32 s6, s16, s24
	v_and_b32_e32 v7, 7, v0
	v_ashrrev_i32_e32 v3, 31, v2
	s_addc_u32 s7, s17, s25
	s_waitcnt lgkmcnt(0)
	v_mad_u64_u32 v[2:3], s[16:17], s2, v7, v[2:3]
	s_add_u32 s0, s0, s24
	v_lshrrev_b32_e32 v8, 5, v5
	v_mad_u64_u32 v[3:4], s[16:17], s3, v7, v[3:4]
	v_and_b32_e32 v4, 31, v5
	v_lshlrev_b32_e32 v5, 3, v4
	v_add_u32_e32 v4, s22, v4
	s_addc_u32 s1, s1, s25
	v_lshl_or_b32 v10, v8, 8, v5
	v_ashrrev_i32_e32 v5, 31, v4
	s_load_dwordx2 s[16:17], s[0:1], 0x0
	v_mad_u64_u32 v[4:5], s[0:1], s18, v8, v[4:5]
	v_lshlrev_b32_e32 v7, 3, v7
	v_lshl_or_b32 v6, v6, 6, v7
	v_add_u32_e32 v11, 0x800, v6
	v_mad_u64_u32 v[5:6], s[0:1], s19, v8, v[5:6]
	s_load_dwordx2 s[6:7], s[6:7], 0x0
	v_mov_b32_e32 v6, 0x800
	v_lshlrev_b64 v[4:5], 3, v[4:5]
	v_lshl_add_u32 v13, v1, 6, v6
	v_lshlrev_b64 v[2:3], 3, v[2:3]
	s_waitcnt lgkmcnt(0)
	v_mov_b32_e32 v7, s7
	v_add_co_u32_e32 v6, vcc, s6, v4
	v_addc_co_u32_e32 v7, vcc, v7, v5, vcc
	s_lshl_b64 s[0:1], s[18:19], 6
	v_mov_b32_e32 v4, s17
	v_add_co_u32_e32 v8, vcc, s16, v2
	s_lshl_b64 s[2:3], s[2:3], 6
	v_lshlrev_b32_e32 v12, 3, v0
	v_addc_co_u32_e32 v9, vcc, v4, v3, vcc
	v_mov_b32_e32 v16, 0
	s_mov_b64 s[6:7], 0
	v_mov_b32_e32 v14, s1
	v_mov_b32_e32 v15, s3
	;; [unrolled: 1-line block ×9, first 2 shown]
.LBB1731_2:                             ; =>This Inner Loop Header: Depth=1
	flat_load_dwordx2 v[2:3], v[6:7]
	v_add_co_u32_e32 v6, vcc, s0, v6
	s_add_u32 s6, s6, 8
	v_addc_co_u32_e32 v7, vcc, v7, v14, vcc
	s_addc_u32 s7, s7, 0
	s_waitcnt vmcnt(0) lgkmcnt(0)
	ds_write_b64 v10, v[2:3]
	flat_load_dwordx2 v[2:3], v[8:9]
	v_add_co_u32_e32 v8, vcc, s2, v8
	v_addc_co_u32_e32 v9, vcc, v9, v15, vcc
	s_waitcnt vmcnt(0) lgkmcnt(0)
	v_xor_b32_e32 v3, 0x80000000, v3
	ds_write_b64 v11, v[2:3]
	s_waitcnt lgkmcnt(0)
	s_barrier
	ds_read_b128 v[24:27], v13
	ds_read_b128 v[28:31], v13 offset:16
	ds_read_b128 v[32:35], v13 offset:32
	;; [unrolled: 1-line block ×3, first 2 shown]
	ds_read2_b64 v[36:39], v12 offset1:16
	s_waitcnt lgkmcnt(0)
	v_mul_f32_e32 v40, v25, v37
	v_mul_f32_e32 v41, v24, v37
	v_fma_f32 v40, v24, v36, -v40
	v_fmac_f32_e32 v41, v25, v36
	v_add_f32_e32 v40, v22, v40
	v_add_f32_e32 v41, v23, v41
	v_mul_f32_e32 v22, v25, v39
	v_mul_f32_e32 v23, v24, v39
	v_fma_f32 v22, v24, v38, -v22
	v_fmac_f32_e32 v23, v25, v38
	v_add_f32_e32 v24, v20, v22
	v_add_f32_e32 v25, v21, v23
	ds_read_b128 v[20:23], v13 offset:1024
	s_waitcnt lgkmcnt(0)
	v_mul_f32_e32 v42, v21, v37
	v_mul_f32_e32 v37, v20, v37
	v_fma_f32 v42, v20, v36, -v42
	v_fmac_f32_e32 v37, v21, v36
	v_add_f32_e32 v36, v18, v42
	v_add_f32_e32 v37, v19, v37
	v_mul_f32_e32 v18, v21, v39
	v_mul_f32_e32 v19, v20, v39
	v_fma_f32 v18, v20, v38, -v18
	v_fmac_f32_e32 v19, v21, v38
	v_add_f32_e32 v20, v17, v18
	v_add_f32_e32 v21, v16, v19
	ds_read2_b64 v[16:19], v12 offset0:32 offset1:48
	s_waitcnt lgkmcnt(0)
	v_mul_f32_e32 v38, v27, v17
	v_fma_f32 v38, v26, v16, -v38
	v_add_f32_e32 v38, v40, v38
	v_mul_f32_e32 v40, v27, v19
	v_mul_f32_e32 v39, v26, v17
	v_fma_f32 v40, v26, v18, -v40
	v_mul_f32_e32 v26, v26, v19
	v_fmac_f32_e32 v26, v27, v18
	v_add_f32_e32 v25, v25, v26
	v_mul_f32_e32 v26, v23, v17
	v_mul_f32_e32 v17, v22, v17
	v_fmac_f32_e32 v17, v23, v16
	v_fmac_f32_e32 v39, v27, v16
	v_fma_f32 v26, v22, v16, -v26
	v_add_f32_e32 v27, v37, v17
	v_mul_f32_e32 v16, v23, v19
	v_mul_f32_e32 v17, v22, v19
	v_fma_f32 v16, v22, v18, -v16
	v_fmac_f32_e32 v17, v23, v18
	v_add_f32_e32 v26, v36, v26
	v_add_f32_e32 v36, v20, v16
	;; [unrolled: 1-line block ×3, first 2 shown]
	ds_read2_b64 v[16:19], v12 offset0:64 offset1:80
	v_add_f32_e32 v39, v41, v39
	v_add_f32_e32 v24, v24, v40
	s_waitcnt lgkmcnt(0)
	v_mul_f32_e32 v20, v29, v17
	v_mul_f32_e32 v21, v28, v17
	v_fma_f32 v20, v28, v16, -v20
	v_fmac_f32_e32 v21, v29, v16
	v_add_f32_e32 v38, v38, v20
	v_add_f32_e32 v39, v39, v21
	v_mul_f32_e32 v20, v29, v19
	v_mul_f32_e32 v21, v28, v19
	v_fma_f32 v20, v28, v18, -v20
	v_fmac_f32_e32 v21, v29, v18
	v_add_f32_e32 v24, v24, v20
	v_add_f32_e32 v25, v25, v21
	ds_read_b128 v[20:23], v13 offset:1040
	s_waitcnt lgkmcnt(0)
	v_mul_f32_e32 v28, v21, v17
	v_mul_f32_e32 v17, v20, v17
	v_fmac_f32_e32 v17, v21, v16
	v_fma_f32 v28, v20, v16, -v28
	v_add_f32_e32 v27, v27, v17
	v_mul_f32_e32 v16, v21, v19
	v_mul_f32_e32 v17, v20, v19
	v_fma_f32 v16, v20, v18, -v16
	v_fmac_f32_e32 v17, v21, v18
	v_add_f32_e32 v20, v36, v16
	v_add_f32_e32 v21, v37, v17
	ds_read2_b64 v[16:19], v12 offset0:96 offset1:112
	v_add_f32_e32 v26, v26, v28
	s_waitcnt lgkmcnt(0)
	v_mul_f32_e32 v28, v31, v17
	v_mul_f32_e32 v36, v31, v19
	v_fma_f32 v28, v30, v16, -v28
	v_mul_f32_e32 v29, v30, v17
	v_fma_f32 v36, v30, v18, -v36
	v_mul_f32_e32 v30, v30, v19
	v_fmac_f32_e32 v30, v31, v18
	v_add_f32_e32 v25, v25, v30
	v_mul_f32_e32 v30, v23, v17
	v_mul_f32_e32 v17, v22, v17
	v_fmac_f32_e32 v17, v23, v16
	v_fmac_f32_e32 v29, v31, v16
	v_fma_f32 v30, v22, v16, -v30
	v_add_f32_e32 v27, v27, v17
	v_mul_f32_e32 v16, v23, v19
	v_mul_f32_e32 v17, v22, v19
	v_fma_f32 v16, v22, v18, -v16
	v_fmac_f32_e32 v17, v23, v18
	v_add_f32_e32 v26, v26, v30
	v_add_f32_e32 v30, v20, v16
	;; [unrolled: 1-line block ×3, first 2 shown]
	ds_read2_b64 v[16:19], v12 offset0:128 offset1:144
	v_add_f32_e32 v28, v38, v28
	v_add_f32_e32 v29, v39, v29
	;; [unrolled: 1-line block ×3, first 2 shown]
	s_waitcnt lgkmcnt(0)
	v_mul_f32_e32 v20, v33, v17
	v_mul_f32_e32 v21, v32, v17
	v_fma_f32 v20, v32, v16, -v20
	v_fmac_f32_e32 v21, v33, v16
	v_add_f32_e32 v28, v28, v20
	v_add_f32_e32 v29, v29, v21
	v_mul_f32_e32 v20, v33, v19
	v_mul_f32_e32 v21, v32, v19
	v_fma_f32 v20, v32, v18, -v20
	v_fmac_f32_e32 v21, v33, v18
	v_add_f32_e32 v24, v24, v20
	v_add_f32_e32 v25, v25, v21
	ds_read_b128 v[20:23], v13 offset:1056
	s_waitcnt lgkmcnt(0)
	v_mul_f32_e32 v32, v21, v17
	v_mul_f32_e32 v17, v20, v17
	v_fmac_f32_e32 v17, v21, v16
	v_fma_f32 v32, v20, v16, -v32
	v_add_f32_e32 v27, v27, v17
	v_mul_f32_e32 v16, v21, v19
	v_mul_f32_e32 v17, v20, v19
	v_fma_f32 v16, v20, v18, -v16
	v_fmac_f32_e32 v17, v21, v18
	v_add_f32_e32 v20, v30, v16
	v_add_f32_e32 v21, v31, v17
	ds_read2_b64 v[16:19], v12 offset0:160 offset1:176
	v_add_f32_e32 v26, v26, v32
	s_waitcnt lgkmcnt(0)
	v_mul_f32_e32 v30, v35, v17
	v_fma_f32 v30, v34, v16, -v30
	v_add_f32_e32 v28, v28, v30
	v_mul_f32_e32 v30, v35, v19
	v_fma_f32 v30, v34, v18, -v30
	v_mul_f32_e32 v31, v34, v17
	v_add_f32_e32 v24, v24, v30
	v_mul_f32_e32 v30, v23, v17
	v_mul_f32_e32 v17, v22, v17
	v_fmac_f32_e32 v17, v23, v16
	v_fmac_f32_e32 v31, v35, v16
	v_fma_f32 v30, v22, v16, -v30
	v_add_f32_e32 v27, v27, v17
	v_mul_f32_e32 v16, v23, v19
	v_mul_f32_e32 v17, v22, v19
	v_add_f32_e32 v29, v29, v31
	v_mul_f32_e32 v31, v34, v19
	v_fma_f32 v16, v22, v18, -v16
	v_fmac_f32_e32 v17, v23, v18
	v_fmac_f32_e32 v31, v35, v18
	v_add_f32_e32 v20, v20, v16
	v_add_f32_e32 v21, v21, v17
	ds_read2_b64 v[16:19], v12 offset0:192 offset1:208
	v_add_f32_e32 v26, v26, v30
	v_add_f32_e32 v25, v25, v31
	s_waitcnt lgkmcnt(0)
	v_mul_f32_e32 v22, v3, v17
	v_fma_f32 v22, v2, v16, -v22
	v_add_f32_e32 v30, v28, v22
	v_mul_f32_e32 v22, v3, v19
	v_mul_f32_e32 v23, v2, v17
	v_fma_f32 v22, v2, v18, -v22
	v_mul_f32_e32 v2, v2, v19
	v_fmac_f32_e32 v23, v3, v16
	v_fmac_f32_e32 v2, v3, v18
	v_add_f32_e32 v31, v29, v23
	v_add_f32_e32 v3, v24, v22
	;; [unrolled: 1-line block ×3, first 2 shown]
	ds_read_b128 v[22:25], v13 offset:1072
	s_waitcnt lgkmcnt(0)
	v_mul_f32_e32 v28, v23, v17
	v_fma_f32 v28, v22, v16, -v28
	v_mul_f32_e32 v17, v22, v17
	v_fmac_f32_e32 v17, v23, v16
	v_add_f32_e32 v16, v26, v28
	v_mul_f32_e32 v26, v23, v19
	v_fma_f32 v26, v22, v18, -v26
	v_add_f32_e32 v17, v27, v17
	v_add_f32_e32 v32, v20, v26
	ds_read2_b64 v[26:29], v12 offset0:224 offset1:240
	v_mul_f32_e32 v19, v22, v19
	v_fmac_f32_e32 v19, v23, v18
	v_add_f32_e32 v33, v21, v19
	s_waitcnt lgkmcnt(0)
	v_mul_f32_e32 v18, v5, v27
	v_fma_f32 v18, v4, v26, -v18
	v_add_f32_e32 v22, v30, v18
	v_mul_f32_e32 v18, v5, v29
	v_mul_f32_e32 v19, v4, v27
	v_fma_f32 v18, v4, v28, -v18
	v_mul_f32_e32 v4, v4, v29
	v_fmac_f32_e32 v4, v5, v28
	v_add_f32_e32 v20, v3, v18
	v_add_f32_e32 v21, v2, v4
	v_mul_f32_e32 v2, v25, v27
	v_mul_f32_e32 v3, v24, v27
	v_fmac_f32_e32 v19, v5, v26
	v_fma_f32 v2, v24, v26, -v2
	v_fmac_f32_e32 v3, v25, v26
	v_add_f32_e32 v23, v31, v19
	v_add_f32_e32 v18, v16, v2
	;; [unrolled: 1-line block ×3, first 2 shown]
	v_mul_f32_e32 v2, v25, v29
	v_mul_f32_e32 v3, v24, v29
	v_fma_f32 v2, v24, v28, -v2
	v_fmac_f32_e32 v3, v25, v28
	v_add_f32_e32 v17, v32, v2
	v_add_f32_e32 v16, v33, v3
	v_mov_b32_e32 v2, s6
	v_mov_b32_e32 v3, s7
	v_cmp_le_u64_e32 vcc, s[12:13], v[2:3]
	s_barrier
	s_cbranch_vccz .LBB1731_2
	s_branch .LBB1731_4
.LBB1731_3:
	v_mov_b32_e32 v22, 0
	v_mov_b32_e32 v23, 0
	;; [unrolled: 1-line block ×8, first 2 shown]
.LBB1731_4:
	v_add_u32_e32 v5, s23, v1
	v_ashrrev_i32_e32 v1, 31, v5
	v_mul_lo_u32 v3, s10, v1
	v_mul_lo_u32 v4, s11, v5
	v_mad_u64_u32 v[1:2], s[0:1], s10, v5, 0
	s_load_dword s4, s[4:5], 0x0
	v_add_u32_e32 v0, s22, v0
	v_add3_u32 v2, v2, v3, v4
	v_lshlrev_b64 v[1:2], 3, v[1:2]
	s_waitcnt lgkmcnt(0)
	v_mov_b32_e32 v3, s9
	v_add_co_u32_e64 v4, s[0:1], s8, v1
	v_addc_co_u32_e64 v6, s[0:1], v3, v2, s[0:1]
	v_cmp_gt_i32_e32 vcc, s4, v5
	v_cmp_le_i32_e64 s[0:1], v0, v5
	s_and_b64 s[0:1], vcc, s[0:1]
	s_and_saveexec_b64 s[2:3], s[0:1]
	s_cbranch_execz .LBB1731_7
; %bb.5:
	v_ashrrev_i32_e32 v1, 31, v0
	v_lshlrev_b64 v[1:2], 3, v[0:1]
	v_mul_f32_e32 v3, s15, v23
	v_add_co_u32_e64 v1, s[0:1], v4, v1
	v_addc_co_u32_e64 v2, s[0:1], v6, v2, s[0:1]
	flat_load_dwordx2 v[7:8], v[1:2]
	v_mul_f32_e32 v9, s14, v23
	v_fma_f32 v3, v22, s14, -v3
	v_fmac_f32_e32 v9, s15, v22
	v_cmp_eq_u32_e64 s[0:1], v5, v0
	s_waitcnt vmcnt(0) lgkmcnt(0)
	v_mul_f32_e32 v10, s21, v8
	v_mul_f32_e32 v8, s20, v8
	v_fma_f32 v10, v7, s20, -v10
	v_fmac_f32_e32 v8, s21, v7
	v_add_f32_e32 v7, v3, v10
	v_add_f32_e32 v8, v9, v8
	flat_store_dwordx2 v[1:2], v[7:8]
	s_and_b64 exec, exec, s[0:1]
	s_cbranch_execz .LBB1731_7
; %bb.6:
	v_mov_b32_e32 v3, 0
	flat_store_dword v[1:2], v3 offset:4
.LBB1731_7:
	s_or_b64 exec, exec, s[2:3]
	v_add_u32_e32 v2, 16, v0
	v_cmp_le_i32_e64 s[0:1], v2, v5
	s_and_b64 s[2:3], vcc, s[0:1]
	s_and_saveexec_b64 s[0:1], s[2:3]
	s_cbranch_execz .LBB1731_10
; %bb.8:
	v_ashrrev_i32_e32 v3, 31, v2
	v_lshlrev_b64 v[7:8], 3, v[2:3]
	v_mul_f32_e32 v1, s15, v21
	v_add_co_u32_e32 v3, vcc, v4, v7
	v_addc_co_u32_e32 v4, vcc, v6, v8, vcc
	flat_load_dwordx2 v[6:7], v[3:4]
	v_mul_f32_e32 v8, s14, v21
	v_fma_f32 v1, v20, s14, -v1
	v_fmac_f32_e32 v8, s15, v20
	v_cmp_eq_u32_e32 vcc, v5, v2
	s_waitcnt vmcnt(0) lgkmcnt(0)
	v_mul_f32_e32 v9, s21, v7
	v_mul_f32_e32 v7, s20, v7
	v_fma_f32 v9, v6, s20, -v9
	v_fmac_f32_e32 v7, s21, v6
	v_add_f32_e32 v6, v1, v9
	v_add_f32_e32 v7, v8, v7
	flat_store_dwordx2 v[3:4], v[6:7]
	s_and_b64 exec, exec, vcc
	s_cbranch_execz .LBB1731_10
; %bb.9:
	v_mov_b32_e32 v1, 0
	flat_store_dword v[3:4], v1 offset:4
.LBB1731_10:
	s_or_b64 exec, exec, s[0:1]
	v_add_u32_e32 v8, 16, v5
	v_ashrrev_i32_e32 v1, 31, v8
	v_mul_lo_u32 v1, s10, v1
	v_mul_lo_u32 v6, s11, v8
	v_mad_u64_u32 v[3:4], s[0:1], s10, v8, 0
	v_cmp_gt_i32_e32 vcc, s4, v8
	v_add3_u32 v4, v4, v1, v6
	v_lshlrev_b64 v[3:4], 3, v[3:4]
	v_mov_b32_e32 v1, s9
	v_add_co_u32_e64 v6, s[0:1], s8, v3
	v_addc_co_u32_e64 v7, s[0:1], v1, v4, s[0:1]
	v_cmp_le_i32_e64 s[0:1], v0, v8
	s_and_b64 s[0:1], vcc, s[0:1]
	s_and_saveexec_b64 s[2:3], s[0:1]
	s_cbranch_execz .LBB1731_13
; %bb.11:
	v_ashrrev_i32_e32 v1, 31, v0
	v_lshlrev_b64 v[3:4], 3, v[0:1]
	v_mul_f32_e32 v1, s15, v19
	v_add_co_u32_e64 v3, s[0:1], v6, v3
	v_addc_co_u32_e64 v4, s[0:1], v7, v4, s[0:1]
	flat_load_dwordx2 v[9:10], v[3:4]
	v_mul_f32_e32 v11, s14, v19
	v_fma_f32 v1, v18, s14, -v1
	v_fmac_f32_e32 v11, s15, v18
	v_cmp_eq_u32_e64 s[0:1], v8, v0
	s_waitcnt vmcnt(0) lgkmcnt(0)
	v_mul_f32_e32 v12, s21, v10
	v_mul_f32_e32 v10, s20, v10
	v_fma_f32 v12, v9, s20, -v12
	v_fmac_f32_e32 v10, s21, v9
	v_add_f32_e32 v9, v1, v12
	v_add_f32_e32 v10, v11, v10
	flat_store_dwordx2 v[3:4], v[9:10]
	s_and_b64 exec, exec, s[0:1]
	s_cbranch_execz .LBB1731_13
; %bb.12:
	v_mov_b32_e32 v1, 0
	flat_store_dword v[3:4], v1 offset:4
.LBB1731_13:
	s_or_b64 exec, exec, s[2:3]
	v_cmp_le_i32_e64 s[0:1], v2, v8
	s_and_b64 s[0:1], vcc, s[0:1]
	s_and_saveexec_b64 s[2:3], s[0:1]
	s_cbranch_execz .LBB1731_16
; %bb.14:
	v_ashrrev_i32_e32 v3, 31, v2
	v_lshlrev_b64 v[1:2], 3, v[2:3]
	v_add_co_u32_e32 v1, vcc, v6, v1
	v_addc_co_u32_e32 v2, vcc, v7, v2, vcc
	flat_load_dwordx2 v[3:4], v[1:2]
	v_mul_f32_e32 v6, s15, v16
	v_mul_f32_e32 v7, s14, v16
	v_fma_f32 v6, v17, s14, -v6
	v_fmac_f32_e32 v7, s15, v17
	v_cmp_eq_u32_e32 vcc, v5, v0
	s_waitcnt vmcnt(0) lgkmcnt(0)
	v_mul_f32_e32 v8, s21, v4
	v_mul_f32_e32 v4, s20, v4
	v_fma_f32 v8, v3, s20, -v8
	v_fmac_f32_e32 v4, s21, v3
	v_add_f32_e32 v3, v6, v8
	v_add_f32_e32 v4, v7, v4
	flat_store_dwordx2 v[1:2], v[3:4]
	s_and_b64 exec, exec, vcc
	s_cbranch_execz .LBB1731_16
; %bb.15:
	v_mov_b32_e32 v0, 0
	flat_store_dword v[1:2], v0 offset:4
.LBB1731_16:
	s_endpgm
	.section	.rodata,"a",@progbits
	.p2align	6, 0x0
	.amdhsa_kernel _ZL37rocblas_syrkx_herkx_restricted_kernelIl19rocblas_complex_numIfELi16ELi32ELi8ELb0ELb1ELc78ELc85EKPKS1_KPS1_EviT_T0_PT8_S7_lSA_S7_lS8_PT9_S7_li
		.amdhsa_group_segment_fixed_size 4096
		.amdhsa_private_segment_fixed_size 0
		.amdhsa_kernarg_size 108
		.amdhsa_user_sgpr_count 6
		.amdhsa_user_sgpr_private_segment_buffer 1
		.amdhsa_user_sgpr_dispatch_ptr 0
		.amdhsa_user_sgpr_queue_ptr 0
		.amdhsa_user_sgpr_kernarg_segment_ptr 1
		.amdhsa_user_sgpr_dispatch_id 0
		.amdhsa_user_sgpr_flat_scratch_init 0
		.amdhsa_user_sgpr_private_segment_size 0
		.amdhsa_uses_dynamic_stack 0
		.amdhsa_system_sgpr_private_segment_wavefront_offset 0
		.amdhsa_system_sgpr_workgroup_id_x 1
		.amdhsa_system_sgpr_workgroup_id_y 1
		.amdhsa_system_sgpr_workgroup_id_z 1
		.amdhsa_system_sgpr_workgroup_info 0
		.amdhsa_system_vgpr_workitem_id 1
		.amdhsa_next_free_vgpr 43
		.amdhsa_next_free_sgpr 26
		.amdhsa_reserve_vcc 1
		.amdhsa_reserve_flat_scratch 0
		.amdhsa_float_round_mode_32 0
		.amdhsa_float_round_mode_16_64 0
		.amdhsa_float_denorm_mode_32 3
		.amdhsa_float_denorm_mode_16_64 3
		.amdhsa_dx10_clamp 1
		.amdhsa_ieee_mode 1
		.amdhsa_fp16_overflow 0
		.amdhsa_exception_fp_ieee_invalid_op 0
		.amdhsa_exception_fp_denorm_src 0
		.amdhsa_exception_fp_ieee_div_zero 0
		.amdhsa_exception_fp_ieee_overflow 0
		.amdhsa_exception_fp_ieee_underflow 0
		.amdhsa_exception_fp_ieee_inexact 0
		.amdhsa_exception_int_div_zero 0
	.end_amdhsa_kernel
	.section	.text._ZL37rocblas_syrkx_herkx_restricted_kernelIl19rocblas_complex_numIfELi16ELi32ELi8ELb0ELb1ELc78ELc85EKPKS1_KPS1_EviT_T0_PT8_S7_lSA_S7_lS8_PT9_S7_li,"axG",@progbits,_ZL37rocblas_syrkx_herkx_restricted_kernelIl19rocblas_complex_numIfELi16ELi32ELi8ELb0ELb1ELc78ELc85EKPKS1_KPS1_EviT_T0_PT8_S7_lSA_S7_lS8_PT9_S7_li,comdat
.Lfunc_end1731:
	.size	_ZL37rocblas_syrkx_herkx_restricted_kernelIl19rocblas_complex_numIfELi16ELi32ELi8ELb0ELb1ELc78ELc85EKPKS1_KPS1_EviT_T0_PT8_S7_lSA_S7_lS8_PT9_S7_li, .Lfunc_end1731-_ZL37rocblas_syrkx_herkx_restricted_kernelIl19rocblas_complex_numIfELi16ELi32ELi8ELb0ELb1ELc78ELc85EKPKS1_KPS1_EviT_T0_PT8_S7_lSA_S7_lS8_PT9_S7_li
                                        ; -- End function
	.set _ZL37rocblas_syrkx_herkx_restricted_kernelIl19rocblas_complex_numIfELi16ELi32ELi8ELb0ELb1ELc78ELc85EKPKS1_KPS1_EviT_T0_PT8_S7_lSA_S7_lS8_PT9_S7_li.num_vgpr, 43
	.set _ZL37rocblas_syrkx_herkx_restricted_kernelIl19rocblas_complex_numIfELi16ELi32ELi8ELb0ELb1ELc78ELc85EKPKS1_KPS1_EviT_T0_PT8_S7_lSA_S7_lS8_PT9_S7_li.num_agpr, 0
	.set _ZL37rocblas_syrkx_herkx_restricted_kernelIl19rocblas_complex_numIfELi16ELi32ELi8ELb0ELb1ELc78ELc85EKPKS1_KPS1_EviT_T0_PT8_S7_lSA_S7_lS8_PT9_S7_li.numbered_sgpr, 26
	.set _ZL37rocblas_syrkx_herkx_restricted_kernelIl19rocblas_complex_numIfELi16ELi32ELi8ELb0ELb1ELc78ELc85EKPKS1_KPS1_EviT_T0_PT8_S7_lSA_S7_lS8_PT9_S7_li.num_named_barrier, 0
	.set _ZL37rocblas_syrkx_herkx_restricted_kernelIl19rocblas_complex_numIfELi16ELi32ELi8ELb0ELb1ELc78ELc85EKPKS1_KPS1_EviT_T0_PT8_S7_lSA_S7_lS8_PT9_S7_li.private_seg_size, 0
	.set _ZL37rocblas_syrkx_herkx_restricted_kernelIl19rocblas_complex_numIfELi16ELi32ELi8ELb0ELb1ELc78ELc85EKPKS1_KPS1_EviT_T0_PT8_S7_lSA_S7_lS8_PT9_S7_li.uses_vcc, 1
	.set _ZL37rocblas_syrkx_herkx_restricted_kernelIl19rocblas_complex_numIfELi16ELi32ELi8ELb0ELb1ELc78ELc85EKPKS1_KPS1_EviT_T0_PT8_S7_lSA_S7_lS8_PT9_S7_li.uses_flat_scratch, 0
	.set _ZL37rocblas_syrkx_herkx_restricted_kernelIl19rocblas_complex_numIfELi16ELi32ELi8ELb0ELb1ELc78ELc85EKPKS1_KPS1_EviT_T0_PT8_S7_lSA_S7_lS8_PT9_S7_li.has_dyn_sized_stack, 0
	.set _ZL37rocblas_syrkx_herkx_restricted_kernelIl19rocblas_complex_numIfELi16ELi32ELi8ELb0ELb1ELc78ELc85EKPKS1_KPS1_EviT_T0_PT8_S7_lSA_S7_lS8_PT9_S7_li.has_recursion, 0
	.set _ZL37rocblas_syrkx_herkx_restricted_kernelIl19rocblas_complex_numIfELi16ELi32ELi8ELb0ELb1ELc78ELc85EKPKS1_KPS1_EviT_T0_PT8_S7_lSA_S7_lS8_PT9_S7_li.has_indirect_call, 0
	.section	.AMDGPU.csdata,"",@progbits
; Kernel info:
; codeLenInByte = 2280
; TotalNumSgprs: 30
; NumVgprs: 43
; ScratchSize: 0
; MemoryBound: 0
; FloatMode: 240
; IeeeMode: 1
; LDSByteSize: 4096 bytes/workgroup (compile time only)
; SGPRBlocks: 3
; VGPRBlocks: 10
; NumSGPRsForWavesPerEU: 30
; NumVGPRsForWavesPerEU: 43
; Occupancy: 5
; WaveLimiterHint : 1
; COMPUTE_PGM_RSRC2:SCRATCH_EN: 0
; COMPUTE_PGM_RSRC2:USER_SGPR: 6
; COMPUTE_PGM_RSRC2:TRAP_HANDLER: 0
; COMPUTE_PGM_RSRC2:TGID_X_EN: 1
; COMPUTE_PGM_RSRC2:TGID_Y_EN: 1
; COMPUTE_PGM_RSRC2:TGID_Z_EN: 1
; COMPUTE_PGM_RSRC2:TIDIG_COMP_CNT: 1
	.section	.text._ZL41rocblas_syrkx_herkx_small_restrict_kernelIl19rocblas_complex_numIfELi16ELb1ELb1ELc84ELc76EKPKS1_KPS1_EviT_T0_PT6_S7_lSA_S7_lS8_PT7_S7_li,"axG",@progbits,_ZL41rocblas_syrkx_herkx_small_restrict_kernelIl19rocblas_complex_numIfELi16ELb1ELb1ELc84ELc76EKPKS1_KPS1_EviT_T0_PT6_S7_lSA_S7_lS8_PT7_S7_li,comdat
	.globl	_ZL41rocblas_syrkx_herkx_small_restrict_kernelIl19rocblas_complex_numIfELi16ELb1ELb1ELc84ELc76EKPKS1_KPS1_EviT_T0_PT6_S7_lSA_S7_lS8_PT7_S7_li ; -- Begin function _ZL41rocblas_syrkx_herkx_small_restrict_kernelIl19rocblas_complex_numIfELi16ELb1ELb1ELc84ELc76EKPKS1_KPS1_EviT_T0_PT6_S7_lSA_S7_lS8_PT7_S7_li
	.p2align	8
	.type	_ZL41rocblas_syrkx_herkx_small_restrict_kernelIl19rocblas_complex_numIfELi16ELb1ELb1ELc84ELc76EKPKS1_KPS1_EviT_T0_PT6_S7_lSA_S7_lS8_PT7_S7_li,@function
_ZL41rocblas_syrkx_herkx_small_restrict_kernelIl19rocblas_complex_numIfELi16ELb1ELb1ELc84ELc76EKPKS1_KPS1_EviT_T0_PT6_S7_lSA_S7_lS8_PT7_S7_li: ; @_ZL41rocblas_syrkx_herkx_small_restrict_kernelIl19rocblas_complex_numIfELi16ELb1ELb1ELc84ELc76EKPKS1_KPS1_EviT_T0_PT6_S7_lSA_S7_lS8_PT7_S7_li
; %bb.0:
	s_load_dwordx4 s[20:23], s[4:5], 0x50
	s_load_dwordx8 s[12:19], s[4:5], 0x8
	s_mov_b32 s9, 0
	s_lshl_b64 s[0:1], s[8:9], 3
	v_lshl_add_u32 v2, s6, 4, v0
	s_waitcnt lgkmcnt(0)
	s_add_u32 s2, s20, s0
	s_addc_u32 s3, s21, s1
	s_load_dwordx2 s[8:9], s[2:3], 0x0
	v_cmp_lt_i64_e64 s[2:3], s[12:13], 1
	v_lshl_add_u32 v8, s7, 4, v1
	s_and_b64 vcc, exec, s[2:3]
	v_ashrrev_i32_e32 v3, 31, v2
	v_ashrrev_i32_e32 v9, 31, v8
	s_cbranch_vccnz .LBB1732_5
; %bb.1:
	s_load_dwordx4 s[4:7], s[4:5], 0x30
	v_mad_u64_u32 v[4:5], s[2:3], s18, v2, 0
	v_mul_lo_u32 v6, s19, v2
	v_mul_lo_u32 v7, s18, v3
	s_waitcnt lgkmcnt(0)
	s_add_u32 s2, s4, s0
	s_addc_u32 s3, s5, s1
	s_add_u32 s0, s16, s0
	s_addc_u32 s1, s17, s1
	s_load_dwordx2 s[0:1], s[0:1], 0x0
	v_lshlrev_b32_e32 v11, 3, v1
	v_add3_u32 v5, v5, v7, v6
	v_lshlrev_b64 v[4:5], 3, v[4:5]
	s_load_dwordx2 s[2:3], s[2:3], 0x0
	s_waitcnt lgkmcnt(0)
	v_mov_b32_e32 v6, s1
	v_add_co_u32_e32 v7, vcc, s0, v11
	v_addc_co_u32_e32 v6, vcc, 0, v6, vcc
	v_add_co_u32_e32 v4, vcc, v7, v4
	v_addc_co_u32_e32 v5, vcc, v6, v5, vcc
	v_mul_lo_u32 v13, s7, v8
	v_mul_lo_u32 v14, s6, v9
	v_mad_u64_u32 v[6:7], s[0:1], s6, v8, 0
	v_lshlrev_b32_e32 v11, 3, v0
	v_mov_b32_e32 v0, s3
	v_add3_u32 v7, v7, v14, v13
	v_add_co_u32_e32 v13, vcc, s2, v11
	v_lshlrev_b32_e32 v15, 7, v1
	v_addc_co_u32_e32 v14, vcc, 0, v0, vcc
	v_lshlrev_b64 v[0:1], 3, v[6:7]
	v_mov_b32_e32 v6, s12
	v_add_co_u32_e32 v0, vcc, v13, v0
	v_add_u32_e32 v13, 0x800, v15
	v_mov_b32_e32 v10, 0
	v_add_u32_e32 v12, v11, v15
	v_addc_co_u32_e32 v1, vcc, v14, v1, vcc
	v_add_u32_e32 v14, v13, v11
	s_mov_b64 s[4:5], 0
	v_mov_b32_e32 v7, s13
	v_mov_b32_e32 v15, 0
.LBB1732_2:                             ; =>This Inner Loop Header: Depth=1
	flat_load_dwordx2 v[16:17], v[4:5]
	s_add_u32 s4, s4, 16
	s_addc_u32 s5, s5, 0
	v_cmp_lt_i64_e32 vcc, s[4:5], v[6:7]
	s_and_b64 s[0:1], exec, vcc
	s_waitcnt vmcnt(0) lgkmcnt(0)
	ds_write_b64 v12, v[16:17]
	flat_load_dwordx2 v[16:17], v[0:1]
	v_add_co_u32_e32 v0, vcc, 0x80, v0
	s_mov_b64 s[2:3], vcc
	v_add_co_u32_e32 v4, vcc, 0x80, v4
	v_addc_co_u32_e32 v5, vcc, 0, v5, vcc
	v_addc_co_u32_e64 v1, s[2:3], 0, v1, s[2:3]
	s_mov_b64 vcc, s[0:1]
	s_waitcnt vmcnt(0) lgkmcnt(0)
	ds_write_b64 v14, v[16:17]
	s_waitcnt lgkmcnt(0)
	s_barrier
	ds_read2_b64 v[16:19], v11 offset1:16
	ds_read_b128 v[20:23], v13
	ds_read_b128 v[24:27], v13 offset:16
	ds_read2_b64 v[28:31], v11 offset0:32 offset1:48
	ds_read2_b64 v[32:35], v11 offset0:64 offset1:80
	ds_read_b128 v[36:39], v13 offset:32
	ds_read_b128 v[40:43], v13 offset:48
	ds_read2_b64 v[44:47], v11 offset0:96 offset1:112
	ds_read2_b64 v[48:51], v11 offset0:128 offset1:144
	ds_read_b128 v[52:55], v13 offset:64
	ds_read_b128 v[56:59], v13 offset:80
	s_waitcnt lgkmcnt(9)
	v_mul_f32_e32 v60, v21, v17
	v_mul_f32_e32 v61, v20, v17
	;; [unrolled: 1-line block ×4, first 2 shown]
	v_fma_f32 v60, v20, v16, -v60
	v_fmac_f32_e32 v61, v21, v16
	v_fma_f32 v63, v22, v18, -v17
	v_fmac_f32_e32 v62, v23, v18
	s_waitcnt lgkmcnt(7)
	v_mul_f32_e32 v20, v25, v29
	v_mul_f32_e32 v64, v24, v29
	v_add_f32_e32 v15, v15, v60
	v_add_f32_e32 v10, v10, v61
	v_mul_f32_e32 v21, v27, v31
	v_mul_f32_e32 v65, v26, v31
	v_fma_f32 v66, v24, v28, -v20
	v_fmac_f32_e32 v64, v25, v28
	v_add_f32_e32 v15, v15, v63
	v_add_f32_e32 v10, v10, v62
	v_fma_f32 v67, v26, v30, -v21
	v_fmac_f32_e32 v65, v27, v30
	s_waitcnt lgkmcnt(5)
	v_mul_f32_e32 v24, v37, v33
	v_mul_f32_e32 v68, v36, v33
	v_add_f32_e32 v15, v15, v66
	v_add_f32_e32 v10, v10, v64
	ds_read2_b64 v[16:19], v11 offset0:160 offset1:176
	v_mul_f32_e32 v25, v39, v35
	v_mul_f32_e32 v69, v38, v35
	v_fma_f32 v36, v36, v32, -v24
	v_fmac_f32_e32 v68, v37, v32
	v_add_f32_e32 v15, v15, v67
	v_add_f32_e32 v10, v10, v65
	v_fma_f32 v37, v38, v34, -v25
	v_fmac_f32_e32 v69, v39, v34
	s_waitcnt lgkmcnt(4)
	v_mul_f32_e32 v28, v41, v45
	v_mul_f32_e32 v38, v40, v45
	v_add_f32_e32 v15, v15, v36
	v_add_f32_e32 v10, v10, v68
	ds_read2_b64 v[20:23], v11 offset0:192 offset1:208
	ds_read_b128 v[24:27], v13 offset:96
	v_mul_f32_e32 v29, v43, v47
	v_mul_f32_e32 v39, v42, v47
	v_fma_f32 v40, v40, v44, -v28
	v_fmac_f32_e32 v38, v41, v44
	v_add_f32_e32 v15, v15, v37
	v_add_f32_e32 v10, v10, v69
	v_fma_f32 v41, v42, v46, -v29
	v_fmac_f32_e32 v39, v43, v46
	s_waitcnt lgkmcnt(4)
	v_mul_f32_e32 v32, v53, v49
	v_mul_f32_e32 v42, v52, v49
	;; [unrolled: 1-line block ×3, first 2 shown]
	v_add_f32_e32 v15, v15, v40
	v_add_f32_e32 v10, v10, v38
	ds_read_b128 v[28:31], v13 offset:112
	v_mul_f32_e32 v43, v54, v51
	v_fma_f32 v44, v52, v48, -v32
	v_fmac_f32_e32 v42, v53, v48
	v_fma_f32 v45, v54, v50, -v33
	ds_read2_b64 v[32:35], v11 offset0:224 offset1:240
	v_add_f32_e32 v15, v15, v41
	v_add_f32_e32 v10, v10, v39
	v_fmac_f32_e32 v43, v55, v50
	s_waitcnt lgkmcnt(4)
	v_mul_f32_e32 v46, v57, v17
	v_mul_f32_e32 v17, v56, v17
	v_add_f32_e32 v15, v15, v44
	v_add_f32_e32 v10, v10, v42
	v_mul_f32_e32 v47, v59, v19
	v_mul_f32_e32 v19, v58, v19
	v_fma_f32 v46, v56, v16, -v46
	v_fmac_f32_e32 v17, v57, v16
	v_add_f32_e32 v15, v15, v45
	v_add_f32_e32 v10, v10, v43
	v_fma_f32 v16, v58, v18, -v47
	v_fmac_f32_e32 v19, v59, v18
	s_waitcnt lgkmcnt(2)
	v_mul_f32_e32 v18, v25, v21
	v_mul_f32_e32 v21, v24, v21
	v_add_f32_e32 v15, v15, v46
	v_add_f32_e32 v10, v10, v17
	v_mul_f32_e32 v47, v27, v23
	v_mul_f32_e32 v23, v26, v23
	v_fma_f32 v18, v24, v20, -v18
	v_fmac_f32_e32 v21, v25, v20
	v_add_f32_e32 v15, v15, v16
	v_add_f32_e32 v10, v10, v19
	s_waitcnt lgkmcnt(0)
	v_mul_f32_e32 v48, v29, v33
	v_mul_f32_e32 v33, v28, v33
	v_fma_f32 v20, v26, v22, -v47
	v_fmac_f32_e32 v23, v27, v22
	v_add_f32_e32 v15, v15, v18
	v_add_f32_e32 v10, v10, v21
	v_mul_f32_e32 v49, v31, v35
	v_mul_f32_e32 v35, v30, v35
	v_fma_f32 v22, v28, v32, -v48
	v_fmac_f32_e32 v33, v29, v32
	v_add_f32_e32 v15, v15, v20
	v_add_f32_e32 v10, v10, v23
	v_fma_f32 v24, v30, v34, -v49
	v_fmac_f32_e32 v35, v31, v34
	v_add_f32_e32 v15, v15, v22
	v_add_f32_e32 v10, v10, v33
	;; [unrolled: 1-line block ×4, first 2 shown]
	s_barrier
	s_cbranch_vccnz .LBB1732_2
; %bb.3:
	v_cmp_le_i32_e32 vcc, v8, v2
	s_and_saveexec_b64 s[0:1], vcc
	s_cbranch_execnz .LBB1732_6
.LBB1732_4:
	s_endpgm
.LBB1732_5:
	v_mov_b32_e32 v10, 0
	v_mov_b32_e32 v15, 0
	v_cmp_le_i32_e32 vcc, v8, v2
	s_and_saveexec_b64 s[0:1], vcc
	s_cbranch_execz .LBB1732_4
.LBB1732_6:
	v_mul_lo_u32 v6, s23, v8
	v_mul_lo_u32 v7, s22, v9
	v_mad_u64_u32 v[0:1], s[0:1], s22, v8, 0
	v_mul_f32_e32 v4, s15, v10
	v_mul_f32_e32 v5, s14, v10
	v_add3_u32 v1, v1, v7, v6
	v_lshlrev_b64 v[0:1], 3, v[0:1]
	s_waitcnt lgkmcnt(0)
	v_mov_b32_e32 v6, s9
	v_add_co_u32_e32 v7, vcc, s8, v0
	v_addc_co_u32_e32 v6, vcc, v6, v1, vcc
	v_lshlrev_b64 v[0:1], 3, v[2:3]
	v_fma_f32 v4, v15, s14, -v4
	v_add_co_u32_e32 v0, vcc, v7, v0
	v_addc_co_u32_e32 v1, vcc, v6, v1, vcc
	v_fmac_f32_e32 v5, s15, v15
	v_cmp_eq_u32_e32 vcc, v2, v8
	flat_store_dwordx2 v[0:1], v[4:5]
	s_and_b64 exec, exec, vcc
	s_cbranch_execz .LBB1732_4
; %bb.7:
	v_mov_b32_e32 v2, 0
	flat_store_dword v[0:1], v2 offset:4
	s_endpgm
	.section	.rodata,"a",@progbits
	.p2align	6, 0x0
	.amdhsa_kernel _ZL41rocblas_syrkx_herkx_small_restrict_kernelIl19rocblas_complex_numIfELi16ELb1ELb1ELc84ELc76EKPKS1_KPS1_EviT_T0_PT6_S7_lSA_S7_lS8_PT7_S7_li
		.amdhsa_group_segment_fixed_size 4096
		.amdhsa_private_segment_fixed_size 0
		.amdhsa_kernarg_size 108
		.amdhsa_user_sgpr_count 6
		.amdhsa_user_sgpr_private_segment_buffer 1
		.amdhsa_user_sgpr_dispatch_ptr 0
		.amdhsa_user_sgpr_queue_ptr 0
		.amdhsa_user_sgpr_kernarg_segment_ptr 1
		.amdhsa_user_sgpr_dispatch_id 0
		.amdhsa_user_sgpr_flat_scratch_init 0
		.amdhsa_user_sgpr_private_segment_size 0
		.amdhsa_uses_dynamic_stack 0
		.amdhsa_system_sgpr_private_segment_wavefront_offset 0
		.amdhsa_system_sgpr_workgroup_id_x 1
		.amdhsa_system_sgpr_workgroup_id_y 1
		.amdhsa_system_sgpr_workgroup_id_z 1
		.amdhsa_system_sgpr_workgroup_info 0
		.amdhsa_system_vgpr_workitem_id 1
		.amdhsa_next_free_vgpr 70
		.amdhsa_next_free_sgpr 24
		.amdhsa_reserve_vcc 1
		.amdhsa_reserve_flat_scratch 0
		.amdhsa_float_round_mode_32 0
		.amdhsa_float_round_mode_16_64 0
		.amdhsa_float_denorm_mode_32 3
		.amdhsa_float_denorm_mode_16_64 3
		.amdhsa_dx10_clamp 1
		.amdhsa_ieee_mode 1
		.amdhsa_fp16_overflow 0
		.amdhsa_exception_fp_ieee_invalid_op 0
		.amdhsa_exception_fp_denorm_src 0
		.amdhsa_exception_fp_ieee_div_zero 0
		.amdhsa_exception_fp_ieee_overflow 0
		.amdhsa_exception_fp_ieee_underflow 0
		.amdhsa_exception_fp_ieee_inexact 0
		.amdhsa_exception_int_div_zero 0
	.end_amdhsa_kernel
	.section	.text._ZL41rocblas_syrkx_herkx_small_restrict_kernelIl19rocblas_complex_numIfELi16ELb1ELb1ELc84ELc76EKPKS1_KPS1_EviT_T0_PT6_S7_lSA_S7_lS8_PT7_S7_li,"axG",@progbits,_ZL41rocblas_syrkx_herkx_small_restrict_kernelIl19rocblas_complex_numIfELi16ELb1ELb1ELc84ELc76EKPKS1_KPS1_EviT_T0_PT6_S7_lSA_S7_lS8_PT7_S7_li,comdat
.Lfunc_end1732:
	.size	_ZL41rocblas_syrkx_herkx_small_restrict_kernelIl19rocblas_complex_numIfELi16ELb1ELb1ELc84ELc76EKPKS1_KPS1_EviT_T0_PT6_S7_lSA_S7_lS8_PT7_S7_li, .Lfunc_end1732-_ZL41rocblas_syrkx_herkx_small_restrict_kernelIl19rocblas_complex_numIfELi16ELb1ELb1ELc84ELc76EKPKS1_KPS1_EviT_T0_PT6_S7_lSA_S7_lS8_PT7_S7_li
                                        ; -- End function
	.set _ZL41rocblas_syrkx_herkx_small_restrict_kernelIl19rocblas_complex_numIfELi16ELb1ELb1ELc84ELc76EKPKS1_KPS1_EviT_T0_PT6_S7_lSA_S7_lS8_PT7_S7_li.num_vgpr, 70
	.set _ZL41rocblas_syrkx_herkx_small_restrict_kernelIl19rocblas_complex_numIfELi16ELb1ELb1ELc84ELc76EKPKS1_KPS1_EviT_T0_PT6_S7_lSA_S7_lS8_PT7_S7_li.num_agpr, 0
	.set _ZL41rocblas_syrkx_herkx_small_restrict_kernelIl19rocblas_complex_numIfELi16ELb1ELb1ELc84ELc76EKPKS1_KPS1_EviT_T0_PT6_S7_lSA_S7_lS8_PT7_S7_li.numbered_sgpr, 24
	.set _ZL41rocblas_syrkx_herkx_small_restrict_kernelIl19rocblas_complex_numIfELi16ELb1ELb1ELc84ELc76EKPKS1_KPS1_EviT_T0_PT6_S7_lSA_S7_lS8_PT7_S7_li.num_named_barrier, 0
	.set _ZL41rocblas_syrkx_herkx_small_restrict_kernelIl19rocblas_complex_numIfELi16ELb1ELb1ELc84ELc76EKPKS1_KPS1_EviT_T0_PT6_S7_lSA_S7_lS8_PT7_S7_li.private_seg_size, 0
	.set _ZL41rocblas_syrkx_herkx_small_restrict_kernelIl19rocblas_complex_numIfELi16ELb1ELb1ELc84ELc76EKPKS1_KPS1_EviT_T0_PT6_S7_lSA_S7_lS8_PT7_S7_li.uses_vcc, 1
	.set _ZL41rocblas_syrkx_herkx_small_restrict_kernelIl19rocblas_complex_numIfELi16ELb1ELb1ELc84ELc76EKPKS1_KPS1_EviT_T0_PT6_S7_lSA_S7_lS8_PT7_S7_li.uses_flat_scratch, 0
	.set _ZL41rocblas_syrkx_herkx_small_restrict_kernelIl19rocblas_complex_numIfELi16ELb1ELb1ELc84ELc76EKPKS1_KPS1_EviT_T0_PT6_S7_lSA_S7_lS8_PT7_S7_li.has_dyn_sized_stack, 0
	.set _ZL41rocblas_syrkx_herkx_small_restrict_kernelIl19rocblas_complex_numIfELi16ELb1ELb1ELc84ELc76EKPKS1_KPS1_EviT_T0_PT6_S7_lSA_S7_lS8_PT7_S7_li.has_recursion, 0
	.set _ZL41rocblas_syrkx_herkx_small_restrict_kernelIl19rocblas_complex_numIfELi16ELb1ELb1ELc84ELc76EKPKS1_KPS1_EviT_T0_PT6_S7_lSA_S7_lS8_PT7_S7_li.has_indirect_call, 0
	.section	.AMDGPU.csdata,"",@progbits
; Kernel info:
; codeLenInByte = 1180
; TotalNumSgprs: 28
; NumVgprs: 70
; ScratchSize: 0
; MemoryBound: 0
; FloatMode: 240
; IeeeMode: 1
; LDSByteSize: 4096 bytes/workgroup (compile time only)
; SGPRBlocks: 3
; VGPRBlocks: 17
; NumSGPRsForWavesPerEU: 28
; NumVGPRsForWavesPerEU: 70
; Occupancy: 3
; WaveLimiterHint : 1
; COMPUTE_PGM_RSRC2:SCRATCH_EN: 0
; COMPUTE_PGM_RSRC2:USER_SGPR: 6
; COMPUTE_PGM_RSRC2:TRAP_HANDLER: 0
; COMPUTE_PGM_RSRC2:TGID_X_EN: 1
; COMPUTE_PGM_RSRC2:TGID_Y_EN: 1
; COMPUTE_PGM_RSRC2:TGID_Z_EN: 1
; COMPUTE_PGM_RSRC2:TIDIG_COMP_CNT: 1
	.section	.text._ZL41rocblas_syrkx_herkx_small_restrict_kernelIl19rocblas_complex_numIfELi16ELb1ELb1ELc67ELc76EKPKS1_KPS1_EviT_T0_PT6_S7_lSA_S7_lS8_PT7_S7_li,"axG",@progbits,_ZL41rocblas_syrkx_herkx_small_restrict_kernelIl19rocblas_complex_numIfELi16ELb1ELb1ELc67ELc76EKPKS1_KPS1_EviT_T0_PT6_S7_lSA_S7_lS8_PT7_S7_li,comdat
	.globl	_ZL41rocblas_syrkx_herkx_small_restrict_kernelIl19rocblas_complex_numIfELi16ELb1ELb1ELc67ELc76EKPKS1_KPS1_EviT_T0_PT6_S7_lSA_S7_lS8_PT7_S7_li ; -- Begin function _ZL41rocblas_syrkx_herkx_small_restrict_kernelIl19rocblas_complex_numIfELi16ELb1ELb1ELc67ELc76EKPKS1_KPS1_EviT_T0_PT6_S7_lSA_S7_lS8_PT7_S7_li
	.p2align	8
	.type	_ZL41rocblas_syrkx_herkx_small_restrict_kernelIl19rocblas_complex_numIfELi16ELb1ELb1ELc67ELc76EKPKS1_KPS1_EviT_T0_PT6_S7_lSA_S7_lS8_PT7_S7_li,@function
_ZL41rocblas_syrkx_herkx_small_restrict_kernelIl19rocblas_complex_numIfELi16ELb1ELb1ELc67ELc76EKPKS1_KPS1_EviT_T0_PT6_S7_lSA_S7_lS8_PT7_S7_li: ; @_ZL41rocblas_syrkx_herkx_small_restrict_kernelIl19rocblas_complex_numIfELi16ELb1ELb1ELc67ELc76EKPKS1_KPS1_EviT_T0_PT6_S7_lSA_S7_lS8_PT7_S7_li
; %bb.0:
	s_load_dwordx4 s[20:23], s[4:5], 0x50
	s_load_dwordx8 s[12:19], s[4:5], 0x8
	s_mov_b32 s9, 0
	s_lshl_b64 s[0:1], s[8:9], 3
	v_lshl_add_u32 v2, s6, 4, v0
	s_waitcnt lgkmcnt(0)
	s_add_u32 s2, s20, s0
	s_addc_u32 s3, s21, s1
	s_load_dwordx2 s[8:9], s[2:3], 0x0
	v_cmp_lt_i64_e64 s[2:3], s[12:13], 1
	v_lshl_add_u32 v8, s7, 4, v1
	s_and_b64 vcc, exec, s[2:3]
	v_ashrrev_i32_e32 v3, 31, v2
	v_ashrrev_i32_e32 v9, 31, v8
	s_cbranch_vccnz .LBB1733_5
; %bb.1:
	s_load_dwordx4 s[4:7], s[4:5], 0x30
	v_mad_u64_u32 v[4:5], s[2:3], s18, v2, 0
	v_mul_lo_u32 v6, s19, v2
	v_mul_lo_u32 v7, s18, v3
	s_waitcnt lgkmcnt(0)
	s_add_u32 s2, s4, s0
	s_addc_u32 s3, s5, s1
	s_add_u32 s0, s16, s0
	s_addc_u32 s1, s17, s1
	s_load_dwordx2 s[0:1], s[0:1], 0x0
	v_lshlrev_b32_e32 v11, 3, v1
	v_add3_u32 v5, v5, v7, v6
	v_lshlrev_b64 v[4:5], 3, v[4:5]
	s_load_dwordx2 s[2:3], s[2:3], 0x0
	s_waitcnt lgkmcnt(0)
	v_mov_b32_e32 v6, s1
	v_add_co_u32_e32 v7, vcc, s0, v11
	v_addc_co_u32_e32 v6, vcc, 0, v6, vcc
	v_add_co_u32_e32 v4, vcc, v7, v4
	v_addc_co_u32_e32 v5, vcc, v6, v5, vcc
	v_mul_lo_u32 v13, s7, v8
	v_mul_lo_u32 v14, s6, v9
	v_mad_u64_u32 v[6:7], s[0:1], s6, v8, 0
	v_lshlrev_b32_e32 v11, 3, v0
	v_mov_b32_e32 v0, s3
	v_add3_u32 v7, v7, v14, v13
	v_add_co_u32_e32 v13, vcc, s2, v11
	v_lshlrev_b32_e32 v15, 7, v1
	v_addc_co_u32_e32 v14, vcc, 0, v0, vcc
	v_lshlrev_b64 v[0:1], 3, v[6:7]
	v_mov_b32_e32 v6, s12
	v_add_co_u32_e32 v0, vcc, v13, v0
	v_add_u32_e32 v13, 0x800, v15
	v_mov_b32_e32 v10, 0
	v_add_u32_e32 v12, v11, v15
	v_addc_co_u32_e32 v1, vcc, v14, v1, vcc
	v_add_u32_e32 v14, v13, v11
	s_mov_b64 s[4:5], 0
	v_mov_b32_e32 v7, s13
	v_mov_b32_e32 v15, 0
.LBB1733_2:                             ; =>This Inner Loop Header: Depth=1
	flat_load_dwordx2 v[16:17], v[4:5]
	s_add_u32 s4, s4, 16
	s_addc_u32 s5, s5, 0
	v_cmp_lt_i64_e32 vcc, s[4:5], v[6:7]
	s_and_b64 s[0:1], exec, vcc
	s_waitcnt vmcnt(0) lgkmcnt(0)
	v_xor_b32_e32 v17, 0x80000000, v17
	ds_write_b64 v12, v[16:17]
	flat_load_dwordx2 v[16:17], v[0:1]
	v_add_co_u32_e32 v0, vcc, 0x80, v0
	s_mov_b64 s[2:3], vcc
	v_add_co_u32_e32 v4, vcc, 0x80, v4
	v_addc_co_u32_e32 v5, vcc, 0, v5, vcc
	v_addc_co_u32_e64 v1, s[2:3], 0, v1, s[2:3]
	s_mov_b64 vcc, s[0:1]
	s_waitcnt vmcnt(0) lgkmcnt(0)
	ds_write_b64 v14, v[16:17]
	s_waitcnt lgkmcnt(0)
	s_barrier
	ds_read2_b64 v[16:19], v11 offset1:16
	ds_read_b128 v[20:23], v13
	ds_read_b128 v[24:27], v13 offset:16
	ds_read2_b64 v[28:31], v11 offset0:32 offset1:48
	ds_read2_b64 v[32:35], v11 offset0:64 offset1:80
	ds_read_b128 v[36:39], v13 offset:32
	ds_read_b128 v[40:43], v13 offset:48
	ds_read2_b64 v[44:47], v11 offset0:96 offset1:112
	ds_read2_b64 v[48:51], v11 offset0:128 offset1:144
	ds_read_b128 v[52:55], v13 offset:64
	ds_read_b128 v[56:59], v13 offset:80
	s_waitcnt lgkmcnt(9)
	v_mul_f32_e32 v60, v21, v17
	v_mul_f32_e32 v61, v20, v17
	;; [unrolled: 1-line block ×4, first 2 shown]
	v_fma_f32 v60, v20, v16, -v60
	v_fmac_f32_e32 v61, v21, v16
	v_fma_f32 v63, v22, v18, -v17
	v_fmac_f32_e32 v62, v23, v18
	s_waitcnt lgkmcnt(7)
	v_mul_f32_e32 v20, v25, v29
	v_mul_f32_e32 v64, v24, v29
	v_add_f32_e32 v15, v15, v60
	v_add_f32_e32 v10, v10, v61
	v_mul_f32_e32 v21, v27, v31
	v_mul_f32_e32 v65, v26, v31
	v_fma_f32 v66, v24, v28, -v20
	v_fmac_f32_e32 v64, v25, v28
	v_add_f32_e32 v15, v15, v63
	v_add_f32_e32 v10, v10, v62
	v_fma_f32 v67, v26, v30, -v21
	v_fmac_f32_e32 v65, v27, v30
	s_waitcnt lgkmcnt(5)
	v_mul_f32_e32 v24, v37, v33
	v_mul_f32_e32 v68, v36, v33
	v_add_f32_e32 v15, v15, v66
	v_add_f32_e32 v10, v10, v64
	ds_read2_b64 v[16:19], v11 offset0:160 offset1:176
	v_mul_f32_e32 v25, v39, v35
	v_mul_f32_e32 v69, v38, v35
	v_fma_f32 v36, v36, v32, -v24
	v_fmac_f32_e32 v68, v37, v32
	v_add_f32_e32 v15, v15, v67
	v_add_f32_e32 v10, v10, v65
	v_fma_f32 v37, v38, v34, -v25
	v_fmac_f32_e32 v69, v39, v34
	s_waitcnt lgkmcnt(4)
	v_mul_f32_e32 v28, v41, v45
	v_mul_f32_e32 v38, v40, v45
	v_add_f32_e32 v15, v15, v36
	v_add_f32_e32 v10, v10, v68
	ds_read2_b64 v[20:23], v11 offset0:192 offset1:208
	ds_read_b128 v[24:27], v13 offset:96
	v_mul_f32_e32 v29, v43, v47
	v_mul_f32_e32 v39, v42, v47
	v_fma_f32 v40, v40, v44, -v28
	v_fmac_f32_e32 v38, v41, v44
	v_add_f32_e32 v15, v15, v37
	v_add_f32_e32 v10, v10, v69
	v_fma_f32 v41, v42, v46, -v29
	v_fmac_f32_e32 v39, v43, v46
	s_waitcnt lgkmcnt(4)
	v_mul_f32_e32 v32, v53, v49
	v_mul_f32_e32 v42, v52, v49
	;; [unrolled: 1-line block ×3, first 2 shown]
	v_add_f32_e32 v15, v15, v40
	v_add_f32_e32 v10, v10, v38
	ds_read_b128 v[28:31], v13 offset:112
	v_mul_f32_e32 v43, v54, v51
	v_fma_f32 v44, v52, v48, -v32
	v_fmac_f32_e32 v42, v53, v48
	v_fma_f32 v45, v54, v50, -v33
	ds_read2_b64 v[32:35], v11 offset0:224 offset1:240
	v_add_f32_e32 v15, v15, v41
	v_add_f32_e32 v10, v10, v39
	v_fmac_f32_e32 v43, v55, v50
	s_waitcnt lgkmcnt(4)
	v_mul_f32_e32 v46, v57, v17
	v_mul_f32_e32 v17, v56, v17
	v_add_f32_e32 v15, v15, v44
	v_add_f32_e32 v10, v10, v42
	v_mul_f32_e32 v47, v59, v19
	v_mul_f32_e32 v19, v58, v19
	v_fma_f32 v46, v56, v16, -v46
	v_fmac_f32_e32 v17, v57, v16
	v_add_f32_e32 v15, v15, v45
	v_add_f32_e32 v10, v10, v43
	v_fma_f32 v16, v58, v18, -v47
	v_fmac_f32_e32 v19, v59, v18
	s_waitcnt lgkmcnt(2)
	v_mul_f32_e32 v18, v25, v21
	v_mul_f32_e32 v21, v24, v21
	v_add_f32_e32 v15, v15, v46
	v_add_f32_e32 v10, v10, v17
	v_mul_f32_e32 v47, v27, v23
	v_mul_f32_e32 v23, v26, v23
	v_fma_f32 v18, v24, v20, -v18
	v_fmac_f32_e32 v21, v25, v20
	v_add_f32_e32 v15, v15, v16
	v_add_f32_e32 v10, v10, v19
	s_waitcnt lgkmcnt(0)
	v_mul_f32_e32 v48, v29, v33
	v_mul_f32_e32 v33, v28, v33
	v_fma_f32 v20, v26, v22, -v47
	v_fmac_f32_e32 v23, v27, v22
	v_add_f32_e32 v15, v15, v18
	v_add_f32_e32 v10, v10, v21
	v_mul_f32_e32 v49, v31, v35
	v_mul_f32_e32 v35, v30, v35
	v_fma_f32 v22, v28, v32, -v48
	v_fmac_f32_e32 v33, v29, v32
	v_add_f32_e32 v15, v15, v20
	v_add_f32_e32 v10, v10, v23
	v_fma_f32 v24, v30, v34, -v49
	v_fmac_f32_e32 v35, v31, v34
	v_add_f32_e32 v15, v15, v22
	v_add_f32_e32 v10, v10, v33
	;; [unrolled: 1-line block ×4, first 2 shown]
	s_barrier
	s_cbranch_vccnz .LBB1733_2
; %bb.3:
	v_cmp_le_i32_e32 vcc, v8, v2
	s_and_saveexec_b64 s[0:1], vcc
	s_cbranch_execnz .LBB1733_6
.LBB1733_4:
	s_endpgm
.LBB1733_5:
	v_mov_b32_e32 v10, 0
	v_mov_b32_e32 v15, 0
	v_cmp_le_i32_e32 vcc, v8, v2
	s_and_saveexec_b64 s[0:1], vcc
	s_cbranch_execz .LBB1733_4
.LBB1733_6:
	v_mul_lo_u32 v6, s23, v8
	v_mul_lo_u32 v7, s22, v9
	v_mad_u64_u32 v[0:1], s[0:1], s22, v8, 0
	v_mul_f32_e32 v4, s15, v10
	v_mul_f32_e32 v5, s14, v10
	v_add3_u32 v1, v1, v7, v6
	v_lshlrev_b64 v[0:1], 3, v[0:1]
	s_waitcnt lgkmcnt(0)
	v_mov_b32_e32 v6, s9
	v_add_co_u32_e32 v7, vcc, s8, v0
	v_addc_co_u32_e32 v6, vcc, v6, v1, vcc
	v_lshlrev_b64 v[0:1], 3, v[2:3]
	v_fma_f32 v4, v15, s14, -v4
	v_add_co_u32_e32 v0, vcc, v7, v0
	v_addc_co_u32_e32 v1, vcc, v6, v1, vcc
	v_fmac_f32_e32 v5, s15, v15
	v_cmp_eq_u32_e32 vcc, v2, v8
	flat_store_dwordx2 v[0:1], v[4:5]
	s_and_b64 exec, exec, vcc
	s_cbranch_execz .LBB1733_4
; %bb.7:
	v_mov_b32_e32 v2, 0
	flat_store_dword v[0:1], v2 offset:4
	s_endpgm
	.section	.rodata,"a",@progbits
	.p2align	6, 0x0
	.amdhsa_kernel _ZL41rocblas_syrkx_herkx_small_restrict_kernelIl19rocblas_complex_numIfELi16ELb1ELb1ELc67ELc76EKPKS1_KPS1_EviT_T0_PT6_S7_lSA_S7_lS8_PT7_S7_li
		.amdhsa_group_segment_fixed_size 4096
		.amdhsa_private_segment_fixed_size 0
		.amdhsa_kernarg_size 108
		.amdhsa_user_sgpr_count 6
		.amdhsa_user_sgpr_private_segment_buffer 1
		.amdhsa_user_sgpr_dispatch_ptr 0
		.amdhsa_user_sgpr_queue_ptr 0
		.amdhsa_user_sgpr_kernarg_segment_ptr 1
		.amdhsa_user_sgpr_dispatch_id 0
		.amdhsa_user_sgpr_flat_scratch_init 0
		.amdhsa_user_sgpr_private_segment_size 0
		.amdhsa_uses_dynamic_stack 0
		.amdhsa_system_sgpr_private_segment_wavefront_offset 0
		.amdhsa_system_sgpr_workgroup_id_x 1
		.amdhsa_system_sgpr_workgroup_id_y 1
		.amdhsa_system_sgpr_workgroup_id_z 1
		.amdhsa_system_sgpr_workgroup_info 0
		.amdhsa_system_vgpr_workitem_id 1
		.amdhsa_next_free_vgpr 70
		.amdhsa_next_free_sgpr 24
		.amdhsa_reserve_vcc 1
		.amdhsa_reserve_flat_scratch 0
		.amdhsa_float_round_mode_32 0
		.amdhsa_float_round_mode_16_64 0
		.amdhsa_float_denorm_mode_32 3
		.amdhsa_float_denorm_mode_16_64 3
		.amdhsa_dx10_clamp 1
		.amdhsa_ieee_mode 1
		.amdhsa_fp16_overflow 0
		.amdhsa_exception_fp_ieee_invalid_op 0
		.amdhsa_exception_fp_denorm_src 0
		.amdhsa_exception_fp_ieee_div_zero 0
		.amdhsa_exception_fp_ieee_overflow 0
		.amdhsa_exception_fp_ieee_underflow 0
		.amdhsa_exception_fp_ieee_inexact 0
		.amdhsa_exception_int_div_zero 0
	.end_amdhsa_kernel
	.section	.text._ZL41rocblas_syrkx_herkx_small_restrict_kernelIl19rocblas_complex_numIfELi16ELb1ELb1ELc67ELc76EKPKS1_KPS1_EviT_T0_PT6_S7_lSA_S7_lS8_PT7_S7_li,"axG",@progbits,_ZL41rocblas_syrkx_herkx_small_restrict_kernelIl19rocblas_complex_numIfELi16ELb1ELb1ELc67ELc76EKPKS1_KPS1_EviT_T0_PT6_S7_lSA_S7_lS8_PT7_S7_li,comdat
.Lfunc_end1733:
	.size	_ZL41rocblas_syrkx_herkx_small_restrict_kernelIl19rocblas_complex_numIfELi16ELb1ELb1ELc67ELc76EKPKS1_KPS1_EviT_T0_PT6_S7_lSA_S7_lS8_PT7_S7_li, .Lfunc_end1733-_ZL41rocblas_syrkx_herkx_small_restrict_kernelIl19rocblas_complex_numIfELi16ELb1ELb1ELc67ELc76EKPKS1_KPS1_EviT_T0_PT6_S7_lSA_S7_lS8_PT7_S7_li
                                        ; -- End function
	.set _ZL41rocblas_syrkx_herkx_small_restrict_kernelIl19rocblas_complex_numIfELi16ELb1ELb1ELc67ELc76EKPKS1_KPS1_EviT_T0_PT6_S7_lSA_S7_lS8_PT7_S7_li.num_vgpr, 70
	.set _ZL41rocblas_syrkx_herkx_small_restrict_kernelIl19rocblas_complex_numIfELi16ELb1ELb1ELc67ELc76EKPKS1_KPS1_EviT_T0_PT6_S7_lSA_S7_lS8_PT7_S7_li.num_agpr, 0
	.set _ZL41rocblas_syrkx_herkx_small_restrict_kernelIl19rocblas_complex_numIfELi16ELb1ELb1ELc67ELc76EKPKS1_KPS1_EviT_T0_PT6_S7_lSA_S7_lS8_PT7_S7_li.numbered_sgpr, 24
	.set _ZL41rocblas_syrkx_herkx_small_restrict_kernelIl19rocblas_complex_numIfELi16ELb1ELb1ELc67ELc76EKPKS1_KPS1_EviT_T0_PT6_S7_lSA_S7_lS8_PT7_S7_li.num_named_barrier, 0
	.set _ZL41rocblas_syrkx_herkx_small_restrict_kernelIl19rocblas_complex_numIfELi16ELb1ELb1ELc67ELc76EKPKS1_KPS1_EviT_T0_PT6_S7_lSA_S7_lS8_PT7_S7_li.private_seg_size, 0
	.set _ZL41rocblas_syrkx_herkx_small_restrict_kernelIl19rocblas_complex_numIfELi16ELb1ELb1ELc67ELc76EKPKS1_KPS1_EviT_T0_PT6_S7_lSA_S7_lS8_PT7_S7_li.uses_vcc, 1
	.set _ZL41rocblas_syrkx_herkx_small_restrict_kernelIl19rocblas_complex_numIfELi16ELb1ELb1ELc67ELc76EKPKS1_KPS1_EviT_T0_PT6_S7_lSA_S7_lS8_PT7_S7_li.uses_flat_scratch, 0
	.set _ZL41rocblas_syrkx_herkx_small_restrict_kernelIl19rocblas_complex_numIfELi16ELb1ELb1ELc67ELc76EKPKS1_KPS1_EviT_T0_PT6_S7_lSA_S7_lS8_PT7_S7_li.has_dyn_sized_stack, 0
	.set _ZL41rocblas_syrkx_herkx_small_restrict_kernelIl19rocblas_complex_numIfELi16ELb1ELb1ELc67ELc76EKPKS1_KPS1_EviT_T0_PT6_S7_lSA_S7_lS8_PT7_S7_li.has_recursion, 0
	.set _ZL41rocblas_syrkx_herkx_small_restrict_kernelIl19rocblas_complex_numIfELi16ELb1ELb1ELc67ELc76EKPKS1_KPS1_EviT_T0_PT6_S7_lSA_S7_lS8_PT7_S7_li.has_indirect_call, 0
	.section	.AMDGPU.csdata,"",@progbits
; Kernel info:
; codeLenInByte = 1188
; TotalNumSgprs: 28
; NumVgprs: 70
; ScratchSize: 0
; MemoryBound: 0
; FloatMode: 240
; IeeeMode: 1
; LDSByteSize: 4096 bytes/workgroup (compile time only)
; SGPRBlocks: 3
; VGPRBlocks: 17
; NumSGPRsForWavesPerEU: 28
; NumVGPRsForWavesPerEU: 70
; Occupancy: 3
; WaveLimiterHint : 1
; COMPUTE_PGM_RSRC2:SCRATCH_EN: 0
; COMPUTE_PGM_RSRC2:USER_SGPR: 6
; COMPUTE_PGM_RSRC2:TRAP_HANDLER: 0
; COMPUTE_PGM_RSRC2:TGID_X_EN: 1
; COMPUTE_PGM_RSRC2:TGID_Y_EN: 1
; COMPUTE_PGM_RSRC2:TGID_Z_EN: 1
; COMPUTE_PGM_RSRC2:TIDIG_COMP_CNT: 1
	.section	.text._ZL41rocblas_syrkx_herkx_small_restrict_kernelIl19rocblas_complex_numIfELi16ELb1ELb1ELc78ELc76EKPKS1_KPS1_EviT_T0_PT6_S7_lSA_S7_lS8_PT7_S7_li,"axG",@progbits,_ZL41rocblas_syrkx_herkx_small_restrict_kernelIl19rocblas_complex_numIfELi16ELb1ELb1ELc78ELc76EKPKS1_KPS1_EviT_T0_PT6_S7_lSA_S7_lS8_PT7_S7_li,comdat
	.globl	_ZL41rocblas_syrkx_herkx_small_restrict_kernelIl19rocblas_complex_numIfELi16ELb1ELb1ELc78ELc76EKPKS1_KPS1_EviT_T0_PT6_S7_lSA_S7_lS8_PT7_S7_li ; -- Begin function _ZL41rocblas_syrkx_herkx_small_restrict_kernelIl19rocblas_complex_numIfELi16ELb1ELb1ELc78ELc76EKPKS1_KPS1_EviT_T0_PT6_S7_lSA_S7_lS8_PT7_S7_li
	.p2align	8
	.type	_ZL41rocblas_syrkx_herkx_small_restrict_kernelIl19rocblas_complex_numIfELi16ELb1ELb1ELc78ELc76EKPKS1_KPS1_EviT_T0_PT6_S7_lSA_S7_lS8_PT7_S7_li,@function
_ZL41rocblas_syrkx_herkx_small_restrict_kernelIl19rocblas_complex_numIfELi16ELb1ELb1ELc78ELc76EKPKS1_KPS1_EviT_T0_PT6_S7_lSA_S7_lS8_PT7_S7_li: ; @_ZL41rocblas_syrkx_herkx_small_restrict_kernelIl19rocblas_complex_numIfELi16ELb1ELb1ELc78ELc76EKPKS1_KPS1_EviT_T0_PT6_S7_lSA_S7_lS8_PT7_S7_li
; %bb.0:
	s_load_dwordx4 s[0:3], s[4:5], 0x50
	s_load_dwordx8 s[12:19], s[4:5], 0x8
	s_mov_b32 s9, 0
	s_lshl_b64 s[10:11], s[8:9], 3
	v_lshl_add_u32 v2, s6, 4, v0
	s_waitcnt lgkmcnt(0)
	s_add_u32 s0, s0, s10
	s_addc_u32 s1, s1, s11
	s_load_dwordx2 s[8:9], s[0:1], 0x0
	v_cmp_lt_i64_e64 s[0:1], s[12:13], 1
	v_lshl_add_u32 v4, s7, 4, v1
	s_and_b64 vcc, exec, s[0:1]
	v_ashrrev_i32_e32 v3, 31, v2
	v_ashrrev_i32_e32 v5, 31, v4
	s_cbranch_vccnz .LBB1734_5
; %bb.1:
	s_load_dwordx4 s[4:7], s[4:5], 0x30
	v_lshlrev_b32_e32 v9, 7, v1
	v_lshlrev_b32_e32 v10, 3, v0
	v_add_u32_e32 v11, v10, v9
	v_add_u32_e32 v12, 0x800, v9
	s_waitcnt lgkmcnt(0)
	s_add_u32 s0, s4, s10
	v_mad_u64_u32 v[6:7], s[20:21], s6, v0, 0
	s_addc_u32 s1, s5, s11
	s_add_u32 s4, s16, s10
	s_addc_u32 s5, s17, s11
	s_load_dwordx2 s[10:11], s[4:5], 0x0
	v_mad_u64_u32 v[7:8], s[4:5], s7, v0, v[7:8]
	v_mad_u64_u32 v[14:15], s[4:5], s18, v1, 0
	v_lshlrev_b64 v[6:7], 3, v[6:7]
	v_lshlrev_b64 v[8:9], 3, v[4:5]
	s_load_dwordx2 s[0:1], s[0:1], 0x0
	v_add_co_u32_e32 v8, vcc, v6, v8
	v_mov_b32_e32 v0, v15
	v_addc_co_u32_e32 v9, vcc, v7, v9, vcc
	v_mad_u64_u32 v[6:7], s[4:5], s19, v1, v[0:1]
	s_waitcnt lgkmcnt(0)
	v_mov_b32_e32 v16, s1
	v_add_co_u32_e32 v0, vcc, s0, v8
	v_mov_b32_e32 v15, v6
	v_addc_co_u32_e32 v1, vcc, v16, v9, vcc
	v_lshlrev_b64 v[6:7], 3, v[14:15]
	v_lshlrev_b64 v[8:9], 3, v[2:3]
	s_lshl_b64 s[4:5], s[6:7], 7
	v_add_co_u32_e32 v6, vcc, v6, v8
	v_addc_co_u32_e32 v7, vcc, v7, v9, vcc
	v_mov_b32_e32 v8, s11
	v_add_co_u32_e32 v6, vcc, s10, v6
	v_addc_co_u32_e32 v7, vcc, v8, v7, vcc
	s_lshl_b64 s[6:7], s[18:19], 7
	v_mov_b32_e32 v8, s12
	v_add_u32_e32 v13, v12, v10
	v_mov_b32_e32 v14, 0
	s_mov_b64 s[10:11], 0
	v_mov_b32_e32 v15, s5
	v_mov_b32_e32 v16, s7
	;; [unrolled: 1-line block ×4, first 2 shown]
.LBB1734_2:                             ; =>This Inner Loop Header: Depth=1
	flat_load_dwordx2 v[18:19], v[6:7]
	s_add_u32 s10, s10, 16
	v_add_co_u32_e32 v6, vcc, s6, v6
	v_addc_co_u32_e32 v7, vcc, v7, v16, vcc
	s_addc_u32 s11, s11, 0
	v_cmp_lt_i64_e32 vcc, s[10:11], v[8:9]
	s_and_b64 vcc, exec, vcc
	s_waitcnt vmcnt(0) lgkmcnt(0)
	ds_write_b64 v11, v[18:19]
	flat_load_dwordx2 v[18:19], v[0:1]
	v_add_co_u32_e64 v0, s[0:1], s4, v0
	v_addc_co_u32_e64 v1, s[0:1], v1, v15, s[0:1]
	s_waitcnt vmcnt(0) lgkmcnt(0)
	v_xor_b32_e32 v19, 0x80000000, v19
	ds_write_b64 v13, v[18:19]
	s_waitcnt lgkmcnt(0)
	s_barrier
	ds_read2_b64 v[18:21], v10 offset1:16
	ds_read_b128 v[22:25], v12
	ds_read_b128 v[26:29], v12 offset:16
	ds_read2_b64 v[30:33], v10 offset0:32 offset1:48
	ds_read2_b64 v[34:37], v10 offset0:64 offset1:80
	ds_read_b128 v[38:41], v12 offset:32
	ds_read_b128 v[42:45], v12 offset:48
	ds_read2_b64 v[46:49], v10 offset0:96 offset1:112
	ds_read2_b64 v[50:53], v10 offset0:128 offset1:144
	ds_read_b128 v[54:57], v12 offset:64
	s_waitcnt lgkmcnt(8)
	v_mul_f32_e32 v58, v23, v19
	v_mul_f32_e32 v59, v22, v19
	;; [unrolled: 1-line block ×4, first 2 shown]
	v_fma_f32 v58, v22, v18, -v58
	v_fmac_f32_e32 v59, v23, v18
	v_fma_f32 v61, v24, v20, -v19
	v_fmac_f32_e32 v60, v25, v20
	s_waitcnt lgkmcnt(6)
	v_mul_f32_e32 v22, v27, v31
	v_mul_f32_e32 v62, v26, v31
	;; [unrolled: 1-line block ×3, first 2 shown]
	v_add_f32_e32 v17, v17, v58
	v_add_f32_e32 v14, v14, v59
	ds_read_b128 v[18:21], v12 offset:80
	v_mul_f32_e32 v63, v28, v33
	v_fma_f32 v64, v26, v30, -v22
	v_fmac_f32_e32 v62, v27, v30
	v_fma_f32 v65, v28, v32, -v23
	ds_read2_b64 v[22:25], v10 offset0:160 offset1:176
	v_add_f32_e32 v17, v17, v61
	v_add_f32_e32 v14, v14, v60
	v_fmac_f32_e32 v63, v29, v32
	s_waitcnt lgkmcnt(6)
	v_mul_f32_e32 v26, v39, v35
	v_mul_f32_e32 v66, v38, v35
	v_add_f32_e32 v17, v17, v64
	v_add_f32_e32 v14, v14, v62
	v_mul_f32_e32 v27, v41, v37
	v_mul_f32_e32 v67, v40, v37
	v_fma_f32 v38, v38, v34, -v26
	v_fmac_f32_e32 v66, v39, v34
	v_add_f32_e32 v17, v17, v65
	v_add_f32_e32 v14, v14, v63
	v_fma_f32 v39, v40, v36, -v27
	v_fmac_f32_e32 v67, v41, v36
	s_waitcnt lgkmcnt(4)
	v_mul_f32_e32 v30, v43, v47
	v_mul_f32_e32 v40, v42, v47
	;; [unrolled: 1-line block ×3, first 2 shown]
	v_add_f32_e32 v17, v17, v38
	v_add_f32_e32 v14, v14, v66
	ds_read2_b64 v[26:29], v10 offset0:192 offset1:208
	v_mul_f32_e32 v41, v44, v49
	v_fma_f32 v42, v42, v46, -v30
	v_fmac_f32_e32 v40, v43, v46
	v_fma_f32 v43, v44, v48, -v31
	ds_read_b128 v[30:33], v12 offset:96
	v_add_f32_e32 v17, v17, v39
	v_add_f32_e32 v14, v14, v67
	v_fmac_f32_e32 v41, v45, v48
	s_waitcnt lgkmcnt(4)
	v_mul_f32_e32 v34, v55, v51
	v_mul_f32_e32 v44, v54, v51
	;; [unrolled: 1-line block ×3, first 2 shown]
	s_waitcnt lgkmcnt(2)
	v_mul_f32_e32 v48, v19, v23
	v_mul_f32_e32 v23, v18, v23
	;; [unrolled: 1-line block ×4, first 2 shown]
	v_add_f32_e32 v17, v17, v42
	v_add_f32_e32 v14, v14, v40
	v_mul_f32_e32 v45, v56, v53
	v_fma_f32 v46, v54, v50, -v34
	v_fmac_f32_e32 v44, v55, v50
	v_fma_f32 v47, v56, v52, -v35
	ds_read_b128 v[34:37], v12 offset:112
	v_fma_f32 v48, v18, v22, -v48
	v_fmac_f32_e32 v23, v19, v22
	v_fma_f32 v22, v20, v24, -v49
	v_fmac_f32_e32 v25, v21, v24
	ds_read2_b64 v[18:21], v10 offset0:224 offset1:240
	v_add_f32_e32 v17, v17, v43
	v_add_f32_e32 v14, v14, v41
	v_fmac_f32_e32 v45, v57, v52
	v_add_f32_e32 v17, v17, v46
	v_add_f32_e32 v14, v14, v44
	;; [unrolled: 1-line block ×4, first 2 shown]
	s_waitcnt lgkmcnt(2)
	v_mul_f32_e32 v24, v31, v27
	v_mul_f32_e32 v27, v30, v27
	v_add_f32_e32 v17, v17, v48
	v_add_f32_e32 v14, v14, v23
	v_mul_f32_e32 v49, v33, v29
	v_mul_f32_e32 v29, v32, v29
	v_fma_f32 v24, v30, v26, -v24
	v_fmac_f32_e32 v27, v31, v26
	v_add_f32_e32 v17, v17, v22
	v_add_f32_e32 v14, v14, v25
	s_waitcnt lgkmcnt(0)
	v_mul_f32_e32 v50, v35, v19
	v_mul_f32_e32 v19, v34, v19
	v_fma_f32 v26, v32, v28, -v49
	v_fmac_f32_e32 v29, v33, v28
	v_add_f32_e32 v17, v17, v24
	v_add_f32_e32 v14, v14, v27
	v_mul_f32_e32 v28, v37, v21
	v_mul_f32_e32 v21, v36, v21
	v_fma_f32 v30, v34, v18, -v50
	v_fmac_f32_e32 v19, v35, v18
	v_add_f32_e32 v17, v17, v26
	v_add_f32_e32 v14, v14, v29
	v_fma_f32 v18, v36, v20, -v28
	v_fmac_f32_e32 v21, v37, v20
	v_add_f32_e32 v17, v17, v30
	v_add_f32_e32 v14, v14, v19
	;; [unrolled: 1-line block ×4, first 2 shown]
	s_barrier
	s_cbranch_vccnz .LBB1734_2
; %bb.3:
	v_cmp_le_i32_e32 vcc, v4, v2
	s_and_saveexec_b64 s[0:1], vcc
	s_cbranch_execnz .LBB1734_6
.LBB1734_4:
	s_endpgm
.LBB1734_5:
	v_mov_b32_e32 v14, 0
	v_mov_b32_e32 v17, 0
	v_cmp_le_i32_e32 vcc, v4, v2
	s_and_saveexec_b64 s[0:1], vcc
	s_cbranch_execz .LBB1734_4
.LBB1734_6:
	v_mul_lo_u32 v7, s3, v4
	v_mul_lo_u32 v8, s2, v5
	v_mad_u64_u32 v[0:1], s[0:1], s2, v4, 0
	v_mul_f32_e32 v6, s15, v14
	v_fma_f32 v5, v17, s14, -v6
	v_add3_u32 v1, v1, v8, v7
	v_lshlrev_b64 v[0:1], 3, v[0:1]
	s_waitcnt lgkmcnt(0)
	v_mov_b32_e32 v7, s9
	v_add_co_u32_e32 v8, vcc, s8, v0
	v_addc_co_u32_e32 v7, vcc, v7, v1, vcc
	v_lshlrev_b64 v[0:1], 3, v[2:3]
	v_mul_f32_e32 v6, s14, v14
	v_add_co_u32_e32 v0, vcc, v8, v0
	v_addc_co_u32_e32 v1, vcc, v7, v1, vcc
	v_fmac_f32_e32 v6, s15, v17
	v_cmp_eq_u32_e32 vcc, v2, v4
	flat_store_dwordx2 v[0:1], v[5:6]
	s_and_b64 exec, exec, vcc
	s_cbranch_execz .LBB1734_4
; %bb.7:
	v_mov_b32_e32 v2, 0
	flat_store_dword v[0:1], v2 offset:4
	s_endpgm
	.section	.rodata,"a",@progbits
	.p2align	6, 0x0
	.amdhsa_kernel _ZL41rocblas_syrkx_herkx_small_restrict_kernelIl19rocblas_complex_numIfELi16ELb1ELb1ELc78ELc76EKPKS1_KPS1_EviT_T0_PT6_S7_lSA_S7_lS8_PT7_S7_li
		.amdhsa_group_segment_fixed_size 4096
		.amdhsa_private_segment_fixed_size 0
		.amdhsa_kernarg_size 108
		.amdhsa_user_sgpr_count 6
		.amdhsa_user_sgpr_private_segment_buffer 1
		.amdhsa_user_sgpr_dispatch_ptr 0
		.amdhsa_user_sgpr_queue_ptr 0
		.amdhsa_user_sgpr_kernarg_segment_ptr 1
		.amdhsa_user_sgpr_dispatch_id 0
		.amdhsa_user_sgpr_flat_scratch_init 0
		.amdhsa_user_sgpr_private_segment_size 0
		.amdhsa_uses_dynamic_stack 0
		.amdhsa_system_sgpr_private_segment_wavefront_offset 0
		.amdhsa_system_sgpr_workgroup_id_x 1
		.amdhsa_system_sgpr_workgroup_id_y 1
		.amdhsa_system_sgpr_workgroup_id_z 1
		.amdhsa_system_sgpr_workgroup_info 0
		.amdhsa_system_vgpr_workitem_id 1
		.amdhsa_next_free_vgpr 68
		.amdhsa_next_free_sgpr 22
		.amdhsa_reserve_vcc 1
		.amdhsa_reserve_flat_scratch 0
		.amdhsa_float_round_mode_32 0
		.amdhsa_float_round_mode_16_64 0
		.amdhsa_float_denorm_mode_32 3
		.amdhsa_float_denorm_mode_16_64 3
		.amdhsa_dx10_clamp 1
		.amdhsa_ieee_mode 1
		.amdhsa_fp16_overflow 0
		.amdhsa_exception_fp_ieee_invalid_op 0
		.amdhsa_exception_fp_denorm_src 0
		.amdhsa_exception_fp_ieee_div_zero 0
		.amdhsa_exception_fp_ieee_overflow 0
		.amdhsa_exception_fp_ieee_underflow 0
		.amdhsa_exception_fp_ieee_inexact 0
		.amdhsa_exception_int_div_zero 0
	.end_amdhsa_kernel
	.section	.text._ZL41rocblas_syrkx_herkx_small_restrict_kernelIl19rocblas_complex_numIfELi16ELb1ELb1ELc78ELc76EKPKS1_KPS1_EviT_T0_PT6_S7_lSA_S7_lS8_PT7_S7_li,"axG",@progbits,_ZL41rocblas_syrkx_herkx_small_restrict_kernelIl19rocblas_complex_numIfELi16ELb1ELb1ELc78ELc76EKPKS1_KPS1_EviT_T0_PT6_S7_lSA_S7_lS8_PT7_S7_li,comdat
.Lfunc_end1734:
	.size	_ZL41rocblas_syrkx_herkx_small_restrict_kernelIl19rocblas_complex_numIfELi16ELb1ELb1ELc78ELc76EKPKS1_KPS1_EviT_T0_PT6_S7_lSA_S7_lS8_PT7_S7_li, .Lfunc_end1734-_ZL41rocblas_syrkx_herkx_small_restrict_kernelIl19rocblas_complex_numIfELi16ELb1ELb1ELc78ELc76EKPKS1_KPS1_EviT_T0_PT6_S7_lSA_S7_lS8_PT7_S7_li
                                        ; -- End function
	.set _ZL41rocblas_syrkx_herkx_small_restrict_kernelIl19rocblas_complex_numIfELi16ELb1ELb1ELc78ELc76EKPKS1_KPS1_EviT_T0_PT6_S7_lSA_S7_lS8_PT7_S7_li.num_vgpr, 68
	.set _ZL41rocblas_syrkx_herkx_small_restrict_kernelIl19rocblas_complex_numIfELi16ELb1ELb1ELc78ELc76EKPKS1_KPS1_EviT_T0_PT6_S7_lSA_S7_lS8_PT7_S7_li.num_agpr, 0
	.set _ZL41rocblas_syrkx_herkx_small_restrict_kernelIl19rocblas_complex_numIfELi16ELb1ELb1ELc78ELc76EKPKS1_KPS1_EviT_T0_PT6_S7_lSA_S7_lS8_PT7_S7_li.numbered_sgpr, 22
	.set _ZL41rocblas_syrkx_herkx_small_restrict_kernelIl19rocblas_complex_numIfELi16ELb1ELb1ELc78ELc76EKPKS1_KPS1_EviT_T0_PT6_S7_lSA_S7_lS8_PT7_S7_li.num_named_barrier, 0
	.set _ZL41rocblas_syrkx_herkx_small_restrict_kernelIl19rocblas_complex_numIfELi16ELb1ELb1ELc78ELc76EKPKS1_KPS1_EviT_T0_PT6_S7_lSA_S7_lS8_PT7_S7_li.private_seg_size, 0
	.set _ZL41rocblas_syrkx_herkx_small_restrict_kernelIl19rocblas_complex_numIfELi16ELb1ELb1ELc78ELc76EKPKS1_KPS1_EviT_T0_PT6_S7_lSA_S7_lS8_PT7_S7_li.uses_vcc, 1
	.set _ZL41rocblas_syrkx_herkx_small_restrict_kernelIl19rocblas_complex_numIfELi16ELb1ELb1ELc78ELc76EKPKS1_KPS1_EviT_T0_PT6_S7_lSA_S7_lS8_PT7_S7_li.uses_flat_scratch, 0
	.set _ZL41rocblas_syrkx_herkx_small_restrict_kernelIl19rocblas_complex_numIfELi16ELb1ELb1ELc78ELc76EKPKS1_KPS1_EviT_T0_PT6_S7_lSA_S7_lS8_PT7_S7_li.has_dyn_sized_stack, 0
	.set _ZL41rocblas_syrkx_herkx_small_restrict_kernelIl19rocblas_complex_numIfELi16ELb1ELb1ELc78ELc76EKPKS1_KPS1_EviT_T0_PT6_S7_lSA_S7_lS8_PT7_S7_li.has_recursion, 0
	.set _ZL41rocblas_syrkx_herkx_small_restrict_kernelIl19rocblas_complex_numIfELi16ELb1ELb1ELc78ELc76EKPKS1_KPS1_EviT_T0_PT6_S7_lSA_S7_lS8_PT7_S7_li.has_indirect_call, 0
	.section	.AMDGPU.csdata,"",@progbits
; Kernel info:
; codeLenInByte = 1180
; TotalNumSgprs: 26
; NumVgprs: 68
; ScratchSize: 0
; MemoryBound: 0
; FloatMode: 240
; IeeeMode: 1
; LDSByteSize: 4096 bytes/workgroup (compile time only)
; SGPRBlocks: 3
; VGPRBlocks: 16
; NumSGPRsForWavesPerEU: 26
; NumVGPRsForWavesPerEU: 68
; Occupancy: 3
; WaveLimiterHint : 1
; COMPUTE_PGM_RSRC2:SCRATCH_EN: 0
; COMPUTE_PGM_RSRC2:USER_SGPR: 6
; COMPUTE_PGM_RSRC2:TRAP_HANDLER: 0
; COMPUTE_PGM_RSRC2:TGID_X_EN: 1
; COMPUTE_PGM_RSRC2:TGID_Y_EN: 1
; COMPUTE_PGM_RSRC2:TGID_Z_EN: 1
; COMPUTE_PGM_RSRC2:TIDIG_COMP_CNT: 1
	.section	.text._ZL41rocblas_syrkx_herkx_small_restrict_kernelIl19rocblas_complex_numIfELi16ELb1ELb1ELc84ELc85EKPKS1_KPS1_EviT_T0_PT6_S7_lSA_S7_lS8_PT7_S7_li,"axG",@progbits,_ZL41rocblas_syrkx_herkx_small_restrict_kernelIl19rocblas_complex_numIfELi16ELb1ELb1ELc84ELc85EKPKS1_KPS1_EviT_T0_PT6_S7_lSA_S7_lS8_PT7_S7_li,comdat
	.globl	_ZL41rocblas_syrkx_herkx_small_restrict_kernelIl19rocblas_complex_numIfELi16ELb1ELb1ELc84ELc85EKPKS1_KPS1_EviT_T0_PT6_S7_lSA_S7_lS8_PT7_S7_li ; -- Begin function _ZL41rocblas_syrkx_herkx_small_restrict_kernelIl19rocblas_complex_numIfELi16ELb1ELb1ELc84ELc85EKPKS1_KPS1_EviT_T0_PT6_S7_lSA_S7_lS8_PT7_S7_li
	.p2align	8
	.type	_ZL41rocblas_syrkx_herkx_small_restrict_kernelIl19rocblas_complex_numIfELi16ELb1ELb1ELc84ELc85EKPKS1_KPS1_EviT_T0_PT6_S7_lSA_S7_lS8_PT7_S7_li,@function
_ZL41rocblas_syrkx_herkx_small_restrict_kernelIl19rocblas_complex_numIfELi16ELb1ELb1ELc84ELc85EKPKS1_KPS1_EviT_T0_PT6_S7_lSA_S7_lS8_PT7_S7_li: ; @_ZL41rocblas_syrkx_herkx_small_restrict_kernelIl19rocblas_complex_numIfELi16ELb1ELb1ELc84ELc85EKPKS1_KPS1_EviT_T0_PT6_S7_lSA_S7_lS8_PT7_S7_li
; %bb.0:
	s_load_dwordx4 s[20:23], s[4:5], 0x50
	s_load_dwordx8 s[12:19], s[4:5], 0x8
	s_mov_b32 s9, 0
	s_lshl_b64 s[0:1], s[8:9], 3
	v_lshl_add_u32 v2, s6, 4, v0
	s_waitcnt lgkmcnt(0)
	s_add_u32 s2, s20, s0
	s_addc_u32 s3, s21, s1
	s_load_dwordx2 s[8:9], s[2:3], 0x0
	v_cmp_lt_i64_e64 s[2:3], s[12:13], 1
	v_lshl_add_u32 v8, s7, 4, v1
	s_and_b64 vcc, exec, s[2:3]
	v_ashrrev_i32_e32 v3, 31, v2
	v_ashrrev_i32_e32 v9, 31, v8
	s_cbranch_vccnz .LBB1735_5
; %bb.1:
	s_load_dwordx4 s[4:7], s[4:5], 0x30
	v_mad_u64_u32 v[4:5], s[2:3], s18, v2, 0
	v_mul_lo_u32 v6, s19, v2
	v_mul_lo_u32 v7, s18, v3
	s_waitcnt lgkmcnt(0)
	s_add_u32 s2, s4, s0
	s_addc_u32 s3, s5, s1
	s_add_u32 s0, s16, s0
	s_addc_u32 s1, s17, s1
	s_load_dwordx2 s[0:1], s[0:1], 0x0
	v_lshlrev_b32_e32 v11, 3, v1
	v_add3_u32 v5, v5, v7, v6
	v_lshlrev_b64 v[4:5], 3, v[4:5]
	s_load_dwordx2 s[2:3], s[2:3], 0x0
	s_waitcnt lgkmcnt(0)
	v_mov_b32_e32 v6, s1
	v_add_co_u32_e32 v7, vcc, s0, v11
	v_addc_co_u32_e32 v6, vcc, 0, v6, vcc
	v_add_co_u32_e32 v4, vcc, v7, v4
	v_addc_co_u32_e32 v5, vcc, v6, v5, vcc
	v_mul_lo_u32 v13, s7, v8
	v_mul_lo_u32 v14, s6, v9
	v_mad_u64_u32 v[6:7], s[0:1], s6, v8, 0
	v_lshlrev_b32_e32 v11, 3, v0
	v_mov_b32_e32 v0, s3
	v_add3_u32 v7, v7, v14, v13
	v_add_co_u32_e32 v13, vcc, s2, v11
	v_lshlrev_b32_e32 v15, 7, v1
	v_addc_co_u32_e32 v14, vcc, 0, v0, vcc
	v_lshlrev_b64 v[0:1], 3, v[6:7]
	v_mov_b32_e32 v6, s12
	v_add_co_u32_e32 v0, vcc, v13, v0
	v_add_u32_e32 v13, 0x800, v15
	v_mov_b32_e32 v10, 0
	v_add_u32_e32 v12, v11, v15
	v_addc_co_u32_e32 v1, vcc, v14, v1, vcc
	v_add_u32_e32 v14, v13, v11
	s_mov_b64 s[4:5], 0
	v_mov_b32_e32 v7, s13
	v_mov_b32_e32 v15, 0
.LBB1735_2:                             ; =>This Inner Loop Header: Depth=1
	flat_load_dwordx2 v[16:17], v[4:5]
	s_add_u32 s4, s4, 16
	s_addc_u32 s5, s5, 0
	v_cmp_lt_i64_e32 vcc, s[4:5], v[6:7]
	s_and_b64 s[0:1], exec, vcc
	s_waitcnt vmcnt(0) lgkmcnt(0)
	ds_write_b64 v12, v[16:17]
	flat_load_dwordx2 v[16:17], v[0:1]
	v_add_co_u32_e32 v0, vcc, 0x80, v0
	s_mov_b64 s[2:3], vcc
	v_add_co_u32_e32 v4, vcc, 0x80, v4
	v_addc_co_u32_e32 v5, vcc, 0, v5, vcc
	v_addc_co_u32_e64 v1, s[2:3], 0, v1, s[2:3]
	s_mov_b64 vcc, s[0:1]
	s_waitcnt vmcnt(0) lgkmcnt(0)
	ds_write_b64 v14, v[16:17]
	s_waitcnt lgkmcnt(0)
	s_barrier
	ds_read2_b64 v[16:19], v11 offset1:16
	ds_read_b128 v[20:23], v13
	ds_read_b128 v[24:27], v13 offset:16
	ds_read2_b64 v[28:31], v11 offset0:32 offset1:48
	ds_read2_b64 v[32:35], v11 offset0:64 offset1:80
	ds_read_b128 v[36:39], v13 offset:32
	ds_read_b128 v[40:43], v13 offset:48
	ds_read2_b64 v[44:47], v11 offset0:96 offset1:112
	ds_read2_b64 v[48:51], v11 offset0:128 offset1:144
	ds_read_b128 v[52:55], v13 offset:64
	ds_read_b128 v[56:59], v13 offset:80
	s_waitcnt lgkmcnt(9)
	v_mul_f32_e32 v60, v21, v17
	v_mul_f32_e32 v61, v20, v17
	;; [unrolled: 1-line block ×4, first 2 shown]
	v_fma_f32 v60, v20, v16, -v60
	v_fmac_f32_e32 v61, v21, v16
	v_fma_f32 v63, v22, v18, -v17
	v_fmac_f32_e32 v62, v23, v18
	s_waitcnt lgkmcnt(7)
	v_mul_f32_e32 v20, v25, v29
	v_mul_f32_e32 v64, v24, v29
	v_add_f32_e32 v15, v15, v60
	v_add_f32_e32 v10, v10, v61
	v_mul_f32_e32 v21, v27, v31
	v_mul_f32_e32 v65, v26, v31
	v_fma_f32 v66, v24, v28, -v20
	v_fmac_f32_e32 v64, v25, v28
	v_add_f32_e32 v15, v15, v63
	v_add_f32_e32 v10, v10, v62
	v_fma_f32 v67, v26, v30, -v21
	v_fmac_f32_e32 v65, v27, v30
	s_waitcnt lgkmcnt(5)
	v_mul_f32_e32 v24, v37, v33
	v_mul_f32_e32 v68, v36, v33
	v_add_f32_e32 v15, v15, v66
	v_add_f32_e32 v10, v10, v64
	ds_read2_b64 v[16:19], v11 offset0:160 offset1:176
	v_mul_f32_e32 v25, v39, v35
	v_mul_f32_e32 v69, v38, v35
	v_fma_f32 v36, v36, v32, -v24
	v_fmac_f32_e32 v68, v37, v32
	v_add_f32_e32 v15, v15, v67
	v_add_f32_e32 v10, v10, v65
	v_fma_f32 v37, v38, v34, -v25
	v_fmac_f32_e32 v69, v39, v34
	s_waitcnt lgkmcnt(4)
	v_mul_f32_e32 v28, v41, v45
	v_mul_f32_e32 v38, v40, v45
	v_add_f32_e32 v15, v15, v36
	v_add_f32_e32 v10, v10, v68
	ds_read2_b64 v[20:23], v11 offset0:192 offset1:208
	ds_read_b128 v[24:27], v13 offset:96
	v_mul_f32_e32 v29, v43, v47
	v_mul_f32_e32 v39, v42, v47
	v_fma_f32 v40, v40, v44, -v28
	v_fmac_f32_e32 v38, v41, v44
	v_add_f32_e32 v15, v15, v37
	v_add_f32_e32 v10, v10, v69
	v_fma_f32 v41, v42, v46, -v29
	v_fmac_f32_e32 v39, v43, v46
	s_waitcnt lgkmcnt(4)
	v_mul_f32_e32 v32, v53, v49
	v_mul_f32_e32 v42, v52, v49
	;; [unrolled: 1-line block ×3, first 2 shown]
	v_add_f32_e32 v15, v15, v40
	v_add_f32_e32 v10, v10, v38
	ds_read_b128 v[28:31], v13 offset:112
	v_mul_f32_e32 v43, v54, v51
	v_fma_f32 v44, v52, v48, -v32
	v_fmac_f32_e32 v42, v53, v48
	v_fma_f32 v45, v54, v50, -v33
	ds_read2_b64 v[32:35], v11 offset0:224 offset1:240
	v_add_f32_e32 v15, v15, v41
	v_add_f32_e32 v10, v10, v39
	v_fmac_f32_e32 v43, v55, v50
	s_waitcnt lgkmcnt(4)
	v_mul_f32_e32 v46, v57, v17
	v_mul_f32_e32 v17, v56, v17
	v_add_f32_e32 v15, v15, v44
	v_add_f32_e32 v10, v10, v42
	v_mul_f32_e32 v47, v59, v19
	v_mul_f32_e32 v19, v58, v19
	v_fma_f32 v46, v56, v16, -v46
	v_fmac_f32_e32 v17, v57, v16
	v_add_f32_e32 v15, v15, v45
	v_add_f32_e32 v10, v10, v43
	v_fma_f32 v16, v58, v18, -v47
	v_fmac_f32_e32 v19, v59, v18
	s_waitcnt lgkmcnt(2)
	v_mul_f32_e32 v18, v25, v21
	v_mul_f32_e32 v21, v24, v21
	v_add_f32_e32 v15, v15, v46
	v_add_f32_e32 v10, v10, v17
	v_mul_f32_e32 v47, v27, v23
	v_mul_f32_e32 v23, v26, v23
	v_fma_f32 v18, v24, v20, -v18
	v_fmac_f32_e32 v21, v25, v20
	v_add_f32_e32 v15, v15, v16
	v_add_f32_e32 v10, v10, v19
	s_waitcnt lgkmcnt(0)
	v_mul_f32_e32 v48, v29, v33
	v_mul_f32_e32 v33, v28, v33
	v_fma_f32 v20, v26, v22, -v47
	v_fmac_f32_e32 v23, v27, v22
	v_add_f32_e32 v15, v15, v18
	v_add_f32_e32 v10, v10, v21
	v_mul_f32_e32 v49, v31, v35
	v_mul_f32_e32 v35, v30, v35
	v_fma_f32 v22, v28, v32, -v48
	v_fmac_f32_e32 v33, v29, v32
	v_add_f32_e32 v15, v15, v20
	v_add_f32_e32 v10, v10, v23
	v_fma_f32 v24, v30, v34, -v49
	v_fmac_f32_e32 v35, v31, v34
	v_add_f32_e32 v15, v15, v22
	v_add_f32_e32 v10, v10, v33
	;; [unrolled: 1-line block ×4, first 2 shown]
	s_barrier
	s_cbranch_vccnz .LBB1735_2
; %bb.3:
	v_cmp_le_i32_e32 vcc, v2, v8
	s_and_saveexec_b64 s[0:1], vcc
	s_cbranch_execnz .LBB1735_6
.LBB1735_4:
	s_endpgm
.LBB1735_5:
	v_mov_b32_e32 v10, 0
	v_mov_b32_e32 v15, 0
	v_cmp_le_i32_e32 vcc, v2, v8
	s_and_saveexec_b64 s[0:1], vcc
	s_cbranch_execz .LBB1735_4
.LBB1735_6:
	v_mul_lo_u32 v6, s23, v8
	v_mul_lo_u32 v7, s22, v9
	v_mad_u64_u32 v[0:1], s[0:1], s22, v8, 0
	v_mul_f32_e32 v4, s15, v10
	v_mul_f32_e32 v5, s14, v10
	v_add3_u32 v1, v1, v7, v6
	v_lshlrev_b64 v[0:1], 3, v[0:1]
	s_waitcnt lgkmcnt(0)
	v_mov_b32_e32 v6, s9
	v_add_co_u32_e32 v7, vcc, s8, v0
	v_addc_co_u32_e32 v6, vcc, v6, v1, vcc
	v_lshlrev_b64 v[0:1], 3, v[2:3]
	v_fma_f32 v4, v15, s14, -v4
	v_add_co_u32_e32 v0, vcc, v7, v0
	v_addc_co_u32_e32 v1, vcc, v6, v1, vcc
	v_fmac_f32_e32 v5, s15, v15
	v_cmp_eq_u32_e32 vcc, v2, v8
	flat_store_dwordx2 v[0:1], v[4:5]
	s_and_b64 exec, exec, vcc
	s_cbranch_execz .LBB1735_4
; %bb.7:
	v_mov_b32_e32 v2, 0
	flat_store_dword v[0:1], v2 offset:4
	s_endpgm
	.section	.rodata,"a",@progbits
	.p2align	6, 0x0
	.amdhsa_kernel _ZL41rocblas_syrkx_herkx_small_restrict_kernelIl19rocblas_complex_numIfELi16ELb1ELb1ELc84ELc85EKPKS1_KPS1_EviT_T0_PT6_S7_lSA_S7_lS8_PT7_S7_li
		.amdhsa_group_segment_fixed_size 4096
		.amdhsa_private_segment_fixed_size 0
		.amdhsa_kernarg_size 108
		.amdhsa_user_sgpr_count 6
		.amdhsa_user_sgpr_private_segment_buffer 1
		.amdhsa_user_sgpr_dispatch_ptr 0
		.amdhsa_user_sgpr_queue_ptr 0
		.amdhsa_user_sgpr_kernarg_segment_ptr 1
		.amdhsa_user_sgpr_dispatch_id 0
		.amdhsa_user_sgpr_flat_scratch_init 0
		.amdhsa_user_sgpr_private_segment_size 0
		.amdhsa_uses_dynamic_stack 0
		.amdhsa_system_sgpr_private_segment_wavefront_offset 0
		.amdhsa_system_sgpr_workgroup_id_x 1
		.amdhsa_system_sgpr_workgroup_id_y 1
		.amdhsa_system_sgpr_workgroup_id_z 1
		.amdhsa_system_sgpr_workgroup_info 0
		.amdhsa_system_vgpr_workitem_id 1
		.amdhsa_next_free_vgpr 70
		.amdhsa_next_free_sgpr 24
		.amdhsa_reserve_vcc 1
		.amdhsa_reserve_flat_scratch 0
		.amdhsa_float_round_mode_32 0
		.amdhsa_float_round_mode_16_64 0
		.amdhsa_float_denorm_mode_32 3
		.amdhsa_float_denorm_mode_16_64 3
		.amdhsa_dx10_clamp 1
		.amdhsa_ieee_mode 1
		.amdhsa_fp16_overflow 0
		.amdhsa_exception_fp_ieee_invalid_op 0
		.amdhsa_exception_fp_denorm_src 0
		.amdhsa_exception_fp_ieee_div_zero 0
		.amdhsa_exception_fp_ieee_overflow 0
		.amdhsa_exception_fp_ieee_underflow 0
		.amdhsa_exception_fp_ieee_inexact 0
		.amdhsa_exception_int_div_zero 0
	.end_amdhsa_kernel
	.section	.text._ZL41rocblas_syrkx_herkx_small_restrict_kernelIl19rocblas_complex_numIfELi16ELb1ELb1ELc84ELc85EKPKS1_KPS1_EviT_T0_PT6_S7_lSA_S7_lS8_PT7_S7_li,"axG",@progbits,_ZL41rocblas_syrkx_herkx_small_restrict_kernelIl19rocblas_complex_numIfELi16ELb1ELb1ELc84ELc85EKPKS1_KPS1_EviT_T0_PT6_S7_lSA_S7_lS8_PT7_S7_li,comdat
.Lfunc_end1735:
	.size	_ZL41rocblas_syrkx_herkx_small_restrict_kernelIl19rocblas_complex_numIfELi16ELb1ELb1ELc84ELc85EKPKS1_KPS1_EviT_T0_PT6_S7_lSA_S7_lS8_PT7_S7_li, .Lfunc_end1735-_ZL41rocblas_syrkx_herkx_small_restrict_kernelIl19rocblas_complex_numIfELi16ELb1ELb1ELc84ELc85EKPKS1_KPS1_EviT_T0_PT6_S7_lSA_S7_lS8_PT7_S7_li
                                        ; -- End function
	.set _ZL41rocblas_syrkx_herkx_small_restrict_kernelIl19rocblas_complex_numIfELi16ELb1ELb1ELc84ELc85EKPKS1_KPS1_EviT_T0_PT6_S7_lSA_S7_lS8_PT7_S7_li.num_vgpr, 70
	.set _ZL41rocblas_syrkx_herkx_small_restrict_kernelIl19rocblas_complex_numIfELi16ELb1ELb1ELc84ELc85EKPKS1_KPS1_EviT_T0_PT6_S7_lSA_S7_lS8_PT7_S7_li.num_agpr, 0
	.set _ZL41rocblas_syrkx_herkx_small_restrict_kernelIl19rocblas_complex_numIfELi16ELb1ELb1ELc84ELc85EKPKS1_KPS1_EviT_T0_PT6_S7_lSA_S7_lS8_PT7_S7_li.numbered_sgpr, 24
	.set _ZL41rocblas_syrkx_herkx_small_restrict_kernelIl19rocblas_complex_numIfELi16ELb1ELb1ELc84ELc85EKPKS1_KPS1_EviT_T0_PT6_S7_lSA_S7_lS8_PT7_S7_li.num_named_barrier, 0
	.set _ZL41rocblas_syrkx_herkx_small_restrict_kernelIl19rocblas_complex_numIfELi16ELb1ELb1ELc84ELc85EKPKS1_KPS1_EviT_T0_PT6_S7_lSA_S7_lS8_PT7_S7_li.private_seg_size, 0
	.set _ZL41rocblas_syrkx_herkx_small_restrict_kernelIl19rocblas_complex_numIfELi16ELb1ELb1ELc84ELc85EKPKS1_KPS1_EviT_T0_PT6_S7_lSA_S7_lS8_PT7_S7_li.uses_vcc, 1
	.set _ZL41rocblas_syrkx_herkx_small_restrict_kernelIl19rocblas_complex_numIfELi16ELb1ELb1ELc84ELc85EKPKS1_KPS1_EviT_T0_PT6_S7_lSA_S7_lS8_PT7_S7_li.uses_flat_scratch, 0
	.set _ZL41rocblas_syrkx_herkx_small_restrict_kernelIl19rocblas_complex_numIfELi16ELb1ELb1ELc84ELc85EKPKS1_KPS1_EviT_T0_PT6_S7_lSA_S7_lS8_PT7_S7_li.has_dyn_sized_stack, 0
	.set _ZL41rocblas_syrkx_herkx_small_restrict_kernelIl19rocblas_complex_numIfELi16ELb1ELb1ELc84ELc85EKPKS1_KPS1_EviT_T0_PT6_S7_lSA_S7_lS8_PT7_S7_li.has_recursion, 0
	.set _ZL41rocblas_syrkx_herkx_small_restrict_kernelIl19rocblas_complex_numIfELi16ELb1ELb1ELc84ELc85EKPKS1_KPS1_EviT_T0_PT6_S7_lSA_S7_lS8_PT7_S7_li.has_indirect_call, 0
	.section	.AMDGPU.csdata,"",@progbits
; Kernel info:
; codeLenInByte = 1180
; TotalNumSgprs: 28
; NumVgprs: 70
; ScratchSize: 0
; MemoryBound: 0
; FloatMode: 240
; IeeeMode: 1
; LDSByteSize: 4096 bytes/workgroup (compile time only)
; SGPRBlocks: 3
; VGPRBlocks: 17
; NumSGPRsForWavesPerEU: 28
; NumVGPRsForWavesPerEU: 70
; Occupancy: 3
; WaveLimiterHint : 1
; COMPUTE_PGM_RSRC2:SCRATCH_EN: 0
; COMPUTE_PGM_RSRC2:USER_SGPR: 6
; COMPUTE_PGM_RSRC2:TRAP_HANDLER: 0
; COMPUTE_PGM_RSRC2:TGID_X_EN: 1
; COMPUTE_PGM_RSRC2:TGID_Y_EN: 1
; COMPUTE_PGM_RSRC2:TGID_Z_EN: 1
; COMPUTE_PGM_RSRC2:TIDIG_COMP_CNT: 1
	.section	.text._ZL41rocblas_syrkx_herkx_small_restrict_kernelIl19rocblas_complex_numIfELi16ELb1ELb1ELc67ELc85EKPKS1_KPS1_EviT_T0_PT6_S7_lSA_S7_lS8_PT7_S7_li,"axG",@progbits,_ZL41rocblas_syrkx_herkx_small_restrict_kernelIl19rocblas_complex_numIfELi16ELb1ELb1ELc67ELc85EKPKS1_KPS1_EviT_T0_PT6_S7_lSA_S7_lS8_PT7_S7_li,comdat
	.globl	_ZL41rocblas_syrkx_herkx_small_restrict_kernelIl19rocblas_complex_numIfELi16ELb1ELb1ELc67ELc85EKPKS1_KPS1_EviT_T0_PT6_S7_lSA_S7_lS8_PT7_S7_li ; -- Begin function _ZL41rocblas_syrkx_herkx_small_restrict_kernelIl19rocblas_complex_numIfELi16ELb1ELb1ELc67ELc85EKPKS1_KPS1_EviT_T0_PT6_S7_lSA_S7_lS8_PT7_S7_li
	.p2align	8
	.type	_ZL41rocblas_syrkx_herkx_small_restrict_kernelIl19rocblas_complex_numIfELi16ELb1ELb1ELc67ELc85EKPKS1_KPS1_EviT_T0_PT6_S7_lSA_S7_lS8_PT7_S7_li,@function
_ZL41rocblas_syrkx_herkx_small_restrict_kernelIl19rocblas_complex_numIfELi16ELb1ELb1ELc67ELc85EKPKS1_KPS1_EviT_T0_PT6_S7_lSA_S7_lS8_PT7_S7_li: ; @_ZL41rocblas_syrkx_herkx_small_restrict_kernelIl19rocblas_complex_numIfELi16ELb1ELb1ELc67ELc85EKPKS1_KPS1_EviT_T0_PT6_S7_lSA_S7_lS8_PT7_S7_li
; %bb.0:
	s_load_dwordx4 s[20:23], s[4:5], 0x50
	s_load_dwordx8 s[12:19], s[4:5], 0x8
	s_mov_b32 s9, 0
	s_lshl_b64 s[0:1], s[8:9], 3
	v_lshl_add_u32 v2, s6, 4, v0
	s_waitcnt lgkmcnt(0)
	s_add_u32 s2, s20, s0
	s_addc_u32 s3, s21, s1
	s_load_dwordx2 s[8:9], s[2:3], 0x0
	v_cmp_lt_i64_e64 s[2:3], s[12:13], 1
	v_lshl_add_u32 v8, s7, 4, v1
	s_and_b64 vcc, exec, s[2:3]
	v_ashrrev_i32_e32 v3, 31, v2
	v_ashrrev_i32_e32 v9, 31, v8
	s_cbranch_vccnz .LBB1736_5
; %bb.1:
	s_load_dwordx4 s[4:7], s[4:5], 0x30
	v_mad_u64_u32 v[4:5], s[2:3], s18, v2, 0
	v_mul_lo_u32 v6, s19, v2
	v_mul_lo_u32 v7, s18, v3
	s_waitcnt lgkmcnt(0)
	s_add_u32 s2, s4, s0
	s_addc_u32 s3, s5, s1
	s_add_u32 s0, s16, s0
	s_addc_u32 s1, s17, s1
	s_load_dwordx2 s[0:1], s[0:1], 0x0
	v_lshlrev_b32_e32 v11, 3, v1
	v_add3_u32 v5, v5, v7, v6
	v_lshlrev_b64 v[4:5], 3, v[4:5]
	s_load_dwordx2 s[2:3], s[2:3], 0x0
	s_waitcnt lgkmcnt(0)
	v_mov_b32_e32 v6, s1
	v_add_co_u32_e32 v7, vcc, s0, v11
	v_addc_co_u32_e32 v6, vcc, 0, v6, vcc
	v_add_co_u32_e32 v4, vcc, v7, v4
	v_addc_co_u32_e32 v5, vcc, v6, v5, vcc
	v_mul_lo_u32 v13, s7, v8
	v_mul_lo_u32 v14, s6, v9
	v_mad_u64_u32 v[6:7], s[0:1], s6, v8, 0
	v_lshlrev_b32_e32 v11, 3, v0
	v_mov_b32_e32 v0, s3
	v_add3_u32 v7, v7, v14, v13
	v_add_co_u32_e32 v13, vcc, s2, v11
	v_lshlrev_b32_e32 v15, 7, v1
	v_addc_co_u32_e32 v14, vcc, 0, v0, vcc
	v_lshlrev_b64 v[0:1], 3, v[6:7]
	v_mov_b32_e32 v6, s12
	v_add_co_u32_e32 v0, vcc, v13, v0
	v_add_u32_e32 v13, 0x800, v15
	v_mov_b32_e32 v10, 0
	v_add_u32_e32 v12, v11, v15
	v_addc_co_u32_e32 v1, vcc, v14, v1, vcc
	v_add_u32_e32 v14, v13, v11
	s_mov_b64 s[4:5], 0
	v_mov_b32_e32 v7, s13
	v_mov_b32_e32 v15, 0
.LBB1736_2:                             ; =>This Inner Loop Header: Depth=1
	flat_load_dwordx2 v[16:17], v[4:5]
	s_add_u32 s4, s4, 16
	s_addc_u32 s5, s5, 0
	v_cmp_lt_i64_e32 vcc, s[4:5], v[6:7]
	s_and_b64 s[0:1], exec, vcc
	s_waitcnt vmcnt(0) lgkmcnt(0)
	v_xor_b32_e32 v17, 0x80000000, v17
	ds_write_b64 v12, v[16:17]
	flat_load_dwordx2 v[16:17], v[0:1]
	v_add_co_u32_e32 v0, vcc, 0x80, v0
	s_mov_b64 s[2:3], vcc
	v_add_co_u32_e32 v4, vcc, 0x80, v4
	v_addc_co_u32_e32 v5, vcc, 0, v5, vcc
	v_addc_co_u32_e64 v1, s[2:3], 0, v1, s[2:3]
	s_mov_b64 vcc, s[0:1]
	s_waitcnt vmcnt(0) lgkmcnt(0)
	ds_write_b64 v14, v[16:17]
	s_waitcnt lgkmcnt(0)
	s_barrier
	ds_read2_b64 v[16:19], v11 offset1:16
	ds_read_b128 v[20:23], v13
	ds_read_b128 v[24:27], v13 offset:16
	ds_read2_b64 v[28:31], v11 offset0:32 offset1:48
	ds_read2_b64 v[32:35], v11 offset0:64 offset1:80
	ds_read_b128 v[36:39], v13 offset:32
	ds_read_b128 v[40:43], v13 offset:48
	ds_read2_b64 v[44:47], v11 offset0:96 offset1:112
	ds_read2_b64 v[48:51], v11 offset0:128 offset1:144
	ds_read_b128 v[52:55], v13 offset:64
	ds_read_b128 v[56:59], v13 offset:80
	s_waitcnt lgkmcnt(9)
	v_mul_f32_e32 v60, v21, v17
	v_mul_f32_e32 v61, v20, v17
	v_mul_f32_e32 v17, v23, v19
	v_mul_f32_e32 v62, v22, v19
	v_fma_f32 v60, v20, v16, -v60
	v_fmac_f32_e32 v61, v21, v16
	v_fma_f32 v63, v22, v18, -v17
	v_fmac_f32_e32 v62, v23, v18
	s_waitcnt lgkmcnt(7)
	v_mul_f32_e32 v20, v25, v29
	v_mul_f32_e32 v64, v24, v29
	v_add_f32_e32 v15, v15, v60
	v_add_f32_e32 v10, v10, v61
	v_mul_f32_e32 v21, v27, v31
	v_mul_f32_e32 v65, v26, v31
	v_fma_f32 v66, v24, v28, -v20
	v_fmac_f32_e32 v64, v25, v28
	v_add_f32_e32 v15, v15, v63
	v_add_f32_e32 v10, v10, v62
	v_fma_f32 v67, v26, v30, -v21
	v_fmac_f32_e32 v65, v27, v30
	s_waitcnt lgkmcnt(5)
	v_mul_f32_e32 v24, v37, v33
	v_mul_f32_e32 v68, v36, v33
	v_add_f32_e32 v15, v15, v66
	v_add_f32_e32 v10, v10, v64
	ds_read2_b64 v[16:19], v11 offset0:160 offset1:176
	v_mul_f32_e32 v25, v39, v35
	v_mul_f32_e32 v69, v38, v35
	v_fma_f32 v36, v36, v32, -v24
	v_fmac_f32_e32 v68, v37, v32
	v_add_f32_e32 v15, v15, v67
	v_add_f32_e32 v10, v10, v65
	v_fma_f32 v37, v38, v34, -v25
	v_fmac_f32_e32 v69, v39, v34
	s_waitcnt lgkmcnt(4)
	v_mul_f32_e32 v28, v41, v45
	v_mul_f32_e32 v38, v40, v45
	v_add_f32_e32 v15, v15, v36
	v_add_f32_e32 v10, v10, v68
	ds_read2_b64 v[20:23], v11 offset0:192 offset1:208
	ds_read_b128 v[24:27], v13 offset:96
	v_mul_f32_e32 v29, v43, v47
	v_mul_f32_e32 v39, v42, v47
	v_fma_f32 v40, v40, v44, -v28
	v_fmac_f32_e32 v38, v41, v44
	v_add_f32_e32 v15, v15, v37
	v_add_f32_e32 v10, v10, v69
	v_fma_f32 v41, v42, v46, -v29
	v_fmac_f32_e32 v39, v43, v46
	s_waitcnt lgkmcnt(4)
	v_mul_f32_e32 v32, v53, v49
	v_mul_f32_e32 v42, v52, v49
	;; [unrolled: 1-line block ×3, first 2 shown]
	v_add_f32_e32 v15, v15, v40
	v_add_f32_e32 v10, v10, v38
	ds_read_b128 v[28:31], v13 offset:112
	v_mul_f32_e32 v43, v54, v51
	v_fma_f32 v44, v52, v48, -v32
	v_fmac_f32_e32 v42, v53, v48
	v_fma_f32 v45, v54, v50, -v33
	ds_read2_b64 v[32:35], v11 offset0:224 offset1:240
	v_add_f32_e32 v15, v15, v41
	v_add_f32_e32 v10, v10, v39
	v_fmac_f32_e32 v43, v55, v50
	s_waitcnt lgkmcnt(4)
	v_mul_f32_e32 v46, v57, v17
	v_mul_f32_e32 v17, v56, v17
	v_add_f32_e32 v15, v15, v44
	v_add_f32_e32 v10, v10, v42
	v_mul_f32_e32 v47, v59, v19
	v_mul_f32_e32 v19, v58, v19
	v_fma_f32 v46, v56, v16, -v46
	v_fmac_f32_e32 v17, v57, v16
	v_add_f32_e32 v15, v15, v45
	v_add_f32_e32 v10, v10, v43
	v_fma_f32 v16, v58, v18, -v47
	v_fmac_f32_e32 v19, v59, v18
	s_waitcnt lgkmcnt(2)
	v_mul_f32_e32 v18, v25, v21
	v_mul_f32_e32 v21, v24, v21
	v_add_f32_e32 v15, v15, v46
	v_add_f32_e32 v10, v10, v17
	v_mul_f32_e32 v47, v27, v23
	v_mul_f32_e32 v23, v26, v23
	v_fma_f32 v18, v24, v20, -v18
	v_fmac_f32_e32 v21, v25, v20
	v_add_f32_e32 v15, v15, v16
	v_add_f32_e32 v10, v10, v19
	s_waitcnt lgkmcnt(0)
	v_mul_f32_e32 v48, v29, v33
	v_mul_f32_e32 v33, v28, v33
	v_fma_f32 v20, v26, v22, -v47
	v_fmac_f32_e32 v23, v27, v22
	v_add_f32_e32 v15, v15, v18
	v_add_f32_e32 v10, v10, v21
	v_mul_f32_e32 v49, v31, v35
	v_mul_f32_e32 v35, v30, v35
	v_fma_f32 v22, v28, v32, -v48
	v_fmac_f32_e32 v33, v29, v32
	v_add_f32_e32 v15, v15, v20
	v_add_f32_e32 v10, v10, v23
	v_fma_f32 v24, v30, v34, -v49
	v_fmac_f32_e32 v35, v31, v34
	v_add_f32_e32 v15, v15, v22
	v_add_f32_e32 v10, v10, v33
	;; [unrolled: 1-line block ×4, first 2 shown]
	s_barrier
	s_cbranch_vccnz .LBB1736_2
; %bb.3:
	v_cmp_le_i32_e32 vcc, v2, v8
	s_and_saveexec_b64 s[0:1], vcc
	s_cbranch_execnz .LBB1736_6
.LBB1736_4:
	s_endpgm
.LBB1736_5:
	v_mov_b32_e32 v10, 0
	v_mov_b32_e32 v15, 0
	v_cmp_le_i32_e32 vcc, v2, v8
	s_and_saveexec_b64 s[0:1], vcc
	s_cbranch_execz .LBB1736_4
.LBB1736_6:
	v_mul_lo_u32 v6, s23, v8
	v_mul_lo_u32 v7, s22, v9
	v_mad_u64_u32 v[0:1], s[0:1], s22, v8, 0
	v_mul_f32_e32 v4, s15, v10
	v_mul_f32_e32 v5, s14, v10
	v_add3_u32 v1, v1, v7, v6
	v_lshlrev_b64 v[0:1], 3, v[0:1]
	s_waitcnt lgkmcnt(0)
	v_mov_b32_e32 v6, s9
	v_add_co_u32_e32 v7, vcc, s8, v0
	v_addc_co_u32_e32 v6, vcc, v6, v1, vcc
	v_lshlrev_b64 v[0:1], 3, v[2:3]
	v_fma_f32 v4, v15, s14, -v4
	v_add_co_u32_e32 v0, vcc, v7, v0
	v_addc_co_u32_e32 v1, vcc, v6, v1, vcc
	v_fmac_f32_e32 v5, s15, v15
	v_cmp_eq_u32_e32 vcc, v2, v8
	flat_store_dwordx2 v[0:1], v[4:5]
	s_and_b64 exec, exec, vcc
	s_cbranch_execz .LBB1736_4
; %bb.7:
	v_mov_b32_e32 v2, 0
	flat_store_dword v[0:1], v2 offset:4
	s_endpgm
	.section	.rodata,"a",@progbits
	.p2align	6, 0x0
	.amdhsa_kernel _ZL41rocblas_syrkx_herkx_small_restrict_kernelIl19rocblas_complex_numIfELi16ELb1ELb1ELc67ELc85EKPKS1_KPS1_EviT_T0_PT6_S7_lSA_S7_lS8_PT7_S7_li
		.amdhsa_group_segment_fixed_size 4096
		.amdhsa_private_segment_fixed_size 0
		.amdhsa_kernarg_size 108
		.amdhsa_user_sgpr_count 6
		.amdhsa_user_sgpr_private_segment_buffer 1
		.amdhsa_user_sgpr_dispatch_ptr 0
		.amdhsa_user_sgpr_queue_ptr 0
		.amdhsa_user_sgpr_kernarg_segment_ptr 1
		.amdhsa_user_sgpr_dispatch_id 0
		.amdhsa_user_sgpr_flat_scratch_init 0
		.amdhsa_user_sgpr_private_segment_size 0
		.amdhsa_uses_dynamic_stack 0
		.amdhsa_system_sgpr_private_segment_wavefront_offset 0
		.amdhsa_system_sgpr_workgroup_id_x 1
		.amdhsa_system_sgpr_workgroup_id_y 1
		.amdhsa_system_sgpr_workgroup_id_z 1
		.amdhsa_system_sgpr_workgroup_info 0
		.amdhsa_system_vgpr_workitem_id 1
		.amdhsa_next_free_vgpr 70
		.amdhsa_next_free_sgpr 24
		.amdhsa_reserve_vcc 1
		.amdhsa_reserve_flat_scratch 0
		.amdhsa_float_round_mode_32 0
		.amdhsa_float_round_mode_16_64 0
		.amdhsa_float_denorm_mode_32 3
		.amdhsa_float_denorm_mode_16_64 3
		.amdhsa_dx10_clamp 1
		.amdhsa_ieee_mode 1
		.amdhsa_fp16_overflow 0
		.amdhsa_exception_fp_ieee_invalid_op 0
		.amdhsa_exception_fp_denorm_src 0
		.amdhsa_exception_fp_ieee_div_zero 0
		.amdhsa_exception_fp_ieee_overflow 0
		.amdhsa_exception_fp_ieee_underflow 0
		.amdhsa_exception_fp_ieee_inexact 0
		.amdhsa_exception_int_div_zero 0
	.end_amdhsa_kernel
	.section	.text._ZL41rocblas_syrkx_herkx_small_restrict_kernelIl19rocblas_complex_numIfELi16ELb1ELb1ELc67ELc85EKPKS1_KPS1_EviT_T0_PT6_S7_lSA_S7_lS8_PT7_S7_li,"axG",@progbits,_ZL41rocblas_syrkx_herkx_small_restrict_kernelIl19rocblas_complex_numIfELi16ELb1ELb1ELc67ELc85EKPKS1_KPS1_EviT_T0_PT6_S7_lSA_S7_lS8_PT7_S7_li,comdat
.Lfunc_end1736:
	.size	_ZL41rocblas_syrkx_herkx_small_restrict_kernelIl19rocblas_complex_numIfELi16ELb1ELb1ELc67ELc85EKPKS1_KPS1_EviT_T0_PT6_S7_lSA_S7_lS8_PT7_S7_li, .Lfunc_end1736-_ZL41rocblas_syrkx_herkx_small_restrict_kernelIl19rocblas_complex_numIfELi16ELb1ELb1ELc67ELc85EKPKS1_KPS1_EviT_T0_PT6_S7_lSA_S7_lS8_PT7_S7_li
                                        ; -- End function
	.set _ZL41rocblas_syrkx_herkx_small_restrict_kernelIl19rocblas_complex_numIfELi16ELb1ELb1ELc67ELc85EKPKS1_KPS1_EviT_T0_PT6_S7_lSA_S7_lS8_PT7_S7_li.num_vgpr, 70
	.set _ZL41rocblas_syrkx_herkx_small_restrict_kernelIl19rocblas_complex_numIfELi16ELb1ELb1ELc67ELc85EKPKS1_KPS1_EviT_T0_PT6_S7_lSA_S7_lS8_PT7_S7_li.num_agpr, 0
	.set _ZL41rocblas_syrkx_herkx_small_restrict_kernelIl19rocblas_complex_numIfELi16ELb1ELb1ELc67ELc85EKPKS1_KPS1_EviT_T0_PT6_S7_lSA_S7_lS8_PT7_S7_li.numbered_sgpr, 24
	.set _ZL41rocblas_syrkx_herkx_small_restrict_kernelIl19rocblas_complex_numIfELi16ELb1ELb1ELc67ELc85EKPKS1_KPS1_EviT_T0_PT6_S7_lSA_S7_lS8_PT7_S7_li.num_named_barrier, 0
	.set _ZL41rocblas_syrkx_herkx_small_restrict_kernelIl19rocblas_complex_numIfELi16ELb1ELb1ELc67ELc85EKPKS1_KPS1_EviT_T0_PT6_S7_lSA_S7_lS8_PT7_S7_li.private_seg_size, 0
	.set _ZL41rocblas_syrkx_herkx_small_restrict_kernelIl19rocblas_complex_numIfELi16ELb1ELb1ELc67ELc85EKPKS1_KPS1_EviT_T0_PT6_S7_lSA_S7_lS8_PT7_S7_li.uses_vcc, 1
	.set _ZL41rocblas_syrkx_herkx_small_restrict_kernelIl19rocblas_complex_numIfELi16ELb1ELb1ELc67ELc85EKPKS1_KPS1_EviT_T0_PT6_S7_lSA_S7_lS8_PT7_S7_li.uses_flat_scratch, 0
	.set _ZL41rocblas_syrkx_herkx_small_restrict_kernelIl19rocblas_complex_numIfELi16ELb1ELb1ELc67ELc85EKPKS1_KPS1_EviT_T0_PT6_S7_lSA_S7_lS8_PT7_S7_li.has_dyn_sized_stack, 0
	.set _ZL41rocblas_syrkx_herkx_small_restrict_kernelIl19rocblas_complex_numIfELi16ELb1ELb1ELc67ELc85EKPKS1_KPS1_EviT_T0_PT6_S7_lSA_S7_lS8_PT7_S7_li.has_recursion, 0
	.set _ZL41rocblas_syrkx_herkx_small_restrict_kernelIl19rocblas_complex_numIfELi16ELb1ELb1ELc67ELc85EKPKS1_KPS1_EviT_T0_PT6_S7_lSA_S7_lS8_PT7_S7_li.has_indirect_call, 0
	.section	.AMDGPU.csdata,"",@progbits
; Kernel info:
; codeLenInByte = 1188
; TotalNumSgprs: 28
; NumVgprs: 70
; ScratchSize: 0
; MemoryBound: 0
; FloatMode: 240
; IeeeMode: 1
; LDSByteSize: 4096 bytes/workgroup (compile time only)
; SGPRBlocks: 3
; VGPRBlocks: 17
; NumSGPRsForWavesPerEU: 28
; NumVGPRsForWavesPerEU: 70
; Occupancy: 3
; WaveLimiterHint : 1
; COMPUTE_PGM_RSRC2:SCRATCH_EN: 0
; COMPUTE_PGM_RSRC2:USER_SGPR: 6
; COMPUTE_PGM_RSRC2:TRAP_HANDLER: 0
; COMPUTE_PGM_RSRC2:TGID_X_EN: 1
; COMPUTE_PGM_RSRC2:TGID_Y_EN: 1
; COMPUTE_PGM_RSRC2:TGID_Z_EN: 1
; COMPUTE_PGM_RSRC2:TIDIG_COMP_CNT: 1
	.section	.text._ZL41rocblas_syrkx_herkx_small_restrict_kernelIl19rocblas_complex_numIfELi16ELb1ELb1ELc78ELc85EKPKS1_KPS1_EviT_T0_PT6_S7_lSA_S7_lS8_PT7_S7_li,"axG",@progbits,_ZL41rocblas_syrkx_herkx_small_restrict_kernelIl19rocblas_complex_numIfELi16ELb1ELb1ELc78ELc85EKPKS1_KPS1_EviT_T0_PT6_S7_lSA_S7_lS8_PT7_S7_li,comdat
	.globl	_ZL41rocblas_syrkx_herkx_small_restrict_kernelIl19rocblas_complex_numIfELi16ELb1ELb1ELc78ELc85EKPKS1_KPS1_EviT_T0_PT6_S7_lSA_S7_lS8_PT7_S7_li ; -- Begin function _ZL41rocblas_syrkx_herkx_small_restrict_kernelIl19rocblas_complex_numIfELi16ELb1ELb1ELc78ELc85EKPKS1_KPS1_EviT_T0_PT6_S7_lSA_S7_lS8_PT7_S7_li
	.p2align	8
	.type	_ZL41rocblas_syrkx_herkx_small_restrict_kernelIl19rocblas_complex_numIfELi16ELb1ELb1ELc78ELc85EKPKS1_KPS1_EviT_T0_PT6_S7_lSA_S7_lS8_PT7_S7_li,@function
_ZL41rocblas_syrkx_herkx_small_restrict_kernelIl19rocblas_complex_numIfELi16ELb1ELb1ELc78ELc85EKPKS1_KPS1_EviT_T0_PT6_S7_lSA_S7_lS8_PT7_S7_li: ; @_ZL41rocblas_syrkx_herkx_small_restrict_kernelIl19rocblas_complex_numIfELi16ELb1ELb1ELc78ELc85EKPKS1_KPS1_EviT_T0_PT6_S7_lSA_S7_lS8_PT7_S7_li
; %bb.0:
	s_load_dwordx4 s[0:3], s[4:5], 0x50
	s_load_dwordx8 s[12:19], s[4:5], 0x8
	s_mov_b32 s9, 0
	s_lshl_b64 s[10:11], s[8:9], 3
	v_lshl_add_u32 v2, s6, 4, v0
	s_waitcnt lgkmcnt(0)
	s_add_u32 s0, s0, s10
	s_addc_u32 s1, s1, s11
	s_load_dwordx2 s[8:9], s[0:1], 0x0
	v_cmp_lt_i64_e64 s[0:1], s[12:13], 1
	v_lshl_add_u32 v4, s7, 4, v1
	s_and_b64 vcc, exec, s[0:1]
	v_ashrrev_i32_e32 v3, 31, v2
	v_ashrrev_i32_e32 v5, 31, v4
	s_cbranch_vccnz .LBB1737_5
; %bb.1:
	s_load_dwordx4 s[4:7], s[4:5], 0x30
	v_lshlrev_b32_e32 v9, 7, v1
	v_lshlrev_b32_e32 v10, 3, v0
	v_add_u32_e32 v11, v10, v9
	v_add_u32_e32 v12, 0x800, v9
	s_waitcnt lgkmcnt(0)
	s_add_u32 s0, s4, s10
	v_mad_u64_u32 v[6:7], s[20:21], s6, v0, 0
	s_addc_u32 s1, s5, s11
	s_add_u32 s4, s16, s10
	s_addc_u32 s5, s17, s11
	s_load_dwordx2 s[10:11], s[4:5], 0x0
	v_mad_u64_u32 v[7:8], s[4:5], s7, v0, v[7:8]
	v_mad_u64_u32 v[14:15], s[4:5], s18, v1, 0
	v_lshlrev_b64 v[6:7], 3, v[6:7]
	v_lshlrev_b64 v[8:9], 3, v[4:5]
	s_load_dwordx2 s[0:1], s[0:1], 0x0
	v_add_co_u32_e32 v8, vcc, v6, v8
	v_mov_b32_e32 v0, v15
	v_addc_co_u32_e32 v9, vcc, v7, v9, vcc
	v_mad_u64_u32 v[6:7], s[4:5], s19, v1, v[0:1]
	s_waitcnt lgkmcnt(0)
	v_mov_b32_e32 v16, s1
	v_add_co_u32_e32 v0, vcc, s0, v8
	v_mov_b32_e32 v15, v6
	v_addc_co_u32_e32 v1, vcc, v16, v9, vcc
	v_lshlrev_b64 v[6:7], 3, v[14:15]
	v_lshlrev_b64 v[8:9], 3, v[2:3]
	s_lshl_b64 s[4:5], s[6:7], 7
	v_add_co_u32_e32 v6, vcc, v6, v8
	v_addc_co_u32_e32 v7, vcc, v7, v9, vcc
	v_mov_b32_e32 v8, s11
	v_add_co_u32_e32 v6, vcc, s10, v6
	v_addc_co_u32_e32 v7, vcc, v8, v7, vcc
	s_lshl_b64 s[6:7], s[18:19], 7
	v_mov_b32_e32 v8, s12
	v_add_u32_e32 v13, v12, v10
	v_mov_b32_e32 v14, 0
	s_mov_b64 s[10:11], 0
	v_mov_b32_e32 v15, s5
	v_mov_b32_e32 v16, s7
	;; [unrolled: 1-line block ×4, first 2 shown]
.LBB1737_2:                             ; =>This Inner Loop Header: Depth=1
	flat_load_dwordx2 v[18:19], v[6:7]
	s_add_u32 s10, s10, 16
	v_add_co_u32_e32 v6, vcc, s6, v6
	v_addc_co_u32_e32 v7, vcc, v7, v16, vcc
	s_addc_u32 s11, s11, 0
	v_cmp_lt_i64_e32 vcc, s[10:11], v[8:9]
	s_and_b64 vcc, exec, vcc
	s_waitcnt vmcnt(0) lgkmcnt(0)
	ds_write_b64 v11, v[18:19]
	flat_load_dwordx2 v[18:19], v[0:1]
	v_add_co_u32_e64 v0, s[0:1], s4, v0
	v_addc_co_u32_e64 v1, s[0:1], v1, v15, s[0:1]
	s_waitcnt vmcnt(0) lgkmcnt(0)
	v_xor_b32_e32 v19, 0x80000000, v19
	ds_write_b64 v13, v[18:19]
	s_waitcnt lgkmcnt(0)
	s_barrier
	ds_read2_b64 v[18:21], v10 offset1:16
	ds_read_b128 v[22:25], v12
	ds_read_b128 v[26:29], v12 offset:16
	ds_read2_b64 v[30:33], v10 offset0:32 offset1:48
	ds_read2_b64 v[34:37], v10 offset0:64 offset1:80
	ds_read_b128 v[38:41], v12 offset:32
	ds_read_b128 v[42:45], v12 offset:48
	ds_read2_b64 v[46:49], v10 offset0:96 offset1:112
	ds_read2_b64 v[50:53], v10 offset0:128 offset1:144
	ds_read_b128 v[54:57], v12 offset:64
	s_waitcnt lgkmcnt(8)
	v_mul_f32_e32 v58, v23, v19
	v_mul_f32_e32 v59, v22, v19
	;; [unrolled: 1-line block ×4, first 2 shown]
	v_fma_f32 v58, v22, v18, -v58
	v_fmac_f32_e32 v59, v23, v18
	v_fma_f32 v61, v24, v20, -v19
	v_fmac_f32_e32 v60, v25, v20
	s_waitcnt lgkmcnt(6)
	v_mul_f32_e32 v22, v27, v31
	v_mul_f32_e32 v62, v26, v31
	;; [unrolled: 1-line block ×3, first 2 shown]
	v_add_f32_e32 v17, v17, v58
	v_add_f32_e32 v14, v14, v59
	ds_read_b128 v[18:21], v12 offset:80
	v_mul_f32_e32 v63, v28, v33
	v_fma_f32 v64, v26, v30, -v22
	v_fmac_f32_e32 v62, v27, v30
	v_fma_f32 v65, v28, v32, -v23
	ds_read2_b64 v[22:25], v10 offset0:160 offset1:176
	v_add_f32_e32 v17, v17, v61
	v_add_f32_e32 v14, v14, v60
	v_fmac_f32_e32 v63, v29, v32
	s_waitcnt lgkmcnt(6)
	v_mul_f32_e32 v26, v39, v35
	v_mul_f32_e32 v66, v38, v35
	v_add_f32_e32 v17, v17, v64
	v_add_f32_e32 v14, v14, v62
	v_mul_f32_e32 v27, v41, v37
	v_mul_f32_e32 v67, v40, v37
	v_fma_f32 v38, v38, v34, -v26
	v_fmac_f32_e32 v66, v39, v34
	v_add_f32_e32 v17, v17, v65
	v_add_f32_e32 v14, v14, v63
	v_fma_f32 v39, v40, v36, -v27
	v_fmac_f32_e32 v67, v41, v36
	s_waitcnt lgkmcnt(4)
	v_mul_f32_e32 v30, v43, v47
	v_mul_f32_e32 v40, v42, v47
	;; [unrolled: 1-line block ×3, first 2 shown]
	v_add_f32_e32 v17, v17, v38
	v_add_f32_e32 v14, v14, v66
	ds_read2_b64 v[26:29], v10 offset0:192 offset1:208
	v_mul_f32_e32 v41, v44, v49
	v_fma_f32 v42, v42, v46, -v30
	v_fmac_f32_e32 v40, v43, v46
	v_fma_f32 v43, v44, v48, -v31
	ds_read_b128 v[30:33], v12 offset:96
	v_add_f32_e32 v17, v17, v39
	v_add_f32_e32 v14, v14, v67
	v_fmac_f32_e32 v41, v45, v48
	s_waitcnt lgkmcnt(4)
	v_mul_f32_e32 v34, v55, v51
	v_mul_f32_e32 v44, v54, v51
	;; [unrolled: 1-line block ×3, first 2 shown]
	s_waitcnt lgkmcnt(2)
	v_mul_f32_e32 v48, v19, v23
	v_mul_f32_e32 v23, v18, v23
	v_mul_f32_e32 v49, v21, v25
	v_mul_f32_e32 v25, v20, v25
	v_add_f32_e32 v17, v17, v42
	v_add_f32_e32 v14, v14, v40
	v_mul_f32_e32 v45, v56, v53
	v_fma_f32 v46, v54, v50, -v34
	v_fmac_f32_e32 v44, v55, v50
	v_fma_f32 v47, v56, v52, -v35
	ds_read_b128 v[34:37], v12 offset:112
	v_fma_f32 v48, v18, v22, -v48
	v_fmac_f32_e32 v23, v19, v22
	v_fma_f32 v22, v20, v24, -v49
	v_fmac_f32_e32 v25, v21, v24
	ds_read2_b64 v[18:21], v10 offset0:224 offset1:240
	v_add_f32_e32 v17, v17, v43
	v_add_f32_e32 v14, v14, v41
	v_fmac_f32_e32 v45, v57, v52
	v_add_f32_e32 v17, v17, v46
	v_add_f32_e32 v14, v14, v44
	;; [unrolled: 1-line block ×4, first 2 shown]
	s_waitcnt lgkmcnt(2)
	v_mul_f32_e32 v24, v31, v27
	v_mul_f32_e32 v27, v30, v27
	v_add_f32_e32 v17, v17, v48
	v_add_f32_e32 v14, v14, v23
	v_mul_f32_e32 v49, v33, v29
	v_mul_f32_e32 v29, v32, v29
	v_fma_f32 v24, v30, v26, -v24
	v_fmac_f32_e32 v27, v31, v26
	v_add_f32_e32 v17, v17, v22
	v_add_f32_e32 v14, v14, v25
	s_waitcnt lgkmcnt(0)
	v_mul_f32_e32 v50, v35, v19
	v_mul_f32_e32 v19, v34, v19
	v_fma_f32 v26, v32, v28, -v49
	v_fmac_f32_e32 v29, v33, v28
	v_add_f32_e32 v17, v17, v24
	v_add_f32_e32 v14, v14, v27
	v_mul_f32_e32 v28, v37, v21
	v_mul_f32_e32 v21, v36, v21
	v_fma_f32 v30, v34, v18, -v50
	v_fmac_f32_e32 v19, v35, v18
	v_add_f32_e32 v17, v17, v26
	v_add_f32_e32 v14, v14, v29
	v_fma_f32 v18, v36, v20, -v28
	v_fmac_f32_e32 v21, v37, v20
	v_add_f32_e32 v17, v17, v30
	v_add_f32_e32 v14, v14, v19
	;; [unrolled: 1-line block ×4, first 2 shown]
	s_barrier
	s_cbranch_vccnz .LBB1737_2
; %bb.3:
	v_cmp_le_i32_e32 vcc, v2, v4
	s_and_saveexec_b64 s[0:1], vcc
	s_cbranch_execnz .LBB1737_6
.LBB1737_4:
	s_endpgm
.LBB1737_5:
	v_mov_b32_e32 v14, 0
	v_mov_b32_e32 v17, 0
	v_cmp_le_i32_e32 vcc, v2, v4
	s_and_saveexec_b64 s[0:1], vcc
	s_cbranch_execz .LBB1737_4
.LBB1737_6:
	v_mul_lo_u32 v7, s3, v4
	v_mul_lo_u32 v8, s2, v5
	v_mad_u64_u32 v[0:1], s[0:1], s2, v4, 0
	v_mul_f32_e32 v6, s15, v14
	v_fma_f32 v5, v17, s14, -v6
	v_add3_u32 v1, v1, v8, v7
	v_lshlrev_b64 v[0:1], 3, v[0:1]
	s_waitcnt lgkmcnt(0)
	v_mov_b32_e32 v7, s9
	v_add_co_u32_e32 v8, vcc, s8, v0
	v_addc_co_u32_e32 v7, vcc, v7, v1, vcc
	v_lshlrev_b64 v[0:1], 3, v[2:3]
	v_mul_f32_e32 v6, s14, v14
	v_add_co_u32_e32 v0, vcc, v8, v0
	v_addc_co_u32_e32 v1, vcc, v7, v1, vcc
	v_fmac_f32_e32 v6, s15, v17
	v_cmp_eq_u32_e32 vcc, v2, v4
	flat_store_dwordx2 v[0:1], v[5:6]
	s_and_b64 exec, exec, vcc
	s_cbranch_execz .LBB1737_4
; %bb.7:
	v_mov_b32_e32 v2, 0
	flat_store_dword v[0:1], v2 offset:4
	s_endpgm
	.section	.rodata,"a",@progbits
	.p2align	6, 0x0
	.amdhsa_kernel _ZL41rocblas_syrkx_herkx_small_restrict_kernelIl19rocblas_complex_numIfELi16ELb1ELb1ELc78ELc85EKPKS1_KPS1_EviT_T0_PT6_S7_lSA_S7_lS8_PT7_S7_li
		.amdhsa_group_segment_fixed_size 4096
		.amdhsa_private_segment_fixed_size 0
		.amdhsa_kernarg_size 108
		.amdhsa_user_sgpr_count 6
		.amdhsa_user_sgpr_private_segment_buffer 1
		.amdhsa_user_sgpr_dispatch_ptr 0
		.amdhsa_user_sgpr_queue_ptr 0
		.amdhsa_user_sgpr_kernarg_segment_ptr 1
		.amdhsa_user_sgpr_dispatch_id 0
		.amdhsa_user_sgpr_flat_scratch_init 0
		.amdhsa_user_sgpr_private_segment_size 0
		.amdhsa_uses_dynamic_stack 0
		.amdhsa_system_sgpr_private_segment_wavefront_offset 0
		.amdhsa_system_sgpr_workgroup_id_x 1
		.amdhsa_system_sgpr_workgroup_id_y 1
		.amdhsa_system_sgpr_workgroup_id_z 1
		.amdhsa_system_sgpr_workgroup_info 0
		.amdhsa_system_vgpr_workitem_id 1
		.amdhsa_next_free_vgpr 68
		.amdhsa_next_free_sgpr 22
		.amdhsa_reserve_vcc 1
		.amdhsa_reserve_flat_scratch 0
		.amdhsa_float_round_mode_32 0
		.amdhsa_float_round_mode_16_64 0
		.amdhsa_float_denorm_mode_32 3
		.amdhsa_float_denorm_mode_16_64 3
		.amdhsa_dx10_clamp 1
		.amdhsa_ieee_mode 1
		.amdhsa_fp16_overflow 0
		.amdhsa_exception_fp_ieee_invalid_op 0
		.amdhsa_exception_fp_denorm_src 0
		.amdhsa_exception_fp_ieee_div_zero 0
		.amdhsa_exception_fp_ieee_overflow 0
		.amdhsa_exception_fp_ieee_underflow 0
		.amdhsa_exception_fp_ieee_inexact 0
		.amdhsa_exception_int_div_zero 0
	.end_amdhsa_kernel
	.section	.text._ZL41rocblas_syrkx_herkx_small_restrict_kernelIl19rocblas_complex_numIfELi16ELb1ELb1ELc78ELc85EKPKS1_KPS1_EviT_T0_PT6_S7_lSA_S7_lS8_PT7_S7_li,"axG",@progbits,_ZL41rocblas_syrkx_herkx_small_restrict_kernelIl19rocblas_complex_numIfELi16ELb1ELb1ELc78ELc85EKPKS1_KPS1_EviT_T0_PT6_S7_lSA_S7_lS8_PT7_S7_li,comdat
.Lfunc_end1737:
	.size	_ZL41rocblas_syrkx_herkx_small_restrict_kernelIl19rocblas_complex_numIfELi16ELb1ELb1ELc78ELc85EKPKS1_KPS1_EviT_T0_PT6_S7_lSA_S7_lS8_PT7_S7_li, .Lfunc_end1737-_ZL41rocblas_syrkx_herkx_small_restrict_kernelIl19rocblas_complex_numIfELi16ELb1ELb1ELc78ELc85EKPKS1_KPS1_EviT_T0_PT6_S7_lSA_S7_lS8_PT7_S7_li
                                        ; -- End function
	.set _ZL41rocblas_syrkx_herkx_small_restrict_kernelIl19rocblas_complex_numIfELi16ELb1ELb1ELc78ELc85EKPKS1_KPS1_EviT_T0_PT6_S7_lSA_S7_lS8_PT7_S7_li.num_vgpr, 68
	.set _ZL41rocblas_syrkx_herkx_small_restrict_kernelIl19rocblas_complex_numIfELi16ELb1ELb1ELc78ELc85EKPKS1_KPS1_EviT_T0_PT6_S7_lSA_S7_lS8_PT7_S7_li.num_agpr, 0
	.set _ZL41rocblas_syrkx_herkx_small_restrict_kernelIl19rocblas_complex_numIfELi16ELb1ELb1ELc78ELc85EKPKS1_KPS1_EviT_T0_PT6_S7_lSA_S7_lS8_PT7_S7_li.numbered_sgpr, 22
	.set _ZL41rocblas_syrkx_herkx_small_restrict_kernelIl19rocblas_complex_numIfELi16ELb1ELb1ELc78ELc85EKPKS1_KPS1_EviT_T0_PT6_S7_lSA_S7_lS8_PT7_S7_li.num_named_barrier, 0
	.set _ZL41rocblas_syrkx_herkx_small_restrict_kernelIl19rocblas_complex_numIfELi16ELb1ELb1ELc78ELc85EKPKS1_KPS1_EviT_T0_PT6_S7_lSA_S7_lS8_PT7_S7_li.private_seg_size, 0
	.set _ZL41rocblas_syrkx_herkx_small_restrict_kernelIl19rocblas_complex_numIfELi16ELb1ELb1ELc78ELc85EKPKS1_KPS1_EviT_T0_PT6_S7_lSA_S7_lS8_PT7_S7_li.uses_vcc, 1
	.set _ZL41rocblas_syrkx_herkx_small_restrict_kernelIl19rocblas_complex_numIfELi16ELb1ELb1ELc78ELc85EKPKS1_KPS1_EviT_T0_PT6_S7_lSA_S7_lS8_PT7_S7_li.uses_flat_scratch, 0
	.set _ZL41rocblas_syrkx_herkx_small_restrict_kernelIl19rocblas_complex_numIfELi16ELb1ELb1ELc78ELc85EKPKS1_KPS1_EviT_T0_PT6_S7_lSA_S7_lS8_PT7_S7_li.has_dyn_sized_stack, 0
	.set _ZL41rocblas_syrkx_herkx_small_restrict_kernelIl19rocblas_complex_numIfELi16ELb1ELb1ELc78ELc85EKPKS1_KPS1_EviT_T0_PT6_S7_lSA_S7_lS8_PT7_S7_li.has_recursion, 0
	.set _ZL41rocblas_syrkx_herkx_small_restrict_kernelIl19rocblas_complex_numIfELi16ELb1ELb1ELc78ELc85EKPKS1_KPS1_EviT_T0_PT6_S7_lSA_S7_lS8_PT7_S7_li.has_indirect_call, 0
	.section	.AMDGPU.csdata,"",@progbits
; Kernel info:
; codeLenInByte = 1180
; TotalNumSgprs: 26
; NumVgprs: 68
; ScratchSize: 0
; MemoryBound: 0
; FloatMode: 240
; IeeeMode: 1
; LDSByteSize: 4096 bytes/workgroup (compile time only)
; SGPRBlocks: 3
; VGPRBlocks: 16
; NumSGPRsForWavesPerEU: 26
; NumVGPRsForWavesPerEU: 68
; Occupancy: 3
; WaveLimiterHint : 1
; COMPUTE_PGM_RSRC2:SCRATCH_EN: 0
; COMPUTE_PGM_RSRC2:USER_SGPR: 6
; COMPUTE_PGM_RSRC2:TRAP_HANDLER: 0
; COMPUTE_PGM_RSRC2:TGID_X_EN: 1
; COMPUTE_PGM_RSRC2:TGID_Y_EN: 1
; COMPUTE_PGM_RSRC2:TGID_Z_EN: 1
; COMPUTE_PGM_RSRC2:TIDIG_COMP_CNT: 1
	.section	.text._ZL41rocblas_syrkx_herkx_small_restrict_kernelIl19rocblas_complex_numIfELi16ELb0ELb1ELc84ELc76EKPKS1_KPS1_EviT_T0_PT6_S7_lSA_S7_lS8_PT7_S7_li,"axG",@progbits,_ZL41rocblas_syrkx_herkx_small_restrict_kernelIl19rocblas_complex_numIfELi16ELb0ELb1ELc84ELc76EKPKS1_KPS1_EviT_T0_PT6_S7_lSA_S7_lS8_PT7_S7_li,comdat
	.globl	_ZL41rocblas_syrkx_herkx_small_restrict_kernelIl19rocblas_complex_numIfELi16ELb0ELb1ELc84ELc76EKPKS1_KPS1_EviT_T0_PT6_S7_lSA_S7_lS8_PT7_S7_li ; -- Begin function _ZL41rocblas_syrkx_herkx_small_restrict_kernelIl19rocblas_complex_numIfELi16ELb0ELb1ELc84ELc76EKPKS1_KPS1_EviT_T0_PT6_S7_lSA_S7_lS8_PT7_S7_li
	.p2align	8
	.type	_ZL41rocblas_syrkx_herkx_small_restrict_kernelIl19rocblas_complex_numIfELi16ELb0ELb1ELc84ELc76EKPKS1_KPS1_EviT_T0_PT6_S7_lSA_S7_lS8_PT7_S7_li,@function
_ZL41rocblas_syrkx_herkx_small_restrict_kernelIl19rocblas_complex_numIfELi16ELb0ELb1ELc84ELc76EKPKS1_KPS1_EviT_T0_PT6_S7_lSA_S7_lS8_PT7_S7_li: ; @_ZL41rocblas_syrkx_herkx_small_restrict_kernelIl19rocblas_complex_numIfELi16ELb0ELb1ELc84ELc76EKPKS1_KPS1_EviT_T0_PT6_S7_lSA_S7_lS8_PT7_S7_li
; %bb.0:
	s_load_dwordx4 s[20:23], s[4:5], 0x48
	s_load_dwordx2 s[10:11], s[4:5], 0x58
	s_load_dwordx8 s[12:19], s[4:5], 0x8
	s_mov_b32 s9, 0
	s_lshl_b64 s[0:1], s[8:9], 3
	s_waitcnt lgkmcnt(0)
	s_add_u32 s2, s22, s0
	s_addc_u32 s3, s23, s1
	s_load_dwordx2 s[8:9], s[2:3], 0x0
	v_cmp_lt_i64_e64 s[2:3], s[12:13], 1
	v_lshl_add_u32 v2, s6, 4, v0
	v_lshl_add_u32 v8, s7, 4, v1
	s_and_b64 vcc, exec, s[2:3]
	v_ashrrev_i32_e32 v3, 31, v2
	v_ashrrev_i32_e32 v9, 31, v8
	s_cbranch_vccnz .LBB1738_5
; %bb.1:
	s_load_dwordx4 s[4:7], s[4:5], 0x30
	v_mad_u64_u32 v[4:5], s[2:3], s18, v2, 0
	v_mul_lo_u32 v6, s19, v2
	v_mul_lo_u32 v7, s18, v3
	s_waitcnt lgkmcnt(0)
	s_add_u32 s2, s4, s0
	s_addc_u32 s3, s5, s1
	s_add_u32 s0, s16, s0
	s_addc_u32 s1, s17, s1
	s_load_dwordx2 s[0:1], s[0:1], 0x0
	v_lshlrev_b32_e32 v11, 3, v1
	v_add3_u32 v5, v5, v7, v6
	v_lshlrev_b64 v[4:5], 3, v[4:5]
	s_load_dwordx2 s[2:3], s[2:3], 0x0
	s_waitcnt lgkmcnt(0)
	v_mov_b32_e32 v6, s1
	v_add_co_u32_e32 v7, vcc, s0, v11
	v_addc_co_u32_e32 v6, vcc, 0, v6, vcc
	v_add_co_u32_e32 v4, vcc, v7, v4
	v_addc_co_u32_e32 v5, vcc, v6, v5, vcc
	v_mul_lo_u32 v13, s7, v8
	v_mul_lo_u32 v14, s6, v9
	v_mad_u64_u32 v[6:7], s[0:1], s6, v8, 0
	v_lshlrev_b32_e32 v11, 3, v0
	v_mov_b32_e32 v0, s3
	v_add3_u32 v7, v7, v14, v13
	v_add_co_u32_e32 v13, vcc, s2, v11
	v_lshlrev_b32_e32 v15, 7, v1
	v_addc_co_u32_e32 v14, vcc, 0, v0, vcc
	v_lshlrev_b64 v[0:1], 3, v[6:7]
	v_mov_b32_e32 v6, s12
	v_add_co_u32_e32 v0, vcc, v13, v0
	v_addc_co_u32_e32 v1, vcc, v14, v1, vcc
	v_add_u32_e32 v14, 0x800, v15
	v_mov_b32_e32 v10, 0
	v_add_u32_e32 v12, v11, v15
	v_add_u32_e32 v15, v14, v11
	s_mov_b64 s[4:5], 0
	v_mov_b32_e32 v7, s13
	v_mov_b32_e32 v13, 0
.LBB1738_2:                             ; =>This Inner Loop Header: Depth=1
	flat_load_dwordx2 v[16:17], v[4:5]
	s_add_u32 s4, s4, 16
	s_addc_u32 s5, s5, 0
	v_cmp_lt_i64_e32 vcc, s[4:5], v[6:7]
	s_and_b64 s[0:1], exec, vcc
	s_waitcnt vmcnt(0) lgkmcnt(0)
	ds_write_b64 v12, v[16:17]
	flat_load_dwordx2 v[16:17], v[0:1]
	v_add_co_u32_e32 v0, vcc, 0x80, v0
	s_mov_b64 s[2:3], vcc
	v_add_co_u32_e32 v4, vcc, 0x80, v4
	v_addc_co_u32_e32 v5, vcc, 0, v5, vcc
	v_addc_co_u32_e64 v1, s[2:3], 0, v1, s[2:3]
	s_mov_b64 vcc, s[0:1]
	s_waitcnt vmcnt(0) lgkmcnt(0)
	ds_write_b64 v15, v[16:17]
	s_waitcnt lgkmcnt(0)
	s_barrier
	ds_read2_b64 v[16:19], v11 offset1:16
	ds_read_b128 v[20:23], v14
	ds_read_b128 v[24:27], v14 offset:16
	ds_read2_b64 v[28:31], v11 offset0:32 offset1:48
	ds_read2_b64 v[32:35], v11 offset0:64 offset1:80
	ds_read_b128 v[36:39], v14 offset:32
	ds_read_b128 v[40:43], v14 offset:48
	ds_read2_b64 v[44:47], v11 offset0:96 offset1:112
	ds_read2_b64 v[48:51], v11 offset0:128 offset1:144
	ds_read_b128 v[52:55], v14 offset:64
	ds_read_b128 v[56:59], v14 offset:80
	s_waitcnt lgkmcnt(9)
	v_mul_f32_e32 v60, v21, v17
	v_mul_f32_e32 v61, v20, v17
	;; [unrolled: 1-line block ×4, first 2 shown]
	v_fma_f32 v60, v20, v16, -v60
	v_fmac_f32_e32 v61, v21, v16
	v_fma_f32 v63, v22, v18, -v17
	v_fmac_f32_e32 v62, v23, v18
	s_waitcnt lgkmcnt(7)
	v_mul_f32_e32 v20, v25, v29
	v_mul_f32_e32 v64, v24, v29
	v_add_f32_e32 v13, v13, v60
	v_add_f32_e32 v10, v10, v61
	v_mul_f32_e32 v21, v27, v31
	v_mul_f32_e32 v65, v26, v31
	v_fma_f32 v66, v24, v28, -v20
	v_fmac_f32_e32 v64, v25, v28
	v_add_f32_e32 v13, v13, v63
	v_add_f32_e32 v10, v10, v62
	v_fma_f32 v67, v26, v30, -v21
	v_fmac_f32_e32 v65, v27, v30
	s_waitcnt lgkmcnt(5)
	v_mul_f32_e32 v24, v37, v33
	v_mul_f32_e32 v68, v36, v33
	v_add_f32_e32 v13, v13, v66
	v_add_f32_e32 v10, v10, v64
	ds_read2_b64 v[16:19], v11 offset0:160 offset1:176
	v_mul_f32_e32 v25, v39, v35
	v_mul_f32_e32 v69, v38, v35
	v_fma_f32 v36, v36, v32, -v24
	v_fmac_f32_e32 v68, v37, v32
	v_add_f32_e32 v13, v13, v67
	v_add_f32_e32 v10, v10, v65
	v_fma_f32 v37, v38, v34, -v25
	v_fmac_f32_e32 v69, v39, v34
	s_waitcnt lgkmcnt(4)
	v_mul_f32_e32 v28, v41, v45
	v_mul_f32_e32 v38, v40, v45
	v_add_f32_e32 v13, v13, v36
	v_add_f32_e32 v10, v10, v68
	ds_read2_b64 v[20:23], v11 offset0:192 offset1:208
	ds_read_b128 v[24:27], v14 offset:96
	v_mul_f32_e32 v29, v43, v47
	v_mul_f32_e32 v39, v42, v47
	v_fma_f32 v40, v40, v44, -v28
	v_fmac_f32_e32 v38, v41, v44
	v_add_f32_e32 v13, v13, v37
	v_add_f32_e32 v10, v10, v69
	v_fma_f32 v41, v42, v46, -v29
	v_fmac_f32_e32 v39, v43, v46
	s_waitcnt lgkmcnt(4)
	v_mul_f32_e32 v32, v53, v49
	v_mul_f32_e32 v42, v52, v49
	;; [unrolled: 1-line block ×3, first 2 shown]
	v_add_f32_e32 v13, v13, v40
	v_add_f32_e32 v10, v10, v38
	ds_read_b128 v[28:31], v14 offset:112
	v_mul_f32_e32 v43, v54, v51
	v_fma_f32 v44, v52, v48, -v32
	v_fmac_f32_e32 v42, v53, v48
	v_fma_f32 v45, v54, v50, -v33
	ds_read2_b64 v[32:35], v11 offset0:224 offset1:240
	v_add_f32_e32 v13, v13, v41
	v_add_f32_e32 v10, v10, v39
	v_fmac_f32_e32 v43, v55, v50
	s_waitcnt lgkmcnt(4)
	v_mul_f32_e32 v46, v57, v17
	v_mul_f32_e32 v17, v56, v17
	v_add_f32_e32 v13, v13, v44
	v_add_f32_e32 v10, v10, v42
	v_mul_f32_e32 v47, v59, v19
	v_mul_f32_e32 v19, v58, v19
	v_fma_f32 v46, v56, v16, -v46
	v_fmac_f32_e32 v17, v57, v16
	v_add_f32_e32 v13, v13, v45
	v_add_f32_e32 v10, v10, v43
	v_fma_f32 v16, v58, v18, -v47
	v_fmac_f32_e32 v19, v59, v18
	s_waitcnt lgkmcnt(2)
	v_mul_f32_e32 v18, v25, v21
	v_mul_f32_e32 v21, v24, v21
	v_add_f32_e32 v13, v13, v46
	v_add_f32_e32 v10, v10, v17
	v_mul_f32_e32 v47, v27, v23
	v_mul_f32_e32 v23, v26, v23
	v_fma_f32 v18, v24, v20, -v18
	v_fmac_f32_e32 v21, v25, v20
	v_add_f32_e32 v13, v13, v16
	v_add_f32_e32 v10, v10, v19
	s_waitcnt lgkmcnt(0)
	v_mul_f32_e32 v48, v29, v33
	v_mul_f32_e32 v33, v28, v33
	v_fma_f32 v20, v26, v22, -v47
	v_fmac_f32_e32 v23, v27, v22
	v_add_f32_e32 v13, v13, v18
	v_add_f32_e32 v10, v10, v21
	v_mul_f32_e32 v49, v31, v35
	v_mul_f32_e32 v35, v30, v35
	v_fma_f32 v22, v28, v32, -v48
	v_fmac_f32_e32 v33, v29, v32
	v_add_f32_e32 v13, v13, v20
	v_add_f32_e32 v10, v10, v23
	v_fma_f32 v24, v30, v34, -v49
	v_fmac_f32_e32 v35, v31, v34
	v_add_f32_e32 v13, v13, v22
	v_add_f32_e32 v10, v10, v33
	;; [unrolled: 1-line block ×4, first 2 shown]
	s_barrier
	s_cbranch_vccnz .LBB1738_2
; %bb.3:
	v_cmp_le_i32_e32 vcc, v8, v2
	s_and_saveexec_b64 s[0:1], vcc
	s_cbranch_execnz .LBB1738_6
.LBB1738_4:
	s_endpgm
.LBB1738_5:
	v_mov_b32_e32 v10, 0
	v_mov_b32_e32 v13, 0
	v_cmp_le_i32_e32 vcc, v8, v2
	s_and_saveexec_b64 s[0:1], vcc
	s_cbranch_execz .LBB1738_4
.LBB1738_6:
	v_mul_lo_u32 v4, s11, v8
	v_mul_lo_u32 v5, s10, v9
	v_mad_u64_u32 v[0:1], s[0:1], s10, v8, 0
	v_mul_f32_e32 v6, s14, v10
	v_fmac_f32_e32 v6, s15, v13
	v_add3_u32 v1, v1, v5, v4
	v_lshlrev_b64 v[0:1], 3, v[0:1]
	s_waitcnt lgkmcnt(0)
	v_mov_b32_e32 v4, s9
	v_add_co_u32_e32 v5, vcc, s8, v0
	v_addc_co_u32_e32 v4, vcc, v4, v1, vcc
	v_lshlrev_b64 v[0:1], 3, v[2:3]
	v_add_co_u32_e32 v0, vcc, v5, v0
	v_addc_co_u32_e32 v1, vcc, v4, v1, vcc
	flat_load_dwordx2 v[3:4], v[0:1]
	v_mul_f32_e32 v5, s15, v10
	v_fma_f32 v5, v13, s14, -v5
	v_cmp_eq_u32_e32 vcc, v2, v8
	s_waitcnt vmcnt(0) lgkmcnt(0)
	v_mul_f32_e32 v7, s21, v4
	v_mul_f32_e32 v4, s20, v4
	v_fma_f32 v7, v3, s20, -v7
	v_fmac_f32_e32 v4, s21, v3
	v_add_f32_e32 v3, v5, v7
	v_add_f32_e32 v4, v6, v4
	flat_store_dwordx2 v[0:1], v[3:4]
	s_and_b64 exec, exec, vcc
	s_cbranch_execz .LBB1738_4
; %bb.7:
	v_mov_b32_e32 v2, 0
	flat_store_dword v[0:1], v2 offset:4
	s_endpgm
	.section	.rodata,"a",@progbits
	.p2align	6, 0x0
	.amdhsa_kernel _ZL41rocblas_syrkx_herkx_small_restrict_kernelIl19rocblas_complex_numIfELi16ELb0ELb1ELc84ELc76EKPKS1_KPS1_EviT_T0_PT6_S7_lSA_S7_lS8_PT7_S7_li
		.amdhsa_group_segment_fixed_size 4096
		.amdhsa_private_segment_fixed_size 0
		.amdhsa_kernarg_size 108
		.amdhsa_user_sgpr_count 6
		.amdhsa_user_sgpr_private_segment_buffer 1
		.amdhsa_user_sgpr_dispatch_ptr 0
		.amdhsa_user_sgpr_queue_ptr 0
		.amdhsa_user_sgpr_kernarg_segment_ptr 1
		.amdhsa_user_sgpr_dispatch_id 0
		.amdhsa_user_sgpr_flat_scratch_init 0
		.amdhsa_user_sgpr_private_segment_size 0
		.amdhsa_uses_dynamic_stack 0
		.amdhsa_system_sgpr_private_segment_wavefront_offset 0
		.amdhsa_system_sgpr_workgroup_id_x 1
		.amdhsa_system_sgpr_workgroup_id_y 1
		.amdhsa_system_sgpr_workgroup_id_z 1
		.amdhsa_system_sgpr_workgroup_info 0
		.amdhsa_system_vgpr_workitem_id 1
		.amdhsa_next_free_vgpr 70
		.amdhsa_next_free_sgpr 24
		.amdhsa_reserve_vcc 1
		.amdhsa_reserve_flat_scratch 0
		.amdhsa_float_round_mode_32 0
		.amdhsa_float_round_mode_16_64 0
		.amdhsa_float_denorm_mode_32 3
		.amdhsa_float_denorm_mode_16_64 3
		.amdhsa_dx10_clamp 1
		.amdhsa_ieee_mode 1
		.amdhsa_fp16_overflow 0
		.amdhsa_exception_fp_ieee_invalid_op 0
		.amdhsa_exception_fp_denorm_src 0
		.amdhsa_exception_fp_ieee_div_zero 0
		.amdhsa_exception_fp_ieee_overflow 0
		.amdhsa_exception_fp_ieee_underflow 0
		.amdhsa_exception_fp_ieee_inexact 0
		.amdhsa_exception_int_div_zero 0
	.end_amdhsa_kernel
	.section	.text._ZL41rocblas_syrkx_herkx_small_restrict_kernelIl19rocblas_complex_numIfELi16ELb0ELb1ELc84ELc76EKPKS1_KPS1_EviT_T0_PT6_S7_lSA_S7_lS8_PT7_S7_li,"axG",@progbits,_ZL41rocblas_syrkx_herkx_small_restrict_kernelIl19rocblas_complex_numIfELi16ELb0ELb1ELc84ELc76EKPKS1_KPS1_EviT_T0_PT6_S7_lSA_S7_lS8_PT7_S7_li,comdat
.Lfunc_end1738:
	.size	_ZL41rocblas_syrkx_herkx_small_restrict_kernelIl19rocblas_complex_numIfELi16ELb0ELb1ELc84ELc76EKPKS1_KPS1_EviT_T0_PT6_S7_lSA_S7_lS8_PT7_S7_li, .Lfunc_end1738-_ZL41rocblas_syrkx_herkx_small_restrict_kernelIl19rocblas_complex_numIfELi16ELb0ELb1ELc84ELc76EKPKS1_KPS1_EviT_T0_PT6_S7_lSA_S7_lS8_PT7_S7_li
                                        ; -- End function
	.set _ZL41rocblas_syrkx_herkx_small_restrict_kernelIl19rocblas_complex_numIfELi16ELb0ELb1ELc84ELc76EKPKS1_KPS1_EviT_T0_PT6_S7_lSA_S7_lS8_PT7_S7_li.num_vgpr, 70
	.set _ZL41rocblas_syrkx_herkx_small_restrict_kernelIl19rocblas_complex_numIfELi16ELb0ELb1ELc84ELc76EKPKS1_KPS1_EviT_T0_PT6_S7_lSA_S7_lS8_PT7_S7_li.num_agpr, 0
	.set _ZL41rocblas_syrkx_herkx_small_restrict_kernelIl19rocblas_complex_numIfELi16ELb0ELb1ELc84ELc76EKPKS1_KPS1_EviT_T0_PT6_S7_lSA_S7_lS8_PT7_S7_li.numbered_sgpr, 24
	.set _ZL41rocblas_syrkx_herkx_small_restrict_kernelIl19rocblas_complex_numIfELi16ELb0ELb1ELc84ELc76EKPKS1_KPS1_EviT_T0_PT6_S7_lSA_S7_lS8_PT7_S7_li.num_named_barrier, 0
	.set _ZL41rocblas_syrkx_herkx_small_restrict_kernelIl19rocblas_complex_numIfELi16ELb0ELb1ELc84ELc76EKPKS1_KPS1_EviT_T0_PT6_S7_lSA_S7_lS8_PT7_S7_li.private_seg_size, 0
	.set _ZL41rocblas_syrkx_herkx_small_restrict_kernelIl19rocblas_complex_numIfELi16ELb0ELb1ELc84ELc76EKPKS1_KPS1_EviT_T0_PT6_S7_lSA_S7_lS8_PT7_S7_li.uses_vcc, 1
	.set _ZL41rocblas_syrkx_herkx_small_restrict_kernelIl19rocblas_complex_numIfELi16ELb0ELb1ELc84ELc76EKPKS1_KPS1_EviT_T0_PT6_S7_lSA_S7_lS8_PT7_S7_li.uses_flat_scratch, 0
	.set _ZL41rocblas_syrkx_herkx_small_restrict_kernelIl19rocblas_complex_numIfELi16ELb0ELb1ELc84ELc76EKPKS1_KPS1_EviT_T0_PT6_S7_lSA_S7_lS8_PT7_S7_li.has_dyn_sized_stack, 0
	.set _ZL41rocblas_syrkx_herkx_small_restrict_kernelIl19rocblas_complex_numIfELi16ELb0ELb1ELc84ELc76EKPKS1_KPS1_EviT_T0_PT6_S7_lSA_S7_lS8_PT7_S7_li.has_recursion, 0
	.set _ZL41rocblas_syrkx_herkx_small_restrict_kernelIl19rocblas_complex_numIfELi16ELb0ELb1ELc84ELc76EKPKS1_KPS1_EviT_T0_PT6_S7_lSA_S7_lS8_PT7_S7_li.has_indirect_call, 0
	.section	.AMDGPU.csdata,"",@progbits
; Kernel info:
; codeLenInByte = 1228
; TotalNumSgprs: 28
; NumVgprs: 70
; ScratchSize: 0
; MemoryBound: 0
; FloatMode: 240
; IeeeMode: 1
; LDSByteSize: 4096 bytes/workgroup (compile time only)
; SGPRBlocks: 3
; VGPRBlocks: 17
; NumSGPRsForWavesPerEU: 28
; NumVGPRsForWavesPerEU: 70
; Occupancy: 3
; WaveLimiterHint : 1
; COMPUTE_PGM_RSRC2:SCRATCH_EN: 0
; COMPUTE_PGM_RSRC2:USER_SGPR: 6
; COMPUTE_PGM_RSRC2:TRAP_HANDLER: 0
; COMPUTE_PGM_RSRC2:TGID_X_EN: 1
; COMPUTE_PGM_RSRC2:TGID_Y_EN: 1
; COMPUTE_PGM_RSRC2:TGID_Z_EN: 1
; COMPUTE_PGM_RSRC2:TIDIG_COMP_CNT: 1
	.section	.text._ZL41rocblas_syrkx_herkx_small_restrict_kernelIl19rocblas_complex_numIfELi16ELb0ELb1ELc67ELc76EKPKS1_KPS1_EviT_T0_PT6_S7_lSA_S7_lS8_PT7_S7_li,"axG",@progbits,_ZL41rocblas_syrkx_herkx_small_restrict_kernelIl19rocblas_complex_numIfELi16ELb0ELb1ELc67ELc76EKPKS1_KPS1_EviT_T0_PT6_S7_lSA_S7_lS8_PT7_S7_li,comdat
	.globl	_ZL41rocblas_syrkx_herkx_small_restrict_kernelIl19rocblas_complex_numIfELi16ELb0ELb1ELc67ELc76EKPKS1_KPS1_EviT_T0_PT6_S7_lSA_S7_lS8_PT7_S7_li ; -- Begin function _ZL41rocblas_syrkx_herkx_small_restrict_kernelIl19rocblas_complex_numIfELi16ELb0ELb1ELc67ELc76EKPKS1_KPS1_EviT_T0_PT6_S7_lSA_S7_lS8_PT7_S7_li
	.p2align	8
	.type	_ZL41rocblas_syrkx_herkx_small_restrict_kernelIl19rocblas_complex_numIfELi16ELb0ELb1ELc67ELc76EKPKS1_KPS1_EviT_T0_PT6_S7_lSA_S7_lS8_PT7_S7_li,@function
_ZL41rocblas_syrkx_herkx_small_restrict_kernelIl19rocblas_complex_numIfELi16ELb0ELb1ELc67ELc76EKPKS1_KPS1_EviT_T0_PT6_S7_lSA_S7_lS8_PT7_S7_li: ; @_ZL41rocblas_syrkx_herkx_small_restrict_kernelIl19rocblas_complex_numIfELi16ELb0ELb1ELc67ELc76EKPKS1_KPS1_EviT_T0_PT6_S7_lSA_S7_lS8_PT7_S7_li
; %bb.0:
	s_load_dwordx4 s[20:23], s[4:5], 0x48
	s_load_dwordx2 s[10:11], s[4:5], 0x58
	s_load_dwordx8 s[12:19], s[4:5], 0x8
	s_mov_b32 s9, 0
	s_lshl_b64 s[0:1], s[8:9], 3
	s_waitcnt lgkmcnt(0)
	s_add_u32 s2, s22, s0
	s_addc_u32 s3, s23, s1
	s_load_dwordx2 s[8:9], s[2:3], 0x0
	v_cmp_lt_i64_e64 s[2:3], s[12:13], 1
	v_lshl_add_u32 v2, s6, 4, v0
	v_lshl_add_u32 v8, s7, 4, v1
	s_and_b64 vcc, exec, s[2:3]
	v_ashrrev_i32_e32 v3, 31, v2
	v_ashrrev_i32_e32 v9, 31, v8
	s_cbranch_vccnz .LBB1739_5
; %bb.1:
	s_load_dwordx4 s[4:7], s[4:5], 0x30
	v_mad_u64_u32 v[4:5], s[2:3], s18, v2, 0
	v_mul_lo_u32 v6, s19, v2
	v_mul_lo_u32 v7, s18, v3
	s_waitcnt lgkmcnt(0)
	s_add_u32 s2, s4, s0
	s_addc_u32 s3, s5, s1
	s_add_u32 s0, s16, s0
	s_addc_u32 s1, s17, s1
	s_load_dwordx2 s[0:1], s[0:1], 0x0
	v_lshlrev_b32_e32 v11, 3, v1
	v_add3_u32 v5, v5, v7, v6
	v_lshlrev_b64 v[4:5], 3, v[4:5]
	s_load_dwordx2 s[2:3], s[2:3], 0x0
	s_waitcnt lgkmcnt(0)
	v_mov_b32_e32 v6, s1
	v_add_co_u32_e32 v7, vcc, s0, v11
	v_addc_co_u32_e32 v6, vcc, 0, v6, vcc
	v_add_co_u32_e32 v4, vcc, v7, v4
	v_addc_co_u32_e32 v5, vcc, v6, v5, vcc
	v_mul_lo_u32 v13, s7, v8
	v_mul_lo_u32 v14, s6, v9
	v_mad_u64_u32 v[6:7], s[0:1], s6, v8, 0
	v_lshlrev_b32_e32 v11, 3, v0
	v_mov_b32_e32 v0, s3
	v_add3_u32 v7, v7, v14, v13
	v_add_co_u32_e32 v13, vcc, s2, v11
	v_lshlrev_b32_e32 v15, 7, v1
	v_addc_co_u32_e32 v14, vcc, 0, v0, vcc
	v_lshlrev_b64 v[0:1], 3, v[6:7]
	v_mov_b32_e32 v6, s12
	v_add_co_u32_e32 v0, vcc, v13, v0
	v_addc_co_u32_e32 v1, vcc, v14, v1, vcc
	v_add_u32_e32 v14, 0x800, v15
	v_mov_b32_e32 v10, 0
	v_add_u32_e32 v12, v11, v15
	v_add_u32_e32 v15, v14, v11
	s_mov_b64 s[4:5], 0
	v_mov_b32_e32 v7, s13
	v_mov_b32_e32 v13, 0
.LBB1739_2:                             ; =>This Inner Loop Header: Depth=1
	flat_load_dwordx2 v[16:17], v[4:5]
	s_add_u32 s4, s4, 16
	s_addc_u32 s5, s5, 0
	v_cmp_lt_i64_e32 vcc, s[4:5], v[6:7]
	s_and_b64 s[0:1], exec, vcc
	s_waitcnt vmcnt(0) lgkmcnt(0)
	v_xor_b32_e32 v17, 0x80000000, v17
	ds_write_b64 v12, v[16:17]
	flat_load_dwordx2 v[16:17], v[0:1]
	v_add_co_u32_e32 v0, vcc, 0x80, v0
	s_mov_b64 s[2:3], vcc
	v_add_co_u32_e32 v4, vcc, 0x80, v4
	v_addc_co_u32_e32 v5, vcc, 0, v5, vcc
	v_addc_co_u32_e64 v1, s[2:3], 0, v1, s[2:3]
	s_mov_b64 vcc, s[0:1]
	s_waitcnt vmcnt(0) lgkmcnt(0)
	ds_write_b64 v15, v[16:17]
	s_waitcnt lgkmcnt(0)
	s_barrier
	ds_read2_b64 v[16:19], v11 offset1:16
	ds_read_b128 v[20:23], v14
	ds_read_b128 v[24:27], v14 offset:16
	ds_read2_b64 v[28:31], v11 offset0:32 offset1:48
	ds_read2_b64 v[32:35], v11 offset0:64 offset1:80
	ds_read_b128 v[36:39], v14 offset:32
	ds_read_b128 v[40:43], v14 offset:48
	ds_read2_b64 v[44:47], v11 offset0:96 offset1:112
	ds_read2_b64 v[48:51], v11 offset0:128 offset1:144
	ds_read_b128 v[52:55], v14 offset:64
	ds_read_b128 v[56:59], v14 offset:80
	s_waitcnt lgkmcnt(9)
	v_mul_f32_e32 v60, v21, v17
	v_mul_f32_e32 v61, v20, v17
	;; [unrolled: 1-line block ×4, first 2 shown]
	v_fma_f32 v60, v20, v16, -v60
	v_fmac_f32_e32 v61, v21, v16
	v_fma_f32 v63, v22, v18, -v17
	v_fmac_f32_e32 v62, v23, v18
	s_waitcnt lgkmcnt(7)
	v_mul_f32_e32 v20, v25, v29
	v_mul_f32_e32 v64, v24, v29
	v_add_f32_e32 v13, v13, v60
	v_add_f32_e32 v10, v10, v61
	v_mul_f32_e32 v21, v27, v31
	v_mul_f32_e32 v65, v26, v31
	v_fma_f32 v66, v24, v28, -v20
	v_fmac_f32_e32 v64, v25, v28
	v_add_f32_e32 v13, v13, v63
	v_add_f32_e32 v10, v10, v62
	v_fma_f32 v67, v26, v30, -v21
	v_fmac_f32_e32 v65, v27, v30
	s_waitcnt lgkmcnt(5)
	v_mul_f32_e32 v24, v37, v33
	v_mul_f32_e32 v68, v36, v33
	v_add_f32_e32 v13, v13, v66
	v_add_f32_e32 v10, v10, v64
	ds_read2_b64 v[16:19], v11 offset0:160 offset1:176
	v_mul_f32_e32 v25, v39, v35
	v_mul_f32_e32 v69, v38, v35
	v_fma_f32 v36, v36, v32, -v24
	v_fmac_f32_e32 v68, v37, v32
	v_add_f32_e32 v13, v13, v67
	v_add_f32_e32 v10, v10, v65
	v_fma_f32 v37, v38, v34, -v25
	v_fmac_f32_e32 v69, v39, v34
	s_waitcnt lgkmcnt(4)
	v_mul_f32_e32 v28, v41, v45
	v_mul_f32_e32 v38, v40, v45
	v_add_f32_e32 v13, v13, v36
	v_add_f32_e32 v10, v10, v68
	ds_read2_b64 v[20:23], v11 offset0:192 offset1:208
	ds_read_b128 v[24:27], v14 offset:96
	v_mul_f32_e32 v29, v43, v47
	v_mul_f32_e32 v39, v42, v47
	v_fma_f32 v40, v40, v44, -v28
	v_fmac_f32_e32 v38, v41, v44
	v_add_f32_e32 v13, v13, v37
	v_add_f32_e32 v10, v10, v69
	v_fma_f32 v41, v42, v46, -v29
	v_fmac_f32_e32 v39, v43, v46
	s_waitcnt lgkmcnt(4)
	v_mul_f32_e32 v32, v53, v49
	v_mul_f32_e32 v42, v52, v49
	;; [unrolled: 1-line block ×3, first 2 shown]
	v_add_f32_e32 v13, v13, v40
	v_add_f32_e32 v10, v10, v38
	ds_read_b128 v[28:31], v14 offset:112
	v_mul_f32_e32 v43, v54, v51
	v_fma_f32 v44, v52, v48, -v32
	v_fmac_f32_e32 v42, v53, v48
	v_fma_f32 v45, v54, v50, -v33
	ds_read2_b64 v[32:35], v11 offset0:224 offset1:240
	v_add_f32_e32 v13, v13, v41
	v_add_f32_e32 v10, v10, v39
	v_fmac_f32_e32 v43, v55, v50
	s_waitcnt lgkmcnt(4)
	v_mul_f32_e32 v46, v57, v17
	v_mul_f32_e32 v17, v56, v17
	v_add_f32_e32 v13, v13, v44
	v_add_f32_e32 v10, v10, v42
	v_mul_f32_e32 v47, v59, v19
	v_mul_f32_e32 v19, v58, v19
	v_fma_f32 v46, v56, v16, -v46
	v_fmac_f32_e32 v17, v57, v16
	v_add_f32_e32 v13, v13, v45
	v_add_f32_e32 v10, v10, v43
	v_fma_f32 v16, v58, v18, -v47
	v_fmac_f32_e32 v19, v59, v18
	s_waitcnt lgkmcnt(2)
	v_mul_f32_e32 v18, v25, v21
	v_mul_f32_e32 v21, v24, v21
	v_add_f32_e32 v13, v13, v46
	v_add_f32_e32 v10, v10, v17
	v_mul_f32_e32 v47, v27, v23
	v_mul_f32_e32 v23, v26, v23
	v_fma_f32 v18, v24, v20, -v18
	v_fmac_f32_e32 v21, v25, v20
	v_add_f32_e32 v13, v13, v16
	v_add_f32_e32 v10, v10, v19
	s_waitcnt lgkmcnt(0)
	v_mul_f32_e32 v48, v29, v33
	v_mul_f32_e32 v33, v28, v33
	v_fma_f32 v20, v26, v22, -v47
	v_fmac_f32_e32 v23, v27, v22
	v_add_f32_e32 v13, v13, v18
	v_add_f32_e32 v10, v10, v21
	v_mul_f32_e32 v49, v31, v35
	v_mul_f32_e32 v35, v30, v35
	v_fma_f32 v22, v28, v32, -v48
	v_fmac_f32_e32 v33, v29, v32
	v_add_f32_e32 v13, v13, v20
	v_add_f32_e32 v10, v10, v23
	v_fma_f32 v24, v30, v34, -v49
	v_fmac_f32_e32 v35, v31, v34
	v_add_f32_e32 v13, v13, v22
	v_add_f32_e32 v10, v10, v33
	;; [unrolled: 1-line block ×4, first 2 shown]
	s_barrier
	s_cbranch_vccnz .LBB1739_2
; %bb.3:
	v_cmp_le_i32_e32 vcc, v8, v2
	s_and_saveexec_b64 s[0:1], vcc
	s_cbranch_execnz .LBB1739_6
.LBB1739_4:
	s_endpgm
.LBB1739_5:
	v_mov_b32_e32 v10, 0
	v_mov_b32_e32 v13, 0
	v_cmp_le_i32_e32 vcc, v8, v2
	s_and_saveexec_b64 s[0:1], vcc
	s_cbranch_execz .LBB1739_4
.LBB1739_6:
	v_mul_lo_u32 v4, s11, v8
	v_mul_lo_u32 v5, s10, v9
	v_mad_u64_u32 v[0:1], s[0:1], s10, v8, 0
	v_mul_f32_e32 v6, s14, v10
	v_fmac_f32_e32 v6, s15, v13
	v_add3_u32 v1, v1, v5, v4
	v_lshlrev_b64 v[0:1], 3, v[0:1]
	s_waitcnt lgkmcnt(0)
	v_mov_b32_e32 v4, s9
	v_add_co_u32_e32 v5, vcc, s8, v0
	v_addc_co_u32_e32 v4, vcc, v4, v1, vcc
	v_lshlrev_b64 v[0:1], 3, v[2:3]
	v_add_co_u32_e32 v0, vcc, v5, v0
	v_addc_co_u32_e32 v1, vcc, v4, v1, vcc
	flat_load_dwordx2 v[3:4], v[0:1]
	v_mul_f32_e32 v5, s15, v10
	v_fma_f32 v5, v13, s14, -v5
	v_cmp_eq_u32_e32 vcc, v2, v8
	s_waitcnt vmcnt(0) lgkmcnt(0)
	v_mul_f32_e32 v7, s21, v4
	v_mul_f32_e32 v4, s20, v4
	v_fma_f32 v7, v3, s20, -v7
	v_fmac_f32_e32 v4, s21, v3
	v_add_f32_e32 v3, v5, v7
	v_add_f32_e32 v4, v6, v4
	flat_store_dwordx2 v[0:1], v[3:4]
	s_and_b64 exec, exec, vcc
	s_cbranch_execz .LBB1739_4
; %bb.7:
	v_mov_b32_e32 v2, 0
	flat_store_dword v[0:1], v2 offset:4
	s_endpgm
	.section	.rodata,"a",@progbits
	.p2align	6, 0x0
	.amdhsa_kernel _ZL41rocblas_syrkx_herkx_small_restrict_kernelIl19rocblas_complex_numIfELi16ELb0ELb1ELc67ELc76EKPKS1_KPS1_EviT_T0_PT6_S7_lSA_S7_lS8_PT7_S7_li
		.amdhsa_group_segment_fixed_size 4096
		.amdhsa_private_segment_fixed_size 0
		.amdhsa_kernarg_size 108
		.amdhsa_user_sgpr_count 6
		.amdhsa_user_sgpr_private_segment_buffer 1
		.amdhsa_user_sgpr_dispatch_ptr 0
		.amdhsa_user_sgpr_queue_ptr 0
		.amdhsa_user_sgpr_kernarg_segment_ptr 1
		.amdhsa_user_sgpr_dispatch_id 0
		.amdhsa_user_sgpr_flat_scratch_init 0
		.amdhsa_user_sgpr_private_segment_size 0
		.amdhsa_uses_dynamic_stack 0
		.amdhsa_system_sgpr_private_segment_wavefront_offset 0
		.amdhsa_system_sgpr_workgroup_id_x 1
		.amdhsa_system_sgpr_workgroup_id_y 1
		.amdhsa_system_sgpr_workgroup_id_z 1
		.amdhsa_system_sgpr_workgroup_info 0
		.amdhsa_system_vgpr_workitem_id 1
		.amdhsa_next_free_vgpr 70
		.amdhsa_next_free_sgpr 24
		.amdhsa_reserve_vcc 1
		.amdhsa_reserve_flat_scratch 0
		.amdhsa_float_round_mode_32 0
		.amdhsa_float_round_mode_16_64 0
		.amdhsa_float_denorm_mode_32 3
		.amdhsa_float_denorm_mode_16_64 3
		.amdhsa_dx10_clamp 1
		.amdhsa_ieee_mode 1
		.amdhsa_fp16_overflow 0
		.amdhsa_exception_fp_ieee_invalid_op 0
		.amdhsa_exception_fp_denorm_src 0
		.amdhsa_exception_fp_ieee_div_zero 0
		.amdhsa_exception_fp_ieee_overflow 0
		.amdhsa_exception_fp_ieee_underflow 0
		.amdhsa_exception_fp_ieee_inexact 0
		.amdhsa_exception_int_div_zero 0
	.end_amdhsa_kernel
	.section	.text._ZL41rocblas_syrkx_herkx_small_restrict_kernelIl19rocblas_complex_numIfELi16ELb0ELb1ELc67ELc76EKPKS1_KPS1_EviT_T0_PT6_S7_lSA_S7_lS8_PT7_S7_li,"axG",@progbits,_ZL41rocblas_syrkx_herkx_small_restrict_kernelIl19rocblas_complex_numIfELi16ELb0ELb1ELc67ELc76EKPKS1_KPS1_EviT_T0_PT6_S7_lSA_S7_lS8_PT7_S7_li,comdat
.Lfunc_end1739:
	.size	_ZL41rocblas_syrkx_herkx_small_restrict_kernelIl19rocblas_complex_numIfELi16ELb0ELb1ELc67ELc76EKPKS1_KPS1_EviT_T0_PT6_S7_lSA_S7_lS8_PT7_S7_li, .Lfunc_end1739-_ZL41rocblas_syrkx_herkx_small_restrict_kernelIl19rocblas_complex_numIfELi16ELb0ELb1ELc67ELc76EKPKS1_KPS1_EviT_T0_PT6_S7_lSA_S7_lS8_PT7_S7_li
                                        ; -- End function
	.set _ZL41rocblas_syrkx_herkx_small_restrict_kernelIl19rocblas_complex_numIfELi16ELb0ELb1ELc67ELc76EKPKS1_KPS1_EviT_T0_PT6_S7_lSA_S7_lS8_PT7_S7_li.num_vgpr, 70
	.set _ZL41rocblas_syrkx_herkx_small_restrict_kernelIl19rocblas_complex_numIfELi16ELb0ELb1ELc67ELc76EKPKS1_KPS1_EviT_T0_PT6_S7_lSA_S7_lS8_PT7_S7_li.num_agpr, 0
	.set _ZL41rocblas_syrkx_herkx_small_restrict_kernelIl19rocblas_complex_numIfELi16ELb0ELb1ELc67ELc76EKPKS1_KPS1_EviT_T0_PT6_S7_lSA_S7_lS8_PT7_S7_li.numbered_sgpr, 24
	.set _ZL41rocblas_syrkx_herkx_small_restrict_kernelIl19rocblas_complex_numIfELi16ELb0ELb1ELc67ELc76EKPKS1_KPS1_EviT_T0_PT6_S7_lSA_S7_lS8_PT7_S7_li.num_named_barrier, 0
	.set _ZL41rocblas_syrkx_herkx_small_restrict_kernelIl19rocblas_complex_numIfELi16ELb0ELb1ELc67ELc76EKPKS1_KPS1_EviT_T0_PT6_S7_lSA_S7_lS8_PT7_S7_li.private_seg_size, 0
	.set _ZL41rocblas_syrkx_herkx_small_restrict_kernelIl19rocblas_complex_numIfELi16ELb0ELb1ELc67ELc76EKPKS1_KPS1_EviT_T0_PT6_S7_lSA_S7_lS8_PT7_S7_li.uses_vcc, 1
	.set _ZL41rocblas_syrkx_herkx_small_restrict_kernelIl19rocblas_complex_numIfELi16ELb0ELb1ELc67ELc76EKPKS1_KPS1_EviT_T0_PT6_S7_lSA_S7_lS8_PT7_S7_li.uses_flat_scratch, 0
	.set _ZL41rocblas_syrkx_herkx_small_restrict_kernelIl19rocblas_complex_numIfELi16ELb0ELb1ELc67ELc76EKPKS1_KPS1_EviT_T0_PT6_S7_lSA_S7_lS8_PT7_S7_li.has_dyn_sized_stack, 0
	.set _ZL41rocblas_syrkx_herkx_small_restrict_kernelIl19rocblas_complex_numIfELi16ELb0ELb1ELc67ELc76EKPKS1_KPS1_EviT_T0_PT6_S7_lSA_S7_lS8_PT7_S7_li.has_recursion, 0
	.set _ZL41rocblas_syrkx_herkx_small_restrict_kernelIl19rocblas_complex_numIfELi16ELb0ELb1ELc67ELc76EKPKS1_KPS1_EviT_T0_PT6_S7_lSA_S7_lS8_PT7_S7_li.has_indirect_call, 0
	.section	.AMDGPU.csdata,"",@progbits
; Kernel info:
; codeLenInByte = 1236
; TotalNumSgprs: 28
; NumVgprs: 70
; ScratchSize: 0
; MemoryBound: 0
; FloatMode: 240
; IeeeMode: 1
; LDSByteSize: 4096 bytes/workgroup (compile time only)
; SGPRBlocks: 3
; VGPRBlocks: 17
; NumSGPRsForWavesPerEU: 28
; NumVGPRsForWavesPerEU: 70
; Occupancy: 3
; WaveLimiterHint : 1
; COMPUTE_PGM_RSRC2:SCRATCH_EN: 0
; COMPUTE_PGM_RSRC2:USER_SGPR: 6
; COMPUTE_PGM_RSRC2:TRAP_HANDLER: 0
; COMPUTE_PGM_RSRC2:TGID_X_EN: 1
; COMPUTE_PGM_RSRC2:TGID_Y_EN: 1
; COMPUTE_PGM_RSRC2:TGID_Z_EN: 1
; COMPUTE_PGM_RSRC2:TIDIG_COMP_CNT: 1
	.section	.text._ZL41rocblas_syrkx_herkx_small_restrict_kernelIl19rocblas_complex_numIfELi16ELb0ELb1ELc78ELc76EKPKS1_KPS1_EviT_T0_PT6_S7_lSA_S7_lS8_PT7_S7_li,"axG",@progbits,_ZL41rocblas_syrkx_herkx_small_restrict_kernelIl19rocblas_complex_numIfELi16ELb0ELb1ELc78ELc76EKPKS1_KPS1_EviT_T0_PT6_S7_lSA_S7_lS8_PT7_S7_li,comdat
	.globl	_ZL41rocblas_syrkx_herkx_small_restrict_kernelIl19rocblas_complex_numIfELi16ELb0ELb1ELc78ELc76EKPKS1_KPS1_EviT_T0_PT6_S7_lSA_S7_lS8_PT7_S7_li ; -- Begin function _ZL41rocblas_syrkx_herkx_small_restrict_kernelIl19rocblas_complex_numIfELi16ELb0ELb1ELc78ELc76EKPKS1_KPS1_EviT_T0_PT6_S7_lSA_S7_lS8_PT7_S7_li
	.p2align	8
	.type	_ZL41rocblas_syrkx_herkx_small_restrict_kernelIl19rocblas_complex_numIfELi16ELb0ELb1ELc78ELc76EKPKS1_KPS1_EviT_T0_PT6_S7_lSA_S7_lS8_PT7_S7_li,@function
_ZL41rocblas_syrkx_herkx_small_restrict_kernelIl19rocblas_complex_numIfELi16ELb0ELb1ELc78ELc76EKPKS1_KPS1_EviT_T0_PT6_S7_lSA_S7_lS8_PT7_S7_li: ; @_ZL41rocblas_syrkx_herkx_small_restrict_kernelIl19rocblas_complex_numIfELi16ELb0ELb1ELc78ELc76EKPKS1_KPS1_EviT_T0_PT6_S7_lSA_S7_lS8_PT7_S7_li
; %bb.0:
	s_load_dwordx4 s[20:23], s[4:5], 0x48
	s_load_dwordx2 s[10:11], s[4:5], 0x58
	s_load_dwordx8 s[12:19], s[4:5], 0x8
	s_mov_b32 s9, 0
	s_lshl_b64 s[24:25], s[8:9], 3
	s_waitcnt lgkmcnt(0)
	s_add_u32 s0, s22, s24
	s_addc_u32 s1, s23, s25
	s_load_dwordx2 s[8:9], s[0:1], 0x0
	v_cmp_lt_i64_e64 s[0:1], s[12:13], 1
	v_lshl_add_u32 v2, s6, 4, v0
	v_lshl_add_u32 v4, s7, 4, v1
	s_and_b64 vcc, exec, s[0:1]
	v_ashrrev_i32_e32 v3, 31, v2
	v_ashrrev_i32_e32 v5, 31, v4
	s_cbranch_vccnz .LBB1740_5
; %bb.1:
	s_load_dwordx4 s[0:3], s[4:5], 0x30
	v_mad_u64_u32 v[14:15], s[6:7], s18, v1, 0
	v_lshlrev_b32_e32 v9, 7, v1
	v_lshlrev_b32_e32 v10, 3, v0
	s_waitcnt lgkmcnt(0)
	v_mad_u64_u32 v[6:7], s[4:5], s2, v0, 0
	s_add_u32 s0, s0, s24
	v_add_u32_e32 v11, v10, v9
	v_mad_u64_u32 v[7:8], s[6:7], s3, v0, v[7:8]
	v_add_u32_e32 v12, 0x800, v9
	v_lshlrev_b64 v[8:9], 3, v[4:5]
	v_lshlrev_b64 v[6:7], 3, v[6:7]
	s_addc_u32 s1, s1, s25
	s_load_dwordx2 s[0:1], s[0:1], 0x0
	v_add_co_u32_e32 v8, vcc, v6, v8
	v_mov_b32_e32 v0, v15
	v_addc_co_u32_e32 v9, vcc, v7, v9, vcc
	v_mad_u64_u32 v[6:7], s[6:7], s19, v1, v[0:1]
	s_add_u32 s4, s16, s24
	s_addc_u32 s5, s17, s25
	s_load_dwordx2 s[4:5], s[4:5], 0x0
	s_waitcnt lgkmcnt(0)
	v_mov_b32_e32 v16, s1
	v_add_co_u32_e32 v0, vcc, s0, v8
	v_mov_b32_e32 v15, v6
	v_addc_co_u32_e32 v1, vcc, v16, v9, vcc
	v_lshlrev_b64 v[6:7], 3, v[14:15]
	v_lshlrev_b64 v[8:9], 3, v[2:3]
	s_lshl_b64 s[2:3], s[2:3], 7
	v_add_co_u32_e32 v6, vcc, v6, v8
	v_addc_co_u32_e32 v7, vcc, v7, v9, vcc
	v_mov_b32_e32 v8, s5
	v_add_co_u32_e32 v6, vcc, s4, v6
	v_addc_co_u32_e32 v7, vcc, v8, v7, vcc
	s_lshl_b64 s[4:5], s[18:19], 7
	v_mov_b32_e32 v8, s12
	v_add_u32_e32 v13, v12, v10
	v_mov_b32_e32 v14, 0
	s_mov_b64 s[6:7], 0
	v_mov_b32_e32 v16, s3
	v_mov_b32_e32 v17, s5
	;; [unrolled: 1-line block ×4, first 2 shown]
.LBB1740_2:                             ; =>This Inner Loop Header: Depth=1
	flat_load_dwordx2 v[18:19], v[6:7]
	s_add_u32 s6, s6, 16
	v_add_co_u32_e32 v6, vcc, s4, v6
	v_addc_co_u32_e32 v7, vcc, v7, v17, vcc
	s_addc_u32 s7, s7, 0
	v_cmp_lt_i64_e32 vcc, s[6:7], v[8:9]
	s_and_b64 vcc, exec, vcc
	s_waitcnt vmcnt(0) lgkmcnt(0)
	ds_write_b64 v11, v[18:19]
	flat_load_dwordx2 v[18:19], v[0:1]
	v_add_co_u32_e64 v0, s[0:1], s2, v0
	v_addc_co_u32_e64 v1, s[0:1], v1, v16, s[0:1]
	s_waitcnt vmcnt(0) lgkmcnt(0)
	v_xor_b32_e32 v19, 0x80000000, v19
	ds_write_b64 v13, v[18:19]
	s_waitcnt lgkmcnt(0)
	s_barrier
	ds_read2_b64 v[18:21], v10 offset1:16
	ds_read_b128 v[22:25], v12
	ds_read_b128 v[26:29], v12 offset:16
	ds_read2_b64 v[30:33], v10 offset0:32 offset1:48
	ds_read2_b64 v[34:37], v10 offset0:64 offset1:80
	ds_read_b128 v[38:41], v12 offset:32
	ds_read_b128 v[42:45], v12 offset:48
	ds_read2_b64 v[46:49], v10 offset0:96 offset1:112
	ds_read2_b64 v[50:53], v10 offset0:128 offset1:144
	ds_read_b128 v[54:57], v12 offset:64
	s_waitcnt lgkmcnt(8)
	v_mul_f32_e32 v58, v23, v19
	v_mul_f32_e32 v59, v22, v19
	;; [unrolled: 1-line block ×4, first 2 shown]
	v_fma_f32 v58, v22, v18, -v58
	v_fmac_f32_e32 v59, v23, v18
	v_fma_f32 v61, v24, v20, -v19
	v_fmac_f32_e32 v60, v25, v20
	s_waitcnt lgkmcnt(6)
	v_mul_f32_e32 v22, v27, v31
	v_mul_f32_e32 v62, v26, v31
	;; [unrolled: 1-line block ×3, first 2 shown]
	v_add_f32_e32 v15, v15, v58
	v_add_f32_e32 v14, v14, v59
	ds_read_b128 v[18:21], v12 offset:80
	v_mul_f32_e32 v63, v28, v33
	v_fma_f32 v64, v26, v30, -v22
	v_fmac_f32_e32 v62, v27, v30
	v_fma_f32 v65, v28, v32, -v23
	ds_read2_b64 v[22:25], v10 offset0:160 offset1:176
	v_add_f32_e32 v15, v15, v61
	v_add_f32_e32 v14, v14, v60
	v_fmac_f32_e32 v63, v29, v32
	s_waitcnt lgkmcnt(6)
	v_mul_f32_e32 v26, v39, v35
	v_mul_f32_e32 v66, v38, v35
	v_add_f32_e32 v15, v15, v64
	v_add_f32_e32 v14, v14, v62
	v_mul_f32_e32 v27, v41, v37
	v_mul_f32_e32 v67, v40, v37
	v_fma_f32 v38, v38, v34, -v26
	v_fmac_f32_e32 v66, v39, v34
	v_add_f32_e32 v15, v15, v65
	v_add_f32_e32 v14, v14, v63
	v_fma_f32 v39, v40, v36, -v27
	v_fmac_f32_e32 v67, v41, v36
	s_waitcnt lgkmcnt(4)
	v_mul_f32_e32 v30, v43, v47
	v_mul_f32_e32 v40, v42, v47
	;; [unrolled: 1-line block ×3, first 2 shown]
	v_add_f32_e32 v15, v15, v38
	v_add_f32_e32 v14, v14, v66
	ds_read2_b64 v[26:29], v10 offset0:192 offset1:208
	v_mul_f32_e32 v41, v44, v49
	v_fma_f32 v42, v42, v46, -v30
	v_fmac_f32_e32 v40, v43, v46
	v_fma_f32 v43, v44, v48, -v31
	ds_read_b128 v[30:33], v12 offset:96
	v_add_f32_e32 v15, v15, v39
	v_add_f32_e32 v14, v14, v67
	v_fmac_f32_e32 v41, v45, v48
	s_waitcnt lgkmcnt(4)
	v_mul_f32_e32 v34, v55, v51
	v_mul_f32_e32 v44, v54, v51
	;; [unrolled: 1-line block ×3, first 2 shown]
	s_waitcnt lgkmcnt(2)
	v_mul_f32_e32 v48, v19, v23
	v_mul_f32_e32 v23, v18, v23
	;; [unrolled: 1-line block ×4, first 2 shown]
	v_add_f32_e32 v15, v15, v42
	v_add_f32_e32 v14, v14, v40
	v_mul_f32_e32 v45, v56, v53
	v_fma_f32 v46, v54, v50, -v34
	v_fmac_f32_e32 v44, v55, v50
	v_fma_f32 v47, v56, v52, -v35
	ds_read_b128 v[34:37], v12 offset:112
	v_fma_f32 v48, v18, v22, -v48
	v_fmac_f32_e32 v23, v19, v22
	v_fma_f32 v22, v20, v24, -v49
	v_fmac_f32_e32 v25, v21, v24
	ds_read2_b64 v[18:21], v10 offset0:224 offset1:240
	v_add_f32_e32 v15, v15, v43
	v_add_f32_e32 v14, v14, v41
	v_fmac_f32_e32 v45, v57, v52
	v_add_f32_e32 v15, v15, v46
	v_add_f32_e32 v14, v14, v44
	;; [unrolled: 1-line block ×4, first 2 shown]
	s_waitcnt lgkmcnt(2)
	v_mul_f32_e32 v24, v31, v27
	v_mul_f32_e32 v27, v30, v27
	v_add_f32_e32 v15, v15, v48
	v_add_f32_e32 v14, v14, v23
	v_mul_f32_e32 v49, v33, v29
	v_mul_f32_e32 v29, v32, v29
	v_fma_f32 v24, v30, v26, -v24
	v_fmac_f32_e32 v27, v31, v26
	v_add_f32_e32 v15, v15, v22
	v_add_f32_e32 v14, v14, v25
	s_waitcnt lgkmcnt(0)
	v_mul_f32_e32 v50, v35, v19
	v_mul_f32_e32 v19, v34, v19
	v_fma_f32 v26, v32, v28, -v49
	v_fmac_f32_e32 v29, v33, v28
	v_add_f32_e32 v15, v15, v24
	v_add_f32_e32 v14, v14, v27
	v_mul_f32_e32 v28, v37, v21
	v_mul_f32_e32 v21, v36, v21
	v_fma_f32 v30, v34, v18, -v50
	v_fmac_f32_e32 v19, v35, v18
	v_add_f32_e32 v15, v15, v26
	v_add_f32_e32 v14, v14, v29
	v_fma_f32 v18, v36, v20, -v28
	v_fmac_f32_e32 v21, v37, v20
	v_add_f32_e32 v15, v15, v30
	v_add_f32_e32 v14, v14, v19
	;; [unrolled: 1-line block ×4, first 2 shown]
	s_barrier
	s_cbranch_vccnz .LBB1740_2
; %bb.3:
	v_cmp_le_i32_e32 vcc, v4, v2
	s_and_saveexec_b64 s[0:1], vcc
	s_cbranch_execnz .LBB1740_6
.LBB1740_4:
	s_endpgm
.LBB1740_5:
	v_mov_b32_e32 v14, 0
	v_mov_b32_e32 v15, 0
	v_cmp_le_i32_e32 vcc, v4, v2
	s_and_saveexec_b64 s[0:1], vcc
	s_cbranch_execz .LBB1740_4
.LBB1740_6:
	v_mul_lo_u32 v6, s11, v4
	v_mul_lo_u32 v5, s10, v5
	v_mad_u64_u32 v[0:1], s[0:1], s10, v4, 0
	v_mul_f32_e32 v7, s14, v14
	v_fmac_f32_e32 v7, s15, v15
	v_add3_u32 v1, v1, v5, v6
	v_lshlrev_b64 v[0:1], 3, v[0:1]
	s_waitcnt lgkmcnt(0)
	v_mov_b32_e32 v5, s9
	v_add_co_u32_e32 v6, vcc, s8, v0
	v_addc_co_u32_e32 v5, vcc, v5, v1, vcc
	v_lshlrev_b64 v[0:1], 3, v[2:3]
	v_mul_f32_e32 v3, s15, v14
	v_add_co_u32_e32 v0, vcc, v6, v0
	v_addc_co_u32_e32 v1, vcc, v5, v1, vcc
	flat_load_dwordx2 v[5:6], v[0:1]
	v_fma_f32 v3, v15, s14, -v3
	v_cmp_eq_u32_e32 vcc, v2, v4
	s_waitcnt vmcnt(0) lgkmcnt(0)
	v_mul_f32_e32 v8, s21, v6
	v_mul_f32_e32 v6, s20, v6
	v_fma_f32 v8, v5, s20, -v8
	v_fmac_f32_e32 v6, s21, v5
	v_add_f32_e32 v5, v3, v8
	v_add_f32_e32 v6, v7, v6
	flat_store_dwordx2 v[0:1], v[5:6]
	s_and_b64 exec, exec, vcc
	s_cbranch_execz .LBB1740_4
; %bb.7:
	v_mov_b32_e32 v2, 0
	flat_store_dword v[0:1], v2 offset:4
	s_endpgm
	.section	.rodata,"a",@progbits
	.p2align	6, 0x0
	.amdhsa_kernel _ZL41rocblas_syrkx_herkx_small_restrict_kernelIl19rocblas_complex_numIfELi16ELb0ELb1ELc78ELc76EKPKS1_KPS1_EviT_T0_PT6_S7_lSA_S7_lS8_PT7_S7_li
		.amdhsa_group_segment_fixed_size 4096
		.amdhsa_private_segment_fixed_size 0
		.amdhsa_kernarg_size 108
		.amdhsa_user_sgpr_count 6
		.amdhsa_user_sgpr_private_segment_buffer 1
		.amdhsa_user_sgpr_dispatch_ptr 0
		.amdhsa_user_sgpr_queue_ptr 0
		.amdhsa_user_sgpr_kernarg_segment_ptr 1
		.amdhsa_user_sgpr_dispatch_id 0
		.amdhsa_user_sgpr_flat_scratch_init 0
		.amdhsa_user_sgpr_private_segment_size 0
		.amdhsa_uses_dynamic_stack 0
		.amdhsa_system_sgpr_private_segment_wavefront_offset 0
		.amdhsa_system_sgpr_workgroup_id_x 1
		.amdhsa_system_sgpr_workgroup_id_y 1
		.amdhsa_system_sgpr_workgroup_id_z 1
		.amdhsa_system_sgpr_workgroup_info 0
		.amdhsa_system_vgpr_workitem_id 1
		.amdhsa_next_free_vgpr 68
		.amdhsa_next_free_sgpr 26
		.amdhsa_reserve_vcc 1
		.amdhsa_reserve_flat_scratch 0
		.amdhsa_float_round_mode_32 0
		.amdhsa_float_round_mode_16_64 0
		.amdhsa_float_denorm_mode_32 3
		.amdhsa_float_denorm_mode_16_64 3
		.amdhsa_dx10_clamp 1
		.amdhsa_ieee_mode 1
		.amdhsa_fp16_overflow 0
		.amdhsa_exception_fp_ieee_invalid_op 0
		.amdhsa_exception_fp_denorm_src 0
		.amdhsa_exception_fp_ieee_div_zero 0
		.amdhsa_exception_fp_ieee_overflow 0
		.amdhsa_exception_fp_ieee_underflow 0
		.amdhsa_exception_fp_ieee_inexact 0
		.amdhsa_exception_int_div_zero 0
	.end_amdhsa_kernel
	.section	.text._ZL41rocblas_syrkx_herkx_small_restrict_kernelIl19rocblas_complex_numIfELi16ELb0ELb1ELc78ELc76EKPKS1_KPS1_EviT_T0_PT6_S7_lSA_S7_lS8_PT7_S7_li,"axG",@progbits,_ZL41rocblas_syrkx_herkx_small_restrict_kernelIl19rocblas_complex_numIfELi16ELb0ELb1ELc78ELc76EKPKS1_KPS1_EviT_T0_PT6_S7_lSA_S7_lS8_PT7_S7_li,comdat
.Lfunc_end1740:
	.size	_ZL41rocblas_syrkx_herkx_small_restrict_kernelIl19rocblas_complex_numIfELi16ELb0ELb1ELc78ELc76EKPKS1_KPS1_EviT_T0_PT6_S7_lSA_S7_lS8_PT7_S7_li, .Lfunc_end1740-_ZL41rocblas_syrkx_herkx_small_restrict_kernelIl19rocblas_complex_numIfELi16ELb0ELb1ELc78ELc76EKPKS1_KPS1_EviT_T0_PT6_S7_lSA_S7_lS8_PT7_S7_li
                                        ; -- End function
	.set _ZL41rocblas_syrkx_herkx_small_restrict_kernelIl19rocblas_complex_numIfELi16ELb0ELb1ELc78ELc76EKPKS1_KPS1_EviT_T0_PT6_S7_lSA_S7_lS8_PT7_S7_li.num_vgpr, 68
	.set _ZL41rocblas_syrkx_herkx_small_restrict_kernelIl19rocblas_complex_numIfELi16ELb0ELb1ELc78ELc76EKPKS1_KPS1_EviT_T0_PT6_S7_lSA_S7_lS8_PT7_S7_li.num_agpr, 0
	.set _ZL41rocblas_syrkx_herkx_small_restrict_kernelIl19rocblas_complex_numIfELi16ELb0ELb1ELc78ELc76EKPKS1_KPS1_EviT_T0_PT6_S7_lSA_S7_lS8_PT7_S7_li.numbered_sgpr, 26
	.set _ZL41rocblas_syrkx_herkx_small_restrict_kernelIl19rocblas_complex_numIfELi16ELb0ELb1ELc78ELc76EKPKS1_KPS1_EviT_T0_PT6_S7_lSA_S7_lS8_PT7_S7_li.num_named_barrier, 0
	.set _ZL41rocblas_syrkx_herkx_small_restrict_kernelIl19rocblas_complex_numIfELi16ELb0ELb1ELc78ELc76EKPKS1_KPS1_EviT_T0_PT6_S7_lSA_S7_lS8_PT7_S7_li.private_seg_size, 0
	.set _ZL41rocblas_syrkx_herkx_small_restrict_kernelIl19rocblas_complex_numIfELi16ELb0ELb1ELc78ELc76EKPKS1_KPS1_EviT_T0_PT6_S7_lSA_S7_lS8_PT7_S7_li.uses_vcc, 1
	.set _ZL41rocblas_syrkx_herkx_small_restrict_kernelIl19rocblas_complex_numIfELi16ELb0ELb1ELc78ELc76EKPKS1_KPS1_EviT_T0_PT6_S7_lSA_S7_lS8_PT7_S7_li.uses_flat_scratch, 0
	.set _ZL41rocblas_syrkx_herkx_small_restrict_kernelIl19rocblas_complex_numIfELi16ELb0ELb1ELc78ELc76EKPKS1_KPS1_EviT_T0_PT6_S7_lSA_S7_lS8_PT7_S7_li.has_dyn_sized_stack, 0
	.set _ZL41rocblas_syrkx_herkx_small_restrict_kernelIl19rocblas_complex_numIfELi16ELb0ELb1ELc78ELc76EKPKS1_KPS1_EviT_T0_PT6_S7_lSA_S7_lS8_PT7_S7_li.has_recursion, 0
	.set _ZL41rocblas_syrkx_herkx_small_restrict_kernelIl19rocblas_complex_numIfELi16ELb0ELb1ELc78ELc76EKPKS1_KPS1_EviT_T0_PT6_S7_lSA_S7_lS8_PT7_S7_li.has_indirect_call, 0
	.section	.AMDGPU.csdata,"",@progbits
; Kernel info:
; codeLenInByte = 1228
; TotalNumSgprs: 30
; NumVgprs: 68
; ScratchSize: 0
; MemoryBound: 0
; FloatMode: 240
; IeeeMode: 1
; LDSByteSize: 4096 bytes/workgroup (compile time only)
; SGPRBlocks: 3
; VGPRBlocks: 16
; NumSGPRsForWavesPerEU: 30
; NumVGPRsForWavesPerEU: 68
; Occupancy: 3
; WaveLimiterHint : 1
; COMPUTE_PGM_RSRC2:SCRATCH_EN: 0
; COMPUTE_PGM_RSRC2:USER_SGPR: 6
; COMPUTE_PGM_RSRC2:TRAP_HANDLER: 0
; COMPUTE_PGM_RSRC2:TGID_X_EN: 1
; COMPUTE_PGM_RSRC2:TGID_Y_EN: 1
; COMPUTE_PGM_RSRC2:TGID_Z_EN: 1
; COMPUTE_PGM_RSRC2:TIDIG_COMP_CNT: 1
	.section	.text._ZL41rocblas_syrkx_herkx_small_restrict_kernelIl19rocblas_complex_numIfELi16ELb0ELb1ELc84ELc85EKPKS1_KPS1_EviT_T0_PT6_S7_lSA_S7_lS8_PT7_S7_li,"axG",@progbits,_ZL41rocblas_syrkx_herkx_small_restrict_kernelIl19rocblas_complex_numIfELi16ELb0ELb1ELc84ELc85EKPKS1_KPS1_EviT_T0_PT6_S7_lSA_S7_lS8_PT7_S7_li,comdat
	.globl	_ZL41rocblas_syrkx_herkx_small_restrict_kernelIl19rocblas_complex_numIfELi16ELb0ELb1ELc84ELc85EKPKS1_KPS1_EviT_T0_PT6_S7_lSA_S7_lS8_PT7_S7_li ; -- Begin function _ZL41rocblas_syrkx_herkx_small_restrict_kernelIl19rocblas_complex_numIfELi16ELb0ELb1ELc84ELc85EKPKS1_KPS1_EviT_T0_PT6_S7_lSA_S7_lS8_PT7_S7_li
	.p2align	8
	.type	_ZL41rocblas_syrkx_herkx_small_restrict_kernelIl19rocblas_complex_numIfELi16ELb0ELb1ELc84ELc85EKPKS1_KPS1_EviT_T0_PT6_S7_lSA_S7_lS8_PT7_S7_li,@function
_ZL41rocblas_syrkx_herkx_small_restrict_kernelIl19rocblas_complex_numIfELi16ELb0ELb1ELc84ELc85EKPKS1_KPS1_EviT_T0_PT6_S7_lSA_S7_lS8_PT7_S7_li: ; @_ZL41rocblas_syrkx_herkx_small_restrict_kernelIl19rocblas_complex_numIfELi16ELb0ELb1ELc84ELc85EKPKS1_KPS1_EviT_T0_PT6_S7_lSA_S7_lS8_PT7_S7_li
; %bb.0:
	s_load_dwordx4 s[20:23], s[4:5], 0x48
	s_load_dwordx2 s[10:11], s[4:5], 0x58
	s_load_dwordx8 s[12:19], s[4:5], 0x8
	s_mov_b32 s9, 0
	s_lshl_b64 s[0:1], s[8:9], 3
	s_waitcnt lgkmcnt(0)
	s_add_u32 s2, s22, s0
	s_addc_u32 s3, s23, s1
	s_load_dwordx2 s[8:9], s[2:3], 0x0
	v_cmp_lt_i64_e64 s[2:3], s[12:13], 1
	v_lshl_add_u32 v2, s6, 4, v0
	v_lshl_add_u32 v8, s7, 4, v1
	s_and_b64 vcc, exec, s[2:3]
	v_ashrrev_i32_e32 v3, 31, v2
	v_ashrrev_i32_e32 v9, 31, v8
	s_cbranch_vccnz .LBB1741_5
; %bb.1:
	s_load_dwordx4 s[4:7], s[4:5], 0x30
	v_mad_u64_u32 v[4:5], s[2:3], s18, v2, 0
	v_mul_lo_u32 v6, s19, v2
	v_mul_lo_u32 v7, s18, v3
	s_waitcnt lgkmcnt(0)
	s_add_u32 s2, s4, s0
	s_addc_u32 s3, s5, s1
	s_add_u32 s0, s16, s0
	s_addc_u32 s1, s17, s1
	s_load_dwordx2 s[0:1], s[0:1], 0x0
	v_lshlrev_b32_e32 v11, 3, v1
	v_add3_u32 v5, v5, v7, v6
	v_lshlrev_b64 v[4:5], 3, v[4:5]
	s_load_dwordx2 s[2:3], s[2:3], 0x0
	s_waitcnt lgkmcnt(0)
	v_mov_b32_e32 v6, s1
	v_add_co_u32_e32 v7, vcc, s0, v11
	v_addc_co_u32_e32 v6, vcc, 0, v6, vcc
	v_add_co_u32_e32 v4, vcc, v7, v4
	v_addc_co_u32_e32 v5, vcc, v6, v5, vcc
	v_mul_lo_u32 v13, s7, v8
	v_mul_lo_u32 v14, s6, v9
	v_mad_u64_u32 v[6:7], s[0:1], s6, v8, 0
	v_lshlrev_b32_e32 v11, 3, v0
	v_mov_b32_e32 v0, s3
	v_add3_u32 v7, v7, v14, v13
	v_add_co_u32_e32 v13, vcc, s2, v11
	v_lshlrev_b32_e32 v15, 7, v1
	v_addc_co_u32_e32 v14, vcc, 0, v0, vcc
	v_lshlrev_b64 v[0:1], 3, v[6:7]
	v_mov_b32_e32 v6, s12
	v_add_co_u32_e32 v0, vcc, v13, v0
	v_addc_co_u32_e32 v1, vcc, v14, v1, vcc
	v_add_u32_e32 v14, 0x800, v15
	v_mov_b32_e32 v10, 0
	v_add_u32_e32 v12, v11, v15
	v_add_u32_e32 v15, v14, v11
	s_mov_b64 s[4:5], 0
	v_mov_b32_e32 v7, s13
	v_mov_b32_e32 v13, 0
.LBB1741_2:                             ; =>This Inner Loop Header: Depth=1
	flat_load_dwordx2 v[16:17], v[4:5]
	s_add_u32 s4, s4, 16
	s_addc_u32 s5, s5, 0
	v_cmp_lt_i64_e32 vcc, s[4:5], v[6:7]
	s_and_b64 s[0:1], exec, vcc
	s_waitcnt vmcnt(0) lgkmcnt(0)
	ds_write_b64 v12, v[16:17]
	flat_load_dwordx2 v[16:17], v[0:1]
	v_add_co_u32_e32 v0, vcc, 0x80, v0
	s_mov_b64 s[2:3], vcc
	v_add_co_u32_e32 v4, vcc, 0x80, v4
	v_addc_co_u32_e32 v5, vcc, 0, v5, vcc
	v_addc_co_u32_e64 v1, s[2:3], 0, v1, s[2:3]
	s_mov_b64 vcc, s[0:1]
	s_waitcnt vmcnt(0) lgkmcnt(0)
	ds_write_b64 v15, v[16:17]
	s_waitcnt lgkmcnt(0)
	s_barrier
	ds_read2_b64 v[16:19], v11 offset1:16
	ds_read_b128 v[20:23], v14
	ds_read_b128 v[24:27], v14 offset:16
	ds_read2_b64 v[28:31], v11 offset0:32 offset1:48
	ds_read2_b64 v[32:35], v11 offset0:64 offset1:80
	ds_read_b128 v[36:39], v14 offset:32
	ds_read_b128 v[40:43], v14 offset:48
	ds_read2_b64 v[44:47], v11 offset0:96 offset1:112
	ds_read2_b64 v[48:51], v11 offset0:128 offset1:144
	ds_read_b128 v[52:55], v14 offset:64
	ds_read_b128 v[56:59], v14 offset:80
	s_waitcnt lgkmcnt(9)
	v_mul_f32_e32 v60, v21, v17
	v_mul_f32_e32 v61, v20, v17
	;; [unrolled: 1-line block ×4, first 2 shown]
	v_fma_f32 v60, v20, v16, -v60
	v_fmac_f32_e32 v61, v21, v16
	v_fma_f32 v63, v22, v18, -v17
	v_fmac_f32_e32 v62, v23, v18
	s_waitcnt lgkmcnt(7)
	v_mul_f32_e32 v20, v25, v29
	v_mul_f32_e32 v64, v24, v29
	v_add_f32_e32 v13, v13, v60
	v_add_f32_e32 v10, v10, v61
	v_mul_f32_e32 v21, v27, v31
	v_mul_f32_e32 v65, v26, v31
	v_fma_f32 v66, v24, v28, -v20
	v_fmac_f32_e32 v64, v25, v28
	v_add_f32_e32 v13, v13, v63
	v_add_f32_e32 v10, v10, v62
	v_fma_f32 v67, v26, v30, -v21
	v_fmac_f32_e32 v65, v27, v30
	s_waitcnt lgkmcnt(5)
	v_mul_f32_e32 v24, v37, v33
	v_mul_f32_e32 v68, v36, v33
	v_add_f32_e32 v13, v13, v66
	v_add_f32_e32 v10, v10, v64
	ds_read2_b64 v[16:19], v11 offset0:160 offset1:176
	v_mul_f32_e32 v25, v39, v35
	v_mul_f32_e32 v69, v38, v35
	v_fma_f32 v36, v36, v32, -v24
	v_fmac_f32_e32 v68, v37, v32
	v_add_f32_e32 v13, v13, v67
	v_add_f32_e32 v10, v10, v65
	v_fma_f32 v37, v38, v34, -v25
	v_fmac_f32_e32 v69, v39, v34
	s_waitcnt lgkmcnt(4)
	v_mul_f32_e32 v28, v41, v45
	v_mul_f32_e32 v38, v40, v45
	v_add_f32_e32 v13, v13, v36
	v_add_f32_e32 v10, v10, v68
	ds_read2_b64 v[20:23], v11 offset0:192 offset1:208
	ds_read_b128 v[24:27], v14 offset:96
	v_mul_f32_e32 v29, v43, v47
	v_mul_f32_e32 v39, v42, v47
	v_fma_f32 v40, v40, v44, -v28
	v_fmac_f32_e32 v38, v41, v44
	v_add_f32_e32 v13, v13, v37
	v_add_f32_e32 v10, v10, v69
	v_fma_f32 v41, v42, v46, -v29
	v_fmac_f32_e32 v39, v43, v46
	s_waitcnt lgkmcnt(4)
	v_mul_f32_e32 v32, v53, v49
	v_mul_f32_e32 v42, v52, v49
	;; [unrolled: 1-line block ×3, first 2 shown]
	v_add_f32_e32 v13, v13, v40
	v_add_f32_e32 v10, v10, v38
	ds_read_b128 v[28:31], v14 offset:112
	v_mul_f32_e32 v43, v54, v51
	v_fma_f32 v44, v52, v48, -v32
	v_fmac_f32_e32 v42, v53, v48
	v_fma_f32 v45, v54, v50, -v33
	ds_read2_b64 v[32:35], v11 offset0:224 offset1:240
	v_add_f32_e32 v13, v13, v41
	v_add_f32_e32 v10, v10, v39
	v_fmac_f32_e32 v43, v55, v50
	s_waitcnt lgkmcnt(4)
	v_mul_f32_e32 v46, v57, v17
	v_mul_f32_e32 v17, v56, v17
	v_add_f32_e32 v13, v13, v44
	v_add_f32_e32 v10, v10, v42
	v_mul_f32_e32 v47, v59, v19
	v_mul_f32_e32 v19, v58, v19
	v_fma_f32 v46, v56, v16, -v46
	v_fmac_f32_e32 v17, v57, v16
	v_add_f32_e32 v13, v13, v45
	v_add_f32_e32 v10, v10, v43
	v_fma_f32 v16, v58, v18, -v47
	v_fmac_f32_e32 v19, v59, v18
	s_waitcnt lgkmcnt(2)
	v_mul_f32_e32 v18, v25, v21
	v_mul_f32_e32 v21, v24, v21
	v_add_f32_e32 v13, v13, v46
	v_add_f32_e32 v10, v10, v17
	v_mul_f32_e32 v47, v27, v23
	v_mul_f32_e32 v23, v26, v23
	v_fma_f32 v18, v24, v20, -v18
	v_fmac_f32_e32 v21, v25, v20
	v_add_f32_e32 v13, v13, v16
	v_add_f32_e32 v10, v10, v19
	s_waitcnt lgkmcnt(0)
	v_mul_f32_e32 v48, v29, v33
	v_mul_f32_e32 v33, v28, v33
	v_fma_f32 v20, v26, v22, -v47
	v_fmac_f32_e32 v23, v27, v22
	v_add_f32_e32 v13, v13, v18
	v_add_f32_e32 v10, v10, v21
	v_mul_f32_e32 v49, v31, v35
	v_mul_f32_e32 v35, v30, v35
	v_fma_f32 v22, v28, v32, -v48
	v_fmac_f32_e32 v33, v29, v32
	v_add_f32_e32 v13, v13, v20
	v_add_f32_e32 v10, v10, v23
	v_fma_f32 v24, v30, v34, -v49
	v_fmac_f32_e32 v35, v31, v34
	v_add_f32_e32 v13, v13, v22
	v_add_f32_e32 v10, v10, v33
	;; [unrolled: 1-line block ×4, first 2 shown]
	s_barrier
	s_cbranch_vccnz .LBB1741_2
; %bb.3:
	v_cmp_le_i32_e32 vcc, v2, v8
	s_and_saveexec_b64 s[0:1], vcc
	s_cbranch_execnz .LBB1741_6
.LBB1741_4:
	s_endpgm
.LBB1741_5:
	v_mov_b32_e32 v10, 0
	v_mov_b32_e32 v13, 0
	v_cmp_le_i32_e32 vcc, v2, v8
	s_and_saveexec_b64 s[0:1], vcc
	s_cbranch_execz .LBB1741_4
.LBB1741_6:
	v_mul_lo_u32 v4, s11, v8
	v_mul_lo_u32 v5, s10, v9
	v_mad_u64_u32 v[0:1], s[0:1], s10, v8, 0
	v_mul_f32_e32 v6, s14, v10
	v_fmac_f32_e32 v6, s15, v13
	v_add3_u32 v1, v1, v5, v4
	v_lshlrev_b64 v[0:1], 3, v[0:1]
	s_waitcnt lgkmcnt(0)
	v_mov_b32_e32 v4, s9
	v_add_co_u32_e32 v5, vcc, s8, v0
	v_addc_co_u32_e32 v4, vcc, v4, v1, vcc
	v_lshlrev_b64 v[0:1], 3, v[2:3]
	v_add_co_u32_e32 v0, vcc, v5, v0
	v_addc_co_u32_e32 v1, vcc, v4, v1, vcc
	flat_load_dwordx2 v[3:4], v[0:1]
	v_mul_f32_e32 v5, s15, v10
	v_fma_f32 v5, v13, s14, -v5
	v_cmp_eq_u32_e32 vcc, v2, v8
	s_waitcnt vmcnt(0) lgkmcnt(0)
	v_mul_f32_e32 v7, s21, v4
	v_mul_f32_e32 v4, s20, v4
	v_fma_f32 v7, v3, s20, -v7
	v_fmac_f32_e32 v4, s21, v3
	v_add_f32_e32 v3, v5, v7
	v_add_f32_e32 v4, v6, v4
	flat_store_dwordx2 v[0:1], v[3:4]
	s_and_b64 exec, exec, vcc
	s_cbranch_execz .LBB1741_4
; %bb.7:
	v_mov_b32_e32 v2, 0
	flat_store_dword v[0:1], v2 offset:4
	s_endpgm
	.section	.rodata,"a",@progbits
	.p2align	6, 0x0
	.amdhsa_kernel _ZL41rocblas_syrkx_herkx_small_restrict_kernelIl19rocblas_complex_numIfELi16ELb0ELb1ELc84ELc85EKPKS1_KPS1_EviT_T0_PT6_S7_lSA_S7_lS8_PT7_S7_li
		.amdhsa_group_segment_fixed_size 4096
		.amdhsa_private_segment_fixed_size 0
		.amdhsa_kernarg_size 108
		.amdhsa_user_sgpr_count 6
		.amdhsa_user_sgpr_private_segment_buffer 1
		.amdhsa_user_sgpr_dispatch_ptr 0
		.amdhsa_user_sgpr_queue_ptr 0
		.amdhsa_user_sgpr_kernarg_segment_ptr 1
		.amdhsa_user_sgpr_dispatch_id 0
		.amdhsa_user_sgpr_flat_scratch_init 0
		.amdhsa_user_sgpr_private_segment_size 0
		.amdhsa_uses_dynamic_stack 0
		.amdhsa_system_sgpr_private_segment_wavefront_offset 0
		.amdhsa_system_sgpr_workgroup_id_x 1
		.amdhsa_system_sgpr_workgroup_id_y 1
		.amdhsa_system_sgpr_workgroup_id_z 1
		.amdhsa_system_sgpr_workgroup_info 0
		.amdhsa_system_vgpr_workitem_id 1
		.amdhsa_next_free_vgpr 70
		.amdhsa_next_free_sgpr 24
		.amdhsa_reserve_vcc 1
		.amdhsa_reserve_flat_scratch 0
		.amdhsa_float_round_mode_32 0
		.amdhsa_float_round_mode_16_64 0
		.amdhsa_float_denorm_mode_32 3
		.amdhsa_float_denorm_mode_16_64 3
		.amdhsa_dx10_clamp 1
		.amdhsa_ieee_mode 1
		.amdhsa_fp16_overflow 0
		.amdhsa_exception_fp_ieee_invalid_op 0
		.amdhsa_exception_fp_denorm_src 0
		.amdhsa_exception_fp_ieee_div_zero 0
		.amdhsa_exception_fp_ieee_overflow 0
		.amdhsa_exception_fp_ieee_underflow 0
		.amdhsa_exception_fp_ieee_inexact 0
		.amdhsa_exception_int_div_zero 0
	.end_amdhsa_kernel
	.section	.text._ZL41rocblas_syrkx_herkx_small_restrict_kernelIl19rocblas_complex_numIfELi16ELb0ELb1ELc84ELc85EKPKS1_KPS1_EviT_T0_PT6_S7_lSA_S7_lS8_PT7_S7_li,"axG",@progbits,_ZL41rocblas_syrkx_herkx_small_restrict_kernelIl19rocblas_complex_numIfELi16ELb0ELb1ELc84ELc85EKPKS1_KPS1_EviT_T0_PT6_S7_lSA_S7_lS8_PT7_S7_li,comdat
.Lfunc_end1741:
	.size	_ZL41rocblas_syrkx_herkx_small_restrict_kernelIl19rocblas_complex_numIfELi16ELb0ELb1ELc84ELc85EKPKS1_KPS1_EviT_T0_PT6_S7_lSA_S7_lS8_PT7_S7_li, .Lfunc_end1741-_ZL41rocblas_syrkx_herkx_small_restrict_kernelIl19rocblas_complex_numIfELi16ELb0ELb1ELc84ELc85EKPKS1_KPS1_EviT_T0_PT6_S7_lSA_S7_lS8_PT7_S7_li
                                        ; -- End function
	.set _ZL41rocblas_syrkx_herkx_small_restrict_kernelIl19rocblas_complex_numIfELi16ELb0ELb1ELc84ELc85EKPKS1_KPS1_EviT_T0_PT6_S7_lSA_S7_lS8_PT7_S7_li.num_vgpr, 70
	.set _ZL41rocblas_syrkx_herkx_small_restrict_kernelIl19rocblas_complex_numIfELi16ELb0ELb1ELc84ELc85EKPKS1_KPS1_EviT_T0_PT6_S7_lSA_S7_lS8_PT7_S7_li.num_agpr, 0
	.set _ZL41rocblas_syrkx_herkx_small_restrict_kernelIl19rocblas_complex_numIfELi16ELb0ELb1ELc84ELc85EKPKS1_KPS1_EviT_T0_PT6_S7_lSA_S7_lS8_PT7_S7_li.numbered_sgpr, 24
	.set _ZL41rocblas_syrkx_herkx_small_restrict_kernelIl19rocblas_complex_numIfELi16ELb0ELb1ELc84ELc85EKPKS1_KPS1_EviT_T0_PT6_S7_lSA_S7_lS8_PT7_S7_li.num_named_barrier, 0
	.set _ZL41rocblas_syrkx_herkx_small_restrict_kernelIl19rocblas_complex_numIfELi16ELb0ELb1ELc84ELc85EKPKS1_KPS1_EviT_T0_PT6_S7_lSA_S7_lS8_PT7_S7_li.private_seg_size, 0
	.set _ZL41rocblas_syrkx_herkx_small_restrict_kernelIl19rocblas_complex_numIfELi16ELb0ELb1ELc84ELc85EKPKS1_KPS1_EviT_T0_PT6_S7_lSA_S7_lS8_PT7_S7_li.uses_vcc, 1
	.set _ZL41rocblas_syrkx_herkx_small_restrict_kernelIl19rocblas_complex_numIfELi16ELb0ELb1ELc84ELc85EKPKS1_KPS1_EviT_T0_PT6_S7_lSA_S7_lS8_PT7_S7_li.uses_flat_scratch, 0
	.set _ZL41rocblas_syrkx_herkx_small_restrict_kernelIl19rocblas_complex_numIfELi16ELb0ELb1ELc84ELc85EKPKS1_KPS1_EviT_T0_PT6_S7_lSA_S7_lS8_PT7_S7_li.has_dyn_sized_stack, 0
	.set _ZL41rocblas_syrkx_herkx_small_restrict_kernelIl19rocblas_complex_numIfELi16ELb0ELb1ELc84ELc85EKPKS1_KPS1_EviT_T0_PT6_S7_lSA_S7_lS8_PT7_S7_li.has_recursion, 0
	.set _ZL41rocblas_syrkx_herkx_small_restrict_kernelIl19rocblas_complex_numIfELi16ELb0ELb1ELc84ELc85EKPKS1_KPS1_EviT_T0_PT6_S7_lSA_S7_lS8_PT7_S7_li.has_indirect_call, 0
	.section	.AMDGPU.csdata,"",@progbits
; Kernel info:
; codeLenInByte = 1228
; TotalNumSgprs: 28
; NumVgprs: 70
; ScratchSize: 0
; MemoryBound: 0
; FloatMode: 240
; IeeeMode: 1
; LDSByteSize: 4096 bytes/workgroup (compile time only)
; SGPRBlocks: 3
; VGPRBlocks: 17
; NumSGPRsForWavesPerEU: 28
; NumVGPRsForWavesPerEU: 70
; Occupancy: 3
; WaveLimiterHint : 1
; COMPUTE_PGM_RSRC2:SCRATCH_EN: 0
; COMPUTE_PGM_RSRC2:USER_SGPR: 6
; COMPUTE_PGM_RSRC2:TRAP_HANDLER: 0
; COMPUTE_PGM_RSRC2:TGID_X_EN: 1
; COMPUTE_PGM_RSRC2:TGID_Y_EN: 1
; COMPUTE_PGM_RSRC2:TGID_Z_EN: 1
; COMPUTE_PGM_RSRC2:TIDIG_COMP_CNT: 1
	.section	.text._ZL41rocblas_syrkx_herkx_small_restrict_kernelIl19rocblas_complex_numIfELi16ELb0ELb1ELc67ELc85EKPKS1_KPS1_EviT_T0_PT6_S7_lSA_S7_lS8_PT7_S7_li,"axG",@progbits,_ZL41rocblas_syrkx_herkx_small_restrict_kernelIl19rocblas_complex_numIfELi16ELb0ELb1ELc67ELc85EKPKS1_KPS1_EviT_T0_PT6_S7_lSA_S7_lS8_PT7_S7_li,comdat
	.globl	_ZL41rocblas_syrkx_herkx_small_restrict_kernelIl19rocblas_complex_numIfELi16ELb0ELb1ELc67ELc85EKPKS1_KPS1_EviT_T0_PT6_S7_lSA_S7_lS8_PT7_S7_li ; -- Begin function _ZL41rocblas_syrkx_herkx_small_restrict_kernelIl19rocblas_complex_numIfELi16ELb0ELb1ELc67ELc85EKPKS1_KPS1_EviT_T0_PT6_S7_lSA_S7_lS8_PT7_S7_li
	.p2align	8
	.type	_ZL41rocblas_syrkx_herkx_small_restrict_kernelIl19rocblas_complex_numIfELi16ELb0ELb1ELc67ELc85EKPKS1_KPS1_EviT_T0_PT6_S7_lSA_S7_lS8_PT7_S7_li,@function
_ZL41rocblas_syrkx_herkx_small_restrict_kernelIl19rocblas_complex_numIfELi16ELb0ELb1ELc67ELc85EKPKS1_KPS1_EviT_T0_PT6_S7_lSA_S7_lS8_PT7_S7_li: ; @_ZL41rocblas_syrkx_herkx_small_restrict_kernelIl19rocblas_complex_numIfELi16ELb0ELb1ELc67ELc85EKPKS1_KPS1_EviT_T0_PT6_S7_lSA_S7_lS8_PT7_S7_li
; %bb.0:
	s_load_dwordx4 s[20:23], s[4:5], 0x48
	s_load_dwordx2 s[10:11], s[4:5], 0x58
	s_load_dwordx8 s[12:19], s[4:5], 0x8
	s_mov_b32 s9, 0
	s_lshl_b64 s[0:1], s[8:9], 3
	s_waitcnt lgkmcnt(0)
	s_add_u32 s2, s22, s0
	s_addc_u32 s3, s23, s1
	s_load_dwordx2 s[8:9], s[2:3], 0x0
	v_cmp_lt_i64_e64 s[2:3], s[12:13], 1
	v_lshl_add_u32 v2, s6, 4, v0
	v_lshl_add_u32 v8, s7, 4, v1
	s_and_b64 vcc, exec, s[2:3]
	v_ashrrev_i32_e32 v3, 31, v2
	v_ashrrev_i32_e32 v9, 31, v8
	s_cbranch_vccnz .LBB1742_5
; %bb.1:
	s_load_dwordx4 s[4:7], s[4:5], 0x30
	v_mad_u64_u32 v[4:5], s[2:3], s18, v2, 0
	v_mul_lo_u32 v6, s19, v2
	v_mul_lo_u32 v7, s18, v3
	s_waitcnt lgkmcnt(0)
	s_add_u32 s2, s4, s0
	s_addc_u32 s3, s5, s1
	s_add_u32 s0, s16, s0
	s_addc_u32 s1, s17, s1
	s_load_dwordx2 s[0:1], s[0:1], 0x0
	v_lshlrev_b32_e32 v11, 3, v1
	v_add3_u32 v5, v5, v7, v6
	v_lshlrev_b64 v[4:5], 3, v[4:5]
	s_load_dwordx2 s[2:3], s[2:3], 0x0
	s_waitcnt lgkmcnt(0)
	v_mov_b32_e32 v6, s1
	v_add_co_u32_e32 v7, vcc, s0, v11
	v_addc_co_u32_e32 v6, vcc, 0, v6, vcc
	v_add_co_u32_e32 v4, vcc, v7, v4
	v_addc_co_u32_e32 v5, vcc, v6, v5, vcc
	v_mul_lo_u32 v13, s7, v8
	v_mul_lo_u32 v14, s6, v9
	v_mad_u64_u32 v[6:7], s[0:1], s6, v8, 0
	v_lshlrev_b32_e32 v11, 3, v0
	v_mov_b32_e32 v0, s3
	v_add3_u32 v7, v7, v14, v13
	v_add_co_u32_e32 v13, vcc, s2, v11
	v_lshlrev_b32_e32 v15, 7, v1
	v_addc_co_u32_e32 v14, vcc, 0, v0, vcc
	v_lshlrev_b64 v[0:1], 3, v[6:7]
	v_mov_b32_e32 v6, s12
	v_add_co_u32_e32 v0, vcc, v13, v0
	v_addc_co_u32_e32 v1, vcc, v14, v1, vcc
	v_add_u32_e32 v14, 0x800, v15
	v_mov_b32_e32 v10, 0
	v_add_u32_e32 v12, v11, v15
	v_add_u32_e32 v15, v14, v11
	s_mov_b64 s[4:5], 0
	v_mov_b32_e32 v7, s13
	v_mov_b32_e32 v13, 0
.LBB1742_2:                             ; =>This Inner Loop Header: Depth=1
	flat_load_dwordx2 v[16:17], v[4:5]
	s_add_u32 s4, s4, 16
	s_addc_u32 s5, s5, 0
	v_cmp_lt_i64_e32 vcc, s[4:5], v[6:7]
	s_and_b64 s[0:1], exec, vcc
	s_waitcnt vmcnt(0) lgkmcnt(0)
	v_xor_b32_e32 v17, 0x80000000, v17
	ds_write_b64 v12, v[16:17]
	flat_load_dwordx2 v[16:17], v[0:1]
	v_add_co_u32_e32 v0, vcc, 0x80, v0
	s_mov_b64 s[2:3], vcc
	v_add_co_u32_e32 v4, vcc, 0x80, v4
	v_addc_co_u32_e32 v5, vcc, 0, v5, vcc
	v_addc_co_u32_e64 v1, s[2:3], 0, v1, s[2:3]
	s_mov_b64 vcc, s[0:1]
	s_waitcnt vmcnt(0) lgkmcnt(0)
	ds_write_b64 v15, v[16:17]
	s_waitcnt lgkmcnt(0)
	s_barrier
	ds_read2_b64 v[16:19], v11 offset1:16
	ds_read_b128 v[20:23], v14
	ds_read_b128 v[24:27], v14 offset:16
	ds_read2_b64 v[28:31], v11 offset0:32 offset1:48
	ds_read2_b64 v[32:35], v11 offset0:64 offset1:80
	ds_read_b128 v[36:39], v14 offset:32
	ds_read_b128 v[40:43], v14 offset:48
	ds_read2_b64 v[44:47], v11 offset0:96 offset1:112
	ds_read2_b64 v[48:51], v11 offset0:128 offset1:144
	ds_read_b128 v[52:55], v14 offset:64
	ds_read_b128 v[56:59], v14 offset:80
	s_waitcnt lgkmcnt(9)
	v_mul_f32_e32 v60, v21, v17
	v_mul_f32_e32 v61, v20, v17
	;; [unrolled: 1-line block ×4, first 2 shown]
	v_fma_f32 v60, v20, v16, -v60
	v_fmac_f32_e32 v61, v21, v16
	v_fma_f32 v63, v22, v18, -v17
	v_fmac_f32_e32 v62, v23, v18
	s_waitcnt lgkmcnt(7)
	v_mul_f32_e32 v20, v25, v29
	v_mul_f32_e32 v64, v24, v29
	v_add_f32_e32 v13, v13, v60
	v_add_f32_e32 v10, v10, v61
	v_mul_f32_e32 v21, v27, v31
	v_mul_f32_e32 v65, v26, v31
	v_fma_f32 v66, v24, v28, -v20
	v_fmac_f32_e32 v64, v25, v28
	v_add_f32_e32 v13, v13, v63
	v_add_f32_e32 v10, v10, v62
	v_fma_f32 v67, v26, v30, -v21
	v_fmac_f32_e32 v65, v27, v30
	s_waitcnt lgkmcnt(5)
	v_mul_f32_e32 v24, v37, v33
	v_mul_f32_e32 v68, v36, v33
	v_add_f32_e32 v13, v13, v66
	v_add_f32_e32 v10, v10, v64
	ds_read2_b64 v[16:19], v11 offset0:160 offset1:176
	v_mul_f32_e32 v25, v39, v35
	v_mul_f32_e32 v69, v38, v35
	v_fma_f32 v36, v36, v32, -v24
	v_fmac_f32_e32 v68, v37, v32
	v_add_f32_e32 v13, v13, v67
	v_add_f32_e32 v10, v10, v65
	v_fma_f32 v37, v38, v34, -v25
	v_fmac_f32_e32 v69, v39, v34
	s_waitcnt lgkmcnt(4)
	v_mul_f32_e32 v28, v41, v45
	v_mul_f32_e32 v38, v40, v45
	v_add_f32_e32 v13, v13, v36
	v_add_f32_e32 v10, v10, v68
	ds_read2_b64 v[20:23], v11 offset0:192 offset1:208
	ds_read_b128 v[24:27], v14 offset:96
	v_mul_f32_e32 v29, v43, v47
	v_mul_f32_e32 v39, v42, v47
	v_fma_f32 v40, v40, v44, -v28
	v_fmac_f32_e32 v38, v41, v44
	v_add_f32_e32 v13, v13, v37
	v_add_f32_e32 v10, v10, v69
	v_fma_f32 v41, v42, v46, -v29
	v_fmac_f32_e32 v39, v43, v46
	s_waitcnt lgkmcnt(4)
	v_mul_f32_e32 v32, v53, v49
	v_mul_f32_e32 v42, v52, v49
	;; [unrolled: 1-line block ×3, first 2 shown]
	v_add_f32_e32 v13, v13, v40
	v_add_f32_e32 v10, v10, v38
	ds_read_b128 v[28:31], v14 offset:112
	v_mul_f32_e32 v43, v54, v51
	v_fma_f32 v44, v52, v48, -v32
	v_fmac_f32_e32 v42, v53, v48
	v_fma_f32 v45, v54, v50, -v33
	ds_read2_b64 v[32:35], v11 offset0:224 offset1:240
	v_add_f32_e32 v13, v13, v41
	v_add_f32_e32 v10, v10, v39
	v_fmac_f32_e32 v43, v55, v50
	s_waitcnt lgkmcnt(4)
	v_mul_f32_e32 v46, v57, v17
	v_mul_f32_e32 v17, v56, v17
	v_add_f32_e32 v13, v13, v44
	v_add_f32_e32 v10, v10, v42
	v_mul_f32_e32 v47, v59, v19
	v_mul_f32_e32 v19, v58, v19
	v_fma_f32 v46, v56, v16, -v46
	v_fmac_f32_e32 v17, v57, v16
	v_add_f32_e32 v13, v13, v45
	v_add_f32_e32 v10, v10, v43
	v_fma_f32 v16, v58, v18, -v47
	v_fmac_f32_e32 v19, v59, v18
	s_waitcnt lgkmcnt(2)
	v_mul_f32_e32 v18, v25, v21
	v_mul_f32_e32 v21, v24, v21
	v_add_f32_e32 v13, v13, v46
	v_add_f32_e32 v10, v10, v17
	v_mul_f32_e32 v47, v27, v23
	v_mul_f32_e32 v23, v26, v23
	v_fma_f32 v18, v24, v20, -v18
	v_fmac_f32_e32 v21, v25, v20
	v_add_f32_e32 v13, v13, v16
	v_add_f32_e32 v10, v10, v19
	s_waitcnt lgkmcnt(0)
	v_mul_f32_e32 v48, v29, v33
	v_mul_f32_e32 v33, v28, v33
	v_fma_f32 v20, v26, v22, -v47
	v_fmac_f32_e32 v23, v27, v22
	v_add_f32_e32 v13, v13, v18
	v_add_f32_e32 v10, v10, v21
	v_mul_f32_e32 v49, v31, v35
	v_mul_f32_e32 v35, v30, v35
	v_fma_f32 v22, v28, v32, -v48
	v_fmac_f32_e32 v33, v29, v32
	v_add_f32_e32 v13, v13, v20
	v_add_f32_e32 v10, v10, v23
	v_fma_f32 v24, v30, v34, -v49
	v_fmac_f32_e32 v35, v31, v34
	v_add_f32_e32 v13, v13, v22
	v_add_f32_e32 v10, v10, v33
	;; [unrolled: 1-line block ×4, first 2 shown]
	s_barrier
	s_cbranch_vccnz .LBB1742_2
; %bb.3:
	v_cmp_le_i32_e32 vcc, v2, v8
	s_and_saveexec_b64 s[0:1], vcc
	s_cbranch_execnz .LBB1742_6
.LBB1742_4:
	s_endpgm
.LBB1742_5:
	v_mov_b32_e32 v10, 0
	v_mov_b32_e32 v13, 0
	v_cmp_le_i32_e32 vcc, v2, v8
	s_and_saveexec_b64 s[0:1], vcc
	s_cbranch_execz .LBB1742_4
.LBB1742_6:
	v_mul_lo_u32 v4, s11, v8
	v_mul_lo_u32 v5, s10, v9
	v_mad_u64_u32 v[0:1], s[0:1], s10, v8, 0
	v_mul_f32_e32 v6, s14, v10
	v_fmac_f32_e32 v6, s15, v13
	v_add3_u32 v1, v1, v5, v4
	v_lshlrev_b64 v[0:1], 3, v[0:1]
	s_waitcnt lgkmcnt(0)
	v_mov_b32_e32 v4, s9
	v_add_co_u32_e32 v5, vcc, s8, v0
	v_addc_co_u32_e32 v4, vcc, v4, v1, vcc
	v_lshlrev_b64 v[0:1], 3, v[2:3]
	v_add_co_u32_e32 v0, vcc, v5, v0
	v_addc_co_u32_e32 v1, vcc, v4, v1, vcc
	flat_load_dwordx2 v[3:4], v[0:1]
	v_mul_f32_e32 v5, s15, v10
	v_fma_f32 v5, v13, s14, -v5
	v_cmp_eq_u32_e32 vcc, v2, v8
	s_waitcnt vmcnt(0) lgkmcnt(0)
	v_mul_f32_e32 v7, s21, v4
	v_mul_f32_e32 v4, s20, v4
	v_fma_f32 v7, v3, s20, -v7
	v_fmac_f32_e32 v4, s21, v3
	v_add_f32_e32 v3, v5, v7
	v_add_f32_e32 v4, v6, v4
	flat_store_dwordx2 v[0:1], v[3:4]
	s_and_b64 exec, exec, vcc
	s_cbranch_execz .LBB1742_4
; %bb.7:
	v_mov_b32_e32 v2, 0
	flat_store_dword v[0:1], v2 offset:4
	s_endpgm
	.section	.rodata,"a",@progbits
	.p2align	6, 0x0
	.amdhsa_kernel _ZL41rocblas_syrkx_herkx_small_restrict_kernelIl19rocblas_complex_numIfELi16ELb0ELb1ELc67ELc85EKPKS1_KPS1_EviT_T0_PT6_S7_lSA_S7_lS8_PT7_S7_li
		.amdhsa_group_segment_fixed_size 4096
		.amdhsa_private_segment_fixed_size 0
		.amdhsa_kernarg_size 108
		.amdhsa_user_sgpr_count 6
		.amdhsa_user_sgpr_private_segment_buffer 1
		.amdhsa_user_sgpr_dispatch_ptr 0
		.amdhsa_user_sgpr_queue_ptr 0
		.amdhsa_user_sgpr_kernarg_segment_ptr 1
		.amdhsa_user_sgpr_dispatch_id 0
		.amdhsa_user_sgpr_flat_scratch_init 0
		.amdhsa_user_sgpr_private_segment_size 0
		.amdhsa_uses_dynamic_stack 0
		.amdhsa_system_sgpr_private_segment_wavefront_offset 0
		.amdhsa_system_sgpr_workgroup_id_x 1
		.amdhsa_system_sgpr_workgroup_id_y 1
		.amdhsa_system_sgpr_workgroup_id_z 1
		.amdhsa_system_sgpr_workgroup_info 0
		.amdhsa_system_vgpr_workitem_id 1
		.amdhsa_next_free_vgpr 70
		.amdhsa_next_free_sgpr 24
		.amdhsa_reserve_vcc 1
		.amdhsa_reserve_flat_scratch 0
		.amdhsa_float_round_mode_32 0
		.amdhsa_float_round_mode_16_64 0
		.amdhsa_float_denorm_mode_32 3
		.amdhsa_float_denorm_mode_16_64 3
		.amdhsa_dx10_clamp 1
		.amdhsa_ieee_mode 1
		.amdhsa_fp16_overflow 0
		.amdhsa_exception_fp_ieee_invalid_op 0
		.amdhsa_exception_fp_denorm_src 0
		.amdhsa_exception_fp_ieee_div_zero 0
		.amdhsa_exception_fp_ieee_overflow 0
		.amdhsa_exception_fp_ieee_underflow 0
		.amdhsa_exception_fp_ieee_inexact 0
		.amdhsa_exception_int_div_zero 0
	.end_amdhsa_kernel
	.section	.text._ZL41rocblas_syrkx_herkx_small_restrict_kernelIl19rocblas_complex_numIfELi16ELb0ELb1ELc67ELc85EKPKS1_KPS1_EviT_T0_PT6_S7_lSA_S7_lS8_PT7_S7_li,"axG",@progbits,_ZL41rocblas_syrkx_herkx_small_restrict_kernelIl19rocblas_complex_numIfELi16ELb0ELb1ELc67ELc85EKPKS1_KPS1_EviT_T0_PT6_S7_lSA_S7_lS8_PT7_S7_li,comdat
.Lfunc_end1742:
	.size	_ZL41rocblas_syrkx_herkx_small_restrict_kernelIl19rocblas_complex_numIfELi16ELb0ELb1ELc67ELc85EKPKS1_KPS1_EviT_T0_PT6_S7_lSA_S7_lS8_PT7_S7_li, .Lfunc_end1742-_ZL41rocblas_syrkx_herkx_small_restrict_kernelIl19rocblas_complex_numIfELi16ELb0ELb1ELc67ELc85EKPKS1_KPS1_EviT_T0_PT6_S7_lSA_S7_lS8_PT7_S7_li
                                        ; -- End function
	.set _ZL41rocblas_syrkx_herkx_small_restrict_kernelIl19rocblas_complex_numIfELi16ELb0ELb1ELc67ELc85EKPKS1_KPS1_EviT_T0_PT6_S7_lSA_S7_lS8_PT7_S7_li.num_vgpr, 70
	.set _ZL41rocblas_syrkx_herkx_small_restrict_kernelIl19rocblas_complex_numIfELi16ELb0ELb1ELc67ELc85EKPKS1_KPS1_EviT_T0_PT6_S7_lSA_S7_lS8_PT7_S7_li.num_agpr, 0
	.set _ZL41rocblas_syrkx_herkx_small_restrict_kernelIl19rocblas_complex_numIfELi16ELb0ELb1ELc67ELc85EKPKS1_KPS1_EviT_T0_PT6_S7_lSA_S7_lS8_PT7_S7_li.numbered_sgpr, 24
	.set _ZL41rocblas_syrkx_herkx_small_restrict_kernelIl19rocblas_complex_numIfELi16ELb0ELb1ELc67ELc85EKPKS1_KPS1_EviT_T0_PT6_S7_lSA_S7_lS8_PT7_S7_li.num_named_barrier, 0
	.set _ZL41rocblas_syrkx_herkx_small_restrict_kernelIl19rocblas_complex_numIfELi16ELb0ELb1ELc67ELc85EKPKS1_KPS1_EviT_T0_PT6_S7_lSA_S7_lS8_PT7_S7_li.private_seg_size, 0
	.set _ZL41rocblas_syrkx_herkx_small_restrict_kernelIl19rocblas_complex_numIfELi16ELb0ELb1ELc67ELc85EKPKS1_KPS1_EviT_T0_PT6_S7_lSA_S7_lS8_PT7_S7_li.uses_vcc, 1
	.set _ZL41rocblas_syrkx_herkx_small_restrict_kernelIl19rocblas_complex_numIfELi16ELb0ELb1ELc67ELc85EKPKS1_KPS1_EviT_T0_PT6_S7_lSA_S7_lS8_PT7_S7_li.uses_flat_scratch, 0
	.set _ZL41rocblas_syrkx_herkx_small_restrict_kernelIl19rocblas_complex_numIfELi16ELb0ELb1ELc67ELc85EKPKS1_KPS1_EviT_T0_PT6_S7_lSA_S7_lS8_PT7_S7_li.has_dyn_sized_stack, 0
	.set _ZL41rocblas_syrkx_herkx_small_restrict_kernelIl19rocblas_complex_numIfELi16ELb0ELb1ELc67ELc85EKPKS1_KPS1_EviT_T0_PT6_S7_lSA_S7_lS8_PT7_S7_li.has_recursion, 0
	.set _ZL41rocblas_syrkx_herkx_small_restrict_kernelIl19rocblas_complex_numIfELi16ELb0ELb1ELc67ELc85EKPKS1_KPS1_EviT_T0_PT6_S7_lSA_S7_lS8_PT7_S7_li.has_indirect_call, 0
	.section	.AMDGPU.csdata,"",@progbits
; Kernel info:
; codeLenInByte = 1236
; TotalNumSgprs: 28
; NumVgprs: 70
; ScratchSize: 0
; MemoryBound: 0
; FloatMode: 240
; IeeeMode: 1
; LDSByteSize: 4096 bytes/workgroup (compile time only)
; SGPRBlocks: 3
; VGPRBlocks: 17
; NumSGPRsForWavesPerEU: 28
; NumVGPRsForWavesPerEU: 70
; Occupancy: 3
; WaveLimiterHint : 1
; COMPUTE_PGM_RSRC2:SCRATCH_EN: 0
; COMPUTE_PGM_RSRC2:USER_SGPR: 6
; COMPUTE_PGM_RSRC2:TRAP_HANDLER: 0
; COMPUTE_PGM_RSRC2:TGID_X_EN: 1
; COMPUTE_PGM_RSRC2:TGID_Y_EN: 1
; COMPUTE_PGM_RSRC2:TGID_Z_EN: 1
; COMPUTE_PGM_RSRC2:TIDIG_COMP_CNT: 1
	.section	.text._ZL41rocblas_syrkx_herkx_small_restrict_kernelIl19rocblas_complex_numIfELi16ELb0ELb1ELc78ELc85EKPKS1_KPS1_EviT_T0_PT6_S7_lSA_S7_lS8_PT7_S7_li,"axG",@progbits,_ZL41rocblas_syrkx_herkx_small_restrict_kernelIl19rocblas_complex_numIfELi16ELb0ELb1ELc78ELc85EKPKS1_KPS1_EviT_T0_PT6_S7_lSA_S7_lS8_PT7_S7_li,comdat
	.globl	_ZL41rocblas_syrkx_herkx_small_restrict_kernelIl19rocblas_complex_numIfELi16ELb0ELb1ELc78ELc85EKPKS1_KPS1_EviT_T0_PT6_S7_lSA_S7_lS8_PT7_S7_li ; -- Begin function _ZL41rocblas_syrkx_herkx_small_restrict_kernelIl19rocblas_complex_numIfELi16ELb0ELb1ELc78ELc85EKPKS1_KPS1_EviT_T0_PT6_S7_lSA_S7_lS8_PT7_S7_li
	.p2align	8
	.type	_ZL41rocblas_syrkx_herkx_small_restrict_kernelIl19rocblas_complex_numIfELi16ELb0ELb1ELc78ELc85EKPKS1_KPS1_EviT_T0_PT6_S7_lSA_S7_lS8_PT7_S7_li,@function
_ZL41rocblas_syrkx_herkx_small_restrict_kernelIl19rocblas_complex_numIfELi16ELb0ELb1ELc78ELc85EKPKS1_KPS1_EviT_T0_PT6_S7_lSA_S7_lS8_PT7_S7_li: ; @_ZL41rocblas_syrkx_herkx_small_restrict_kernelIl19rocblas_complex_numIfELi16ELb0ELb1ELc78ELc85EKPKS1_KPS1_EviT_T0_PT6_S7_lSA_S7_lS8_PT7_S7_li
; %bb.0:
	s_load_dwordx4 s[20:23], s[4:5], 0x48
	s_load_dwordx2 s[10:11], s[4:5], 0x58
	s_load_dwordx8 s[12:19], s[4:5], 0x8
	s_mov_b32 s9, 0
	s_lshl_b64 s[24:25], s[8:9], 3
	s_waitcnt lgkmcnt(0)
	s_add_u32 s0, s22, s24
	s_addc_u32 s1, s23, s25
	s_load_dwordx2 s[8:9], s[0:1], 0x0
	v_cmp_lt_i64_e64 s[0:1], s[12:13], 1
	v_lshl_add_u32 v2, s6, 4, v0
	v_lshl_add_u32 v4, s7, 4, v1
	s_and_b64 vcc, exec, s[0:1]
	v_ashrrev_i32_e32 v3, 31, v2
	v_ashrrev_i32_e32 v5, 31, v4
	s_cbranch_vccnz .LBB1743_5
; %bb.1:
	s_load_dwordx4 s[0:3], s[4:5], 0x30
	v_mad_u64_u32 v[14:15], s[6:7], s18, v1, 0
	v_lshlrev_b32_e32 v9, 7, v1
	v_lshlrev_b32_e32 v10, 3, v0
	s_waitcnt lgkmcnt(0)
	v_mad_u64_u32 v[6:7], s[4:5], s2, v0, 0
	s_add_u32 s0, s0, s24
	v_add_u32_e32 v11, v10, v9
	v_mad_u64_u32 v[7:8], s[6:7], s3, v0, v[7:8]
	v_add_u32_e32 v12, 0x800, v9
	v_lshlrev_b64 v[8:9], 3, v[4:5]
	v_lshlrev_b64 v[6:7], 3, v[6:7]
	s_addc_u32 s1, s1, s25
	s_load_dwordx2 s[0:1], s[0:1], 0x0
	v_add_co_u32_e32 v8, vcc, v6, v8
	v_mov_b32_e32 v0, v15
	v_addc_co_u32_e32 v9, vcc, v7, v9, vcc
	v_mad_u64_u32 v[6:7], s[6:7], s19, v1, v[0:1]
	s_add_u32 s4, s16, s24
	s_addc_u32 s5, s17, s25
	s_load_dwordx2 s[4:5], s[4:5], 0x0
	s_waitcnt lgkmcnt(0)
	v_mov_b32_e32 v16, s1
	v_add_co_u32_e32 v0, vcc, s0, v8
	v_mov_b32_e32 v15, v6
	v_addc_co_u32_e32 v1, vcc, v16, v9, vcc
	v_lshlrev_b64 v[6:7], 3, v[14:15]
	v_lshlrev_b64 v[8:9], 3, v[2:3]
	s_lshl_b64 s[2:3], s[2:3], 7
	v_add_co_u32_e32 v6, vcc, v6, v8
	v_addc_co_u32_e32 v7, vcc, v7, v9, vcc
	v_mov_b32_e32 v8, s5
	v_add_co_u32_e32 v6, vcc, s4, v6
	v_addc_co_u32_e32 v7, vcc, v8, v7, vcc
	s_lshl_b64 s[4:5], s[18:19], 7
	v_mov_b32_e32 v8, s12
	v_add_u32_e32 v13, v12, v10
	v_mov_b32_e32 v14, 0
	s_mov_b64 s[6:7], 0
	v_mov_b32_e32 v16, s3
	v_mov_b32_e32 v17, s5
	;; [unrolled: 1-line block ×4, first 2 shown]
.LBB1743_2:                             ; =>This Inner Loop Header: Depth=1
	flat_load_dwordx2 v[18:19], v[6:7]
	s_add_u32 s6, s6, 16
	v_add_co_u32_e32 v6, vcc, s4, v6
	v_addc_co_u32_e32 v7, vcc, v7, v17, vcc
	s_addc_u32 s7, s7, 0
	v_cmp_lt_i64_e32 vcc, s[6:7], v[8:9]
	s_and_b64 vcc, exec, vcc
	s_waitcnt vmcnt(0) lgkmcnt(0)
	ds_write_b64 v11, v[18:19]
	flat_load_dwordx2 v[18:19], v[0:1]
	v_add_co_u32_e64 v0, s[0:1], s2, v0
	v_addc_co_u32_e64 v1, s[0:1], v1, v16, s[0:1]
	s_waitcnt vmcnt(0) lgkmcnt(0)
	v_xor_b32_e32 v19, 0x80000000, v19
	ds_write_b64 v13, v[18:19]
	s_waitcnt lgkmcnt(0)
	s_barrier
	ds_read2_b64 v[18:21], v10 offset1:16
	ds_read_b128 v[22:25], v12
	ds_read_b128 v[26:29], v12 offset:16
	ds_read2_b64 v[30:33], v10 offset0:32 offset1:48
	ds_read2_b64 v[34:37], v10 offset0:64 offset1:80
	ds_read_b128 v[38:41], v12 offset:32
	ds_read_b128 v[42:45], v12 offset:48
	ds_read2_b64 v[46:49], v10 offset0:96 offset1:112
	ds_read2_b64 v[50:53], v10 offset0:128 offset1:144
	ds_read_b128 v[54:57], v12 offset:64
	s_waitcnt lgkmcnt(8)
	v_mul_f32_e32 v58, v23, v19
	v_mul_f32_e32 v59, v22, v19
	;; [unrolled: 1-line block ×4, first 2 shown]
	v_fma_f32 v58, v22, v18, -v58
	v_fmac_f32_e32 v59, v23, v18
	v_fma_f32 v61, v24, v20, -v19
	v_fmac_f32_e32 v60, v25, v20
	s_waitcnt lgkmcnt(6)
	v_mul_f32_e32 v22, v27, v31
	v_mul_f32_e32 v62, v26, v31
	v_mul_f32_e32 v23, v29, v33
	v_add_f32_e32 v15, v15, v58
	v_add_f32_e32 v14, v14, v59
	ds_read_b128 v[18:21], v12 offset:80
	v_mul_f32_e32 v63, v28, v33
	v_fma_f32 v64, v26, v30, -v22
	v_fmac_f32_e32 v62, v27, v30
	v_fma_f32 v65, v28, v32, -v23
	ds_read2_b64 v[22:25], v10 offset0:160 offset1:176
	v_add_f32_e32 v15, v15, v61
	v_add_f32_e32 v14, v14, v60
	v_fmac_f32_e32 v63, v29, v32
	s_waitcnt lgkmcnt(6)
	v_mul_f32_e32 v26, v39, v35
	v_mul_f32_e32 v66, v38, v35
	v_add_f32_e32 v15, v15, v64
	v_add_f32_e32 v14, v14, v62
	v_mul_f32_e32 v27, v41, v37
	v_mul_f32_e32 v67, v40, v37
	v_fma_f32 v38, v38, v34, -v26
	v_fmac_f32_e32 v66, v39, v34
	v_add_f32_e32 v15, v15, v65
	v_add_f32_e32 v14, v14, v63
	v_fma_f32 v39, v40, v36, -v27
	v_fmac_f32_e32 v67, v41, v36
	s_waitcnt lgkmcnt(4)
	v_mul_f32_e32 v30, v43, v47
	v_mul_f32_e32 v40, v42, v47
	;; [unrolled: 1-line block ×3, first 2 shown]
	v_add_f32_e32 v15, v15, v38
	v_add_f32_e32 v14, v14, v66
	ds_read2_b64 v[26:29], v10 offset0:192 offset1:208
	v_mul_f32_e32 v41, v44, v49
	v_fma_f32 v42, v42, v46, -v30
	v_fmac_f32_e32 v40, v43, v46
	v_fma_f32 v43, v44, v48, -v31
	ds_read_b128 v[30:33], v12 offset:96
	v_add_f32_e32 v15, v15, v39
	v_add_f32_e32 v14, v14, v67
	v_fmac_f32_e32 v41, v45, v48
	s_waitcnt lgkmcnt(4)
	v_mul_f32_e32 v34, v55, v51
	v_mul_f32_e32 v44, v54, v51
	;; [unrolled: 1-line block ×3, first 2 shown]
	s_waitcnt lgkmcnt(2)
	v_mul_f32_e32 v48, v19, v23
	v_mul_f32_e32 v23, v18, v23
	;; [unrolled: 1-line block ×4, first 2 shown]
	v_add_f32_e32 v15, v15, v42
	v_add_f32_e32 v14, v14, v40
	v_mul_f32_e32 v45, v56, v53
	v_fma_f32 v46, v54, v50, -v34
	v_fmac_f32_e32 v44, v55, v50
	v_fma_f32 v47, v56, v52, -v35
	ds_read_b128 v[34:37], v12 offset:112
	v_fma_f32 v48, v18, v22, -v48
	v_fmac_f32_e32 v23, v19, v22
	v_fma_f32 v22, v20, v24, -v49
	v_fmac_f32_e32 v25, v21, v24
	ds_read2_b64 v[18:21], v10 offset0:224 offset1:240
	v_add_f32_e32 v15, v15, v43
	v_add_f32_e32 v14, v14, v41
	v_fmac_f32_e32 v45, v57, v52
	v_add_f32_e32 v15, v15, v46
	v_add_f32_e32 v14, v14, v44
	;; [unrolled: 1-line block ×4, first 2 shown]
	s_waitcnt lgkmcnt(2)
	v_mul_f32_e32 v24, v31, v27
	v_mul_f32_e32 v27, v30, v27
	v_add_f32_e32 v15, v15, v48
	v_add_f32_e32 v14, v14, v23
	v_mul_f32_e32 v49, v33, v29
	v_mul_f32_e32 v29, v32, v29
	v_fma_f32 v24, v30, v26, -v24
	v_fmac_f32_e32 v27, v31, v26
	v_add_f32_e32 v15, v15, v22
	v_add_f32_e32 v14, v14, v25
	s_waitcnt lgkmcnt(0)
	v_mul_f32_e32 v50, v35, v19
	v_mul_f32_e32 v19, v34, v19
	v_fma_f32 v26, v32, v28, -v49
	v_fmac_f32_e32 v29, v33, v28
	v_add_f32_e32 v15, v15, v24
	v_add_f32_e32 v14, v14, v27
	v_mul_f32_e32 v28, v37, v21
	v_mul_f32_e32 v21, v36, v21
	v_fma_f32 v30, v34, v18, -v50
	v_fmac_f32_e32 v19, v35, v18
	v_add_f32_e32 v15, v15, v26
	v_add_f32_e32 v14, v14, v29
	v_fma_f32 v18, v36, v20, -v28
	v_fmac_f32_e32 v21, v37, v20
	v_add_f32_e32 v15, v15, v30
	v_add_f32_e32 v14, v14, v19
	;; [unrolled: 1-line block ×4, first 2 shown]
	s_barrier
	s_cbranch_vccnz .LBB1743_2
; %bb.3:
	v_cmp_le_i32_e32 vcc, v2, v4
	s_and_saveexec_b64 s[0:1], vcc
	s_cbranch_execnz .LBB1743_6
.LBB1743_4:
	s_endpgm
.LBB1743_5:
	v_mov_b32_e32 v14, 0
	v_mov_b32_e32 v15, 0
	v_cmp_le_i32_e32 vcc, v2, v4
	s_and_saveexec_b64 s[0:1], vcc
	s_cbranch_execz .LBB1743_4
.LBB1743_6:
	v_mul_lo_u32 v6, s11, v4
	v_mul_lo_u32 v5, s10, v5
	v_mad_u64_u32 v[0:1], s[0:1], s10, v4, 0
	v_mul_f32_e32 v7, s14, v14
	v_fmac_f32_e32 v7, s15, v15
	v_add3_u32 v1, v1, v5, v6
	v_lshlrev_b64 v[0:1], 3, v[0:1]
	s_waitcnt lgkmcnt(0)
	v_mov_b32_e32 v5, s9
	v_add_co_u32_e32 v6, vcc, s8, v0
	v_addc_co_u32_e32 v5, vcc, v5, v1, vcc
	v_lshlrev_b64 v[0:1], 3, v[2:3]
	v_mul_f32_e32 v3, s15, v14
	v_add_co_u32_e32 v0, vcc, v6, v0
	v_addc_co_u32_e32 v1, vcc, v5, v1, vcc
	flat_load_dwordx2 v[5:6], v[0:1]
	v_fma_f32 v3, v15, s14, -v3
	v_cmp_eq_u32_e32 vcc, v2, v4
	s_waitcnt vmcnt(0) lgkmcnt(0)
	v_mul_f32_e32 v8, s21, v6
	v_mul_f32_e32 v6, s20, v6
	v_fma_f32 v8, v5, s20, -v8
	v_fmac_f32_e32 v6, s21, v5
	v_add_f32_e32 v5, v3, v8
	v_add_f32_e32 v6, v7, v6
	flat_store_dwordx2 v[0:1], v[5:6]
	s_and_b64 exec, exec, vcc
	s_cbranch_execz .LBB1743_4
; %bb.7:
	v_mov_b32_e32 v2, 0
	flat_store_dword v[0:1], v2 offset:4
	s_endpgm
	.section	.rodata,"a",@progbits
	.p2align	6, 0x0
	.amdhsa_kernel _ZL41rocblas_syrkx_herkx_small_restrict_kernelIl19rocblas_complex_numIfELi16ELb0ELb1ELc78ELc85EKPKS1_KPS1_EviT_T0_PT6_S7_lSA_S7_lS8_PT7_S7_li
		.amdhsa_group_segment_fixed_size 4096
		.amdhsa_private_segment_fixed_size 0
		.amdhsa_kernarg_size 108
		.amdhsa_user_sgpr_count 6
		.amdhsa_user_sgpr_private_segment_buffer 1
		.amdhsa_user_sgpr_dispatch_ptr 0
		.amdhsa_user_sgpr_queue_ptr 0
		.amdhsa_user_sgpr_kernarg_segment_ptr 1
		.amdhsa_user_sgpr_dispatch_id 0
		.amdhsa_user_sgpr_flat_scratch_init 0
		.amdhsa_user_sgpr_private_segment_size 0
		.amdhsa_uses_dynamic_stack 0
		.amdhsa_system_sgpr_private_segment_wavefront_offset 0
		.amdhsa_system_sgpr_workgroup_id_x 1
		.amdhsa_system_sgpr_workgroup_id_y 1
		.amdhsa_system_sgpr_workgroup_id_z 1
		.amdhsa_system_sgpr_workgroup_info 0
		.amdhsa_system_vgpr_workitem_id 1
		.amdhsa_next_free_vgpr 68
		.amdhsa_next_free_sgpr 26
		.amdhsa_reserve_vcc 1
		.amdhsa_reserve_flat_scratch 0
		.amdhsa_float_round_mode_32 0
		.amdhsa_float_round_mode_16_64 0
		.amdhsa_float_denorm_mode_32 3
		.amdhsa_float_denorm_mode_16_64 3
		.amdhsa_dx10_clamp 1
		.amdhsa_ieee_mode 1
		.amdhsa_fp16_overflow 0
		.amdhsa_exception_fp_ieee_invalid_op 0
		.amdhsa_exception_fp_denorm_src 0
		.amdhsa_exception_fp_ieee_div_zero 0
		.amdhsa_exception_fp_ieee_overflow 0
		.amdhsa_exception_fp_ieee_underflow 0
		.amdhsa_exception_fp_ieee_inexact 0
		.amdhsa_exception_int_div_zero 0
	.end_amdhsa_kernel
	.section	.text._ZL41rocblas_syrkx_herkx_small_restrict_kernelIl19rocblas_complex_numIfELi16ELb0ELb1ELc78ELc85EKPKS1_KPS1_EviT_T0_PT6_S7_lSA_S7_lS8_PT7_S7_li,"axG",@progbits,_ZL41rocblas_syrkx_herkx_small_restrict_kernelIl19rocblas_complex_numIfELi16ELb0ELb1ELc78ELc85EKPKS1_KPS1_EviT_T0_PT6_S7_lSA_S7_lS8_PT7_S7_li,comdat
.Lfunc_end1743:
	.size	_ZL41rocblas_syrkx_herkx_small_restrict_kernelIl19rocblas_complex_numIfELi16ELb0ELb1ELc78ELc85EKPKS1_KPS1_EviT_T0_PT6_S7_lSA_S7_lS8_PT7_S7_li, .Lfunc_end1743-_ZL41rocblas_syrkx_herkx_small_restrict_kernelIl19rocblas_complex_numIfELi16ELb0ELb1ELc78ELc85EKPKS1_KPS1_EviT_T0_PT6_S7_lSA_S7_lS8_PT7_S7_li
                                        ; -- End function
	.set _ZL41rocblas_syrkx_herkx_small_restrict_kernelIl19rocblas_complex_numIfELi16ELb0ELb1ELc78ELc85EKPKS1_KPS1_EviT_T0_PT6_S7_lSA_S7_lS8_PT7_S7_li.num_vgpr, 68
	.set _ZL41rocblas_syrkx_herkx_small_restrict_kernelIl19rocblas_complex_numIfELi16ELb0ELb1ELc78ELc85EKPKS1_KPS1_EviT_T0_PT6_S7_lSA_S7_lS8_PT7_S7_li.num_agpr, 0
	.set _ZL41rocblas_syrkx_herkx_small_restrict_kernelIl19rocblas_complex_numIfELi16ELb0ELb1ELc78ELc85EKPKS1_KPS1_EviT_T0_PT6_S7_lSA_S7_lS8_PT7_S7_li.numbered_sgpr, 26
	.set _ZL41rocblas_syrkx_herkx_small_restrict_kernelIl19rocblas_complex_numIfELi16ELb0ELb1ELc78ELc85EKPKS1_KPS1_EviT_T0_PT6_S7_lSA_S7_lS8_PT7_S7_li.num_named_barrier, 0
	.set _ZL41rocblas_syrkx_herkx_small_restrict_kernelIl19rocblas_complex_numIfELi16ELb0ELb1ELc78ELc85EKPKS1_KPS1_EviT_T0_PT6_S7_lSA_S7_lS8_PT7_S7_li.private_seg_size, 0
	.set _ZL41rocblas_syrkx_herkx_small_restrict_kernelIl19rocblas_complex_numIfELi16ELb0ELb1ELc78ELc85EKPKS1_KPS1_EviT_T0_PT6_S7_lSA_S7_lS8_PT7_S7_li.uses_vcc, 1
	.set _ZL41rocblas_syrkx_herkx_small_restrict_kernelIl19rocblas_complex_numIfELi16ELb0ELb1ELc78ELc85EKPKS1_KPS1_EviT_T0_PT6_S7_lSA_S7_lS8_PT7_S7_li.uses_flat_scratch, 0
	.set _ZL41rocblas_syrkx_herkx_small_restrict_kernelIl19rocblas_complex_numIfELi16ELb0ELb1ELc78ELc85EKPKS1_KPS1_EviT_T0_PT6_S7_lSA_S7_lS8_PT7_S7_li.has_dyn_sized_stack, 0
	.set _ZL41rocblas_syrkx_herkx_small_restrict_kernelIl19rocblas_complex_numIfELi16ELb0ELb1ELc78ELc85EKPKS1_KPS1_EviT_T0_PT6_S7_lSA_S7_lS8_PT7_S7_li.has_recursion, 0
	.set _ZL41rocblas_syrkx_herkx_small_restrict_kernelIl19rocblas_complex_numIfELi16ELb0ELb1ELc78ELc85EKPKS1_KPS1_EviT_T0_PT6_S7_lSA_S7_lS8_PT7_S7_li.has_indirect_call, 0
	.section	.AMDGPU.csdata,"",@progbits
; Kernel info:
; codeLenInByte = 1228
; TotalNumSgprs: 30
; NumVgprs: 68
; ScratchSize: 0
; MemoryBound: 0
; FloatMode: 240
; IeeeMode: 1
; LDSByteSize: 4096 bytes/workgroup (compile time only)
; SGPRBlocks: 3
; VGPRBlocks: 16
; NumSGPRsForWavesPerEU: 30
; NumVGPRsForWavesPerEU: 68
; Occupancy: 3
; WaveLimiterHint : 1
; COMPUTE_PGM_RSRC2:SCRATCH_EN: 0
; COMPUTE_PGM_RSRC2:USER_SGPR: 6
; COMPUTE_PGM_RSRC2:TRAP_HANDLER: 0
; COMPUTE_PGM_RSRC2:TGID_X_EN: 1
; COMPUTE_PGM_RSRC2:TGID_Y_EN: 1
; COMPUTE_PGM_RSRC2:TGID_Z_EN: 1
; COMPUTE_PGM_RSRC2:TIDIG_COMP_CNT: 1
	.section	.text._ZL32rocblas_syrkx_herkx_small_kernelIl19rocblas_complex_numIfELi16ELb1ELb1ELc84ELc76EKPKS1_KPS1_EviT_T0_PT6_S7_lSA_S7_lS8_PT7_S7_li,"axG",@progbits,_ZL32rocblas_syrkx_herkx_small_kernelIl19rocblas_complex_numIfELi16ELb1ELb1ELc84ELc76EKPKS1_KPS1_EviT_T0_PT6_S7_lSA_S7_lS8_PT7_S7_li,comdat
	.globl	_ZL32rocblas_syrkx_herkx_small_kernelIl19rocblas_complex_numIfELi16ELb1ELb1ELc84ELc76EKPKS1_KPS1_EviT_T0_PT6_S7_lSA_S7_lS8_PT7_S7_li ; -- Begin function _ZL32rocblas_syrkx_herkx_small_kernelIl19rocblas_complex_numIfELi16ELb1ELb1ELc84ELc76EKPKS1_KPS1_EviT_T0_PT6_S7_lSA_S7_lS8_PT7_S7_li
	.p2align	8
	.type	_ZL32rocblas_syrkx_herkx_small_kernelIl19rocblas_complex_numIfELi16ELb1ELb1ELc84ELc76EKPKS1_KPS1_EviT_T0_PT6_S7_lSA_S7_lS8_PT7_S7_li,@function
_ZL32rocblas_syrkx_herkx_small_kernelIl19rocblas_complex_numIfELi16ELb1ELb1ELc84ELc76EKPKS1_KPS1_EviT_T0_PT6_S7_lSA_S7_lS8_PT7_S7_li: ; @_ZL32rocblas_syrkx_herkx_small_kernelIl19rocblas_complex_numIfELi16ELb1ELb1ELc84ELc76EKPKS1_KPS1_EviT_T0_PT6_S7_lSA_S7_lS8_PT7_S7_li
; %bb.0:
	s_load_dwordx4 s[20:23], s[4:5], 0x50
	s_load_dword s10, s[4:5], 0x0
	s_load_dwordx8 s[12:19], s[4:5], 0x8
	s_mov_b32 s9, 0
	s_lshl_b64 s[2:3], s[8:9], 3
	s_waitcnt lgkmcnt(0)
	s_add_u32 s0, s20, s2
	s_addc_u32 s1, s21, s3
	s_load_dwordx2 s[8:9], s[0:1], 0x0
	v_cmp_lt_i64_e64 s[0:1], s[12:13], 1
	v_lshl_add_u32 v2, s6, 4, v0
	v_lshl_add_u32 v12, s7, 4, v1
	s_and_b64 vcc, exec, s[0:1]
	v_cmp_gt_i32_e64 s[0:1], s10, v2
	v_ashrrev_i32_e32 v3, 31, v2
	v_ashrrev_i32_e32 v13, 31, v12
	s_cbranch_vccnz .LBB1744_11
; %bb.1:
	s_load_dwordx4 s[4:7], s[4:5], 0x30
	v_lshlrev_b32_e32 v14, 3, v0
	v_lshlrev_b32_e32 v7, 7, v1
	v_add_u32_e32 v15, v14, v7
	v_add_u32_e32 v16, 0x800, v7
	s_waitcnt lgkmcnt(0)
	s_add_u32 s4, s4, s2
	s_addc_u32 s5, s5, s3
	s_add_u32 s2, s16, s2
	s_addc_u32 s3, s17, s3
	s_load_dwordx2 s[16:17], s[2:3], 0x0
	v_mul_lo_u32 v8, s7, v12
	v_mul_lo_u32 v9, s6, v13
	v_mad_u64_u32 v[5:6], s[2:3], s6, v12, 0
	s_load_dwordx2 s[4:5], s[4:5], 0x0
	v_mul_lo_u32 v11, s19, v2
	v_add3_u32 v6, v6, v9, v8
	v_lshlrev_b64 v[5:6], 3, v[5:6]
	v_mul_lo_u32 v18, s18, v3
	v_add_co_u32_e64 v5, s[2:3], v5, v14
	v_addc_co_u32_e64 v7, s[2:3], 0, v6, s[2:3]
	v_mad_u64_u32 v[8:9], s[2:3], s18, v2, 0
	s_waitcnt lgkmcnt(0)
	v_mov_b32_e32 v10, s5
	v_add_co_u32_e64 v6, s[2:3], s4, v5
	v_add3_u32 v9, v9, v18, v11
	v_lshlrev_b64 v[8:9], 3, v[8:9]
	v_addc_co_u32_e64 v7, s[2:3], v10, v7, s[2:3]
	v_lshlrev_b32_e32 v5, 3, v1
	v_add_co_u32_e64 v5, s[2:3], v8, v5
	v_addc_co_u32_e64 v9, s[2:3], 0, v9, s[2:3]
	v_mov_b32_e32 v10, s17
	v_add_co_u32_e64 v8, s[2:3], s16, v5
	v_cmp_gt_i32_e32 vcc, s10, v12
	v_addc_co_u32_e64 v9, s[2:3], v10, v9, s[2:3]
	v_mov_b32_e32 v10, s12
	v_mov_b32_e32 v4, 0
	v_add_u32_e32 v17, v16, v14
	s_mov_b64 s[2:3], 0
	s_xor_b64 s[4:5], s[0:1], -1
	s_xor_b64 s[6:7], vcc, -1
	v_mov_b32_e32 v11, s13
	v_mov_b32_e32 v18, 0
	;; [unrolled: 1-line block ×3, first 2 shown]
	s_branch .LBB1744_3
.LBB1744_2:                             ;   in Loop: Header=BB1744_3 Depth=1
	s_or_b64 exec, exec, s[0:1]
	s_waitcnt lgkmcnt(0)
	s_barrier
	ds_read2_b64 v[20:23], v14 offset1:16
	ds_read_b128 v[24:27], v16
	ds_read_b128 v[28:31], v16 offset:16
	ds_read2_b64 v[32:35], v14 offset0:32 offset1:48
	s_add_u32 s2, s2, 16
	v_add_co_u32_e32 v6, vcc, 0x80, v6
	s_waitcnt lgkmcnt(2)
	v_mul_f32_e32 v5, v25, v21
	v_mul_f32_e32 v36, v24, v21
	v_fma_f32 v5, v24, v20, -v5
	v_fmac_f32_e32 v36, v25, v20
	v_mul_f32_e32 v20, v27, v23
	v_fma_f32 v37, v26, v22, -v20
	v_mul_f32_e32 v38, v26, v23
	s_waitcnt lgkmcnt(0)
	v_mul_f32_e32 v20, v29, v33
	v_fmac_f32_e32 v38, v27, v22
	v_fma_f32 v39, v28, v32, -v20
	ds_read2_b64 v[20:23], v14 offset0:64 offset1:80
	ds_read_b128 v[24:27], v16 offset:32
	v_mul_f32_e32 v40, v28, v33
	v_fmac_f32_e32 v40, v29, v32
	v_mul_f32_e32 v28, v31, v35
	v_mul_f32_e32 v42, v30, v35
	s_waitcnt lgkmcnt(0)
	v_mul_f32_e32 v32, v25, v21
	v_fma_f32 v41, v30, v34, -v28
	v_fmac_f32_e32 v42, v31, v34
	ds_read_b128 v[28:31], v16 offset:48
	v_fma_f32 v43, v24, v20, -v32
	ds_read2_b64 v[32:35], v14 offset0:96 offset1:112
	v_mul_f32_e32 v44, v24, v21
	v_fmac_f32_e32 v44, v25, v20
	v_mul_f32_e32 v20, v27, v23
	v_fma_f32 v45, v26, v22, -v20
	v_mul_f32_e32 v46, v26, v23
	s_waitcnt lgkmcnt(0)
	v_mul_f32_e32 v20, v29, v33
	v_fmac_f32_e32 v46, v27, v22
	v_fma_f32 v47, v28, v32, -v20
	ds_read2_b64 v[20:23], v14 offset0:128 offset1:144
	ds_read_b128 v[24:27], v16 offset:64
	v_mul_f32_e32 v48, v28, v33
	v_fmac_f32_e32 v48, v29, v32
	v_mul_f32_e32 v28, v31, v35
	v_mul_f32_e32 v50, v30, v35
	s_waitcnt lgkmcnt(0)
	v_mul_f32_e32 v32, v25, v21
	v_fma_f32 v49, v30, v34, -v28
	v_fmac_f32_e32 v50, v31, v34
	ds_read_b128 v[28:31], v16 offset:80
	v_fma_f32 v51, v24, v20, -v32
	ds_read2_b64 v[32:35], v14 offset0:160 offset1:176
	v_mul_f32_e32 v52, v24, v21
	v_add_f32_e32 v18, v18, v36
	v_fmac_f32_e32 v52, v25, v20
	v_mul_f32_e32 v20, v27, v23
	v_add_f32_e32 v18, v18, v38
	v_fma_f32 v53, v26, v22, -v20
	v_mul_f32_e32 v54, v26, v23
	s_waitcnt lgkmcnt(0)
	v_mul_f32_e32 v20, v29, v33
	v_add_f32_e32 v18, v18, v40
	v_fmac_f32_e32 v54, v27, v22
	v_fma_f32 v55, v28, v32, -v20
	ds_read2_b64 v[20:23], v14 offset0:192 offset1:208
	ds_read_b128 v[24:27], v16 offset:96
	v_add_f32_e32 v18, v18, v42
	v_add_f32_e32 v18, v18, v44
	;; [unrolled: 1-line block ×6, first 2 shown]
	v_mul_f32_e32 v33, v28, v33
	v_mul_f32_e32 v28, v31, v35
	;; [unrolled: 1-line block ×3, first 2 shown]
	v_add_f32_e32 v5, v5, v39
	v_add_f32_e32 v18, v18, v50
	v_fmac_f32_e32 v33, v29, v32
	v_fma_f32 v32, v30, v34, -v28
	v_fmac_f32_e32 v35, v31, v34
	s_waitcnt lgkmcnt(0)
	v_mul_f32_e32 v34, v25, v21
	v_add_f32_e32 v5, v5, v41
	v_add_f32_e32 v18, v18, v52
	v_fma_f32 v34, v24, v20, -v34
	v_mul_f32_e32 v24, v24, v21
	v_add_f32_e32 v5, v5, v43
	v_add_f32_e32 v18, v18, v54
	v_fmac_f32_e32 v24, v25, v20
	v_mul_f32_e32 v20, v27, v23
	v_mul_f32_e32 v23, v26, v23
	v_add_f32_e32 v5, v5, v45
	v_add_f32_e32 v18, v18, v33
	ds_read_b128 v[28:31], v16 offset:112
	v_fma_f32 v25, v26, v22, -v20
	v_fmac_f32_e32 v23, v27, v22
	v_add_f32_e32 v5, v5, v47
	v_add_f32_e32 v22, v18, v35
	ds_read2_b64 v[18:21], v14 offset0:224 offset1:240
	v_add_f32_e32 v5, v5, v49
	v_add_f32_e32 v5, v5, v51
	;; [unrolled: 1-line block ×7, first 2 shown]
	s_waitcnt lgkmcnt(0)
	v_mul_f32_e32 v23, v29, v19
	v_mul_f32_e32 v19, v28, v19
	v_add_f32_e32 v5, v5, v34
	v_fmac_f32_e32 v19, v29, v18
	s_addc_u32 s3, s3, 0
	v_addc_co_u32_e32 v7, vcc, 0, v7, vcc
	v_add_f32_e32 v5, v5, v25
	v_fma_f32 v23, v28, v18, -v23
	v_add_f32_e32 v18, v22, v19
	v_mul_f32_e32 v19, v31, v21
	v_mul_f32_e32 v21, v30, v21
	v_add_co_u32_e32 v8, vcc, 0x80, v8
	v_cmp_ge_i64_e64 s[0:1], s[2:3], v[10:11]
	v_add_f32_e32 v5, v5, v23
	v_fma_f32 v19, v30, v20, -v19
	v_fmac_f32_e32 v21, v31, v20
	v_addc_co_u32_e32 v9, vcc, 0, v9, vcc
	v_add_f32_e32 v19, v5, v19
	v_add_f32_e32 v18, v18, v21
	s_and_b64 vcc, exec, s[0:1]
	s_barrier
	s_cbranch_vccnz .LBB1744_12
.LBB1744_3:                             ; =>This Inner Loop Header: Depth=1
	v_mov_b32_e32 v5, s3
	v_add_co_u32_e32 v20, vcc, s2, v1
	v_addc_co_u32_e32 v21, vcc, 0, v5, vcc
	v_cmp_le_i64_e32 vcc, s[12:13], v[20:21]
	s_or_b64 s[0:1], s[4:5], vcc
	s_and_saveexec_b64 s[16:17], s[0:1]
	s_xor_b64 s[0:1], exec, s[16:17]
; %bb.4:                                ;   in Loop: Header=BB1744_3 Depth=1
	v_mov_b32_e32 v5, v4
	ds_write_b64 v15, v[4:5]
; %bb.5:                                ;   in Loop: Header=BB1744_3 Depth=1
	s_andn2_saveexec_b64 s[0:1], s[0:1]
	s_cbranch_execz .LBB1744_7
; %bb.6:                                ;   in Loop: Header=BB1744_3 Depth=1
	flat_load_dwordx2 v[20:21], v[8:9]
	s_waitcnt vmcnt(0) lgkmcnt(0)
	ds_write_b64 v15, v[20:21]
.LBB1744_7:                             ;   in Loop: Header=BB1744_3 Depth=1
	s_or_b64 exec, exec, s[0:1]
	v_mov_b32_e32 v5, s3
	v_add_co_u32_e32 v20, vcc, s2, v0
	v_addc_co_u32_e32 v21, vcc, 0, v5, vcc
	v_cmp_le_i64_e32 vcc, s[12:13], v[20:21]
	s_or_b64 s[0:1], s[6:7], vcc
	s_and_saveexec_b64 s[16:17], s[0:1]
	s_xor_b64 s[0:1], exec, s[16:17]
; %bb.8:                                ;   in Loop: Header=BB1744_3 Depth=1
	v_mov_b32_e32 v5, v4
	ds_write_b64 v17, v[4:5]
; %bb.9:                                ;   in Loop: Header=BB1744_3 Depth=1
	s_andn2_saveexec_b64 s[0:1], s[0:1]
	s_cbranch_execz .LBB1744_2
; %bb.10:                               ;   in Loop: Header=BB1744_3 Depth=1
	flat_load_dwordx2 v[20:21], v[6:7]
	s_waitcnt vmcnt(0) lgkmcnt(0)
	ds_write_b64 v17, v[20:21]
	s_branch .LBB1744_2
.LBB1744_11:
	v_mov_b32_e32 v18, 0
	v_mov_b32_e32 v19, 0
.LBB1744_12:
	v_cmp_le_i32_e32 vcc, v12, v2
	v_cmp_gt_i32_e64 s[0:1], s10, v2
	s_and_b64 s[0:1], vcc, s[0:1]
	s_and_saveexec_b64 s[2:3], s[0:1]
	s_cbranch_execz .LBB1744_15
; %bb.13:
	v_mul_lo_u32 v6, s23, v12
	v_mul_lo_u32 v7, s22, v13
	v_mad_u64_u32 v[0:1], s[0:1], s22, v12, 0
	v_mul_f32_e32 v4, s15, v18
	v_mul_f32_e32 v5, s14, v18
	v_add3_u32 v1, v1, v7, v6
	v_lshlrev_b64 v[0:1], 3, v[0:1]
	s_waitcnt lgkmcnt(0)
	v_mov_b32_e32 v6, s9
	v_add_co_u32_e32 v7, vcc, s8, v0
	v_addc_co_u32_e32 v6, vcc, v6, v1, vcc
	v_lshlrev_b64 v[0:1], 3, v[2:3]
	v_fma_f32 v4, v19, s14, -v4
	v_add_co_u32_e32 v0, vcc, v7, v0
	v_addc_co_u32_e32 v1, vcc, v6, v1, vcc
	v_fmac_f32_e32 v5, s15, v19
	v_cmp_eq_u32_e32 vcc, v2, v12
	flat_store_dwordx2 v[0:1], v[4:5]
	s_and_b64 exec, exec, vcc
	s_cbranch_execz .LBB1744_15
; %bb.14:
	v_mov_b32_e32 v2, 0
	flat_store_dword v[0:1], v2 offset:4
.LBB1744_15:
	s_endpgm
	.section	.rodata,"a",@progbits
	.p2align	6, 0x0
	.amdhsa_kernel _ZL32rocblas_syrkx_herkx_small_kernelIl19rocblas_complex_numIfELi16ELb1ELb1ELc84ELc76EKPKS1_KPS1_EviT_T0_PT6_S7_lSA_S7_lS8_PT7_S7_li
		.amdhsa_group_segment_fixed_size 4096
		.amdhsa_private_segment_fixed_size 0
		.amdhsa_kernarg_size 108
		.amdhsa_user_sgpr_count 6
		.amdhsa_user_sgpr_private_segment_buffer 1
		.amdhsa_user_sgpr_dispatch_ptr 0
		.amdhsa_user_sgpr_queue_ptr 0
		.amdhsa_user_sgpr_kernarg_segment_ptr 1
		.amdhsa_user_sgpr_dispatch_id 0
		.amdhsa_user_sgpr_flat_scratch_init 0
		.amdhsa_user_sgpr_private_segment_size 0
		.amdhsa_uses_dynamic_stack 0
		.amdhsa_system_sgpr_private_segment_wavefront_offset 0
		.amdhsa_system_sgpr_workgroup_id_x 1
		.amdhsa_system_sgpr_workgroup_id_y 1
		.amdhsa_system_sgpr_workgroup_id_z 1
		.amdhsa_system_sgpr_workgroup_info 0
		.amdhsa_system_vgpr_workitem_id 1
		.amdhsa_next_free_vgpr 56
		.amdhsa_next_free_sgpr 24
		.amdhsa_reserve_vcc 1
		.amdhsa_reserve_flat_scratch 0
		.amdhsa_float_round_mode_32 0
		.amdhsa_float_round_mode_16_64 0
		.amdhsa_float_denorm_mode_32 3
		.amdhsa_float_denorm_mode_16_64 3
		.amdhsa_dx10_clamp 1
		.amdhsa_ieee_mode 1
		.amdhsa_fp16_overflow 0
		.amdhsa_exception_fp_ieee_invalid_op 0
		.amdhsa_exception_fp_denorm_src 0
		.amdhsa_exception_fp_ieee_div_zero 0
		.amdhsa_exception_fp_ieee_overflow 0
		.amdhsa_exception_fp_ieee_underflow 0
		.amdhsa_exception_fp_ieee_inexact 0
		.amdhsa_exception_int_div_zero 0
	.end_amdhsa_kernel
	.section	.text._ZL32rocblas_syrkx_herkx_small_kernelIl19rocblas_complex_numIfELi16ELb1ELb1ELc84ELc76EKPKS1_KPS1_EviT_T0_PT6_S7_lSA_S7_lS8_PT7_S7_li,"axG",@progbits,_ZL32rocblas_syrkx_herkx_small_kernelIl19rocblas_complex_numIfELi16ELb1ELb1ELc84ELc76EKPKS1_KPS1_EviT_T0_PT6_S7_lSA_S7_lS8_PT7_S7_li,comdat
.Lfunc_end1744:
	.size	_ZL32rocblas_syrkx_herkx_small_kernelIl19rocblas_complex_numIfELi16ELb1ELb1ELc84ELc76EKPKS1_KPS1_EviT_T0_PT6_S7_lSA_S7_lS8_PT7_S7_li, .Lfunc_end1744-_ZL32rocblas_syrkx_herkx_small_kernelIl19rocblas_complex_numIfELi16ELb1ELb1ELc84ELc76EKPKS1_KPS1_EviT_T0_PT6_S7_lSA_S7_lS8_PT7_S7_li
                                        ; -- End function
	.set _ZL32rocblas_syrkx_herkx_small_kernelIl19rocblas_complex_numIfELi16ELb1ELb1ELc84ELc76EKPKS1_KPS1_EviT_T0_PT6_S7_lSA_S7_lS8_PT7_S7_li.num_vgpr, 56
	.set _ZL32rocblas_syrkx_herkx_small_kernelIl19rocblas_complex_numIfELi16ELb1ELb1ELc84ELc76EKPKS1_KPS1_EviT_T0_PT6_S7_lSA_S7_lS8_PT7_S7_li.num_agpr, 0
	.set _ZL32rocblas_syrkx_herkx_small_kernelIl19rocblas_complex_numIfELi16ELb1ELb1ELc84ELc76EKPKS1_KPS1_EviT_T0_PT6_S7_lSA_S7_lS8_PT7_S7_li.numbered_sgpr, 24
	.set _ZL32rocblas_syrkx_herkx_small_kernelIl19rocblas_complex_numIfELi16ELb1ELb1ELc84ELc76EKPKS1_KPS1_EviT_T0_PT6_S7_lSA_S7_lS8_PT7_S7_li.num_named_barrier, 0
	.set _ZL32rocblas_syrkx_herkx_small_kernelIl19rocblas_complex_numIfELi16ELb1ELb1ELc84ELc76EKPKS1_KPS1_EviT_T0_PT6_S7_lSA_S7_lS8_PT7_S7_li.private_seg_size, 0
	.set _ZL32rocblas_syrkx_herkx_small_kernelIl19rocblas_complex_numIfELi16ELb1ELb1ELc84ELc76EKPKS1_KPS1_EviT_T0_PT6_S7_lSA_S7_lS8_PT7_S7_li.uses_vcc, 1
	.set _ZL32rocblas_syrkx_herkx_small_kernelIl19rocblas_complex_numIfELi16ELb1ELb1ELc84ELc76EKPKS1_KPS1_EviT_T0_PT6_S7_lSA_S7_lS8_PT7_S7_li.uses_flat_scratch, 0
	.set _ZL32rocblas_syrkx_herkx_small_kernelIl19rocblas_complex_numIfELi16ELb1ELb1ELc84ELc76EKPKS1_KPS1_EviT_T0_PT6_S7_lSA_S7_lS8_PT7_S7_li.has_dyn_sized_stack, 0
	.set _ZL32rocblas_syrkx_herkx_small_kernelIl19rocblas_complex_numIfELi16ELb1ELb1ELc84ELc76EKPKS1_KPS1_EviT_T0_PT6_S7_lSA_S7_lS8_PT7_S7_li.has_recursion, 0
	.set _ZL32rocblas_syrkx_herkx_small_kernelIl19rocblas_complex_numIfELi16ELb1ELb1ELc84ELc76EKPKS1_KPS1_EviT_T0_PT6_S7_lSA_S7_lS8_PT7_S7_li.has_indirect_call, 0
	.section	.AMDGPU.csdata,"",@progbits
; Kernel info:
; codeLenInByte = 1344
; TotalNumSgprs: 28
; NumVgprs: 56
; ScratchSize: 0
; MemoryBound: 1
; FloatMode: 240
; IeeeMode: 1
; LDSByteSize: 4096 bytes/workgroup (compile time only)
; SGPRBlocks: 3
; VGPRBlocks: 13
; NumSGPRsForWavesPerEU: 28
; NumVGPRsForWavesPerEU: 56
; Occupancy: 4
; WaveLimiterHint : 1
; COMPUTE_PGM_RSRC2:SCRATCH_EN: 0
; COMPUTE_PGM_RSRC2:USER_SGPR: 6
; COMPUTE_PGM_RSRC2:TRAP_HANDLER: 0
; COMPUTE_PGM_RSRC2:TGID_X_EN: 1
; COMPUTE_PGM_RSRC2:TGID_Y_EN: 1
; COMPUTE_PGM_RSRC2:TGID_Z_EN: 1
; COMPUTE_PGM_RSRC2:TIDIG_COMP_CNT: 1
	.section	.text._ZL32rocblas_syrkx_herkx_small_kernelIl19rocblas_complex_numIfELi16ELb1ELb1ELc67ELc76EKPKS1_KPS1_EviT_T0_PT6_S7_lSA_S7_lS8_PT7_S7_li,"axG",@progbits,_ZL32rocblas_syrkx_herkx_small_kernelIl19rocblas_complex_numIfELi16ELb1ELb1ELc67ELc76EKPKS1_KPS1_EviT_T0_PT6_S7_lSA_S7_lS8_PT7_S7_li,comdat
	.globl	_ZL32rocblas_syrkx_herkx_small_kernelIl19rocblas_complex_numIfELi16ELb1ELb1ELc67ELc76EKPKS1_KPS1_EviT_T0_PT6_S7_lSA_S7_lS8_PT7_S7_li ; -- Begin function _ZL32rocblas_syrkx_herkx_small_kernelIl19rocblas_complex_numIfELi16ELb1ELb1ELc67ELc76EKPKS1_KPS1_EviT_T0_PT6_S7_lSA_S7_lS8_PT7_S7_li
	.p2align	8
	.type	_ZL32rocblas_syrkx_herkx_small_kernelIl19rocblas_complex_numIfELi16ELb1ELb1ELc67ELc76EKPKS1_KPS1_EviT_T0_PT6_S7_lSA_S7_lS8_PT7_S7_li,@function
_ZL32rocblas_syrkx_herkx_small_kernelIl19rocblas_complex_numIfELi16ELb1ELb1ELc67ELc76EKPKS1_KPS1_EviT_T0_PT6_S7_lSA_S7_lS8_PT7_S7_li: ; @_ZL32rocblas_syrkx_herkx_small_kernelIl19rocblas_complex_numIfELi16ELb1ELb1ELc67ELc76EKPKS1_KPS1_EviT_T0_PT6_S7_lSA_S7_lS8_PT7_S7_li
; %bb.0:
	s_load_dwordx4 s[20:23], s[4:5], 0x50
	s_load_dword s10, s[4:5], 0x0
	s_load_dwordx8 s[12:19], s[4:5], 0x8
	s_mov_b32 s9, 0
	s_lshl_b64 s[2:3], s[8:9], 3
	s_waitcnt lgkmcnt(0)
	s_add_u32 s0, s20, s2
	s_addc_u32 s1, s21, s3
	s_load_dwordx2 s[8:9], s[0:1], 0x0
	v_cmp_lt_i64_e64 s[0:1], s[12:13], 1
	v_lshl_add_u32 v2, s6, 4, v0
	v_lshl_add_u32 v12, s7, 4, v1
	s_and_b64 vcc, exec, s[0:1]
	v_cmp_gt_i32_e64 s[0:1], s10, v2
	v_ashrrev_i32_e32 v3, 31, v2
	v_ashrrev_i32_e32 v13, 31, v12
	s_cbranch_vccnz .LBB1745_11
; %bb.1:
	s_load_dwordx4 s[4:7], s[4:5], 0x30
	v_lshlrev_b32_e32 v14, 3, v0
	v_lshlrev_b32_e32 v7, 7, v1
	v_add_u32_e32 v15, v14, v7
	v_add_u32_e32 v16, 0x800, v7
	s_waitcnt lgkmcnt(0)
	s_add_u32 s4, s4, s2
	s_addc_u32 s5, s5, s3
	s_add_u32 s2, s16, s2
	s_addc_u32 s3, s17, s3
	s_load_dwordx2 s[16:17], s[2:3], 0x0
	v_mul_lo_u32 v8, s7, v12
	v_mul_lo_u32 v9, s6, v13
	v_mad_u64_u32 v[5:6], s[2:3], s6, v12, 0
	s_load_dwordx2 s[4:5], s[4:5], 0x0
	v_mul_lo_u32 v11, s19, v2
	v_add3_u32 v6, v6, v9, v8
	v_lshlrev_b64 v[5:6], 3, v[5:6]
	v_mul_lo_u32 v18, s18, v3
	v_add_co_u32_e64 v5, s[2:3], v5, v14
	v_addc_co_u32_e64 v7, s[2:3], 0, v6, s[2:3]
	v_mad_u64_u32 v[8:9], s[2:3], s18, v2, 0
	s_waitcnt lgkmcnt(0)
	v_mov_b32_e32 v10, s5
	v_add_co_u32_e64 v6, s[2:3], s4, v5
	v_add3_u32 v9, v9, v18, v11
	v_lshlrev_b64 v[8:9], 3, v[8:9]
	v_addc_co_u32_e64 v7, s[2:3], v10, v7, s[2:3]
	v_lshlrev_b32_e32 v5, 3, v1
	v_add_co_u32_e64 v5, s[2:3], v8, v5
	v_addc_co_u32_e64 v9, s[2:3], 0, v9, s[2:3]
	v_mov_b32_e32 v10, s17
	v_add_co_u32_e64 v8, s[2:3], s16, v5
	v_cmp_gt_i32_e32 vcc, s10, v12
	v_addc_co_u32_e64 v9, s[2:3], v10, v9, s[2:3]
	v_mov_b32_e32 v10, s12
	v_mov_b32_e32 v4, 0
	v_add_u32_e32 v17, v16, v14
	s_mov_b64 s[2:3], 0
	s_xor_b64 s[4:5], s[0:1], -1
	s_xor_b64 s[6:7], vcc, -1
	v_mov_b32_e32 v11, s13
	v_mov_b32_e32 v18, 0
	;; [unrolled: 1-line block ×3, first 2 shown]
	s_branch .LBB1745_3
.LBB1745_2:                             ;   in Loop: Header=BB1745_3 Depth=1
	s_or_b64 exec, exec, s[0:1]
	s_waitcnt lgkmcnt(0)
	s_barrier
	ds_read2_b64 v[20:23], v14 offset1:16
	ds_read_b128 v[24:27], v16
	ds_read_b128 v[28:31], v16 offset:16
	ds_read2_b64 v[32:35], v14 offset0:32 offset1:48
	s_add_u32 s2, s2, 16
	v_add_co_u32_e32 v6, vcc, 0x80, v6
	s_waitcnt lgkmcnt(2)
	v_mul_f32_e32 v5, v25, v21
	v_mul_f32_e32 v36, v24, v21
	v_fma_f32 v5, v24, v20, -v5
	v_fmac_f32_e32 v36, v25, v20
	v_mul_f32_e32 v20, v27, v23
	v_fma_f32 v37, v26, v22, -v20
	v_mul_f32_e32 v38, v26, v23
	s_waitcnt lgkmcnt(0)
	v_mul_f32_e32 v20, v29, v33
	v_fmac_f32_e32 v38, v27, v22
	v_fma_f32 v39, v28, v32, -v20
	ds_read2_b64 v[20:23], v14 offset0:64 offset1:80
	ds_read_b128 v[24:27], v16 offset:32
	v_mul_f32_e32 v40, v28, v33
	v_fmac_f32_e32 v40, v29, v32
	v_mul_f32_e32 v28, v31, v35
	v_mul_f32_e32 v42, v30, v35
	s_waitcnt lgkmcnt(0)
	v_mul_f32_e32 v32, v25, v21
	v_fma_f32 v41, v30, v34, -v28
	v_fmac_f32_e32 v42, v31, v34
	ds_read_b128 v[28:31], v16 offset:48
	v_fma_f32 v43, v24, v20, -v32
	ds_read2_b64 v[32:35], v14 offset0:96 offset1:112
	v_mul_f32_e32 v44, v24, v21
	v_fmac_f32_e32 v44, v25, v20
	v_mul_f32_e32 v20, v27, v23
	v_fma_f32 v45, v26, v22, -v20
	v_mul_f32_e32 v46, v26, v23
	s_waitcnt lgkmcnt(0)
	v_mul_f32_e32 v20, v29, v33
	v_fmac_f32_e32 v46, v27, v22
	v_fma_f32 v47, v28, v32, -v20
	ds_read2_b64 v[20:23], v14 offset0:128 offset1:144
	ds_read_b128 v[24:27], v16 offset:64
	v_mul_f32_e32 v48, v28, v33
	v_fmac_f32_e32 v48, v29, v32
	v_mul_f32_e32 v28, v31, v35
	v_mul_f32_e32 v50, v30, v35
	s_waitcnt lgkmcnt(0)
	v_mul_f32_e32 v32, v25, v21
	v_fma_f32 v49, v30, v34, -v28
	v_fmac_f32_e32 v50, v31, v34
	ds_read_b128 v[28:31], v16 offset:80
	v_fma_f32 v51, v24, v20, -v32
	ds_read2_b64 v[32:35], v14 offset0:160 offset1:176
	v_mul_f32_e32 v52, v24, v21
	v_add_f32_e32 v18, v18, v36
	v_fmac_f32_e32 v52, v25, v20
	v_mul_f32_e32 v20, v27, v23
	v_add_f32_e32 v18, v18, v38
	v_fma_f32 v53, v26, v22, -v20
	v_mul_f32_e32 v54, v26, v23
	s_waitcnt lgkmcnt(0)
	v_mul_f32_e32 v20, v29, v33
	v_add_f32_e32 v18, v18, v40
	v_fmac_f32_e32 v54, v27, v22
	v_fma_f32 v55, v28, v32, -v20
	ds_read2_b64 v[20:23], v14 offset0:192 offset1:208
	ds_read_b128 v[24:27], v16 offset:96
	v_add_f32_e32 v18, v18, v42
	v_add_f32_e32 v18, v18, v44
	;; [unrolled: 1-line block ×6, first 2 shown]
	v_mul_f32_e32 v33, v28, v33
	v_mul_f32_e32 v28, v31, v35
	v_mul_f32_e32 v35, v30, v35
	v_add_f32_e32 v5, v5, v39
	v_add_f32_e32 v18, v18, v50
	v_fmac_f32_e32 v33, v29, v32
	v_fma_f32 v32, v30, v34, -v28
	v_fmac_f32_e32 v35, v31, v34
	s_waitcnt lgkmcnt(0)
	v_mul_f32_e32 v34, v25, v21
	v_add_f32_e32 v5, v5, v41
	v_add_f32_e32 v18, v18, v52
	v_fma_f32 v34, v24, v20, -v34
	v_mul_f32_e32 v24, v24, v21
	v_add_f32_e32 v5, v5, v43
	v_add_f32_e32 v18, v18, v54
	v_fmac_f32_e32 v24, v25, v20
	v_mul_f32_e32 v20, v27, v23
	v_mul_f32_e32 v23, v26, v23
	v_add_f32_e32 v5, v5, v45
	v_add_f32_e32 v18, v18, v33
	ds_read_b128 v[28:31], v16 offset:112
	v_fma_f32 v25, v26, v22, -v20
	v_fmac_f32_e32 v23, v27, v22
	v_add_f32_e32 v5, v5, v47
	v_add_f32_e32 v22, v18, v35
	ds_read2_b64 v[18:21], v14 offset0:224 offset1:240
	v_add_f32_e32 v5, v5, v49
	v_add_f32_e32 v5, v5, v51
	;; [unrolled: 1-line block ×7, first 2 shown]
	s_waitcnt lgkmcnt(0)
	v_mul_f32_e32 v23, v29, v19
	v_mul_f32_e32 v19, v28, v19
	v_add_f32_e32 v5, v5, v34
	v_fmac_f32_e32 v19, v29, v18
	s_addc_u32 s3, s3, 0
	v_addc_co_u32_e32 v7, vcc, 0, v7, vcc
	v_add_f32_e32 v5, v5, v25
	v_fma_f32 v23, v28, v18, -v23
	v_add_f32_e32 v18, v22, v19
	v_mul_f32_e32 v19, v31, v21
	v_mul_f32_e32 v21, v30, v21
	v_add_co_u32_e32 v8, vcc, 0x80, v8
	v_cmp_ge_i64_e64 s[0:1], s[2:3], v[10:11]
	v_add_f32_e32 v5, v5, v23
	v_fma_f32 v19, v30, v20, -v19
	v_fmac_f32_e32 v21, v31, v20
	v_addc_co_u32_e32 v9, vcc, 0, v9, vcc
	v_add_f32_e32 v19, v5, v19
	v_add_f32_e32 v18, v18, v21
	s_and_b64 vcc, exec, s[0:1]
	s_barrier
	s_cbranch_vccnz .LBB1745_12
.LBB1745_3:                             ; =>This Inner Loop Header: Depth=1
	v_mov_b32_e32 v5, s3
	v_add_co_u32_e32 v20, vcc, s2, v1
	v_addc_co_u32_e32 v21, vcc, 0, v5, vcc
	v_cmp_le_i64_e32 vcc, s[12:13], v[20:21]
	s_or_b64 s[0:1], s[4:5], vcc
	s_and_saveexec_b64 s[16:17], s[0:1]
	s_xor_b64 s[0:1], exec, s[16:17]
; %bb.4:                                ;   in Loop: Header=BB1745_3 Depth=1
	ds_write_b32 v15, v4
; %bb.5:                                ;   in Loop: Header=BB1745_3 Depth=1
	s_or_saveexec_b64 s[0:1], s[0:1]
	v_mov_b32_e32 v5, 0
	s_xor_b64 exec, exec, s[0:1]
	s_cbranch_execz .LBB1745_7
; %bb.6:                                ;   in Loop: Header=BB1745_3 Depth=1
	flat_load_dwordx2 v[20:21], v[8:9]
	s_waitcnt vmcnt(0) lgkmcnt(0)
	v_xor_b32_e32 v5, 0x80000000, v21
	ds_write_b32 v15, v20
.LBB1745_7:                             ;   in Loop: Header=BB1745_3 Depth=1
	s_or_b64 exec, exec, s[0:1]
	v_mov_b32_e32 v21, s3
	v_add_co_u32_e32 v20, vcc, s2, v0
	v_addc_co_u32_e32 v21, vcc, 0, v21, vcc
	v_cmp_le_i64_e32 vcc, s[12:13], v[20:21]
	ds_write_b32 v15, v5 offset:4
	s_or_b64 s[0:1], s[6:7], vcc
	s_and_saveexec_b64 s[16:17], s[0:1]
	s_xor_b64 s[0:1], exec, s[16:17]
; %bb.8:                                ;   in Loop: Header=BB1745_3 Depth=1
	v_mov_b32_e32 v5, v4
	ds_write_b64 v17, v[4:5]
; %bb.9:                                ;   in Loop: Header=BB1745_3 Depth=1
	s_andn2_saveexec_b64 s[0:1], s[0:1]
	s_cbranch_execz .LBB1745_2
; %bb.10:                               ;   in Loop: Header=BB1745_3 Depth=1
	flat_load_dwordx2 v[20:21], v[6:7]
	s_waitcnt vmcnt(0) lgkmcnt(0)
	ds_write_b64 v17, v[20:21]
	s_branch .LBB1745_2
.LBB1745_11:
	v_mov_b32_e32 v18, 0
	v_mov_b32_e32 v19, 0
.LBB1745_12:
	v_cmp_le_i32_e32 vcc, v12, v2
	v_cmp_gt_i32_e64 s[0:1], s10, v2
	s_and_b64 s[0:1], vcc, s[0:1]
	s_and_saveexec_b64 s[2:3], s[0:1]
	s_cbranch_execz .LBB1745_15
; %bb.13:
	v_mul_lo_u32 v6, s23, v12
	v_mul_lo_u32 v7, s22, v13
	v_mad_u64_u32 v[0:1], s[0:1], s22, v12, 0
	v_mul_f32_e32 v4, s15, v18
	v_mul_f32_e32 v5, s14, v18
	v_add3_u32 v1, v1, v7, v6
	v_lshlrev_b64 v[0:1], 3, v[0:1]
	s_waitcnt lgkmcnt(0)
	v_mov_b32_e32 v6, s9
	v_add_co_u32_e32 v7, vcc, s8, v0
	v_addc_co_u32_e32 v6, vcc, v6, v1, vcc
	v_lshlrev_b64 v[0:1], 3, v[2:3]
	v_fma_f32 v4, v19, s14, -v4
	v_add_co_u32_e32 v0, vcc, v7, v0
	v_addc_co_u32_e32 v1, vcc, v6, v1, vcc
	v_fmac_f32_e32 v5, s15, v19
	v_cmp_eq_u32_e32 vcc, v2, v12
	flat_store_dwordx2 v[0:1], v[4:5]
	s_and_b64 exec, exec, vcc
	s_cbranch_execz .LBB1745_15
; %bb.14:
	v_mov_b32_e32 v2, 0
	flat_store_dword v[0:1], v2 offset:4
.LBB1745_15:
	s_endpgm
	.section	.rodata,"a",@progbits
	.p2align	6, 0x0
	.amdhsa_kernel _ZL32rocblas_syrkx_herkx_small_kernelIl19rocblas_complex_numIfELi16ELb1ELb1ELc67ELc76EKPKS1_KPS1_EviT_T0_PT6_S7_lSA_S7_lS8_PT7_S7_li
		.amdhsa_group_segment_fixed_size 4096
		.amdhsa_private_segment_fixed_size 0
		.amdhsa_kernarg_size 108
		.amdhsa_user_sgpr_count 6
		.amdhsa_user_sgpr_private_segment_buffer 1
		.amdhsa_user_sgpr_dispatch_ptr 0
		.amdhsa_user_sgpr_queue_ptr 0
		.amdhsa_user_sgpr_kernarg_segment_ptr 1
		.amdhsa_user_sgpr_dispatch_id 0
		.amdhsa_user_sgpr_flat_scratch_init 0
		.amdhsa_user_sgpr_private_segment_size 0
		.amdhsa_uses_dynamic_stack 0
		.amdhsa_system_sgpr_private_segment_wavefront_offset 0
		.amdhsa_system_sgpr_workgroup_id_x 1
		.amdhsa_system_sgpr_workgroup_id_y 1
		.amdhsa_system_sgpr_workgroup_id_z 1
		.amdhsa_system_sgpr_workgroup_info 0
		.amdhsa_system_vgpr_workitem_id 1
		.amdhsa_next_free_vgpr 56
		.amdhsa_next_free_sgpr 24
		.amdhsa_reserve_vcc 1
		.amdhsa_reserve_flat_scratch 0
		.amdhsa_float_round_mode_32 0
		.amdhsa_float_round_mode_16_64 0
		.amdhsa_float_denorm_mode_32 3
		.amdhsa_float_denorm_mode_16_64 3
		.amdhsa_dx10_clamp 1
		.amdhsa_ieee_mode 1
		.amdhsa_fp16_overflow 0
		.amdhsa_exception_fp_ieee_invalid_op 0
		.amdhsa_exception_fp_denorm_src 0
		.amdhsa_exception_fp_ieee_div_zero 0
		.amdhsa_exception_fp_ieee_overflow 0
		.amdhsa_exception_fp_ieee_underflow 0
		.amdhsa_exception_fp_ieee_inexact 0
		.amdhsa_exception_int_div_zero 0
	.end_amdhsa_kernel
	.section	.text._ZL32rocblas_syrkx_herkx_small_kernelIl19rocblas_complex_numIfELi16ELb1ELb1ELc67ELc76EKPKS1_KPS1_EviT_T0_PT6_S7_lSA_S7_lS8_PT7_S7_li,"axG",@progbits,_ZL32rocblas_syrkx_herkx_small_kernelIl19rocblas_complex_numIfELi16ELb1ELb1ELc67ELc76EKPKS1_KPS1_EviT_T0_PT6_S7_lSA_S7_lS8_PT7_S7_li,comdat
.Lfunc_end1745:
	.size	_ZL32rocblas_syrkx_herkx_small_kernelIl19rocblas_complex_numIfELi16ELb1ELb1ELc67ELc76EKPKS1_KPS1_EviT_T0_PT6_S7_lSA_S7_lS8_PT7_S7_li, .Lfunc_end1745-_ZL32rocblas_syrkx_herkx_small_kernelIl19rocblas_complex_numIfELi16ELb1ELb1ELc67ELc76EKPKS1_KPS1_EviT_T0_PT6_S7_lSA_S7_lS8_PT7_S7_li
                                        ; -- End function
	.set _ZL32rocblas_syrkx_herkx_small_kernelIl19rocblas_complex_numIfELi16ELb1ELb1ELc67ELc76EKPKS1_KPS1_EviT_T0_PT6_S7_lSA_S7_lS8_PT7_S7_li.num_vgpr, 56
	.set _ZL32rocblas_syrkx_herkx_small_kernelIl19rocblas_complex_numIfELi16ELb1ELb1ELc67ELc76EKPKS1_KPS1_EviT_T0_PT6_S7_lSA_S7_lS8_PT7_S7_li.num_agpr, 0
	.set _ZL32rocblas_syrkx_herkx_small_kernelIl19rocblas_complex_numIfELi16ELb1ELb1ELc67ELc76EKPKS1_KPS1_EviT_T0_PT6_S7_lSA_S7_lS8_PT7_S7_li.numbered_sgpr, 24
	.set _ZL32rocblas_syrkx_herkx_small_kernelIl19rocblas_complex_numIfELi16ELb1ELb1ELc67ELc76EKPKS1_KPS1_EviT_T0_PT6_S7_lSA_S7_lS8_PT7_S7_li.num_named_barrier, 0
	.set _ZL32rocblas_syrkx_herkx_small_kernelIl19rocblas_complex_numIfELi16ELb1ELb1ELc67ELc76EKPKS1_KPS1_EviT_T0_PT6_S7_lSA_S7_lS8_PT7_S7_li.private_seg_size, 0
	.set _ZL32rocblas_syrkx_herkx_small_kernelIl19rocblas_complex_numIfELi16ELb1ELb1ELc67ELc76EKPKS1_KPS1_EviT_T0_PT6_S7_lSA_S7_lS8_PT7_S7_li.uses_vcc, 1
	.set _ZL32rocblas_syrkx_herkx_small_kernelIl19rocblas_complex_numIfELi16ELb1ELb1ELc67ELc76EKPKS1_KPS1_EviT_T0_PT6_S7_lSA_S7_lS8_PT7_S7_li.uses_flat_scratch, 0
	.set _ZL32rocblas_syrkx_herkx_small_kernelIl19rocblas_complex_numIfELi16ELb1ELb1ELc67ELc76EKPKS1_KPS1_EviT_T0_PT6_S7_lSA_S7_lS8_PT7_S7_li.has_dyn_sized_stack, 0
	.set _ZL32rocblas_syrkx_herkx_small_kernelIl19rocblas_complex_numIfELi16ELb1ELb1ELc67ELc76EKPKS1_KPS1_EviT_T0_PT6_S7_lSA_S7_lS8_PT7_S7_li.has_recursion, 0
	.set _ZL32rocblas_syrkx_herkx_small_kernelIl19rocblas_complex_numIfELi16ELb1ELb1ELc67ELc76EKPKS1_KPS1_EviT_T0_PT6_S7_lSA_S7_lS8_PT7_S7_li.has_indirect_call, 0
	.section	.AMDGPU.csdata,"",@progbits
; Kernel info:
; codeLenInByte = 1364
; TotalNumSgprs: 28
; NumVgprs: 56
; ScratchSize: 0
; MemoryBound: 1
; FloatMode: 240
; IeeeMode: 1
; LDSByteSize: 4096 bytes/workgroup (compile time only)
; SGPRBlocks: 3
; VGPRBlocks: 13
; NumSGPRsForWavesPerEU: 28
; NumVGPRsForWavesPerEU: 56
; Occupancy: 4
; WaveLimiterHint : 1
; COMPUTE_PGM_RSRC2:SCRATCH_EN: 0
; COMPUTE_PGM_RSRC2:USER_SGPR: 6
; COMPUTE_PGM_RSRC2:TRAP_HANDLER: 0
; COMPUTE_PGM_RSRC2:TGID_X_EN: 1
; COMPUTE_PGM_RSRC2:TGID_Y_EN: 1
; COMPUTE_PGM_RSRC2:TGID_Z_EN: 1
; COMPUTE_PGM_RSRC2:TIDIG_COMP_CNT: 1
	.section	.text._ZL32rocblas_syrkx_herkx_small_kernelIl19rocblas_complex_numIfELi16ELb1ELb1ELc78ELc76EKPKS1_KPS1_EviT_T0_PT6_S7_lSA_S7_lS8_PT7_S7_li,"axG",@progbits,_ZL32rocblas_syrkx_herkx_small_kernelIl19rocblas_complex_numIfELi16ELb1ELb1ELc78ELc76EKPKS1_KPS1_EviT_T0_PT6_S7_lSA_S7_lS8_PT7_S7_li,comdat
	.globl	_ZL32rocblas_syrkx_herkx_small_kernelIl19rocblas_complex_numIfELi16ELb1ELb1ELc78ELc76EKPKS1_KPS1_EviT_T0_PT6_S7_lSA_S7_lS8_PT7_S7_li ; -- Begin function _ZL32rocblas_syrkx_herkx_small_kernelIl19rocblas_complex_numIfELi16ELb1ELb1ELc78ELc76EKPKS1_KPS1_EviT_T0_PT6_S7_lSA_S7_lS8_PT7_S7_li
	.p2align	8
	.type	_ZL32rocblas_syrkx_herkx_small_kernelIl19rocblas_complex_numIfELi16ELb1ELb1ELc78ELc76EKPKS1_KPS1_EviT_T0_PT6_S7_lSA_S7_lS8_PT7_S7_li,@function
_ZL32rocblas_syrkx_herkx_small_kernelIl19rocblas_complex_numIfELi16ELb1ELb1ELc78ELc76EKPKS1_KPS1_EviT_T0_PT6_S7_lSA_S7_lS8_PT7_S7_li: ; @_ZL32rocblas_syrkx_herkx_small_kernelIl19rocblas_complex_numIfELi16ELb1ELb1ELc78ELc76EKPKS1_KPS1_EviT_T0_PT6_S7_lSA_S7_lS8_PT7_S7_li
; %bb.0:
	s_load_dwordx4 s[20:23], s[4:5], 0x50
	s_load_dword s24, s[4:5], 0x0
	s_load_dwordx8 s[12:19], s[4:5], 0x8
	s_mov_b32 s9, 0
	s_lshl_b64 s[2:3], s[8:9], 3
	s_waitcnt lgkmcnt(0)
	s_add_u32 s0, s20, s2
	s_addc_u32 s1, s21, s3
	s_load_dwordx2 s[8:9], s[0:1], 0x0
	v_cmp_lt_i64_e64 s[0:1], s[12:13], 1
	v_lshl_add_u32 v2, s6, 4, v0
	v_lshl_add_u32 v4, s7, 4, v1
	s_and_b64 vcc, exec, s[0:1]
	v_cmp_gt_i32_e64 s[0:1], s24, v2
	v_ashrrev_i32_e32 v3, 31, v2
	v_ashrrev_i32_e32 v5, 31, v4
	s_cbranch_vccnz .LBB1746_11
; %bb.1:
	s_load_dwordx4 s[4:7], s[4:5], 0x30
	v_lshlrev_b32_e32 v10, 7, v1
	v_lshlrev_b32_e32 v14, 3, v0
	v_add_u32_e32 v15, v14, v10
	v_add_u32_e32 v16, 0x800, v10
	s_waitcnt lgkmcnt(0)
	s_add_u32 s4, s4, s2
	v_mad_u64_u32 v[7:8], s[10:11], s6, v0, 0
	s_addc_u32 s5, s5, s3
	s_add_u32 s2, s16, s2
	s_addc_u32 s3, s17, s3
	s_load_dwordx2 s[10:11], s[2:3], 0x0
	v_mad_u64_u32 v[8:9], s[2:3], s7, v0, v[8:9]
	v_mad_u64_u32 v[11:12], s[2:3], s18, v1, 0
	v_lshlrev_b64 v[7:8], 3, v[7:8]
	v_lshlrev_b64 v[9:10], 3, v[4:5]
	s_load_dwordx2 s[4:5], s[4:5], 0x0
	v_add_co_u32_e64 v9, s[2:3], v7, v9
	v_mov_b32_e32 v7, v12
	v_addc_co_u32_e64 v10, s[2:3], v8, v10, s[2:3]
	v_mad_u64_u32 v[7:8], s[2:3], s19, v1, v[7:8]
	s_waitcnt lgkmcnt(0)
	v_mov_b32_e32 v13, s5
	v_add_co_u32_e64 v8, s[2:3], s4, v9
	v_mov_b32_e32 v12, v7
	v_addc_co_u32_e64 v9, s[2:3], v13, v10, s[2:3]
	v_lshlrev_b64 v[10:11], 3, v[11:12]
	v_lshlrev_b64 v[12:13], 3, v[2:3]
	v_cmp_gt_i32_e32 vcc, s24, v4
	v_add_co_u32_e64 v7, s[2:3], v10, v12
	v_addc_co_u32_e64 v11, s[2:3], v11, v13, s[2:3]
	v_mov_b32_e32 v12, s11
	v_add_co_u32_e64 v10, s[2:3], s10, v7
	v_addc_co_u32_e64 v11, s[2:3], v12, v11, s[2:3]
	s_lshl_b64 s[4:5], s[6:7], 7
	s_lshl_b64 s[2:3], s[18:19], 7
	v_mov_b32_e32 v12, s12
	v_mov_b32_e32 v6, 0
	v_add_u32_e32 v17, v16, v14
	s_mov_b64 s[6:7], 0
	s_xor_b64 s[10:11], s[0:1], -1
	s_xor_b64 s[16:17], vcc, -1
	v_mov_b32_e32 v18, s5
	v_mov_b32_e32 v19, s3
	;; [unrolled: 1-line block ×5, first 2 shown]
	s_branch .LBB1746_3
.LBB1746_2:                             ;   in Loop: Header=BB1746_3 Depth=1
	s_or_b64 exec, exec, s[0:1]
	ds_write_b32 v17, v7 offset:4
	s_waitcnt lgkmcnt(0)
	s_barrier
	ds_read2_b64 v[22:25], v14 offset1:16
	ds_read_b128 v[26:29], v16
	ds_read_b128 v[30:33], v16 offset:16
	ds_read2_b64 v[34:37], v14 offset0:32 offset1:48
	s_add_u32 s6, s6, 16
	v_add_co_u32_e32 v8, vcc, s4, v8
	s_waitcnt lgkmcnt(2)
	v_mul_f32_e32 v7, v27, v23
	v_mul_f32_e32 v38, v26, v23
	v_fma_f32 v7, v26, v22, -v7
	v_fmac_f32_e32 v38, v27, v22
	v_mul_f32_e32 v22, v29, v25
	v_fma_f32 v39, v28, v24, -v22
	v_mul_f32_e32 v40, v28, v25
	s_waitcnt lgkmcnt(0)
	v_mul_f32_e32 v22, v31, v35
	v_fmac_f32_e32 v40, v29, v24
	v_fma_f32 v41, v30, v34, -v22
	ds_read2_b64 v[22:25], v14 offset0:64 offset1:80
	ds_read_b128 v[26:29], v16 offset:32
	v_mul_f32_e32 v42, v30, v35
	v_fmac_f32_e32 v42, v31, v34
	v_mul_f32_e32 v30, v33, v37
	v_mul_f32_e32 v44, v32, v37
	s_waitcnt lgkmcnt(0)
	v_mul_f32_e32 v34, v27, v23
	v_fma_f32 v43, v32, v36, -v30
	v_fmac_f32_e32 v44, v33, v36
	ds_read_b128 v[30:33], v16 offset:48
	v_fma_f32 v45, v26, v22, -v34
	ds_read2_b64 v[34:37], v14 offset0:96 offset1:112
	v_mul_f32_e32 v46, v26, v23
	v_fmac_f32_e32 v46, v27, v22
	v_mul_f32_e32 v22, v29, v25
	v_fma_f32 v47, v28, v24, -v22
	v_mul_f32_e32 v48, v28, v25
	s_waitcnt lgkmcnt(0)
	v_mul_f32_e32 v22, v31, v35
	v_fmac_f32_e32 v48, v29, v24
	v_fma_f32 v49, v30, v34, -v22
	ds_read2_b64 v[22:25], v14 offset0:128 offset1:144
	ds_read_b128 v[26:29], v16 offset:64
	v_mul_f32_e32 v50, v30, v35
	v_fmac_f32_e32 v50, v31, v34
	v_mul_f32_e32 v30, v33, v37
	v_mul_f32_e32 v52, v32, v37
	s_waitcnt lgkmcnt(0)
	v_mul_f32_e32 v34, v27, v23
	v_fma_f32 v51, v32, v36, -v30
	v_fmac_f32_e32 v52, v33, v36
	ds_read_b128 v[30:33], v16 offset:80
	v_fma_f32 v53, v26, v22, -v34
	ds_read2_b64 v[34:37], v14 offset0:160 offset1:176
	v_mul_f32_e32 v54, v26, v23
	v_fmac_f32_e32 v54, v27, v22
	v_mul_f32_e32 v22, v29, v25
	v_fma_f32 v55, v28, v24, -v22
	v_mul_f32_e32 v56, v28, v25
	s_waitcnt lgkmcnt(0)
	v_mul_f32_e32 v22, v31, v35
	v_add_f32_e32 v7, v21, v7
	v_add_f32_e32 v20, v20, v38
	v_fmac_f32_e32 v56, v29, v24
	v_fma_f32 v57, v30, v34, -v22
	ds_read2_b64 v[22:25], v14 offset0:192 offset1:208
	ds_read_b128 v[26:29], v16 offset:96
	v_add_f32_e32 v7, v7, v39
	v_add_f32_e32 v20, v20, v40
	;; [unrolled: 1-line block ×8, first 2 shown]
	v_mul_f32_e32 v58, v30, v35
	v_add_f32_e32 v7, v7, v47
	v_add_f32_e32 v20, v20, v48
	v_fmac_f32_e32 v58, v31, v34
	v_mul_f32_e32 v30, v33, v37
	v_mul_f32_e32 v60, v32, v37
	s_waitcnt lgkmcnt(0)
	v_mul_f32_e32 v34, v27, v23
	v_add_f32_e32 v7, v7, v49
	v_add_f32_e32 v20, v20, v50
	v_fma_f32 v59, v32, v36, -v30
	v_fmac_f32_e32 v60, v33, v36
	ds_read_b128 v[30:33], v16 offset:112
	v_fma_f32 v61, v26, v22, -v34
	ds_read2_b64 v[34:37], v14 offset0:224 offset1:240
	v_add_f32_e32 v7, v7, v51
	v_add_f32_e32 v20, v20, v52
	;; [unrolled: 1-line block ×6, first 2 shown]
	v_mul_f32_e32 v23, v26, v23
	v_add_f32_e32 v7, v7, v57
	v_add_f32_e32 v20, v20, v58
	v_fmac_f32_e32 v23, v27, v22
	v_mul_f32_e32 v22, v29, v25
	v_mul_f32_e32 v25, v28, v25
	v_add_f32_e32 v7, v7, v59
	v_add_f32_e32 v20, v20, v60
	v_fma_f32 v22, v28, v24, -v22
	v_fmac_f32_e32 v25, v29, v24
	s_waitcnt lgkmcnt(0)
	v_mul_f32_e32 v24, v31, v35
	v_mul_f32_e32 v26, v30, v35
	v_add_f32_e32 v7, v7, v61
	v_add_f32_e32 v20, v20, v23
	s_addc_u32 s7, s7, 0
	v_addc_co_u32_e32 v9, vcc, v9, v18, vcc
	v_fma_f32 v24, v30, v34, -v24
	v_fmac_f32_e32 v26, v31, v34
	v_mul_f32_e32 v27, v33, v37
	v_mul_f32_e32 v28, v32, v37
	v_add_f32_e32 v7, v7, v22
	v_add_f32_e32 v20, v20, v25
	v_cmp_ge_i64_e32 vcc, s[6:7], v[12:13]
	v_fma_f32 v27, v32, v36, -v27
	v_fmac_f32_e32 v28, v33, v36
	v_add_f32_e32 v7, v7, v24
	v_add_f32_e32 v20, v20, v26
	v_add_co_u32_e64 v10, s[0:1], s2, v10
	v_add_f32_e32 v21, v7, v27
	v_add_f32_e32 v20, v20, v28
	v_addc_co_u32_e64 v11, s[0:1], v11, v19, s[0:1]
	s_barrier
	s_cbranch_vccnz .LBB1746_12
.LBB1746_3:                             ; =>This Inner Loop Header: Depth=1
	v_mov_b32_e32 v7, s7
	v_add_co_u32_e32 v22, vcc, s6, v1
	v_addc_co_u32_e32 v23, vcc, 0, v7, vcc
	v_cmp_le_i64_e32 vcc, s[12:13], v[22:23]
	s_or_b64 s[0:1], s[10:11], vcc
	s_and_saveexec_b64 s[18:19], s[0:1]
	s_xor_b64 s[0:1], exec, s[18:19]
; %bb.4:                                ;   in Loop: Header=BB1746_3 Depth=1
	v_mov_b32_e32 v7, v6
	ds_write_b64 v15, v[6:7]
; %bb.5:                                ;   in Loop: Header=BB1746_3 Depth=1
	s_andn2_saveexec_b64 s[0:1], s[0:1]
	s_cbranch_execz .LBB1746_7
; %bb.6:                                ;   in Loop: Header=BB1746_3 Depth=1
	flat_load_dwordx2 v[22:23], v[10:11]
	s_waitcnt vmcnt(0) lgkmcnt(0)
	ds_write_b64 v15, v[22:23]
.LBB1746_7:                             ;   in Loop: Header=BB1746_3 Depth=1
	s_or_b64 exec, exec, s[0:1]
	v_mov_b32_e32 v7, s7
	v_add_co_u32_e32 v22, vcc, s6, v0
	v_addc_co_u32_e32 v23, vcc, 0, v7, vcc
	v_cmp_le_i64_e32 vcc, s[12:13], v[22:23]
	s_or_b64 s[0:1], s[16:17], vcc
	s_and_saveexec_b64 s[18:19], s[0:1]
	s_xor_b64 s[0:1], exec, s[18:19]
; %bb.8:                                ;   in Loop: Header=BB1746_3 Depth=1
	ds_write_b32 v17, v6
; %bb.9:                                ;   in Loop: Header=BB1746_3 Depth=1
	s_or_saveexec_b64 s[0:1], s[0:1]
	v_mov_b32_e32 v7, 0
	s_xor_b64 exec, exec, s[0:1]
	s_cbranch_execz .LBB1746_2
; %bb.10:                               ;   in Loop: Header=BB1746_3 Depth=1
	flat_load_dwordx2 v[22:23], v[8:9]
	s_waitcnt vmcnt(0) lgkmcnt(0)
	v_xor_b32_e32 v7, 0x80000000, v23
	ds_write_b32 v17, v22
	s_branch .LBB1746_2
.LBB1746_11:
	v_mov_b32_e32 v20, 0
	v_mov_b32_e32 v21, 0
.LBB1746_12:
	v_cmp_le_i32_e32 vcc, v4, v2
	v_cmp_gt_i32_e64 s[0:1], s24, v2
	s_and_b64 s[0:1], vcc, s[0:1]
	s_and_saveexec_b64 s[2:3], s[0:1]
	s_cbranch_execz .LBB1746_15
; %bb.13:
	v_mul_lo_u32 v7, s23, v4
	v_mul_lo_u32 v8, s22, v5
	v_mad_u64_u32 v[0:1], s[0:1], s22, v4, 0
	v_mul_f32_e32 v6, s15, v20
	v_fma_f32 v5, v21, s14, -v6
	v_add3_u32 v1, v1, v8, v7
	v_lshlrev_b64 v[0:1], 3, v[0:1]
	s_waitcnt lgkmcnt(0)
	v_mov_b32_e32 v7, s9
	v_add_co_u32_e32 v8, vcc, s8, v0
	v_addc_co_u32_e32 v7, vcc, v7, v1, vcc
	v_lshlrev_b64 v[0:1], 3, v[2:3]
	v_mul_f32_e32 v6, s14, v20
	v_add_co_u32_e32 v0, vcc, v8, v0
	v_addc_co_u32_e32 v1, vcc, v7, v1, vcc
	v_fmac_f32_e32 v6, s15, v21
	v_cmp_eq_u32_e32 vcc, v2, v4
	flat_store_dwordx2 v[0:1], v[5:6]
	s_and_b64 exec, exec, vcc
	s_cbranch_execz .LBB1746_15
; %bb.14:
	v_mov_b32_e32 v2, 0
	flat_store_dword v[0:1], v2 offset:4
.LBB1746_15:
	s_endpgm
	.section	.rodata,"a",@progbits
	.p2align	6, 0x0
	.amdhsa_kernel _ZL32rocblas_syrkx_herkx_small_kernelIl19rocblas_complex_numIfELi16ELb1ELb1ELc78ELc76EKPKS1_KPS1_EviT_T0_PT6_S7_lSA_S7_lS8_PT7_S7_li
		.amdhsa_group_segment_fixed_size 4096
		.amdhsa_private_segment_fixed_size 0
		.amdhsa_kernarg_size 108
		.amdhsa_user_sgpr_count 6
		.amdhsa_user_sgpr_private_segment_buffer 1
		.amdhsa_user_sgpr_dispatch_ptr 0
		.amdhsa_user_sgpr_queue_ptr 0
		.amdhsa_user_sgpr_kernarg_segment_ptr 1
		.amdhsa_user_sgpr_dispatch_id 0
		.amdhsa_user_sgpr_flat_scratch_init 0
		.amdhsa_user_sgpr_private_segment_size 0
		.amdhsa_uses_dynamic_stack 0
		.amdhsa_system_sgpr_private_segment_wavefront_offset 0
		.amdhsa_system_sgpr_workgroup_id_x 1
		.amdhsa_system_sgpr_workgroup_id_y 1
		.amdhsa_system_sgpr_workgroup_id_z 1
		.amdhsa_system_sgpr_workgroup_info 0
		.amdhsa_system_vgpr_workitem_id 1
		.amdhsa_next_free_vgpr 62
		.amdhsa_next_free_sgpr 25
		.amdhsa_reserve_vcc 1
		.amdhsa_reserve_flat_scratch 0
		.amdhsa_float_round_mode_32 0
		.amdhsa_float_round_mode_16_64 0
		.amdhsa_float_denorm_mode_32 3
		.amdhsa_float_denorm_mode_16_64 3
		.amdhsa_dx10_clamp 1
		.amdhsa_ieee_mode 1
		.amdhsa_fp16_overflow 0
		.amdhsa_exception_fp_ieee_invalid_op 0
		.amdhsa_exception_fp_denorm_src 0
		.amdhsa_exception_fp_ieee_div_zero 0
		.amdhsa_exception_fp_ieee_overflow 0
		.amdhsa_exception_fp_ieee_underflow 0
		.amdhsa_exception_fp_ieee_inexact 0
		.amdhsa_exception_int_div_zero 0
	.end_amdhsa_kernel
	.section	.text._ZL32rocblas_syrkx_herkx_small_kernelIl19rocblas_complex_numIfELi16ELb1ELb1ELc78ELc76EKPKS1_KPS1_EviT_T0_PT6_S7_lSA_S7_lS8_PT7_S7_li,"axG",@progbits,_ZL32rocblas_syrkx_herkx_small_kernelIl19rocblas_complex_numIfELi16ELb1ELb1ELc78ELc76EKPKS1_KPS1_EviT_T0_PT6_S7_lSA_S7_lS8_PT7_S7_li,comdat
.Lfunc_end1746:
	.size	_ZL32rocblas_syrkx_herkx_small_kernelIl19rocblas_complex_numIfELi16ELb1ELb1ELc78ELc76EKPKS1_KPS1_EviT_T0_PT6_S7_lSA_S7_lS8_PT7_S7_li, .Lfunc_end1746-_ZL32rocblas_syrkx_herkx_small_kernelIl19rocblas_complex_numIfELi16ELb1ELb1ELc78ELc76EKPKS1_KPS1_EviT_T0_PT6_S7_lSA_S7_lS8_PT7_S7_li
                                        ; -- End function
	.set _ZL32rocblas_syrkx_herkx_small_kernelIl19rocblas_complex_numIfELi16ELb1ELb1ELc78ELc76EKPKS1_KPS1_EviT_T0_PT6_S7_lSA_S7_lS8_PT7_S7_li.num_vgpr, 62
	.set _ZL32rocblas_syrkx_herkx_small_kernelIl19rocblas_complex_numIfELi16ELb1ELb1ELc78ELc76EKPKS1_KPS1_EviT_T0_PT6_S7_lSA_S7_lS8_PT7_S7_li.num_agpr, 0
	.set _ZL32rocblas_syrkx_herkx_small_kernelIl19rocblas_complex_numIfELi16ELb1ELb1ELc78ELc76EKPKS1_KPS1_EviT_T0_PT6_S7_lSA_S7_lS8_PT7_S7_li.numbered_sgpr, 25
	.set _ZL32rocblas_syrkx_herkx_small_kernelIl19rocblas_complex_numIfELi16ELb1ELb1ELc78ELc76EKPKS1_KPS1_EviT_T0_PT6_S7_lSA_S7_lS8_PT7_S7_li.num_named_barrier, 0
	.set _ZL32rocblas_syrkx_herkx_small_kernelIl19rocblas_complex_numIfELi16ELb1ELb1ELc78ELc76EKPKS1_KPS1_EviT_T0_PT6_S7_lSA_S7_lS8_PT7_S7_li.private_seg_size, 0
	.set _ZL32rocblas_syrkx_herkx_small_kernelIl19rocblas_complex_numIfELi16ELb1ELb1ELc78ELc76EKPKS1_KPS1_EviT_T0_PT6_S7_lSA_S7_lS8_PT7_S7_li.uses_vcc, 1
	.set _ZL32rocblas_syrkx_herkx_small_kernelIl19rocblas_complex_numIfELi16ELb1ELb1ELc78ELc76EKPKS1_KPS1_EviT_T0_PT6_S7_lSA_S7_lS8_PT7_S7_li.uses_flat_scratch, 0
	.set _ZL32rocblas_syrkx_herkx_small_kernelIl19rocblas_complex_numIfELi16ELb1ELb1ELc78ELc76EKPKS1_KPS1_EviT_T0_PT6_S7_lSA_S7_lS8_PT7_S7_li.has_dyn_sized_stack, 0
	.set _ZL32rocblas_syrkx_herkx_small_kernelIl19rocblas_complex_numIfELi16ELb1ELb1ELc78ELc76EKPKS1_KPS1_EviT_T0_PT6_S7_lSA_S7_lS8_PT7_S7_li.has_recursion, 0
	.set _ZL32rocblas_syrkx_herkx_small_kernelIl19rocblas_complex_numIfELi16ELb1ELb1ELc78ELc76EKPKS1_KPS1_EviT_T0_PT6_S7_lSA_S7_lS8_PT7_S7_li.has_indirect_call, 0
	.section	.AMDGPU.csdata,"",@progbits
; Kernel info:
; codeLenInByte = 1360
; TotalNumSgprs: 29
; NumVgprs: 62
; ScratchSize: 0
; MemoryBound: 1
; FloatMode: 240
; IeeeMode: 1
; LDSByteSize: 4096 bytes/workgroup (compile time only)
; SGPRBlocks: 3
; VGPRBlocks: 15
; NumSGPRsForWavesPerEU: 29
; NumVGPRsForWavesPerEU: 62
; Occupancy: 4
; WaveLimiterHint : 1
; COMPUTE_PGM_RSRC2:SCRATCH_EN: 0
; COMPUTE_PGM_RSRC2:USER_SGPR: 6
; COMPUTE_PGM_RSRC2:TRAP_HANDLER: 0
; COMPUTE_PGM_RSRC2:TGID_X_EN: 1
; COMPUTE_PGM_RSRC2:TGID_Y_EN: 1
; COMPUTE_PGM_RSRC2:TGID_Z_EN: 1
; COMPUTE_PGM_RSRC2:TIDIG_COMP_CNT: 1
	.section	.text._ZL32rocblas_syrkx_herkx_small_kernelIl19rocblas_complex_numIfELi16ELb1ELb1ELc84ELc85EKPKS1_KPS1_EviT_T0_PT6_S7_lSA_S7_lS8_PT7_S7_li,"axG",@progbits,_ZL32rocblas_syrkx_herkx_small_kernelIl19rocblas_complex_numIfELi16ELb1ELb1ELc84ELc85EKPKS1_KPS1_EviT_T0_PT6_S7_lSA_S7_lS8_PT7_S7_li,comdat
	.globl	_ZL32rocblas_syrkx_herkx_small_kernelIl19rocblas_complex_numIfELi16ELb1ELb1ELc84ELc85EKPKS1_KPS1_EviT_T0_PT6_S7_lSA_S7_lS8_PT7_S7_li ; -- Begin function _ZL32rocblas_syrkx_herkx_small_kernelIl19rocblas_complex_numIfELi16ELb1ELb1ELc84ELc85EKPKS1_KPS1_EviT_T0_PT6_S7_lSA_S7_lS8_PT7_S7_li
	.p2align	8
	.type	_ZL32rocblas_syrkx_herkx_small_kernelIl19rocblas_complex_numIfELi16ELb1ELb1ELc84ELc85EKPKS1_KPS1_EviT_T0_PT6_S7_lSA_S7_lS8_PT7_S7_li,@function
_ZL32rocblas_syrkx_herkx_small_kernelIl19rocblas_complex_numIfELi16ELb1ELb1ELc84ELc85EKPKS1_KPS1_EviT_T0_PT6_S7_lSA_S7_lS8_PT7_S7_li: ; @_ZL32rocblas_syrkx_herkx_small_kernelIl19rocblas_complex_numIfELi16ELb1ELb1ELc84ELc85EKPKS1_KPS1_EviT_T0_PT6_S7_lSA_S7_lS8_PT7_S7_li
; %bb.0:
	s_load_dwordx4 s[20:23], s[4:5], 0x50
	s_load_dword s10, s[4:5], 0x0
	s_load_dwordx8 s[12:19], s[4:5], 0x8
	s_mov_b32 s9, 0
	s_lshl_b64 s[2:3], s[8:9], 3
	s_waitcnt lgkmcnt(0)
	s_add_u32 s0, s20, s2
	s_addc_u32 s1, s21, s3
	s_load_dwordx2 s[8:9], s[0:1], 0x0
	v_cmp_lt_i64_e64 s[0:1], s[12:13], 1
	v_lshl_add_u32 v2, s6, 4, v0
	v_lshl_add_u32 v12, s7, 4, v1
	s_and_b64 vcc, exec, s[0:1]
	v_ashrrev_i32_e32 v3, 31, v2
	v_cmp_gt_i32_e64 s[0:1], s10, v12
	v_ashrrev_i32_e32 v13, 31, v12
	s_cbranch_vccnz .LBB1747_11
; %bb.1:
	s_load_dwordx4 s[4:7], s[4:5], 0x30
	v_lshlrev_b32_e32 v14, 3, v0
	v_lshlrev_b32_e32 v7, 7, v1
	v_add_u32_e32 v15, v14, v7
	v_add_u32_e32 v16, 0x800, v7
	s_waitcnt lgkmcnt(0)
	s_add_u32 s4, s4, s2
	s_addc_u32 s5, s5, s3
	s_add_u32 s2, s16, s2
	s_addc_u32 s3, s17, s3
	s_load_dwordx2 s[16:17], s[2:3], 0x0
	v_mul_lo_u32 v8, s7, v12
	v_mul_lo_u32 v9, s6, v13
	v_mad_u64_u32 v[5:6], s[2:3], s6, v12, 0
	s_load_dwordx2 s[4:5], s[4:5], 0x0
	v_mul_lo_u32 v11, s19, v2
	v_add3_u32 v6, v6, v9, v8
	v_lshlrev_b64 v[5:6], 3, v[5:6]
	v_mul_lo_u32 v18, s18, v3
	v_add_co_u32_e64 v5, s[2:3], v5, v14
	v_addc_co_u32_e64 v7, s[2:3], 0, v6, s[2:3]
	v_mad_u64_u32 v[8:9], s[2:3], s18, v2, 0
	s_waitcnt lgkmcnt(0)
	v_mov_b32_e32 v10, s5
	v_add_co_u32_e64 v6, s[2:3], s4, v5
	v_add3_u32 v9, v9, v18, v11
	v_lshlrev_b64 v[8:9], 3, v[8:9]
	v_addc_co_u32_e64 v7, s[2:3], v10, v7, s[2:3]
	v_lshlrev_b32_e32 v5, 3, v1
	v_add_co_u32_e64 v5, s[2:3], v8, v5
	v_addc_co_u32_e64 v9, s[2:3], 0, v9, s[2:3]
	v_mov_b32_e32 v10, s17
	v_add_co_u32_e64 v8, s[2:3], s16, v5
	v_cmp_gt_i32_e32 vcc, s10, v2
	v_addc_co_u32_e64 v9, s[2:3], v10, v9, s[2:3]
	v_mov_b32_e32 v10, s12
	v_mov_b32_e32 v4, 0
	v_add_u32_e32 v17, v16, v14
	s_mov_b64 s[2:3], 0
	s_xor_b64 s[4:5], vcc, -1
	s_xor_b64 s[6:7], s[0:1], -1
	v_mov_b32_e32 v11, s13
	v_mov_b32_e32 v18, 0
	;; [unrolled: 1-line block ×3, first 2 shown]
	s_branch .LBB1747_3
.LBB1747_2:                             ;   in Loop: Header=BB1747_3 Depth=1
	s_or_b64 exec, exec, s[0:1]
	s_waitcnt lgkmcnt(0)
	s_barrier
	ds_read2_b64 v[20:23], v14 offset1:16
	ds_read_b128 v[24:27], v16
	ds_read_b128 v[28:31], v16 offset:16
	ds_read2_b64 v[32:35], v14 offset0:32 offset1:48
	s_add_u32 s2, s2, 16
	v_add_co_u32_e32 v6, vcc, 0x80, v6
	s_waitcnt lgkmcnt(2)
	v_mul_f32_e32 v5, v25, v21
	v_mul_f32_e32 v36, v24, v21
	v_fma_f32 v5, v24, v20, -v5
	v_fmac_f32_e32 v36, v25, v20
	v_mul_f32_e32 v20, v27, v23
	v_fma_f32 v37, v26, v22, -v20
	v_mul_f32_e32 v38, v26, v23
	s_waitcnt lgkmcnt(0)
	v_mul_f32_e32 v20, v29, v33
	v_fmac_f32_e32 v38, v27, v22
	v_fma_f32 v39, v28, v32, -v20
	ds_read2_b64 v[20:23], v14 offset0:64 offset1:80
	ds_read_b128 v[24:27], v16 offset:32
	v_mul_f32_e32 v40, v28, v33
	v_fmac_f32_e32 v40, v29, v32
	v_mul_f32_e32 v28, v31, v35
	v_mul_f32_e32 v42, v30, v35
	s_waitcnt lgkmcnt(0)
	v_mul_f32_e32 v32, v25, v21
	v_fma_f32 v41, v30, v34, -v28
	v_fmac_f32_e32 v42, v31, v34
	ds_read_b128 v[28:31], v16 offset:48
	v_fma_f32 v43, v24, v20, -v32
	ds_read2_b64 v[32:35], v14 offset0:96 offset1:112
	v_mul_f32_e32 v44, v24, v21
	v_fmac_f32_e32 v44, v25, v20
	v_mul_f32_e32 v20, v27, v23
	v_fma_f32 v45, v26, v22, -v20
	v_mul_f32_e32 v46, v26, v23
	s_waitcnt lgkmcnt(0)
	v_mul_f32_e32 v20, v29, v33
	v_fmac_f32_e32 v46, v27, v22
	v_fma_f32 v47, v28, v32, -v20
	ds_read2_b64 v[20:23], v14 offset0:128 offset1:144
	ds_read_b128 v[24:27], v16 offset:64
	v_mul_f32_e32 v48, v28, v33
	v_fmac_f32_e32 v48, v29, v32
	v_mul_f32_e32 v28, v31, v35
	v_mul_f32_e32 v50, v30, v35
	s_waitcnt lgkmcnt(0)
	v_mul_f32_e32 v32, v25, v21
	v_fma_f32 v49, v30, v34, -v28
	v_fmac_f32_e32 v50, v31, v34
	ds_read_b128 v[28:31], v16 offset:80
	v_fma_f32 v51, v24, v20, -v32
	ds_read2_b64 v[32:35], v14 offset0:160 offset1:176
	v_mul_f32_e32 v52, v24, v21
	v_add_f32_e32 v18, v18, v36
	v_fmac_f32_e32 v52, v25, v20
	v_mul_f32_e32 v20, v27, v23
	v_add_f32_e32 v18, v18, v38
	v_fma_f32 v53, v26, v22, -v20
	v_mul_f32_e32 v54, v26, v23
	s_waitcnt lgkmcnt(0)
	v_mul_f32_e32 v20, v29, v33
	v_add_f32_e32 v18, v18, v40
	v_fmac_f32_e32 v54, v27, v22
	v_fma_f32 v55, v28, v32, -v20
	ds_read2_b64 v[20:23], v14 offset0:192 offset1:208
	ds_read_b128 v[24:27], v16 offset:96
	v_add_f32_e32 v18, v18, v42
	v_add_f32_e32 v18, v18, v44
	;; [unrolled: 1-line block ×6, first 2 shown]
	v_mul_f32_e32 v33, v28, v33
	v_mul_f32_e32 v28, v31, v35
	;; [unrolled: 1-line block ×3, first 2 shown]
	v_add_f32_e32 v5, v5, v39
	v_add_f32_e32 v18, v18, v50
	v_fmac_f32_e32 v33, v29, v32
	v_fma_f32 v32, v30, v34, -v28
	v_fmac_f32_e32 v35, v31, v34
	s_waitcnt lgkmcnt(0)
	v_mul_f32_e32 v34, v25, v21
	v_add_f32_e32 v5, v5, v41
	v_add_f32_e32 v18, v18, v52
	v_fma_f32 v34, v24, v20, -v34
	v_mul_f32_e32 v24, v24, v21
	v_add_f32_e32 v5, v5, v43
	v_add_f32_e32 v18, v18, v54
	v_fmac_f32_e32 v24, v25, v20
	v_mul_f32_e32 v20, v27, v23
	v_mul_f32_e32 v23, v26, v23
	v_add_f32_e32 v5, v5, v45
	v_add_f32_e32 v18, v18, v33
	ds_read_b128 v[28:31], v16 offset:112
	v_fma_f32 v25, v26, v22, -v20
	v_fmac_f32_e32 v23, v27, v22
	v_add_f32_e32 v5, v5, v47
	v_add_f32_e32 v22, v18, v35
	ds_read2_b64 v[18:21], v14 offset0:224 offset1:240
	v_add_f32_e32 v5, v5, v49
	v_add_f32_e32 v5, v5, v51
	;; [unrolled: 1-line block ×7, first 2 shown]
	s_waitcnt lgkmcnt(0)
	v_mul_f32_e32 v23, v29, v19
	v_mul_f32_e32 v19, v28, v19
	v_add_f32_e32 v5, v5, v34
	v_fmac_f32_e32 v19, v29, v18
	s_addc_u32 s3, s3, 0
	v_addc_co_u32_e32 v7, vcc, 0, v7, vcc
	v_add_f32_e32 v5, v5, v25
	v_fma_f32 v23, v28, v18, -v23
	v_add_f32_e32 v18, v22, v19
	v_mul_f32_e32 v19, v31, v21
	v_mul_f32_e32 v21, v30, v21
	v_add_co_u32_e32 v8, vcc, 0x80, v8
	v_cmp_ge_i64_e64 s[0:1], s[2:3], v[10:11]
	v_add_f32_e32 v5, v5, v23
	v_fma_f32 v19, v30, v20, -v19
	v_fmac_f32_e32 v21, v31, v20
	v_addc_co_u32_e32 v9, vcc, 0, v9, vcc
	v_add_f32_e32 v19, v5, v19
	v_add_f32_e32 v18, v18, v21
	s_and_b64 vcc, exec, s[0:1]
	s_barrier
	s_cbranch_vccnz .LBB1747_12
.LBB1747_3:                             ; =>This Inner Loop Header: Depth=1
	v_mov_b32_e32 v5, s3
	v_add_co_u32_e32 v20, vcc, s2, v1
	v_addc_co_u32_e32 v21, vcc, 0, v5, vcc
	v_cmp_le_i64_e32 vcc, s[12:13], v[20:21]
	s_or_b64 s[0:1], s[4:5], vcc
	s_and_saveexec_b64 s[16:17], s[0:1]
	s_xor_b64 s[0:1], exec, s[16:17]
; %bb.4:                                ;   in Loop: Header=BB1747_3 Depth=1
	v_mov_b32_e32 v5, v4
	ds_write_b64 v15, v[4:5]
; %bb.5:                                ;   in Loop: Header=BB1747_3 Depth=1
	s_andn2_saveexec_b64 s[0:1], s[0:1]
	s_cbranch_execz .LBB1747_7
; %bb.6:                                ;   in Loop: Header=BB1747_3 Depth=1
	flat_load_dwordx2 v[20:21], v[8:9]
	s_waitcnt vmcnt(0) lgkmcnt(0)
	ds_write_b64 v15, v[20:21]
.LBB1747_7:                             ;   in Loop: Header=BB1747_3 Depth=1
	s_or_b64 exec, exec, s[0:1]
	v_mov_b32_e32 v5, s3
	v_add_co_u32_e32 v20, vcc, s2, v0
	v_addc_co_u32_e32 v21, vcc, 0, v5, vcc
	v_cmp_le_i64_e32 vcc, s[12:13], v[20:21]
	s_or_b64 s[0:1], s[6:7], vcc
	s_and_saveexec_b64 s[16:17], s[0:1]
	s_xor_b64 s[0:1], exec, s[16:17]
; %bb.8:                                ;   in Loop: Header=BB1747_3 Depth=1
	v_mov_b32_e32 v5, v4
	ds_write_b64 v17, v[4:5]
; %bb.9:                                ;   in Loop: Header=BB1747_3 Depth=1
	s_andn2_saveexec_b64 s[0:1], s[0:1]
	s_cbranch_execz .LBB1747_2
; %bb.10:                               ;   in Loop: Header=BB1747_3 Depth=1
	flat_load_dwordx2 v[20:21], v[6:7]
	s_waitcnt vmcnt(0) lgkmcnt(0)
	ds_write_b64 v17, v[20:21]
	s_branch .LBB1747_2
.LBB1747_11:
	v_mov_b32_e32 v18, 0
	v_mov_b32_e32 v19, 0
.LBB1747_12:
	v_cmp_le_i32_e32 vcc, v2, v12
	v_cmp_gt_i32_e64 s[0:1], s10, v12
	s_and_b64 s[0:1], vcc, s[0:1]
	s_and_saveexec_b64 s[2:3], s[0:1]
	s_cbranch_execz .LBB1747_15
; %bb.13:
	v_mul_lo_u32 v6, s23, v12
	v_mul_lo_u32 v7, s22, v13
	v_mad_u64_u32 v[0:1], s[0:1], s22, v12, 0
	v_mul_f32_e32 v4, s15, v18
	v_mul_f32_e32 v5, s14, v18
	v_add3_u32 v1, v1, v7, v6
	v_lshlrev_b64 v[0:1], 3, v[0:1]
	s_waitcnt lgkmcnt(0)
	v_mov_b32_e32 v6, s9
	v_add_co_u32_e32 v7, vcc, s8, v0
	v_addc_co_u32_e32 v6, vcc, v6, v1, vcc
	v_lshlrev_b64 v[0:1], 3, v[2:3]
	v_fma_f32 v4, v19, s14, -v4
	v_add_co_u32_e32 v0, vcc, v7, v0
	v_addc_co_u32_e32 v1, vcc, v6, v1, vcc
	v_fmac_f32_e32 v5, s15, v19
	v_cmp_eq_u32_e32 vcc, v2, v12
	flat_store_dwordx2 v[0:1], v[4:5]
	s_and_b64 exec, exec, vcc
	s_cbranch_execz .LBB1747_15
; %bb.14:
	v_mov_b32_e32 v2, 0
	flat_store_dword v[0:1], v2 offset:4
.LBB1747_15:
	s_endpgm
	.section	.rodata,"a",@progbits
	.p2align	6, 0x0
	.amdhsa_kernel _ZL32rocblas_syrkx_herkx_small_kernelIl19rocblas_complex_numIfELi16ELb1ELb1ELc84ELc85EKPKS1_KPS1_EviT_T0_PT6_S7_lSA_S7_lS8_PT7_S7_li
		.amdhsa_group_segment_fixed_size 4096
		.amdhsa_private_segment_fixed_size 0
		.amdhsa_kernarg_size 108
		.amdhsa_user_sgpr_count 6
		.amdhsa_user_sgpr_private_segment_buffer 1
		.amdhsa_user_sgpr_dispatch_ptr 0
		.amdhsa_user_sgpr_queue_ptr 0
		.amdhsa_user_sgpr_kernarg_segment_ptr 1
		.amdhsa_user_sgpr_dispatch_id 0
		.amdhsa_user_sgpr_flat_scratch_init 0
		.amdhsa_user_sgpr_private_segment_size 0
		.amdhsa_uses_dynamic_stack 0
		.amdhsa_system_sgpr_private_segment_wavefront_offset 0
		.amdhsa_system_sgpr_workgroup_id_x 1
		.amdhsa_system_sgpr_workgroup_id_y 1
		.amdhsa_system_sgpr_workgroup_id_z 1
		.amdhsa_system_sgpr_workgroup_info 0
		.amdhsa_system_vgpr_workitem_id 1
		.amdhsa_next_free_vgpr 56
		.amdhsa_next_free_sgpr 24
		.amdhsa_reserve_vcc 1
		.amdhsa_reserve_flat_scratch 0
		.amdhsa_float_round_mode_32 0
		.amdhsa_float_round_mode_16_64 0
		.amdhsa_float_denorm_mode_32 3
		.amdhsa_float_denorm_mode_16_64 3
		.amdhsa_dx10_clamp 1
		.amdhsa_ieee_mode 1
		.amdhsa_fp16_overflow 0
		.amdhsa_exception_fp_ieee_invalid_op 0
		.amdhsa_exception_fp_denorm_src 0
		.amdhsa_exception_fp_ieee_div_zero 0
		.amdhsa_exception_fp_ieee_overflow 0
		.amdhsa_exception_fp_ieee_underflow 0
		.amdhsa_exception_fp_ieee_inexact 0
		.amdhsa_exception_int_div_zero 0
	.end_amdhsa_kernel
	.section	.text._ZL32rocblas_syrkx_herkx_small_kernelIl19rocblas_complex_numIfELi16ELb1ELb1ELc84ELc85EKPKS1_KPS1_EviT_T0_PT6_S7_lSA_S7_lS8_PT7_S7_li,"axG",@progbits,_ZL32rocblas_syrkx_herkx_small_kernelIl19rocblas_complex_numIfELi16ELb1ELb1ELc84ELc85EKPKS1_KPS1_EviT_T0_PT6_S7_lSA_S7_lS8_PT7_S7_li,comdat
.Lfunc_end1747:
	.size	_ZL32rocblas_syrkx_herkx_small_kernelIl19rocblas_complex_numIfELi16ELb1ELb1ELc84ELc85EKPKS1_KPS1_EviT_T0_PT6_S7_lSA_S7_lS8_PT7_S7_li, .Lfunc_end1747-_ZL32rocblas_syrkx_herkx_small_kernelIl19rocblas_complex_numIfELi16ELb1ELb1ELc84ELc85EKPKS1_KPS1_EviT_T0_PT6_S7_lSA_S7_lS8_PT7_S7_li
                                        ; -- End function
	.set _ZL32rocblas_syrkx_herkx_small_kernelIl19rocblas_complex_numIfELi16ELb1ELb1ELc84ELc85EKPKS1_KPS1_EviT_T0_PT6_S7_lSA_S7_lS8_PT7_S7_li.num_vgpr, 56
	.set _ZL32rocblas_syrkx_herkx_small_kernelIl19rocblas_complex_numIfELi16ELb1ELb1ELc84ELc85EKPKS1_KPS1_EviT_T0_PT6_S7_lSA_S7_lS8_PT7_S7_li.num_agpr, 0
	.set _ZL32rocblas_syrkx_herkx_small_kernelIl19rocblas_complex_numIfELi16ELb1ELb1ELc84ELc85EKPKS1_KPS1_EviT_T0_PT6_S7_lSA_S7_lS8_PT7_S7_li.numbered_sgpr, 24
	.set _ZL32rocblas_syrkx_herkx_small_kernelIl19rocblas_complex_numIfELi16ELb1ELb1ELc84ELc85EKPKS1_KPS1_EviT_T0_PT6_S7_lSA_S7_lS8_PT7_S7_li.num_named_barrier, 0
	.set _ZL32rocblas_syrkx_herkx_small_kernelIl19rocblas_complex_numIfELi16ELb1ELb1ELc84ELc85EKPKS1_KPS1_EviT_T0_PT6_S7_lSA_S7_lS8_PT7_S7_li.private_seg_size, 0
	.set _ZL32rocblas_syrkx_herkx_small_kernelIl19rocblas_complex_numIfELi16ELb1ELb1ELc84ELc85EKPKS1_KPS1_EviT_T0_PT6_S7_lSA_S7_lS8_PT7_S7_li.uses_vcc, 1
	.set _ZL32rocblas_syrkx_herkx_small_kernelIl19rocblas_complex_numIfELi16ELb1ELb1ELc84ELc85EKPKS1_KPS1_EviT_T0_PT6_S7_lSA_S7_lS8_PT7_S7_li.uses_flat_scratch, 0
	.set _ZL32rocblas_syrkx_herkx_small_kernelIl19rocblas_complex_numIfELi16ELb1ELb1ELc84ELc85EKPKS1_KPS1_EviT_T0_PT6_S7_lSA_S7_lS8_PT7_S7_li.has_dyn_sized_stack, 0
	.set _ZL32rocblas_syrkx_herkx_small_kernelIl19rocblas_complex_numIfELi16ELb1ELb1ELc84ELc85EKPKS1_KPS1_EviT_T0_PT6_S7_lSA_S7_lS8_PT7_S7_li.has_recursion, 0
	.set _ZL32rocblas_syrkx_herkx_small_kernelIl19rocblas_complex_numIfELi16ELb1ELb1ELc84ELc85EKPKS1_KPS1_EviT_T0_PT6_S7_lSA_S7_lS8_PT7_S7_li.has_indirect_call, 0
	.section	.AMDGPU.csdata,"",@progbits
; Kernel info:
; codeLenInByte = 1344
; TotalNumSgprs: 28
; NumVgprs: 56
; ScratchSize: 0
; MemoryBound: 1
; FloatMode: 240
; IeeeMode: 1
; LDSByteSize: 4096 bytes/workgroup (compile time only)
; SGPRBlocks: 3
; VGPRBlocks: 13
; NumSGPRsForWavesPerEU: 28
; NumVGPRsForWavesPerEU: 56
; Occupancy: 4
; WaveLimiterHint : 1
; COMPUTE_PGM_RSRC2:SCRATCH_EN: 0
; COMPUTE_PGM_RSRC2:USER_SGPR: 6
; COMPUTE_PGM_RSRC2:TRAP_HANDLER: 0
; COMPUTE_PGM_RSRC2:TGID_X_EN: 1
; COMPUTE_PGM_RSRC2:TGID_Y_EN: 1
; COMPUTE_PGM_RSRC2:TGID_Z_EN: 1
; COMPUTE_PGM_RSRC2:TIDIG_COMP_CNT: 1
	.section	.text._ZL32rocblas_syrkx_herkx_small_kernelIl19rocblas_complex_numIfELi16ELb1ELb1ELc67ELc85EKPKS1_KPS1_EviT_T0_PT6_S7_lSA_S7_lS8_PT7_S7_li,"axG",@progbits,_ZL32rocblas_syrkx_herkx_small_kernelIl19rocblas_complex_numIfELi16ELb1ELb1ELc67ELc85EKPKS1_KPS1_EviT_T0_PT6_S7_lSA_S7_lS8_PT7_S7_li,comdat
	.globl	_ZL32rocblas_syrkx_herkx_small_kernelIl19rocblas_complex_numIfELi16ELb1ELb1ELc67ELc85EKPKS1_KPS1_EviT_T0_PT6_S7_lSA_S7_lS8_PT7_S7_li ; -- Begin function _ZL32rocblas_syrkx_herkx_small_kernelIl19rocblas_complex_numIfELi16ELb1ELb1ELc67ELc85EKPKS1_KPS1_EviT_T0_PT6_S7_lSA_S7_lS8_PT7_S7_li
	.p2align	8
	.type	_ZL32rocblas_syrkx_herkx_small_kernelIl19rocblas_complex_numIfELi16ELb1ELb1ELc67ELc85EKPKS1_KPS1_EviT_T0_PT6_S7_lSA_S7_lS8_PT7_S7_li,@function
_ZL32rocblas_syrkx_herkx_small_kernelIl19rocblas_complex_numIfELi16ELb1ELb1ELc67ELc85EKPKS1_KPS1_EviT_T0_PT6_S7_lSA_S7_lS8_PT7_S7_li: ; @_ZL32rocblas_syrkx_herkx_small_kernelIl19rocblas_complex_numIfELi16ELb1ELb1ELc67ELc85EKPKS1_KPS1_EviT_T0_PT6_S7_lSA_S7_lS8_PT7_S7_li
; %bb.0:
	s_load_dwordx4 s[20:23], s[4:5], 0x50
	s_load_dword s10, s[4:5], 0x0
	s_load_dwordx8 s[12:19], s[4:5], 0x8
	s_mov_b32 s9, 0
	s_lshl_b64 s[2:3], s[8:9], 3
	s_waitcnt lgkmcnt(0)
	s_add_u32 s0, s20, s2
	s_addc_u32 s1, s21, s3
	s_load_dwordx2 s[8:9], s[0:1], 0x0
	v_cmp_lt_i64_e64 s[0:1], s[12:13], 1
	v_lshl_add_u32 v2, s6, 4, v0
	v_lshl_add_u32 v12, s7, 4, v1
	s_and_b64 vcc, exec, s[0:1]
	v_ashrrev_i32_e32 v3, 31, v2
	v_cmp_gt_i32_e64 s[0:1], s10, v12
	v_ashrrev_i32_e32 v13, 31, v12
	s_cbranch_vccnz .LBB1748_11
; %bb.1:
	s_load_dwordx4 s[4:7], s[4:5], 0x30
	v_lshlrev_b32_e32 v14, 3, v0
	v_lshlrev_b32_e32 v7, 7, v1
	v_add_u32_e32 v15, v14, v7
	v_add_u32_e32 v16, 0x800, v7
	s_waitcnt lgkmcnt(0)
	s_add_u32 s4, s4, s2
	s_addc_u32 s5, s5, s3
	s_add_u32 s2, s16, s2
	s_addc_u32 s3, s17, s3
	s_load_dwordx2 s[16:17], s[2:3], 0x0
	v_mul_lo_u32 v8, s7, v12
	v_mul_lo_u32 v9, s6, v13
	v_mad_u64_u32 v[5:6], s[2:3], s6, v12, 0
	s_load_dwordx2 s[4:5], s[4:5], 0x0
	v_mul_lo_u32 v11, s19, v2
	v_add3_u32 v6, v6, v9, v8
	v_lshlrev_b64 v[5:6], 3, v[5:6]
	v_mul_lo_u32 v18, s18, v3
	v_add_co_u32_e64 v5, s[2:3], v5, v14
	v_addc_co_u32_e64 v7, s[2:3], 0, v6, s[2:3]
	v_mad_u64_u32 v[8:9], s[2:3], s18, v2, 0
	s_waitcnt lgkmcnt(0)
	v_mov_b32_e32 v10, s5
	v_add_co_u32_e64 v6, s[2:3], s4, v5
	v_add3_u32 v9, v9, v18, v11
	v_lshlrev_b64 v[8:9], 3, v[8:9]
	v_addc_co_u32_e64 v7, s[2:3], v10, v7, s[2:3]
	v_lshlrev_b32_e32 v5, 3, v1
	v_add_co_u32_e64 v5, s[2:3], v8, v5
	v_addc_co_u32_e64 v9, s[2:3], 0, v9, s[2:3]
	v_mov_b32_e32 v10, s17
	v_add_co_u32_e64 v8, s[2:3], s16, v5
	v_cmp_gt_i32_e32 vcc, s10, v2
	v_addc_co_u32_e64 v9, s[2:3], v10, v9, s[2:3]
	v_mov_b32_e32 v10, s12
	v_mov_b32_e32 v4, 0
	v_add_u32_e32 v17, v16, v14
	s_mov_b64 s[2:3], 0
	s_xor_b64 s[4:5], vcc, -1
	s_xor_b64 s[6:7], s[0:1], -1
	v_mov_b32_e32 v11, s13
	v_mov_b32_e32 v18, 0
	;; [unrolled: 1-line block ×3, first 2 shown]
	s_branch .LBB1748_3
.LBB1748_2:                             ;   in Loop: Header=BB1748_3 Depth=1
	s_or_b64 exec, exec, s[0:1]
	s_waitcnt lgkmcnt(0)
	s_barrier
	ds_read2_b64 v[20:23], v14 offset1:16
	ds_read_b128 v[24:27], v16
	ds_read_b128 v[28:31], v16 offset:16
	ds_read2_b64 v[32:35], v14 offset0:32 offset1:48
	s_add_u32 s2, s2, 16
	v_add_co_u32_e32 v6, vcc, 0x80, v6
	s_waitcnt lgkmcnt(2)
	v_mul_f32_e32 v5, v25, v21
	v_mul_f32_e32 v36, v24, v21
	v_fma_f32 v5, v24, v20, -v5
	v_fmac_f32_e32 v36, v25, v20
	v_mul_f32_e32 v20, v27, v23
	v_fma_f32 v37, v26, v22, -v20
	v_mul_f32_e32 v38, v26, v23
	s_waitcnt lgkmcnt(0)
	v_mul_f32_e32 v20, v29, v33
	v_fmac_f32_e32 v38, v27, v22
	v_fma_f32 v39, v28, v32, -v20
	ds_read2_b64 v[20:23], v14 offset0:64 offset1:80
	ds_read_b128 v[24:27], v16 offset:32
	v_mul_f32_e32 v40, v28, v33
	v_fmac_f32_e32 v40, v29, v32
	v_mul_f32_e32 v28, v31, v35
	v_mul_f32_e32 v42, v30, v35
	s_waitcnt lgkmcnt(0)
	v_mul_f32_e32 v32, v25, v21
	v_fma_f32 v41, v30, v34, -v28
	v_fmac_f32_e32 v42, v31, v34
	ds_read_b128 v[28:31], v16 offset:48
	v_fma_f32 v43, v24, v20, -v32
	ds_read2_b64 v[32:35], v14 offset0:96 offset1:112
	v_mul_f32_e32 v44, v24, v21
	v_fmac_f32_e32 v44, v25, v20
	v_mul_f32_e32 v20, v27, v23
	v_fma_f32 v45, v26, v22, -v20
	v_mul_f32_e32 v46, v26, v23
	s_waitcnt lgkmcnt(0)
	v_mul_f32_e32 v20, v29, v33
	v_fmac_f32_e32 v46, v27, v22
	v_fma_f32 v47, v28, v32, -v20
	ds_read2_b64 v[20:23], v14 offset0:128 offset1:144
	ds_read_b128 v[24:27], v16 offset:64
	v_mul_f32_e32 v48, v28, v33
	v_fmac_f32_e32 v48, v29, v32
	v_mul_f32_e32 v28, v31, v35
	v_mul_f32_e32 v50, v30, v35
	s_waitcnt lgkmcnt(0)
	v_mul_f32_e32 v32, v25, v21
	v_fma_f32 v49, v30, v34, -v28
	v_fmac_f32_e32 v50, v31, v34
	ds_read_b128 v[28:31], v16 offset:80
	v_fma_f32 v51, v24, v20, -v32
	ds_read2_b64 v[32:35], v14 offset0:160 offset1:176
	v_mul_f32_e32 v52, v24, v21
	v_add_f32_e32 v18, v18, v36
	v_fmac_f32_e32 v52, v25, v20
	v_mul_f32_e32 v20, v27, v23
	v_add_f32_e32 v18, v18, v38
	v_fma_f32 v53, v26, v22, -v20
	v_mul_f32_e32 v54, v26, v23
	s_waitcnt lgkmcnt(0)
	v_mul_f32_e32 v20, v29, v33
	v_add_f32_e32 v18, v18, v40
	v_fmac_f32_e32 v54, v27, v22
	v_fma_f32 v55, v28, v32, -v20
	ds_read2_b64 v[20:23], v14 offset0:192 offset1:208
	ds_read_b128 v[24:27], v16 offset:96
	v_add_f32_e32 v18, v18, v42
	v_add_f32_e32 v18, v18, v44
	;; [unrolled: 1-line block ×6, first 2 shown]
	v_mul_f32_e32 v33, v28, v33
	v_mul_f32_e32 v28, v31, v35
	;; [unrolled: 1-line block ×3, first 2 shown]
	v_add_f32_e32 v5, v5, v39
	v_add_f32_e32 v18, v18, v50
	v_fmac_f32_e32 v33, v29, v32
	v_fma_f32 v32, v30, v34, -v28
	v_fmac_f32_e32 v35, v31, v34
	s_waitcnt lgkmcnt(0)
	v_mul_f32_e32 v34, v25, v21
	v_add_f32_e32 v5, v5, v41
	v_add_f32_e32 v18, v18, v52
	v_fma_f32 v34, v24, v20, -v34
	v_mul_f32_e32 v24, v24, v21
	v_add_f32_e32 v5, v5, v43
	v_add_f32_e32 v18, v18, v54
	v_fmac_f32_e32 v24, v25, v20
	v_mul_f32_e32 v20, v27, v23
	v_mul_f32_e32 v23, v26, v23
	v_add_f32_e32 v5, v5, v45
	v_add_f32_e32 v18, v18, v33
	ds_read_b128 v[28:31], v16 offset:112
	v_fma_f32 v25, v26, v22, -v20
	v_fmac_f32_e32 v23, v27, v22
	v_add_f32_e32 v5, v5, v47
	v_add_f32_e32 v22, v18, v35
	ds_read2_b64 v[18:21], v14 offset0:224 offset1:240
	v_add_f32_e32 v5, v5, v49
	v_add_f32_e32 v5, v5, v51
	;; [unrolled: 1-line block ×7, first 2 shown]
	s_waitcnt lgkmcnt(0)
	v_mul_f32_e32 v23, v29, v19
	v_mul_f32_e32 v19, v28, v19
	v_add_f32_e32 v5, v5, v34
	v_fmac_f32_e32 v19, v29, v18
	s_addc_u32 s3, s3, 0
	v_addc_co_u32_e32 v7, vcc, 0, v7, vcc
	v_add_f32_e32 v5, v5, v25
	v_fma_f32 v23, v28, v18, -v23
	v_add_f32_e32 v18, v22, v19
	v_mul_f32_e32 v19, v31, v21
	v_mul_f32_e32 v21, v30, v21
	v_add_co_u32_e32 v8, vcc, 0x80, v8
	v_cmp_ge_i64_e64 s[0:1], s[2:3], v[10:11]
	v_add_f32_e32 v5, v5, v23
	v_fma_f32 v19, v30, v20, -v19
	v_fmac_f32_e32 v21, v31, v20
	v_addc_co_u32_e32 v9, vcc, 0, v9, vcc
	v_add_f32_e32 v19, v5, v19
	v_add_f32_e32 v18, v18, v21
	s_and_b64 vcc, exec, s[0:1]
	s_barrier
	s_cbranch_vccnz .LBB1748_12
.LBB1748_3:                             ; =>This Inner Loop Header: Depth=1
	v_mov_b32_e32 v5, s3
	v_add_co_u32_e32 v20, vcc, s2, v1
	v_addc_co_u32_e32 v21, vcc, 0, v5, vcc
	v_cmp_le_i64_e32 vcc, s[12:13], v[20:21]
	s_or_b64 s[0:1], s[4:5], vcc
	s_and_saveexec_b64 s[16:17], s[0:1]
	s_xor_b64 s[0:1], exec, s[16:17]
; %bb.4:                                ;   in Loop: Header=BB1748_3 Depth=1
	ds_write_b32 v15, v4
; %bb.5:                                ;   in Loop: Header=BB1748_3 Depth=1
	s_or_saveexec_b64 s[0:1], s[0:1]
	v_mov_b32_e32 v5, 0
	s_xor_b64 exec, exec, s[0:1]
	s_cbranch_execz .LBB1748_7
; %bb.6:                                ;   in Loop: Header=BB1748_3 Depth=1
	flat_load_dwordx2 v[20:21], v[8:9]
	s_waitcnt vmcnt(0) lgkmcnt(0)
	v_xor_b32_e32 v5, 0x80000000, v21
	ds_write_b32 v15, v20
.LBB1748_7:                             ;   in Loop: Header=BB1748_3 Depth=1
	s_or_b64 exec, exec, s[0:1]
	v_mov_b32_e32 v21, s3
	v_add_co_u32_e32 v20, vcc, s2, v0
	v_addc_co_u32_e32 v21, vcc, 0, v21, vcc
	v_cmp_le_i64_e32 vcc, s[12:13], v[20:21]
	ds_write_b32 v15, v5 offset:4
	s_or_b64 s[0:1], s[6:7], vcc
	s_and_saveexec_b64 s[16:17], s[0:1]
	s_xor_b64 s[0:1], exec, s[16:17]
; %bb.8:                                ;   in Loop: Header=BB1748_3 Depth=1
	v_mov_b32_e32 v5, v4
	ds_write_b64 v17, v[4:5]
; %bb.9:                                ;   in Loop: Header=BB1748_3 Depth=1
	s_andn2_saveexec_b64 s[0:1], s[0:1]
	s_cbranch_execz .LBB1748_2
; %bb.10:                               ;   in Loop: Header=BB1748_3 Depth=1
	flat_load_dwordx2 v[20:21], v[6:7]
	s_waitcnt vmcnt(0) lgkmcnt(0)
	ds_write_b64 v17, v[20:21]
	s_branch .LBB1748_2
.LBB1748_11:
	v_mov_b32_e32 v18, 0
	v_mov_b32_e32 v19, 0
.LBB1748_12:
	v_cmp_le_i32_e32 vcc, v2, v12
	v_cmp_gt_i32_e64 s[0:1], s10, v12
	s_and_b64 s[0:1], vcc, s[0:1]
	s_and_saveexec_b64 s[2:3], s[0:1]
	s_cbranch_execz .LBB1748_15
; %bb.13:
	v_mul_lo_u32 v6, s23, v12
	v_mul_lo_u32 v7, s22, v13
	v_mad_u64_u32 v[0:1], s[0:1], s22, v12, 0
	v_mul_f32_e32 v4, s15, v18
	v_mul_f32_e32 v5, s14, v18
	v_add3_u32 v1, v1, v7, v6
	v_lshlrev_b64 v[0:1], 3, v[0:1]
	s_waitcnt lgkmcnt(0)
	v_mov_b32_e32 v6, s9
	v_add_co_u32_e32 v7, vcc, s8, v0
	v_addc_co_u32_e32 v6, vcc, v6, v1, vcc
	v_lshlrev_b64 v[0:1], 3, v[2:3]
	v_fma_f32 v4, v19, s14, -v4
	v_add_co_u32_e32 v0, vcc, v7, v0
	v_addc_co_u32_e32 v1, vcc, v6, v1, vcc
	v_fmac_f32_e32 v5, s15, v19
	v_cmp_eq_u32_e32 vcc, v2, v12
	flat_store_dwordx2 v[0:1], v[4:5]
	s_and_b64 exec, exec, vcc
	s_cbranch_execz .LBB1748_15
; %bb.14:
	v_mov_b32_e32 v2, 0
	flat_store_dword v[0:1], v2 offset:4
.LBB1748_15:
	s_endpgm
	.section	.rodata,"a",@progbits
	.p2align	6, 0x0
	.amdhsa_kernel _ZL32rocblas_syrkx_herkx_small_kernelIl19rocblas_complex_numIfELi16ELb1ELb1ELc67ELc85EKPKS1_KPS1_EviT_T0_PT6_S7_lSA_S7_lS8_PT7_S7_li
		.amdhsa_group_segment_fixed_size 4096
		.amdhsa_private_segment_fixed_size 0
		.amdhsa_kernarg_size 108
		.amdhsa_user_sgpr_count 6
		.amdhsa_user_sgpr_private_segment_buffer 1
		.amdhsa_user_sgpr_dispatch_ptr 0
		.amdhsa_user_sgpr_queue_ptr 0
		.amdhsa_user_sgpr_kernarg_segment_ptr 1
		.amdhsa_user_sgpr_dispatch_id 0
		.amdhsa_user_sgpr_flat_scratch_init 0
		.amdhsa_user_sgpr_private_segment_size 0
		.amdhsa_uses_dynamic_stack 0
		.amdhsa_system_sgpr_private_segment_wavefront_offset 0
		.amdhsa_system_sgpr_workgroup_id_x 1
		.amdhsa_system_sgpr_workgroup_id_y 1
		.amdhsa_system_sgpr_workgroup_id_z 1
		.amdhsa_system_sgpr_workgroup_info 0
		.amdhsa_system_vgpr_workitem_id 1
		.amdhsa_next_free_vgpr 56
		.amdhsa_next_free_sgpr 24
		.amdhsa_reserve_vcc 1
		.amdhsa_reserve_flat_scratch 0
		.amdhsa_float_round_mode_32 0
		.amdhsa_float_round_mode_16_64 0
		.amdhsa_float_denorm_mode_32 3
		.amdhsa_float_denorm_mode_16_64 3
		.amdhsa_dx10_clamp 1
		.amdhsa_ieee_mode 1
		.amdhsa_fp16_overflow 0
		.amdhsa_exception_fp_ieee_invalid_op 0
		.amdhsa_exception_fp_denorm_src 0
		.amdhsa_exception_fp_ieee_div_zero 0
		.amdhsa_exception_fp_ieee_overflow 0
		.amdhsa_exception_fp_ieee_underflow 0
		.amdhsa_exception_fp_ieee_inexact 0
		.amdhsa_exception_int_div_zero 0
	.end_amdhsa_kernel
	.section	.text._ZL32rocblas_syrkx_herkx_small_kernelIl19rocblas_complex_numIfELi16ELb1ELb1ELc67ELc85EKPKS1_KPS1_EviT_T0_PT6_S7_lSA_S7_lS8_PT7_S7_li,"axG",@progbits,_ZL32rocblas_syrkx_herkx_small_kernelIl19rocblas_complex_numIfELi16ELb1ELb1ELc67ELc85EKPKS1_KPS1_EviT_T0_PT6_S7_lSA_S7_lS8_PT7_S7_li,comdat
.Lfunc_end1748:
	.size	_ZL32rocblas_syrkx_herkx_small_kernelIl19rocblas_complex_numIfELi16ELb1ELb1ELc67ELc85EKPKS1_KPS1_EviT_T0_PT6_S7_lSA_S7_lS8_PT7_S7_li, .Lfunc_end1748-_ZL32rocblas_syrkx_herkx_small_kernelIl19rocblas_complex_numIfELi16ELb1ELb1ELc67ELc85EKPKS1_KPS1_EviT_T0_PT6_S7_lSA_S7_lS8_PT7_S7_li
                                        ; -- End function
	.set _ZL32rocblas_syrkx_herkx_small_kernelIl19rocblas_complex_numIfELi16ELb1ELb1ELc67ELc85EKPKS1_KPS1_EviT_T0_PT6_S7_lSA_S7_lS8_PT7_S7_li.num_vgpr, 56
	.set _ZL32rocblas_syrkx_herkx_small_kernelIl19rocblas_complex_numIfELi16ELb1ELb1ELc67ELc85EKPKS1_KPS1_EviT_T0_PT6_S7_lSA_S7_lS8_PT7_S7_li.num_agpr, 0
	.set _ZL32rocblas_syrkx_herkx_small_kernelIl19rocblas_complex_numIfELi16ELb1ELb1ELc67ELc85EKPKS1_KPS1_EviT_T0_PT6_S7_lSA_S7_lS8_PT7_S7_li.numbered_sgpr, 24
	.set _ZL32rocblas_syrkx_herkx_small_kernelIl19rocblas_complex_numIfELi16ELb1ELb1ELc67ELc85EKPKS1_KPS1_EviT_T0_PT6_S7_lSA_S7_lS8_PT7_S7_li.num_named_barrier, 0
	.set _ZL32rocblas_syrkx_herkx_small_kernelIl19rocblas_complex_numIfELi16ELb1ELb1ELc67ELc85EKPKS1_KPS1_EviT_T0_PT6_S7_lSA_S7_lS8_PT7_S7_li.private_seg_size, 0
	.set _ZL32rocblas_syrkx_herkx_small_kernelIl19rocblas_complex_numIfELi16ELb1ELb1ELc67ELc85EKPKS1_KPS1_EviT_T0_PT6_S7_lSA_S7_lS8_PT7_S7_li.uses_vcc, 1
	.set _ZL32rocblas_syrkx_herkx_small_kernelIl19rocblas_complex_numIfELi16ELb1ELb1ELc67ELc85EKPKS1_KPS1_EviT_T0_PT6_S7_lSA_S7_lS8_PT7_S7_li.uses_flat_scratch, 0
	.set _ZL32rocblas_syrkx_herkx_small_kernelIl19rocblas_complex_numIfELi16ELb1ELb1ELc67ELc85EKPKS1_KPS1_EviT_T0_PT6_S7_lSA_S7_lS8_PT7_S7_li.has_dyn_sized_stack, 0
	.set _ZL32rocblas_syrkx_herkx_small_kernelIl19rocblas_complex_numIfELi16ELb1ELb1ELc67ELc85EKPKS1_KPS1_EviT_T0_PT6_S7_lSA_S7_lS8_PT7_S7_li.has_recursion, 0
	.set _ZL32rocblas_syrkx_herkx_small_kernelIl19rocblas_complex_numIfELi16ELb1ELb1ELc67ELc85EKPKS1_KPS1_EviT_T0_PT6_S7_lSA_S7_lS8_PT7_S7_li.has_indirect_call, 0
	.section	.AMDGPU.csdata,"",@progbits
; Kernel info:
; codeLenInByte = 1364
; TotalNumSgprs: 28
; NumVgprs: 56
; ScratchSize: 0
; MemoryBound: 1
; FloatMode: 240
; IeeeMode: 1
; LDSByteSize: 4096 bytes/workgroup (compile time only)
; SGPRBlocks: 3
; VGPRBlocks: 13
; NumSGPRsForWavesPerEU: 28
; NumVGPRsForWavesPerEU: 56
; Occupancy: 4
; WaveLimiterHint : 1
; COMPUTE_PGM_RSRC2:SCRATCH_EN: 0
; COMPUTE_PGM_RSRC2:USER_SGPR: 6
; COMPUTE_PGM_RSRC2:TRAP_HANDLER: 0
; COMPUTE_PGM_RSRC2:TGID_X_EN: 1
; COMPUTE_PGM_RSRC2:TGID_Y_EN: 1
; COMPUTE_PGM_RSRC2:TGID_Z_EN: 1
; COMPUTE_PGM_RSRC2:TIDIG_COMP_CNT: 1
	.section	.text._ZL32rocblas_syrkx_herkx_small_kernelIl19rocblas_complex_numIfELi16ELb1ELb1ELc78ELc85EKPKS1_KPS1_EviT_T0_PT6_S7_lSA_S7_lS8_PT7_S7_li,"axG",@progbits,_ZL32rocblas_syrkx_herkx_small_kernelIl19rocblas_complex_numIfELi16ELb1ELb1ELc78ELc85EKPKS1_KPS1_EviT_T0_PT6_S7_lSA_S7_lS8_PT7_S7_li,comdat
	.globl	_ZL32rocblas_syrkx_herkx_small_kernelIl19rocblas_complex_numIfELi16ELb1ELb1ELc78ELc85EKPKS1_KPS1_EviT_T0_PT6_S7_lSA_S7_lS8_PT7_S7_li ; -- Begin function _ZL32rocblas_syrkx_herkx_small_kernelIl19rocblas_complex_numIfELi16ELb1ELb1ELc78ELc85EKPKS1_KPS1_EviT_T0_PT6_S7_lSA_S7_lS8_PT7_S7_li
	.p2align	8
	.type	_ZL32rocblas_syrkx_herkx_small_kernelIl19rocblas_complex_numIfELi16ELb1ELb1ELc78ELc85EKPKS1_KPS1_EviT_T0_PT6_S7_lSA_S7_lS8_PT7_S7_li,@function
_ZL32rocblas_syrkx_herkx_small_kernelIl19rocblas_complex_numIfELi16ELb1ELb1ELc78ELc85EKPKS1_KPS1_EviT_T0_PT6_S7_lSA_S7_lS8_PT7_S7_li: ; @_ZL32rocblas_syrkx_herkx_small_kernelIl19rocblas_complex_numIfELi16ELb1ELb1ELc78ELc85EKPKS1_KPS1_EviT_T0_PT6_S7_lSA_S7_lS8_PT7_S7_li
; %bb.0:
	s_load_dwordx4 s[20:23], s[4:5], 0x50
	s_load_dword s24, s[4:5], 0x0
	s_load_dwordx8 s[12:19], s[4:5], 0x8
	s_mov_b32 s9, 0
	s_lshl_b64 s[2:3], s[8:9], 3
	s_waitcnt lgkmcnt(0)
	s_add_u32 s0, s20, s2
	s_addc_u32 s1, s21, s3
	s_load_dwordx2 s[8:9], s[0:1], 0x0
	v_cmp_lt_i64_e64 s[0:1], s[12:13], 1
	v_lshl_add_u32 v2, s6, 4, v0
	v_lshl_add_u32 v4, s7, 4, v1
	s_and_b64 vcc, exec, s[0:1]
	v_ashrrev_i32_e32 v3, 31, v2
	v_cmp_gt_i32_e64 s[0:1], s24, v4
	v_ashrrev_i32_e32 v5, 31, v4
	s_cbranch_vccnz .LBB1749_11
; %bb.1:
	s_load_dwordx4 s[4:7], s[4:5], 0x30
	v_lshlrev_b32_e32 v10, 7, v1
	v_lshlrev_b32_e32 v14, 3, v0
	v_add_u32_e32 v15, v14, v10
	v_add_u32_e32 v16, 0x800, v10
	s_waitcnt lgkmcnt(0)
	s_add_u32 s4, s4, s2
	v_mad_u64_u32 v[7:8], s[10:11], s6, v0, 0
	s_addc_u32 s5, s5, s3
	s_add_u32 s2, s16, s2
	s_addc_u32 s3, s17, s3
	s_load_dwordx2 s[10:11], s[2:3], 0x0
	v_mad_u64_u32 v[8:9], s[2:3], s7, v0, v[8:9]
	v_mad_u64_u32 v[11:12], s[2:3], s18, v1, 0
	v_lshlrev_b64 v[7:8], 3, v[7:8]
	v_lshlrev_b64 v[9:10], 3, v[4:5]
	s_load_dwordx2 s[4:5], s[4:5], 0x0
	v_add_co_u32_e64 v9, s[2:3], v7, v9
	v_mov_b32_e32 v7, v12
	v_addc_co_u32_e64 v10, s[2:3], v8, v10, s[2:3]
	v_mad_u64_u32 v[7:8], s[2:3], s19, v1, v[7:8]
	s_waitcnt lgkmcnt(0)
	v_mov_b32_e32 v13, s5
	v_add_co_u32_e64 v8, s[2:3], s4, v9
	v_mov_b32_e32 v12, v7
	v_addc_co_u32_e64 v9, s[2:3], v13, v10, s[2:3]
	v_lshlrev_b64 v[10:11], 3, v[11:12]
	v_lshlrev_b64 v[12:13], 3, v[2:3]
	v_cmp_gt_i32_e32 vcc, s24, v2
	v_add_co_u32_e64 v7, s[2:3], v10, v12
	v_addc_co_u32_e64 v11, s[2:3], v11, v13, s[2:3]
	v_mov_b32_e32 v12, s11
	v_add_co_u32_e64 v10, s[2:3], s10, v7
	v_addc_co_u32_e64 v11, s[2:3], v12, v11, s[2:3]
	s_lshl_b64 s[4:5], s[6:7], 7
	s_lshl_b64 s[2:3], s[18:19], 7
	v_mov_b32_e32 v12, s12
	v_mov_b32_e32 v6, 0
	v_add_u32_e32 v17, v16, v14
	s_mov_b64 s[6:7], 0
	s_xor_b64 s[10:11], vcc, -1
	s_xor_b64 s[16:17], s[0:1], -1
	v_mov_b32_e32 v18, s5
	v_mov_b32_e32 v19, s3
	;; [unrolled: 1-line block ×5, first 2 shown]
	s_branch .LBB1749_3
.LBB1749_2:                             ;   in Loop: Header=BB1749_3 Depth=1
	s_or_b64 exec, exec, s[0:1]
	ds_write_b32 v17, v7 offset:4
	s_waitcnt lgkmcnt(0)
	s_barrier
	ds_read2_b64 v[22:25], v14 offset1:16
	ds_read_b128 v[26:29], v16
	ds_read_b128 v[30:33], v16 offset:16
	ds_read2_b64 v[34:37], v14 offset0:32 offset1:48
	s_add_u32 s6, s6, 16
	v_add_co_u32_e32 v8, vcc, s4, v8
	s_waitcnt lgkmcnt(2)
	v_mul_f32_e32 v7, v27, v23
	v_mul_f32_e32 v38, v26, v23
	v_fma_f32 v7, v26, v22, -v7
	v_fmac_f32_e32 v38, v27, v22
	v_mul_f32_e32 v22, v29, v25
	v_fma_f32 v39, v28, v24, -v22
	v_mul_f32_e32 v40, v28, v25
	s_waitcnt lgkmcnt(0)
	v_mul_f32_e32 v22, v31, v35
	v_fmac_f32_e32 v40, v29, v24
	v_fma_f32 v41, v30, v34, -v22
	ds_read2_b64 v[22:25], v14 offset0:64 offset1:80
	ds_read_b128 v[26:29], v16 offset:32
	v_mul_f32_e32 v42, v30, v35
	v_fmac_f32_e32 v42, v31, v34
	v_mul_f32_e32 v30, v33, v37
	v_mul_f32_e32 v44, v32, v37
	s_waitcnt lgkmcnt(0)
	v_mul_f32_e32 v34, v27, v23
	v_fma_f32 v43, v32, v36, -v30
	v_fmac_f32_e32 v44, v33, v36
	ds_read_b128 v[30:33], v16 offset:48
	v_fma_f32 v45, v26, v22, -v34
	ds_read2_b64 v[34:37], v14 offset0:96 offset1:112
	v_mul_f32_e32 v46, v26, v23
	v_fmac_f32_e32 v46, v27, v22
	v_mul_f32_e32 v22, v29, v25
	v_fma_f32 v47, v28, v24, -v22
	v_mul_f32_e32 v48, v28, v25
	s_waitcnt lgkmcnt(0)
	v_mul_f32_e32 v22, v31, v35
	v_fmac_f32_e32 v48, v29, v24
	v_fma_f32 v49, v30, v34, -v22
	ds_read2_b64 v[22:25], v14 offset0:128 offset1:144
	ds_read_b128 v[26:29], v16 offset:64
	v_mul_f32_e32 v50, v30, v35
	v_fmac_f32_e32 v50, v31, v34
	v_mul_f32_e32 v30, v33, v37
	v_mul_f32_e32 v52, v32, v37
	s_waitcnt lgkmcnt(0)
	v_mul_f32_e32 v34, v27, v23
	v_fma_f32 v51, v32, v36, -v30
	v_fmac_f32_e32 v52, v33, v36
	ds_read_b128 v[30:33], v16 offset:80
	v_fma_f32 v53, v26, v22, -v34
	ds_read2_b64 v[34:37], v14 offset0:160 offset1:176
	v_mul_f32_e32 v54, v26, v23
	v_fmac_f32_e32 v54, v27, v22
	v_mul_f32_e32 v22, v29, v25
	v_fma_f32 v55, v28, v24, -v22
	v_mul_f32_e32 v56, v28, v25
	s_waitcnt lgkmcnt(0)
	v_mul_f32_e32 v22, v31, v35
	v_add_f32_e32 v7, v21, v7
	v_add_f32_e32 v20, v20, v38
	v_fmac_f32_e32 v56, v29, v24
	v_fma_f32 v57, v30, v34, -v22
	ds_read2_b64 v[22:25], v14 offset0:192 offset1:208
	ds_read_b128 v[26:29], v16 offset:96
	v_add_f32_e32 v7, v7, v39
	v_add_f32_e32 v20, v20, v40
	;; [unrolled: 1-line block ×8, first 2 shown]
	v_mul_f32_e32 v58, v30, v35
	v_add_f32_e32 v7, v7, v47
	v_add_f32_e32 v20, v20, v48
	v_fmac_f32_e32 v58, v31, v34
	v_mul_f32_e32 v30, v33, v37
	v_mul_f32_e32 v60, v32, v37
	s_waitcnt lgkmcnt(0)
	v_mul_f32_e32 v34, v27, v23
	v_add_f32_e32 v7, v7, v49
	v_add_f32_e32 v20, v20, v50
	v_fma_f32 v59, v32, v36, -v30
	v_fmac_f32_e32 v60, v33, v36
	ds_read_b128 v[30:33], v16 offset:112
	v_fma_f32 v61, v26, v22, -v34
	ds_read2_b64 v[34:37], v14 offset0:224 offset1:240
	v_add_f32_e32 v7, v7, v51
	v_add_f32_e32 v20, v20, v52
	;; [unrolled: 1-line block ×6, first 2 shown]
	v_mul_f32_e32 v23, v26, v23
	v_add_f32_e32 v7, v7, v57
	v_add_f32_e32 v20, v20, v58
	v_fmac_f32_e32 v23, v27, v22
	v_mul_f32_e32 v22, v29, v25
	v_mul_f32_e32 v25, v28, v25
	v_add_f32_e32 v7, v7, v59
	v_add_f32_e32 v20, v20, v60
	v_fma_f32 v22, v28, v24, -v22
	v_fmac_f32_e32 v25, v29, v24
	s_waitcnt lgkmcnt(0)
	v_mul_f32_e32 v24, v31, v35
	v_mul_f32_e32 v26, v30, v35
	v_add_f32_e32 v7, v7, v61
	v_add_f32_e32 v20, v20, v23
	s_addc_u32 s7, s7, 0
	v_addc_co_u32_e32 v9, vcc, v9, v18, vcc
	v_fma_f32 v24, v30, v34, -v24
	v_fmac_f32_e32 v26, v31, v34
	v_mul_f32_e32 v27, v33, v37
	v_mul_f32_e32 v28, v32, v37
	v_add_f32_e32 v7, v7, v22
	v_add_f32_e32 v20, v20, v25
	v_cmp_ge_i64_e32 vcc, s[6:7], v[12:13]
	v_fma_f32 v27, v32, v36, -v27
	v_fmac_f32_e32 v28, v33, v36
	v_add_f32_e32 v7, v7, v24
	v_add_f32_e32 v20, v20, v26
	v_add_co_u32_e64 v10, s[0:1], s2, v10
	v_add_f32_e32 v21, v7, v27
	v_add_f32_e32 v20, v20, v28
	v_addc_co_u32_e64 v11, s[0:1], v11, v19, s[0:1]
	s_barrier
	s_cbranch_vccnz .LBB1749_12
.LBB1749_3:                             ; =>This Inner Loop Header: Depth=1
	v_mov_b32_e32 v7, s7
	v_add_co_u32_e32 v22, vcc, s6, v1
	v_addc_co_u32_e32 v23, vcc, 0, v7, vcc
	v_cmp_le_i64_e32 vcc, s[12:13], v[22:23]
	s_or_b64 s[0:1], s[10:11], vcc
	s_and_saveexec_b64 s[18:19], s[0:1]
	s_xor_b64 s[0:1], exec, s[18:19]
; %bb.4:                                ;   in Loop: Header=BB1749_3 Depth=1
	v_mov_b32_e32 v7, v6
	ds_write_b64 v15, v[6:7]
; %bb.5:                                ;   in Loop: Header=BB1749_3 Depth=1
	s_andn2_saveexec_b64 s[0:1], s[0:1]
	s_cbranch_execz .LBB1749_7
; %bb.6:                                ;   in Loop: Header=BB1749_3 Depth=1
	flat_load_dwordx2 v[22:23], v[10:11]
	s_waitcnt vmcnt(0) lgkmcnt(0)
	ds_write_b64 v15, v[22:23]
.LBB1749_7:                             ;   in Loop: Header=BB1749_3 Depth=1
	s_or_b64 exec, exec, s[0:1]
	v_mov_b32_e32 v7, s7
	v_add_co_u32_e32 v22, vcc, s6, v0
	v_addc_co_u32_e32 v23, vcc, 0, v7, vcc
	v_cmp_le_i64_e32 vcc, s[12:13], v[22:23]
	s_or_b64 s[0:1], s[16:17], vcc
	s_and_saveexec_b64 s[18:19], s[0:1]
	s_xor_b64 s[0:1], exec, s[18:19]
; %bb.8:                                ;   in Loop: Header=BB1749_3 Depth=1
	ds_write_b32 v17, v6
; %bb.9:                                ;   in Loop: Header=BB1749_3 Depth=1
	s_or_saveexec_b64 s[0:1], s[0:1]
	v_mov_b32_e32 v7, 0
	s_xor_b64 exec, exec, s[0:1]
	s_cbranch_execz .LBB1749_2
; %bb.10:                               ;   in Loop: Header=BB1749_3 Depth=1
	flat_load_dwordx2 v[22:23], v[8:9]
	s_waitcnt vmcnt(0) lgkmcnt(0)
	v_xor_b32_e32 v7, 0x80000000, v23
	ds_write_b32 v17, v22
	s_branch .LBB1749_2
.LBB1749_11:
	v_mov_b32_e32 v20, 0
	v_mov_b32_e32 v21, 0
.LBB1749_12:
	v_cmp_le_i32_e32 vcc, v2, v4
	v_cmp_gt_i32_e64 s[0:1], s24, v4
	s_and_b64 s[0:1], vcc, s[0:1]
	s_and_saveexec_b64 s[2:3], s[0:1]
	s_cbranch_execz .LBB1749_15
; %bb.13:
	v_mul_lo_u32 v7, s23, v4
	v_mul_lo_u32 v8, s22, v5
	v_mad_u64_u32 v[0:1], s[0:1], s22, v4, 0
	v_mul_f32_e32 v6, s15, v20
	v_fma_f32 v5, v21, s14, -v6
	v_add3_u32 v1, v1, v8, v7
	v_lshlrev_b64 v[0:1], 3, v[0:1]
	s_waitcnt lgkmcnt(0)
	v_mov_b32_e32 v7, s9
	v_add_co_u32_e32 v8, vcc, s8, v0
	v_addc_co_u32_e32 v7, vcc, v7, v1, vcc
	v_lshlrev_b64 v[0:1], 3, v[2:3]
	v_mul_f32_e32 v6, s14, v20
	v_add_co_u32_e32 v0, vcc, v8, v0
	v_addc_co_u32_e32 v1, vcc, v7, v1, vcc
	v_fmac_f32_e32 v6, s15, v21
	v_cmp_eq_u32_e32 vcc, v2, v4
	flat_store_dwordx2 v[0:1], v[5:6]
	s_and_b64 exec, exec, vcc
	s_cbranch_execz .LBB1749_15
; %bb.14:
	v_mov_b32_e32 v2, 0
	flat_store_dword v[0:1], v2 offset:4
.LBB1749_15:
	s_endpgm
	.section	.rodata,"a",@progbits
	.p2align	6, 0x0
	.amdhsa_kernel _ZL32rocblas_syrkx_herkx_small_kernelIl19rocblas_complex_numIfELi16ELb1ELb1ELc78ELc85EKPKS1_KPS1_EviT_T0_PT6_S7_lSA_S7_lS8_PT7_S7_li
		.amdhsa_group_segment_fixed_size 4096
		.amdhsa_private_segment_fixed_size 0
		.amdhsa_kernarg_size 108
		.amdhsa_user_sgpr_count 6
		.amdhsa_user_sgpr_private_segment_buffer 1
		.amdhsa_user_sgpr_dispatch_ptr 0
		.amdhsa_user_sgpr_queue_ptr 0
		.amdhsa_user_sgpr_kernarg_segment_ptr 1
		.amdhsa_user_sgpr_dispatch_id 0
		.amdhsa_user_sgpr_flat_scratch_init 0
		.amdhsa_user_sgpr_private_segment_size 0
		.amdhsa_uses_dynamic_stack 0
		.amdhsa_system_sgpr_private_segment_wavefront_offset 0
		.amdhsa_system_sgpr_workgroup_id_x 1
		.amdhsa_system_sgpr_workgroup_id_y 1
		.amdhsa_system_sgpr_workgroup_id_z 1
		.amdhsa_system_sgpr_workgroup_info 0
		.amdhsa_system_vgpr_workitem_id 1
		.amdhsa_next_free_vgpr 62
		.amdhsa_next_free_sgpr 25
		.amdhsa_reserve_vcc 1
		.amdhsa_reserve_flat_scratch 0
		.amdhsa_float_round_mode_32 0
		.amdhsa_float_round_mode_16_64 0
		.amdhsa_float_denorm_mode_32 3
		.amdhsa_float_denorm_mode_16_64 3
		.amdhsa_dx10_clamp 1
		.amdhsa_ieee_mode 1
		.amdhsa_fp16_overflow 0
		.amdhsa_exception_fp_ieee_invalid_op 0
		.amdhsa_exception_fp_denorm_src 0
		.amdhsa_exception_fp_ieee_div_zero 0
		.amdhsa_exception_fp_ieee_overflow 0
		.amdhsa_exception_fp_ieee_underflow 0
		.amdhsa_exception_fp_ieee_inexact 0
		.amdhsa_exception_int_div_zero 0
	.end_amdhsa_kernel
	.section	.text._ZL32rocblas_syrkx_herkx_small_kernelIl19rocblas_complex_numIfELi16ELb1ELb1ELc78ELc85EKPKS1_KPS1_EviT_T0_PT6_S7_lSA_S7_lS8_PT7_S7_li,"axG",@progbits,_ZL32rocblas_syrkx_herkx_small_kernelIl19rocblas_complex_numIfELi16ELb1ELb1ELc78ELc85EKPKS1_KPS1_EviT_T0_PT6_S7_lSA_S7_lS8_PT7_S7_li,comdat
.Lfunc_end1749:
	.size	_ZL32rocblas_syrkx_herkx_small_kernelIl19rocblas_complex_numIfELi16ELb1ELb1ELc78ELc85EKPKS1_KPS1_EviT_T0_PT6_S7_lSA_S7_lS8_PT7_S7_li, .Lfunc_end1749-_ZL32rocblas_syrkx_herkx_small_kernelIl19rocblas_complex_numIfELi16ELb1ELb1ELc78ELc85EKPKS1_KPS1_EviT_T0_PT6_S7_lSA_S7_lS8_PT7_S7_li
                                        ; -- End function
	.set _ZL32rocblas_syrkx_herkx_small_kernelIl19rocblas_complex_numIfELi16ELb1ELb1ELc78ELc85EKPKS1_KPS1_EviT_T0_PT6_S7_lSA_S7_lS8_PT7_S7_li.num_vgpr, 62
	.set _ZL32rocblas_syrkx_herkx_small_kernelIl19rocblas_complex_numIfELi16ELb1ELb1ELc78ELc85EKPKS1_KPS1_EviT_T0_PT6_S7_lSA_S7_lS8_PT7_S7_li.num_agpr, 0
	.set _ZL32rocblas_syrkx_herkx_small_kernelIl19rocblas_complex_numIfELi16ELb1ELb1ELc78ELc85EKPKS1_KPS1_EviT_T0_PT6_S7_lSA_S7_lS8_PT7_S7_li.numbered_sgpr, 25
	.set _ZL32rocblas_syrkx_herkx_small_kernelIl19rocblas_complex_numIfELi16ELb1ELb1ELc78ELc85EKPKS1_KPS1_EviT_T0_PT6_S7_lSA_S7_lS8_PT7_S7_li.num_named_barrier, 0
	.set _ZL32rocblas_syrkx_herkx_small_kernelIl19rocblas_complex_numIfELi16ELb1ELb1ELc78ELc85EKPKS1_KPS1_EviT_T0_PT6_S7_lSA_S7_lS8_PT7_S7_li.private_seg_size, 0
	.set _ZL32rocblas_syrkx_herkx_small_kernelIl19rocblas_complex_numIfELi16ELb1ELb1ELc78ELc85EKPKS1_KPS1_EviT_T0_PT6_S7_lSA_S7_lS8_PT7_S7_li.uses_vcc, 1
	.set _ZL32rocblas_syrkx_herkx_small_kernelIl19rocblas_complex_numIfELi16ELb1ELb1ELc78ELc85EKPKS1_KPS1_EviT_T0_PT6_S7_lSA_S7_lS8_PT7_S7_li.uses_flat_scratch, 0
	.set _ZL32rocblas_syrkx_herkx_small_kernelIl19rocblas_complex_numIfELi16ELb1ELb1ELc78ELc85EKPKS1_KPS1_EviT_T0_PT6_S7_lSA_S7_lS8_PT7_S7_li.has_dyn_sized_stack, 0
	.set _ZL32rocblas_syrkx_herkx_small_kernelIl19rocblas_complex_numIfELi16ELb1ELb1ELc78ELc85EKPKS1_KPS1_EviT_T0_PT6_S7_lSA_S7_lS8_PT7_S7_li.has_recursion, 0
	.set _ZL32rocblas_syrkx_herkx_small_kernelIl19rocblas_complex_numIfELi16ELb1ELb1ELc78ELc85EKPKS1_KPS1_EviT_T0_PT6_S7_lSA_S7_lS8_PT7_S7_li.has_indirect_call, 0
	.section	.AMDGPU.csdata,"",@progbits
; Kernel info:
; codeLenInByte = 1360
; TotalNumSgprs: 29
; NumVgprs: 62
; ScratchSize: 0
; MemoryBound: 1
; FloatMode: 240
; IeeeMode: 1
; LDSByteSize: 4096 bytes/workgroup (compile time only)
; SGPRBlocks: 3
; VGPRBlocks: 15
; NumSGPRsForWavesPerEU: 29
; NumVGPRsForWavesPerEU: 62
; Occupancy: 4
; WaveLimiterHint : 1
; COMPUTE_PGM_RSRC2:SCRATCH_EN: 0
; COMPUTE_PGM_RSRC2:USER_SGPR: 6
; COMPUTE_PGM_RSRC2:TRAP_HANDLER: 0
; COMPUTE_PGM_RSRC2:TGID_X_EN: 1
; COMPUTE_PGM_RSRC2:TGID_Y_EN: 1
; COMPUTE_PGM_RSRC2:TGID_Z_EN: 1
; COMPUTE_PGM_RSRC2:TIDIG_COMP_CNT: 1
	.section	.text._ZL32rocblas_syrkx_herkx_small_kernelIl19rocblas_complex_numIfELi16ELb0ELb1ELc84ELc76EKPKS1_KPS1_EviT_T0_PT6_S7_lSA_S7_lS8_PT7_S7_li,"axG",@progbits,_ZL32rocblas_syrkx_herkx_small_kernelIl19rocblas_complex_numIfELi16ELb0ELb1ELc84ELc76EKPKS1_KPS1_EviT_T0_PT6_S7_lSA_S7_lS8_PT7_S7_li,comdat
	.globl	_ZL32rocblas_syrkx_herkx_small_kernelIl19rocblas_complex_numIfELi16ELb0ELb1ELc84ELc76EKPKS1_KPS1_EviT_T0_PT6_S7_lSA_S7_lS8_PT7_S7_li ; -- Begin function _ZL32rocblas_syrkx_herkx_small_kernelIl19rocblas_complex_numIfELi16ELb0ELb1ELc84ELc76EKPKS1_KPS1_EviT_T0_PT6_S7_lSA_S7_lS8_PT7_S7_li
	.p2align	8
	.type	_ZL32rocblas_syrkx_herkx_small_kernelIl19rocblas_complex_numIfELi16ELb0ELb1ELc84ELc76EKPKS1_KPS1_EviT_T0_PT6_S7_lSA_S7_lS8_PT7_S7_li,@function
_ZL32rocblas_syrkx_herkx_small_kernelIl19rocblas_complex_numIfELi16ELb0ELb1ELc84ELc76EKPKS1_KPS1_EviT_T0_PT6_S7_lSA_S7_lS8_PT7_S7_li: ; @_ZL32rocblas_syrkx_herkx_small_kernelIl19rocblas_complex_numIfELi16ELb0ELb1ELc84ELc76EKPKS1_KPS1_EviT_T0_PT6_S7_lSA_S7_lS8_PT7_S7_li
; %bb.0:
	s_load_dwordx2 s[10:11], s[4:5], 0x58
	s_load_dwordx4 s[20:23], s[4:5], 0x48
	s_load_dword s24, s[4:5], 0x0
	s_load_dwordx8 s[12:19], s[4:5], 0x8
	s_mov_b32 s9, 0
	s_lshl_b64 s[2:3], s[8:9], 3
	s_waitcnt lgkmcnt(0)
	s_add_u32 s0, s22, s2
	s_addc_u32 s1, s23, s3
	s_load_dwordx2 s[8:9], s[0:1], 0x0
	v_cmp_lt_i64_e64 s[0:1], s[12:13], 1
	v_lshl_add_u32 v2, s6, 4, v0
	v_lshl_add_u32 v12, s7, 4, v1
	s_and_b64 vcc, exec, s[0:1]
	v_cmp_gt_i32_e64 s[0:1], s24, v2
	v_ashrrev_i32_e32 v3, 31, v2
	v_ashrrev_i32_e32 v13, 31, v12
	s_cbranch_vccnz .LBB1750_11
; %bb.1:
	s_load_dwordx4 s[4:7], s[4:5], 0x30
	v_lshlrev_b32_e32 v14, 3, v0
	v_lshlrev_b32_e32 v7, 7, v1
	v_add_u32_e32 v15, v14, v7
	v_add_u32_e32 v16, 0x800, v7
	s_waitcnt lgkmcnt(0)
	s_add_u32 s4, s4, s2
	s_addc_u32 s5, s5, s3
	s_add_u32 s2, s16, s2
	s_addc_u32 s3, s17, s3
	s_load_dwordx2 s[16:17], s[2:3], 0x0
	v_mul_lo_u32 v8, s7, v12
	v_mul_lo_u32 v9, s6, v13
	v_mad_u64_u32 v[5:6], s[2:3], s6, v12, 0
	s_load_dwordx2 s[4:5], s[4:5], 0x0
	v_mul_lo_u32 v11, s19, v2
	v_add3_u32 v6, v6, v9, v8
	v_lshlrev_b64 v[5:6], 3, v[5:6]
	v_mul_lo_u32 v18, s18, v3
	v_add_co_u32_e64 v5, s[2:3], v5, v14
	v_addc_co_u32_e64 v7, s[2:3], 0, v6, s[2:3]
	v_mad_u64_u32 v[8:9], s[2:3], s18, v2, 0
	s_waitcnt lgkmcnt(0)
	v_mov_b32_e32 v10, s5
	v_add_co_u32_e64 v6, s[2:3], s4, v5
	v_add3_u32 v9, v9, v18, v11
	v_lshlrev_b64 v[8:9], 3, v[8:9]
	v_addc_co_u32_e64 v7, s[2:3], v10, v7, s[2:3]
	v_lshlrev_b32_e32 v5, 3, v1
	v_add_co_u32_e64 v5, s[2:3], v8, v5
	v_addc_co_u32_e64 v9, s[2:3], 0, v9, s[2:3]
	v_mov_b32_e32 v10, s17
	v_add_co_u32_e64 v8, s[2:3], s16, v5
	v_cmp_gt_i32_e32 vcc, s24, v12
	v_addc_co_u32_e64 v9, s[2:3], v10, v9, s[2:3]
	v_mov_b32_e32 v10, s12
	v_mov_b32_e32 v4, 0
	v_add_u32_e32 v17, v16, v14
	s_mov_b64 s[2:3], 0
	s_xor_b64 s[4:5], s[0:1], -1
	s_xor_b64 s[6:7], vcc, -1
	v_mov_b32_e32 v11, s13
	v_mov_b32_e32 v18, 0
	;; [unrolled: 1-line block ×3, first 2 shown]
	s_branch .LBB1750_3
.LBB1750_2:                             ;   in Loop: Header=BB1750_3 Depth=1
	s_or_b64 exec, exec, s[0:1]
	s_waitcnt lgkmcnt(0)
	s_barrier
	ds_read2_b64 v[20:23], v14 offset1:16
	ds_read_b128 v[24:27], v16
	ds_read_b128 v[28:31], v16 offset:16
	ds_read2_b64 v[32:35], v14 offset0:32 offset1:48
	s_add_u32 s2, s2, 16
	v_add_co_u32_e32 v6, vcc, 0x80, v6
	s_waitcnt lgkmcnt(2)
	v_mul_f32_e32 v5, v25, v21
	v_mul_f32_e32 v36, v24, v21
	v_fma_f32 v5, v24, v20, -v5
	v_fmac_f32_e32 v36, v25, v20
	v_mul_f32_e32 v20, v27, v23
	v_fma_f32 v37, v26, v22, -v20
	v_mul_f32_e32 v38, v26, v23
	s_waitcnt lgkmcnt(0)
	v_mul_f32_e32 v20, v29, v33
	v_fmac_f32_e32 v38, v27, v22
	v_fma_f32 v39, v28, v32, -v20
	ds_read2_b64 v[20:23], v14 offset0:64 offset1:80
	ds_read_b128 v[24:27], v16 offset:32
	v_mul_f32_e32 v40, v28, v33
	v_fmac_f32_e32 v40, v29, v32
	v_mul_f32_e32 v28, v31, v35
	v_mul_f32_e32 v42, v30, v35
	s_waitcnt lgkmcnt(0)
	v_mul_f32_e32 v32, v25, v21
	v_fma_f32 v41, v30, v34, -v28
	v_fmac_f32_e32 v42, v31, v34
	ds_read_b128 v[28:31], v16 offset:48
	v_fma_f32 v43, v24, v20, -v32
	ds_read2_b64 v[32:35], v14 offset0:96 offset1:112
	v_mul_f32_e32 v44, v24, v21
	v_fmac_f32_e32 v44, v25, v20
	v_mul_f32_e32 v20, v27, v23
	v_fma_f32 v45, v26, v22, -v20
	v_mul_f32_e32 v46, v26, v23
	s_waitcnt lgkmcnt(0)
	v_mul_f32_e32 v20, v29, v33
	v_fmac_f32_e32 v46, v27, v22
	v_fma_f32 v47, v28, v32, -v20
	ds_read2_b64 v[20:23], v14 offset0:128 offset1:144
	ds_read_b128 v[24:27], v16 offset:64
	v_mul_f32_e32 v48, v28, v33
	v_fmac_f32_e32 v48, v29, v32
	v_mul_f32_e32 v28, v31, v35
	v_mul_f32_e32 v50, v30, v35
	s_waitcnt lgkmcnt(0)
	v_mul_f32_e32 v32, v25, v21
	v_fma_f32 v49, v30, v34, -v28
	v_fmac_f32_e32 v50, v31, v34
	ds_read_b128 v[28:31], v16 offset:80
	v_fma_f32 v51, v24, v20, -v32
	ds_read2_b64 v[32:35], v14 offset0:160 offset1:176
	v_mul_f32_e32 v52, v24, v21
	v_add_f32_e32 v18, v18, v36
	v_fmac_f32_e32 v52, v25, v20
	v_mul_f32_e32 v20, v27, v23
	v_add_f32_e32 v18, v18, v38
	v_fma_f32 v53, v26, v22, -v20
	v_mul_f32_e32 v54, v26, v23
	s_waitcnt lgkmcnt(0)
	v_mul_f32_e32 v20, v29, v33
	v_add_f32_e32 v18, v18, v40
	v_fmac_f32_e32 v54, v27, v22
	v_fma_f32 v55, v28, v32, -v20
	ds_read2_b64 v[20:23], v14 offset0:192 offset1:208
	ds_read_b128 v[24:27], v16 offset:96
	v_add_f32_e32 v18, v18, v42
	v_add_f32_e32 v18, v18, v44
	v_add_f32_e32 v5, v19, v5
	v_add_f32_e32 v18, v18, v46
	v_add_f32_e32 v5, v5, v37
	v_add_f32_e32 v18, v18, v48
	v_mul_f32_e32 v33, v28, v33
	v_mul_f32_e32 v28, v31, v35
	v_mul_f32_e32 v35, v30, v35
	v_add_f32_e32 v5, v5, v39
	v_add_f32_e32 v18, v18, v50
	v_fmac_f32_e32 v33, v29, v32
	v_fma_f32 v32, v30, v34, -v28
	v_fmac_f32_e32 v35, v31, v34
	s_waitcnt lgkmcnt(0)
	v_mul_f32_e32 v34, v25, v21
	v_add_f32_e32 v5, v5, v41
	v_add_f32_e32 v18, v18, v52
	v_fma_f32 v34, v24, v20, -v34
	v_mul_f32_e32 v24, v24, v21
	v_add_f32_e32 v5, v5, v43
	v_add_f32_e32 v18, v18, v54
	v_fmac_f32_e32 v24, v25, v20
	v_mul_f32_e32 v20, v27, v23
	v_mul_f32_e32 v23, v26, v23
	v_add_f32_e32 v5, v5, v45
	v_add_f32_e32 v18, v18, v33
	ds_read_b128 v[28:31], v16 offset:112
	v_fma_f32 v25, v26, v22, -v20
	v_fmac_f32_e32 v23, v27, v22
	v_add_f32_e32 v5, v5, v47
	v_add_f32_e32 v22, v18, v35
	ds_read2_b64 v[18:21], v14 offset0:224 offset1:240
	v_add_f32_e32 v5, v5, v49
	v_add_f32_e32 v5, v5, v51
	;; [unrolled: 1-line block ×7, first 2 shown]
	s_waitcnt lgkmcnt(0)
	v_mul_f32_e32 v23, v29, v19
	v_mul_f32_e32 v19, v28, v19
	v_add_f32_e32 v5, v5, v34
	v_fmac_f32_e32 v19, v29, v18
	s_addc_u32 s3, s3, 0
	v_addc_co_u32_e32 v7, vcc, 0, v7, vcc
	v_add_f32_e32 v5, v5, v25
	v_fma_f32 v23, v28, v18, -v23
	v_add_f32_e32 v18, v22, v19
	v_mul_f32_e32 v19, v31, v21
	v_mul_f32_e32 v21, v30, v21
	v_add_co_u32_e32 v8, vcc, 0x80, v8
	v_cmp_ge_i64_e64 s[0:1], s[2:3], v[10:11]
	v_add_f32_e32 v5, v5, v23
	v_fma_f32 v19, v30, v20, -v19
	v_fmac_f32_e32 v21, v31, v20
	v_addc_co_u32_e32 v9, vcc, 0, v9, vcc
	v_add_f32_e32 v19, v5, v19
	v_add_f32_e32 v18, v18, v21
	s_and_b64 vcc, exec, s[0:1]
	s_barrier
	s_cbranch_vccnz .LBB1750_12
.LBB1750_3:                             ; =>This Inner Loop Header: Depth=1
	v_mov_b32_e32 v5, s3
	v_add_co_u32_e32 v20, vcc, s2, v1
	v_addc_co_u32_e32 v21, vcc, 0, v5, vcc
	v_cmp_le_i64_e32 vcc, s[12:13], v[20:21]
	s_or_b64 s[0:1], s[4:5], vcc
	s_and_saveexec_b64 s[16:17], s[0:1]
	s_xor_b64 s[0:1], exec, s[16:17]
; %bb.4:                                ;   in Loop: Header=BB1750_3 Depth=1
	v_mov_b32_e32 v5, v4
	ds_write_b64 v15, v[4:5]
; %bb.5:                                ;   in Loop: Header=BB1750_3 Depth=1
	s_andn2_saveexec_b64 s[0:1], s[0:1]
	s_cbranch_execz .LBB1750_7
; %bb.6:                                ;   in Loop: Header=BB1750_3 Depth=1
	flat_load_dwordx2 v[20:21], v[8:9]
	s_waitcnt vmcnt(0) lgkmcnt(0)
	ds_write_b64 v15, v[20:21]
.LBB1750_7:                             ;   in Loop: Header=BB1750_3 Depth=1
	s_or_b64 exec, exec, s[0:1]
	v_mov_b32_e32 v5, s3
	v_add_co_u32_e32 v20, vcc, s2, v0
	v_addc_co_u32_e32 v21, vcc, 0, v5, vcc
	v_cmp_le_i64_e32 vcc, s[12:13], v[20:21]
	s_or_b64 s[0:1], s[6:7], vcc
	s_and_saveexec_b64 s[16:17], s[0:1]
	s_xor_b64 s[0:1], exec, s[16:17]
; %bb.8:                                ;   in Loop: Header=BB1750_3 Depth=1
	v_mov_b32_e32 v5, v4
	ds_write_b64 v17, v[4:5]
; %bb.9:                                ;   in Loop: Header=BB1750_3 Depth=1
	s_andn2_saveexec_b64 s[0:1], s[0:1]
	s_cbranch_execz .LBB1750_2
; %bb.10:                               ;   in Loop: Header=BB1750_3 Depth=1
	flat_load_dwordx2 v[20:21], v[6:7]
	s_waitcnt vmcnt(0) lgkmcnt(0)
	ds_write_b64 v17, v[20:21]
	s_branch .LBB1750_2
.LBB1750_11:
	v_mov_b32_e32 v18, 0
	v_mov_b32_e32 v19, 0
.LBB1750_12:
	v_cmp_le_i32_e32 vcc, v12, v2
	v_cmp_gt_i32_e64 s[0:1], s24, v2
	s_and_b64 s[0:1], vcc, s[0:1]
	s_and_saveexec_b64 s[2:3], s[0:1]
	s_cbranch_execz .LBB1750_15
; %bb.13:
	v_mul_lo_u32 v4, s11, v12
	v_mul_lo_u32 v5, s10, v13
	v_mad_u64_u32 v[0:1], s[0:1], s10, v12, 0
	v_mul_f32_e32 v6, s14, v18
	v_fmac_f32_e32 v6, s15, v19
	v_add3_u32 v1, v1, v5, v4
	v_lshlrev_b64 v[0:1], 3, v[0:1]
	s_waitcnt lgkmcnt(0)
	v_mov_b32_e32 v4, s9
	v_add_co_u32_e32 v5, vcc, s8, v0
	v_addc_co_u32_e32 v4, vcc, v4, v1, vcc
	v_lshlrev_b64 v[0:1], 3, v[2:3]
	v_add_co_u32_e32 v0, vcc, v5, v0
	v_addc_co_u32_e32 v1, vcc, v4, v1, vcc
	flat_load_dwordx2 v[3:4], v[0:1]
	v_mul_f32_e32 v5, s15, v18
	v_fma_f32 v5, v19, s14, -v5
	v_cmp_eq_u32_e32 vcc, v2, v12
	s_waitcnt vmcnt(0) lgkmcnt(0)
	v_mul_f32_e32 v7, s21, v4
	v_mul_f32_e32 v4, s20, v4
	v_fma_f32 v7, v3, s20, -v7
	v_fmac_f32_e32 v4, s21, v3
	v_add_f32_e32 v3, v5, v7
	v_add_f32_e32 v4, v6, v4
	flat_store_dwordx2 v[0:1], v[3:4]
	s_and_b64 exec, exec, vcc
	s_cbranch_execz .LBB1750_15
; %bb.14:
	v_mov_b32_e32 v2, 0
	flat_store_dword v[0:1], v2 offset:4
.LBB1750_15:
	s_endpgm
	.section	.rodata,"a",@progbits
	.p2align	6, 0x0
	.amdhsa_kernel _ZL32rocblas_syrkx_herkx_small_kernelIl19rocblas_complex_numIfELi16ELb0ELb1ELc84ELc76EKPKS1_KPS1_EviT_T0_PT6_S7_lSA_S7_lS8_PT7_S7_li
		.amdhsa_group_segment_fixed_size 4096
		.amdhsa_private_segment_fixed_size 0
		.amdhsa_kernarg_size 108
		.amdhsa_user_sgpr_count 6
		.amdhsa_user_sgpr_private_segment_buffer 1
		.amdhsa_user_sgpr_dispatch_ptr 0
		.amdhsa_user_sgpr_queue_ptr 0
		.amdhsa_user_sgpr_kernarg_segment_ptr 1
		.amdhsa_user_sgpr_dispatch_id 0
		.amdhsa_user_sgpr_flat_scratch_init 0
		.amdhsa_user_sgpr_private_segment_size 0
		.amdhsa_uses_dynamic_stack 0
		.amdhsa_system_sgpr_private_segment_wavefront_offset 0
		.amdhsa_system_sgpr_workgroup_id_x 1
		.amdhsa_system_sgpr_workgroup_id_y 1
		.amdhsa_system_sgpr_workgroup_id_z 1
		.amdhsa_system_sgpr_workgroup_info 0
		.amdhsa_system_vgpr_workitem_id 1
		.amdhsa_next_free_vgpr 56
		.amdhsa_next_free_sgpr 25
		.amdhsa_reserve_vcc 1
		.amdhsa_reserve_flat_scratch 0
		.amdhsa_float_round_mode_32 0
		.amdhsa_float_round_mode_16_64 0
		.amdhsa_float_denorm_mode_32 3
		.amdhsa_float_denorm_mode_16_64 3
		.amdhsa_dx10_clamp 1
		.amdhsa_ieee_mode 1
		.amdhsa_fp16_overflow 0
		.amdhsa_exception_fp_ieee_invalid_op 0
		.amdhsa_exception_fp_denorm_src 0
		.amdhsa_exception_fp_ieee_div_zero 0
		.amdhsa_exception_fp_ieee_overflow 0
		.amdhsa_exception_fp_ieee_underflow 0
		.amdhsa_exception_fp_ieee_inexact 0
		.amdhsa_exception_int_div_zero 0
	.end_amdhsa_kernel
	.section	.text._ZL32rocblas_syrkx_herkx_small_kernelIl19rocblas_complex_numIfELi16ELb0ELb1ELc84ELc76EKPKS1_KPS1_EviT_T0_PT6_S7_lSA_S7_lS8_PT7_S7_li,"axG",@progbits,_ZL32rocblas_syrkx_herkx_small_kernelIl19rocblas_complex_numIfELi16ELb0ELb1ELc84ELc76EKPKS1_KPS1_EviT_T0_PT6_S7_lSA_S7_lS8_PT7_S7_li,comdat
.Lfunc_end1750:
	.size	_ZL32rocblas_syrkx_herkx_small_kernelIl19rocblas_complex_numIfELi16ELb0ELb1ELc84ELc76EKPKS1_KPS1_EviT_T0_PT6_S7_lSA_S7_lS8_PT7_S7_li, .Lfunc_end1750-_ZL32rocblas_syrkx_herkx_small_kernelIl19rocblas_complex_numIfELi16ELb0ELb1ELc84ELc76EKPKS1_KPS1_EviT_T0_PT6_S7_lSA_S7_lS8_PT7_S7_li
                                        ; -- End function
	.set _ZL32rocblas_syrkx_herkx_small_kernelIl19rocblas_complex_numIfELi16ELb0ELb1ELc84ELc76EKPKS1_KPS1_EviT_T0_PT6_S7_lSA_S7_lS8_PT7_S7_li.num_vgpr, 56
	.set _ZL32rocblas_syrkx_herkx_small_kernelIl19rocblas_complex_numIfELi16ELb0ELb1ELc84ELc76EKPKS1_KPS1_EviT_T0_PT6_S7_lSA_S7_lS8_PT7_S7_li.num_agpr, 0
	.set _ZL32rocblas_syrkx_herkx_small_kernelIl19rocblas_complex_numIfELi16ELb0ELb1ELc84ELc76EKPKS1_KPS1_EviT_T0_PT6_S7_lSA_S7_lS8_PT7_S7_li.numbered_sgpr, 25
	.set _ZL32rocblas_syrkx_herkx_small_kernelIl19rocblas_complex_numIfELi16ELb0ELb1ELc84ELc76EKPKS1_KPS1_EviT_T0_PT6_S7_lSA_S7_lS8_PT7_S7_li.num_named_barrier, 0
	.set _ZL32rocblas_syrkx_herkx_small_kernelIl19rocblas_complex_numIfELi16ELb0ELb1ELc84ELc76EKPKS1_KPS1_EviT_T0_PT6_S7_lSA_S7_lS8_PT7_S7_li.private_seg_size, 0
	.set _ZL32rocblas_syrkx_herkx_small_kernelIl19rocblas_complex_numIfELi16ELb0ELb1ELc84ELc76EKPKS1_KPS1_EviT_T0_PT6_S7_lSA_S7_lS8_PT7_S7_li.uses_vcc, 1
	.set _ZL32rocblas_syrkx_herkx_small_kernelIl19rocblas_complex_numIfELi16ELb0ELb1ELc84ELc76EKPKS1_KPS1_EviT_T0_PT6_S7_lSA_S7_lS8_PT7_S7_li.uses_flat_scratch, 0
	.set _ZL32rocblas_syrkx_herkx_small_kernelIl19rocblas_complex_numIfELi16ELb0ELb1ELc84ELc76EKPKS1_KPS1_EviT_T0_PT6_S7_lSA_S7_lS8_PT7_S7_li.has_dyn_sized_stack, 0
	.set _ZL32rocblas_syrkx_herkx_small_kernelIl19rocblas_complex_numIfELi16ELb0ELb1ELc84ELc76EKPKS1_KPS1_EviT_T0_PT6_S7_lSA_S7_lS8_PT7_S7_li.has_recursion, 0
	.set _ZL32rocblas_syrkx_herkx_small_kernelIl19rocblas_complex_numIfELi16ELb0ELb1ELc84ELc76EKPKS1_KPS1_EviT_T0_PT6_S7_lSA_S7_lS8_PT7_S7_li.has_indirect_call, 0
	.section	.AMDGPU.csdata,"",@progbits
; Kernel info:
; codeLenInByte = 1392
; TotalNumSgprs: 29
; NumVgprs: 56
; ScratchSize: 0
; MemoryBound: 1
; FloatMode: 240
; IeeeMode: 1
; LDSByteSize: 4096 bytes/workgroup (compile time only)
; SGPRBlocks: 3
; VGPRBlocks: 13
; NumSGPRsForWavesPerEU: 29
; NumVGPRsForWavesPerEU: 56
; Occupancy: 4
; WaveLimiterHint : 1
; COMPUTE_PGM_RSRC2:SCRATCH_EN: 0
; COMPUTE_PGM_RSRC2:USER_SGPR: 6
; COMPUTE_PGM_RSRC2:TRAP_HANDLER: 0
; COMPUTE_PGM_RSRC2:TGID_X_EN: 1
; COMPUTE_PGM_RSRC2:TGID_Y_EN: 1
; COMPUTE_PGM_RSRC2:TGID_Z_EN: 1
; COMPUTE_PGM_RSRC2:TIDIG_COMP_CNT: 1
	.section	.text._ZL32rocblas_syrkx_herkx_small_kernelIl19rocblas_complex_numIfELi16ELb0ELb1ELc67ELc76EKPKS1_KPS1_EviT_T0_PT6_S7_lSA_S7_lS8_PT7_S7_li,"axG",@progbits,_ZL32rocblas_syrkx_herkx_small_kernelIl19rocblas_complex_numIfELi16ELb0ELb1ELc67ELc76EKPKS1_KPS1_EviT_T0_PT6_S7_lSA_S7_lS8_PT7_S7_li,comdat
	.globl	_ZL32rocblas_syrkx_herkx_small_kernelIl19rocblas_complex_numIfELi16ELb0ELb1ELc67ELc76EKPKS1_KPS1_EviT_T0_PT6_S7_lSA_S7_lS8_PT7_S7_li ; -- Begin function _ZL32rocblas_syrkx_herkx_small_kernelIl19rocblas_complex_numIfELi16ELb0ELb1ELc67ELc76EKPKS1_KPS1_EviT_T0_PT6_S7_lSA_S7_lS8_PT7_S7_li
	.p2align	8
	.type	_ZL32rocblas_syrkx_herkx_small_kernelIl19rocblas_complex_numIfELi16ELb0ELb1ELc67ELc76EKPKS1_KPS1_EviT_T0_PT6_S7_lSA_S7_lS8_PT7_S7_li,@function
_ZL32rocblas_syrkx_herkx_small_kernelIl19rocblas_complex_numIfELi16ELb0ELb1ELc67ELc76EKPKS1_KPS1_EviT_T0_PT6_S7_lSA_S7_lS8_PT7_S7_li: ; @_ZL32rocblas_syrkx_herkx_small_kernelIl19rocblas_complex_numIfELi16ELb0ELb1ELc67ELc76EKPKS1_KPS1_EviT_T0_PT6_S7_lSA_S7_lS8_PT7_S7_li
; %bb.0:
	s_load_dwordx2 s[10:11], s[4:5], 0x58
	s_load_dwordx4 s[20:23], s[4:5], 0x48
	s_load_dword s24, s[4:5], 0x0
	s_load_dwordx8 s[12:19], s[4:5], 0x8
	s_mov_b32 s9, 0
	s_lshl_b64 s[2:3], s[8:9], 3
	s_waitcnt lgkmcnt(0)
	s_add_u32 s0, s22, s2
	s_addc_u32 s1, s23, s3
	s_load_dwordx2 s[8:9], s[0:1], 0x0
	v_cmp_lt_i64_e64 s[0:1], s[12:13], 1
	v_lshl_add_u32 v2, s6, 4, v0
	v_lshl_add_u32 v12, s7, 4, v1
	s_and_b64 vcc, exec, s[0:1]
	v_cmp_gt_i32_e64 s[0:1], s24, v2
	v_ashrrev_i32_e32 v3, 31, v2
	v_ashrrev_i32_e32 v13, 31, v12
	s_cbranch_vccnz .LBB1751_11
; %bb.1:
	s_load_dwordx4 s[4:7], s[4:5], 0x30
	v_lshlrev_b32_e32 v14, 3, v0
	v_lshlrev_b32_e32 v7, 7, v1
	v_add_u32_e32 v15, v14, v7
	v_add_u32_e32 v16, 0x800, v7
	s_waitcnt lgkmcnt(0)
	s_add_u32 s4, s4, s2
	s_addc_u32 s5, s5, s3
	s_add_u32 s2, s16, s2
	s_addc_u32 s3, s17, s3
	s_load_dwordx2 s[16:17], s[2:3], 0x0
	v_mul_lo_u32 v8, s7, v12
	v_mul_lo_u32 v9, s6, v13
	v_mad_u64_u32 v[5:6], s[2:3], s6, v12, 0
	s_load_dwordx2 s[4:5], s[4:5], 0x0
	v_mul_lo_u32 v11, s19, v2
	v_add3_u32 v6, v6, v9, v8
	v_lshlrev_b64 v[5:6], 3, v[5:6]
	v_mul_lo_u32 v18, s18, v3
	v_add_co_u32_e64 v5, s[2:3], v5, v14
	v_addc_co_u32_e64 v7, s[2:3], 0, v6, s[2:3]
	v_mad_u64_u32 v[8:9], s[2:3], s18, v2, 0
	s_waitcnt lgkmcnt(0)
	v_mov_b32_e32 v10, s5
	v_add_co_u32_e64 v6, s[2:3], s4, v5
	v_add3_u32 v9, v9, v18, v11
	v_lshlrev_b64 v[8:9], 3, v[8:9]
	v_addc_co_u32_e64 v7, s[2:3], v10, v7, s[2:3]
	v_lshlrev_b32_e32 v5, 3, v1
	v_add_co_u32_e64 v5, s[2:3], v8, v5
	v_addc_co_u32_e64 v9, s[2:3], 0, v9, s[2:3]
	v_mov_b32_e32 v10, s17
	v_add_co_u32_e64 v8, s[2:3], s16, v5
	v_cmp_gt_i32_e32 vcc, s24, v12
	v_addc_co_u32_e64 v9, s[2:3], v10, v9, s[2:3]
	v_mov_b32_e32 v10, s12
	v_mov_b32_e32 v4, 0
	v_add_u32_e32 v17, v16, v14
	s_mov_b64 s[2:3], 0
	s_xor_b64 s[4:5], s[0:1], -1
	s_xor_b64 s[6:7], vcc, -1
	v_mov_b32_e32 v11, s13
	v_mov_b32_e32 v18, 0
	;; [unrolled: 1-line block ×3, first 2 shown]
	s_branch .LBB1751_3
.LBB1751_2:                             ;   in Loop: Header=BB1751_3 Depth=1
	s_or_b64 exec, exec, s[0:1]
	s_waitcnt lgkmcnt(0)
	s_barrier
	ds_read2_b64 v[20:23], v14 offset1:16
	ds_read_b128 v[24:27], v16
	ds_read_b128 v[28:31], v16 offset:16
	ds_read2_b64 v[32:35], v14 offset0:32 offset1:48
	s_add_u32 s2, s2, 16
	v_add_co_u32_e32 v6, vcc, 0x80, v6
	s_waitcnt lgkmcnt(2)
	v_mul_f32_e32 v5, v25, v21
	v_mul_f32_e32 v36, v24, v21
	v_fma_f32 v5, v24, v20, -v5
	v_fmac_f32_e32 v36, v25, v20
	v_mul_f32_e32 v20, v27, v23
	v_fma_f32 v37, v26, v22, -v20
	v_mul_f32_e32 v38, v26, v23
	s_waitcnt lgkmcnt(0)
	v_mul_f32_e32 v20, v29, v33
	v_fmac_f32_e32 v38, v27, v22
	v_fma_f32 v39, v28, v32, -v20
	ds_read2_b64 v[20:23], v14 offset0:64 offset1:80
	ds_read_b128 v[24:27], v16 offset:32
	v_mul_f32_e32 v40, v28, v33
	v_fmac_f32_e32 v40, v29, v32
	v_mul_f32_e32 v28, v31, v35
	v_mul_f32_e32 v42, v30, v35
	s_waitcnt lgkmcnt(0)
	v_mul_f32_e32 v32, v25, v21
	v_fma_f32 v41, v30, v34, -v28
	v_fmac_f32_e32 v42, v31, v34
	ds_read_b128 v[28:31], v16 offset:48
	v_fma_f32 v43, v24, v20, -v32
	ds_read2_b64 v[32:35], v14 offset0:96 offset1:112
	v_mul_f32_e32 v44, v24, v21
	v_fmac_f32_e32 v44, v25, v20
	v_mul_f32_e32 v20, v27, v23
	v_fma_f32 v45, v26, v22, -v20
	v_mul_f32_e32 v46, v26, v23
	s_waitcnt lgkmcnt(0)
	v_mul_f32_e32 v20, v29, v33
	v_fmac_f32_e32 v46, v27, v22
	v_fma_f32 v47, v28, v32, -v20
	ds_read2_b64 v[20:23], v14 offset0:128 offset1:144
	ds_read_b128 v[24:27], v16 offset:64
	v_mul_f32_e32 v48, v28, v33
	v_fmac_f32_e32 v48, v29, v32
	v_mul_f32_e32 v28, v31, v35
	v_mul_f32_e32 v50, v30, v35
	s_waitcnt lgkmcnt(0)
	v_mul_f32_e32 v32, v25, v21
	v_fma_f32 v49, v30, v34, -v28
	v_fmac_f32_e32 v50, v31, v34
	ds_read_b128 v[28:31], v16 offset:80
	v_fma_f32 v51, v24, v20, -v32
	ds_read2_b64 v[32:35], v14 offset0:160 offset1:176
	v_mul_f32_e32 v52, v24, v21
	v_add_f32_e32 v18, v18, v36
	v_fmac_f32_e32 v52, v25, v20
	v_mul_f32_e32 v20, v27, v23
	v_add_f32_e32 v18, v18, v38
	v_fma_f32 v53, v26, v22, -v20
	v_mul_f32_e32 v54, v26, v23
	s_waitcnt lgkmcnt(0)
	v_mul_f32_e32 v20, v29, v33
	v_add_f32_e32 v18, v18, v40
	v_fmac_f32_e32 v54, v27, v22
	v_fma_f32 v55, v28, v32, -v20
	ds_read2_b64 v[20:23], v14 offset0:192 offset1:208
	ds_read_b128 v[24:27], v16 offset:96
	v_add_f32_e32 v18, v18, v42
	v_add_f32_e32 v18, v18, v44
	;; [unrolled: 1-line block ×6, first 2 shown]
	v_mul_f32_e32 v33, v28, v33
	v_mul_f32_e32 v28, v31, v35
	;; [unrolled: 1-line block ×3, first 2 shown]
	v_add_f32_e32 v5, v5, v39
	v_add_f32_e32 v18, v18, v50
	v_fmac_f32_e32 v33, v29, v32
	v_fma_f32 v32, v30, v34, -v28
	v_fmac_f32_e32 v35, v31, v34
	s_waitcnt lgkmcnt(0)
	v_mul_f32_e32 v34, v25, v21
	v_add_f32_e32 v5, v5, v41
	v_add_f32_e32 v18, v18, v52
	v_fma_f32 v34, v24, v20, -v34
	v_mul_f32_e32 v24, v24, v21
	v_add_f32_e32 v5, v5, v43
	v_add_f32_e32 v18, v18, v54
	v_fmac_f32_e32 v24, v25, v20
	v_mul_f32_e32 v20, v27, v23
	v_mul_f32_e32 v23, v26, v23
	v_add_f32_e32 v5, v5, v45
	v_add_f32_e32 v18, v18, v33
	ds_read_b128 v[28:31], v16 offset:112
	v_fma_f32 v25, v26, v22, -v20
	v_fmac_f32_e32 v23, v27, v22
	v_add_f32_e32 v5, v5, v47
	v_add_f32_e32 v22, v18, v35
	ds_read2_b64 v[18:21], v14 offset0:224 offset1:240
	v_add_f32_e32 v5, v5, v49
	v_add_f32_e32 v5, v5, v51
	;; [unrolled: 1-line block ×7, first 2 shown]
	s_waitcnt lgkmcnt(0)
	v_mul_f32_e32 v23, v29, v19
	v_mul_f32_e32 v19, v28, v19
	v_add_f32_e32 v5, v5, v34
	v_fmac_f32_e32 v19, v29, v18
	s_addc_u32 s3, s3, 0
	v_addc_co_u32_e32 v7, vcc, 0, v7, vcc
	v_add_f32_e32 v5, v5, v25
	v_fma_f32 v23, v28, v18, -v23
	v_add_f32_e32 v18, v22, v19
	v_mul_f32_e32 v19, v31, v21
	v_mul_f32_e32 v21, v30, v21
	v_add_co_u32_e32 v8, vcc, 0x80, v8
	v_cmp_ge_i64_e64 s[0:1], s[2:3], v[10:11]
	v_add_f32_e32 v5, v5, v23
	v_fma_f32 v19, v30, v20, -v19
	v_fmac_f32_e32 v21, v31, v20
	v_addc_co_u32_e32 v9, vcc, 0, v9, vcc
	v_add_f32_e32 v19, v5, v19
	v_add_f32_e32 v18, v18, v21
	s_and_b64 vcc, exec, s[0:1]
	s_barrier
	s_cbranch_vccnz .LBB1751_12
.LBB1751_3:                             ; =>This Inner Loop Header: Depth=1
	v_mov_b32_e32 v5, s3
	v_add_co_u32_e32 v20, vcc, s2, v1
	v_addc_co_u32_e32 v21, vcc, 0, v5, vcc
	v_cmp_le_i64_e32 vcc, s[12:13], v[20:21]
	s_or_b64 s[0:1], s[4:5], vcc
	s_and_saveexec_b64 s[16:17], s[0:1]
	s_xor_b64 s[0:1], exec, s[16:17]
; %bb.4:                                ;   in Loop: Header=BB1751_3 Depth=1
	ds_write_b32 v15, v4
; %bb.5:                                ;   in Loop: Header=BB1751_3 Depth=1
	s_or_saveexec_b64 s[0:1], s[0:1]
	v_mov_b32_e32 v5, 0
	s_xor_b64 exec, exec, s[0:1]
	s_cbranch_execz .LBB1751_7
; %bb.6:                                ;   in Loop: Header=BB1751_3 Depth=1
	flat_load_dwordx2 v[20:21], v[8:9]
	s_waitcnt vmcnt(0) lgkmcnt(0)
	v_xor_b32_e32 v5, 0x80000000, v21
	ds_write_b32 v15, v20
.LBB1751_7:                             ;   in Loop: Header=BB1751_3 Depth=1
	s_or_b64 exec, exec, s[0:1]
	v_mov_b32_e32 v21, s3
	v_add_co_u32_e32 v20, vcc, s2, v0
	v_addc_co_u32_e32 v21, vcc, 0, v21, vcc
	v_cmp_le_i64_e32 vcc, s[12:13], v[20:21]
	ds_write_b32 v15, v5 offset:4
	s_or_b64 s[0:1], s[6:7], vcc
	s_and_saveexec_b64 s[16:17], s[0:1]
	s_xor_b64 s[0:1], exec, s[16:17]
; %bb.8:                                ;   in Loop: Header=BB1751_3 Depth=1
	v_mov_b32_e32 v5, v4
	ds_write_b64 v17, v[4:5]
; %bb.9:                                ;   in Loop: Header=BB1751_3 Depth=1
	s_andn2_saveexec_b64 s[0:1], s[0:1]
	s_cbranch_execz .LBB1751_2
; %bb.10:                               ;   in Loop: Header=BB1751_3 Depth=1
	flat_load_dwordx2 v[20:21], v[6:7]
	s_waitcnt vmcnt(0) lgkmcnt(0)
	ds_write_b64 v17, v[20:21]
	s_branch .LBB1751_2
.LBB1751_11:
	v_mov_b32_e32 v18, 0
	v_mov_b32_e32 v19, 0
.LBB1751_12:
	v_cmp_le_i32_e32 vcc, v12, v2
	v_cmp_gt_i32_e64 s[0:1], s24, v2
	s_and_b64 s[0:1], vcc, s[0:1]
	s_and_saveexec_b64 s[2:3], s[0:1]
	s_cbranch_execz .LBB1751_15
; %bb.13:
	v_mul_lo_u32 v4, s11, v12
	v_mul_lo_u32 v5, s10, v13
	v_mad_u64_u32 v[0:1], s[0:1], s10, v12, 0
	v_mul_f32_e32 v6, s14, v18
	v_fmac_f32_e32 v6, s15, v19
	v_add3_u32 v1, v1, v5, v4
	v_lshlrev_b64 v[0:1], 3, v[0:1]
	s_waitcnt lgkmcnt(0)
	v_mov_b32_e32 v4, s9
	v_add_co_u32_e32 v5, vcc, s8, v0
	v_addc_co_u32_e32 v4, vcc, v4, v1, vcc
	v_lshlrev_b64 v[0:1], 3, v[2:3]
	v_add_co_u32_e32 v0, vcc, v5, v0
	v_addc_co_u32_e32 v1, vcc, v4, v1, vcc
	flat_load_dwordx2 v[3:4], v[0:1]
	v_mul_f32_e32 v5, s15, v18
	v_fma_f32 v5, v19, s14, -v5
	v_cmp_eq_u32_e32 vcc, v2, v12
	s_waitcnt vmcnt(0) lgkmcnt(0)
	v_mul_f32_e32 v7, s21, v4
	v_mul_f32_e32 v4, s20, v4
	v_fma_f32 v7, v3, s20, -v7
	v_fmac_f32_e32 v4, s21, v3
	v_add_f32_e32 v3, v5, v7
	v_add_f32_e32 v4, v6, v4
	flat_store_dwordx2 v[0:1], v[3:4]
	s_and_b64 exec, exec, vcc
	s_cbranch_execz .LBB1751_15
; %bb.14:
	v_mov_b32_e32 v2, 0
	flat_store_dword v[0:1], v2 offset:4
.LBB1751_15:
	s_endpgm
	.section	.rodata,"a",@progbits
	.p2align	6, 0x0
	.amdhsa_kernel _ZL32rocblas_syrkx_herkx_small_kernelIl19rocblas_complex_numIfELi16ELb0ELb1ELc67ELc76EKPKS1_KPS1_EviT_T0_PT6_S7_lSA_S7_lS8_PT7_S7_li
		.amdhsa_group_segment_fixed_size 4096
		.amdhsa_private_segment_fixed_size 0
		.amdhsa_kernarg_size 108
		.amdhsa_user_sgpr_count 6
		.amdhsa_user_sgpr_private_segment_buffer 1
		.amdhsa_user_sgpr_dispatch_ptr 0
		.amdhsa_user_sgpr_queue_ptr 0
		.amdhsa_user_sgpr_kernarg_segment_ptr 1
		.amdhsa_user_sgpr_dispatch_id 0
		.amdhsa_user_sgpr_flat_scratch_init 0
		.amdhsa_user_sgpr_private_segment_size 0
		.amdhsa_uses_dynamic_stack 0
		.amdhsa_system_sgpr_private_segment_wavefront_offset 0
		.amdhsa_system_sgpr_workgroup_id_x 1
		.amdhsa_system_sgpr_workgroup_id_y 1
		.amdhsa_system_sgpr_workgroup_id_z 1
		.amdhsa_system_sgpr_workgroup_info 0
		.amdhsa_system_vgpr_workitem_id 1
		.amdhsa_next_free_vgpr 56
		.amdhsa_next_free_sgpr 25
		.amdhsa_reserve_vcc 1
		.amdhsa_reserve_flat_scratch 0
		.amdhsa_float_round_mode_32 0
		.amdhsa_float_round_mode_16_64 0
		.amdhsa_float_denorm_mode_32 3
		.amdhsa_float_denorm_mode_16_64 3
		.amdhsa_dx10_clamp 1
		.amdhsa_ieee_mode 1
		.amdhsa_fp16_overflow 0
		.amdhsa_exception_fp_ieee_invalid_op 0
		.amdhsa_exception_fp_denorm_src 0
		.amdhsa_exception_fp_ieee_div_zero 0
		.amdhsa_exception_fp_ieee_overflow 0
		.amdhsa_exception_fp_ieee_underflow 0
		.amdhsa_exception_fp_ieee_inexact 0
		.amdhsa_exception_int_div_zero 0
	.end_amdhsa_kernel
	.section	.text._ZL32rocblas_syrkx_herkx_small_kernelIl19rocblas_complex_numIfELi16ELb0ELb1ELc67ELc76EKPKS1_KPS1_EviT_T0_PT6_S7_lSA_S7_lS8_PT7_S7_li,"axG",@progbits,_ZL32rocblas_syrkx_herkx_small_kernelIl19rocblas_complex_numIfELi16ELb0ELb1ELc67ELc76EKPKS1_KPS1_EviT_T0_PT6_S7_lSA_S7_lS8_PT7_S7_li,comdat
.Lfunc_end1751:
	.size	_ZL32rocblas_syrkx_herkx_small_kernelIl19rocblas_complex_numIfELi16ELb0ELb1ELc67ELc76EKPKS1_KPS1_EviT_T0_PT6_S7_lSA_S7_lS8_PT7_S7_li, .Lfunc_end1751-_ZL32rocblas_syrkx_herkx_small_kernelIl19rocblas_complex_numIfELi16ELb0ELb1ELc67ELc76EKPKS1_KPS1_EviT_T0_PT6_S7_lSA_S7_lS8_PT7_S7_li
                                        ; -- End function
	.set _ZL32rocblas_syrkx_herkx_small_kernelIl19rocblas_complex_numIfELi16ELb0ELb1ELc67ELc76EKPKS1_KPS1_EviT_T0_PT6_S7_lSA_S7_lS8_PT7_S7_li.num_vgpr, 56
	.set _ZL32rocblas_syrkx_herkx_small_kernelIl19rocblas_complex_numIfELi16ELb0ELb1ELc67ELc76EKPKS1_KPS1_EviT_T0_PT6_S7_lSA_S7_lS8_PT7_S7_li.num_agpr, 0
	.set _ZL32rocblas_syrkx_herkx_small_kernelIl19rocblas_complex_numIfELi16ELb0ELb1ELc67ELc76EKPKS1_KPS1_EviT_T0_PT6_S7_lSA_S7_lS8_PT7_S7_li.numbered_sgpr, 25
	.set _ZL32rocblas_syrkx_herkx_small_kernelIl19rocblas_complex_numIfELi16ELb0ELb1ELc67ELc76EKPKS1_KPS1_EviT_T0_PT6_S7_lSA_S7_lS8_PT7_S7_li.num_named_barrier, 0
	.set _ZL32rocblas_syrkx_herkx_small_kernelIl19rocblas_complex_numIfELi16ELb0ELb1ELc67ELc76EKPKS1_KPS1_EviT_T0_PT6_S7_lSA_S7_lS8_PT7_S7_li.private_seg_size, 0
	.set _ZL32rocblas_syrkx_herkx_small_kernelIl19rocblas_complex_numIfELi16ELb0ELb1ELc67ELc76EKPKS1_KPS1_EviT_T0_PT6_S7_lSA_S7_lS8_PT7_S7_li.uses_vcc, 1
	.set _ZL32rocblas_syrkx_herkx_small_kernelIl19rocblas_complex_numIfELi16ELb0ELb1ELc67ELc76EKPKS1_KPS1_EviT_T0_PT6_S7_lSA_S7_lS8_PT7_S7_li.uses_flat_scratch, 0
	.set _ZL32rocblas_syrkx_herkx_small_kernelIl19rocblas_complex_numIfELi16ELb0ELb1ELc67ELc76EKPKS1_KPS1_EviT_T0_PT6_S7_lSA_S7_lS8_PT7_S7_li.has_dyn_sized_stack, 0
	.set _ZL32rocblas_syrkx_herkx_small_kernelIl19rocblas_complex_numIfELi16ELb0ELb1ELc67ELc76EKPKS1_KPS1_EviT_T0_PT6_S7_lSA_S7_lS8_PT7_S7_li.has_recursion, 0
	.set _ZL32rocblas_syrkx_herkx_small_kernelIl19rocblas_complex_numIfELi16ELb0ELb1ELc67ELc76EKPKS1_KPS1_EviT_T0_PT6_S7_lSA_S7_lS8_PT7_S7_li.has_indirect_call, 0
	.section	.AMDGPU.csdata,"",@progbits
; Kernel info:
; codeLenInByte = 1412
; TotalNumSgprs: 29
; NumVgprs: 56
; ScratchSize: 0
; MemoryBound: 1
; FloatMode: 240
; IeeeMode: 1
; LDSByteSize: 4096 bytes/workgroup (compile time only)
; SGPRBlocks: 3
; VGPRBlocks: 13
; NumSGPRsForWavesPerEU: 29
; NumVGPRsForWavesPerEU: 56
; Occupancy: 4
; WaveLimiterHint : 1
; COMPUTE_PGM_RSRC2:SCRATCH_EN: 0
; COMPUTE_PGM_RSRC2:USER_SGPR: 6
; COMPUTE_PGM_RSRC2:TRAP_HANDLER: 0
; COMPUTE_PGM_RSRC2:TGID_X_EN: 1
; COMPUTE_PGM_RSRC2:TGID_Y_EN: 1
; COMPUTE_PGM_RSRC2:TGID_Z_EN: 1
; COMPUTE_PGM_RSRC2:TIDIG_COMP_CNT: 1
	.section	.text._ZL32rocblas_syrkx_herkx_small_kernelIl19rocblas_complex_numIfELi16ELb0ELb1ELc78ELc76EKPKS1_KPS1_EviT_T0_PT6_S7_lSA_S7_lS8_PT7_S7_li,"axG",@progbits,_ZL32rocblas_syrkx_herkx_small_kernelIl19rocblas_complex_numIfELi16ELb0ELb1ELc78ELc76EKPKS1_KPS1_EviT_T0_PT6_S7_lSA_S7_lS8_PT7_S7_li,comdat
	.globl	_ZL32rocblas_syrkx_herkx_small_kernelIl19rocblas_complex_numIfELi16ELb0ELb1ELc78ELc76EKPKS1_KPS1_EviT_T0_PT6_S7_lSA_S7_lS8_PT7_S7_li ; -- Begin function _ZL32rocblas_syrkx_herkx_small_kernelIl19rocblas_complex_numIfELi16ELb0ELb1ELc78ELc76EKPKS1_KPS1_EviT_T0_PT6_S7_lSA_S7_lS8_PT7_S7_li
	.p2align	8
	.type	_ZL32rocblas_syrkx_herkx_small_kernelIl19rocblas_complex_numIfELi16ELb0ELb1ELc78ELc76EKPKS1_KPS1_EviT_T0_PT6_S7_lSA_S7_lS8_PT7_S7_li,@function
_ZL32rocblas_syrkx_herkx_small_kernelIl19rocblas_complex_numIfELi16ELb0ELb1ELc78ELc76EKPKS1_KPS1_EviT_T0_PT6_S7_lSA_S7_lS8_PT7_S7_li: ; @_ZL32rocblas_syrkx_herkx_small_kernelIl19rocblas_complex_numIfELi16ELb0ELb1ELc78ELc76EKPKS1_KPS1_EviT_T0_PT6_S7_lSA_S7_lS8_PT7_S7_li
; %bb.0:
	s_load_dwordx2 s[10:11], s[4:5], 0x58
	s_load_dwordx4 s[20:23], s[4:5], 0x48
	s_load_dword s24, s[4:5], 0x0
	s_load_dwordx8 s[12:19], s[4:5], 0x8
	s_mov_b32 s9, 0
	s_lshl_b64 s[2:3], s[8:9], 3
	s_waitcnt lgkmcnt(0)
	s_add_u32 s0, s22, s2
	s_addc_u32 s1, s23, s3
	s_load_dwordx2 s[8:9], s[0:1], 0x0
	v_cmp_lt_i64_e64 s[0:1], s[12:13], 1
	v_lshl_add_u32 v2, s6, 4, v0
	v_lshl_add_u32 v4, s7, 4, v1
	s_and_b64 vcc, exec, s[0:1]
	v_cmp_gt_i32_e64 s[0:1], s24, v2
	v_ashrrev_i32_e32 v3, 31, v2
	v_ashrrev_i32_e32 v5, 31, v4
	s_cbranch_vccnz .LBB1752_11
; %bb.1:
	s_load_dwordx4 s[4:7], s[4:5], 0x30
	v_lshlrev_b32_e32 v10, 7, v1
	v_lshlrev_b32_e32 v14, 3, v0
	v_add_u32_e32 v15, v14, v10
	v_add_u32_e32 v16, 0x800, v10
	s_waitcnt lgkmcnt(0)
	s_add_u32 s4, s4, s2
	v_mad_u64_u32 v[7:8], s[22:23], s6, v0, 0
	s_addc_u32 s5, s5, s3
	s_add_u32 s2, s16, s2
	s_addc_u32 s3, s17, s3
	s_load_dwordx2 s[16:17], s[2:3], 0x0
	v_mad_u64_u32 v[8:9], s[2:3], s7, v0, v[8:9]
	v_mad_u64_u32 v[11:12], s[2:3], s18, v1, 0
	v_lshlrev_b64 v[7:8], 3, v[7:8]
	v_lshlrev_b64 v[9:10], 3, v[4:5]
	s_load_dwordx2 s[4:5], s[4:5], 0x0
	v_add_co_u32_e64 v9, s[2:3], v7, v9
	v_mov_b32_e32 v7, v12
	v_addc_co_u32_e64 v10, s[2:3], v8, v10, s[2:3]
	v_mad_u64_u32 v[7:8], s[2:3], s19, v1, v[7:8]
	s_waitcnt lgkmcnt(0)
	v_mov_b32_e32 v13, s5
	v_add_co_u32_e64 v8, s[2:3], s4, v9
	v_mov_b32_e32 v12, v7
	v_addc_co_u32_e64 v9, s[2:3], v13, v10, s[2:3]
	v_lshlrev_b64 v[10:11], 3, v[11:12]
	v_lshlrev_b64 v[12:13], 3, v[2:3]
	v_cmp_gt_i32_e32 vcc, s24, v4
	v_add_co_u32_e64 v7, s[2:3], v10, v12
	v_addc_co_u32_e64 v11, s[2:3], v11, v13, s[2:3]
	v_mov_b32_e32 v12, s17
	v_add_co_u32_e64 v10, s[2:3], s16, v7
	v_addc_co_u32_e64 v11, s[2:3], v12, v11, s[2:3]
	s_lshl_b64 s[4:5], s[6:7], 7
	s_lshl_b64 s[2:3], s[18:19], 7
	v_mov_b32_e32 v12, s12
	v_mov_b32_e32 v6, 0
	v_add_u32_e32 v17, v16, v14
	s_mov_b64 s[6:7], 0
	s_xor_b64 s[16:17], s[0:1], -1
	s_xor_b64 s[18:19], vcc, -1
	v_mov_b32_e32 v20, s5
	v_mov_b32_e32 v21, s3
	v_mov_b32_e32 v18, 0
	v_mov_b32_e32 v19, 0
	v_mov_b32_e32 v13, s13
	s_branch .LBB1752_3
.LBB1752_2:                             ;   in Loop: Header=BB1752_3 Depth=1
	s_or_b64 exec, exec, s[0:1]
	ds_write_b32 v17, v7 offset:4
	s_waitcnt lgkmcnt(0)
	s_barrier
	ds_read2_b64 v[22:25], v14 offset1:16
	ds_read_b128 v[26:29], v16
	ds_read_b128 v[30:33], v16 offset:16
	ds_read2_b64 v[34:37], v14 offset0:32 offset1:48
	s_add_u32 s6, s6, 16
	v_add_co_u32_e32 v8, vcc, s4, v8
	s_waitcnt lgkmcnt(2)
	v_mul_f32_e32 v7, v27, v23
	v_mul_f32_e32 v38, v26, v23
	v_fma_f32 v7, v26, v22, -v7
	v_fmac_f32_e32 v38, v27, v22
	v_mul_f32_e32 v22, v29, v25
	v_fma_f32 v39, v28, v24, -v22
	v_mul_f32_e32 v40, v28, v25
	s_waitcnt lgkmcnt(0)
	v_mul_f32_e32 v22, v31, v35
	v_fmac_f32_e32 v40, v29, v24
	v_fma_f32 v41, v30, v34, -v22
	ds_read2_b64 v[22:25], v14 offset0:64 offset1:80
	ds_read_b128 v[26:29], v16 offset:32
	v_mul_f32_e32 v42, v30, v35
	v_fmac_f32_e32 v42, v31, v34
	v_mul_f32_e32 v30, v33, v37
	v_mul_f32_e32 v44, v32, v37
	s_waitcnt lgkmcnt(0)
	v_mul_f32_e32 v34, v27, v23
	v_fma_f32 v43, v32, v36, -v30
	v_fmac_f32_e32 v44, v33, v36
	ds_read_b128 v[30:33], v16 offset:48
	v_fma_f32 v45, v26, v22, -v34
	ds_read2_b64 v[34:37], v14 offset0:96 offset1:112
	v_mul_f32_e32 v46, v26, v23
	v_fmac_f32_e32 v46, v27, v22
	v_mul_f32_e32 v22, v29, v25
	v_fma_f32 v47, v28, v24, -v22
	v_mul_f32_e32 v48, v28, v25
	s_waitcnt lgkmcnt(0)
	v_mul_f32_e32 v22, v31, v35
	v_fmac_f32_e32 v48, v29, v24
	v_fma_f32 v49, v30, v34, -v22
	ds_read2_b64 v[22:25], v14 offset0:128 offset1:144
	ds_read_b128 v[26:29], v16 offset:64
	v_mul_f32_e32 v50, v30, v35
	v_fmac_f32_e32 v50, v31, v34
	v_mul_f32_e32 v30, v33, v37
	v_mul_f32_e32 v52, v32, v37
	s_waitcnt lgkmcnt(0)
	v_mul_f32_e32 v34, v27, v23
	v_fma_f32 v51, v32, v36, -v30
	v_fmac_f32_e32 v52, v33, v36
	ds_read_b128 v[30:33], v16 offset:80
	v_fma_f32 v53, v26, v22, -v34
	ds_read2_b64 v[34:37], v14 offset0:160 offset1:176
	v_mul_f32_e32 v54, v26, v23
	v_fmac_f32_e32 v54, v27, v22
	v_mul_f32_e32 v22, v29, v25
	v_fma_f32 v55, v28, v24, -v22
	v_mul_f32_e32 v56, v28, v25
	s_waitcnt lgkmcnt(0)
	v_mul_f32_e32 v22, v31, v35
	v_add_f32_e32 v7, v19, v7
	v_add_f32_e32 v18, v18, v38
	v_fmac_f32_e32 v56, v29, v24
	v_fma_f32 v57, v30, v34, -v22
	ds_read2_b64 v[22:25], v14 offset0:192 offset1:208
	ds_read_b128 v[26:29], v16 offset:96
	v_add_f32_e32 v7, v7, v39
	v_add_f32_e32 v18, v18, v40
	;; [unrolled: 1-line block ×8, first 2 shown]
	v_mul_f32_e32 v58, v30, v35
	v_add_f32_e32 v7, v7, v47
	v_add_f32_e32 v18, v18, v48
	v_fmac_f32_e32 v58, v31, v34
	v_mul_f32_e32 v30, v33, v37
	v_mul_f32_e32 v60, v32, v37
	s_waitcnt lgkmcnt(0)
	v_mul_f32_e32 v34, v27, v23
	v_add_f32_e32 v7, v7, v49
	v_add_f32_e32 v18, v18, v50
	v_fma_f32 v59, v32, v36, -v30
	v_fmac_f32_e32 v60, v33, v36
	ds_read_b128 v[30:33], v16 offset:112
	v_fma_f32 v61, v26, v22, -v34
	ds_read2_b64 v[34:37], v14 offset0:224 offset1:240
	v_add_f32_e32 v7, v7, v51
	v_add_f32_e32 v18, v18, v52
	v_add_f32_e32 v7, v7, v53
	v_add_f32_e32 v18, v18, v54
	v_add_f32_e32 v7, v7, v55
	v_add_f32_e32 v18, v18, v56
	v_mul_f32_e32 v23, v26, v23
	v_add_f32_e32 v7, v7, v57
	v_add_f32_e32 v18, v18, v58
	v_fmac_f32_e32 v23, v27, v22
	v_mul_f32_e32 v22, v29, v25
	v_mul_f32_e32 v25, v28, v25
	v_add_f32_e32 v7, v7, v59
	v_add_f32_e32 v18, v18, v60
	v_fma_f32 v22, v28, v24, -v22
	v_fmac_f32_e32 v25, v29, v24
	s_waitcnt lgkmcnt(0)
	v_mul_f32_e32 v24, v31, v35
	v_mul_f32_e32 v26, v30, v35
	v_add_f32_e32 v7, v7, v61
	v_add_f32_e32 v18, v18, v23
	s_addc_u32 s7, s7, 0
	v_addc_co_u32_e32 v9, vcc, v9, v20, vcc
	v_fma_f32 v24, v30, v34, -v24
	v_fmac_f32_e32 v26, v31, v34
	v_mul_f32_e32 v27, v33, v37
	v_mul_f32_e32 v28, v32, v37
	v_add_f32_e32 v7, v7, v22
	v_add_f32_e32 v18, v18, v25
	v_cmp_ge_i64_e32 vcc, s[6:7], v[12:13]
	v_fma_f32 v27, v32, v36, -v27
	v_fmac_f32_e32 v28, v33, v36
	v_add_f32_e32 v7, v7, v24
	v_add_f32_e32 v18, v18, v26
	v_add_co_u32_e64 v10, s[0:1], s2, v10
	v_add_f32_e32 v19, v7, v27
	v_add_f32_e32 v18, v18, v28
	v_addc_co_u32_e64 v11, s[0:1], v11, v21, s[0:1]
	s_barrier
	s_cbranch_vccnz .LBB1752_12
.LBB1752_3:                             ; =>This Inner Loop Header: Depth=1
	v_mov_b32_e32 v7, s7
	v_add_co_u32_e32 v22, vcc, s6, v1
	v_addc_co_u32_e32 v23, vcc, 0, v7, vcc
	v_cmp_le_i64_e32 vcc, s[12:13], v[22:23]
	s_or_b64 s[0:1], s[16:17], vcc
	s_and_saveexec_b64 s[22:23], s[0:1]
	s_xor_b64 s[0:1], exec, s[22:23]
; %bb.4:                                ;   in Loop: Header=BB1752_3 Depth=1
	v_mov_b32_e32 v7, v6
	ds_write_b64 v15, v[6:7]
; %bb.5:                                ;   in Loop: Header=BB1752_3 Depth=1
	s_andn2_saveexec_b64 s[0:1], s[0:1]
	s_cbranch_execz .LBB1752_7
; %bb.6:                                ;   in Loop: Header=BB1752_3 Depth=1
	flat_load_dwordx2 v[22:23], v[10:11]
	s_waitcnt vmcnt(0) lgkmcnt(0)
	ds_write_b64 v15, v[22:23]
.LBB1752_7:                             ;   in Loop: Header=BB1752_3 Depth=1
	s_or_b64 exec, exec, s[0:1]
	v_mov_b32_e32 v7, s7
	v_add_co_u32_e32 v22, vcc, s6, v0
	v_addc_co_u32_e32 v23, vcc, 0, v7, vcc
	v_cmp_le_i64_e32 vcc, s[12:13], v[22:23]
	s_or_b64 s[0:1], s[18:19], vcc
	s_and_saveexec_b64 s[22:23], s[0:1]
	s_xor_b64 s[0:1], exec, s[22:23]
; %bb.8:                                ;   in Loop: Header=BB1752_3 Depth=1
	ds_write_b32 v17, v6
; %bb.9:                                ;   in Loop: Header=BB1752_3 Depth=1
	s_or_saveexec_b64 s[0:1], s[0:1]
	v_mov_b32_e32 v7, 0
	s_xor_b64 exec, exec, s[0:1]
	s_cbranch_execz .LBB1752_2
; %bb.10:                               ;   in Loop: Header=BB1752_3 Depth=1
	flat_load_dwordx2 v[22:23], v[8:9]
	s_waitcnt vmcnt(0) lgkmcnt(0)
	v_xor_b32_e32 v7, 0x80000000, v23
	ds_write_b32 v17, v22
	s_branch .LBB1752_2
.LBB1752_11:
	v_mov_b32_e32 v18, 0
	v_mov_b32_e32 v19, 0
.LBB1752_12:
	v_cmp_le_i32_e32 vcc, v4, v2
	v_cmp_gt_i32_e64 s[0:1], s24, v2
	s_and_b64 s[0:1], vcc, s[0:1]
	s_and_saveexec_b64 s[2:3], s[0:1]
	s_cbranch_execz .LBB1752_15
; %bb.13:
	v_mul_lo_u32 v6, s11, v4
	v_mul_lo_u32 v5, s10, v5
	v_mad_u64_u32 v[0:1], s[0:1], s10, v4, 0
	v_mul_f32_e32 v7, s14, v18
	v_fmac_f32_e32 v7, s15, v19
	v_add3_u32 v1, v1, v5, v6
	v_lshlrev_b64 v[0:1], 3, v[0:1]
	s_waitcnt lgkmcnt(0)
	v_mov_b32_e32 v5, s9
	v_add_co_u32_e32 v6, vcc, s8, v0
	v_addc_co_u32_e32 v5, vcc, v5, v1, vcc
	v_lshlrev_b64 v[0:1], 3, v[2:3]
	v_mul_f32_e32 v3, s15, v18
	v_add_co_u32_e32 v0, vcc, v6, v0
	v_addc_co_u32_e32 v1, vcc, v5, v1, vcc
	flat_load_dwordx2 v[5:6], v[0:1]
	v_fma_f32 v3, v19, s14, -v3
	v_cmp_eq_u32_e32 vcc, v2, v4
	s_waitcnt vmcnt(0) lgkmcnt(0)
	v_mul_f32_e32 v8, s21, v6
	v_mul_f32_e32 v6, s20, v6
	v_fma_f32 v8, v5, s20, -v8
	v_fmac_f32_e32 v6, s21, v5
	v_add_f32_e32 v5, v3, v8
	v_add_f32_e32 v6, v7, v6
	flat_store_dwordx2 v[0:1], v[5:6]
	s_and_b64 exec, exec, vcc
	s_cbranch_execz .LBB1752_15
; %bb.14:
	v_mov_b32_e32 v2, 0
	flat_store_dword v[0:1], v2 offset:4
.LBB1752_15:
	s_endpgm
	.section	.rodata,"a",@progbits
	.p2align	6, 0x0
	.amdhsa_kernel _ZL32rocblas_syrkx_herkx_small_kernelIl19rocblas_complex_numIfELi16ELb0ELb1ELc78ELc76EKPKS1_KPS1_EviT_T0_PT6_S7_lSA_S7_lS8_PT7_S7_li
		.amdhsa_group_segment_fixed_size 4096
		.amdhsa_private_segment_fixed_size 0
		.amdhsa_kernarg_size 108
		.amdhsa_user_sgpr_count 6
		.amdhsa_user_sgpr_private_segment_buffer 1
		.amdhsa_user_sgpr_dispatch_ptr 0
		.amdhsa_user_sgpr_queue_ptr 0
		.amdhsa_user_sgpr_kernarg_segment_ptr 1
		.amdhsa_user_sgpr_dispatch_id 0
		.amdhsa_user_sgpr_flat_scratch_init 0
		.amdhsa_user_sgpr_private_segment_size 0
		.amdhsa_uses_dynamic_stack 0
		.amdhsa_system_sgpr_private_segment_wavefront_offset 0
		.amdhsa_system_sgpr_workgroup_id_x 1
		.amdhsa_system_sgpr_workgroup_id_y 1
		.amdhsa_system_sgpr_workgroup_id_z 1
		.amdhsa_system_sgpr_workgroup_info 0
		.amdhsa_system_vgpr_workitem_id 1
		.amdhsa_next_free_vgpr 62
		.amdhsa_next_free_sgpr 25
		.amdhsa_reserve_vcc 1
		.amdhsa_reserve_flat_scratch 0
		.amdhsa_float_round_mode_32 0
		.amdhsa_float_round_mode_16_64 0
		.amdhsa_float_denorm_mode_32 3
		.amdhsa_float_denorm_mode_16_64 3
		.amdhsa_dx10_clamp 1
		.amdhsa_ieee_mode 1
		.amdhsa_fp16_overflow 0
		.amdhsa_exception_fp_ieee_invalid_op 0
		.amdhsa_exception_fp_denorm_src 0
		.amdhsa_exception_fp_ieee_div_zero 0
		.amdhsa_exception_fp_ieee_overflow 0
		.amdhsa_exception_fp_ieee_underflow 0
		.amdhsa_exception_fp_ieee_inexact 0
		.amdhsa_exception_int_div_zero 0
	.end_amdhsa_kernel
	.section	.text._ZL32rocblas_syrkx_herkx_small_kernelIl19rocblas_complex_numIfELi16ELb0ELb1ELc78ELc76EKPKS1_KPS1_EviT_T0_PT6_S7_lSA_S7_lS8_PT7_S7_li,"axG",@progbits,_ZL32rocblas_syrkx_herkx_small_kernelIl19rocblas_complex_numIfELi16ELb0ELb1ELc78ELc76EKPKS1_KPS1_EviT_T0_PT6_S7_lSA_S7_lS8_PT7_S7_li,comdat
.Lfunc_end1752:
	.size	_ZL32rocblas_syrkx_herkx_small_kernelIl19rocblas_complex_numIfELi16ELb0ELb1ELc78ELc76EKPKS1_KPS1_EviT_T0_PT6_S7_lSA_S7_lS8_PT7_S7_li, .Lfunc_end1752-_ZL32rocblas_syrkx_herkx_small_kernelIl19rocblas_complex_numIfELi16ELb0ELb1ELc78ELc76EKPKS1_KPS1_EviT_T0_PT6_S7_lSA_S7_lS8_PT7_S7_li
                                        ; -- End function
	.set _ZL32rocblas_syrkx_herkx_small_kernelIl19rocblas_complex_numIfELi16ELb0ELb1ELc78ELc76EKPKS1_KPS1_EviT_T0_PT6_S7_lSA_S7_lS8_PT7_S7_li.num_vgpr, 62
	.set _ZL32rocblas_syrkx_herkx_small_kernelIl19rocblas_complex_numIfELi16ELb0ELb1ELc78ELc76EKPKS1_KPS1_EviT_T0_PT6_S7_lSA_S7_lS8_PT7_S7_li.num_agpr, 0
	.set _ZL32rocblas_syrkx_herkx_small_kernelIl19rocblas_complex_numIfELi16ELb0ELb1ELc78ELc76EKPKS1_KPS1_EviT_T0_PT6_S7_lSA_S7_lS8_PT7_S7_li.numbered_sgpr, 25
	.set _ZL32rocblas_syrkx_herkx_small_kernelIl19rocblas_complex_numIfELi16ELb0ELb1ELc78ELc76EKPKS1_KPS1_EviT_T0_PT6_S7_lSA_S7_lS8_PT7_S7_li.num_named_barrier, 0
	.set _ZL32rocblas_syrkx_herkx_small_kernelIl19rocblas_complex_numIfELi16ELb0ELb1ELc78ELc76EKPKS1_KPS1_EviT_T0_PT6_S7_lSA_S7_lS8_PT7_S7_li.private_seg_size, 0
	.set _ZL32rocblas_syrkx_herkx_small_kernelIl19rocblas_complex_numIfELi16ELb0ELb1ELc78ELc76EKPKS1_KPS1_EviT_T0_PT6_S7_lSA_S7_lS8_PT7_S7_li.uses_vcc, 1
	.set _ZL32rocblas_syrkx_herkx_small_kernelIl19rocblas_complex_numIfELi16ELb0ELb1ELc78ELc76EKPKS1_KPS1_EviT_T0_PT6_S7_lSA_S7_lS8_PT7_S7_li.uses_flat_scratch, 0
	.set _ZL32rocblas_syrkx_herkx_small_kernelIl19rocblas_complex_numIfELi16ELb0ELb1ELc78ELc76EKPKS1_KPS1_EviT_T0_PT6_S7_lSA_S7_lS8_PT7_S7_li.has_dyn_sized_stack, 0
	.set _ZL32rocblas_syrkx_herkx_small_kernelIl19rocblas_complex_numIfELi16ELb0ELb1ELc78ELc76EKPKS1_KPS1_EviT_T0_PT6_S7_lSA_S7_lS8_PT7_S7_li.has_recursion, 0
	.set _ZL32rocblas_syrkx_herkx_small_kernelIl19rocblas_complex_numIfELi16ELb0ELb1ELc78ELc76EKPKS1_KPS1_EviT_T0_PT6_S7_lSA_S7_lS8_PT7_S7_li.has_indirect_call, 0
	.section	.AMDGPU.csdata,"",@progbits
; Kernel info:
; codeLenInByte = 1408
; TotalNumSgprs: 29
; NumVgprs: 62
; ScratchSize: 0
; MemoryBound: 1
; FloatMode: 240
; IeeeMode: 1
; LDSByteSize: 4096 bytes/workgroup (compile time only)
; SGPRBlocks: 3
; VGPRBlocks: 15
; NumSGPRsForWavesPerEU: 29
; NumVGPRsForWavesPerEU: 62
; Occupancy: 4
; WaveLimiterHint : 1
; COMPUTE_PGM_RSRC2:SCRATCH_EN: 0
; COMPUTE_PGM_RSRC2:USER_SGPR: 6
; COMPUTE_PGM_RSRC2:TRAP_HANDLER: 0
; COMPUTE_PGM_RSRC2:TGID_X_EN: 1
; COMPUTE_PGM_RSRC2:TGID_Y_EN: 1
; COMPUTE_PGM_RSRC2:TGID_Z_EN: 1
; COMPUTE_PGM_RSRC2:TIDIG_COMP_CNT: 1
	.section	.text._ZL32rocblas_syrkx_herkx_small_kernelIl19rocblas_complex_numIfELi16ELb0ELb1ELc84ELc85EKPKS1_KPS1_EviT_T0_PT6_S7_lSA_S7_lS8_PT7_S7_li,"axG",@progbits,_ZL32rocblas_syrkx_herkx_small_kernelIl19rocblas_complex_numIfELi16ELb0ELb1ELc84ELc85EKPKS1_KPS1_EviT_T0_PT6_S7_lSA_S7_lS8_PT7_S7_li,comdat
	.globl	_ZL32rocblas_syrkx_herkx_small_kernelIl19rocblas_complex_numIfELi16ELb0ELb1ELc84ELc85EKPKS1_KPS1_EviT_T0_PT6_S7_lSA_S7_lS8_PT7_S7_li ; -- Begin function _ZL32rocblas_syrkx_herkx_small_kernelIl19rocblas_complex_numIfELi16ELb0ELb1ELc84ELc85EKPKS1_KPS1_EviT_T0_PT6_S7_lSA_S7_lS8_PT7_S7_li
	.p2align	8
	.type	_ZL32rocblas_syrkx_herkx_small_kernelIl19rocblas_complex_numIfELi16ELb0ELb1ELc84ELc85EKPKS1_KPS1_EviT_T0_PT6_S7_lSA_S7_lS8_PT7_S7_li,@function
_ZL32rocblas_syrkx_herkx_small_kernelIl19rocblas_complex_numIfELi16ELb0ELb1ELc84ELc85EKPKS1_KPS1_EviT_T0_PT6_S7_lSA_S7_lS8_PT7_S7_li: ; @_ZL32rocblas_syrkx_herkx_small_kernelIl19rocblas_complex_numIfELi16ELb0ELb1ELc84ELc85EKPKS1_KPS1_EviT_T0_PT6_S7_lSA_S7_lS8_PT7_S7_li
; %bb.0:
	s_load_dwordx2 s[10:11], s[4:5], 0x58
	s_load_dwordx4 s[20:23], s[4:5], 0x48
	s_load_dword s24, s[4:5], 0x0
	s_load_dwordx8 s[12:19], s[4:5], 0x8
	s_mov_b32 s9, 0
	s_lshl_b64 s[2:3], s[8:9], 3
	s_waitcnt lgkmcnt(0)
	s_add_u32 s0, s22, s2
	s_addc_u32 s1, s23, s3
	s_load_dwordx2 s[8:9], s[0:1], 0x0
	v_cmp_lt_i64_e64 s[0:1], s[12:13], 1
	v_lshl_add_u32 v2, s6, 4, v0
	v_lshl_add_u32 v12, s7, 4, v1
	s_and_b64 vcc, exec, s[0:1]
	v_ashrrev_i32_e32 v3, 31, v2
	v_cmp_gt_i32_e64 s[0:1], s24, v12
	v_ashrrev_i32_e32 v13, 31, v12
	s_cbranch_vccnz .LBB1753_11
; %bb.1:
	s_load_dwordx4 s[4:7], s[4:5], 0x30
	v_lshlrev_b32_e32 v14, 3, v0
	v_lshlrev_b32_e32 v7, 7, v1
	v_add_u32_e32 v15, v14, v7
	v_add_u32_e32 v16, 0x800, v7
	s_waitcnt lgkmcnt(0)
	s_add_u32 s4, s4, s2
	s_addc_u32 s5, s5, s3
	s_add_u32 s2, s16, s2
	s_addc_u32 s3, s17, s3
	s_load_dwordx2 s[16:17], s[2:3], 0x0
	v_mul_lo_u32 v8, s7, v12
	v_mul_lo_u32 v9, s6, v13
	v_mad_u64_u32 v[5:6], s[2:3], s6, v12, 0
	s_load_dwordx2 s[4:5], s[4:5], 0x0
	v_mul_lo_u32 v11, s19, v2
	v_add3_u32 v6, v6, v9, v8
	v_lshlrev_b64 v[5:6], 3, v[5:6]
	v_mul_lo_u32 v18, s18, v3
	v_add_co_u32_e64 v5, s[2:3], v5, v14
	v_addc_co_u32_e64 v7, s[2:3], 0, v6, s[2:3]
	v_mad_u64_u32 v[8:9], s[2:3], s18, v2, 0
	s_waitcnt lgkmcnt(0)
	v_mov_b32_e32 v10, s5
	v_add_co_u32_e64 v6, s[2:3], s4, v5
	v_add3_u32 v9, v9, v18, v11
	v_lshlrev_b64 v[8:9], 3, v[8:9]
	v_addc_co_u32_e64 v7, s[2:3], v10, v7, s[2:3]
	v_lshlrev_b32_e32 v5, 3, v1
	v_add_co_u32_e64 v5, s[2:3], v8, v5
	v_addc_co_u32_e64 v9, s[2:3], 0, v9, s[2:3]
	v_mov_b32_e32 v10, s17
	v_add_co_u32_e64 v8, s[2:3], s16, v5
	v_cmp_gt_i32_e32 vcc, s24, v2
	v_addc_co_u32_e64 v9, s[2:3], v10, v9, s[2:3]
	v_mov_b32_e32 v10, s12
	v_mov_b32_e32 v4, 0
	v_add_u32_e32 v17, v16, v14
	s_mov_b64 s[2:3], 0
	s_xor_b64 s[4:5], vcc, -1
	s_xor_b64 s[6:7], s[0:1], -1
	v_mov_b32_e32 v11, s13
	v_mov_b32_e32 v18, 0
	;; [unrolled: 1-line block ×3, first 2 shown]
	s_branch .LBB1753_3
.LBB1753_2:                             ;   in Loop: Header=BB1753_3 Depth=1
	s_or_b64 exec, exec, s[0:1]
	s_waitcnt lgkmcnt(0)
	s_barrier
	ds_read2_b64 v[20:23], v14 offset1:16
	ds_read_b128 v[24:27], v16
	ds_read_b128 v[28:31], v16 offset:16
	ds_read2_b64 v[32:35], v14 offset0:32 offset1:48
	s_add_u32 s2, s2, 16
	v_add_co_u32_e32 v6, vcc, 0x80, v6
	s_waitcnt lgkmcnt(2)
	v_mul_f32_e32 v5, v25, v21
	v_mul_f32_e32 v36, v24, v21
	v_fma_f32 v5, v24, v20, -v5
	v_fmac_f32_e32 v36, v25, v20
	v_mul_f32_e32 v20, v27, v23
	v_fma_f32 v37, v26, v22, -v20
	v_mul_f32_e32 v38, v26, v23
	s_waitcnt lgkmcnt(0)
	v_mul_f32_e32 v20, v29, v33
	v_fmac_f32_e32 v38, v27, v22
	v_fma_f32 v39, v28, v32, -v20
	ds_read2_b64 v[20:23], v14 offset0:64 offset1:80
	ds_read_b128 v[24:27], v16 offset:32
	v_mul_f32_e32 v40, v28, v33
	v_fmac_f32_e32 v40, v29, v32
	v_mul_f32_e32 v28, v31, v35
	v_mul_f32_e32 v42, v30, v35
	s_waitcnt lgkmcnt(0)
	v_mul_f32_e32 v32, v25, v21
	v_fma_f32 v41, v30, v34, -v28
	v_fmac_f32_e32 v42, v31, v34
	ds_read_b128 v[28:31], v16 offset:48
	v_fma_f32 v43, v24, v20, -v32
	ds_read2_b64 v[32:35], v14 offset0:96 offset1:112
	v_mul_f32_e32 v44, v24, v21
	v_fmac_f32_e32 v44, v25, v20
	v_mul_f32_e32 v20, v27, v23
	v_fma_f32 v45, v26, v22, -v20
	v_mul_f32_e32 v46, v26, v23
	s_waitcnt lgkmcnt(0)
	v_mul_f32_e32 v20, v29, v33
	v_fmac_f32_e32 v46, v27, v22
	v_fma_f32 v47, v28, v32, -v20
	ds_read2_b64 v[20:23], v14 offset0:128 offset1:144
	ds_read_b128 v[24:27], v16 offset:64
	v_mul_f32_e32 v48, v28, v33
	v_fmac_f32_e32 v48, v29, v32
	v_mul_f32_e32 v28, v31, v35
	v_mul_f32_e32 v50, v30, v35
	s_waitcnt lgkmcnt(0)
	v_mul_f32_e32 v32, v25, v21
	v_fma_f32 v49, v30, v34, -v28
	v_fmac_f32_e32 v50, v31, v34
	ds_read_b128 v[28:31], v16 offset:80
	v_fma_f32 v51, v24, v20, -v32
	ds_read2_b64 v[32:35], v14 offset0:160 offset1:176
	v_mul_f32_e32 v52, v24, v21
	v_add_f32_e32 v18, v18, v36
	v_fmac_f32_e32 v52, v25, v20
	v_mul_f32_e32 v20, v27, v23
	v_add_f32_e32 v18, v18, v38
	v_fma_f32 v53, v26, v22, -v20
	v_mul_f32_e32 v54, v26, v23
	s_waitcnt lgkmcnt(0)
	v_mul_f32_e32 v20, v29, v33
	v_add_f32_e32 v18, v18, v40
	v_fmac_f32_e32 v54, v27, v22
	v_fma_f32 v55, v28, v32, -v20
	ds_read2_b64 v[20:23], v14 offset0:192 offset1:208
	ds_read_b128 v[24:27], v16 offset:96
	v_add_f32_e32 v18, v18, v42
	v_add_f32_e32 v18, v18, v44
	;; [unrolled: 1-line block ×6, first 2 shown]
	v_mul_f32_e32 v33, v28, v33
	v_mul_f32_e32 v28, v31, v35
	;; [unrolled: 1-line block ×3, first 2 shown]
	v_add_f32_e32 v5, v5, v39
	v_add_f32_e32 v18, v18, v50
	v_fmac_f32_e32 v33, v29, v32
	v_fma_f32 v32, v30, v34, -v28
	v_fmac_f32_e32 v35, v31, v34
	s_waitcnt lgkmcnt(0)
	v_mul_f32_e32 v34, v25, v21
	v_add_f32_e32 v5, v5, v41
	v_add_f32_e32 v18, v18, v52
	v_fma_f32 v34, v24, v20, -v34
	v_mul_f32_e32 v24, v24, v21
	v_add_f32_e32 v5, v5, v43
	v_add_f32_e32 v18, v18, v54
	v_fmac_f32_e32 v24, v25, v20
	v_mul_f32_e32 v20, v27, v23
	v_mul_f32_e32 v23, v26, v23
	v_add_f32_e32 v5, v5, v45
	v_add_f32_e32 v18, v18, v33
	ds_read_b128 v[28:31], v16 offset:112
	v_fma_f32 v25, v26, v22, -v20
	v_fmac_f32_e32 v23, v27, v22
	v_add_f32_e32 v5, v5, v47
	v_add_f32_e32 v22, v18, v35
	ds_read2_b64 v[18:21], v14 offset0:224 offset1:240
	v_add_f32_e32 v5, v5, v49
	v_add_f32_e32 v5, v5, v51
	;; [unrolled: 1-line block ×7, first 2 shown]
	s_waitcnt lgkmcnt(0)
	v_mul_f32_e32 v23, v29, v19
	v_mul_f32_e32 v19, v28, v19
	v_add_f32_e32 v5, v5, v34
	v_fmac_f32_e32 v19, v29, v18
	s_addc_u32 s3, s3, 0
	v_addc_co_u32_e32 v7, vcc, 0, v7, vcc
	v_add_f32_e32 v5, v5, v25
	v_fma_f32 v23, v28, v18, -v23
	v_add_f32_e32 v18, v22, v19
	v_mul_f32_e32 v19, v31, v21
	v_mul_f32_e32 v21, v30, v21
	v_add_co_u32_e32 v8, vcc, 0x80, v8
	v_cmp_ge_i64_e64 s[0:1], s[2:3], v[10:11]
	v_add_f32_e32 v5, v5, v23
	v_fma_f32 v19, v30, v20, -v19
	v_fmac_f32_e32 v21, v31, v20
	v_addc_co_u32_e32 v9, vcc, 0, v9, vcc
	v_add_f32_e32 v19, v5, v19
	v_add_f32_e32 v18, v18, v21
	s_and_b64 vcc, exec, s[0:1]
	s_barrier
	s_cbranch_vccnz .LBB1753_12
.LBB1753_3:                             ; =>This Inner Loop Header: Depth=1
	v_mov_b32_e32 v5, s3
	v_add_co_u32_e32 v20, vcc, s2, v1
	v_addc_co_u32_e32 v21, vcc, 0, v5, vcc
	v_cmp_le_i64_e32 vcc, s[12:13], v[20:21]
	s_or_b64 s[0:1], s[4:5], vcc
	s_and_saveexec_b64 s[16:17], s[0:1]
	s_xor_b64 s[0:1], exec, s[16:17]
; %bb.4:                                ;   in Loop: Header=BB1753_3 Depth=1
	v_mov_b32_e32 v5, v4
	ds_write_b64 v15, v[4:5]
; %bb.5:                                ;   in Loop: Header=BB1753_3 Depth=1
	s_andn2_saveexec_b64 s[0:1], s[0:1]
	s_cbranch_execz .LBB1753_7
; %bb.6:                                ;   in Loop: Header=BB1753_3 Depth=1
	flat_load_dwordx2 v[20:21], v[8:9]
	s_waitcnt vmcnt(0) lgkmcnt(0)
	ds_write_b64 v15, v[20:21]
.LBB1753_7:                             ;   in Loop: Header=BB1753_3 Depth=1
	s_or_b64 exec, exec, s[0:1]
	v_mov_b32_e32 v5, s3
	v_add_co_u32_e32 v20, vcc, s2, v0
	v_addc_co_u32_e32 v21, vcc, 0, v5, vcc
	v_cmp_le_i64_e32 vcc, s[12:13], v[20:21]
	s_or_b64 s[0:1], s[6:7], vcc
	s_and_saveexec_b64 s[16:17], s[0:1]
	s_xor_b64 s[0:1], exec, s[16:17]
; %bb.8:                                ;   in Loop: Header=BB1753_3 Depth=1
	v_mov_b32_e32 v5, v4
	ds_write_b64 v17, v[4:5]
; %bb.9:                                ;   in Loop: Header=BB1753_3 Depth=1
	s_andn2_saveexec_b64 s[0:1], s[0:1]
	s_cbranch_execz .LBB1753_2
; %bb.10:                               ;   in Loop: Header=BB1753_3 Depth=1
	flat_load_dwordx2 v[20:21], v[6:7]
	s_waitcnt vmcnt(0) lgkmcnt(0)
	ds_write_b64 v17, v[20:21]
	s_branch .LBB1753_2
.LBB1753_11:
	v_mov_b32_e32 v18, 0
	v_mov_b32_e32 v19, 0
.LBB1753_12:
	v_cmp_le_i32_e32 vcc, v2, v12
	v_cmp_gt_i32_e64 s[0:1], s24, v12
	s_and_b64 s[0:1], vcc, s[0:1]
	s_and_saveexec_b64 s[2:3], s[0:1]
	s_cbranch_execz .LBB1753_15
; %bb.13:
	v_mul_lo_u32 v4, s11, v12
	v_mul_lo_u32 v5, s10, v13
	v_mad_u64_u32 v[0:1], s[0:1], s10, v12, 0
	v_mul_f32_e32 v6, s14, v18
	v_fmac_f32_e32 v6, s15, v19
	v_add3_u32 v1, v1, v5, v4
	v_lshlrev_b64 v[0:1], 3, v[0:1]
	s_waitcnt lgkmcnt(0)
	v_mov_b32_e32 v4, s9
	v_add_co_u32_e32 v5, vcc, s8, v0
	v_addc_co_u32_e32 v4, vcc, v4, v1, vcc
	v_lshlrev_b64 v[0:1], 3, v[2:3]
	v_add_co_u32_e32 v0, vcc, v5, v0
	v_addc_co_u32_e32 v1, vcc, v4, v1, vcc
	flat_load_dwordx2 v[3:4], v[0:1]
	v_mul_f32_e32 v5, s15, v18
	v_fma_f32 v5, v19, s14, -v5
	v_cmp_eq_u32_e32 vcc, v2, v12
	s_waitcnt vmcnt(0) lgkmcnt(0)
	v_mul_f32_e32 v7, s21, v4
	v_mul_f32_e32 v4, s20, v4
	v_fma_f32 v7, v3, s20, -v7
	v_fmac_f32_e32 v4, s21, v3
	v_add_f32_e32 v3, v5, v7
	v_add_f32_e32 v4, v6, v4
	flat_store_dwordx2 v[0:1], v[3:4]
	s_and_b64 exec, exec, vcc
	s_cbranch_execz .LBB1753_15
; %bb.14:
	v_mov_b32_e32 v2, 0
	flat_store_dword v[0:1], v2 offset:4
.LBB1753_15:
	s_endpgm
	.section	.rodata,"a",@progbits
	.p2align	6, 0x0
	.amdhsa_kernel _ZL32rocblas_syrkx_herkx_small_kernelIl19rocblas_complex_numIfELi16ELb0ELb1ELc84ELc85EKPKS1_KPS1_EviT_T0_PT6_S7_lSA_S7_lS8_PT7_S7_li
		.amdhsa_group_segment_fixed_size 4096
		.amdhsa_private_segment_fixed_size 0
		.amdhsa_kernarg_size 108
		.amdhsa_user_sgpr_count 6
		.amdhsa_user_sgpr_private_segment_buffer 1
		.amdhsa_user_sgpr_dispatch_ptr 0
		.amdhsa_user_sgpr_queue_ptr 0
		.amdhsa_user_sgpr_kernarg_segment_ptr 1
		.amdhsa_user_sgpr_dispatch_id 0
		.amdhsa_user_sgpr_flat_scratch_init 0
		.amdhsa_user_sgpr_private_segment_size 0
		.amdhsa_uses_dynamic_stack 0
		.amdhsa_system_sgpr_private_segment_wavefront_offset 0
		.amdhsa_system_sgpr_workgroup_id_x 1
		.amdhsa_system_sgpr_workgroup_id_y 1
		.amdhsa_system_sgpr_workgroup_id_z 1
		.amdhsa_system_sgpr_workgroup_info 0
		.amdhsa_system_vgpr_workitem_id 1
		.amdhsa_next_free_vgpr 56
		.amdhsa_next_free_sgpr 25
		.amdhsa_reserve_vcc 1
		.amdhsa_reserve_flat_scratch 0
		.amdhsa_float_round_mode_32 0
		.amdhsa_float_round_mode_16_64 0
		.amdhsa_float_denorm_mode_32 3
		.amdhsa_float_denorm_mode_16_64 3
		.amdhsa_dx10_clamp 1
		.amdhsa_ieee_mode 1
		.amdhsa_fp16_overflow 0
		.amdhsa_exception_fp_ieee_invalid_op 0
		.amdhsa_exception_fp_denorm_src 0
		.amdhsa_exception_fp_ieee_div_zero 0
		.amdhsa_exception_fp_ieee_overflow 0
		.amdhsa_exception_fp_ieee_underflow 0
		.amdhsa_exception_fp_ieee_inexact 0
		.amdhsa_exception_int_div_zero 0
	.end_amdhsa_kernel
	.section	.text._ZL32rocblas_syrkx_herkx_small_kernelIl19rocblas_complex_numIfELi16ELb0ELb1ELc84ELc85EKPKS1_KPS1_EviT_T0_PT6_S7_lSA_S7_lS8_PT7_S7_li,"axG",@progbits,_ZL32rocblas_syrkx_herkx_small_kernelIl19rocblas_complex_numIfELi16ELb0ELb1ELc84ELc85EKPKS1_KPS1_EviT_T0_PT6_S7_lSA_S7_lS8_PT7_S7_li,comdat
.Lfunc_end1753:
	.size	_ZL32rocblas_syrkx_herkx_small_kernelIl19rocblas_complex_numIfELi16ELb0ELb1ELc84ELc85EKPKS1_KPS1_EviT_T0_PT6_S7_lSA_S7_lS8_PT7_S7_li, .Lfunc_end1753-_ZL32rocblas_syrkx_herkx_small_kernelIl19rocblas_complex_numIfELi16ELb0ELb1ELc84ELc85EKPKS1_KPS1_EviT_T0_PT6_S7_lSA_S7_lS8_PT7_S7_li
                                        ; -- End function
	.set _ZL32rocblas_syrkx_herkx_small_kernelIl19rocblas_complex_numIfELi16ELb0ELb1ELc84ELc85EKPKS1_KPS1_EviT_T0_PT6_S7_lSA_S7_lS8_PT7_S7_li.num_vgpr, 56
	.set _ZL32rocblas_syrkx_herkx_small_kernelIl19rocblas_complex_numIfELi16ELb0ELb1ELc84ELc85EKPKS1_KPS1_EviT_T0_PT6_S7_lSA_S7_lS8_PT7_S7_li.num_agpr, 0
	.set _ZL32rocblas_syrkx_herkx_small_kernelIl19rocblas_complex_numIfELi16ELb0ELb1ELc84ELc85EKPKS1_KPS1_EviT_T0_PT6_S7_lSA_S7_lS8_PT7_S7_li.numbered_sgpr, 25
	.set _ZL32rocblas_syrkx_herkx_small_kernelIl19rocblas_complex_numIfELi16ELb0ELb1ELc84ELc85EKPKS1_KPS1_EviT_T0_PT6_S7_lSA_S7_lS8_PT7_S7_li.num_named_barrier, 0
	.set _ZL32rocblas_syrkx_herkx_small_kernelIl19rocblas_complex_numIfELi16ELb0ELb1ELc84ELc85EKPKS1_KPS1_EviT_T0_PT6_S7_lSA_S7_lS8_PT7_S7_li.private_seg_size, 0
	.set _ZL32rocblas_syrkx_herkx_small_kernelIl19rocblas_complex_numIfELi16ELb0ELb1ELc84ELc85EKPKS1_KPS1_EviT_T0_PT6_S7_lSA_S7_lS8_PT7_S7_li.uses_vcc, 1
	.set _ZL32rocblas_syrkx_herkx_small_kernelIl19rocblas_complex_numIfELi16ELb0ELb1ELc84ELc85EKPKS1_KPS1_EviT_T0_PT6_S7_lSA_S7_lS8_PT7_S7_li.uses_flat_scratch, 0
	.set _ZL32rocblas_syrkx_herkx_small_kernelIl19rocblas_complex_numIfELi16ELb0ELb1ELc84ELc85EKPKS1_KPS1_EviT_T0_PT6_S7_lSA_S7_lS8_PT7_S7_li.has_dyn_sized_stack, 0
	.set _ZL32rocblas_syrkx_herkx_small_kernelIl19rocblas_complex_numIfELi16ELb0ELb1ELc84ELc85EKPKS1_KPS1_EviT_T0_PT6_S7_lSA_S7_lS8_PT7_S7_li.has_recursion, 0
	.set _ZL32rocblas_syrkx_herkx_small_kernelIl19rocblas_complex_numIfELi16ELb0ELb1ELc84ELc85EKPKS1_KPS1_EviT_T0_PT6_S7_lSA_S7_lS8_PT7_S7_li.has_indirect_call, 0
	.section	.AMDGPU.csdata,"",@progbits
; Kernel info:
; codeLenInByte = 1392
; TotalNumSgprs: 29
; NumVgprs: 56
; ScratchSize: 0
; MemoryBound: 1
; FloatMode: 240
; IeeeMode: 1
; LDSByteSize: 4096 bytes/workgroup (compile time only)
; SGPRBlocks: 3
; VGPRBlocks: 13
; NumSGPRsForWavesPerEU: 29
; NumVGPRsForWavesPerEU: 56
; Occupancy: 4
; WaveLimiterHint : 1
; COMPUTE_PGM_RSRC2:SCRATCH_EN: 0
; COMPUTE_PGM_RSRC2:USER_SGPR: 6
; COMPUTE_PGM_RSRC2:TRAP_HANDLER: 0
; COMPUTE_PGM_RSRC2:TGID_X_EN: 1
; COMPUTE_PGM_RSRC2:TGID_Y_EN: 1
; COMPUTE_PGM_RSRC2:TGID_Z_EN: 1
; COMPUTE_PGM_RSRC2:TIDIG_COMP_CNT: 1
	.section	.text._ZL32rocblas_syrkx_herkx_small_kernelIl19rocblas_complex_numIfELi16ELb0ELb1ELc67ELc85EKPKS1_KPS1_EviT_T0_PT6_S7_lSA_S7_lS8_PT7_S7_li,"axG",@progbits,_ZL32rocblas_syrkx_herkx_small_kernelIl19rocblas_complex_numIfELi16ELb0ELb1ELc67ELc85EKPKS1_KPS1_EviT_T0_PT6_S7_lSA_S7_lS8_PT7_S7_li,comdat
	.globl	_ZL32rocblas_syrkx_herkx_small_kernelIl19rocblas_complex_numIfELi16ELb0ELb1ELc67ELc85EKPKS1_KPS1_EviT_T0_PT6_S7_lSA_S7_lS8_PT7_S7_li ; -- Begin function _ZL32rocblas_syrkx_herkx_small_kernelIl19rocblas_complex_numIfELi16ELb0ELb1ELc67ELc85EKPKS1_KPS1_EviT_T0_PT6_S7_lSA_S7_lS8_PT7_S7_li
	.p2align	8
	.type	_ZL32rocblas_syrkx_herkx_small_kernelIl19rocblas_complex_numIfELi16ELb0ELb1ELc67ELc85EKPKS1_KPS1_EviT_T0_PT6_S7_lSA_S7_lS8_PT7_S7_li,@function
_ZL32rocblas_syrkx_herkx_small_kernelIl19rocblas_complex_numIfELi16ELb0ELb1ELc67ELc85EKPKS1_KPS1_EviT_T0_PT6_S7_lSA_S7_lS8_PT7_S7_li: ; @_ZL32rocblas_syrkx_herkx_small_kernelIl19rocblas_complex_numIfELi16ELb0ELb1ELc67ELc85EKPKS1_KPS1_EviT_T0_PT6_S7_lSA_S7_lS8_PT7_S7_li
; %bb.0:
	s_load_dwordx2 s[10:11], s[4:5], 0x58
	s_load_dwordx4 s[20:23], s[4:5], 0x48
	s_load_dword s24, s[4:5], 0x0
	s_load_dwordx8 s[12:19], s[4:5], 0x8
	s_mov_b32 s9, 0
	s_lshl_b64 s[2:3], s[8:9], 3
	s_waitcnt lgkmcnt(0)
	s_add_u32 s0, s22, s2
	s_addc_u32 s1, s23, s3
	s_load_dwordx2 s[8:9], s[0:1], 0x0
	v_cmp_lt_i64_e64 s[0:1], s[12:13], 1
	v_lshl_add_u32 v2, s6, 4, v0
	v_lshl_add_u32 v12, s7, 4, v1
	s_and_b64 vcc, exec, s[0:1]
	v_ashrrev_i32_e32 v3, 31, v2
	v_cmp_gt_i32_e64 s[0:1], s24, v12
	v_ashrrev_i32_e32 v13, 31, v12
	s_cbranch_vccnz .LBB1754_11
; %bb.1:
	s_load_dwordx4 s[4:7], s[4:5], 0x30
	v_lshlrev_b32_e32 v14, 3, v0
	v_lshlrev_b32_e32 v7, 7, v1
	v_add_u32_e32 v15, v14, v7
	v_add_u32_e32 v16, 0x800, v7
	s_waitcnt lgkmcnt(0)
	s_add_u32 s4, s4, s2
	s_addc_u32 s5, s5, s3
	s_add_u32 s2, s16, s2
	s_addc_u32 s3, s17, s3
	s_load_dwordx2 s[16:17], s[2:3], 0x0
	v_mul_lo_u32 v8, s7, v12
	v_mul_lo_u32 v9, s6, v13
	v_mad_u64_u32 v[5:6], s[2:3], s6, v12, 0
	s_load_dwordx2 s[4:5], s[4:5], 0x0
	v_mul_lo_u32 v11, s19, v2
	v_add3_u32 v6, v6, v9, v8
	v_lshlrev_b64 v[5:6], 3, v[5:6]
	v_mul_lo_u32 v18, s18, v3
	v_add_co_u32_e64 v5, s[2:3], v5, v14
	v_addc_co_u32_e64 v7, s[2:3], 0, v6, s[2:3]
	v_mad_u64_u32 v[8:9], s[2:3], s18, v2, 0
	s_waitcnt lgkmcnt(0)
	v_mov_b32_e32 v10, s5
	v_add_co_u32_e64 v6, s[2:3], s4, v5
	v_add3_u32 v9, v9, v18, v11
	v_lshlrev_b64 v[8:9], 3, v[8:9]
	v_addc_co_u32_e64 v7, s[2:3], v10, v7, s[2:3]
	v_lshlrev_b32_e32 v5, 3, v1
	v_add_co_u32_e64 v5, s[2:3], v8, v5
	v_addc_co_u32_e64 v9, s[2:3], 0, v9, s[2:3]
	v_mov_b32_e32 v10, s17
	v_add_co_u32_e64 v8, s[2:3], s16, v5
	v_cmp_gt_i32_e32 vcc, s24, v2
	v_addc_co_u32_e64 v9, s[2:3], v10, v9, s[2:3]
	v_mov_b32_e32 v10, s12
	v_mov_b32_e32 v4, 0
	v_add_u32_e32 v17, v16, v14
	s_mov_b64 s[2:3], 0
	s_xor_b64 s[4:5], vcc, -1
	s_xor_b64 s[6:7], s[0:1], -1
	v_mov_b32_e32 v11, s13
	v_mov_b32_e32 v18, 0
	;; [unrolled: 1-line block ×3, first 2 shown]
	s_branch .LBB1754_3
.LBB1754_2:                             ;   in Loop: Header=BB1754_3 Depth=1
	s_or_b64 exec, exec, s[0:1]
	s_waitcnt lgkmcnt(0)
	s_barrier
	ds_read2_b64 v[20:23], v14 offset1:16
	ds_read_b128 v[24:27], v16
	ds_read_b128 v[28:31], v16 offset:16
	ds_read2_b64 v[32:35], v14 offset0:32 offset1:48
	s_add_u32 s2, s2, 16
	v_add_co_u32_e32 v6, vcc, 0x80, v6
	s_waitcnt lgkmcnt(2)
	v_mul_f32_e32 v5, v25, v21
	v_mul_f32_e32 v36, v24, v21
	v_fma_f32 v5, v24, v20, -v5
	v_fmac_f32_e32 v36, v25, v20
	v_mul_f32_e32 v20, v27, v23
	v_fma_f32 v37, v26, v22, -v20
	v_mul_f32_e32 v38, v26, v23
	s_waitcnt lgkmcnt(0)
	v_mul_f32_e32 v20, v29, v33
	v_fmac_f32_e32 v38, v27, v22
	v_fma_f32 v39, v28, v32, -v20
	ds_read2_b64 v[20:23], v14 offset0:64 offset1:80
	ds_read_b128 v[24:27], v16 offset:32
	v_mul_f32_e32 v40, v28, v33
	v_fmac_f32_e32 v40, v29, v32
	v_mul_f32_e32 v28, v31, v35
	v_mul_f32_e32 v42, v30, v35
	s_waitcnt lgkmcnt(0)
	v_mul_f32_e32 v32, v25, v21
	v_fma_f32 v41, v30, v34, -v28
	v_fmac_f32_e32 v42, v31, v34
	ds_read_b128 v[28:31], v16 offset:48
	v_fma_f32 v43, v24, v20, -v32
	ds_read2_b64 v[32:35], v14 offset0:96 offset1:112
	v_mul_f32_e32 v44, v24, v21
	v_fmac_f32_e32 v44, v25, v20
	v_mul_f32_e32 v20, v27, v23
	v_fma_f32 v45, v26, v22, -v20
	v_mul_f32_e32 v46, v26, v23
	s_waitcnt lgkmcnt(0)
	v_mul_f32_e32 v20, v29, v33
	v_fmac_f32_e32 v46, v27, v22
	v_fma_f32 v47, v28, v32, -v20
	ds_read2_b64 v[20:23], v14 offset0:128 offset1:144
	ds_read_b128 v[24:27], v16 offset:64
	v_mul_f32_e32 v48, v28, v33
	v_fmac_f32_e32 v48, v29, v32
	v_mul_f32_e32 v28, v31, v35
	v_mul_f32_e32 v50, v30, v35
	s_waitcnt lgkmcnt(0)
	v_mul_f32_e32 v32, v25, v21
	v_fma_f32 v49, v30, v34, -v28
	v_fmac_f32_e32 v50, v31, v34
	ds_read_b128 v[28:31], v16 offset:80
	v_fma_f32 v51, v24, v20, -v32
	ds_read2_b64 v[32:35], v14 offset0:160 offset1:176
	v_mul_f32_e32 v52, v24, v21
	v_add_f32_e32 v18, v18, v36
	v_fmac_f32_e32 v52, v25, v20
	v_mul_f32_e32 v20, v27, v23
	v_add_f32_e32 v18, v18, v38
	v_fma_f32 v53, v26, v22, -v20
	v_mul_f32_e32 v54, v26, v23
	s_waitcnt lgkmcnt(0)
	v_mul_f32_e32 v20, v29, v33
	v_add_f32_e32 v18, v18, v40
	v_fmac_f32_e32 v54, v27, v22
	v_fma_f32 v55, v28, v32, -v20
	ds_read2_b64 v[20:23], v14 offset0:192 offset1:208
	ds_read_b128 v[24:27], v16 offset:96
	v_add_f32_e32 v18, v18, v42
	v_add_f32_e32 v18, v18, v44
	;; [unrolled: 1-line block ×6, first 2 shown]
	v_mul_f32_e32 v33, v28, v33
	v_mul_f32_e32 v28, v31, v35
	;; [unrolled: 1-line block ×3, first 2 shown]
	v_add_f32_e32 v5, v5, v39
	v_add_f32_e32 v18, v18, v50
	v_fmac_f32_e32 v33, v29, v32
	v_fma_f32 v32, v30, v34, -v28
	v_fmac_f32_e32 v35, v31, v34
	s_waitcnt lgkmcnt(0)
	v_mul_f32_e32 v34, v25, v21
	v_add_f32_e32 v5, v5, v41
	v_add_f32_e32 v18, v18, v52
	v_fma_f32 v34, v24, v20, -v34
	v_mul_f32_e32 v24, v24, v21
	v_add_f32_e32 v5, v5, v43
	v_add_f32_e32 v18, v18, v54
	v_fmac_f32_e32 v24, v25, v20
	v_mul_f32_e32 v20, v27, v23
	v_mul_f32_e32 v23, v26, v23
	v_add_f32_e32 v5, v5, v45
	v_add_f32_e32 v18, v18, v33
	ds_read_b128 v[28:31], v16 offset:112
	v_fma_f32 v25, v26, v22, -v20
	v_fmac_f32_e32 v23, v27, v22
	v_add_f32_e32 v5, v5, v47
	v_add_f32_e32 v22, v18, v35
	ds_read2_b64 v[18:21], v14 offset0:224 offset1:240
	v_add_f32_e32 v5, v5, v49
	v_add_f32_e32 v5, v5, v51
	;; [unrolled: 1-line block ×7, first 2 shown]
	s_waitcnt lgkmcnt(0)
	v_mul_f32_e32 v23, v29, v19
	v_mul_f32_e32 v19, v28, v19
	v_add_f32_e32 v5, v5, v34
	v_fmac_f32_e32 v19, v29, v18
	s_addc_u32 s3, s3, 0
	v_addc_co_u32_e32 v7, vcc, 0, v7, vcc
	v_add_f32_e32 v5, v5, v25
	v_fma_f32 v23, v28, v18, -v23
	v_add_f32_e32 v18, v22, v19
	v_mul_f32_e32 v19, v31, v21
	v_mul_f32_e32 v21, v30, v21
	v_add_co_u32_e32 v8, vcc, 0x80, v8
	v_cmp_ge_i64_e64 s[0:1], s[2:3], v[10:11]
	v_add_f32_e32 v5, v5, v23
	v_fma_f32 v19, v30, v20, -v19
	v_fmac_f32_e32 v21, v31, v20
	v_addc_co_u32_e32 v9, vcc, 0, v9, vcc
	v_add_f32_e32 v19, v5, v19
	v_add_f32_e32 v18, v18, v21
	s_and_b64 vcc, exec, s[0:1]
	s_barrier
	s_cbranch_vccnz .LBB1754_12
.LBB1754_3:                             ; =>This Inner Loop Header: Depth=1
	v_mov_b32_e32 v5, s3
	v_add_co_u32_e32 v20, vcc, s2, v1
	v_addc_co_u32_e32 v21, vcc, 0, v5, vcc
	v_cmp_le_i64_e32 vcc, s[12:13], v[20:21]
	s_or_b64 s[0:1], s[4:5], vcc
	s_and_saveexec_b64 s[16:17], s[0:1]
	s_xor_b64 s[0:1], exec, s[16:17]
; %bb.4:                                ;   in Loop: Header=BB1754_3 Depth=1
	ds_write_b32 v15, v4
; %bb.5:                                ;   in Loop: Header=BB1754_3 Depth=1
	s_or_saveexec_b64 s[0:1], s[0:1]
	v_mov_b32_e32 v5, 0
	s_xor_b64 exec, exec, s[0:1]
	s_cbranch_execz .LBB1754_7
; %bb.6:                                ;   in Loop: Header=BB1754_3 Depth=1
	flat_load_dwordx2 v[20:21], v[8:9]
	s_waitcnt vmcnt(0) lgkmcnt(0)
	v_xor_b32_e32 v5, 0x80000000, v21
	ds_write_b32 v15, v20
.LBB1754_7:                             ;   in Loop: Header=BB1754_3 Depth=1
	s_or_b64 exec, exec, s[0:1]
	v_mov_b32_e32 v21, s3
	v_add_co_u32_e32 v20, vcc, s2, v0
	v_addc_co_u32_e32 v21, vcc, 0, v21, vcc
	v_cmp_le_i64_e32 vcc, s[12:13], v[20:21]
	ds_write_b32 v15, v5 offset:4
	s_or_b64 s[0:1], s[6:7], vcc
	s_and_saveexec_b64 s[16:17], s[0:1]
	s_xor_b64 s[0:1], exec, s[16:17]
; %bb.8:                                ;   in Loop: Header=BB1754_3 Depth=1
	v_mov_b32_e32 v5, v4
	ds_write_b64 v17, v[4:5]
; %bb.9:                                ;   in Loop: Header=BB1754_3 Depth=1
	s_andn2_saveexec_b64 s[0:1], s[0:1]
	s_cbranch_execz .LBB1754_2
; %bb.10:                               ;   in Loop: Header=BB1754_3 Depth=1
	flat_load_dwordx2 v[20:21], v[6:7]
	s_waitcnt vmcnt(0) lgkmcnt(0)
	ds_write_b64 v17, v[20:21]
	s_branch .LBB1754_2
.LBB1754_11:
	v_mov_b32_e32 v18, 0
	v_mov_b32_e32 v19, 0
.LBB1754_12:
	v_cmp_le_i32_e32 vcc, v2, v12
	v_cmp_gt_i32_e64 s[0:1], s24, v12
	s_and_b64 s[0:1], vcc, s[0:1]
	s_and_saveexec_b64 s[2:3], s[0:1]
	s_cbranch_execz .LBB1754_15
; %bb.13:
	v_mul_lo_u32 v4, s11, v12
	v_mul_lo_u32 v5, s10, v13
	v_mad_u64_u32 v[0:1], s[0:1], s10, v12, 0
	v_mul_f32_e32 v6, s14, v18
	v_fmac_f32_e32 v6, s15, v19
	v_add3_u32 v1, v1, v5, v4
	v_lshlrev_b64 v[0:1], 3, v[0:1]
	s_waitcnt lgkmcnt(0)
	v_mov_b32_e32 v4, s9
	v_add_co_u32_e32 v5, vcc, s8, v0
	v_addc_co_u32_e32 v4, vcc, v4, v1, vcc
	v_lshlrev_b64 v[0:1], 3, v[2:3]
	v_add_co_u32_e32 v0, vcc, v5, v0
	v_addc_co_u32_e32 v1, vcc, v4, v1, vcc
	flat_load_dwordx2 v[3:4], v[0:1]
	v_mul_f32_e32 v5, s15, v18
	v_fma_f32 v5, v19, s14, -v5
	v_cmp_eq_u32_e32 vcc, v2, v12
	s_waitcnt vmcnt(0) lgkmcnt(0)
	v_mul_f32_e32 v7, s21, v4
	v_mul_f32_e32 v4, s20, v4
	v_fma_f32 v7, v3, s20, -v7
	v_fmac_f32_e32 v4, s21, v3
	v_add_f32_e32 v3, v5, v7
	v_add_f32_e32 v4, v6, v4
	flat_store_dwordx2 v[0:1], v[3:4]
	s_and_b64 exec, exec, vcc
	s_cbranch_execz .LBB1754_15
; %bb.14:
	v_mov_b32_e32 v2, 0
	flat_store_dword v[0:1], v2 offset:4
.LBB1754_15:
	s_endpgm
	.section	.rodata,"a",@progbits
	.p2align	6, 0x0
	.amdhsa_kernel _ZL32rocblas_syrkx_herkx_small_kernelIl19rocblas_complex_numIfELi16ELb0ELb1ELc67ELc85EKPKS1_KPS1_EviT_T0_PT6_S7_lSA_S7_lS8_PT7_S7_li
		.amdhsa_group_segment_fixed_size 4096
		.amdhsa_private_segment_fixed_size 0
		.amdhsa_kernarg_size 108
		.amdhsa_user_sgpr_count 6
		.amdhsa_user_sgpr_private_segment_buffer 1
		.amdhsa_user_sgpr_dispatch_ptr 0
		.amdhsa_user_sgpr_queue_ptr 0
		.amdhsa_user_sgpr_kernarg_segment_ptr 1
		.amdhsa_user_sgpr_dispatch_id 0
		.amdhsa_user_sgpr_flat_scratch_init 0
		.amdhsa_user_sgpr_private_segment_size 0
		.amdhsa_uses_dynamic_stack 0
		.amdhsa_system_sgpr_private_segment_wavefront_offset 0
		.amdhsa_system_sgpr_workgroup_id_x 1
		.amdhsa_system_sgpr_workgroup_id_y 1
		.amdhsa_system_sgpr_workgroup_id_z 1
		.amdhsa_system_sgpr_workgroup_info 0
		.amdhsa_system_vgpr_workitem_id 1
		.amdhsa_next_free_vgpr 56
		.amdhsa_next_free_sgpr 25
		.amdhsa_reserve_vcc 1
		.amdhsa_reserve_flat_scratch 0
		.amdhsa_float_round_mode_32 0
		.amdhsa_float_round_mode_16_64 0
		.amdhsa_float_denorm_mode_32 3
		.amdhsa_float_denorm_mode_16_64 3
		.amdhsa_dx10_clamp 1
		.amdhsa_ieee_mode 1
		.amdhsa_fp16_overflow 0
		.amdhsa_exception_fp_ieee_invalid_op 0
		.amdhsa_exception_fp_denorm_src 0
		.amdhsa_exception_fp_ieee_div_zero 0
		.amdhsa_exception_fp_ieee_overflow 0
		.amdhsa_exception_fp_ieee_underflow 0
		.amdhsa_exception_fp_ieee_inexact 0
		.amdhsa_exception_int_div_zero 0
	.end_amdhsa_kernel
	.section	.text._ZL32rocblas_syrkx_herkx_small_kernelIl19rocblas_complex_numIfELi16ELb0ELb1ELc67ELc85EKPKS1_KPS1_EviT_T0_PT6_S7_lSA_S7_lS8_PT7_S7_li,"axG",@progbits,_ZL32rocblas_syrkx_herkx_small_kernelIl19rocblas_complex_numIfELi16ELb0ELb1ELc67ELc85EKPKS1_KPS1_EviT_T0_PT6_S7_lSA_S7_lS8_PT7_S7_li,comdat
.Lfunc_end1754:
	.size	_ZL32rocblas_syrkx_herkx_small_kernelIl19rocblas_complex_numIfELi16ELb0ELb1ELc67ELc85EKPKS1_KPS1_EviT_T0_PT6_S7_lSA_S7_lS8_PT7_S7_li, .Lfunc_end1754-_ZL32rocblas_syrkx_herkx_small_kernelIl19rocblas_complex_numIfELi16ELb0ELb1ELc67ELc85EKPKS1_KPS1_EviT_T0_PT6_S7_lSA_S7_lS8_PT7_S7_li
                                        ; -- End function
	.set _ZL32rocblas_syrkx_herkx_small_kernelIl19rocblas_complex_numIfELi16ELb0ELb1ELc67ELc85EKPKS1_KPS1_EviT_T0_PT6_S7_lSA_S7_lS8_PT7_S7_li.num_vgpr, 56
	.set _ZL32rocblas_syrkx_herkx_small_kernelIl19rocblas_complex_numIfELi16ELb0ELb1ELc67ELc85EKPKS1_KPS1_EviT_T0_PT6_S7_lSA_S7_lS8_PT7_S7_li.num_agpr, 0
	.set _ZL32rocblas_syrkx_herkx_small_kernelIl19rocblas_complex_numIfELi16ELb0ELb1ELc67ELc85EKPKS1_KPS1_EviT_T0_PT6_S7_lSA_S7_lS8_PT7_S7_li.numbered_sgpr, 25
	.set _ZL32rocblas_syrkx_herkx_small_kernelIl19rocblas_complex_numIfELi16ELb0ELb1ELc67ELc85EKPKS1_KPS1_EviT_T0_PT6_S7_lSA_S7_lS8_PT7_S7_li.num_named_barrier, 0
	.set _ZL32rocblas_syrkx_herkx_small_kernelIl19rocblas_complex_numIfELi16ELb0ELb1ELc67ELc85EKPKS1_KPS1_EviT_T0_PT6_S7_lSA_S7_lS8_PT7_S7_li.private_seg_size, 0
	.set _ZL32rocblas_syrkx_herkx_small_kernelIl19rocblas_complex_numIfELi16ELb0ELb1ELc67ELc85EKPKS1_KPS1_EviT_T0_PT6_S7_lSA_S7_lS8_PT7_S7_li.uses_vcc, 1
	.set _ZL32rocblas_syrkx_herkx_small_kernelIl19rocblas_complex_numIfELi16ELb0ELb1ELc67ELc85EKPKS1_KPS1_EviT_T0_PT6_S7_lSA_S7_lS8_PT7_S7_li.uses_flat_scratch, 0
	.set _ZL32rocblas_syrkx_herkx_small_kernelIl19rocblas_complex_numIfELi16ELb0ELb1ELc67ELc85EKPKS1_KPS1_EviT_T0_PT6_S7_lSA_S7_lS8_PT7_S7_li.has_dyn_sized_stack, 0
	.set _ZL32rocblas_syrkx_herkx_small_kernelIl19rocblas_complex_numIfELi16ELb0ELb1ELc67ELc85EKPKS1_KPS1_EviT_T0_PT6_S7_lSA_S7_lS8_PT7_S7_li.has_recursion, 0
	.set _ZL32rocblas_syrkx_herkx_small_kernelIl19rocblas_complex_numIfELi16ELb0ELb1ELc67ELc85EKPKS1_KPS1_EviT_T0_PT6_S7_lSA_S7_lS8_PT7_S7_li.has_indirect_call, 0
	.section	.AMDGPU.csdata,"",@progbits
; Kernel info:
; codeLenInByte = 1412
; TotalNumSgprs: 29
; NumVgprs: 56
; ScratchSize: 0
; MemoryBound: 1
; FloatMode: 240
; IeeeMode: 1
; LDSByteSize: 4096 bytes/workgroup (compile time only)
; SGPRBlocks: 3
; VGPRBlocks: 13
; NumSGPRsForWavesPerEU: 29
; NumVGPRsForWavesPerEU: 56
; Occupancy: 4
; WaveLimiterHint : 1
; COMPUTE_PGM_RSRC2:SCRATCH_EN: 0
; COMPUTE_PGM_RSRC2:USER_SGPR: 6
; COMPUTE_PGM_RSRC2:TRAP_HANDLER: 0
; COMPUTE_PGM_RSRC2:TGID_X_EN: 1
; COMPUTE_PGM_RSRC2:TGID_Y_EN: 1
; COMPUTE_PGM_RSRC2:TGID_Z_EN: 1
; COMPUTE_PGM_RSRC2:TIDIG_COMP_CNT: 1
	.section	.text._ZL32rocblas_syrkx_herkx_small_kernelIl19rocblas_complex_numIfELi16ELb0ELb1ELc78ELc85EKPKS1_KPS1_EviT_T0_PT6_S7_lSA_S7_lS8_PT7_S7_li,"axG",@progbits,_ZL32rocblas_syrkx_herkx_small_kernelIl19rocblas_complex_numIfELi16ELb0ELb1ELc78ELc85EKPKS1_KPS1_EviT_T0_PT6_S7_lSA_S7_lS8_PT7_S7_li,comdat
	.globl	_ZL32rocblas_syrkx_herkx_small_kernelIl19rocblas_complex_numIfELi16ELb0ELb1ELc78ELc85EKPKS1_KPS1_EviT_T0_PT6_S7_lSA_S7_lS8_PT7_S7_li ; -- Begin function _ZL32rocblas_syrkx_herkx_small_kernelIl19rocblas_complex_numIfELi16ELb0ELb1ELc78ELc85EKPKS1_KPS1_EviT_T0_PT6_S7_lSA_S7_lS8_PT7_S7_li
	.p2align	8
	.type	_ZL32rocblas_syrkx_herkx_small_kernelIl19rocblas_complex_numIfELi16ELb0ELb1ELc78ELc85EKPKS1_KPS1_EviT_T0_PT6_S7_lSA_S7_lS8_PT7_S7_li,@function
_ZL32rocblas_syrkx_herkx_small_kernelIl19rocblas_complex_numIfELi16ELb0ELb1ELc78ELc85EKPKS1_KPS1_EviT_T0_PT6_S7_lSA_S7_lS8_PT7_S7_li: ; @_ZL32rocblas_syrkx_herkx_small_kernelIl19rocblas_complex_numIfELi16ELb0ELb1ELc78ELc85EKPKS1_KPS1_EviT_T0_PT6_S7_lSA_S7_lS8_PT7_S7_li
; %bb.0:
	s_load_dwordx2 s[10:11], s[4:5], 0x58
	s_load_dwordx4 s[20:23], s[4:5], 0x48
	s_load_dword s24, s[4:5], 0x0
	s_load_dwordx8 s[12:19], s[4:5], 0x8
	s_mov_b32 s9, 0
	s_lshl_b64 s[2:3], s[8:9], 3
	s_waitcnt lgkmcnt(0)
	s_add_u32 s0, s22, s2
	s_addc_u32 s1, s23, s3
	s_load_dwordx2 s[8:9], s[0:1], 0x0
	v_cmp_lt_i64_e64 s[0:1], s[12:13], 1
	v_lshl_add_u32 v2, s6, 4, v0
	v_lshl_add_u32 v4, s7, 4, v1
	s_and_b64 vcc, exec, s[0:1]
	v_ashrrev_i32_e32 v3, 31, v2
	v_cmp_gt_i32_e64 s[0:1], s24, v4
	v_ashrrev_i32_e32 v5, 31, v4
	s_cbranch_vccnz .LBB1755_11
; %bb.1:
	s_load_dwordx4 s[4:7], s[4:5], 0x30
	v_lshlrev_b32_e32 v10, 7, v1
	v_lshlrev_b32_e32 v14, 3, v0
	v_add_u32_e32 v15, v14, v10
	v_add_u32_e32 v16, 0x800, v10
	s_waitcnt lgkmcnt(0)
	s_add_u32 s4, s4, s2
	v_mad_u64_u32 v[7:8], s[22:23], s6, v0, 0
	s_addc_u32 s5, s5, s3
	s_add_u32 s2, s16, s2
	s_addc_u32 s3, s17, s3
	s_load_dwordx2 s[16:17], s[2:3], 0x0
	v_mad_u64_u32 v[8:9], s[2:3], s7, v0, v[8:9]
	v_mad_u64_u32 v[11:12], s[2:3], s18, v1, 0
	v_lshlrev_b64 v[7:8], 3, v[7:8]
	v_lshlrev_b64 v[9:10], 3, v[4:5]
	s_load_dwordx2 s[4:5], s[4:5], 0x0
	v_add_co_u32_e64 v9, s[2:3], v7, v9
	v_mov_b32_e32 v7, v12
	v_addc_co_u32_e64 v10, s[2:3], v8, v10, s[2:3]
	v_mad_u64_u32 v[7:8], s[2:3], s19, v1, v[7:8]
	s_waitcnt lgkmcnt(0)
	v_mov_b32_e32 v13, s5
	v_add_co_u32_e64 v8, s[2:3], s4, v9
	v_mov_b32_e32 v12, v7
	v_addc_co_u32_e64 v9, s[2:3], v13, v10, s[2:3]
	v_lshlrev_b64 v[10:11], 3, v[11:12]
	v_lshlrev_b64 v[12:13], 3, v[2:3]
	v_cmp_gt_i32_e32 vcc, s24, v2
	v_add_co_u32_e64 v7, s[2:3], v10, v12
	v_addc_co_u32_e64 v11, s[2:3], v11, v13, s[2:3]
	v_mov_b32_e32 v12, s17
	v_add_co_u32_e64 v10, s[2:3], s16, v7
	v_addc_co_u32_e64 v11, s[2:3], v12, v11, s[2:3]
	s_lshl_b64 s[4:5], s[6:7], 7
	s_lshl_b64 s[2:3], s[18:19], 7
	v_mov_b32_e32 v12, s12
	v_mov_b32_e32 v6, 0
	v_add_u32_e32 v17, v16, v14
	s_mov_b64 s[6:7], 0
	s_xor_b64 s[16:17], vcc, -1
	s_xor_b64 s[18:19], s[0:1], -1
	v_mov_b32_e32 v20, s5
	v_mov_b32_e32 v21, s3
	;; [unrolled: 1-line block ×5, first 2 shown]
	s_branch .LBB1755_3
.LBB1755_2:                             ;   in Loop: Header=BB1755_3 Depth=1
	s_or_b64 exec, exec, s[0:1]
	ds_write_b32 v17, v7 offset:4
	s_waitcnt lgkmcnt(0)
	s_barrier
	ds_read2_b64 v[22:25], v14 offset1:16
	ds_read_b128 v[26:29], v16
	ds_read_b128 v[30:33], v16 offset:16
	ds_read2_b64 v[34:37], v14 offset0:32 offset1:48
	s_add_u32 s6, s6, 16
	v_add_co_u32_e32 v8, vcc, s4, v8
	s_waitcnt lgkmcnt(2)
	v_mul_f32_e32 v7, v27, v23
	v_mul_f32_e32 v38, v26, v23
	v_fma_f32 v7, v26, v22, -v7
	v_fmac_f32_e32 v38, v27, v22
	v_mul_f32_e32 v22, v29, v25
	v_fma_f32 v39, v28, v24, -v22
	v_mul_f32_e32 v40, v28, v25
	s_waitcnt lgkmcnt(0)
	v_mul_f32_e32 v22, v31, v35
	v_fmac_f32_e32 v40, v29, v24
	v_fma_f32 v41, v30, v34, -v22
	ds_read2_b64 v[22:25], v14 offset0:64 offset1:80
	ds_read_b128 v[26:29], v16 offset:32
	v_mul_f32_e32 v42, v30, v35
	v_fmac_f32_e32 v42, v31, v34
	v_mul_f32_e32 v30, v33, v37
	v_mul_f32_e32 v44, v32, v37
	s_waitcnt lgkmcnt(0)
	v_mul_f32_e32 v34, v27, v23
	v_fma_f32 v43, v32, v36, -v30
	v_fmac_f32_e32 v44, v33, v36
	ds_read_b128 v[30:33], v16 offset:48
	v_fma_f32 v45, v26, v22, -v34
	ds_read2_b64 v[34:37], v14 offset0:96 offset1:112
	v_mul_f32_e32 v46, v26, v23
	v_fmac_f32_e32 v46, v27, v22
	v_mul_f32_e32 v22, v29, v25
	v_fma_f32 v47, v28, v24, -v22
	v_mul_f32_e32 v48, v28, v25
	s_waitcnt lgkmcnt(0)
	v_mul_f32_e32 v22, v31, v35
	v_fmac_f32_e32 v48, v29, v24
	v_fma_f32 v49, v30, v34, -v22
	ds_read2_b64 v[22:25], v14 offset0:128 offset1:144
	ds_read_b128 v[26:29], v16 offset:64
	v_mul_f32_e32 v50, v30, v35
	v_fmac_f32_e32 v50, v31, v34
	v_mul_f32_e32 v30, v33, v37
	v_mul_f32_e32 v52, v32, v37
	s_waitcnt lgkmcnt(0)
	v_mul_f32_e32 v34, v27, v23
	v_fma_f32 v51, v32, v36, -v30
	v_fmac_f32_e32 v52, v33, v36
	ds_read_b128 v[30:33], v16 offset:80
	v_fma_f32 v53, v26, v22, -v34
	ds_read2_b64 v[34:37], v14 offset0:160 offset1:176
	v_mul_f32_e32 v54, v26, v23
	v_fmac_f32_e32 v54, v27, v22
	v_mul_f32_e32 v22, v29, v25
	v_fma_f32 v55, v28, v24, -v22
	v_mul_f32_e32 v56, v28, v25
	s_waitcnt lgkmcnt(0)
	v_mul_f32_e32 v22, v31, v35
	v_add_f32_e32 v7, v19, v7
	v_add_f32_e32 v18, v18, v38
	v_fmac_f32_e32 v56, v29, v24
	v_fma_f32 v57, v30, v34, -v22
	ds_read2_b64 v[22:25], v14 offset0:192 offset1:208
	ds_read_b128 v[26:29], v16 offset:96
	v_add_f32_e32 v7, v7, v39
	v_add_f32_e32 v18, v18, v40
	v_add_f32_e32 v7, v7, v41
	v_add_f32_e32 v18, v18, v42
	v_add_f32_e32 v7, v7, v43
	v_add_f32_e32 v18, v18, v44
	v_add_f32_e32 v7, v7, v45
	v_add_f32_e32 v18, v18, v46
	v_mul_f32_e32 v58, v30, v35
	v_add_f32_e32 v7, v7, v47
	v_add_f32_e32 v18, v18, v48
	v_fmac_f32_e32 v58, v31, v34
	v_mul_f32_e32 v30, v33, v37
	v_mul_f32_e32 v60, v32, v37
	s_waitcnt lgkmcnt(0)
	v_mul_f32_e32 v34, v27, v23
	v_add_f32_e32 v7, v7, v49
	v_add_f32_e32 v18, v18, v50
	v_fma_f32 v59, v32, v36, -v30
	v_fmac_f32_e32 v60, v33, v36
	ds_read_b128 v[30:33], v16 offset:112
	v_fma_f32 v61, v26, v22, -v34
	ds_read2_b64 v[34:37], v14 offset0:224 offset1:240
	v_add_f32_e32 v7, v7, v51
	v_add_f32_e32 v18, v18, v52
	;; [unrolled: 1-line block ×6, first 2 shown]
	v_mul_f32_e32 v23, v26, v23
	v_add_f32_e32 v7, v7, v57
	v_add_f32_e32 v18, v18, v58
	v_fmac_f32_e32 v23, v27, v22
	v_mul_f32_e32 v22, v29, v25
	v_mul_f32_e32 v25, v28, v25
	v_add_f32_e32 v7, v7, v59
	v_add_f32_e32 v18, v18, v60
	v_fma_f32 v22, v28, v24, -v22
	v_fmac_f32_e32 v25, v29, v24
	s_waitcnt lgkmcnt(0)
	v_mul_f32_e32 v24, v31, v35
	v_mul_f32_e32 v26, v30, v35
	v_add_f32_e32 v7, v7, v61
	v_add_f32_e32 v18, v18, v23
	s_addc_u32 s7, s7, 0
	v_addc_co_u32_e32 v9, vcc, v9, v20, vcc
	v_fma_f32 v24, v30, v34, -v24
	v_fmac_f32_e32 v26, v31, v34
	v_mul_f32_e32 v27, v33, v37
	v_mul_f32_e32 v28, v32, v37
	v_add_f32_e32 v7, v7, v22
	v_add_f32_e32 v18, v18, v25
	v_cmp_ge_i64_e32 vcc, s[6:7], v[12:13]
	v_fma_f32 v27, v32, v36, -v27
	v_fmac_f32_e32 v28, v33, v36
	v_add_f32_e32 v7, v7, v24
	v_add_f32_e32 v18, v18, v26
	v_add_co_u32_e64 v10, s[0:1], s2, v10
	v_add_f32_e32 v19, v7, v27
	v_add_f32_e32 v18, v18, v28
	v_addc_co_u32_e64 v11, s[0:1], v11, v21, s[0:1]
	s_barrier
	s_cbranch_vccnz .LBB1755_12
.LBB1755_3:                             ; =>This Inner Loop Header: Depth=1
	v_mov_b32_e32 v7, s7
	v_add_co_u32_e32 v22, vcc, s6, v1
	v_addc_co_u32_e32 v23, vcc, 0, v7, vcc
	v_cmp_le_i64_e32 vcc, s[12:13], v[22:23]
	s_or_b64 s[0:1], s[16:17], vcc
	s_and_saveexec_b64 s[22:23], s[0:1]
	s_xor_b64 s[0:1], exec, s[22:23]
; %bb.4:                                ;   in Loop: Header=BB1755_3 Depth=1
	v_mov_b32_e32 v7, v6
	ds_write_b64 v15, v[6:7]
; %bb.5:                                ;   in Loop: Header=BB1755_3 Depth=1
	s_andn2_saveexec_b64 s[0:1], s[0:1]
	s_cbranch_execz .LBB1755_7
; %bb.6:                                ;   in Loop: Header=BB1755_3 Depth=1
	flat_load_dwordx2 v[22:23], v[10:11]
	s_waitcnt vmcnt(0) lgkmcnt(0)
	ds_write_b64 v15, v[22:23]
.LBB1755_7:                             ;   in Loop: Header=BB1755_3 Depth=1
	s_or_b64 exec, exec, s[0:1]
	v_mov_b32_e32 v7, s7
	v_add_co_u32_e32 v22, vcc, s6, v0
	v_addc_co_u32_e32 v23, vcc, 0, v7, vcc
	v_cmp_le_i64_e32 vcc, s[12:13], v[22:23]
	s_or_b64 s[0:1], s[18:19], vcc
	s_and_saveexec_b64 s[22:23], s[0:1]
	s_xor_b64 s[0:1], exec, s[22:23]
; %bb.8:                                ;   in Loop: Header=BB1755_3 Depth=1
	ds_write_b32 v17, v6
; %bb.9:                                ;   in Loop: Header=BB1755_3 Depth=1
	s_or_saveexec_b64 s[0:1], s[0:1]
	v_mov_b32_e32 v7, 0
	s_xor_b64 exec, exec, s[0:1]
	s_cbranch_execz .LBB1755_2
; %bb.10:                               ;   in Loop: Header=BB1755_3 Depth=1
	flat_load_dwordx2 v[22:23], v[8:9]
	s_waitcnt vmcnt(0) lgkmcnt(0)
	v_xor_b32_e32 v7, 0x80000000, v23
	ds_write_b32 v17, v22
	s_branch .LBB1755_2
.LBB1755_11:
	v_mov_b32_e32 v18, 0
	v_mov_b32_e32 v19, 0
.LBB1755_12:
	v_cmp_le_i32_e32 vcc, v2, v4
	v_cmp_gt_i32_e64 s[0:1], s24, v4
	s_and_b64 s[0:1], vcc, s[0:1]
	s_and_saveexec_b64 s[2:3], s[0:1]
	s_cbranch_execz .LBB1755_15
; %bb.13:
	v_mul_lo_u32 v6, s11, v4
	v_mul_lo_u32 v5, s10, v5
	v_mad_u64_u32 v[0:1], s[0:1], s10, v4, 0
	v_mul_f32_e32 v7, s14, v18
	v_fmac_f32_e32 v7, s15, v19
	v_add3_u32 v1, v1, v5, v6
	v_lshlrev_b64 v[0:1], 3, v[0:1]
	s_waitcnt lgkmcnt(0)
	v_mov_b32_e32 v5, s9
	v_add_co_u32_e32 v6, vcc, s8, v0
	v_addc_co_u32_e32 v5, vcc, v5, v1, vcc
	v_lshlrev_b64 v[0:1], 3, v[2:3]
	v_mul_f32_e32 v3, s15, v18
	v_add_co_u32_e32 v0, vcc, v6, v0
	v_addc_co_u32_e32 v1, vcc, v5, v1, vcc
	flat_load_dwordx2 v[5:6], v[0:1]
	v_fma_f32 v3, v19, s14, -v3
	v_cmp_eq_u32_e32 vcc, v2, v4
	s_waitcnt vmcnt(0) lgkmcnt(0)
	v_mul_f32_e32 v8, s21, v6
	v_mul_f32_e32 v6, s20, v6
	v_fma_f32 v8, v5, s20, -v8
	v_fmac_f32_e32 v6, s21, v5
	v_add_f32_e32 v5, v3, v8
	v_add_f32_e32 v6, v7, v6
	flat_store_dwordx2 v[0:1], v[5:6]
	s_and_b64 exec, exec, vcc
	s_cbranch_execz .LBB1755_15
; %bb.14:
	v_mov_b32_e32 v2, 0
	flat_store_dword v[0:1], v2 offset:4
.LBB1755_15:
	s_endpgm
	.section	.rodata,"a",@progbits
	.p2align	6, 0x0
	.amdhsa_kernel _ZL32rocblas_syrkx_herkx_small_kernelIl19rocblas_complex_numIfELi16ELb0ELb1ELc78ELc85EKPKS1_KPS1_EviT_T0_PT6_S7_lSA_S7_lS8_PT7_S7_li
		.amdhsa_group_segment_fixed_size 4096
		.amdhsa_private_segment_fixed_size 0
		.amdhsa_kernarg_size 108
		.amdhsa_user_sgpr_count 6
		.amdhsa_user_sgpr_private_segment_buffer 1
		.amdhsa_user_sgpr_dispatch_ptr 0
		.amdhsa_user_sgpr_queue_ptr 0
		.amdhsa_user_sgpr_kernarg_segment_ptr 1
		.amdhsa_user_sgpr_dispatch_id 0
		.amdhsa_user_sgpr_flat_scratch_init 0
		.amdhsa_user_sgpr_private_segment_size 0
		.amdhsa_uses_dynamic_stack 0
		.amdhsa_system_sgpr_private_segment_wavefront_offset 0
		.amdhsa_system_sgpr_workgroup_id_x 1
		.amdhsa_system_sgpr_workgroup_id_y 1
		.amdhsa_system_sgpr_workgroup_id_z 1
		.amdhsa_system_sgpr_workgroup_info 0
		.amdhsa_system_vgpr_workitem_id 1
		.amdhsa_next_free_vgpr 62
		.amdhsa_next_free_sgpr 25
		.amdhsa_reserve_vcc 1
		.amdhsa_reserve_flat_scratch 0
		.amdhsa_float_round_mode_32 0
		.amdhsa_float_round_mode_16_64 0
		.amdhsa_float_denorm_mode_32 3
		.amdhsa_float_denorm_mode_16_64 3
		.amdhsa_dx10_clamp 1
		.amdhsa_ieee_mode 1
		.amdhsa_fp16_overflow 0
		.amdhsa_exception_fp_ieee_invalid_op 0
		.amdhsa_exception_fp_denorm_src 0
		.amdhsa_exception_fp_ieee_div_zero 0
		.amdhsa_exception_fp_ieee_overflow 0
		.amdhsa_exception_fp_ieee_underflow 0
		.amdhsa_exception_fp_ieee_inexact 0
		.amdhsa_exception_int_div_zero 0
	.end_amdhsa_kernel
	.section	.text._ZL32rocblas_syrkx_herkx_small_kernelIl19rocblas_complex_numIfELi16ELb0ELb1ELc78ELc85EKPKS1_KPS1_EviT_T0_PT6_S7_lSA_S7_lS8_PT7_S7_li,"axG",@progbits,_ZL32rocblas_syrkx_herkx_small_kernelIl19rocblas_complex_numIfELi16ELb0ELb1ELc78ELc85EKPKS1_KPS1_EviT_T0_PT6_S7_lSA_S7_lS8_PT7_S7_li,comdat
.Lfunc_end1755:
	.size	_ZL32rocblas_syrkx_herkx_small_kernelIl19rocblas_complex_numIfELi16ELb0ELb1ELc78ELc85EKPKS1_KPS1_EviT_T0_PT6_S7_lSA_S7_lS8_PT7_S7_li, .Lfunc_end1755-_ZL32rocblas_syrkx_herkx_small_kernelIl19rocblas_complex_numIfELi16ELb0ELb1ELc78ELc85EKPKS1_KPS1_EviT_T0_PT6_S7_lSA_S7_lS8_PT7_S7_li
                                        ; -- End function
	.set _ZL32rocblas_syrkx_herkx_small_kernelIl19rocblas_complex_numIfELi16ELb0ELb1ELc78ELc85EKPKS1_KPS1_EviT_T0_PT6_S7_lSA_S7_lS8_PT7_S7_li.num_vgpr, 62
	.set _ZL32rocblas_syrkx_herkx_small_kernelIl19rocblas_complex_numIfELi16ELb0ELb1ELc78ELc85EKPKS1_KPS1_EviT_T0_PT6_S7_lSA_S7_lS8_PT7_S7_li.num_agpr, 0
	.set _ZL32rocblas_syrkx_herkx_small_kernelIl19rocblas_complex_numIfELi16ELb0ELb1ELc78ELc85EKPKS1_KPS1_EviT_T0_PT6_S7_lSA_S7_lS8_PT7_S7_li.numbered_sgpr, 25
	.set _ZL32rocblas_syrkx_herkx_small_kernelIl19rocblas_complex_numIfELi16ELb0ELb1ELc78ELc85EKPKS1_KPS1_EviT_T0_PT6_S7_lSA_S7_lS8_PT7_S7_li.num_named_barrier, 0
	.set _ZL32rocblas_syrkx_herkx_small_kernelIl19rocblas_complex_numIfELi16ELb0ELb1ELc78ELc85EKPKS1_KPS1_EviT_T0_PT6_S7_lSA_S7_lS8_PT7_S7_li.private_seg_size, 0
	.set _ZL32rocblas_syrkx_herkx_small_kernelIl19rocblas_complex_numIfELi16ELb0ELb1ELc78ELc85EKPKS1_KPS1_EviT_T0_PT6_S7_lSA_S7_lS8_PT7_S7_li.uses_vcc, 1
	.set _ZL32rocblas_syrkx_herkx_small_kernelIl19rocblas_complex_numIfELi16ELb0ELb1ELc78ELc85EKPKS1_KPS1_EviT_T0_PT6_S7_lSA_S7_lS8_PT7_S7_li.uses_flat_scratch, 0
	.set _ZL32rocblas_syrkx_herkx_small_kernelIl19rocblas_complex_numIfELi16ELb0ELb1ELc78ELc85EKPKS1_KPS1_EviT_T0_PT6_S7_lSA_S7_lS8_PT7_S7_li.has_dyn_sized_stack, 0
	.set _ZL32rocblas_syrkx_herkx_small_kernelIl19rocblas_complex_numIfELi16ELb0ELb1ELc78ELc85EKPKS1_KPS1_EviT_T0_PT6_S7_lSA_S7_lS8_PT7_S7_li.has_recursion, 0
	.set _ZL32rocblas_syrkx_herkx_small_kernelIl19rocblas_complex_numIfELi16ELb0ELb1ELc78ELc85EKPKS1_KPS1_EviT_T0_PT6_S7_lSA_S7_lS8_PT7_S7_li.has_indirect_call, 0
	.section	.AMDGPU.csdata,"",@progbits
; Kernel info:
; codeLenInByte = 1408
; TotalNumSgprs: 29
; NumVgprs: 62
; ScratchSize: 0
; MemoryBound: 1
; FloatMode: 240
; IeeeMode: 1
; LDSByteSize: 4096 bytes/workgroup (compile time only)
; SGPRBlocks: 3
; VGPRBlocks: 15
; NumSGPRsForWavesPerEU: 29
; NumVGPRsForWavesPerEU: 62
; Occupancy: 4
; WaveLimiterHint : 1
; COMPUTE_PGM_RSRC2:SCRATCH_EN: 0
; COMPUTE_PGM_RSRC2:USER_SGPR: 6
; COMPUTE_PGM_RSRC2:TRAP_HANDLER: 0
; COMPUTE_PGM_RSRC2:TGID_X_EN: 1
; COMPUTE_PGM_RSRC2:TGID_Y_EN: 1
; COMPUTE_PGM_RSRC2:TGID_Z_EN: 1
; COMPUTE_PGM_RSRC2:TIDIG_COMP_CNT: 1
	.section	.text._ZL34rocblas_syrkx_herkx_general_kernelIl19rocblas_complex_numIfELi16ELi32ELi8ELb1ELb1ELc84ELc76EKPKS1_KPS1_EviT_T0_PT8_S7_lSA_S7_lS8_PT9_S7_li,"axG",@progbits,_ZL34rocblas_syrkx_herkx_general_kernelIl19rocblas_complex_numIfELi16ELi32ELi8ELb1ELb1ELc84ELc76EKPKS1_KPS1_EviT_T0_PT8_S7_lSA_S7_lS8_PT9_S7_li,comdat
	.globl	_ZL34rocblas_syrkx_herkx_general_kernelIl19rocblas_complex_numIfELi16ELi32ELi8ELb1ELb1ELc84ELc76EKPKS1_KPS1_EviT_T0_PT8_S7_lSA_S7_lS8_PT9_S7_li ; -- Begin function _ZL34rocblas_syrkx_herkx_general_kernelIl19rocblas_complex_numIfELi16ELi32ELi8ELb1ELb1ELc84ELc76EKPKS1_KPS1_EviT_T0_PT8_S7_lSA_S7_lS8_PT9_S7_li
	.p2align	8
	.type	_ZL34rocblas_syrkx_herkx_general_kernelIl19rocblas_complex_numIfELi16ELi32ELi8ELb1ELb1ELc84ELc76EKPKS1_KPS1_EviT_T0_PT8_S7_lSA_S7_lS8_PT9_S7_li,@function
_ZL34rocblas_syrkx_herkx_general_kernelIl19rocblas_complex_numIfELi16ELi32ELi8ELb1ELb1ELc84ELc76EKPKS1_KPS1_EviT_T0_PT8_S7_lSA_S7_lS8_PT9_S7_li: ; @_ZL34rocblas_syrkx_herkx_general_kernelIl19rocblas_complex_numIfELi16ELi32ELi8ELb1ELb1ELc84ELc76EKPKS1_KPS1_EviT_T0_PT8_S7_lSA_S7_lS8_PT9_S7_li
; %bb.0:
	s_load_dwordx4 s[20:23], s[4:5], 0x50
	s_load_dword s10, s[4:5], 0x0
	s_load_dwordx8 s[12:19], s[4:5], 0x8
	s_mov_b32 s9, 0
	s_lshl_b64 s[0:1], s[8:9], 3
	s_waitcnt lgkmcnt(0)
	s_add_u32 s2, s20, s0
	s_addc_u32 s3, s21, s1
	s_load_dwordx2 s[8:9], s[2:3], 0x0
	v_cmp_lt_i64_e64 s[2:3], s[12:13], 1
	s_lshl_b32 s11, s6, 5
	s_lshl_b32 s20, s7, 5
	s_and_b64 vcc, exec, s[2:3]
	s_cbranch_vccnz .LBB1756_11
; %bb.1:
	s_load_dwordx4 s[4:7], s[4:5], 0x30
	v_lshl_add_u32 v2, v1, 4, v0
	v_and_b32_e32 v5, 31, v2
	v_or_b32_e32 v6, s11, v5
	v_and_b32_e32 v11, 7, v0
	v_lshrrev_b32_e32 v3, 3, v2
	v_lshrrev_b32_e32 v10, 5, v2
	v_cmp_gt_i32_e32 vcc, s10, v6
	v_lshlrev_b32_e32 v2, 3, v5
	v_lshlrev_b32_e32 v6, 3, v11
	v_lshl_or_b32 v12, v10, 8, v2
	v_lshl_or_b32 v2, v3, 6, v6
	s_waitcnt lgkmcnt(0)
	s_add_u32 s2, s4, s0
	v_add_u32_e32 v13, 0x800, v2
	v_add_u32_e32 v2, s11, v5
	;; [unrolled: 1-line block ×3, first 2 shown]
	s_addc_u32 s3, s5, s1
	v_ashrrev_i32_e32 v3, 31, v2
	s_load_dwordx2 s[4:5], s[2:3], 0x0
	v_mul_lo_u32 v5, s18, v3
	v_mul_lo_u32 v8, s19, v2
	v_mad_u64_u32 v[2:3], s[2:3], s18, v2, 0
	s_add_u32 s0, s16, s0
	s_addc_u32 s1, s17, s1
	v_add3_u32 v3, v3, v5, v8
	v_lshlrev_b64 v[2:3], 3, v[2:3]
	v_lshlrev_b32_e32 v5, 3, v10
	v_ashrrev_i32_e32 v7, 31, v4
	v_mov_b32_e32 v9, 0x800
	v_add_co_u32_e64 v2, s[2:3], v2, v5
	s_load_dwordx2 s[16:17], s[0:1], 0x0
	v_cmp_gt_i32_e64 s[0:1], s10, v4
	v_lshl_add_u32 v15, v1, 6, v9
	v_addc_co_u32_e64 v3, s[2:3], 0, v3, s[2:3]
	v_mul_lo_u32 v7, s6, v7
	v_mul_lo_u32 v9, s7, v4
	v_mad_u64_u32 v[4:5], s[2:3], s6, v4, 0
	s_waitcnt lgkmcnt(0)
	v_mov_b32_e32 v8, s17
	v_add_co_u32_e64 v2, s[2:3], s16, v2
	v_add3_u32 v5, v5, v7, v9
	v_lshlrev_b64 v[4:5], 3, v[4:5]
	v_addc_co_u32_e64 v3, s[2:3], v8, v3, s[2:3]
	v_add_co_u32_e64 v4, s[2:3], v4, v6
	v_addc_co_u32_e64 v5, s[2:3], 0, v5, s[2:3]
	v_mov_b32_e32 v6, s5
	v_add_co_u32_e64 v4, s[2:3], s4, v4
	v_addc_co_u32_e64 v5, s[2:3], v6, v5, s[2:3]
	v_mov_b32_e32 v8, s12
	v_lshlrev_b32_e32 v14, 3, v0
	s_mov_b64 s[2:3], 0
	s_xor_b64 s[4:5], vcc, -1
	s_xor_b64 s[6:7], s[0:1], -1
	v_mov_b32_e32 v19, 0
	v_mov_b32_e32 v18, 0
	v_mov_b32_e32 v17, 0
	v_mov_b32_e32 v16, 0
	v_mov_b32_e32 v23, 0
	v_mov_b32_e32 v22, 0
	v_mov_b32_e32 v21, 0
	v_mov_b32_e32 v20, 0
	v_mov_b32_e32 v6, 0
	v_mov_b32_e32 v9, s13
	s_branch .LBB1756_3
.LBB1756_2:                             ;   in Loop: Header=BB1756_3 Depth=1
	s_or_b64 exec, exec, s[0:1]
	s_waitcnt lgkmcnt(0)
	s_barrier
	ds_read2_b64 v[24:27], v14 offset1:16
	ds_read_b128 v[28:31], v15
	ds_read_b128 v[32:35], v15 offset:16
	s_add_u32 s2, s2, 8
	v_add_co_u32_e32 v2, vcc, 64, v2
	s_waitcnt lgkmcnt(1)
	v_mul_f32_e32 v36, v28, v25
	v_fmac_f32_e32 v36, v29, v24
	v_add_f32_e32 v44, v21, v36
	ds_read_b128 v[36:39], v15 offset:1024
	v_mul_f32_e32 v7, v29, v25
	v_fma_f32 v7, v28, v24, -v7
	v_add_f32_e32 v7, v20, v7
	v_mul_f32_e32 v20, v29, v27
	v_mul_f32_e32 v21, v28, v27
	v_fma_f32 v20, v28, v26, -v20
	v_fmac_f32_e32 v21, v29, v26
	v_add_f32_e32 v28, v22, v20
	v_add_f32_e32 v29, v23, v21
	ds_read_b128 v[20:23], v15 offset:1040
	s_waitcnt lgkmcnt(1)
	v_mul_f32_e32 v40, v37, v25
	v_fma_f32 v40, v36, v24, -v40
	v_add_f32_e32 v45, v16, v40
	ds_read2_b64 v[40:43], v14 offset0:32 offset1:48
	v_mul_f32_e32 v25, v36, v25
	v_mul_f32_e32 v16, v37, v27
	v_fmac_f32_e32 v25, v37, v24
	v_fma_f32 v16, v36, v26, -v16
	v_add_f32_e32 v46, v17, v25
	v_mul_f32_e32 v17, v36, v27
	v_add_f32_e32 v36, v18, v16
	s_waitcnt lgkmcnt(0)
	v_mul_f32_e32 v16, v31, v41
	v_fma_f32 v47, v30, v40, -v16
	v_mul_f32_e32 v16, v31, v43
	v_fma_f32 v49, v30, v42, -v16
	v_mul_f32_e32 v48, v30, v41
	v_mul_f32_e32 v30, v30, v43
	v_add_f32_e32 v7, v7, v47
	v_add_f32_e32 v47, v28, v49
	v_mul_f32_e32 v28, v39, v41
	v_fmac_f32_e32 v17, v37, v26
	v_fmac_f32_e32 v48, v31, v40
	;; [unrolled: 1-line block ×3, first 2 shown]
	v_fma_f32 v49, v38, v40, -v28
	v_mul_f32_e32 v41, v38, v41
	v_mul_f32_e32 v28, v39, v43
	v_add_f32_e32 v37, v19, v17
	ds_read_b128 v[16:19], v15 offset:32
	ds_read_b128 v[24:27], v15 offset:48
	v_add_f32_e32 v44, v44, v48
	v_add_f32_e32 v48, v29, v30
	v_fmac_f32_e32 v41, v39, v40
	v_fma_f32 v40, v38, v42, -v28
	ds_read2_b64 v[28:31], v14 offset0:64 offset1:80
	v_add_f32_e32 v40, v36, v40
	v_mul_f32_e32 v38, v38, v43
	v_fmac_f32_e32 v38, v39, v42
	v_add_f32_e32 v42, v37, v38
	s_waitcnt lgkmcnt(0)
	v_mul_f32_e32 v36, v33, v29
	v_fma_f32 v36, v32, v28, -v36
	v_add_f32_e32 v7, v7, v36
	v_mul_f32_e32 v36, v33, v31
	v_mul_f32_e32 v37, v32, v29
	v_fma_f32 v36, v32, v30, -v36
	v_mul_f32_e32 v32, v32, v31
	v_fmac_f32_e32 v37, v33, v28
	v_fmac_f32_e32 v32, v33, v30
	v_add_f32_e32 v33, v47, v36
	v_mul_f32_e32 v36, v21, v29
	v_add_f32_e32 v39, v45, v49
	v_fma_f32 v36, v20, v28, -v36
	v_mul_f32_e32 v29, v20, v29
	v_add_f32_e32 v41, v46, v41
	v_fmac_f32_e32 v29, v21, v28
	v_add_f32_e32 v28, v39, v36
	v_mul_f32_e32 v36, v21, v31
	v_add_f32_e32 v43, v44, v37
	v_add_f32_e32 v29, v41, v29
	v_fma_f32 v41, v20, v30, -v36
	ds_read2_b64 v[36:39], v14 offset0:96 offset1:112
	v_mul_f32_e32 v20, v20, v31
	v_fmac_f32_e32 v20, v21, v30
	v_add_f32_e32 v21, v40, v41
	v_add_f32_e32 v32, v48, v32
	s_waitcnt lgkmcnt(0)
	v_mul_f32_e32 v30, v35, v37
	v_fma_f32 v30, v34, v36, -v30
	v_mul_f32_e32 v31, v34, v37
	v_fmac_f32_e32 v31, v35, v36
	v_add_f32_e32 v7, v7, v30
	v_mul_f32_e32 v30, v35, v39
	v_add_f32_e32 v40, v43, v31
	v_fma_f32 v30, v34, v38, -v30
	v_mul_f32_e32 v31, v34, v39
	v_fmac_f32_e32 v31, v35, v38
	v_add_f32_e32 v33, v33, v30
	v_mul_f32_e32 v30, v23, v37
	v_add_f32_e32 v32, v32, v31
	;; [unrolled: 6-line block ×3, first 2 shown]
	v_fma_f32 v34, v22, v38, -v28
	ds_read2_b64 v[28:31], v14 offset0:128 offset1:144
	v_mul_f32_e32 v22, v22, v39
	v_add_f32_e32 v20, v42, v20
	v_fmac_f32_e32 v22, v23, v38
	v_add_f32_e32 v42, v20, v22
	s_waitcnt lgkmcnt(0)
	v_mul_f32_e32 v20, v17, v29
	v_add_f32_e32 v41, v21, v34
	v_fma_f32 v20, v16, v28, -v20
	v_mul_f32_e32 v21, v16, v29
	v_fmac_f32_e32 v21, v17, v28
	v_add_f32_e32 v7, v7, v20
	v_mul_f32_e32 v20, v17, v31
	v_add_f32_e32 v40, v40, v21
	v_fma_f32 v34, v16, v30, -v20
	ds_read_b128 v[20:23], v15 offset:1056
	v_mul_f32_e32 v16, v16, v31
	v_fmac_f32_e32 v16, v17, v30
	v_add_f32_e32 v17, v33, v34
	v_add_f32_e32 v16, v32, v16
	ds_read_b128 v[32:35], v15 offset:1072
	s_waitcnt lgkmcnt(1)
	v_mul_f32_e32 v38, v21, v29
	v_fma_f32 v38, v20, v28, -v38
	v_mul_f32_e32 v29, v20, v29
	v_fmac_f32_e32 v29, v21, v28
	v_add_f32_e32 v28, v36, v38
	v_mul_f32_e32 v36, v21, v31
	v_add_f32_e32 v29, v37, v29
	v_fma_f32 v43, v20, v30, -v36
	ds_read2_b64 v[36:39], v14 offset0:160 offset1:176
	v_mul_f32_e32 v20, v20, v31
	v_fmac_f32_e32 v20, v21, v30
	v_add_f32_e32 v20, v42, v20
	v_add_f32_e32 v21, v41, v43
	s_waitcnt lgkmcnt(0)
	v_mul_f32_e32 v30, v19, v37
	v_mul_f32_e32 v31, v18, v37
	v_fma_f32 v30, v18, v36, -v30
	v_fmac_f32_e32 v31, v19, v36
	v_add_f32_e32 v7, v7, v30
	v_add_f32_e32 v30, v40, v31
	v_mul_f32_e32 v31, v19, v39
	v_fma_f32 v31, v18, v38, -v31
	v_mul_f32_e32 v18, v18, v39
	v_fmac_f32_e32 v18, v19, v38
	v_add_f32_e32 v40, v16, v18
	v_mul_f32_e32 v16, v23, v37
	v_add_f32_e32 v31, v17, v31
	v_fma_f32 v16, v22, v36, -v16
	v_mul_f32_e32 v17, v22, v37
	v_fmac_f32_e32 v17, v23, v36
	v_add_f32_e32 v28, v28, v16
	v_mul_f32_e32 v16, v23, v39
	v_add_f32_e32 v29, v29, v17
	v_fma_f32 v36, v22, v38, -v16
	ds_read2_b64 v[16:19], v14 offset0:192 offset1:208
	v_mul_f32_e32 v22, v22, v39
	v_fmac_f32_e32 v22, v23, v38
	v_add_f32_e32 v20, v20, v22
	v_add_f32_e32 v21, v21, v36
	s_waitcnt lgkmcnt(0)
	v_mul_f32_e32 v22, v25, v17
	v_mul_f32_e32 v23, v24, v17
	v_fma_f32 v22, v24, v16, -v22
	v_fmac_f32_e32 v23, v25, v16
	v_add_f32_e32 v7, v7, v22
	v_add_f32_e32 v22, v30, v23
	v_mul_f32_e32 v23, v25, v19
	v_fma_f32 v23, v24, v18, -v23
	v_mul_f32_e32 v24, v24, v19
	v_fmac_f32_e32 v24, v25, v18
	v_mul_f32_e32 v25, v33, v17
	v_mul_f32_e32 v17, v32, v17
	v_fma_f32 v25, v32, v16, -v25
	v_fmac_f32_e32 v17, v33, v16
	v_add_f32_e32 v23, v31, v23
	v_add_f32_e32 v16, v28, v25
	;; [unrolled: 1-line block ×3, first 2 shown]
	ds_read2_b64 v[28:31], v14 offset0:224 offset1:240
	v_mul_f32_e32 v25, v33, v19
	v_mul_f32_e32 v19, v32, v19
	v_fmac_f32_e32 v19, v33, v18
	v_add_f32_e32 v19, v20, v19
	s_waitcnt lgkmcnt(0)
	v_mul_f32_e32 v20, v27, v29
	v_fma_f32 v25, v32, v18, -v25
	v_fma_f32 v20, v26, v28, -v20
	v_add_f32_e32 v18, v21, v25
	v_mul_f32_e32 v21, v26, v29
	v_add_f32_e32 v20, v7, v20
	v_mul_f32_e32 v7, v27, v31
	v_mul_f32_e32 v25, v26, v31
	v_add_f32_e32 v24, v40, v24
	v_fmac_f32_e32 v21, v27, v28
	v_fma_f32 v7, v26, v30, -v7
	v_fmac_f32_e32 v25, v27, v30
	v_add_f32_e32 v21, v22, v21
	v_add_f32_e32 v22, v23, v7
	;; [unrolled: 1-line block ×3, first 2 shown]
	v_mul_f32_e32 v7, v35, v29
	v_mul_f32_e32 v24, v34, v29
	v_fma_f32 v7, v34, v28, -v7
	v_fmac_f32_e32 v24, v35, v28
	s_addc_u32 s3, s3, 0
	v_addc_co_u32_e32 v3, vcc, 0, v3, vcc
	v_add_f32_e32 v16, v16, v7
	v_add_f32_e32 v17, v17, v24
	v_mul_f32_e32 v7, v35, v31
	v_mul_f32_e32 v24, v34, v31
	v_cmp_ge_i64_e32 vcc, s[2:3], v[8:9]
	v_fma_f32 v7, v34, v30, -v7
	v_fmac_f32_e32 v24, v35, v30
	v_add_co_u32_e64 v4, s[0:1], 64, v4
	v_add_f32_e32 v18, v18, v7
	v_add_f32_e32 v19, v19, v24
	v_addc_co_u32_e64 v5, s[0:1], 0, v5, s[0:1]
	s_barrier
	s_cbranch_vccnz .LBB1756_12
.LBB1756_3:                             ; =>This Inner Loop Header: Depth=1
	v_mov_b32_e32 v7, s3
	v_add_co_u32_e32 v24, vcc, s2, v10
	v_addc_co_u32_e32 v25, vcc, 0, v7, vcc
	v_cmp_le_i64_e32 vcc, s[12:13], v[24:25]
	s_or_b64 s[0:1], s[4:5], vcc
	s_and_saveexec_b64 s[16:17], s[0:1]
	s_xor_b64 s[0:1], exec, s[16:17]
; %bb.4:                                ;   in Loop: Header=BB1756_3 Depth=1
	v_mov_b32_e32 v7, v6
	ds_write_b64 v12, v[6:7]
; %bb.5:                                ;   in Loop: Header=BB1756_3 Depth=1
	s_andn2_saveexec_b64 s[0:1], s[0:1]
	s_cbranch_execz .LBB1756_7
; %bb.6:                                ;   in Loop: Header=BB1756_3 Depth=1
	flat_load_dwordx2 v[24:25], v[2:3]
	s_waitcnt vmcnt(0) lgkmcnt(0)
	ds_write_b64 v12, v[24:25]
.LBB1756_7:                             ;   in Loop: Header=BB1756_3 Depth=1
	s_or_b64 exec, exec, s[0:1]
	v_mov_b32_e32 v7, s3
	v_add_co_u32_e32 v24, vcc, s2, v11
	v_addc_co_u32_e32 v25, vcc, 0, v7, vcc
	v_cmp_le_i64_e32 vcc, s[12:13], v[24:25]
	s_or_b64 s[0:1], vcc, s[6:7]
	s_and_saveexec_b64 s[16:17], s[0:1]
	s_xor_b64 s[0:1], exec, s[16:17]
; %bb.8:                                ;   in Loop: Header=BB1756_3 Depth=1
	v_mov_b32_e32 v7, v6
	ds_write_b64 v13, v[6:7]
; %bb.9:                                ;   in Loop: Header=BB1756_3 Depth=1
	s_andn2_saveexec_b64 s[0:1], s[0:1]
	s_cbranch_execz .LBB1756_2
; %bb.10:                               ;   in Loop: Header=BB1756_3 Depth=1
	flat_load_dwordx2 v[24:25], v[4:5]
	s_waitcnt vmcnt(0) lgkmcnt(0)
	ds_write_b64 v13, v[24:25]
	s_branch .LBB1756_2
.LBB1756_11:
	v_mov_b32_e32 v20, 0
	v_mov_b32_e32 v21, 0
	;; [unrolled: 1-line block ×8, first 2 shown]
.LBB1756_12:
	v_add_u32_e32 v5, s20, v1
	v_ashrrev_i32_e32 v1, 31, v5
	v_mul_lo_u32 v3, s22, v1
	v_mul_lo_u32 v4, s23, v5
	v_mad_u64_u32 v[1:2], s[0:1], s22, v5, 0
	v_add_u32_e32 v0, s11, v0
	v_cmp_le_i32_e64 s[0:1], v5, v0
	v_add3_u32 v2, v2, v3, v4
	v_lshlrev_b64 v[1:2], 3, v[1:2]
	s_waitcnt lgkmcnt(0)
	v_mov_b32_e32 v3, s9
	v_add_co_u32_e32 v4, vcc, s8, v1
	v_addc_co_u32_e32 v6, vcc, v3, v2, vcc
	v_cmp_gt_i32_e32 vcc, s10, v0
	s_and_b64 s[0:1], s[0:1], vcc
	s_and_saveexec_b64 s[2:3], s[0:1]
	s_cbranch_execz .LBB1756_15
; %bb.13:
	v_mul_f32_e32 v1, s15, v21
	v_fma_f32 v7, v20, s14, -v1
	v_ashrrev_i32_e32 v1, 31, v0
	v_lshlrev_b64 v[1:2], 3, v[0:1]
	v_mul_f32_e32 v8, s14, v21
	v_add_co_u32_e64 v1, s[0:1], v4, v1
	v_addc_co_u32_e64 v2, s[0:1], v6, v2, s[0:1]
	v_fmac_f32_e32 v8, s15, v20
	v_cmp_eq_u32_e64 s[0:1], v5, v0
	flat_store_dwordx2 v[1:2], v[7:8]
	s_and_b64 exec, exec, s[0:1]
	s_cbranch_execz .LBB1756_15
; %bb.14:
	v_mov_b32_e32 v3, 0
	flat_store_dword v[1:2], v3 offset:4
.LBB1756_15:
	s_or_b64 exec, exec, s[2:3]
	v_add_u32_e32 v2, 16, v0
	v_cmp_le_i32_e64 s[2:3], v5, v2
	v_cmp_gt_i32_e64 s[0:1], s10, v2
	s_and_b64 s[2:3], s[2:3], s[0:1]
	s_and_saveexec_b64 s[4:5], s[2:3]
	s_cbranch_execz .LBB1756_18
; %bb.16:
	v_ashrrev_i32_e32 v3, 31, v2
	v_lshlrev_b64 v[9:10], 3, v[2:3]
	v_mul_f32_e32 v1, s15, v23
	v_add_co_u32_e64 v3, s[2:3], v4, v9
	v_mul_f32_e32 v8, s14, v23
	v_addc_co_u32_e64 v4, s[2:3], v6, v10, s[2:3]
	v_fma_f32 v7, v22, s14, -v1
	v_fmac_f32_e32 v8, s15, v22
	v_cmp_eq_u32_e64 s[2:3], v5, v2
	flat_store_dwordx2 v[3:4], v[7:8]
	s_and_b64 exec, exec, s[2:3]
	s_cbranch_execz .LBB1756_18
; %bb.17:
	v_mov_b32_e32 v1, 0
	flat_store_dword v[3:4], v1 offset:4
.LBB1756_18:
	s_or_b64 exec, exec, s[4:5]
	v_add_u32_e32 v8, 16, v5
	v_ashrrev_i32_e32 v1, 31, v8
	v_mul_lo_u32 v6, s23, v8
	v_mad_u64_u32 v[3:4], s[2:3], s22, v8, 0
	v_mul_lo_u32 v1, s22, v1
	v_add3_u32 v4, v4, v1, v6
	v_lshlrev_b64 v[3:4], 3, v[3:4]
	v_mov_b32_e32 v1, s9
	v_add_co_u32_e64 v6, s[2:3], s8, v3
	v_addc_co_u32_e64 v7, s[2:3], v1, v4, s[2:3]
	v_cmp_le_i32_e64 s[2:3], v8, v0
	s_and_b64 s[4:5], s[2:3], vcc
	s_and_saveexec_b64 s[2:3], s[4:5]
	s_cbranch_execz .LBB1756_21
; %bb.19:
	v_mul_f32_e32 v1, s15, v17
	v_fma_f32 v9, v16, s14, -v1
	v_ashrrev_i32_e32 v1, 31, v0
	v_lshlrev_b64 v[3:4], 3, v[0:1]
	v_mul_f32_e32 v10, s14, v17
	v_add_co_u32_e32 v3, vcc, v6, v3
	v_addc_co_u32_e32 v4, vcc, v7, v4, vcc
	v_fmac_f32_e32 v10, s15, v16
	v_cmp_eq_u32_e32 vcc, v8, v0
	flat_store_dwordx2 v[3:4], v[9:10]
	s_and_b64 exec, exec, vcc
	s_cbranch_execz .LBB1756_21
; %bb.20:
	v_mov_b32_e32 v1, 0
	flat_store_dword v[3:4], v1 offset:4
.LBB1756_21:
	s_or_b64 exec, exec, s[2:3]
	v_cmp_le_i32_e32 vcc, v8, v2
	s_and_b64 s[0:1], vcc, s[0:1]
	s_and_saveexec_b64 s[2:3], s[0:1]
	s_cbranch_execz .LBB1756_24
; %bb.22:
	v_mul_f32_e32 v1, s15, v19
	v_ashrrev_i32_e32 v3, 31, v2
	v_fma_f32 v8, v18, s14, -v1
	v_lshlrev_b64 v[1:2], 3, v[2:3]
	v_mul_f32_e32 v9, s14, v19
	v_add_co_u32_e32 v1, vcc, v6, v1
	v_addc_co_u32_e32 v2, vcc, v7, v2, vcc
	v_fmac_f32_e32 v9, s15, v18
	v_cmp_eq_u32_e32 vcc, v5, v0
	flat_store_dwordx2 v[1:2], v[8:9]
	s_and_b64 exec, exec, vcc
	s_cbranch_execz .LBB1756_24
; %bb.23:
	v_mov_b32_e32 v0, 0
	flat_store_dword v[1:2], v0 offset:4
.LBB1756_24:
	s_endpgm
	.section	.rodata,"a",@progbits
	.p2align	6, 0x0
	.amdhsa_kernel _ZL34rocblas_syrkx_herkx_general_kernelIl19rocblas_complex_numIfELi16ELi32ELi8ELb1ELb1ELc84ELc76EKPKS1_KPS1_EviT_T0_PT8_S7_lSA_S7_lS8_PT9_S7_li
		.amdhsa_group_segment_fixed_size 4096
		.amdhsa_private_segment_fixed_size 0
		.amdhsa_kernarg_size 108
		.amdhsa_user_sgpr_count 6
		.amdhsa_user_sgpr_private_segment_buffer 1
		.amdhsa_user_sgpr_dispatch_ptr 0
		.amdhsa_user_sgpr_queue_ptr 0
		.amdhsa_user_sgpr_kernarg_segment_ptr 1
		.amdhsa_user_sgpr_dispatch_id 0
		.amdhsa_user_sgpr_flat_scratch_init 0
		.amdhsa_user_sgpr_private_segment_size 0
		.amdhsa_uses_dynamic_stack 0
		.amdhsa_system_sgpr_private_segment_wavefront_offset 0
		.amdhsa_system_sgpr_workgroup_id_x 1
		.amdhsa_system_sgpr_workgroup_id_y 1
		.amdhsa_system_sgpr_workgroup_id_z 1
		.amdhsa_system_sgpr_workgroup_info 0
		.amdhsa_system_vgpr_workitem_id 1
		.amdhsa_next_free_vgpr 50
		.amdhsa_next_free_sgpr 24
		.amdhsa_reserve_vcc 1
		.amdhsa_reserve_flat_scratch 0
		.amdhsa_float_round_mode_32 0
		.amdhsa_float_round_mode_16_64 0
		.amdhsa_float_denorm_mode_32 3
		.amdhsa_float_denorm_mode_16_64 3
		.amdhsa_dx10_clamp 1
		.amdhsa_ieee_mode 1
		.amdhsa_fp16_overflow 0
		.amdhsa_exception_fp_ieee_invalid_op 0
		.amdhsa_exception_fp_denorm_src 0
		.amdhsa_exception_fp_ieee_div_zero 0
		.amdhsa_exception_fp_ieee_overflow 0
		.amdhsa_exception_fp_ieee_underflow 0
		.amdhsa_exception_fp_ieee_inexact 0
		.amdhsa_exception_int_div_zero 0
	.end_amdhsa_kernel
	.section	.text._ZL34rocblas_syrkx_herkx_general_kernelIl19rocblas_complex_numIfELi16ELi32ELi8ELb1ELb1ELc84ELc76EKPKS1_KPS1_EviT_T0_PT8_S7_lSA_S7_lS8_PT9_S7_li,"axG",@progbits,_ZL34rocblas_syrkx_herkx_general_kernelIl19rocblas_complex_numIfELi16ELi32ELi8ELb1ELb1ELc84ELc76EKPKS1_KPS1_EviT_T0_PT8_S7_lSA_S7_lS8_PT9_S7_li,comdat
.Lfunc_end1756:
	.size	_ZL34rocblas_syrkx_herkx_general_kernelIl19rocblas_complex_numIfELi16ELi32ELi8ELb1ELb1ELc84ELc76EKPKS1_KPS1_EviT_T0_PT8_S7_lSA_S7_lS8_PT9_S7_li, .Lfunc_end1756-_ZL34rocblas_syrkx_herkx_general_kernelIl19rocblas_complex_numIfELi16ELi32ELi8ELb1ELb1ELc84ELc76EKPKS1_KPS1_EviT_T0_PT8_S7_lSA_S7_lS8_PT9_S7_li
                                        ; -- End function
	.set _ZL34rocblas_syrkx_herkx_general_kernelIl19rocblas_complex_numIfELi16ELi32ELi8ELb1ELb1ELc84ELc76EKPKS1_KPS1_EviT_T0_PT8_S7_lSA_S7_lS8_PT9_S7_li.num_vgpr, 50
	.set _ZL34rocblas_syrkx_herkx_general_kernelIl19rocblas_complex_numIfELi16ELi32ELi8ELb1ELb1ELc84ELc76EKPKS1_KPS1_EviT_T0_PT8_S7_lSA_S7_lS8_PT9_S7_li.num_agpr, 0
	.set _ZL34rocblas_syrkx_herkx_general_kernelIl19rocblas_complex_numIfELi16ELi32ELi8ELb1ELb1ELc84ELc76EKPKS1_KPS1_EviT_T0_PT8_S7_lSA_S7_lS8_PT9_S7_li.numbered_sgpr, 24
	.set _ZL34rocblas_syrkx_herkx_general_kernelIl19rocblas_complex_numIfELi16ELi32ELi8ELb1ELb1ELc84ELc76EKPKS1_KPS1_EviT_T0_PT8_S7_lSA_S7_lS8_PT9_S7_li.num_named_barrier, 0
	.set _ZL34rocblas_syrkx_herkx_general_kernelIl19rocblas_complex_numIfELi16ELi32ELi8ELb1ELb1ELc84ELc76EKPKS1_KPS1_EviT_T0_PT8_S7_lSA_S7_lS8_PT9_S7_li.private_seg_size, 0
	.set _ZL34rocblas_syrkx_herkx_general_kernelIl19rocblas_complex_numIfELi16ELi32ELi8ELb1ELb1ELc84ELc76EKPKS1_KPS1_EviT_T0_PT8_S7_lSA_S7_lS8_PT9_S7_li.uses_vcc, 1
	.set _ZL34rocblas_syrkx_herkx_general_kernelIl19rocblas_complex_numIfELi16ELi32ELi8ELb1ELb1ELc84ELc76EKPKS1_KPS1_EviT_T0_PT8_S7_lSA_S7_lS8_PT9_S7_li.uses_flat_scratch, 0
	.set _ZL34rocblas_syrkx_herkx_general_kernelIl19rocblas_complex_numIfELi16ELi32ELi8ELb1ELb1ELc84ELc76EKPKS1_KPS1_EviT_T0_PT8_S7_lSA_S7_lS8_PT9_S7_li.has_dyn_sized_stack, 0
	.set _ZL34rocblas_syrkx_herkx_general_kernelIl19rocblas_complex_numIfELi16ELi32ELi8ELb1ELb1ELc84ELc76EKPKS1_KPS1_EviT_T0_PT8_S7_lSA_S7_lS8_PT9_S7_li.has_recursion, 0
	.set _ZL34rocblas_syrkx_herkx_general_kernelIl19rocblas_complex_numIfELi16ELi32ELi8ELb1ELb1ELc84ELc76EKPKS1_KPS1_EviT_T0_PT8_S7_lSA_S7_lS8_PT9_S7_li.has_indirect_call, 0
	.section	.AMDGPU.csdata,"",@progbits
; Kernel info:
; codeLenInByte = 2300
; TotalNumSgprs: 28
; NumVgprs: 50
; ScratchSize: 0
; MemoryBound: 1
; FloatMode: 240
; IeeeMode: 1
; LDSByteSize: 4096 bytes/workgroup (compile time only)
; SGPRBlocks: 3
; VGPRBlocks: 12
; NumSGPRsForWavesPerEU: 28
; NumVGPRsForWavesPerEU: 50
; Occupancy: 4
; WaveLimiterHint : 1
; COMPUTE_PGM_RSRC2:SCRATCH_EN: 0
; COMPUTE_PGM_RSRC2:USER_SGPR: 6
; COMPUTE_PGM_RSRC2:TRAP_HANDLER: 0
; COMPUTE_PGM_RSRC2:TGID_X_EN: 1
; COMPUTE_PGM_RSRC2:TGID_Y_EN: 1
; COMPUTE_PGM_RSRC2:TGID_Z_EN: 1
; COMPUTE_PGM_RSRC2:TIDIG_COMP_CNT: 1
	.section	.text._ZL34rocblas_syrkx_herkx_general_kernelIl19rocblas_complex_numIfELi16ELi32ELi8ELb1ELb1ELc67ELc76EKPKS1_KPS1_EviT_T0_PT8_S7_lSA_S7_lS8_PT9_S7_li,"axG",@progbits,_ZL34rocblas_syrkx_herkx_general_kernelIl19rocblas_complex_numIfELi16ELi32ELi8ELb1ELb1ELc67ELc76EKPKS1_KPS1_EviT_T0_PT8_S7_lSA_S7_lS8_PT9_S7_li,comdat
	.globl	_ZL34rocblas_syrkx_herkx_general_kernelIl19rocblas_complex_numIfELi16ELi32ELi8ELb1ELb1ELc67ELc76EKPKS1_KPS1_EviT_T0_PT8_S7_lSA_S7_lS8_PT9_S7_li ; -- Begin function _ZL34rocblas_syrkx_herkx_general_kernelIl19rocblas_complex_numIfELi16ELi32ELi8ELb1ELb1ELc67ELc76EKPKS1_KPS1_EviT_T0_PT8_S7_lSA_S7_lS8_PT9_S7_li
	.p2align	8
	.type	_ZL34rocblas_syrkx_herkx_general_kernelIl19rocblas_complex_numIfELi16ELi32ELi8ELb1ELb1ELc67ELc76EKPKS1_KPS1_EviT_T0_PT8_S7_lSA_S7_lS8_PT9_S7_li,@function
_ZL34rocblas_syrkx_herkx_general_kernelIl19rocblas_complex_numIfELi16ELi32ELi8ELb1ELb1ELc67ELc76EKPKS1_KPS1_EviT_T0_PT8_S7_lSA_S7_lS8_PT9_S7_li: ; @_ZL34rocblas_syrkx_herkx_general_kernelIl19rocblas_complex_numIfELi16ELi32ELi8ELb1ELb1ELc67ELc76EKPKS1_KPS1_EviT_T0_PT8_S7_lSA_S7_lS8_PT9_S7_li
; %bb.0:
	s_load_dwordx4 s[20:23], s[4:5], 0x50
	s_load_dword s10, s[4:5], 0x0
	s_load_dwordx8 s[12:19], s[4:5], 0x8
	s_mov_b32 s9, 0
	s_lshl_b64 s[0:1], s[8:9], 3
	s_waitcnt lgkmcnt(0)
	s_add_u32 s2, s20, s0
	s_addc_u32 s3, s21, s1
	s_load_dwordx2 s[8:9], s[2:3], 0x0
	v_cmp_lt_i64_e64 s[2:3], s[12:13], 1
	s_lshl_b32 s11, s6, 5
	s_lshl_b32 s20, s7, 5
	s_and_b64 vcc, exec, s[2:3]
	s_cbranch_vccnz .LBB1757_11
; %bb.1:
	s_load_dwordx4 s[4:7], s[4:5], 0x30
	v_lshl_add_u32 v2, v1, 4, v0
	v_and_b32_e32 v5, 31, v2
	v_or_b32_e32 v6, s11, v5
	v_and_b32_e32 v11, 7, v0
	v_lshrrev_b32_e32 v3, 3, v2
	v_lshrrev_b32_e32 v10, 5, v2
	v_cmp_gt_i32_e32 vcc, s10, v6
	v_lshlrev_b32_e32 v2, 3, v5
	v_lshlrev_b32_e32 v6, 3, v11
	v_lshl_or_b32 v12, v10, 8, v2
	v_lshl_or_b32 v2, v3, 6, v6
	s_waitcnt lgkmcnt(0)
	s_add_u32 s2, s4, s0
	v_add_u32_e32 v13, 0x800, v2
	v_add_u32_e32 v2, s11, v5
	;; [unrolled: 1-line block ×3, first 2 shown]
	s_addc_u32 s3, s5, s1
	v_ashrrev_i32_e32 v3, 31, v2
	s_load_dwordx2 s[4:5], s[2:3], 0x0
	v_mul_lo_u32 v5, s18, v3
	v_mul_lo_u32 v8, s19, v2
	v_mad_u64_u32 v[2:3], s[2:3], s18, v2, 0
	s_add_u32 s0, s16, s0
	s_addc_u32 s1, s17, s1
	v_add3_u32 v3, v3, v5, v8
	v_lshlrev_b64 v[2:3], 3, v[2:3]
	v_lshlrev_b32_e32 v5, 3, v10
	v_ashrrev_i32_e32 v7, 31, v4
	v_mov_b32_e32 v9, 0x800
	v_add_co_u32_e64 v2, s[2:3], v2, v5
	s_load_dwordx2 s[16:17], s[0:1], 0x0
	v_cmp_gt_i32_e64 s[0:1], s10, v4
	v_lshl_add_u32 v15, v1, 6, v9
	v_addc_co_u32_e64 v3, s[2:3], 0, v3, s[2:3]
	v_mul_lo_u32 v7, s6, v7
	v_mul_lo_u32 v9, s7, v4
	v_mad_u64_u32 v[4:5], s[2:3], s6, v4, 0
	s_waitcnt lgkmcnt(0)
	v_mov_b32_e32 v8, s17
	v_add_co_u32_e64 v2, s[2:3], s16, v2
	v_add3_u32 v5, v5, v7, v9
	v_lshlrev_b64 v[4:5], 3, v[4:5]
	v_addc_co_u32_e64 v3, s[2:3], v8, v3, s[2:3]
	v_add_co_u32_e64 v4, s[2:3], v4, v6
	v_addc_co_u32_e64 v5, s[2:3], 0, v5, s[2:3]
	v_mov_b32_e32 v6, s5
	v_add_co_u32_e64 v4, s[2:3], s4, v4
	v_addc_co_u32_e64 v5, s[2:3], v6, v5, s[2:3]
	v_mov_b32_e32 v8, s12
	v_lshlrev_b32_e32 v14, 3, v0
	s_mov_b64 s[2:3], 0
	s_xor_b64 s[4:5], vcc, -1
	s_xor_b64 s[6:7], s[0:1], -1
	v_mov_b32_e32 v19, 0
	v_mov_b32_e32 v18, 0
	;; [unrolled: 1-line block ×10, first 2 shown]
	s_branch .LBB1757_3
.LBB1757_2:                             ;   in Loop: Header=BB1757_3 Depth=1
	s_or_b64 exec, exec, s[0:1]
	s_waitcnt lgkmcnt(0)
	s_barrier
	ds_read2_b64 v[24:27], v14 offset1:16
	ds_read_b128 v[28:31], v15
	ds_read_b128 v[32:35], v15 offset:16
	s_add_u32 s2, s2, 8
	v_add_co_u32_e32 v2, vcc, 64, v2
	s_waitcnt lgkmcnt(1)
	v_mul_f32_e32 v36, v28, v25
	v_fmac_f32_e32 v36, v29, v24
	v_add_f32_e32 v44, v21, v36
	ds_read_b128 v[36:39], v15 offset:1024
	v_mul_f32_e32 v7, v29, v25
	v_fma_f32 v7, v28, v24, -v7
	v_add_f32_e32 v7, v20, v7
	v_mul_f32_e32 v20, v29, v27
	v_mul_f32_e32 v21, v28, v27
	v_fma_f32 v20, v28, v26, -v20
	v_fmac_f32_e32 v21, v29, v26
	v_add_f32_e32 v28, v22, v20
	v_add_f32_e32 v29, v23, v21
	ds_read_b128 v[20:23], v15 offset:1040
	s_waitcnt lgkmcnt(1)
	v_mul_f32_e32 v40, v37, v25
	v_fma_f32 v40, v36, v24, -v40
	v_add_f32_e32 v45, v16, v40
	ds_read2_b64 v[40:43], v14 offset0:32 offset1:48
	v_mul_f32_e32 v25, v36, v25
	v_mul_f32_e32 v16, v37, v27
	v_fmac_f32_e32 v25, v37, v24
	v_fma_f32 v16, v36, v26, -v16
	v_add_f32_e32 v46, v17, v25
	v_mul_f32_e32 v17, v36, v27
	v_add_f32_e32 v36, v18, v16
	s_waitcnt lgkmcnt(0)
	v_mul_f32_e32 v16, v31, v41
	v_fma_f32 v47, v30, v40, -v16
	v_mul_f32_e32 v16, v31, v43
	v_fma_f32 v49, v30, v42, -v16
	v_mul_f32_e32 v48, v30, v41
	v_mul_f32_e32 v30, v30, v43
	v_add_f32_e32 v7, v7, v47
	v_add_f32_e32 v47, v28, v49
	v_mul_f32_e32 v28, v39, v41
	v_fmac_f32_e32 v17, v37, v26
	v_fmac_f32_e32 v48, v31, v40
	;; [unrolled: 1-line block ×3, first 2 shown]
	v_fma_f32 v49, v38, v40, -v28
	v_mul_f32_e32 v41, v38, v41
	v_mul_f32_e32 v28, v39, v43
	v_add_f32_e32 v37, v19, v17
	ds_read_b128 v[16:19], v15 offset:32
	ds_read_b128 v[24:27], v15 offset:48
	v_add_f32_e32 v44, v44, v48
	v_add_f32_e32 v48, v29, v30
	v_fmac_f32_e32 v41, v39, v40
	v_fma_f32 v40, v38, v42, -v28
	ds_read2_b64 v[28:31], v14 offset0:64 offset1:80
	v_add_f32_e32 v40, v36, v40
	v_mul_f32_e32 v38, v38, v43
	v_fmac_f32_e32 v38, v39, v42
	v_add_f32_e32 v42, v37, v38
	s_waitcnt lgkmcnt(0)
	v_mul_f32_e32 v36, v33, v29
	v_fma_f32 v36, v32, v28, -v36
	v_add_f32_e32 v7, v7, v36
	v_mul_f32_e32 v36, v33, v31
	v_mul_f32_e32 v37, v32, v29
	v_fma_f32 v36, v32, v30, -v36
	v_mul_f32_e32 v32, v32, v31
	v_fmac_f32_e32 v37, v33, v28
	v_fmac_f32_e32 v32, v33, v30
	v_add_f32_e32 v33, v47, v36
	v_mul_f32_e32 v36, v21, v29
	v_add_f32_e32 v39, v45, v49
	v_fma_f32 v36, v20, v28, -v36
	v_mul_f32_e32 v29, v20, v29
	v_add_f32_e32 v41, v46, v41
	v_fmac_f32_e32 v29, v21, v28
	v_add_f32_e32 v28, v39, v36
	v_mul_f32_e32 v36, v21, v31
	v_add_f32_e32 v43, v44, v37
	v_add_f32_e32 v29, v41, v29
	v_fma_f32 v41, v20, v30, -v36
	ds_read2_b64 v[36:39], v14 offset0:96 offset1:112
	v_mul_f32_e32 v20, v20, v31
	v_fmac_f32_e32 v20, v21, v30
	v_add_f32_e32 v21, v40, v41
	v_add_f32_e32 v32, v48, v32
	s_waitcnt lgkmcnt(0)
	v_mul_f32_e32 v30, v35, v37
	v_fma_f32 v30, v34, v36, -v30
	v_mul_f32_e32 v31, v34, v37
	v_fmac_f32_e32 v31, v35, v36
	v_add_f32_e32 v7, v7, v30
	v_mul_f32_e32 v30, v35, v39
	v_add_f32_e32 v40, v43, v31
	v_fma_f32 v30, v34, v38, -v30
	v_mul_f32_e32 v31, v34, v39
	v_fmac_f32_e32 v31, v35, v38
	v_add_f32_e32 v33, v33, v30
	v_mul_f32_e32 v30, v23, v37
	v_add_f32_e32 v32, v32, v31
	;; [unrolled: 6-line block ×3, first 2 shown]
	v_fma_f32 v34, v22, v38, -v28
	ds_read2_b64 v[28:31], v14 offset0:128 offset1:144
	v_mul_f32_e32 v22, v22, v39
	v_add_f32_e32 v20, v42, v20
	v_fmac_f32_e32 v22, v23, v38
	v_add_f32_e32 v42, v20, v22
	s_waitcnt lgkmcnt(0)
	v_mul_f32_e32 v20, v17, v29
	v_add_f32_e32 v41, v21, v34
	v_fma_f32 v20, v16, v28, -v20
	v_mul_f32_e32 v21, v16, v29
	v_fmac_f32_e32 v21, v17, v28
	v_add_f32_e32 v7, v7, v20
	v_mul_f32_e32 v20, v17, v31
	v_add_f32_e32 v40, v40, v21
	v_fma_f32 v34, v16, v30, -v20
	ds_read_b128 v[20:23], v15 offset:1056
	v_mul_f32_e32 v16, v16, v31
	v_fmac_f32_e32 v16, v17, v30
	v_add_f32_e32 v17, v33, v34
	v_add_f32_e32 v16, v32, v16
	ds_read_b128 v[32:35], v15 offset:1072
	s_waitcnt lgkmcnt(1)
	v_mul_f32_e32 v38, v21, v29
	v_fma_f32 v38, v20, v28, -v38
	v_mul_f32_e32 v29, v20, v29
	v_fmac_f32_e32 v29, v21, v28
	v_add_f32_e32 v28, v36, v38
	v_mul_f32_e32 v36, v21, v31
	v_add_f32_e32 v29, v37, v29
	v_fma_f32 v43, v20, v30, -v36
	ds_read2_b64 v[36:39], v14 offset0:160 offset1:176
	v_mul_f32_e32 v20, v20, v31
	v_fmac_f32_e32 v20, v21, v30
	v_add_f32_e32 v20, v42, v20
	v_add_f32_e32 v21, v41, v43
	s_waitcnt lgkmcnt(0)
	v_mul_f32_e32 v30, v19, v37
	v_mul_f32_e32 v31, v18, v37
	v_fma_f32 v30, v18, v36, -v30
	v_fmac_f32_e32 v31, v19, v36
	v_add_f32_e32 v7, v7, v30
	v_add_f32_e32 v30, v40, v31
	v_mul_f32_e32 v31, v19, v39
	v_fma_f32 v31, v18, v38, -v31
	v_mul_f32_e32 v18, v18, v39
	v_fmac_f32_e32 v18, v19, v38
	v_add_f32_e32 v40, v16, v18
	v_mul_f32_e32 v16, v23, v37
	v_add_f32_e32 v31, v17, v31
	v_fma_f32 v16, v22, v36, -v16
	v_mul_f32_e32 v17, v22, v37
	v_fmac_f32_e32 v17, v23, v36
	v_add_f32_e32 v28, v28, v16
	v_mul_f32_e32 v16, v23, v39
	v_add_f32_e32 v29, v29, v17
	v_fma_f32 v36, v22, v38, -v16
	ds_read2_b64 v[16:19], v14 offset0:192 offset1:208
	v_mul_f32_e32 v22, v22, v39
	v_fmac_f32_e32 v22, v23, v38
	v_add_f32_e32 v20, v20, v22
	v_add_f32_e32 v21, v21, v36
	s_waitcnt lgkmcnt(0)
	v_mul_f32_e32 v22, v25, v17
	v_mul_f32_e32 v23, v24, v17
	v_fma_f32 v22, v24, v16, -v22
	v_fmac_f32_e32 v23, v25, v16
	v_add_f32_e32 v7, v7, v22
	v_add_f32_e32 v22, v30, v23
	v_mul_f32_e32 v23, v25, v19
	v_fma_f32 v23, v24, v18, -v23
	v_mul_f32_e32 v24, v24, v19
	v_fmac_f32_e32 v24, v25, v18
	v_mul_f32_e32 v25, v33, v17
	v_mul_f32_e32 v17, v32, v17
	v_fma_f32 v25, v32, v16, -v25
	v_fmac_f32_e32 v17, v33, v16
	v_add_f32_e32 v23, v31, v23
	v_add_f32_e32 v16, v28, v25
	;; [unrolled: 1-line block ×3, first 2 shown]
	ds_read2_b64 v[28:31], v14 offset0:224 offset1:240
	v_mul_f32_e32 v25, v33, v19
	v_mul_f32_e32 v19, v32, v19
	v_fmac_f32_e32 v19, v33, v18
	v_add_f32_e32 v19, v20, v19
	s_waitcnt lgkmcnt(0)
	v_mul_f32_e32 v20, v27, v29
	v_fma_f32 v25, v32, v18, -v25
	v_fma_f32 v20, v26, v28, -v20
	v_add_f32_e32 v18, v21, v25
	v_mul_f32_e32 v21, v26, v29
	v_add_f32_e32 v20, v7, v20
	v_mul_f32_e32 v7, v27, v31
	v_mul_f32_e32 v25, v26, v31
	v_add_f32_e32 v24, v40, v24
	v_fmac_f32_e32 v21, v27, v28
	v_fma_f32 v7, v26, v30, -v7
	v_fmac_f32_e32 v25, v27, v30
	v_add_f32_e32 v21, v22, v21
	v_add_f32_e32 v22, v23, v7
	;; [unrolled: 1-line block ×3, first 2 shown]
	v_mul_f32_e32 v7, v35, v29
	v_mul_f32_e32 v24, v34, v29
	v_fma_f32 v7, v34, v28, -v7
	v_fmac_f32_e32 v24, v35, v28
	s_addc_u32 s3, s3, 0
	v_addc_co_u32_e32 v3, vcc, 0, v3, vcc
	v_add_f32_e32 v16, v16, v7
	v_add_f32_e32 v17, v17, v24
	v_mul_f32_e32 v7, v35, v31
	v_mul_f32_e32 v24, v34, v31
	v_cmp_ge_i64_e32 vcc, s[2:3], v[8:9]
	v_fma_f32 v7, v34, v30, -v7
	v_fmac_f32_e32 v24, v35, v30
	v_add_co_u32_e64 v4, s[0:1], 64, v4
	v_add_f32_e32 v18, v18, v7
	v_add_f32_e32 v19, v19, v24
	v_addc_co_u32_e64 v5, s[0:1], 0, v5, s[0:1]
	s_barrier
	s_cbranch_vccnz .LBB1757_12
.LBB1757_3:                             ; =>This Inner Loop Header: Depth=1
	v_mov_b32_e32 v7, s3
	v_add_co_u32_e32 v24, vcc, s2, v10
	v_addc_co_u32_e32 v25, vcc, 0, v7, vcc
	v_cmp_le_i64_e32 vcc, s[12:13], v[24:25]
	s_or_b64 s[0:1], s[4:5], vcc
	s_and_saveexec_b64 s[16:17], s[0:1]
	s_xor_b64 s[0:1], exec, s[16:17]
; %bb.4:                                ;   in Loop: Header=BB1757_3 Depth=1
	ds_write_b32 v12, v6
; %bb.5:                                ;   in Loop: Header=BB1757_3 Depth=1
	s_or_saveexec_b64 s[0:1], s[0:1]
	v_mov_b32_e32 v7, 0
	s_xor_b64 exec, exec, s[0:1]
	s_cbranch_execz .LBB1757_7
; %bb.6:                                ;   in Loop: Header=BB1757_3 Depth=1
	flat_load_dwordx2 v[24:25], v[2:3]
	s_waitcnt vmcnt(0) lgkmcnt(0)
	v_xor_b32_e32 v7, 0x80000000, v25
	ds_write_b32 v12, v24
.LBB1757_7:                             ;   in Loop: Header=BB1757_3 Depth=1
	s_or_b64 exec, exec, s[0:1]
	v_mov_b32_e32 v25, s3
	v_add_co_u32_e32 v24, vcc, s2, v11
	v_addc_co_u32_e32 v25, vcc, 0, v25, vcc
	v_cmp_le_i64_e32 vcc, s[12:13], v[24:25]
	ds_write_b32 v12, v7 offset:4
	s_or_b64 s[0:1], vcc, s[6:7]
	s_and_saveexec_b64 s[16:17], s[0:1]
	s_xor_b64 s[0:1], exec, s[16:17]
; %bb.8:                                ;   in Loop: Header=BB1757_3 Depth=1
	v_mov_b32_e32 v7, v6
	ds_write_b64 v13, v[6:7]
; %bb.9:                                ;   in Loop: Header=BB1757_3 Depth=1
	s_andn2_saveexec_b64 s[0:1], s[0:1]
	s_cbranch_execz .LBB1757_2
; %bb.10:                               ;   in Loop: Header=BB1757_3 Depth=1
	flat_load_dwordx2 v[24:25], v[4:5]
	s_waitcnt vmcnt(0) lgkmcnt(0)
	ds_write_b64 v13, v[24:25]
	s_branch .LBB1757_2
.LBB1757_11:
	v_mov_b32_e32 v20, 0
	v_mov_b32_e32 v21, 0
	;; [unrolled: 1-line block ×8, first 2 shown]
.LBB1757_12:
	v_add_u32_e32 v5, s20, v1
	v_ashrrev_i32_e32 v1, 31, v5
	v_mul_lo_u32 v3, s22, v1
	v_mul_lo_u32 v4, s23, v5
	v_mad_u64_u32 v[1:2], s[0:1], s22, v5, 0
	v_add_u32_e32 v0, s11, v0
	v_cmp_le_i32_e64 s[0:1], v5, v0
	v_add3_u32 v2, v2, v3, v4
	v_lshlrev_b64 v[1:2], 3, v[1:2]
	s_waitcnt lgkmcnt(0)
	v_mov_b32_e32 v3, s9
	v_add_co_u32_e32 v4, vcc, s8, v1
	v_addc_co_u32_e32 v6, vcc, v3, v2, vcc
	v_cmp_gt_i32_e32 vcc, s10, v0
	s_and_b64 s[0:1], s[0:1], vcc
	s_and_saveexec_b64 s[2:3], s[0:1]
	s_cbranch_execz .LBB1757_15
; %bb.13:
	v_mul_f32_e32 v1, s15, v21
	v_fma_f32 v7, v20, s14, -v1
	v_ashrrev_i32_e32 v1, 31, v0
	v_lshlrev_b64 v[1:2], 3, v[0:1]
	v_mul_f32_e32 v8, s14, v21
	v_add_co_u32_e64 v1, s[0:1], v4, v1
	v_addc_co_u32_e64 v2, s[0:1], v6, v2, s[0:1]
	v_fmac_f32_e32 v8, s15, v20
	v_cmp_eq_u32_e64 s[0:1], v5, v0
	flat_store_dwordx2 v[1:2], v[7:8]
	s_and_b64 exec, exec, s[0:1]
	s_cbranch_execz .LBB1757_15
; %bb.14:
	v_mov_b32_e32 v3, 0
	flat_store_dword v[1:2], v3 offset:4
.LBB1757_15:
	s_or_b64 exec, exec, s[2:3]
	v_add_u32_e32 v2, 16, v0
	v_cmp_le_i32_e64 s[2:3], v5, v2
	v_cmp_gt_i32_e64 s[0:1], s10, v2
	s_and_b64 s[2:3], s[2:3], s[0:1]
	s_and_saveexec_b64 s[4:5], s[2:3]
	s_cbranch_execz .LBB1757_18
; %bb.16:
	v_ashrrev_i32_e32 v3, 31, v2
	v_lshlrev_b64 v[9:10], 3, v[2:3]
	v_mul_f32_e32 v1, s15, v23
	v_add_co_u32_e64 v3, s[2:3], v4, v9
	v_mul_f32_e32 v8, s14, v23
	v_addc_co_u32_e64 v4, s[2:3], v6, v10, s[2:3]
	v_fma_f32 v7, v22, s14, -v1
	v_fmac_f32_e32 v8, s15, v22
	v_cmp_eq_u32_e64 s[2:3], v5, v2
	flat_store_dwordx2 v[3:4], v[7:8]
	s_and_b64 exec, exec, s[2:3]
	s_cbranch_execz .LBB1757_18
; %bb.17:
	v_mov_b32_e32 v1, 0
	flat_store_dword v[3:4], v1 offset:4
.LBB1757_18:
	s_or_b64 exec, exec, s[4:5]
	v_add_u32_e32 v8, 16, v5
	v_ashrrev_i32_e32 v1, 31, v8
	v_mul_lo_u32 v6, s23, v8
	v_mad_u64_u32 v[3:4], s[2:3], s22, v8, 0
	v_mul_lo_u32 v1, s22, v1
	v_add3_u32 v4, v4, v1, v6
	v_lshlrev_b64 v[3:4], 3, v[3:4]
	v_mov_b32_e32 v1, s9
	v_add_co_u32_e64 v6, s[2:3], s8, v3
	v_addc_co_u32_e64 v7, s[2:3], v1, v4, s[2:3]
	v_cmp_le_i32_e64 s[2:3], v8, v0
	s_and_b64 s[4:5], s[2:3], vcc
	s_and_saveexec_b64 s[2:3], s[4:5]
	s_cbranch_execz .LBB1757_21
; %bb.19:
	v_mul_f32_e32 v1, s15, v17
	v_fma_f32 v9, v16, s14, -v1
	v_ashrrev_i32_e32 v1, 31, v0
	v_lshlrev_b64 v[3:4], 3, v[0:1]
	v_mul_f32_e32 v10, s14, v17
	v_add_co_u32_e32 v3, vcc, v6, v3
	v_addc_co_u32_e32 v4, vcc, v7, v4, vcc
	v_fmac_f32_e32 v10, s15, v16
	v_cmp_eq_u32_e32 vcc, v8, v0
	flat_store_dwordx2 v[3:4], v[9:10]
	s_and_b64 exec, exec, vcc
	s_cbranch_execz .LBB1757_21
; %bb.20:
	v_mov_b32_e32 v1, 0
	flat_store_dword v[3:4], v1 offset:4
.LBB1757_21:
	s_or_b64 exec, exec, s[2:3]
	v_cmp_le_i32_e32 vcc, v8, v2
	s_and_b64 s[0:1], vcc, s[0:1]
	s_and_saveexec_b64 s[2:3], s[0:1]
	s_cbranch_execz .LBB1757_24
; %bb.22:
	v_mul_f32_e32 v1, s15, v19
	v_ashrrev_i32_e32 v3, 31, v2
	v_fma_f32 v8, v18, s14, -v1
	v_lshlrev_b64 v[1:2], 3, v[2:3]
	v_mul_f32_e32 v9, s14, v19
	v_add_co_u32_e32 v1, vcc, v6, v1
	v_addc_co_u32_e32 v2, vcc, v7, v2, vcc
	v_fmac_f32_e32 v9, s15, v18
	v_cmp_eq_u32_e32 vcc, v5, v0
	flat_store_dwordx2 v[1:2], v[8:9]
	s_and_b64 exec, exec, vcc
	s_cbranch_execz .LBB1757_24
; %bb.23:
	v_mov_b32_e32 v0, 0
	flat_store_dword v[1:2], v0 offset:4
.LBB1757_24:
	s_endpgm
	.section	.rodata,"a",@progbits
	.p2align	6, 0x0
	.amdhsa_kernel _ZL34rocblas_syrkx_herkx_general_kernelIl19rocblas_complex_numIfELi16ELi32ELi8ELb1ELb1ELc67ELc76EKPKS1_KPS1_EviT_T0_PT8_S7_lSA_S7_lS8_PT9_S7_li
		.amdhsa_group_segment_fixed_size 4096
		.amdhsa_private_segment_fixed_size 0
		.amdhsa_kernarg_size 108
		.amdhsa_user_sgpr_count 6
		.amdhsa_user_sgpr_private_segment_buffer 1
		.amdhsa_user_sgpr_dispatch_ptr 0
		.amdhsa_user_sgpr_queue_ptr 0
		.amdhsa_user_sgpr_kernarg_segment_ptr 1
		.amdhsa_user_sgpr_dispatch_id 0
		.amdhsa_user_sgpr_flat_scratch_init 0
		.amdhsa_user_sgpr_private_segment_size 0
		.amdhsa_uses_dynamic_stack 0
		.amdhsa_system_sgpr_private_segment_wavefront_offset 0
		.amdhsa_system_sgpr_workgroup_id_x 1
		.amdhsa_system_sgpr_workgroup_id_y 1
		.amdhsa_system_sgpr_workgroup_id_z 1
		.amdhsa_system_sgpr_workgroup_info 0
		.amdhsa_system_vgpr_workitem_id 1
		.amdhsa_next_free_vgpr 50
		.amdhsa_next_free_sgpr 24
		.amdhsa_reserve_vcc 1
		.amdhsa_reserve_flat_scratch 0
		.amdhsa_float_round_mode_32 0
		.amdhsa_float_round_mode_16_64 0
		.amdhsa_float_denorm_mode_32 3
		.amdhsa_float_denorm_mode_16_64 3
		.amdhsa_dx10_clamp 1
		.amdhsa_ieee_mode 1
		.amdhsa_fp16_overflow 0
		.amdhsa_exception_fp_ieee_invalid_op 0
		.amdhsa_exception_fp_denorm_src 0
		.amdhsa_exception_fp_ieee_div_zero 0
		.amdhsa_exception_fp_ieee_overflow 0
		.amdhsa_exception_fp_ieee_underflow 0
		.amdhsa_exception_fp_ieee_inexact 0
		.amdhsa_exception_int_div_zero 0
	.end_amdhsa_kernel
	.section	.text._ZL34rocblas_syrkx_herkx_general_kernelIl19rocblas_complex_numIfELi16ELi32ELi8ELb1ELb1ELc67ELc76EKPKS1_KPS1_EviT_T0_PT8_S7_lSA_S7_lS8_PT9_S7_li,"axG",@progbits,_ZL34rocblas_syrkx_herkx_general_kernelIl19rocblas_complex_numIfELi16ELi32ELi8ELb1ELb1ELc67ELc76EKPKS1_KPS1_EviT_T0_PT8_S7_lSA_S7_lS8_PT9_S7_li,comdat
.Lfunc_end1757:
	.size	_ZL34rocblas_syrkx_herkx_general_kernelIl19rocblas_complex_numIfELi16ELi32ELi8ELb1ELb1ELc67ELc76EKPKS1_KPS1_EviT_T0_PT8_S7_lSA_S7_lS8_PT9_S7_li, .Lfunc_end1757-_ZL34rocblas_syrkx_herkx_general_kernelIl19rocblas_complex_numIfELi16ELi32ELi8ELb1ELb1ELc67ELc76EKPKS1_KPS1_EviT_T0_PT8_S7_lSA_S7_lS8_PT9_S7_li
                                        ; -- End function
	.set _ZL34rocblas_syrkx_herkx_general_kernelIl19rocblas_complex_numIfELi16ELi32ELi8ELb1ELb1ELc67ELc76EKPKS1_KPS1_EviT_T0_PT8_S7_lSA_S7_lS8_PT9_S7_li.num_vgpr, 50
	.set _ZL34rocblas_syrkx_herkx_general_kernelIl19rocblas_complex_numIfELi16ELi32ELi8ELb1ELb1ELc67ELc76EKPKS1_KPS1_EviT_T0_PT8_S7_lSA_S7_lS8_PT9_S7_li.num_agpr, 0
	.set _ZL34rocblas_syrkx_herkx_general_kernelIl19rocblas_complex_numIfELi16ELi32ELi8ELb1ELb1ELc67ELc76EKPKS1_KPS1_EviT_T0_PT8_S7_lSA_S7_lS8_PT9_S7_li.numbered_sgpr, 24
	.set _ZL34rocblas_syrkx_herkx_general_kernelIl19rocblas_complex_numIfELi16ELi32ELi8ELb1ELb1ELc67ELc76EKPKS1_KPS1_EviT_T0_PT8_S7_lSA_S7_lS8_PT9_S7_li.num_named_barrier, 0
	.set _ZL34rocblas_syrkx_herkx_general_kernelIl19rocblas_complex_numIfELi16ELi32ELi8ELb1ELb1ELc67ELc76EKPKS1_KPS1_EviT_T0_PT8_S7_lSA_S7_lS8_PT9_S7_li.private_seg_size, 0
	.set _ZL34rocblas_syrkx_herkx_general_kernelIl19rocblas_complex_numIfELi16ELi32ELi8ELb1ELb1ELc67ELc76EKPKS1_KPS1_EviT_T0_PT8_S7_lSA_S7_lS8_PT9_S7_li.uses_vcc, 1
	.set _ZL34rocblas_syrkx_herkx_general_kernelIl19rocblas_complex_numIfELi16ELi32ELi8ELb1ELb1ELc67ELc76EKPKS1_KPS1_EviT_T0_PT8_S7_lSA_S7_lS8_PT9_S7_li.uses_flat_scratch, 0
	.set _ZL34rocblas_syrkx_herkx_general_kernelIl19rocblas_complex_numIfELi16ELi32ELi8ELb1ELb1ELc67ELc76EKPKS1_KPS1_EviT_T0_PT8_S7_lSA_S7_lS8_PT9_S7_li.has_dyn_sized_stack, 0
	.set _ZL34rocblas_syrkx_herkx_general_kernelIl19rocblas_complex_numIfELi16ELi32ELi8ELb1ELb1ELc67ELc76EKPKS1_KPS1_EviT_T0_PT8_S7_lSA_S7_lS8_PT9_S7_li.has_recursion, 0
	.set _ZL34rocblas_syrkx_herkx_general_kernelIl19rocblas_complex_numIfELi16ELi32ELi8ELb1ELb1ELc67ELc76EKPKS1_KPS1_EviT_T0_PT8_S7_lSA_S7_lS8_PT9_S7_li.has_indirect_call, 0
	.section	.AMDGPU.csdata,"",@progbits
; Kernel info:
; codeLenInByte = 2320
; TotalNumSgprs: 28
; NumVgprs: 50
; ScratchSize: 0
; MemoryBound: 1
; FloatMode: 240
; IeeeMode: 1
; LDSByteSize: 4096 bytes/workgroup (compile time only)
; SGPRBlocks: 3
; VGPRBlocks: 12
; NumSGPRsForWavesPerEU: 28
; NumVGPRsForWavesPerEU: 50
; Occupancy: 4
; WaveLimiterHint : 1
; COMPUTE_PGM_RSRC2:SCRATCH_EN: 0
; COMPUTE_PGM_RSRC2:USER_SGPR: 6
; COMPUTE_PGM_RSRC2:TRAP_HANDLER: 0
; COMPUTE_PGM_RSRC2:TGID_X_EN: 1
; COMPUTE_PGM_RSRC2:TGID_Y_EN: 1
; COMPUTE_PGM_RSRC2:TGID_Z_EN: 1
; COMPUTE_PGM_RSRC2:TIDIG_COMP_CNT: 1
	.section	.text._ZL34rocblas_syrkx_herkx_general_kernelIl19rocblas_complex_numIfELi16ELi32ELi8ELb1ELb1ELc78ELc76EKPKS1_KPS1_EviT_T0_PT8_S7_lSA_S7_lS8_PT9_S7_li,"axG",@progbits,_ZL34rocblas_syrkx_herkx_general_kernelIl19rocblas_complex_numIfELi16ELi32ELi8ELb1ELb1ELc78ELc76EKPKS1_KPS1_EviT_T0_PT8_S7_lSA_S7_lS8_PT9_S7_li,comdat
	.globl	_ZL34rocblas_syrkx_herkx_general_kernelIl19rocblas_complex_numIfELi16ELi32ELi8ELb1ELb1ELc78ELc76EKPKS1_KPS1_EviT_T0_PT8_S7_lSA_S7_lS8_PT9_S7_li ; -- Begin function _ZL34rocblas_syrkx_herkx_general_kernelIl19rocblas_complex_numIfELi16ELi32ELi8ELb1ELb1ELc78ELc76EKPKS1_KPS1_EviT_T0_PT8_S7_lSA_S7_lS8_PT9_S7_li
	.p2align	8
	.type	_ZL34rocblas_syrkx_herkx_general_kernelIl19rocblas_complex_numIfELi16ELi32ELi8ELb1ELb1ELc78ELc76EKPKS1_KPS1_EviT_T0_PT8_S7_lSA_S7_lS8_PT9_S7_li,@function
_ZL34rocblas_syrkx_herkx_general_kernelIl19rocblas_complex_numIfELi16ELi32ELi8ELb1ELb1ELc78ELc76EKPKS1_KPS1_EviT_T0_PT8_S7_lSA_S7_lS8_PT9_S7_li: ; @_ZL34rocblas_syrkx_herkx_general_kernelIl19rocblas_complex_numIfELi16ELi32ELi8ELb1ELb1ELc78ELc76EKPKS1_KPS1_EviT_T0_PT8_S7_lSA_S7_lS8_PT9_S7_li
; %bb.0:
	s_load_dwordx4 s[20:23], s[4:5], 0x50
	s_load_dword s24, s[4:5], 0x0
	s_load_dwordx8 s[12:19], s[4:5], 0x8
	s_mov_b32 s9, 0
	s_lshl_b64 s[0:1], s[8:9], 3
	s_waitcnt lgkmcnt(0)
	s_add_u32 s2, s20, s0
	s_addc_u32 s3, s21, s1
	s_load_dwordx2 s[8:9], s[2:3], 0x0
	v_cmp_lt_i64_e64 s[2:3], s[12:13], 1
	s_lshl_b32 s20, s6, 5
	s_lshl_b32 s21, s7, 5
	s_and_b64 vcc, exec, s[2:3]
	s_cbranch_vccnz .LBB1758_11
; %bb.1:
	s_load_dwordx4 s[4:7], s[4:5], 0x30
	v_lshl_add_u32 v2, v1, 4, v0
	v_and_b32_e32 v8, 31, v2
	v_lshrrev_b32_e32 v5, 3, v2
	v_or_b32_e32 v3, s20, v8
	s_waitcnt lgkmcnt(0)
	s_add_u32 s2, s4, s0
	v_lshrrev_b32_e32 v10, 5, v2
	s_addc_u32 s3, s5, s1
	v_lshlrev_b32_e32 v2, 3, v8
	s_load_dwordx2 s[10:11], s[2:3], 0x0
	v_cmp_gt_i32_e32 vcc, s24, v3
	v_lshl_or_b32 v12, v10, 8, v2
	v_mad_u64_u32 v[2:3], s[2:3], s18, v10, 0
	v_and_b32_e32 v11, 7, v0
	v_add_u32_e32 v4, s21, v5
	v_lshlrev_b32_e32 v6, 3, v11
	v_lshl_or_b32 v5, v5, 6, v6
	v_mad_u64_u32 v[6:7], s[2:3], s19, v10, v[3:4]
	v_mov_b32_e32 v3, 0x800
	v_lshl_add_u32 v15, v1, 6, v3
	v_mov_b32_e32 v3, v6
	v_add_u32_e32 v6, s20, v8
	v_ashrrev_i32_e32 v7, 31, v6
	v_mad_u64_u32 v[8:9], s[2:3], s6, v11, 0
	v_lshlrev_b64 v[2:3], 3, v[2:3]
	v_lshlrev_b64 v[6:7], 3, v[6:7]
	s_add_u32 s0, s16, s0
	v_add_co_u32_e64 v16, s[2:3], v2, v6
	s_addc_u32 s1, s17, s1
	v_addc_co_u32_e64 v3, s[2:3], v3, v7, s[2:3]
	v_mov_b32_e32 v2, v9
	s_load_dwordx2 s[4:5], s[0:1], 0x0
	v_mad_u64_u32 v[6:7], s[2:3], s7, v11, v[2:3]
	v_add_u32_e32 v13, 0x800, v5
	v_ashrrev_i32_e32 v5, 31, v4
	v_mov_b32_e32 v9, v6
	v_cmp_gt_i32_e64 s[0:1], s24, v4
	s_waitcnt lgkmcnt(0)
	v_mov_b32_e32 v17, s5
	v_add_co_u32_e64 v2, s[2:3], s4, v16
	v_lshlrev_b64 v[6:7], 3, v[8:9]
	v_lshlrev_b64 v[4:5], 3, v[4:5]
	v_addc_co_u32_e64 v3, s[2:3], v17, v3, s[2:3]
	v_add_co_u32_e64 v4, s[2:3], v6, v4
	v_addc_co_u32_e64 v5, s[2:3], v7, v5, s[2:3]
	v_mov_b32_e32 v6, s11
	v_add_co_u32_e64 v4, s[2:3], s10, v4
	v_addc_co_u32_e64 v5, s[2:3], v6, v5, s[2:3]
	s_lshl_b64 s[4:5], s[18:19], 6
	s_lshl_b64 s[2:3], s[6:7], 6
	v_mov_b32_e32 v8, s12
	v_lshlrev_b32_e32 v14, 3, v0
	s_mov_b64 s[6:7], 0
	s_xor_b64 s[10:11], vcc, -1
	s_xor_b64 s[16:17], s[0:1], -1
	v_mov_b32_e32 v16, s5
	v_mov_b32_e32 v17, s3
	;; [unrolled: 1-line block ×12, first 2 shown]
	s_branch .LBB1758_3
.LBB1758_2:                             ;   in Loop: Header=BB1758_3 Depth=1
	s_or_b64 exec, exec, s[0:1]
	ds_write_b32 v13, v7 offset:4
	s_waitcnt lgkmcnt(0)
	s_barrier
	ds_read2_b64 v[26:29], v14 offset1:16
	ds_read_b128 v[30:33], v15
	ds_read_b128 v[34:37], v15 offset:16
	s_add_u32 s6, s6, 8
	v_add_co_u32_e32 v2, vcc, s4, v2
	s_waitcnt lgkmcnt(1)
	v_mul_f32_e32 v38, v30, v27
	v_fmac_f32_e32 v38, v31, v26
	v_add_f32_e32 v42, v25, v38
	ds_read_b128 v[38:41], v15 offset:1024
	v_mul_f32_e32 v7, v31, v27
	v_fma_f32 v7, v30, v26, -v7
	v_add_f32_e32 v7, v24, v7
	v_mul_f32_e32 v24, v31, v29
	v_mul_f32_e32 v25, v30, v29
	v_fma_f32 v24, v30, v28, -v24
	v_fmac_f32_e32 v25, v31, v28
	v_add_f32_e32 v30, v22, v24
	v_add_f32_e32 v31, v23, v25
	ds_read_b128 v[22:25], v15 offset:1040
	s_waitcnt lgkmcnt(1)
	v_mul_f32_e32 v43, v39, v27
	v_mul_f32_e32 v44, v38, v27
	v_fma_f32 v43, v38, v26, -v43
	v_fmac_f32_e32 v44, v39, v26
	v_mul_f32_e32 v26, v39, v29
	v_fma_f32 v45, v38, v28, -v26
	v_mul_f32_e32 v38, v38, v29
	v_fmac_f32_e32 v38, v39, v28
	ds_read2_b64 v[26:29], v14 offset0:32 offset1:48
	v_add_f32_e32 v39, v20, v45
	v_add_f32_e32 v38, v21, v38
	;; [unrolled: 1-line block ×4, first 2 shown]
	s_waitcnt lgkmcnt(0)
	v_mul_f32_e32 v20, v33, v27
	v_fma_f32 v20, v32, v26, -v20
	v_mul_f32_e32 v21, v32, v27
	v_fmac_f32_e32 v21, v33, v26
	v_add_f32_e32 v7, v7, v20
	v_mul_f32_e32 v20, v33, v29
	v_add_f32_e32 v42, v42, v21
	v_fma_f32 v20, v32, v28, -v20
	v_mul_f32_e32 v21, v32, v29
	v_fmac_f32_e32 v21, v33, v28
	v_add_f32_e32 v30, v30, v20
	v_mul_f32_e32 v20, v41, v27
	v_add_f32_e32 v31, v31, v21
	;; [unrolled: 6-line block ×3, first 2 shown]
	v_fma_f32 v32, v40, v28, -v18
	ds_read2_b64 v[18:21], v14 offset0:64 offset1:80
	v_mul_f32_e32 v29, v40, v29
	v_fmac_f32_e32 v29, v41, v28
	v_add_f32_e32 v33, v38, v29
	v_add_f32_e32 v32, v39, v32
	s_waitcnt lgkmcnt(0)
	v_mul_f32_e32 v28, v35, v19
	v_fma_f32 v28, v34, v18, -v28
	v_mul_f32_e32 v29, v34, v19
	v_add_f32_e32 v7, v7, v28
	v_mul_f32_e32 v28, v35, v21
	v_fmac_f32_e32 v29, v35, v18
	v_fma_f32 v28, v34, v20, -v28
	v_add_f32_e32 v38, v42, v29
	v_mul_f32_e32 v29, v34, v21
	v_add_f32_e32 v30, v30, v28
	v_mul_f32_e32 v28, v23, v19
	v_mul_f32_e32 v19, v22, v19
	v_fmac_f32_e32 v29, v35, v20
	v_fma_f32 v28, v22, v18, -v28
	v_fmac_f32_e32 v19, v23, v18
	v_add_f32_e32 v31, v31, v29
	v_add_f32_e32 v34, v26, v28
	;; [unrolled: 1-line block ×3, first 2 shown]
	ds_read2_b64 v[26:29], v14 offset0:96 offset1:112
	v_mul_f32_e32 v18, v23, v21
	v_fma_f32 v39, v22, v20, -v18
	v_mul_f32_e32 v22, v22, v21
	v_fmac_f32_e32 v22, v23, v20
	v_add_f32_e32 v23, v32, v39
	s_waitcnt lgkmcnt(0)
	v_mul_f32_e32 v32, v37, v27
	v_fma_f32 v32, v36, v26, -v32
	v_add_f32_e32 v22, v33, v22
	v_mul_f32_e32 v33, v36, v27
	v_add_f32_e32 v7, v7, v32
	v_mul_f32_e32 v32, v37, v29
	v_fmac_f32_e32 v33, v37, v26
	v_fma_f32 v32, v36, v28, -v32
	v_add_f32_e32 v38, v38, v33
	v_mul_f32_e32 v33, v36, v29
	v_add_f32_e32 v39, v30, v32
	v_mul_f32_e32 v30, v25, v27
	v_fmac_f32_e32 v33, v37, v28
	v_fma_f32 v30, v24, v26, -v30
	ds_read_b128 v[18:21], v15 offset:32
	v_add_f32_e32 v40, v31, v33
	v_add_f32_e32 v42, v34, v30
	ds_read2_b64 v[30:33], v14 offset0:128 offset1:144
	v_mul_f32_e32 v27, v24, v27
	v_fmac_f32_e32 v27, v25, v26
	v_mul_f32_e32 v26, v25, v29
	v_fma_f32 v26, v24, v28, -v26
	v_mul_f32_e32 v24, v24, v29
	v_fmac_f32_e32 v24, v25, v28
	v_add_f32_e32 v43, v35, v27
	v_add_f32_e32 v23, v23, v26
	;; [unrolled: 1-line block ×3, first 2 shown]
	ds_read_b128 v[24:27], v15 offset:48
	s_waitcnt lgkmcnt(1)
	v_mul_f32_e32 v28, v19, v31
	ds_read_b128 v[34:37], v15 offset:1056
	v_fma_f32 v28, v18, v30, -v28
	v_add_f32_e32 v7, v7, v28
	v_mul_f32_e32 v28, v19, v33
	v_mul_f32_e32 v29, v18, v31
	v_fma_f32 v28, v18, v32, -v28
	v_mul_f32_e32 v18, v18, v33
	v_fmac_f32_e32 v29, v19, v30
	v_fmac_f32_e32 v18, v19, v32
	v_add_f32_e32 v44, v38, v29
	v_add_f32_e32 v19, v39, v28
	;; [unrolled: 1-line block ×3, first 2 shown]
	ds_read_b128 v[38:41], v15 offset:1072
	s_waitcnt lgkmcnt(1)
	v_mul_f32_e32 v28, v35, v31
	v_fma_f32 v45, v34, v30, -v28
	v_mul_f32_e32 v46, v34, v31
	v_mul_f32_e32 v28, v35, v33
	v_fmac_f32_e32 v46, v35, v30
	v_fma_f32 v47, v34, v32, -v28
	ds_read2_b64 v[28:31], v14 offset0:160 offset1:176
	v_mul_f32_e32 v33, v34, v33
	v_fmac_f32_e32 v33, v35, v32
	v_add_f32_e32 v22, v22, v33
	v_add_f32_e32 v32, v42, v45
	s_waitcnt lgkmcnt(0)
	v_mul_f32_e32 v33, v21, v29
	v_mul_f32_e32 v35, v20, v29
	v_fma_f32 v33, v20, v28, -v33
	v_fmac_f32_e32 v35, v21, v28
	v_add_f32_e32 v7, v7, v33
	v_add_f32_e32 v33, v44, v35
	v_mul_f32_e32 v35, v21, v31
	v_fma_f32 v35, v20, v30, -v35
	v_mul_f32_e32 v20, v20, v31
	v_fmac_f32_e32 v20, v21, v30
	v_add_f32_e32 v42, v18, v20
	v_mul_f32_e32 v18, v37, v29
	v_add_f32_e32 v35, v19, v35
	v_fma_f32 v18, v36, v28, -v18
	v_mul_f32_e32 v19, v36, v29
	v_add_f32_e32 v34, v43, v46
	v_fmac_f32_e32 v19, v37, v28
	v_add_f32_e32 v28, v32, v18
	v_mul_f32_e32 v18, v37, v31
	v_add_f32_e32 v29, v34, v19
	v_fma_f32 v32, v36, v30, -v18
	ds_read2_b64 v[18:21], v14 offset0:192 offset1:208
	v_mul_f32_e32 v31, v36, v31
	v_fmac_f32_e32 v31, v37, v30
	v_add_f32_e32 v22, v22, v31
	v_add_f32_e32 v23, v23, v47
	s_waitcnt lgkmcnt(0)
	v_mul_f32_e32 v30, v25, v19
	v_fma_f32 v30, v24, v18, -v30
	v_add_f32_e32 v7, v7, v30
	v_mul_f32_e32 v30, v25, v21
	v_mul_f32_e32 v31, v24, v19
	v_fma_f32 v30, v24, v20, -v30
	v_mul_f32_e32 v24, v24, v21
	v_fmac_f32_e32 v24, v25, v20
	v_add_f32_e32 v34, v42, v24
	v_mul_f32_e32 v24, v39, v19
	v_mul_f32_e32 v19, v38, v19
	v_fmac_f32_e32 v31, v25, v18
	v_fma_f32 v24, v38, v18, -v24
	v_fmac_f32_e32 v19, v39, v18
	v_add_f32_e32 v23, v23, v32
	v_add_f32_e32 v32, v33, v31
	;; [unrolled: 1-line block ×5, first 2 shown]
	ds_read2_b64 v[28:31], v14 offset0:224 offset1:240
	v_mul_f32_e32 v24, v39, v21
	v_mul_f32_e32 v21, v38, v21
	v_fmac_f32_e32 v21, v39, v20
	v_add_f32_e32 v21, v22, v21
	s_waitcnt lgkmcnt(0)
	v_mul_f32_e32 v22, v27, v29
	v_fma_f32 v24, v38, v20, -v24
	v_fma_f32 v22, v26, v28, -v22
	v_add_f32_e32 v20, v23, v24
	v_mul_f32_e32 v23, v26, v29
	v_add_f32_e32 v24, v7, v22
	v_mul_f32_e32 v7, v27, v31
	v_fmac_f32_e32 v23, v27, v28
	v_fma_f32 v7, v26, v30, -v7
	v_add_f32_e32 v25, v32, v23
	v_mul_f32_e32 v23, v26, v31
	v_add_f32_e32 v22, v33, v7
	v_mul_f32_e32 v7, v41, v29
	v_mul_f32_e32 v26, v40, v29
	v_fma_f32 v7, v40, v28, -v7
	v_fmac_f32_e32 v26, v41, v28
	s_addc_u32 s7, s7, 0
	v_addc_co_u32_e32 v3, vcc, v3, v16, vcc
	v_add_f32_e32 v18, v18, v7
	v_add_f32_e32 v19, v19, v26
	v_mul_f32_e32 v7, v41, v31
	v_mul_f32_e32 v26, v40, v31
	v_cmp_ge_i64_e32 vcc, s[6:7], v[8:9]
	v_fmac_f32_e32 v23, v27, v30
	v_fma_f32 v7, v40, v30, -v7
	v_fmac_f32_e32 v26, v41, v30
	v_add_co_u32_e64 v4, s[0:1], s2, v4
	v_add_f32_e32 v23, v34, v23
	v_add_f32_e32 v20, v20, v7
	;; [unrolled: 1-line block ×3, first 2 shown]
	v_addc_co_u32_e64 v5, s[0:1], v5, v17, s[0:1]
	s_barrier
	s_cbranch_vccnz .LBB1758_12
.LBB1758_3:                             ; =>This Inner Loop Header: Depth=1
	v_mov_b32_e32 v7, s7
	v_add_co_u32_e32 v26, vcc, s6, v10
	v_addc_co_u32_e32 v27, vcc, 0, v7, vcc
	v_cmp_le_i64_e32 vcc, s[12:13], v[26:27]
	s_or_b64 s[0:1], s[10:11], vcc
	s_and_saveexec_b64 s[18:19], s[0:1]
	s_xor_b64 s[0:1], exec, s[18:19]
; %bb.4:                                ;   in Loop: Header=BB1758_3 Depth=1
	v_mov_b32_e32 v7, v6
	ds_write_b64 v12, v[6:7]
; %bb.5:                                ;   in Loop: Header=BB1758_3 Depth=1
	s_andn2_saveexec_b64 s[0:1], s[0:1]
	s_cbranch_execz .LBB1758_7
; %bb.6:                                ;   in Loop: Header=BB1758_3 Depth=1
	flat_load_dwordx2 v[26:27], v[2:3]
	s_waitcnt vmcnt(0) lgkmcnt(0)
	ds_write_b64 v12, v[26:27]
.LBB1758_7:                             ;   in Loop: Header=BB1758_3 Depth=1
	s_or_b64 exec, exec, s[0:1]
	v_mov_b32_e32 v7, s7
	v_add_co_u32_e32 v26, vcc, s6, v11
	v_addc_co_u32_e32 v27, vcc, 0, v7, vcc
	v_cmp_le_i64_e32 vcc, s[12:13], v[26:27]
	s_or_b64 s[0:1], vcc, s[16:17]
	s_and_saveexec_b64 s[18:19], s[0:1]
	s_xor_b64 s[0:1], exec, s[18:19]
; %bb.8:                                ;   in Loop: Header=BB1758_3 Depth=1
	ds_write_b32 v13, v6
; %bb.9:                                ;   in Loop: Header=BB1758_3 Depth=1
	s_or_saveexec_b64 s[0:1], s[0:1]
	v_mov_b32_e32 v7, 0
	s_xor_b64 exec, exec, s[0:1]
	s_cbranch_execz .LBB1758_2
; %bb.10:                               ;   in Loop: Header=BB1758_3 Depth=1
	flat_load_dwordx2 v[26:27], v[4:5]
	s_waitcnt vmcnt(0) lgkmcnt(0)
	v_xor_b32_e32 v7, 0x80000000, v27
	ds_write_b32 v13, v26
	s_branch .LBB1758_2
.LBB1758_11:
	v_mov_b32_e32 v24, 0
	v_mov_b32_e32 v25, 0
	;; [unrolled: 1-line block ×8, first 2 shown]
.LBB1758_12:
	v_add_u32_e32 v5, s21, v1
	v_ashrrev_i32_e32 v1, 31, v5
	v_mul_lo_u32 v3, s22, v1
	v_mul_lo_u32 v4, s23, v5
	v_mad_u64_u32 v[1:2], s[0:1], s22, v5, 0
	v_add_u32_e32 v0, s20, v0
	v_cmp_le_i32_e64 s[0:1], v5, v0
	v_add3_u32 v2, v2, v3, v4
	v_lshlrev_b64 v[1:2], 3, v[1:2]
	s_waitcnt lgkmcnt(0)
	v_mov_b32_e32 v3, s9
	v_add_co_u32_e32 v4, vcc, s8, v1
	v_addc_co_u32_e32 v6, vcc, v3, v2, vcc
	v_cmp_gt_i32_e32 vcc, s24, v0
	s_and_b64 s[0:1], s[0:1], vcc
	s_and_saveexec_b64 s[2:3], s[0:1]
	s_cbranch_execz .LBB1758_15
; %bb.13:
	v_mul_f32_e32 v1, s15, v25
	v_fma_f32 v7, v24, s14, -v1
	v_ashrrev_i32_e32 v1, 31, v0
	v_lshlrev_b64 v[1:2], 3, v[0:1]
	v_mul_f32_e32 v8, s14, v25
	v_add_co_u32_e64 v1, s[0:1], v4, v1
	v_addc_co_u32_e64 v2, s[0:1], v6, v2, s[0:1]
	v_fmac_f32_e32 v8, s15, v24
	v_cmp_eq_u32_e64 s[0:1], v5, v0
	flat_store_dwordx2 v[1:2], v[7:8]
	s_and_b64 exec, exec, s[0:1]
	s_cbranch_execz .LBB1758_15
; %bb.14:
	v_mov_b32_e32 v3, 0
	flat_store_dword v[1:2], v3 offset:4
.LBB1758_15:
	s_or_b64 exec, exec, s[2:3]
	v_add_u32_e32 v2, 16, v0
	v_cmp_le_i32_e64 s[2:3], v5, v2
	v_cmp_gt_i32_e64 s[0:1], s24, v2
	s_and_b64 s[2:3], s[2:3], s[0:1]
	s_and_saveexec_b64 s[4:5], s[2:3]
	s_cbranch_execz .LBB1758_18
; %bb.16:
	v_ashrrev_i32_e32 v3, 31, v2
	v_lshlrev_b64 v[9:10], 3, v[2:3]
	v_mul_f32_e32 v1, s15, v23
	v_add_co_u32_e64 v3, s[2:3], v4, v9
	v_mul_f32_e32 v8, s14, v23
	v_addc_co_u32_e64 v4, s[2:3], v6, v10, s[2:3]
	v_fma_f32 v7, v22, s14, -v1
	v_fmac_f32_e32 v8, s15, v22
	v_cmp_eq_u32_e64 s[2:3], v5, v2
	flat_store_dwordx2 v[3:4], v[7:8]
	s_and_b64 exec, exec, s[2:3]
	s_cbranch_execz .LBB1758_18
; %bb.17:
	v_mov_b32_e32 v1, 0
	flat_store_dword v[3:4], v1 offset:4
.LBB1758_18:
	s_or_b64 exec, exec, s[4:5]
	v_add_u32_e32 v8, 16, v5
	v_ashrrev_i32_e32 v1, 31, v8
	v_mul_lo_u32 v6, s23, v8
	v_mad_u64_u32 v[3:4], s[2:3], s22, v8, 0
	v_mul_lo_u32 v1, s22, v1
	v_add3_u32 v4, v4, v1, v6
	v_lshlrev_b64 v[3:4], 3, v[3:4]
	v_mov_b32_e32 v1, s9
	v_add_co_u32_e64 v6, s[2:3], s8, v3
	v_addc_co_u32_e64 v7, s[2:3], v1, v4, s[2:3]
	v_cmp_le_i32_e64 s[2:3], v8, v0
	s_and_b64 s[4:5], s[2:3], vcc
	s_and_saveexec_b64 s[2:3], s[4:5]
	s_cbranch_execz .LBB1758_21
; %bb.19:
	v_mul_f32_e32 v1, s15, v19
	v_fma_f32 v9, v18, s14, -v1
	v_ashrrev_i32_e32 v1, 31, v0
	v_lshlrev_b64 v[3:4], 3, v[0:1]
	v_mul_f32_e32 v10, s14, v19
	v_add_co_u32_e32 v3, vcc, v6, v3
	v_addc_co_u32_e32 v4, vcc, v7, v4, vcc
	v_fmac_f32_e32 v10, s15, v18
	v_cmp_eq_u32_e32 vcc, v8, v0
	flat_store_dwordx2 v[3:4], v[9:10]
	s_and_b64 exec, exec, vcc
	s_cbranch_execz .LBB1758_21
; %bb.20:
	v_mov_b32_e32 v1, 0
	flat_store_dword v[3:4], v1 offset:4
.LBB1758_21:
	s_or_b64 exec, exec, s[2:3]
	v_cmp_le_i32_e32 vcc, v8, v2
	s_and_b64 s[0:1], vcc, s[0:1]
	s_and_saveexec_b64 s[2:3], s[0:1]
	s_cbranch_execz .LBB1758_24
; %bb.22:
	v_mul_f32_e32 v1, s15, v21
	v_ashrrev_i32_e32 v3, 31, v2
	v_fma_f32 v8, v20, s14, -v1
	v_lshlrev_b64 v[1:2], 3, v[2:3]
	v_mul_f32_e32 v9, s14, v21
	v_add_co_u32_e32 v1, vcc, v6, v1
	v_addc_co_u32_e32 v2, vcc, v7, v2, vcc
	v_fmac_f32_e32 v9, s15, v20
	v_cmp_eq_u32_e32 vcc, v5, v0
	flat_store_dwordx2 v[1:2], v[8:9]
	s_and_b64 exec, exec, vcc
	s_cbranch_execz .LBB1758_24
; %bb.23:
	v_mov_b32_e32 v0, 0
	flat_store_dword v[1:2], v0 offset:4
.LBB1758_24:
	s_endpgm
	.section	.rodata,"a",@progbits
	.p2align	6, 0x0
	.amdhsa_kernel _ZL34rocblas_syrkx_herkx_general_kernelIl19rocblas_complex_numIfELi16ELi32ELi8ELb1ELb1ELc78ELc76EKPKS1_KPS1_EviT_T0_PT8_S7_lSA_S7_lS8_PT9_S7_li
		.amdhsa_group_segment_fixed_size 4096
		.amdhsa_private_segment_fixed_size 0
		.amdhsa_kernarg_size 108
		.amdhsa_user_sgpr_count 6
		.amdhsa_user_sgpr_private_segment_buffer 1
		.amdhsa_user_sgpr_dispatch_ptr 0
		.amdhsa_user_sgpr_queue_ptr 0
		.amdhsa_user_sgpr_kernarg_segment_ptr 1
		.amdhsa_user_sgpr_dispatch_id 0
		.amdhsa_user_sgpr_flat_scratch_init 0
		.amdhsa_user_sgpr_private_segment_size 0
		.amdhsa_uses_dynamic_stack 0
		.amdhsa_system_sgpr_private_segment_wavefront_offset 0
		.amdhsa_system_sgpr_workgroup_id_x 1
		.amdhsa_system_sgpr_workgroup_id_y 1
		.amdhsa_system_sgpr_workgroup_id_z 1
		.amdhsa_system_sgpr_workgroup_info 0
		.amdhsa_system_vgpr_workitem_id 1
		.amdhsa_next_free_vgpr 48
		.amdhsa_next_free_sgpr 25
		.amdhsa_reserve_vcc 1
		.amdhsa_reserve_flat_scratch 0
		.amdhsa_float_round_mode_32 0
		.amdhsa_float_round_mode_16_64 0
		.amdhsa_float_denorm_mode_32 3
		.amdhsa_float_denorm_mode_16_64 3
		.amdhsa_dx10_clamp 1
		.amdhsa_ieee_mode 1
		.amdhsa_fp16_overflow 0
		.amdhsa_exception_fp_ieee_invalid_op 0
		.amdhsa_exception_fp_denorm_src 0
		.amdhsa_exception_fp_ieee_div_zero 0
		.amdhsa_exception_fp_ieee_overflow 0
		.amdhsa_exception_fp_ieee_underflow 0
		.amdhsa_exception_fp_ieee_inexact 0
		.amdhsa_exception_int_div_zero 0
	.end_amdhsa_kernel
	.section	.text._ZL34rocblas_syrkx_herkx_general_kernelIl19rocblas_complex_numIfELi16ELi32ELi8ELb1ELb1ELc78ELc76EKPKS1_KPS1_EviT_T0_PT8_S7_lSA_S7_lS8_PT9_S7_li,"axG",@progbits,_ZL34rocblas_syrkx_herkx_general_kernelIl19rocblas_complex_numIfELi16ELi32ELi8ELb1ELb1ELc78ELc76EKPKS1_KPS1_EviT_T0_PT8_S7_lSA_S7_lS8_PT9_S7_li,comdat
.Lfunc_end1758:
	.size	_ZL34rocblas_syrkx_herkx_general_kernelIl19rocblas_complex_numIfELi16ELi32ELi8ELb1ELb1ELc78ELc76EKPKS1_KPS1_EviT_T0_PT8_S7_lSA_S7_lS8_PT9_S7_li, .Lfunc_end1758-_ZL34rocblas_syrkx_herkx_general_kernelIl19rocblas_complex_numIfELi16ELi32ELi8ELb1ELb1ELc78ELc76EKPKS1_KPS1_EviT_T0_PT8_S7_lSA_S7_lS8_PT9_S7_li
                                        ; -- End function
	.set _ZL34rocblas_syrkx_herkx_general_kernelIl19rocblas_complex_numIfELi16ELi32ELi8ELb1ELb1ELc78ELc76EKPKS1_KPS1_EviT_T0_PT8_S7_lSA_S7_lS8_PT9_S7_li.num_vgpr, 48
	.set _ZL34rocblas_syrkx_herkx_general_kernelIl19rocblas_complex_numIfELi16ELi32ELi8ELb1ELb1ELc78ELc76EKPKS1_KPS1_EviT_T0_PT8_S7_lSA_S7_lS8_PT9_S7_li.num_agpr, 0
	.set _ZL34rocblas_syrkx_herkx_general_kernelIl19rocblas_complex_numIfELi16ELi32ELi8ELb1ELb1ELc78ELc76EKPKS1_KPS1_EviT_T0_PT8_S7_lSA_S7_lS8_PT9_S7_li.numbered_sgpr, 25
	.set _ZL34rocblas_syrkx_herkx_general_kernelIl19rocblas_complex_numIfELi16ELi32ELi8ELb1ELb1ELc78ELc76EKPKS1_KPS1_EviT_T0_PT8_S7_lSA_S7_lS8_PT9_S7_li.num_named_barrier, 0
	.set _ZL34rocblas_syrkx_herkx_general_kernelIl19rocblas_complex_numIfELi16ELi32ELi8ELb1ELb1ELc78ELc76EKPKS1_KPS1_EviT_T0_PT8_S7_lSA_S7_lS8_PT9_S7_li.private_seg_size, 0
	.set _ZL34rocblas_syrkx_herkx_general_kernelIl19rocblas_complex_numIfELi16ELi32ELi8ELb1ELb1ELc78ELc76EKPKS1_KPS1_EviT_T0_PT8_S7_lSA_S7_lS8_PT9_S7_li.uses_vcc, 1
	.set _ZL34rocblas_syrkx_herkx_general_kernelIl19rocblas_complex_numIfELi16ELi32ELi8ELb1ELb1ELc78ELc76EKPKS1_KPS1_EviT_T0_PT8_S7_lSA_S7_lS8_PT9_S7_li.uses_flat_scratch, 0
	.set _ZL34rocblas_syrkx_herkx_general_kernelIl19rocblas_complex_numIfELi16ELi32ELi8ELb1ELb1ELc78ELc76EKPKS1_KPS1_EviT_T0_PT8_S7_lSA_S7_lS8_PT9_S7_li.has_dyn_sized_stack, 0
	.set _ZL34rocblas_syrkx_herkx_general_kernelIl19rocblas_complex_numIfELi16ELi32ELi8ELb1ELb1ELc78ELc76EKPKS1_KPS1_EviT_T0_PT8_S7_lSA_S7_lS8_PT9_S7_li.has_recursion, 0
	.set _ZL34rocblas_syrkx_herkx_general_kernelIl19rocblas_complex_numIfELi16ELi32ELi8ELb1ELb1ELc78ELc76EKPKS1_KPS1_EviT_T0_PT8_S7_lSA_S7_lS8_PT9_S7_li.has_indirect_call, 0
	.section	.AMDGPU.csdata,"",@progbits
; Kernel info:
; codeLenInByte = 2328
; TotalNumSgprs: 29
; NumVgprs: 48
; ScratchSize: 0
; MemoryBound: 1
; FloatMode: 240
; IeeeMode: 1
; LDSByteSize: 4096 bytes/workgroup (compile time only)
; SGPRBlocks: 3
; VGPRBlocks: 11
; NumSGPRsForWavesPerEU: 29
; NumVGPRsForWavesPerEU: 48
; Occupancy: 5
; WaveLimiterHint : 1
; COMPUTE_PGM_RSRC2:SCRATCH_EN: 0
; COMPUTE_PGM_RSRC2:USER_SGPR: 6
; COMPUTE_PGM_RSRC2:TRAP_HANDLER: 0
; COMPUTE_PGM_RSRC2:TGID_X_EN: 1
; COMPUTE_PGM_RSRC2:TGID_Y_EN: 1
; COMPUTE_PGM_RSRC2:TGID_Z_EN: 1
; COMPUTE_PGM_RSRC2:TIDIG_COMP_CNT: 1
	.section	.text._ZL34rocblas_syrkx_herkx_general_kernelIl19rocblas_complex_numIfELi16ELi32ELi8ELb1ELb1ELc84ELc85EKPKS1_KPS1_EviT_T0_PT8_S7_lSA_S7_lS8_PT9_S7_li,"axG",@progbits,_ZL34rocblas_syrkx_herkx_general_kernelIl19rocblas_complex_numIfELi16ELi32ELi8ELb1ELb1ELc84ELc85EKPKS1_KPS1_EviT_T0_PT8_S7_lSA_S7_lS8_PT9_S7_li,comdat
	.globl	_ZL34rocblas_syrkx_herkx_general_kernelIl19rocblas_complex_numIfELi16ELi32ELi8ELb1ELb1ELc84ELc85EKPKS1_KPS1_EviT_T0_PT8_S7_lSA_S7_lS8_PT9_S7_li ; -- Begin function _ZL34rocblas_syrkx_herkx_general_kernelIl19rocblas_complex_numIfELi16ELi32ELi8ELb1ELb1ELc84ELc85EKPKS1_KPS1_EviT_T0_PT8_S7_lSA_S7_lS8_PT9_S7_li
	.p2align	8
	.type	_ZL34rocblas_syrkx_herkx_general_kernelIl19rocblas_complex_numIfELi16ELi32ELi8ELb1ELb1ELc84ELc85EKPKS1_KPS1_EviT_T0_PT8_S7_lSA_S7_lS8_PT9_S7_li,@function
_ZL34rocblas_syrkx_herkx_general_kernelIl19rocblas_complex_numIfELi16ELi32ELi8ELb1ELb1ELc84ELc85EKPKS1_KPS1_EviT_T0_PT8_S7_lSA_S7_lS8_PT9_S7_li: ; @_ZL34rocblas_syrkx_herkx_general_kernelIl19rocblas_complex_numIfELi16ELi32ELi8ELb1ELb1ELc84ELc85EKPKS1_KPS1_EviT_T0_PT8_S7_lSA_S7_lS8_PT9_S7_li
; %bb.0:
	s_load_dwordx4 s[20:23], s[4:5], 0x50
	s_load_dword s10, s[4:5], 0x0
	s_load_dwordx8 s[12:19], s[4:5], 0x8
	s_mov_b32 s9, 0
	s_lshl_b64 s[0:1], s[8:9], 3
	s_waitcnt lgkmcnt(0)
	s_add_u32 s2, s20, s0
	s_addc_u32 s3, s21, s1
	s_load_dwordx2 s[8:9], s[2:3], 0x0
	v_cmp_lt_i64_e64 s[2:3], s[12:13], 1
	s_lshl_b32 s11, s6, 5
	s_lshl_b32 s20, s7, 5
	s_and_b64 vcc, exec, s[2:3]
	s_cbranch_vccnz .LBB1759_11
; %bb.1:
	s_load_dwordx4 s[4:7], s[4:5], 0x30
	v_lshl_add_u32 v2, v1, 4, v0
	v_and_b32_e32 v5, 31, v2
	v_or_b32_e32 v6, s11, v5
	v_and_b32_e32 v11, 7, v0
	v_lshrrev_b32_e32 v3, 3, v2
	v_lshrrev_b32_e32 v10, 5, v2
	v_cmp_gt_i32_e32 vcc, s10, v6
	v_lshlrev_b32_e32 v2, 3, v5
	v_lshlrev_b32_e32 v6, 3, v11
	v_lshl_or_b32 v12, v10, 8, v2
	v_lshl_or_b32 v2, v3, 6, v6
	s_waitcnt lgkmcnt(0)
	s_add_u32 s2, s4, s0
	v_add_u32_e32 v13, 0x800, v2
	v_add_u32_e32 v2, s11, v5
	;; [unrolled: 1-line block ×3, first 2 shown]
	s_addc_u32 s3, s5, s1
	v_ashrrev_i32_e32 v3, 31, v2
	s_load_dwordx2 s[4:5], s[2:3], 0x0
	v_mul_lo_u32 v5, s18, v3
	v_mul_lo_u32 v8, s19, v2
	v_mad_u64_u32 v[2:3], s[2:3], s18, v2, 0
	s_add_u32 s0, s16, s0
	s_addc_u32 s1, s17, s1
	v_add3_u32 v3, v3, v5, v8
	v_lshlrev_b64 v[2:3], 3, v[2:3]
	v_lshlrev_b32_e32 v5, 3, v10
	v_ashrrev_i32_e32 v7, 31, v4
	v_mov_b32_e32 v9, 0x800
	v_add_co_u32_e64 v2, s[2:3], v2, v5
	s_load_dwordx2 s[16:17], s[0:1], 0x0
	v_cmp_gt_i32_e64 s[0:1], s10, v4
	v_lshl_add_u32 v15, v1, 6, v9
	v_addc_co_u32_e64 v3, s[2:3], 0, v3, s[2:3]
	v_mul_lo_u32 v7, s6, v7
	v_mul_lo_u32 v9, s7, v4
	v_mad_u64_u32 v[4:5], s[2:3], s6, v4, 0
	s_waitcnt lgkmcnt(0)
	v_mov_b32_e32 v8, s17
	v_add_co_u32_e64 v2, s[2:3], s16, v2
	v_add3_u32 v5, v5, v7, v9
	v_lshlrev_b64 v[4:5], 3, v[4:5]
	v_addc_co_u32_e64 v3, s[2:3], v8, v3, s[2:3]
	v_add_co_u32_e64 v4, s[2:3], v4, v6
	v_addc_co_u32_e64 v5, s[2:3], 0, v5, s[2:3]
	v_mov_b32_e32 v6, s5
	v_add_co_u32_e64 v4, s[2:3], s4, v4
	v_addc_co_u32_e64 v5, s[2:3], v6, v5, s[2:3]
	v_mov_b32_e32 v8, s12
	v_lshlrev_b32_e32 v14, 3, v0
	s_mov_b64 s[2:3], 0
	s_xor_b64 s[4:5], vcc, -1
	s_xor_b64 s[6:7], s[0:1], -1
	v_mov_b32_e32 v19, 0
	v_mov_b32_e32 v18, 0
	;; [unrolled: 1-line block ×10, first 2 shown]
	s_branch .LBB1759_3
.LBB1759_2:                             ;   in Loop: Header=BB1759_3 Depth=1
	s_or_b64 exec, exec, s[0:1]
	s_waitcnt lgkmcnt(0)
	s_barrier
	ds_read2_b64 v[24:27], v14 offset1:16
	ds_read_b128 v[28:31], v15
	ds_read_b128 v[32:35], v15 offset:16
	s_add_u32 s2, s2, 8
	v_add_co_u32_e32 v2, vcc, 64, v2
	s_waitcnt lgkmcnt(1)
	v_mul_f32_e32 v36, v28, v25
	v_fmac_f32_e32 v36, v29, v24
	v_add_f32_e32 v44, v21, v36
	ds_read_b128 v[36:39], v15 offset:1024
	v_mul_f32_e32 v7, v29, v25
	v_fma_f32 v7, v28, v24, -v7
	v_add_f32_e32 v7, v20, v7
	v_mul_f32_e32 v20, v29, v27
	v_mul_f32_e32 v21, v28, v27
	v_fma_f32 v20, v28, v26, -v20
	v_fmac_f32_e32 v21, v29, v26
	v_add_f32_e32 v28, v22, v20
	v_add_f32_e32 v29, v23, v21
	ds_read_b128 v[20:23], v15 offset:1040
	s_waitcnt lgkmcnt(1)
	v_mul_f32_e32 v40, v37, v25
	v_fma_f32 v40, v36, v24, -v40
	v_add_f32_e32 v45, v16, v40
	ds_read2_b64 v[40:43], v14 offset0:32 offset1:48
	v_mul_f32_e32 v25, v36, v25
	v_mul_f32_e32 v16, v37, v27
	v_fmac_f32_e32 v25, v37, v24
	v_fma_f32 v16, v36, v26, -v16
	v_add_f32_e32 v46, v17, v25
	v_mul_f32_e32 v17, v36, v27
	v_add_f32_e32 v36, v18, v16
	s_waitcnt lgkmcnt(0)
	v_mul_f32_e32 v16, v31, v41
	v_fma_f32 v47, v30, v40, -v16
	v_mul_f32_e32 v16, v31, v43
	v_fma_f32 v49, v30, v42, -v16
	v_mul_f32_e32 v48, v30, v41
	v_mul_f32_e32 v30, v30, v43
	v_add_f32_e32 v7, v7, v47
	v_add_f32_e32 v47, v28, v49
	v_mul_f32_e32 v28, v39, v41
	v_fmac_f32_e32 v17, v37, v26
	v_fmac_f32_e32 v48, v31, v40
	;; [unrolled: 1-line block ×3, first 2 shown]
	v_fma_f32 v49, v38, v40, -v28
	v_mul_f32_e32 v41, v38, v41
	v_mul_f32_e32 v28, v39, v43
	v_add_f32_e32 v37, v19, v17
	ds_read_b128 v[16:19], v15 offset:32
	ds_read_b128 v[24:27], v15 offset:48
	v_add_f32_e32 v44, v44, v48
	v_add_f32_e32 v48, v29, v30
	v_fmac_f32_e32 v41, v39, v40
	v_fma_f32 v40, v38, v42, -v28
	ds_read2_b64 v[28:31], v14 offset0:64 offset1:80
	v_add_f32_e32 v40, v36, v40
	v_mul_f32_e32 v38, v38, v43
	v_fmac_f32_e32 v38, v39, v42
	v_add_f32_e32 v42, v37, v38
	s_waitcnt lgkmcnt(0)
	v_mul_f32_e32 v36, v33, v29
	v_fma_f32 v36, v32, v28, -v36
	v_add_f32_e32 v7, v7, v36
	v_mul_f32_e32 v36, v33, v31
	v_mul_f32_e32 v37, v32, v29
	v_fma_f32 v36, v32, v30, -v36
	v_mul_f32_e32 v32, v32, v31
	v_fmac_f32_e32 v37, v33, v28
	v_fmac_f32_e32 v32, v33, v30
	v_add_f32_e32 v33, v47, v36
	v_mul_f32_e32 v36, v21, v29
	v_add_f32_e32 v39, v45, v49
	v_fma_f32 v36, v20, v28, -v36
	v_mul_f32_e32 v29, v20, v29
	v_add_f32_e32 v41, v46, v41
	v_fmac_f32_e32 v29, v21, v28
	v_add_f32_e32 v28, v39, v36
	v_mul_f32_e32 v36, v21, v31
	v_add_f32_e32 v43, v44, v37
	v_add_f32_e32 v29, v41, v29
	v_fma_f32 v41, v20, v30, -v36
	ds_read2_b64 v[36:39], v14 offset0:96 offset1:112
	v_mul_f32_e32 v20, v20, v31
	v_fmac_f32_e32 v20, v21, v30
	v_add_f32_e32 v21, v40, v41
	v_add_f32_e32 v32, v48, v32
	s_waitcnt lgkmcnt(0)
	v_mul_f32_e32 v30, v35, v37
	v_fma_f32 v30, v34, v36, -v30
	v_mul_f32_e32 v31, v34, v37
	v_fmac_f32_e32 v31, v35, v36
	v_add_f32_e32 v7, v7, v30
	v_mul_f32_e32 v30, v35, v39
	v_add_f32_e32 v40, v43, v31
	v_fma_f32 v30, v34, v38, -v30
	v_mul_f32_e32 v31, v34, v39
	v_fmac_f32_e32 v31, v35, v38
	v_add_f32_e32 v33, v33, v30
	v_mul_f32_e32 v30, v23, v37
	v_add_f32_e32 v32, v32, v31
	;; [unrolled: 6-line block ×3, first 2 shown]
	v_fma_f32 v34, v22, v38, -v28
	ds_read2_b64 v[28:31], v14 offset0:128 offset1:144
	v_mul_f32_e32 v22, v22, v39
	v_add_f32_e32 v20, v42, v20
	v_fmac_f32_e32 v22, v23, v38
	v_add_f32_e32 v42, v20, v22
	s_waitcnt lgkmcnt(0)
	v_mul_f32_e32 v20, v17, v29
	v_add_f32_e32 v41, v21, v34
	v_fma_f32 v20, v16, v28, -v20
	v_mul_f32_e32 v21, v16, v29
	v_fmac_f32_e32 v21, v17, v28
	v_add_f32_e32 v7, v7, v20
	v_mul_f32_e32 v20, v17, v31
	v_add_f32_e32 v40, v40, v21
	v_fma_f32 v34, v16, v30, -v20
	ds_read_b128 v[20:23], v15 offset:1056
	v_mul_f32_e32 v16, v16, v31
	v_fmac_f32_e32 v16, v17, v30
	v_add_f32_e32 v17, v33, v34
	v_add_f32_e32 v16, v32, v16
	ds_read_b128 v[32:35], v15 offset:1072
	s_waitcnt lgkmcnt(1)
	v_mul_f32_e32 v38, v21, v29
	v_fma_f32 v38, v20, v28, -v38
	v_mul_f32_e32 v29, v20, v29
	v_fmac_f32_e32 v29, v21, v28
	v_add_f32_e32 v28, v36, v38
	v_mul_f32_e32 v36, v21, v31
	v_add_f32_e32 v29, v37, v29
	v_fma_f32 v43, v20, v30, -v36
	ds_read2_b64 v[36:39], v14 offset0:160 offset1:176
	v_mul_f32_e32 v20, v20, v31
	v_fmac_f32_e32 v20, v21, v30
	v_add_f32_e32 v20, v42, v20
	v_add_f32_e32 v21, v41, v43
	s_waitcnt lgkmcnt(0)
	v_mul_f32_e32 v30, v19, v37
	v_mul_f32_e32 v31, v18, v37
	v_fma_f32 v30, v18, v36, -v30
	v_fmac_f32_e32 v31, v19, v36
	v_add_f32_e32 v7, v7, v30
	v_add_f32_e32 v30, v40, v31
	v_mul_f32_e32 v31, v19, v39
	v_fma_f32 v31, v18, v38, -v31
	v_mul_f32_e32 v18, v18, v39
	v_fmac_f32_e32 v18, v19, v38
	v_add_f32_e32 v40, v16, v18
	v_mul_f32_e32 v16, v23, v37
	v_add_f32_e32 v31, v17, v31
	v_fma_f32 v16, v22, v36, -v16
	v_mul_f32_e32 v17, v22, v37
	v_fmac_f32_e32 v17, v23, v36
	v_add_f32_e32 v28, v28, v16
	v_mul_f32_e32 v16, v23, v39
	v_add_f32_e32 v29, v29, v17
	v_fma_f32 v36, v22, v38, -v16
	ds_read2_b64 v[16:19], v14 offset0:192 offset1:208
	v_mul_f32_e32 v22, v22, v39
	v_fmac_f32_e32 v22, v23, v38
	v_add_f32_e32 v20, v20, v22
	v_add_f32_e32 v21, v21, v36
	s_waitcnt lgkmcnt(0)
	v_mul_f32_e32 v22, v25, v17
	v_mul_f32_e32 v23, v24, v17
	v_fma_f32 v22, v24, v16, -v22
	v_fmac_f32_e32 v23, v25, v16
	v_add_f32_e32 v7, v7, v22
	v_add_f32_e32 v22, v30, v23
	v_mul_f32_e32 v23, v25, v19
	v_fma_f32 v23, v24, v18, -v23
	v_mul_f32_e32 v24, v24, v19
	v_fmac_f32_e32 v24, v25, v18
	v_mul_f32_e32 v25, v33, v17
	v_mul_f32_e32 v17, v32, v17
	v_fma_f32 v25, v32, v16, -v25
	v_fmac_f32_e32 v17, v33, v16
	v_add_f32_e32 v23, v31, v23
	v_add_f32_e32 v16, v28, v25
	;; [unrolled: 1-line block ×3, first 2 shown]
	ds_read2_b64 v[28:31], v14 offset0:224 offset1:240
	v_mul_f32_e32 v25, v33, v19
	v_mul_f32_e32 v19, v32, v19
	v_fmac_f32_e32 v19, v33, v18
	v_add_f32_e32 v19, v20, v19
	s_waitcnt lgkmcnt(0)
	v_mul_f32_e32 v20, v27, v29
	v_fma_f32 v25, v32, v18, -v25
	v_fma_f32 v20, v26, v28, -v20
	v_add_f32_e32 v18, v21, v25
	v_mul_f32_e32 v21, v26, v29
	v_add_f32_e32 v20, v7, v20
	v_mul_f32_e32 v7, v27, v31
	v_mul_f32_e32 v25, v26, v31
	v_add_f32_e32 v24, v40, v24
	v_fmac_f32_e32 v21, v27, v28
	v_fma_f32 v7, v26, v30, -v7
	v_fmac_f32_e32 v25, v27, v30
	v_add_f32_e32 v21, v22, v21
	v_add_f32_e32 v22, v23, v7
	;; [unrolled: 1-line block ×3, first 2 shown]
	v_mul_f32_e32 v7, v35, v29
	v_mul_f32_e32 v24, v34, v29
	v_fma_f32 v7, v34, v28, -v7
	v_fmac_f32_e32 v24, v35, v28
	s_addc_u32 s3, s3, 0
	v_addc_co_u32_e32 v3, vcc, 0, v3, vcc
	v_add_f32_e32 v16, v16, v7
	v_add_f32_e32 v17, v17, v24
	v_mul_f32_e32 v7, v35, v31
	v_mul_f32_e32 v24, v34, v31
	v_cmp_ge_i64_e32 vcc, s[2:3], v[8:9]
	v_fma_f32 v7, v34, v30, -v7
	v_fmac_f32_e32 v24, v35, v30
	v_add_co_u32_e64 v4, s[0:1], 64, v4
	v_add_f32_e32 v18, v18, v7
	v_add_f32_e32 v19, v19, v24
	v_addc_co_u32_e64 v5, s[0:1], 0, v5, s[0:1]
	s_barrier
	s_cbranch_vccnz .LBB1759_12
.LBB1759_3:                             ; =>This Inner Loop Header: Depth=1
	v_mov_b32_e32 v7, s3
	v_add_co_u32_e32 v24, vcc, s2, v10
	v_addc_co_u32_e32 v25, vcc, 0, v7, vcc
	v_cmp_le_i64_e32 vcc, s[12:13], v[24:25]
	s_or_b64 s[0:1], s[4:5], vcc
	s_and_saveexec_b64 s[16:17], s[0:1]
	s_xor_b64 s[0:1], exec, s[16:17]
; %bb.4:                                ;   in Loop: Header=BB1759_3 Depth=1
	v_mov_b32_e32 v7, v6
	ds_write_b64 v12, v[6:7]
; %bb.5:                                ;   in Loop: Header=BB1759_3 Depth=1
	s_andn2_saveexec_b64 s[0:1], s[0:1]
	s_cbranch_execz .LBB1759_7
; %bb.6:                                ;   in Loop: Header=BB1759_3 Depth=1
	flat_load_dwordx2 v[24:25], v[2:3]
	s_waitcnt vmcnt(0) lgkmcnt(0)
	ds_write_b64 v12, v[24:25]
.LBB1759_7:                             ;   in Loop: Header=BB1759_3 Depth=1
	s_or_b64 exec, exec, s[0:1]
	v_mov_b32_e32 v7, s3
	v_add_co_u32_e32 v24, vcc, s2, v11
	v_addc_co_u32_e32 v25, vcc, 0, v7, vcc
	v_cmp_le_i64_e32 vcc, s[12:13], v[24:25]
	s_or_b64 s[0:1], vcc, s[6:7]
	s_and_saveexec_b64 s[16:17], s[0:1]
	s_xor_b64 s[0:1], exec, s[16:17]
; %bb.8:                                ;   in Loop: Header=BB1759_3 Depth=1
	v_mov_b32_e32 v7, v6
	ds_write_b64 v13, v[6:7]
; %bb.9:                                ;   in Loop: Header=BB1759_3 Depth=1
	s_andn2_saveexec_b64 s[0:1], s[0:1]
	s_cbranch_execz .LBB1759_2
; %bb.10:                               ;   in Loop: Header=BB1759_3 Depth=1
	flat_load_dwordx2 v[24:25], v[4:5]
	s_waitcnt vmcnt(0) lgkmcnt(0)
	ds_write_b64 v13, v[24:25]
	s_branch .LBB1759_2
.LBB1759_11:
	v_mov_b32_e32 v20, 0
	v_mov_b32_e32 v21, 0
	;; [unrolled: 1-line block ×8, first 2 shown]
.LBB1759_12:
	v_add_u32_e32 v5, s20, v1
	v_ashrrev_i32_e32 v1, 31, v5
	v_mul_lo_u32 v3, s22, v1
	v_mul_lo_u32 v4, s23, v5
	v_mad_u64_u32 v[1:2], s[0:1], s22, v5, 0
	v_add_u32_e32 v0, s11, v0
	v_cmp_gt_i32_e32 vcc, s10, v5
	v_add3_u32 v2, v2, v3, v4
	v_lshlrev_b64 v[1:2], 3, v[1:2]
	s_waitcnt lgkmcnt(0)
	v_mov_b32_e32 v3, s9
	v_add_co_u32_e64 v4, s[0:1], s8, v1
	v_addc_co_u32_e64 v6, s[0:1], v3, v2, s[0:1]
	v_cmp_le_i32_e64 s[0:1], v0, v5
	s_and_b64 s[0:1], vcc, s[0:1]
	s_and_saveexec_b64 s[2:3], s[0:1]
	s_cbranch_execz .LBB1759_15
; %bb.13:
	v_mul_f32_e32 v1, s15, v21
	v_fma_f32 v7, v20, s14, -v1
	v_ashrrev_i32_e32 v1, 31, v0
	v_lshlrev_b64 v[1:2], 3, v[0:1]
	v_mul_f32_e32 v8, s14, v21
	v_add_co_u32_e64 v1, s[0:1], v4, v1
	v_addc_co_u32_e64 v2, s[0:1], v6, v2, s[0:1]
	v_fmac_f32_e32 v8, s15, v20
	v_cmp_eq_u32_e64 s[0:1], v5, v0
	flat_store_dwordx2 v[1:2], v[7:8]
	s_and_b64 exec, exec, s[0:1]
	s_cbranch_execz .LBB1759_15
; %bb.14:
	v_mov_b32_e32 v3, 0
	flat_store_dword v[1:2], v3 offset:4
.LBB1759_15:
	s_or_b64 exec, exec, s[2:3]
	v_add_u32_e32 v2, 16, v0
	v_cmp_le_i32_e64 s[0:1], v2, v5
	s_and_b64 s[2:3], vcc, s[0:1]
	s_and_saveexec_b64 s[0:1], s[2:3]
	s_cbranch_execz .LBB1759_18
; %bb.16:
	v_ashrrev_i32_e32 v3, 31, v2
	v_lshlrev_b64 v[9:10], 3, v[2:3]
	v_mul_f32_e32 v1, s15, v23
	v_add_co_u32_e32 v3, vcc, v4, v9
	v_mul_f32_e32 v8, s14, v23
	v_addc_co_u32_e32 v4, vcc, v6, v10, vcc
	v_fma_f32 v7, v22, s14, -v1
	v_fmac_f32_e32 v8, s15, v22
	v_cmp_eq_u32_e32 vcc, v5, v2
	flat_store_dwordx2 v[3:4], v[7:8]
	s_and_b64 exec, exec, vcc
	s_cbranch_execz .LBB1759_18
; %bb.17:
	v_mov_b32_e32 v1, 0
	flat_store_dword v[3:4], v1 offset:4
.LBB1759_18:
	s_or_b64 exec, exec, s[0:1]
	v_add_u32_e32 v8, 16, v5
	v_ashrrev_i32_e32 v1, 31, v8
	v_mul_lo_u32 v1, s22, v1
	v_mul_lo_u32 v6, s23, v8
	v_mad_u64_u32 v[3:4], s[0:1], s22, v8, 0
	v_cmp_gt_i32_e32 vcc, s10, v8
	v_add3_u32 v4, v4, v1, v6
	v_lshlrev_b64 v[3:4], 3, v[3:4]
	v_mov_b32_e32 v1, s9
	v_add_co_u32_e64 v6, s[0:1], s8, v3
	v_addc_co_u32_e64 v7, s[0:1], v1, v4, s[0:1]
	v_cmp_le_i32_e64 s[0:1], v0, v8
	s_and_b64 s[0:1], vcc, s[0:1]
	s_and_saveexec_b64 s[2:3], s[0:1]
	s_cbranch_execz .LBB1759_21
; %bb.19:
	v_mul_f32_e32 v1, s15, v17
	v_fma_f32 v9, v16, s14, -v1
	v_ashrrev_i32_e32 v1, 31, v0
	v_lshlrev_b64 v[3:4], 3, v[0:1]
	v_mul_f32_e32 v10, s14, v17
	v_add_co_u32_e64 v3, s[0:1], v6, v3
	v_addc_co_u32_e64 v4, s[0:1], v7, v4, s[0:1]
	v_fmac_f32_e32 v10, s15, v16
	v_cmp_eq_u32_e64 s[0:1], v8, v0
	flat_store_dwordx2 v[3:4], v[9:10]
	s_and_b64 exec, exec, s[0:1]
	s_cbranch_execz .LBB1759_21
; %bb.20:
	v_mov_b32_e32 v1, 0
	flat_store_dword v[3:4], v1 offset:4
.LBB1759_21:
	s_or_b64 exec, exec, s[2:3]
	v_cmp_le_i32_e64 s[0:1], v2, v8
	s_and_b64 s[0:1], vcc, s[0:1]
	s_and_saveexec_b64 s[2:3], s[0:1]
	s_cbranch_execz .LBB1759_24
; %bb.22:
	v_mul_f32_e32 v1, s15, v19
	v_ashrrev_i32_e32 v3, 31, v2
	v_fma_f32 v8, v18, s14, -v1
	v_lshlrev_b64 v[1:2], 3, v[2:3]
	v_mul_f32_e32 v9, s14, v19
	v_add_co_u32_e32 v1, vcc, v6, v1
	v_addc_co_u32_e32 v2, vcc, v7, v2, vcc
	v_fmac_f32_e32 v9, s15, v18
	v_cmp_eq_u32_e32 vcc, v5, v0
	flat_store_dwordx2 v[1:2], v[8:9]
	s_and_b64 exec, exec, vcc
	s_cbranch_execz .LBB1759_24
; %bb.23:
	v_mov_b32_e32 v0, 0
	flat_store_dword v[1:2], v0 offset:4
.LBB1759_24:
	s_endpgm
	.section	.rodata,"a",@progbits
	.p2align	6, 0x0
	.amdhsa_kernel _ZL34rocblas_syrkx_herkx_general_kernelIl19rocblas_complex_numIfELi16ELi32ELi8ELb1ELb1ELc84ELc85EKPKS1_KPS1_EviT_T0_PT8_S7_lSA_S7_lS8_PT9_S7_li
		.amdhsa_group_segment_fixed_size 4096
		.amdhsa_private_segment_fixed_size 0
		.amdhsa_kernarg_size 108
		.amdhsa_user_sgpr_count 6
		.amdhsa_user_sgpr_private_segment_buffer 1
		.amdhsa_user_sgpr_dispatch_ptr 0
		.amdhsa_user_sgpr_queue_ptr 0
		.amdhsa_user_sgpr_kernarg_segment_ptr 1
		.amdhsa_user_sgpr_dispatch_id 0
		.amdhsa_user_sgpr_flat_scratch_init 0
		.amdhsa_user_sgpr_private_segment_size 0
		.amdhsa_uses_dynamic_stack 0
		.amdhsa_system_sgpr_private_segment_wavefront_offset 0
		.amdhsa_system_sgpr_workgroup_id_x 1
		.amdhsa_system_sgpr_workgroup_id_y 1
		.amdhsa_system_sgpr_workgroup_id_z 1
		.amdhsa_system_sgpr_workgroup_info 0
		.amdhsa_system_vgpr_workitem_id 1
		.amdhsa_next_free_vgpr 50
		.amdhsa_next_free_sgpr 24
		.amdhsa_reserve_vcc 1
		.amdhsa_reserve_flat_scratch 0
		.amdhsa_float_round_mode_32 0
		.amdhsa_float_round_mode_16_64 0
		.amdhsa_float_denorm_mode_32 3
		.amdhsa_float_denorm_mode_16_64 3
		.amdhsa_dx10_clamp 1
		.amdhsa_ieee_mode 1
		.amdhsa_fp16_overflow 0
		.amdhsa_exception_fp_ieee_invalid_op 0
		.amdhsa_exception_fp_denorm_src 0
		.amdhsa_exception_fp_ieee_div_zero 0
		.amdhsa_exception_fp_ieee_overflow 0
		.amdhsa_exception_fp_ieee_underflow 0
		.amdhsa_exception_fp_ieee_inexact 0
		.amdhsa_exception_int_div_zero 0
	.end_amdhsa_kernel
	.section	.text._ZL34rocblas_syrkx_herkx_general_kernelIl19rocblas_complex_numIfELi16ELi32ELi8ELb1ELb1ELc84ELc85EKPKS1_KPS1_EviT_T0_PT8_S7_lSA_S7_lS8_PT9_S7_li,"axG",@progbits,_ZL34rocblas_syrkx_herkx_general_kernelIl19rocblas_complex_numIfELi16ELi32ELi8ELb1ELb1ELc84ELc85EKPKS1_KPS1_EviT_T0_PT8_S7_lSA_S7_lS8_PT9_S7_li,comdat
.Lfunc_end1759:
	.size	_ZL34rocblas_syrkx_herkx_general_kernelIl19rocblas_complex_numIfELi16ELi32ELi8ELb1ELb1ELc84ELc85EKPKS1_KPS1_EviT_T0_PT8_S7_lSA_S7_lS8_PT9_S7_li, .Lfunc_end1759-_ZL34rocblas_syrkx_herkx_general_kernelIl19rocblas_complex_numIfELi16ELi32ELi8ELb1ELb1ELc84ELc85EKPKS1_KPS1_EviT_T0_PT8_S7_lSA_S7_lS8_PT9_S7_li
                                        ; -- End function
	.set _ZL34rocblas_syrkx_herkx_general_kernelIl19rocblas_complex_numIfELi16ELi32ELi8ELb1ELb1ELc84ELc85EKPKS1_KPS1_EviT_T0_PT8_S7_lSA_S7_lS8_PT9_S7_li.num_vgpr, 50
	.set _ZL34rocblas_syrkx_herkx_general_kernelIl19rocblas_complex_numIfELi16ELi32ELi8ELb1ELb1ELc84ELc85EKPKS1_KPS1_EviT_T0_PT8_S7_lSA_S7_lS8_PT9_S7_li.num_agpr, 0
	.set _ZL34rocblas_syrkx_herkx_general_kernelIl19rocblas_complex_numIfELi16ELi32ELi8ELb1ELb1ELc84ELc85EKPKS1_KPS1_EviT_T0_PT8_S7_lSA_S7_lS8_PT9_S7_li.numbered_sgpr, 24
	.set _ZL34rocblas_syrkx_herkx_general_kernelIl19rocblas_complex_numIfELi16ELi32ELi8ELb1ELb1ELc84ELc85EKPKS1_KPS1_EviT_T0_PT8_S7_lSA_S7_lS8_PT9_S7_li.num_named_barrier, 0
	.set _ZL34rocblas_syrkx_herkx_general_kernelIl19rocblas_complex_numIfELi16ELi32ELi8ELb1ELb1ELc84ELc85EKPKS1_KPS1_EviT_T0_PT8_S7_lSA_S7_lS8_PT9_S7_li.private_seg_size, 0
	.set _ZL34rocblas_syrkx_herkx_general_kernelIl19rocblas_complex_numIfELi16ELi32ELi8ELb1ELb1ELc84ELc85EKPKS1_KPS1_EviT_T0_PT8_S7_lSA_S7_lS8_PT9_S7_li.uses_vcc, 1
	.set _ZL34rocblas_syrkx_herkx_general_kernelIl19rocblas_complex_numIfELi16ELi32ELi8ELb1ELb1ELc84ELc85EKPKS1_KPS1_EviT_T0_PT8_S7_lSA_S7_lS8_PT9_S7_li.uses_flat_scratch, 0
	.set _ZL34rocblas_syrkx_herkx_general_kernelIl19rocblas_complex_numIfELi16ELi32ELi8ELb1ELb1ELc84ELc85EKPKS1_KPS1_EviT_T0_PT8_S7_lSA_S7_lS8_PT9_S7_li.has_dyn_sized_stack, 0
	.set _ZL34rocblas_syrkx_herkx_general_kernelIl19rocblas_complex_numIfELi16ELi32ELi8ELb1ELb1ELc84ELc85EKPKS1_KPS1_EviT_T0_PT8_S7_lSA_S7_lS8_PT9_S7_li.has_recursion, 0
	.set _ZL34rocblas_syrkx_herkx_general_kernelIl19rocblas_complex_numIfELi16ELi32ELi8ELb1ELb1ELc84ELc85EKPKS1_KPS1_EviT_T0_PT8_S7_lSA_S7_lS8_PT9_S7_li.has_indirect_call, 0
	.section	.AMDGPU.csdata,"",@progbits
; Kernel info:
; codeLenInByte = 2308
; TotalNumSgprs: 28
; NumVgprs: 50
; ScratchSize: 0
; MemoryBound: 1
; FloatMode: 240
; IeeeMode: 1
; LDSByteSize: 4096 bytes/workgroup (compile time only)
; SGPRBlocks: 3
; VGPRBlocks: 12
; NumSGPRsForWavesPerEU: 28
; NumVGPRsForWavesPerEU: 50
; Occupancy: 4
; WaveLimiterHint : 1
; COMPUTE_PGM_RSRC2:SCRATCH_EN: 0
; COMPUTE_PGM_RSRC2:USER_SGPR: 6
; COMPUTE_PGM_RSRC2:TRAP_HANDLER: 0
; COMPUTE_PGM_RSRC2:TGID_X_EN: 1
; COMPUTE_PGM_RSRC2:TGID_Y_EN: 1
; COMPUTE_PGM_RSRC2:TGID_Z_EN: 1
; COMPUTE_PGM_RSRC2:TIDIG_COMP_CNT: 1
	.section	.text._ZL34rocblas_syrkx_herkx_general_kernelIl19rocblas_complex_numIfELi16ELi32ELi8ELb1ELb1ELc67ELc85EKPKS1_KPS1_EviT_T0_PT8_S7_lSA_S7_lS8_PT9_S7_li,"axG",@progbits,_ZL34rocblas_syrkx_herkx_general_kernelIl19rocblas_complex_numIfELi16ELi32ELi8ELb1ELb1ELc67ELc85EKPKS1_KPS1_EviT_T0_PT8_S7_lSA_S7_lS8_PT9_S7_li,comdat
	.globl	_ZL34rocblas_syrkx_herkx_general_kernelIl19rocblas_complex_numIfELi16ELi32ELi8ELb1ELb1ELc67ELc85EKPKS1_KPS1_EviT_T0_PT8_S7_lSA_S7_lS8_PT9_S7_li ; -- Begin function _ZL34rocblas_syrkx_herkx_general_kernelIl19rocblas_complex_numIfELi16ELi32ELi8ELb1ELb1ELc67ELc85EKPKS1_KPS1_EviT_T0_PT8_S7_lSA_S7_lS8_PT9_S7_li
	.p2align	8
	.type	_ZL34rocblas_syrkx_herkx_general_kernelIl19rocblas_complex_numIfELi16ELi32ELi8ELb1ELb1ELc67ELc85EKPKS1_KPS1_EviT_T0_PT8_S7_lSA_S7_lS8_PT9_S7_li,@function
_ZL34rocblas_syrkx_herkx_general_kernelIl19rocblas_complex_numIfELi16ELi32ELi8ELb1ELb1ELc67ELc85EKPKS1_KPS1_EviT_T0_PT8_S7_lSA_S7_lS8_PT9_S7_li: ; @_ZL34rocblas_syrkx_herkx_general_kernelIl19rocblas_complex_numIfELi16ELi32ELi8ELb1ELb1ELc67ELc85EKPKS1_KPS1_EviT_T0_PT8_S7_lSA_S7_lS8_PT9_S7_li
; %bb.0:
	s_load_dwordx4 s[20:23], s[4:5], 0x50
	s_load_dword s10, s[4:5], 0x0
	s_load_dwordx8 s[12:19], s[4:5], 0x8
	s_mov_b32 s9, 0
	s_lshl_b64 s[0:1], s[8:9], 3
	s_waitcnt lgkmcnt(0)
	s_add_u32 s2, s20, s0
	s_addc_u32 s3, s21, s1
	s_load_dwordx2 s[8:9], s[2:3], 0x0
	v_cmp_lt_i64_e64 s[2:3], s[12:13], 1
	s_lshl_b32 s11, s6, 5
	s_lshl_b32 s20, s7, 5
	s_and_b64 vcc, exec, s[2:3]
	s_cbranch_vccnz .LBB1760_11
; %bb.1:
	s_load_dwordx4 s[4:7], s[4:5], 0x30
	v_lshl_add_u32 v2, v1, 4, v0
	v_and_b32_e32 v5, 31, v2
	v_or_b32_e32 v6, s11, v5
	v_and_b32_e32 v11, 7, v0
	v_lshrrev_b32_e32 v3, 3, v2
	v_lshrrev_b32_e32 v10, 5, v2
	v_cmp_gt_i32_e32 vcc, s10, v6
	v_lshlrev_b32_e32 v2, 3, v5
	v_lshlrev_b32_e32 v6, 3, v11
	v_lshl_or_b32 v12, v10, 8, v2
	v_lshl_or_b32 v2, v3, 6, v6
	s_waitcnt lgkmcnt(0)
	s_add_u32 s2, s4, s0
	v_add_u32_e32 v13, 0x800, v2
	v_add_u32_e32 v2, s11, v5
	;; [unrolled: 1-line block ×3, first 2 shown]
	s_addc_u32 s3, s5, s1
	v_ashrrev_i32_e32 v3, 31, v2
	s_load_dwordx2 s[4:5], s[2:3], 0x0
	v_mul_lo_u32 v5, s18, v3
	v_mul_lo_u32 v8, s19, v2
	v_mad_u64_u32 v[2:3], s[2:3], s18, v2, 0
	s_add_u32 s0, s16, s0
	s_addc_u32 s1, s17, s1
	v_add3_u32 v3, v3, v5, v8
	v_lshlrev_b64 v[2:3], 3, v[2:3]
	v_lshlrev_b32_e32 v5, 3, v10
	v_ashrrev_i32_e32 v7, 31, v4
	v_mov_b32_e32 v9, 0x800
	v_add_co_u32_e64 v2, s[2:3], v2, v5
	s_load_dwordx2 s[16:17], s[0:1], 0x0
	v_cmp_gt_i32_e64 s[0:1], s10, v4
	v_lshl_add_u32 v15, v1, 6, v9
	v_addc_co_u32_e64 v3, s[2:3], 0, v3, s[2:3]
	v_mul_lo_u32 v7, s6, v7
	v_mul_lo_u32 v9, s7, v4
	v_mad_u64_u32 v[4:5], s[2:3], s6, v4, 0
	s_waitcnt lgkmcnt(0)
	v_mov_b32_e32 v8, s17
	v_add_co_u32_e64 v2, s[2:3], s16, v2
	v_add3_u32 v5, v5, v7, v9
	v_lshlrev_b64 v[4:5], 3, v[4:5]
	v_addc_co_u32_e64 v3, s[2:3], v8, v3, s[2:3]
	v_add_co_u32_e64 v4, s[2:3], v4, v6
	v_addc_co_u32_e64 v5, s[2:3], 0, v5, s[2:3]
	v_mov_b32_e32 v6, s5
	v_add_co_u32_e64 v4, s[2:3], s4, v4
	v_addc_co_u32_e64 v5, s[2:3], v6, v5, s[2:3]
	v_mov_b32_e32 v8, s12
	v_lshlrev_b32_e32 v14, 3, v0
	s_mov_b64 s[2:3], 0
	s_xor_b64 s[4:5], vcc, -1
	s_xor_b64 s[6:7], s[0:1], -1
	v_mov_b32_e32 v19, 0
	v_mov_b32_e32 v18, 0
	;; [unrolled: 1-line block ×10, first 2 shown]
	s_branch .LBB1760_3
.LBB1760_2:                             ;   in Loop: Header=BB1760_3 Depth=1
	s_or_b64 exec, exec, s[0:1]
	s_waitcnt lgkmcnt(0)
	s_barrier
	ds_read2_b64 v[24:27], v14 offset1:16
	ds_read_b128 v[28:31], v15
	ds_read_b128 v[32:35], v15 offset:16
	s_add_u32 s2, s2, 8
	v_add_co_u32_e32 v2, vcc, 64, v2
	s_waitcnt lgkmcnt(1)
	v_mul_f32_e32 v36, v28, v25
	v_fmac_f32_e32 v36, v29, v24
	v_add_f32_e32 v44, v21, v36
	ds_read_b128 v[36:39], v15 offset:1024
	v_mul_f32_e32 v7, v29, v25
	v_fma_f32 v7, v28, v24, -v7
	v_add_f32_e32 v7, v20, v7
	v_mul_f32_e32 v20, v29, v27
	v_mul_f32_e32 v21, v28, v27
	v_fma_f32 v20, v28, v26, -v20
	v_fmac_f32_e32 v21, v29, v26
	v_add_f32_e32 v28, v22, v20
	v_add_f32_e32 v29, v23, v21
	ds_read_b128 v[20:23], v15 offset:1040
	s_waitcnt lgkmcnt(1)
	v_mul_f32_e32 v40, v37, v25
	v_fma_f32 v40, v36, v24, -v40
	v_add_f32_e32 v45, v16, v40
	ds_read2_b64 v[40:43], v14 offset0:32 offset1:48
	v_mul_f32_e32 v25, v36, v25
	v_mul_f32_e32 v16, v37, v27
	v_fmac_f32_e32 v25, v37, v24
	v_fma_f32 v16, v36, v26, -v16
	v_add_f32_e32 v46, v17, v25
	v_mul_f32_e32 v17, v36, v27
	v_add_f32_e32 v36, v18, v16
	s_waitcnt lgkmcnt(0)
	v_mul_f32_e32 v16, v31, v41
	v_fma_f32 v47, v30, v40, -v16
	v_mul_f32_e32 v16, v31, v43
	v_fma_f32 v49, v30, v42, -v16
	v_mul_f32_e32 v48, v30, v41
	v_mul_f32_e32 v30, v30, v43
	v_add_f32_e32 v7, v7, v47
	v_add_f32_e32 v47, v28, v49
	v_mul_f32_e32 v28, v39, v41
	v_fmac_f32_e32 v17, v37, v26
	v_fmac_f32_e32 v48, v31, v40
	;; [unrolled: 1-line block ×3, first 2 shown]
	v_fma_f32 v49, v38, v40, -v28
	v_mul_f32_e32 v41, v38, v41
	v_mul_f32_e32 v28, v39, v43
	v_add_f32_e32 v37, v19, v17
	ds_read_b128 v[16:19], v15 offset:32
	ds_read_b128 v[24:27], v15 offset:48
	v_add_f32_e32 v44, v44, v48
	v_add_f32_e32 v48, v29, v30
	v_fmac_f32_e32 v41, v39, v40
	v_fma_f32 v40, v38, v42, -v28
	ds_read2_b64 v[28:31], v14 offset0:64 offset1:80
	v_add_f32_e32 v40, v36, v40
	v_mul_f32_e32 v38, v38, v43
	v_fmac_f32_e32 v38, v39, v42
	v_add_f32_e32 v42, v37, v38
	s_waitcnt lgkmcnt(0)
	v_mul_f32_e32 v36, v33, v29
	v_fma_f32 v36, v32, v28, -v36
	v_add_f32_e32 v7, v7, v36
	v_mul_f32_e32 v36, v33, v31
	v_mul_f32_e32 v37, v32, v29
	v_fma_f32 v36, v32, v30, -v36
	v_mul_f32_e32 v32, v32, v31
	v_fmac_f32_e32 v37, v33, v28
	v_fmac_f32_e32 v32, v33, v30
	v_add_f32_e32 v33, v47, v36
	v_mul_f32_e32 v36, v21, v29
	v_add_f32_e32 v39, v45, v49
	v_fma_f32 v36, v20, v28, -v36
	v_mul_f32_e32 v29, v20, v29
	v_add_f32_e32 v41, v46, v41
	v_fmac_f32_e32 v29, v21, v28
	v_add_f32_e32 v28, v39, v36
	v_mul_f32_e32 v36, v21, v31
	v_add_f32_e32 v43, v44, v37
	v_add_f32_e32 v29, v41, v29
	v_fma_f32 v41, v20, v30, -v36
	ds_read2_b64 v[36:39], v14 offset0:96 offset1:112
	v_mul_f32_e32 v20, v20, v31
	v_fmac_f32_e32 v20, v21, v30
	v_add_f32_e32 v21, v40, v41
	v_add_f32_e32 v32, v48, v32
	s_waitcnt lgkmcnt(0)
	v_mul_f32_e32 v30, v35, v37
	v_fma_f32 v30, v34, v36, -v30
	v_mul_f32_e32 v31, v34, v37
	v_fmac_f32_e32 v31, v35, v36
	v_add_f32_e32 v7, v7, v30
	v_mul_f32_e32 v30, v35, v39
	v_add_f32_e32 v40, v43, v31
	v_fma_f32 v30, v34, v38, -v30
	v_mul_f32_e32 v31, v34, v39
	v_fmac_f32_e32 v31, v35, v38
	v_add_f32_e32 v33, v33, v30
	v_mul_f32_e32 v30, v23, v37
	v_add_f32_e32 v32, v32, v31
	;; [unrolled: 6-line block ×3, first 2 shown]
	v_fma_f32 v34, v22, v38, -v28
	ds_read2_b64 v[28:31], v14 offset0:128 offset1:144
	v_mul_f32_e32 v22, v22, v39
	v_add_f32_e32 v20, v42, v20
	v_fmac_f32_e32 v22, v23, v38
	v_add_f32_e32 v42, v20, v22
	s_waitcnt lgkmcnt(0)
	v_mul_f32_e32 v20, v17, v29
	v_add_f32_e32 v41, v21, v34
	v_fma_f32 v20, v16, v28, -v20
	v_mul_f32_e32 v21, v16, v29
	v_fmac_f32_e32 v21, v17, v28
	v_add_f32_e32 v7, v7, v20
	v_mul_f32_e32 v20, v17, v31
	v_add_f32_e32 v40, v40, v21
	v_fma_f32 v34, v16, v30, -v20
	ds_read_b128 v[20:23], v15 offset:1056
	v_mul_f32_e32 v16, v16, v31
	v_fmac_f32_e32 v16, v17, v30
	v_add_f32_e32 v17, v33, v34
	v_add_f32_e32 v16, v32, v16
	ds_read_b128 v[32:35], v15 offset:1072
	s_waitcnt lgkmcnt(1)
	v_mul_f32_e32 v38, v21, v29
	v_fma_f32 v38, v20, v28, -v38
	v_mul_f32_e32 v29, v20, v29
	v_fmac_f32_e32 v29, v21, v28
	v_add_f32_e32 v28, v36, v38
	v_mul_f32_e32 v36, v21, v31
	v_add_f32_e32 v29, v37, v29
	v_fma_f32 v43, v20, v30, -v36
	ds_read2_b64 v[36:39], v14 offset0:160 offset1:176
	v_mul_f32_e32 v20, v20, v31
	v_fmac_f32_e32 v20, v21, v30
	v_add_f32_e32 v20, v42, v20
	v_add_f32_e32 v21, v41, v43
	s_waitcnt lgkmcnt(0)
	v_mul_f32_e32 v30, v19, v37
	v_mul_f32_e32 v31, v18, v37
	v_fma_f32 v30, v18, v36, -v30
	v_fmac_f32_e32 v31, v19, v36
	v_add_f32_e32 v7, v7, v30
	v_add_f32_e32 v30, v40, v31
	v_mul_f32_e32 v31, v19, v39
	v_fma_f32 v31, v18, v38, -v31
	v_mul_f32_e32 v18, v18, v39
	v_fmac_f32_e32 v18, v19, v38
	v_add_f32_e32 v40, v16, v18
	v_mul_f32_e32 v16, v23, v37
	v_add_f32_e32 v31, v17, v31
	v_fma_f32 v16, v22, v36, -v16
	v_mul_f32_e32 v17, v22, v37
	v_fmac_f32_e32 v17, v23, v36
	v_add_f32_e32 v28, v28, v16
	v_mul_f32_e32 v16, v23, v39
	v_add_f32_e32 v29, v29, v17
	v_fma_f32 v36, v22, v38, -v16
	ds_read2_b64 v[16:19], v14 offset0:192 offset1:208
	v_mul_f32_e32 v22, v22, v39
	v_fmac_f32_e32 v22, v23, v38
	v_add_f32_e32 v20, v20, v22
	v_add_f32_e32 v21, v21, v36
	s_waitcnt lgkmcnt(0)
	v_mul_f32_e32 v22, v25, v17
	v_mul_f32_e32 v23, v24, v17
	v_fma_f32 v22, v24, v16, -v22
	v_fmac_f32_e32 v23, v25, v16
	v_add_f32_e32 v7, v7, v22
	v_add_f32_e32 v22, v30, v23
	v_mul_f32_e32 v23, v25, v19
	v_fma_f32 v23, v24, v18, -v23
	v_mul_f32_e32 v24, v24, v19
	v_fmac_f32_e32 v24, v25, v18
	v_mul_f32_e32 v25, v33, v17
	v_mul_f32_e32 v17, v32, v17
	v_fma_f32 v25, v32, v16, -v25
	v_fmac_f32_e32 v17, v33, v16
	v_add_f32_e32 v23, v31, v23
	v_add_f32_e32 v16, v28, v25
	;; [unrolled: 1-line block ×3, first 2 shown]
	ds_read2_b64 v[28:31], v14 offset0:224 offset1:240
	v_mul_f32_e32 v25, v33, v19
	v_mul_f32_e32 v19, v32, v19
	v_fmac_f32_e32 v19, v33, v18
	v_add_f32_e32 v19, v20, v19
	s_waitcnt lgkmcnt(0)
	v_mul_f32_e32 v20, v27, v29
	v_fma_f32 v25, v32, v18, -v25
	v_fma_f32 v20, v26, v28, -v20
	v_add_f32_e32 v18, v21, v25
	v_mul_f32_e32 v21, v26, v29
	v_add_f32_e32 v20, v7, v20
	v_mul_f32_e32 v7, v27, v31
	v_mul_f32_e32 v25, v26, v31
	v_add_f32_e32 v24, v40, v24
	v_fmac_f32_e32 v21, v27, v28
	v_fma_f32 v7, v26, v30, -v7
	v_fmac_f32_e32 v25, v27, v30
	v_add_f32_e32 v21, v22, v21
	v_add_f32_e32 v22, v23, v7
	;; [unrolled: 1-line block ×3, first 2 shown]
	v_mul_f32_e32 v7, v35, v29
	v_mul_f32_e32 v24, v34, v29
	v_fma_f32 v7, v34, v28, -v7
	v_fmac_f32_e32 v24, v35, v28
	s_addc_u32 s3, s3, 0
	v_addc_co_u32_e32 v3, vcc, 0, v3, vcc
	v_add_f32_e32 v16, v16, v7
	v_add_f32_e32 v17, v17, v24
	v_mul_f32_e32 v7, v35, v31
	v_mul_f32_e32 v24, v34, v31
	v_cmp_ge_i64_e32 vcc, s[2:3], v[8:9]
	v_fma_f32 v7, v34, v30, -v7
	v_fmac_f32_e32 v24, v35, v30
	v_add_co_u32_e64 v4, s[0:1], 64, v4
	v_add_f32_e32 v18, v18, v7
	v_add_f32_e32 v19, v19, v24
	v_addc_co_u32_e64 v5, s[0:1], 0, v5, s[0:1]
	s_barrier
	s_cbranch_vccnz .LBB1760_12
.LBB1760_3:                             ; =>This Inner Loop Header: Depth=1
	v_mov_b32_e32 v7, s3
	v_add_co_u32_e32 v24, vcc, s2, v10
	v_addc_co_u32_e32 v25, vcc, 0, v7, vcc
	v_cmp_le_i64_e32 vcc, s[12:13], v[24:25]
	s_or_b64 s[0:1], s[4:5], vcc
	s_and_saveexec_b64 s[16:17], s[0:1]
	s_xor_b64 s[0:1], exec, s[16:17]
; %bb.4:                                ;   in Loop: Header=BB1760_3 Depth=1
	ds_write_b32 v12, v6
; %bb.5:                                ;   in Loop: Header=BB1760_3 Depth=1
	s_or_saveexec_b64 s[0:1], s[0:1]
	v_mov_b32_e32 v7, 0
	s_xor_b64 exec, exec, s[0:1]
	s_cbranch_execz .LBB1760_7
; %bb.6:                                ;   in Loop: Header=BB1760_3 Depth=1
	flat_load_dwordx2 v[24:25], v[2:3]
	s_waitcnt vmcnt(0) lgkmcnt(0)
	v_xor_b32_e32 v7, 0x80000000, v25
	ds_write_b32 v12, v24
.LBB1760_7:                             ;   in Loop: Header=BB1760_3 Depth=1
	s_or_b64 exec, exec, s[0:1]
	v_mov_b32_e32 v25, s3
	v_add_co_u32_e32 v24, vcc, s2, v11
	v_addc_co_u32_e32 v25, vcc, 0, v25, vcc
	v_cmp_le_i64_e32 vcc, s[12:13], v[24:25]
	ds_write_b32 v12, v7 offset:4
	s_or_b64 s[0:1], vcc, s[6:7]
	s_and_saveexec_b64 s[16:17], s[0:1]
	s_xor_b64 s[0:1], exec, s[16:17]
; %bb.8:                                ;   in Loop: Header=BB1760_3 Depth=1
	v_mov_b32_e32 v7, v6
	ds_write_b64 v13, v[6:7]
; %bb.9:                                ;   in Loop: Header=BB1760_3 Depth=1
	s_andn2_saveexec_b64 s[0:1], s[0:1]
	s_cbranch_execz .LBB1760_2
; %bb.10:                               ;   in Loop: Header=BB1760_3 Depth=1
	flat_load_dwordx2 v[24:25], v[4:5]
	s_waitcnt vmcnt(0) lgkmcnt(0)
	ds_write_b64 v13, v[24:25]
	s_branch .LBB1760_2
.LBB1760_11:
	v_mov_b32_e32 v20, 0
	v_mov_b32_e32 v21, 0
	;; [unrolled: 1-line block ×8, first 2 shown]
.LBB1760_12:
	v_add_u32_e32 v5, s20, v1
	v_ashrrev_i32_e32 v1, 31, v5
	v_mul_lo_u32 v3, s22, v1
	v_mul_lo_u32 v4, s23, v5
	v_mad_u64_u32 v[1:2], s[0:1], s22, v5, 0
	v_add_u32_e32 v0, s11, v0
	v_cmp_gt_i32_e32 vcc, s10, v5
	v_add3_u32 v2, v2, v3, v4
	v_lshlrev_b64 v[1:2], 3, v[1:2]
	s_waitcnt lgkmcnt(0)
	v_mov_b32_e32 v3, s9
	v_add_co_u32_e64 v4, s[0:1], s8, v1
	v_addc_co_u32_e64 v6, s[0:1], v3, v2, s[0:1]
	v_cmp_le_i32_e64 s[0:1], v0, v5
	s_and_b64 s[0:1], vcc, s[0:1]
	s_and_saveexec_b64 s[2:3], s[0:1]
	s_cbranch_execz .LBB1760_15
; %bb.13:
	v_mul_f32_e32 v1, s15, v21
	v_fma_f32 v7, v20, s14, -v1
	v_ashrrev_i32_e32 v1, 31, v0
	v_lshlrev_b64 v[1:2], 3, v[0:1]
	v_mul_f32_e32 v8, s14, v21
	v_add_co_u32_e64 v1, s[0:1], v4, v1
	v_addc_co_u32_e64 v2, s[0:1], v6, v2, s[0:1]
	v_fmac_f32_e32 v8, s15, v20
	v_cmp_eq_u32_e64 s[0:1], v5, v0
	flat_store_dwordx2 v[1:2], v[7:8]
	s_and_b64 exec, exec, s[0:1]
	s_cbranch_execz .LBB1760_15
; %bb.14:
	v_mov_b32_e32 v3, 0
	flat_store_dword v[1:2], v3 offset:4
.LBB1760_15:
	s_or_b64 exec, exec, s[2:3]
	v_add_u32_e32 v2, 16, v0
	v_cmp_le_i32_e64 s[0:1], v2, v5
	s_and_b64 s[2:3], vcc, s[0:1]
	s_and_saveexec_b64 s[0:1], s[2:3]
	s_cbranch_execz .LBB1760_18
; %bb.16:
	v_ashrrev_i32_e32 v3, 31, v2
	v_lshlrev_b64 v[9:10], 3, v[2:3]
	v_mul_f32_e32 v1, s15, v23
	v_add_co_u32_e32 v3, vcc, v4, v9
	v_mul_f32_e32 v8, s14, v23
	v_addc_co_u32_e32 v4, vcc, v6, v10, vcc
	v_fma_f32 v7, v22, s14, -v1
	v_fmac_f32_e32 v8, s15, v22
	v_cmp_eq_u32_e32 vcc, v5, v2
	flat_store_dwordx2 v[3:4], v[7:8]
	s_and_b64 exec, exec, vcc
	s_cbranch_execz .LBB1760_18
; %bb.17:
	v_mov_b32_e32 v1, 0
	flat_store_dword v[3:4], v1 offset:4
.LBB1760_18:
	s_or_b64 exec, exec, s[0:1]
	v_add_u32_e32 v8, 16, v5
	v_ashrrev_i32_e32 v1, 31, v8
	v_mul_lo_u32 v1, s22, v1
	v_mul_lo_u32 v6, s23, v8
	v_mad_u64_u32 v[3:4], s[0:1], s22, v8, 0
	v_cmp_gt_i32_e32 vcc, s10, v8
	v_add3_u32 v4, v4, v1, v6
	v_lshlrev_b64 v[3:4], 3, v[3:4]
	v_mov_b32_e32 v1, s9
	v_add_co_u32_e64 v6, s[0:1], s8, v3
	v_addc_co_u32_e64 v7, s[0:1], v1, v4, s[0:1]
	v_cmp_le_i32_e64 s[0:1], v0, v8
	s_and_b64 s[0:1], vcc, s[0:1]
	s_and_saveexec_b64 s[2:3], s[0:1]
	s_cbranch_execz .LBB1760_21
; %bb.19:
	v_mul_f32_e32 v1, s15, v17
	v_fma_f32 v9, v16, s14, -v1
	v_ashrrev_i32_e32 v1, 31, v0
	v_lshlrev_b64 v[3:4], 3, v[0:1]
	v_mul_f32_e32 v10, s14, v17
	v_add_co_u32_e64 v3, s[0:1], v6, v3
	v_addc_co_u32_e64 v4, s[0:1], v7, v4, s[0:1]
	v_fmac_f32_e32 v10, s15, v16
	v_cmp_eq_u32_e64 s[0:1], v8, v0
	flat_store_dwordx2 v[3:4], v[9:10]
	s_and_b64 exec, exec, s[0:1]
	s_cbranch_execz .LBB1760_21
; %bb.20:
	v_mov_b32_e32 v1, 0
	flat_store_dword v[3:4], v1 offset:4
.LBB1760_21:
	s_or_b64 exec, exec, s[2:3]
	v_cmp_le_i32_e64 s[0:1], v2, v8
	s_and_b64 s[0:1], vcc, s[0:1]
	s_and_saveexec_b64 s[2:3], s[0:1]
	s_cbranch_execz .LBB1760_24
; %bb.22:
	v_mul_f32_e32 v1, s15, v19
	v_ashrrev_i32_e32 v3, 31, v2
	v_fma_f32 v8, v18, s14, -v1
	v_lshlrev_b64 v[1:2], 3, v[2:3]
	v_mul_f32_e32 v9, s14, v19
	v_add_co_u32_e32 v1, vcc, v6, v1
	v_addc_co_u32_e32 v2, vcc, v7, v2, vcc
	v_fmac_f32_e32 v9, s15, v18
	v_cmp_eq_u32_e32 vcc, v5, v0
	flat_store_dwordx2 v[1:2], v[8:9]
	s_and_b64 exec, exec, vcc
	s_cbranch_execz .LBB1760_24
; %bb.23:
	v_mov_b32_e32 v0, 0
	flat_store_dword v[1:2], v0 offset:4
.LBB1760_24:
	s_endpgm
	.section	.rodata,"a",@progbits
	.p2align	6, 0x0
	.amdhsa_kernel _ZL34rocblas_syrkx_herkx_general_kernelIl19rocblas_complex_numIfELi16ELi32ELi8ELb1ELb1ELc67ELc85EKPKS1_KPS1_EviT_T0_PT8_S7_lSA_S7_lS8_PT9_S7_li
		.amdhsa_group_segment_fixed_size 4096
		.amdhsa_private_segment_fixed_size 0
		.amdhsa_kernarg_size 108
		.amdhsa_user_sgpr_count 6
		.amdhsa_user_sgpr_private_segment_buffer 1
		.amdhsa_user_sgpr_dispatch_ptr 0
		.amdhsa_user_sgpr_queue_ptr 0
		.amdhsa_user_sgpr_kernarg_segment_ptr 1
		.amdhsa_user_sgpr_dispatch_id 0
		.amdhsa_user_sgpr_flat_scratch_init 0
		.amdhsa_user_sgpr_private_segment_size 0
		.amdhsa_uses_dynamic_stack 0
		.amdhsa_system_sgpr_private_segment_wavefront_offset 0
		.amdhsa_system_sgpr_workgroup_id_x 1
		.amdhsa_system_sgpr_workgroup_id_y 1
		.amdhsa_system_sgpr_workgroup_id_z 1
		.amdhsa_system_sgpr_workgroup_info 0
		.amdhsa_system_vgpr_workitem_id 1
		.amdhsa_next_free_vgpr 50
		.amdhsa_next_free_sgpr 24
		.amdhsa_reserve_vcc 1
		.amdhsa_reserve_flat_scratch 0
		.amdhsa_float_round_mode_32 0
		.amdhsa_float_round_mode_16_64 0
		.amdhsa_float_denorm_mode_32 3
		.amdhsa_float_denorm_mode_16_64 3
		.amdhsa_dx10_clamp 1
		.amdhsa_ieee_mode 1
		.amdhsa_fp16_overflow 0
		.amdhsa_exception_fp_ieee_invalid_op 0
		.amdhsa_exception_fp_denorm_src 0
		.amdhsa_exception_fp_ieee_div_zero 0
		.amdhsa_exception_fp_ieee_overflow 0
		.amdhsa_exception_fp_ieee_underflow 0
		.amdhsa_exception_fp_ieee_inexact 0
		.amdhsa_exception_int_div_zero 0
	.end_amdhsa_kernel
	.section	.text._ZL34rocblas_syrkx_herkx_general_kernelIl19rocblas_complex_numIfELi16ELi32ELi8ELb1ELb1ELc67ELc85EKPKS1_KPS1_EviT_T0_PT8_S7_lSA_S7_lS8_PT9_S7_li,"axG",@progbits,_ZL34rocblas_syrkx_herkx_general_kernelIl19rocblas_complex_numIfELi16ELi32ELi8ELb1ELb1ELc67ELc85EKPKS1_KPS1_EviT_T0_PT8_S7_lSA_S7_lS8_PT9_S7_li,comdat
.Lfunc_end1760:
	.size	_ZL34rocblas_syrkx_herkx_general_kernelIl19rocblas_complex_numIfELi16ELi32ELi8ELb1ELb1ELc67ELc85EKPKS1_KPS1_EviT_T0_PT8_S7_lSA_S7_lS8_PT9_S7_li, .Lfunc_end1760-_ZL34rocblas_syrkx_herkx_general_kernelIl19rocblas_complex_numIfELi16ELi32ELi8ELb1ELb1ELc67ELc85EKPKS1_KPS1_EviT_T0_PT8_S7_lSA_S7_lS8_PT9_S7_li
                                        ; -- End function
	.set _ZL34rocblas_syrkx_herkx_general_kernelIl19rocblas_complex_numIfELi16ELi32ELi8ELb1ELb1ELc67ELc85EKPKS1_KPS1_EviT_T0_PT8_S7_lSA_S7_lS8_PT9_S7_li.num_vgpr, 50
	.set _ZL34rocblas_syrkx_herkx_general_kernelIl19rocblas_complex_numIfELi16ELi32ELi8ELb1ELb1ELc67ELc85EKPKS1_KPS1_EviT_T0_PT8_S7_lSA_S7_lS8_PT9_S7_li.num_agpr, 0
	.set _ZL34rocblas_syrkx_herkx_general_kernelIl19rocblas_complex_numIfELi16ELi32ELi8ELb1ELb1ELc67ELc85EKPKS1_KPS1_EviT_T0_PT8_S7_lSA_S7_lS8_PT9_S7_li.numbered_sgpr, 24
	.set _ZL34rocblas_syrkx_herkx_general_kernelIl19rocblas_complex_numIfELi16ELi32ELi8ELb1ELb1ELc67ELc85EKPKS1_KPS1_EviT_T0_PT8_S7_lSA_S7_lS8_PT9_S7_li.num_named_barrier, 0
	.set _ZL34rocblas_syrkx_herkx_general_kernelIl19rocblas_complex_numIfELi16ELi32ELi8ELb1ELb1ELc67ELc85EKPKS1_KPS1_EviT_T0_PT8_S7_lSA_S7_lS8_PT9_S7_li.private_seg_size, 0
	.set _ZL34rocblas_syrkx_herkx_general_kernelIl19rocblas_complex_numIfELi16ELi32ELi8ELb1ELb1ELc67ELc85EKPKS1_KPS1_EviT_T0_PT8_S7_lSA_S7_lS8_PT9_S7_li.uses_vcc, 1
	.set _ZL34rocblas_syrkx_herkx_general_kernelIl19rocblas_complex_numIfELi16ELi32ELi8ELb1ELb1ELc67ELc85EKPKS1_KPS1_EviT_T0_PT8_S7_lSA_S7_lS8_PT9_S7_li.uses_flat_scratch, 0
	.set _ZL34rocblas_syrkx_herkx_general_kernelIl19rocblas_complex_numIfELi16ELi32ELi8ELb1ELb1ELc67ELc85EKPKS1_KPS1_EviT_T0_PT8_S7_lSA_S7_lS8_PT9_S7_li.has_dyn_sized_stack, 0
	.set _ZL34rocblas_syrkx_herkx_general_kernelIl19rocblas_complex_numIfELi16ELi32ELi8ELb1ELb1ELc67ELc85EKPKS1_KPS1_EviT_T0_PT8_S7_lSA_S7_lS8_PT9_S7_li.has_recursion, 0
	.set _ZL34rocblas_syrkx_herkx_general_kernelIl19rocblas_complex_numIfELi16ELi32ELi8ELb1ELb1ELc67ELc85EKPKS1_KPS1_EviT_T0_PT8_S7_lSA_S7_lS8_PT9_S7_li.has_indirect_call, 0
	.section	.AMDGPU.csdata,"",@progbits
; Kernel info:
; codeLenInByte = 2328
; TotalNumSgprs: 28
; NumVgprs: 50
; ScratchSize: 0
; MemoryBound: 1
; FloatMode: 240
; IeeeMode: 1
; LDSByteSize: 4096 bytes/workgroup (compile time only)
; SGPRBlocks: 3
; VGPRBlocks: 12
; NumSGPRsForWavesPerEU: 28
; NumVGPRsForWavesPerEU: 50
; Occupancy: 4
; WaveLimiterHint : 1
; COMPUTE_PGM_RSRC2:SCRATCH_EN: 0
; COMPUTE_PGM_RSRC2:USER_SGPR: 6
; COMPUTE_PGM_RSRC2:TRAP_HANDLER: 0
; COMPUTE_PGM_RSRC2:TGID_X_EN: 1
; COMPUTE_PGM_RSRC2:TGID_Y_EN: 1
; COMPUTE_PGM_RSRC2:TGID_Z_EN: 1
; COMPUTE_PGM_RSRC2:TIDIG_COMP_CNT: 1
	.section	.text._ZL34rocblas_syrkx_herkx_general_kernelIl19rocblas_complex_numIfELi16ELi32ELi8ELb1ELb1ELc78ELc85EKPKS1_KPS1_EviT_T0_PT8_S7_lSA_S7_lS8_PT9_S7_li,"axG",@progbits,_ZL34rocblas_syrkx_herkx_general_kernelIl19rocblas_complex_numIfELi16ELi32ELi8ELb1ELb1ELc78ELc85EKPKS1_KPS1_EviT_T0_PT8_S7_lSA_S7_lS8_PT9_S7_li,comdat
	.globl	_ZL34rocblas_syrkx_herkx_general_kernelIl19rocblas_complex_numIfELi16ELi32ELi8ELb1ELb1ELc78ELc85EKPKS1_KPS1_EviT_T0_PT8_S7_lSA_S7_lS8_PT9_S7_li ; -- Begin function _ZL34rocblas_syrkx_herkx_general_kernelIl19rocblas_complex_numIfELi16ELi32ELi8ELb1ELb1ELc78ELc85EKPKS1_KPS1_EviT_T0_PT8_S7_lSA_S7_lS8_PT9_S7_li
	.p2align	8
	.type	_ZL34rocblas_syrkx_herkx_general_kernelIl19rocblas_complex_numIfELi16ELi32ELi8ELb1ELb1ELc78ELc85EKPKS1_KPS1_EviT_T0_PT8_S7_lSA_S7_lS8_PT9_S7_li,@function
_ZL34rocblas_syrkx_herkx_general_kernelIl19rocblas_complex_numIfELi16ELi32ELi8ELb1ELb1ELc78ELc85EKPKS1_KPS1_EviT_T0_PT8_S7_lSA_S7_lS8_PT9_S7_li: ; @_ZL34rocblas_syrkx_herkx_general_kernelIl19rocblas_complex_numIfELi16ELi32ELi8ELb1ELb1ELc78ELc85EKPKS1_KPS1_EviT_T0_PT8_S7_lSA_S7_lS8_PT9_S7_li
; %bb.0:
	s_load_dwordx4 s[20:23], s[4:5], 0x50
	s_load_dword s24, s[4:5], 0x0
	s_load_dwordx8 s[12:19], s[4:5], 0x8
	s_mov_b32 s9, 0
	s_lshl_b64 s[0:1], s[8:9], 3
	s_waitcnt lgkmcnt(0)
	s_add_u32 s2, s20, s0
	s_addc_u32 s3, s21, s1
	s_load_dwordx2 s[8:9], s[2:3], 0x0
	v_cmp_lt_i64_e64 s[2:3], s[12:13], 1
	s_lshl_b32 s20, s6, 5
	s_lshl_b32 s21, s7, 5
	s_and_b64 vcc, exec, s[2:3]
	s_cbranch_vccnz .LBB1761_11
; %bb.1:
	s_load_dwordx4 s[4:7], s[4:5], 0x30
	v_lshl_add_u32 v2, v1, 4, v0
	v_and_b32_e32 v8, 31, v2
	v_lshrrev_b32_e32 v5, 3, v2
	v_or_b32_e32 v3, s20, v8
	s_waitcnt lgkmcnt(0)
	s_add_u32 s2, s4, s0
	v_lshrrev_b32_e32 v10, 5, v2
	s_addc_u32 s3, s5, s1
	v_lshlrev_b32_e32 v2, 3, v8
	s_load_dwordx2 s[10:11], s[2:3], 0x0
	v_cmp_gt_i32_e32 vcc, s24, v3
	v_lshl_or_b32 v12, v10, 8, v2
	v_mad_u64_u32 v[2:3], s[2:3], s18, v10, 0
	v_and_b32_e32 v11, 7, v0
	v_add_u32_e32 v4, s21, v5
	v_lshlrev_b32_e32 v6, 3, v11
	v_lshl_or_b32 v5, v5, 6, v6
	v_mad_u64_u32 v[6:7], s[2:3], s19, v10, v[3:4]
	v_mov_b32_e32 v3, 0x800
	v_lshl_add_u32 v15, v1, 6, v3
	v_mov_b32_e32 v3, v6
	v_add_u32_e32 v6, s20, v8
	v_ashrrev_i32_e32 v7, 31, v6
	v_mad_u64_u32 v[8:9], s[2:3], s6, v11, 0
	v_lshlrev_b64 v[2:3], 3, v[2:3]
	v_lshlrev_b64 v[6:7], 3, v[6:7]
	s_add_u32 s0, s16, s0
	v_add_co_u32_e64 v16, s[2:3], v2, v6
	s_addc_u32 s1, s17, s1
	v_addc_co_u32_e64 v3, s[2:3], v3, v7, s[2:3]
	v_mov_b32_e32 v2, v9
	s_load_dwordx2 s[4:5], s[0:1], 0x0
	v_mad_u64_u32 v[6:7], s[2:3], s7, v11, v[2:3]
	v_add_u32_e32 v13, 0x800, v5
	v_ashrrev_i32_e32 v5, 31, v4
	v_mov_b32_e32 v9, v6
	v_cmp_gt_i32_e64 s[0:1], s24, v4
	s_waitcnt lgkmcnt(0)
	v_mov_b32_e32 v17, s5
	v_add_co_u32_e64 v2, s[2:3], s4, v16
	v_lshlrev_b64 v[6:7], 3, v[8:9]
	v_lshlrev_b64 v[4:5], 3, v[4:5]
	v_addc_co_u32_e64 v3, s[2:3], v17, v3, s[2:3]
	v_add_co_u32_e64 v4, s[2:3], v6, v4
	v_addc_co_u32_e64 v5, s[2:3], v7, v5, s[2:3]
	v_mov_b32_e32 v6, s11
	v_add_co_u32_e64 v4, s[2:3], s10, v4
	v_addc_co_u32_e64 v5, s[2:3], v6, v5, s[2:3]
	s_lshl_b64 s[4:5], s[18:19], 6
	s_lshl_b64 s[2:3], s[6:7], 6
	v_mov_b32_e32 v8, s12
	v_lshlrev_b32_e32 v14, 3, v0
	s_mov_b64 s[6:7], 0
	s_xor_b64 s[10:11], vcc, -1
	s_xor_b64 s[16:17], s[0:1], -1
	v_mov_b32_e32 v16, s5
	v_mov_b32_e32 v17, s3
	;; [unrolled: 1-line block ×12, first 2 shown]
	s_branch .LBB1761_3
.LBB1761_2:                             ;   in Loop: Header=BB1761_3 Depth=1
	s_or_b64 exec, exec, s[0:1]
	ds_write_b32 v13, v7 offset:4
	s_waitcnt lgkmcnt(0)
	s_barrier
	ds_read2_b64 v[26:29], v14 offset1:16
	ds_read_b128 v[30:33], v15
	ds_read_b128 v[34:37], v15 offset:16
	s_add_u32 s6, s6, 8
	v_add_co_u32_e32 v2, vcc, s4, v2
	s_waitcnt lgkmcnt(1)
	v_mul_f32_e32 v38, v30, v27
	v_fmac_f32_e32 v38, v31, v26
	v_add_f32_e32 v42, v25, v38
	ds_read_b128 v[38:41], v15 offset:1024
	v_mul_f32_e32 v7, v31, v27
	v_fma_f32 v7, v30, v26, -v7
	v_add_f32_e32 v7, v24, v7
	v_mul_f32_e32 v24, v31, v29
	v_mul_f32_e32 v25, v30, v29
	v_fma_f32 v24, v30, v28, -v24
	v_fmac_f32_e32 v25, v31, v28
	v_add_f32_e32 v30, v22, v24
	v_add_f32_e32 v31, v23, v25
	ds_read_b128 v[22:25], v15 offset:1040
	s_waitcnt lgkmcnt(1)
	v_mul_f32_e32 v43, v39, v27
	v_mul_f32_e32 v44, v38, v27
	v_fma_f32 v43, v38, v26, -v43
	v_fmac_f32_e32 v44, v39, v26
	v_mul_f32_e32 v26, v39, v29
	v_fma_f32 v45, v38, v28, -v26
	v_mul_f32_e32 v38, v38, v29
	v_fmac_f32_e32 v38, v39, v28
	ds_read2_b64 v[26:29], v14 offset0:32 offset1:48
	v_add_f32_e32 v39, v20, v45
	v_add_f32_e32 v38, v21, v38
	;; [unrolled: 1-line block ×4, first 2 shown]
	s_waitcnt lgkmcnt(0)
	v_mul_f32_e32 v20, v33, v27
	v_fma_f32 v20, v32, v26, -v20
	v_mul_f32_e32 v21, v32, v27
	v_fmac_f32_e32 v21, v33, v26
	v_add_f32_e32 v7, v7, v20
	v_mul_f32_e32 v20, v33, v29
	v_add_f32_e32 v42, v42, v21
	v_fma_f32 v20, v32, v28, -v20
	v_mul_f32_e32 v21, v32, v29
	v_fmac_f32_e32 v21, v33, v28
	v_add_f32_e32 v30, v30, v20
	v_mul_f32_e32 v20, v41, v27
	v_add_f32_e32 v31, v31, v21
	v_fma_f32 v20, v40, v26, -v20
	v_mul_f32_e32 v21, v40, v27
	v_fmac_f32_e32 v21, v41, v26
	v_add_f32_e32 v26, v18, v20
	v_mul_f32_e32 v18, v41, v29
	v_add_f32_e32 v27, v19, v21
	v_fma_f32 v32, v40, v28, -v18
	ds_read2_b64 v[18:21], v14 offset0:64 offset1:80
	v_mul_f32_e32 v29, v40, v29
	v_fmac_f32_e32 v29, v41, v28
	v_add_f32_e32 v33, v38, v29
	v_add_f32_e32 v32, v39, v32
	s_waitcnt lgkmcnt(0)
	v_mul_f32_e32 v28, v35, v19
	v_fma_f32 v28, v34, v18, -v28
	v_mul_f32_e32 v29, v34, v19
	v_add_f32_e32 v7, v7, v28
	v_mul_f32_e32 v28, v35, v21
	v_fmac_f32_e32 v29, v35, v18
	v_fma_f32 v28, v34, v20, -v28
	v_add_f32_e32 v38, v42, v29
	v_mul_f32_e32 v29, v34, v21
	v_add_f32_e32 v30, v30, v28
	v_mul_f32_e32 v28, v23, v19
	v_mul_f32_e32 v19, v22, v19
	v_fmac_f32_e32 v29, v35, v20
	v_fma_f32 v28, v22, v18, -v28
	v_fmac_f32_e32 v19, v23, v18
	v_add_f32_e32 v31, v31, v29
	v_add_f32_e32 v34, v26, v28
	v_add_f32_e32 v35, v27, v19
	ds_read2_b64 v[26:29], v14 offset0:96 offset1:112
	v_mul_f32_e32 v18, v23, v21
	v_fma_f32 v39, v22, v20, -v18
	v_mul_f32_e32 v22, v22, v21
	v_fmac_f32_e32 v22, v23, v20
	v_add_f32_e32 v23, v32, v39
	s_waitcnt lgkmcnt(0)
	v_mul_f32_e32 v32, v37, v27
	v_fma_f32 v32, v36, v26, -v32
	v_add_f32_e32 v22, v33, v22
	v_mul_f32_e32 v33, v36, v27
	v_add_f32_e32 v7, v7, v32
	v_mul_f32_e32 v32, v37, v29
	v_fmac_f32_e32 v33, v37, v26
	v_fma_f32 v32, v36, v28, -v32
	v_add_f32_e32 v38, v38, v33
	v_mul_f32_e32 v33, v36, v29
	v_add_f32_e32 v39, v30, v32
	v_mul_f32_e32 v30, v25, v27
	v_fmac_f32_e32 v33, v37, v28
	v_fma_f32 v30, v24, v26, -v30
	ds_read_b128 v[18:21], v15 offset:32
	v_add_f32_e32 v40, v31, v33
	v_add_f32_e32 v42, v34, v30
	ds_read2_b64 v[30:33], v14 offset0:128 offset1:144
	v_mul_f32_e32 v27, v24, v27
	v_fmac_f32_e32 v27, v25, v26
	v_mul_f32_e32 v26, v25, v29
	v_fma_f32 v26, v24, v28, -v26
	v_mul_f32_e32 v24, v24, v29
	v_fmac_f32_e32 v24, v25, v28
	v_add_f32_e32 v43, v35, v27
	v_add_f32_e32 v23, v23, v26
	;; [unrolled: 1-line block ×3, first 2 shown]
	ds_read_b128 v[24:27], v15 offset:48
	s_waitcnt lgkmcnt(1)
	v_mul_f32_e32 v28, v19, v31
	ds_read_b128 v[34:37], v15 offset:1056
	v_fma_f32 v28, v18, v30, -v28
	v_add_f32_e32 v7, v7, v28
	v_mul_f32_e32 v28, v19, v33
	v_mul_f32_e32 v29, v18, v31
	v_fma_f32 v28, v18, v32, -v28
	v_mul_f32_e32 v18, v18, v33
	v_fmac_f32_e32 v29, v19, v30
	v_fmac_f32_e32 v18, v19, v32
	v_add_f32_e32 v44, v38, v29
	v_add_f32_e32 v19, v39, v28
	;; [unrolled: 1-line block ×3, first 2 shown]
	ds_read_b128 v[38:41], v15 offset:1072
	s_waitcnt lgkmcnt(1)
	v_mul_f32_e32 v28, v35, v31
	v_fma_f32 v45, v34, v30, -v28
	v_mul_f32_e32 v46, v34, v31
	v_mul_f32_e32 v28, v35, v33
	v_fmac_f32_e32 v46, v35, v30
	v_fma_f32 v47, v34, v32, -v28
	ds_read2_b64 v[28:31], v14 offset0:160 offset1:176
	v_mul_f32_e32 v33, v34, v33
	v_fmac_f32_e32 v33, v35, v32
	v_add_f32_e32 v22, v22, v33
	v_add_f32_e32 v32, v42, v45
	s_waitcnt lgkmcnt(0)
	v_mul_f32_e32 v33, v21, v29
	v_mul_f32_e32 v35, v20, v29
	v_fma_f32 v33, v20, v28, -v33
	v_fmac_f32_e32 v35, v21, v28
	v_add_f32_e32 v7, v7, v33
	v_add_f32_e32 v33, v44, v35
	v_mul_f32_e32 v35, v21, v31
	v_fma_f32 v35, v20, v30, -v35
	v_mul_f32_e32 v20, v20, v31
	v_fmac_f32_e32 v20, v21, v30
	v_add_f32_e32 v42, v18, v20
	v_mul_f32_e32 v18, v37, v29
	v_add_f32_e32 v35, v19, v35
	v_fma_f32 v18, v36, v28, -v18
	v_mul_f32_e32 v19, v36, v29
	v_add_f32_e32 v34, v43, v46
	v_fmac_f32_e32 v19, v37, v28
	v_add_f32_e32 v28, v32, v18
	v_mul_f32_e32 v18, v37, v31
	v_add_f32_e32 v29, v34, v19
	v_fma_f32 v32, v36, v30, -v18
	ds_read2_b64 v[18:21], v14 offset0:192 offset1:208
	v_mul_f32_e32 v31, v36, v31
	v_fmac_f32_e32 v31, v37, v30
	v_add_f32_e32 v22, v22, v31
	v_add_f32_e32 v23, v23, v47
	s_waitcnt lgkmcnt(0)
	v_mul_f32_e32 v30, v25, v19
	v_fma_f32 v30, v24, v18, -v30
	v_add_f32_e32 v7, v7, v30
	v_mul_f32_e32 v30, v25, v21
	v_mul_f32_e32 v31, v24, v19
	v_fma_f32 v30, v24, v20, -v30
	v_mul_f32_e32 v24, v24, v21
	v_fmac_f32_e32 v24, v25, v20
	v_add_f32_e32 v34, v42, v24
	v_mul_f32_e32 v24, v39, v19
	v_mul_f32_e32 v19, v38, v19
	v_fmac_f32_e32 v31, v25, v18
	v_fma_f32 v24, v38, v18, -v24
	v_fmac_f32_e32 v19, v39, v18
	v_add_f32_e32 v23, v23, v32
	v_add_f32_e32 v32, v33, v31
	;; [unrolled: 1-line block ×5, first 2 shown]
	ds_read2_b64 v[28:31], v14 offset0:224 offset1:240
	v_mul_f32_e32 v24, v39, v21
	v_mul_f32_e32 v21, v38, v21
	v_fmac_f32_e32 v21, v39, v20
	v_add_f32_e32 v21, v22, v21
	s_waitcnt lgkmcnt(0)
	v_mul_f32_e32 v22, v27, v29
	v_fma_f32 v24, v38, v20, -v24
	v_fma_f32 v22, v26, v28, -v22
	v_add_f32_e32 v20, v23, v24
	v_mul_f32_e32 v23, v26, v29
	v_add_f32_e32 v24, v7, v22
	v_mul_f32_e32 v7, v27, v31
	v_fmac_f32_e32 v23, v27, v28
	v_fma_f32 v7, v26, v30, -v7
	v_add_f32_e32 v25, v32, v23
	v_mul_f32_e32 v23, v26, v31
	v_add_f32_e32 v22, v33, v7
	v_mul_f32_e32 v7, v41, v29
	v_mul_f32_e32 v26, v40, v29
	v_fma_f32 v7, v40, v28, -v7
	v_fmac_f32_e32 v26, v41, v28
	s_addc_u32 s7, s7, 0
	v_addc_co_u32_e32 v3, vcc, v3, v16, vcc
	v_add_f32_e32 v18, v18, v7
	v_add_f32_e32 v19, v19, v26
	v_mul_f32_e32 v7, v41, v31
	v_mul_f32_e32 v26, v40, v31
	v_cmp_ge_i64_e32 vcc, s[6:7], v[8:9]
	v_fmac_f32_e32 v23, v27, v30
	v_fma_f32 v7, v40, v30, -v7
	v_fmac_f32_e32 v26, v41, v30
	v_add_co_u32_e64 v4, s[0:1], s2, v4
	v_add_f32_e32 v23, v34, v23
	v_add_f32_e32 v20, v20, v7
	;; [unrolled: 1-line block ×3, first 2 shown]
	v_addc_co_u32_e64 v5, s[0:1], v5, v17, s[0:1]
	s_barrier
	s_cbranch_vccnz .LBB1761_12
.LBB1761_3:                             ; =>This Inner Loop Header: Depth=1
	v_mov_b32_e32 v7, s7
	v_add_co_u32_e32 v26, vcc, s6, v10
	v_addc_co_u32_e32 v27, vcc, 0, v7, vcc
	v_cmp_le_i64_e32 vcc, s[12:13], v[26:27]
	s_or_b64 s[0:1], s[10:11], vcc
	s_and_saveexec_b64 s[18:19], s[0:1]
	s_xor_b64 s[0:1], exec, s[18:19]
; %bb.4:                                ;   in Loop: Header=BB1761_3 Depth=1
	v_mov_b32_e32 v7, v6
	ds_write_b64 v12, v[6:7]
; %bb.5:                                ;   in Loop: Header=BB1761_3 Depth=1
	s_andn2_saveexec_b64 s[0:1], s[0:1]
	s_cbranch_execz .LBB1761_7
; %bb.6:                                ;   in Loop: Header=BB1761_3 Depth=1
	flat_load_dwordx2 v[26:27], v[2:3]
	s_waitcnt vmcnt(0) lgkmcnt(0)
	ds_write_b64 v12, v[26:27]
.LBB1761_7:                             ;   in Loop: Header=BB1761_3 Depth=1
	s_or_b64 exec, exec, s[0:1]
	v_mov_b32_e32 v7, s7
	v_add_co_u32_e32 v26, vcc, s6, v11
	v_addc_co_u32_e32 v27, vcc, 0, v7, vcc
	v_cmp_le_i64_e32 vcc, s[12:13], v[26:27]
	s_or_b64 s[0:1], vcc, s[16:17]
	s_and_saveexec_b64 s[18:19], s[0:1]
	s_xor_b64 s[0:1], exec, s[18:19]
; %bb.8:                                ;   in Loop: Header=BB1761_3 Depth=1
	ds_write_b32 v13, v6
; %bb.9:                                ;   in Loop: Header=BB1761_3 Depth=1
	s_or_saveexec_b64 s[0:1], s[0:1]
	v_mov_b32_e32 v7, 0
	s_xor_b64 exec, exec, s[0:1]
	s_cbranch_execz .LBB1761_2
; %bb.10:                               ;   in Loop: Header=BB1761_3 Depth=1
	flat_load_dwordx2 v[26:27], v[4:5]
	s_waitcnt vmcnt(0) lgkmcnt(0)
	v_xor_b32_e32 v7, 0x80000000, v27
	ds_write_b32 v13, v26
	s_branch .LBB1761_2
.LBB1761_11:
	v_mov_b32_e32 v24, 0
	v_mov_b32_e32 v25, 0
	;; [unrolled: 1-line block ×8, first 2 shown]
.LBB1761_12:
	v_add_u32_e32 v5, s21, v1
	v_ashrrev_i32_e32 v1, 31, v5
	v_mul_lo_u32 v3, s22, v1
	v_mul_lo_u32 v4, s23, v5
	v_mad_u64_u32 v[1:2], s[0:1], s22, v5, 0
	v_add_u32_e32 v0, s20, v0
	v_cmp_gt_i32_e32 vcc, s24, v5
	v_add3_u32 v2, v2, v3, v4
	v_lshlrev_b64 v[1:2], 3, v[1:2]
	s_waitcnt lgkmcnt(0)
	v_mov_b32_e32 v3, s9
	v_add_co_u32_e64 v4, s[0:1], s8, v1
	v_addc_co_u32_e64 v6, s[0:1], v3, v2, s[0:1]
	v_cmp_le_i32_e64 s[0:1], v0, v5
	s_and_b64 s[0:1], vcc, s[0:1]
	s_and_saveexec_b64 s[2:3], s[0:1]
	s_cbranch_execz .LBB1761_15
; %bb.13:
	v_mul_f32_e32 v1, s15, v25
	v_fma_f32 v7, v24, s14, -v1
	v_ashrrev_i32_e32 v1, 31, v0
	v_lshlrev_b64 v[1:2], 3, v[0:1]
	v_mul_f32_e32 v8, s14, v25
	v_add_co_u32_e64 v1, s[0:1], v4, v1
	v_addc_co_u32_e64 v2, s[0:1], v6, v2, s[0:1]
	v_fmac_f32_e32 v8, s15, v24
	v_cmp_eq_u32_e64 s[0:1], v5, v0
	flat_store_dwordx2 v[1:2], v[7:8]
	s_and_b64 exec, exec, s[0:1]
	s_cbranch_execz .LBB1761_15
; %bb.14:
	v_mov_b32_e32 v3, 0
	flat_store_dword v[1:2], v3 offset:4
.LBB1761_15:
	s_or_b64 exec, exec, s[2:3]
	v_add_u32_e32 v2, 16, v0
	v_cmp_le_i32_e64 s[0:1], v2, v5
	s_and_b64 s[2:3], vcc, s[0:1]
	s_and_saveexec_b64 s[0:1], s[2:3]
	s_cbranch_execz .LBB1761_18
; %bb.16:
	v_ashrrev_i32_e32 v3, 31, v2
	v_lshlrev_b64 v[9:10], 3, v[2:3]
	v_mul_f32_e32 v1, s15, v23
	v_add_co_u32_e32 v3, vcc, v4, v9
	v_mul_f32_e32 v8, s14, v23
	v_addc_co_u32_e32 v4, vcc, v6, v10, vcc
	v_fma_f32 v7, v22, s14, -v1
	v_fmac_f32_e32 v8, s15, v22
	v_cmp_eq_u32_e32 vcc, v5, v2
	flat_store_dwordx2 v[3:4], v[7:8]
	s_and_b64 exec, exec, vcc
	s_cbranch_execz .LBB1761_18
; %bb.17:
	v_mov_b32_e32 v1, 0
	flat_store_dword v[3:4], v1 offset:4
.LBB1761_18:
	s_or_b64 exec, exec, s[0:1]
	v_add_u32_e32 v8, 16, v5
	v_ashrrev_i32_e32 v1, 31, v8
	v_mul_lo_u32 v1, s22, v1
	v_mul_lo_u32 v6, s23, v8
	v_mad_u64_u32 v[3:4], s[0:1], s22, v8, 0
	v_cmp_gt_i32_e32 vcc, s24, v8
	v_add3_u32 v4, v4, v1, v6
	v_lshlrev_b64 v[3:4], 3, v[3:4]
	v_mov_b32_e32 v1, s9
	v_add_co_u32_e64 v6, s[0:1], s8, v3
	v_addc_co_u32_e64 v7, s[0:1], v1, v4, s[0:1]
	v_cmp_le_i32_e64 s[0:1], v0, v8
	s_and_b64 s[0:1], vcc, s[0:1]
	s_and_saveexec_b64 s[2:3], s[0:1]
	s_cbranch_execz .LBB1761_21
; %bb.19:
	v_mul_f32_e32 v1, s15, v19
	v_fma_f32 v9, v18, s14, -v1
	v_ashrrev_i32_e32 v1, 31, v0
	v_lshlrev_b64 v[3:4], 3, v[0:1]
	v_mul_f32_e32 v10, s14, v19
	v_add_co_u32_e64 v3, s[0:1], v6, v3
	v_addc_co_u32_e64 v4, s[0:1], v7, v4, s[0:1]
	v_fmac_f32_e32 v10, s15, v18
	v_cmp_eq_u32_e64 s[0:1], v8, v0
	flat_store_dwordx2 v[3:4], v[9:10]
	s_and_b64 exec, exec, s[0:1]
	s_cbranch_execz .LBB1761_21
; %bb.20:
	v_mov_b32_e32 v1, 0
	flat_store_dword v[3:4], v1 offset:4
.LBB1761_21:
	s_or_b64 exec, exec, s[2:3]
	v_cmp_le_i32_e64 s[0:1], v2, v8
	s_and_b64 s[0:1], vcc, s[0:1]
	s_and_saveexec_b64 s[2:3], s[0:1]
	s_cbranch_execz .LBB1761_24
; %bb.22:
	v_mul_f32_e32 v1, s15, v21
	v_ashrrev_i32_e32 v3, 31, v2
	v_fma_f32 v8, v20, s14, -v1
	v_lshlrev_b64 v[1:2], 3, v[2:3]
	v_mul_f32_e32 v9, s14, v21
	v_add_co_u32_e32 v1, vcc, v6, v1
	v_addc_co_u32_e32 v2, vcc, v7, v2, vcc
	v_fmac_f32_e32 v9, s15, v20
	v_cmp_eq_u32_e32 vcc, v5, v0
	flat_store_dwordx2 v[1:2], v[8:9]
	s_and_b64 exec, exec, vcc
	s_cbranch_execz .LBB1761_24
; %bb.23:
	v_mov_b32_e32 v0, 0
	flat_store_dword v[1:2], v0 offset:4
.LBB1761_24:
	s_endpgm
	.section	.rodata,"a",@progbits
	.p2align	6, 0x0
	.amdhsa_kernel _ZL34rocblas_syrkx_herkx_general_kernelIl19rocblas_complex_numIfELi16ELi32ELi8ELb1ELb1ELc78ELc85EKPKS1_KPS1_EviT_T0_PT8_S7_lSA_S7_lS8_PT9_S7_li
		.amdhsa_group_segment_fixed_size 4096
		.amdhsa_private_segment_fixed_size 0
		.amdhsa_kernarg_size 108
		.amdhsa_user_sgpr_count 6
		.amdhsa_user_sgpr_private_segment_buffer 1
		.amdhsa_user_sgpr_dispatch_ptr 0
		.amdhsa_user_sgpr_queue_ptr 0
		.amdhsa_user_sgpr_kernarg_segment_ptr 1
		.amdhsa_user_sgpr_dispatch_id 0
		.amdhsa_user_sgpr_flat_scratch_init 0
		.amdhsa_user_sgpr_private_segment_size 0
		.amdhsa_uses_dynamic_stack 0
		.amdhsa_system_sgpr_private_segment_wavefront_offset 0
		.amdhsa_system_sgpr_workgroup_id_x 1
		.amdhsa_system_sgpr_workgroup_id_y 1
		.amdhsa_system_sgpr_workgroup_id_z 1
		.amdhsa_system_sgpr_workgroup_info 0
		.amdhsa_system_vgpr_workitem_id 1
		.amdhsa_next_free_vgpr 48
		.amdhsa_next_free_sgpr 25
		.amdhsa_reserve_vcc 1
		.amdhsa_reserve_flat_scratch 0
		.amdhsa_float_round_mode_32 0
		.amdhsa_float_round_mode_16_64 0
		.amdhsa_float_denorm_mode_32 3
		.amdhsa_float_denorm_mode_16_64 3
		.amdhsa_dx10_clamp 1
		.amdhsa_ieee_mode 1
		.amdhsa_fp16_overflow 0
		.amdhsa_exception_fp_ieee_invalid_op 0
		.amdhsa_exception_fp_denorm_src 0
		.amdhsa_exception_fp_ieee_div_zero 0
		.amdhsa_exception_fp_ieee_overflow 0
		.amdhsa_exception_fp_ieee_underflow 0
		.amdhsa_exception_fp_ieee_inexact 0
		.amdhsa_exception_int_div_zero 0
	.end_amdhsa_kernel
	.section	.text._ZL34rocblas_syrkx_herkx_general_kernelIl19rocblas_complex_numIfELi16ELi32ELi8ELb1ELb1ELc78ELc85EKPKS1_KPS1_EviT_T0_PT8_S7_lSA_S7_lS8_PT9_S7_li,"axG",@progbits,_ZL34rocblas_syrkx_herkx_general_kernelIl19rocblas_complex_numIfELi16ELi32ELi8ELb1ELb1ELc78ELc85EKPKS1_KPS1_EviT_T0_PT8_S7_lSA_S7_lS8_PT9_S7_li,comdat
.Lfunc_end1761:
	.size	_ZL34rocblas_syrkx_herkx_general_kernelIl19rocblas_complex_numIfELi16ELi32ELi8ELb1ELb1ELc78ELc85EKPKS1_KPS1_EviT_T0_PT8_S7_lSA_S7_lS8_PT9_S7_li, .Lfunc_end1761-_ZL34rocblas_syrkx_herkx_general_kernelIl19rocblas_complex_numIfELi16ELi32ELi8ELb1ELb1ELc78ELc85EKPKS1_KPS1_EviT_T0_PT8_S7_lSA_S7_lS8_PT9_S7_li
                                        ; -- End function
	.set _ZL34rocblas_syrkx_herkx_general_kernelIl19rocblas_complex_numIfELi16ELi32ELi8ELb1ELb1ELc78ELc85EKPKS1_KPS1_EviT_T0_PT8_S7_lSA_S7_lS8_PT9_S7_li.num_vgpr, 48
	.set _ZL34rocblas_syrkx_herkx_general_kernelIl19rocblas_complex_numIfELi16ELi32ELi8ELb1ELb1ELc78ELc85EKPKS1_KPS1_EviT_T0_PT8_S7_lSA_S7_lS8_PT9_S7_li.num_agpr, 0
	.set _ZL34rocblas_syrkx_herkx_general_kernelIl19rocblas_complex_numIfELi16ELi32ELi8ELb1ELb1ELc78ELc85EKPKS1_KPS1_EviT_T0_PT8_S7_lSA_S7_lS8_PT9_S7_li.numbered_sgpr, 25
	.set _ZL34rocblas_syrkx_herkx_general_kernelIl19rocblas_complex_numIfELi16ELi32ELi8ELb1ELb1ELc78ELc85EKPKS1_KPS1_EviT_T0_PT8_S7_lSA_S7_lS8_PT9_S7_li.num_named_barrier, 0
	.set _ZL34rocblas_syrkx_herkx_general_kernelIl19rocblas_complex_numIfELi16ELi32ELi8ELb1ELb1ELc78ELc85EKPKS1_KPS1_EviT_T0_PT8_S7_lSA_S7_lS8_PT9_S7_li.private_seg_size, 0
	.set _ZL34rocblas_syrkx_herkx_general_kernelIl19rocblas_complex_numIfELi16ELi32ELi8ELb1ELb1ELc78ELc85EKPKS1_KPS1_EviT_T0_PT8_S7_lSA_S7_lS8_PT9_S7_li.uses_vcc, 1
	.set _ZL34rocblas_syrkx_herkx_general_kernelIl19rocblas_complex_numIfELi16ELi32ELi8ELb1ELb1ELc78ELc85EKPKS1_KPS1_EviT_T0_PT8_S7_lSA_S7_lS8_PT9_S7_li.uses_flat_scratch, 0
	.set _ZL34rocblas_syrkx_herkx_general_kernelIl19rocblas_complex_numIfELi16ELi32ELi8ELb1ELb1ELc78ELc85EKPKS1_KPS1_EviT_T0_PT8_S7_lSA_S7_lS8_PT9_S7_li.has_dyn_sized_stack, 0
	.set _ZL34rocblas_syrkx_herkx_general_kernelIl19rocblas_complex_numIfELi16ELi32ELi8ELb1ELb1ELc78ELc85EKPKS1_KPS1_EviT_T0_PT8_S7_lSA_S7_lS8_PT9_S7_li.has_recursion, 0
	.set _ZL34rocblas_syrkx_herkx_general_kernelIl19rocblas_complex_numIfELi16ELi32ELi8ELb1ELb1ELc78ELc85EKPKS1_KPS1_EviT_T0_PT8_S7_lSA_S7_lS8_PT9_S7_li.has_indirect_call, 0
	.section	.AMDGPU.csdata,"",@progbits
; Kernel info:
; codeLenInByte = 2336
; TotalNumSgprs: 29
; NumVgprs: 48
; ScratchSize: 0
; MemoryBound: 1
; FloatMode: 240
; IeeeMode: 1
; LDSByteSize: 4096 bytes/workgroup (compile time only)
; SGPRBlocks: 3
; VGPRBlocks: 11
; NumSGPRsForWavesPerEU: 29
; NumVGPRsForWavesPerEU: 48
; Occupancy: 5
; WaveLimiterHint : 1
; COMPUTE_PGM_RSRC2:SCRATCH_EN: 0
; COMPUTE_PGM_RSRC2:USER_SGPR: 6
; COMPUTE_PGM_RSRC2:TRAP_HANDLER: 0
; COMPUTE_PGM_RSRC2:TGID_X_EN: 1
; COMPUTE_PGM_RSRC2:TGID_Y_EN: 1
; COMPUTE_PGM_RSRC2:TGID_Z_EN: 1
; COMPUTE_PGM_RSRC2:TIDIG_COMP_CNT: 1
	.section	.text._ZL34rocblas_syrkx_herkx_general_kernelIl19rocblas_complex_numIfELi16ELi32ELi8ELb0ELb1ELc84ELc76EKPKS1_KPS1_EviT_T0_PT8_S7_lSA_S7_lS8_PT9_S7_li,"axG",@progbits,_ZL34rocblas_syrkx_herkx_general_kernelIl19rocblas_complex_numIfELi16ELi32ELi8ELb0ELb1ELc84ELc76EKPKS1_KPS1_EviT_T0_PT8_S7_lSA_S7_lS8_PT9_S7_li,comdat
	.globl	_ZL34rocblas_syrkx_herkx_general_kernelIl19rocblas_complex_numIfELi16ELi32ELi8ELb0ELb1ELc84ELc76EKPKS1_KPS1_EviT_T0_PT8_S7_lSA_S7_lS8_PT9_S7_li ; -- Begin function _ZL34rocblas_syrkx_herkx_general_kernelIl19rocblas_complex_numIfELi16ELi32ELi8ELb0ELb1ELc84ELc76EKPKS1_KPS1_EviT_T0_PT8_S7_lSA_S7_lS8_PT9_S7_li
	.p2align	8
	.type	_ZL34rocblas_syrkx_herkx_general_kernelIl19rocblas_complex_numIfELi16ELi32ELi8ELb0ELb1ELc84ELc76EKPKS1_KPS1_EviT_T0_PT8_S7_lSA_S7_lS8_PT9_S7_li,@function
_ZL34rocblas_syrkx_herkx_general_kernelIl19rocblas_complex_numIfELi16ELi32ELi8ELb0ELb1ELc84ELc76EKPKS1_KPS1_EviT_T0_PT8_S7_lSA_S7_lS8_PT9_S7_li: ; @_ZL34rocblas_syrkx_herkx_general_kernelIl19rocblas_complex_numIfELi16ELi32ELi8ELb0ELb1ELc84ELc76EKPKS1_KPS1_EviT_T0_PT8_S7_lSA_S7_lS8_PT9_S7_li
; %bb.0:
	s_load_dwordx2 s[10:11], s[4:5], 0x58
	s_load_dwordx4 s[20:23], s[4:5], 0x48
	s_load_dword s24, s[4:5], 0x0
	s_load_dwordx8 s[12:19], s[4:5], 0x8
	s_mov_b32 s9, 0
	s_lshl_b64 s[0:1], s[8:9], 3
	s_waitcnt lgkmcnt(0)
	s_add_u32 s2, s22, s0
	s_addc_u32 s3, s23, s1
	s_load_dwordx2 s[8:9], s[2:3], 0x0
	v_cmp_lt_i64_e64 s[2:3], s[12:13], 1
	s_lshl_b32 s22, s6, 5
	s_lshl_b32 s23, s7, 5
	s_and_b64 vcc, exec, s[2:3]
	s_cbranch_vccnz .LBB1762_11
; %bb.1:
	s_load_dwordx4 s[4:7], s[4:5], 0x30
	v_lshl_add_u32 v2, v1, 4, v0
	v_and_b32_e32 v5, 31, v2
	v_or_b32_e32 v6, s22, v5
	v_and_b32_e32 v11, 7, v0
	v_lshrrev_b32_e32 v3, 3, v2
	v_lshrrev_b32_e32 v10, 5, v2
	v_cmp_gt_i32_e32 vcc, s24, v6
	v_lshlrev_b32_e32 v2, 3, v5
	v_lshlrev_b32_e32 v6, 3, v11
	v_lshl_or_b32 v12, v10, 8, v2
	v_lshl_or_b32 v2, v3, 6, v6
	s_waitcnt lgkmcnt(0)
	s_add_u32 s2, s4, s0
	v_add_u32_e32 v13, 0x800, v2
	v_add_u32_e32 v2, s22, v5
	;; [unrolled: 1-line block ×3, first 2 shown]
	s_addc_u32 s3, s5, s1
	v_ashrrev_i32_e32 v3, 31, v2
	s_load_dwordx2 s[4:5], s[2:3], 0x0
	v_mul_lo_u32 v5, s18, v3
	v_mul_lo_u32 v8, s19, v2
	v_mad_u64_u32 v[2:3], s[2:3], s18, v2, 0
	s_add_u32 s0, s16, s0
	s_addc_u32 s1, s17, s1
	v_add3_u32 v3, v3, v5, v8
	v_lshlrev_b64 v[2:3], 3, v[2:3]
	v_lshlrev_b32_e32 v5, 3, v10
	v_ashrrev_i32_e32 v7, 31, v4
	v_mov_b32_e32 v9, 0x800
	v_add_co_u32_e64 v2, s[2:3], v2, v5
	s_load_dwordx2 s[16:17], s[0:1], 0x0
	v_cmp_gt_i32_e64 s[0:1], s24, v4
	v_lshl_add_u32 v15, v1, 6, v9
	v_addc_co_u32_e64 v3, s[2:3], 0, v3, s[2:3]
	v_mul_lo_u32 v7, s6, v7
	v_mul_lo_u32 v9, s7, v4
	v_mad_u64_u32 v[4:5], s[2:3], s6, v4, 0
	s_waitcnt lgkmcnt(0)
	v_mov_b32_e32 v8, s17
	v_add_co_u32_e64 v2, s[2:3], s16, v2
	v_add3_u32 v5, v5, v7, v9
	v_lshlrev_b64 v[4:5], 3, v[4:5]
	v_addc_co_u32_e64 v3, s[2:3], v8, v3, s[2:3]
	v_add_co_u32_e64 v4, s[2:3], v4, v6
	v_addc_co_u32_e64 v5, s[2:3], 0, v5, s[2:3]
	v_mov_b32_e32 v6, s5
	v_add_co_u32_e64 v4, s[2:3], s4, v4
	v_addc_co_u32_e64 v5, s[2:3], v6, v5, s[2:3]
	v_mov_b32_e32 v8, s12
	v_lshlrev_b32_e32 v14, 3, v0
	s_mov_b64 s[2:3], 0
	s_xor_b64 s[4:5], vcc, -1
	s_xor_b64 s[6:7], s[0:1], -1
	v_mov_b32_e32 v19, 0
	v_mov_b32_e32 v18, 0
	v_mov_b32_e32 v17, 0
	v_mov_b32_e32 v16, 0
	v_mov_b32_e32 v23, 0
	v_mov_b32_e32 v21, 0
	v_mov_b32_e32 v22, 0
	v_mov_b32_e32 v20, 0
	v_mov_b32_e32 v6, 0
	v_mov_b32_e32 v9, s13
	s_branch .LBB1762_3
.LBB1762_2:                             ;   in Loop: Header=BB1762_3 Depth=1
	s_or_b64 exec, exec, s[0:1]
	s_waitcnt lgkmcnt(0)
	s_barrier
	ds_read2_b64 v[24:27], v14 offset1:16
	ds_read_b128 v[28:31], v15
	ds_read_b128 v[32:35], v15 offset:16
	s_add_u32 s2, s2, 8
	v_add_co_u32_e32 v2, vcc, 64, v2
	s_waitcnt lgkmcnt(1)
	v_mul_f32_e32 v36, v28, v25
	v_fmac_f32_e32 v36, v29, v24
	v_add_f32_e32 v44, v22, v36
	ds_read_b128 v[36:39], v15 offset:1024
	v_mul_f32_e32 v7, v29, v25
	v_fma_f32 v7, v28, v24, -v7
	v_add_f32_e32 v7, v20, v7
	v_mul_f32_e32 v20, v29, v27
	v_mul_f32_e32 v22, v28, v27
	v_fma_f32 v20, v28, v26, -v20
	v_fmac_f32_e32 v22, v29, v26
	v_add_f32_e32 v28, v21, v20
	v_add_f32_e32 v29, v23, v22
	ds_read_b128 v[20:23], v15 offset:1040
	s_waitcnt lgkmcnt(1)
	v_mul_f32_e32 v40, v37, v25
	v_fma_f32 v40, v36, v24, -v40
	v_add_f32_e32 v45, v16, v40
	ds_read2_b64 v[40:43], v14 offset0:32 offset1:48
	v_mul_f32_e32 v25, v36, v25
	v_mul_f32_e32 v16, v37, v27
	v_fmac_f32_e32 v25, v37, v24
	v_fma_f32 v16, v36, v26, -v16
	v_add_f32_e32 v46, v17, v25
	v_mul_f32_e32 v17, v36, v27
	v_add_f32_e32 v36, v18, v16
	s_waitcnt lgkmcnt(0)
	v_mul_f32_e32 v16, v31, v41
	v_fma_f32 v47, v30, v40, -v16
	v_mul_f32_e32 v16, v31, v43
	v_fma_f32 v49, v30, v42, -v16
	v_mul_f32_e32 v48, v30, v41
	v_mul_f32_e32 v30, v30, v43
	v_add_f32_e32 v7, v7, v47
	v_add_f32_e32 v47, v28, v49
	v_mul_f32_e32 v28, v39, v41
	v_fmac_f32_e32 v17, v37, v26
	v_fmac_f32_e32 v48, v31, v40
	;; [unrolled: 1-line block ×3, first 2 shown]
	v_fma_f32 v49, v38, v40, -v28
	v_mul_f32_e32 v41, v38, v41
	v_mul_f32_e32 v28, v39, v43
	v_add_f32_e32 v37, v19, v17
	ds_read_b128 v[16:19], v15 offset:32
	ds_read_b128 v[24:27], v15 offset:48
	v_add_f32_e32 v44, v44, v48
	v_add_f32_e32 v48, v29, v30
	v_fmac_f32_e32 v41, v39, v40
	v_fma_f32 v40, v38, v42, -v28
	ds_read2_b64 v[28:31], v14 offset0:64 offset1:80
	v_add_f32_e32 v40, v36, v40
	v_mul_f32_e32 v38, v38, v43
	v_fmac_f32_e32 v38, v39, v42
	v_add_f32_e32 v42, v37, v38
	s_waitcnt lgkmcnt(0)
	v_mul_f32_e32 v36, v33, v29
	v_fma_f32 v36, v32, v28, -v36
	v_add_f32_e32 v7, v7, v36
	v_mul_f32_e32 v36, v33, v31
	v_mul_f32_e32 v37, v32, v29
	v_fma_f32 v36, v32, v30, -v36
	v_mul_f32_e32 v32, v32, v31
	v_fmac_f32_e32 v37, v33, v28
	v_fmac_f32_e32 v32, v33, v30
	v_add_f32_e32 v33, v47, v36
	v_mul_f32_e32 v36, v21, v29
	v_add_f32_e32 v39, v45, v49
	v_fma_f32 v36, v20, v28, -v36
	v_mul_f32_e32 v29, v20, v29
	v_add_f32_e32 v41, v46, v41
	v_fmac_f32_e32 v29, v21, v28
	v_add_f32_e32 v28, v39, v36
	v_mul_f32_e32 v36, v21, v31
	v_add_f32_e32 v43, v44, v37
	v_add_f32_e32 v29, v41, v29
	v_fma_f32 v41, v20, v30, -v36
	ds_read2_b64 v[36:39], v14 offset0:96 offset1:112
	v_mul_f32_e32 v20, v20, v31
	v_fmac_f32_e32 v20, v21, v30
	v_add_f32_e32 v21, v40, v41
	v_add_f32_e32 v32, v48, v32
	s_waitcnt lgkmcnt(0)
	v_mul_f32_e32 v30, v35, v37
	v_fma_f32 v30, v34, v36, -v30
	v_mul_f32_e32 v31, v34, v37
	v_fmac_f32_e32 v31, v35, v36
	v_add_f32_e32 v7, v7, v30
	v_mul_f32_e32 v30, v35, v39
	v_add_f32_e32 v40, v43, v31
	v_fma_f32 v30, v34, v38, -v30
	v_mul_f32_e32 v31, v34, v39
	v_fmac_f32_e32 v31, v35, v38
	v_add_f32_e32 v33, v33, v30
	v_mul_f32_e32 v30, v23, v37
	v_add_f32_e32 v32, v32, v31
	;; [unrolled: 6-line block ×3, first 2 shown]
	v_fma_f32 v34, v22, v38, -v28
	ds_read2_b64 v[28:31], v14 offset0:128 offset1:144
	v_mul_f32_e32 v22, v22, v39
	v_add_f32_e32 v20, v42, v20
	v_fmac_f32_e32 v22, v23, v38
	v_add_f32_e32 v42, v20, v22
	s_waitcnt lgkmcnt(0)
	v_mul_f32_e32 v20, v17, v29
	v_add_f32_e32 v41, v21, v34
	v_fma_f32 v20, v16, v28, -v20
	v_mul_f32_e32 v21, v16, v29
	v_fmac_f32_e32 v21, v17, v28
	v_add_f32_e32 v7, v7, v20
	v_mul_f32_e32 v20, v17, v31
	v_add_f32_e32 v40, v40, v21
	v_fma_f32 v34, v16, v30, -v20
	ds_read_b128 v[20:23], v15 offset:1056
	v_mul_f32_e32 v16, v16, v31
	v_fmac_f32_e32 v16, v17, v30
	v_add_f32_e32 v17, v33, v34
	v_add_f32_e32 v16, v32, v16
	ds_read_b128 v[32:35], v15 offset:1072
	s_waitcnt lgkmcnt(1)
	v_mul_f32_e32 v38, v21, v29
	v_fma_f32 v38, v20, v28, -v38
	v_mul_f32_e32 v29, v20, v29
	v_fmac_f32_e32 v29, v21, v28
	v_add_f32_e32 v28, v36, v38
	v_mul_f32_e32 v36, v21, v31
	v_add_f32_e32 v29, v37, v29
	v_fma_f32 v43, v20, v30, -v36
	ds_read2_b64 v[36:39], v14 offset0:160 offset1:176
	v_mul_f32_e32 v20, v20, v31
	v_fmac_f32_e32 v20, v21, v30
	v_add_f32_e32 v20, v42, v20
	v_add_f32_e32 v21, v41, v43
	s_waitcnt lgkmcnt(0)
	v_mul_f32_e32 v30, v19, v37
	v_mul_f32_e32 v31, v18, v37
	v_fma_f32 v30, v18, v36, -v30
	v_fmac_f32_e32 v31, v19, v36
	v_add_f32_e32 v7, v7, v30
	v_add_f32_e32 v30, v40, v31
	v_mul_f32_e32 v31, v19, v39
	v_fma_f32 v31, v18, v38, -v31
	v_mul_f32_e32 v18, v18, v39
	v_fmac_f32_e32 v18, v19, v38
	v_add_f32_e32 v40, v16, v18
	v_mul_f32_e32 v16, v23, v37
	v_add_f32_e32 v31, v17, v31
	v_fma_f32 v16, v22, v36, -v16
	v_mul_f32_e32 v17, v22, v37
	v_fmac_f32_e32 v17, v23, v36
	v_add_f32_e32 v28, v28, v16
	v_mul_f32_e32 v16, v23, v39
	v_add_f32_e32 v29, v29, v17
	v_fma_f32 v36, v22, v38, -v16
	ds_read2_b64 v[16:19], v14 offset0:192 offset1:208
	v_mul_f32_e32 v22, v22, v39
	v_fmac_f32_e32 v22, v23, v38
	v_add_f32_e32 v20, v20, v22
	v_add_f32_e32 v21, v21, v36
	s_waitcnt lgkmcnt(0)
	v_mul_f32_e32 v22, v25, v17
	v_mul_f32_e32 v23, v24, v17
	v_fma_f32 v22, v24, v16, -v22
	v_fmac_f32_e32 v23, v25, v16
	v_add_f32_e32 v7, v7, v22
	v_add_f32_e32 v22, v30, v23
	v_mul_f32_e32 v23, v25, v19
	v_fma_f32 v23, v24, v18, -v23
	v_mul_f32_e32 v24, v24, v19
	v_fmac_f32_e32 v24, v25, v18
	v_mul_f32_e32 v25, v33, v17
	v_mul_f32_e32 v17, v32, v17
	v_fma_f32 v25, v32, v16, -v25
	v_fmac_f32_e32 v17, v33, v16
	v_add_f32_e32 v23, v31, v23
	v_add_f32_e32 v16, v28, v25
	;; [unrolled: 1-line block ×3, first 2 shown]
	ds_read2_b64 v[28:31], v14 offset0:224 offset1:240
	v_mul_f32_e32 v25, v33, v19
	v_mul_f32_e32 v19, v32, v19
	v_fmac_f32_e32 v19, v33, v18
	v_add_f32_e32 v19, v20, v19
	s_waitcnt lgkmcnt(0)
	v_mul_f32_e32 v20, v27, v29
	v_fma_f32 v25, v32, v18, -v25
	v_fma_f32 v20, v26, v28, -v20
	v_add_f32_e32 v18, v21, v25
	v_mul_f32_e32 v21, v26, v29
	v_add_f32_e32 v20, v7, v20
	v_mul_f32_e32 v7, v27, v31
	v_mul_f32_e32 v25, v26, v31
	v_add_f32_e32 v24, v40, v24
	v_fmac_f32_e32 v21, v27, v28
	v_fma_f32 v7, v26, v30, -v7
	v_fmac_f32_e32 v25, v27, v30
	v_add_f32_e32 v22, v22, v21
	v_add_f32_e32 v21, v23, v7
	;; [unrolled: 1-line block ×3, first 2 shown]
	v_mul_f32_e32 v7, v35, v29
	v_mul_f32_e32 v24, v34, v29
	v_fma_f32 v7, v34, v28, -v7
	v_fmac_f32_e32 v24, v35, v28
	s_addc_u32 s3, s3, 0
	v_addc_co_u32_e32 v3, vcc, 0, v3, vcc
	v_add_f32_e32 v16, v16, v7
	v_add_f32_e32 v17, v17, v24
	v_mul_f32_e32 v7, v35, v31
	v_mul_f32_e32 v24, v34, v31
	v_cmp_ge_i64_e32 vcc, s[2:3], v[8:9]
	v_fma_f32 v7, v34, v30, -v7
	v_fmac_f32_e32 v24, v35, v30
	v_add_co_u32_e64 v4, s[0:1], 64, v4
	v_add_f32_e32 v18, v18, v7
	v_add_f32_e32 v19, v19, v24
	v_addc_co_u32_e64 v5, s[0:1], 0, v5, s[0:1]
	s_barrier
	s_cbranch_vccnz .LBB1762_12
.LBB1762_3:                             ; =>This Inner Loop Header: Depth=1
	v_mov_b32_e32 v7, s3
	v_add_co_u32_e32 v24, vcc, s2, v10
	v_addc_co_u32_e32 v25, vcc, 0, v7, vcc
	v_cmp_le_i64_e32 vcc, s[12:13], v[24:25]
	s_or_b64 s[0:1], s[4:5], vcc
	s_and_saveexec_b64 s[16:17], s[0:1]
	s_xor_b64 s[0:1], exec, s[16:17]
; %bb.4:                                ;   in Loop: Header=BB1762_3 Depth=1
	v_mov_b32_e32 v7, v6
	ds_write_b64 v12, v[6:7]
; %bb.5:                                ;   in Loop: Header=BB1762_3 Depth=1
	s_andn2_saveexec_b64 s[0:1], s[0:1]
	s_cbranch_execz .LBB1762_7
; %bb.6:                                ;   in Loop: Header=BB1762_3 Depth=1
	flat_load_dwordx2 v[24:25], v[2:3]
	s_waitcnt vmcnt(0) lgkmcnt(0)
	ds_write_b64 v12, v[24:25]
.LBB1762_7:                             ;   in Loop: Header=BB1762_3 Depth=1
	s_or_b64 exec, exec, s[0:1]
	v_mov_b32_e32 v7, s3
	v_add_co_u32_e32 v24, vcc, s2, v11
	v_addc_co_u32_e32 v25, vcc, 0, v7, vcc
	v_cmp_le_i64_e32 vcc, s[12:13], v[24:25]
	s_or_b64 s[0:1], vcc, s[6:7]
	s_and_saveexec_b64 s[16:17], s[0:1]
	s_xor_b64 s[0:1], exec, s[16:17]
; %bb.8:                                ;   in Loop: Header=BB1762_3 Depth=1
	v_mov_b32_e32 v7, v6
	ds_write_b64 v13, v[6:7]
; %bb.9:                                ;   in Loop: Header=BB1762_3 Depth=1
	s_andn2_saveexec_b64 s[0:1], s[0:1]
	s_cbranch_execz .LBB1762_2
; %bb.10:                               ;   in Loop: Header=BB1762_3 Depth=1
	flat_load_dwordx2 v[24:25], v[4:5]
	s_waitcnt vmcnt(0) lgkmcnt(0)
	ds_write_b64 v13, v[24:25]
	s_branch .LBB1762_2
.LBB1762_11:
	v_mov_b32_e32 v20, 0
	v_mov_b32_e32 v22, 0
	;; [unrolled: 1-line block ×8, first 2 shown]
.LBB1762_12:
	v_add_u32_e32 v5, s23, v1
	v_ashrrev_i32_e32 v1, 31, v5
	v_mul_lo_u32 v3, s10, v1
	v_mul_lo_u32 v4, s11, v5
	v_mad_u64_u32 v[1:2], s[0:1], s10, v5, 0
	v_add_u32_e32 v0, s22, v0
	v_cmp_le_i32_e64 s[0:1], v5, v0
	v_add3_u32 v2, v2, v3, v4
	v_lshlrev_b64 v[1:2], 3, v[1:2]
	s_waitcnt lgkmcnt(0)
	v_mov_b32_e32 v3, s9
	v_add_co_u32_e32 v4, vcc, s8, v1
	v_addc_co_u32_e32 v6, vcc, v3, v2, vcc
	v_cmp_gt_i32_e32 vcc, s24, v0
	s_and_b64 s[0:1], s[0:1], vcc
	s_and_saveexec_b64 s[2:3], s[0:1]
	s_cbranch_execz .LBB1762_15
; %bb.13:
	v_ashrrev_i32_e32 v1, 31, v0
	v_lshlrev_b64 v[1:2], 3, v[0:1]
	v_mul_f32_e32 v3, s15, v22
	v_add_co_u32_e64 v1, s[0:1], v4, v1
	v_addc_co_u32_e64 v2, s[0:1], v6, v2, s[0:1]
	flat_load_dwordx2 v[7:8], v[1:2]
	v_mul_f32_e32 v9, s14, v22
	v_fma_f32 v3, v20, s14, -v3
	v_fmac_f32_e32 v9, s15, v20
	v_cmp_eq_u32_e64 s[0:1], v5, v0
	s_waitcnt vmcnt(0) lgkmcnt(0)
	v_mul_f32_e32 v10, s21, v8
	v_mul_f32_e32 v8, s20, v8
	v_fma_f32 v10, v7, s20, -v10
	v_fmac_f32_e32 v8, s21, v7
	v_add_f32_e32 v7, v3, v10
	v_add_f32_e32 v8, v9, v8
	flat_store_dwordx2 v[1:2], v[7:8]
	s_and_b64 exec, exec, s[0:1]
	s_cbranch_execz .LBB1762_15
; %bb.14:
	v_mov_b32_e32 v3, 0
	flat_store_dword v[1:2], v3 offset:4
.LBB1762_15:
	s_or_b64 exec, exec, s[2:3]
	v_add_u32_e32 v2, 16, v0
	v_cmp_le_i32_e64 s[2:3], v5, v2
	v_cmp_gt_i32_e64 s[0:1], s24, v2
	s_and_b64 s[2:3], s[2:3], s[0:1]
	s_and_saveexec_b64 s[4:5], s[2:3]
	s_cbranch_execz .LBB1762_18
; %bb.16:
	v_ashrrev_i32_e32 v3, 31, v2
	v_lshlrev_b64 v[7:8], 3, v[2:3]
	v_mul_f32_e32 v1, s15, v23
	v_add_co_u32_e64 v3, s[2:3], v4, v7
	v_addc_co_u32_e64 v4, s[2:3], v6, v8, s[2:3]
	flat_load_dwordx2 v[6:7], v[3:4]
	v_mul_f32_e32 v8, s14, v23
	v_fma_f32 v1, v21, s14, -v1
	v_fmac_f32_e32 v8, s15, v21
	v_cmp_eq_u32_e64 s[2:3], v5, v2
	s_waitcnt vmcnt(0) lgkmcnt(0)
	v_mul_f32_e32 v9, s21, v7
	v_mul_f32_e32 v7, s20, v7
	v_fma_f32 v9, v6, s20, -v9
	v_fmac_f32_e32 v7, s21, v6
	v_add_f32_e32 v6, v1, v9
	v_add_f32_e32 v7, v8, v7
	flat_store_dwordx2 v[3:4], v[6:7]
	s_and_b64 exec, exec, s[2:3]
	s_cbranch_execz .LBB1762_18
; %bb.17:
	v_mov_b32_e32 v1, 0
	flat_store_dword v[3:4], v1 offset:4
.LBB1762_18:
	s_or_b64 exec, exec, s[4:5]
	v_add_u32_e32 v8, 16, v5
	v_ashrrev_i32_e32 v1, 31, v8
	v_mul_lo_u32 v6, s11, v8
	v_mad_u64_u32 v[3:4], s[2:3], s10, v8, 0
	v_mul_lo_u32 v1, s10, v1
	v_add3_u32 v4, v4, v1, v6
	v_lshlrev_b64 v[3:4], 3, v[3:4]
	v_mov_b32_e32 v1, s9
	v_add_co_u32_e64 v6, s[2:3], s8, v3
	v_addc_co_u32_e64 v7, s[2:3], v1, v4, s[2:3]
	v_cmp_le_i32_e64 s[2:3], v8, v0
	s_and_b64 s[4:5], s[2:3], vcc
	s_and_saveexec_b64 s[2:3], s[4:5]
	s_cbranch_execz .LBB1762_21
; %bb.19:
	v_ashrrev_i32_e32 v1, 31, v0
	v_lshlrev_b64 v[3:4], 3, v[0:1]
	v_mul_f32_e32 v1, s15, v17
	v_add_co_u32_e32 v3, vcc, v6, v3
	v_addc_co_u32_e32 v4, vcc, v7, v4, vcc
	flat_load_dwordx2 v[9:10], v[3:4]
	v_mul_f32_e32 v11, s14, v17
	v_fma_f32 v1, v16, s14, -v1
	v_fmac_f32_e32 v11, s15, v16
	v_cmp_eq_u32_e32 vcc, v8, v0
	s_waitcnt vmcnt(0) lgkmcnt(0)
	v_mul_f32_e32 v12, s21, v10
	v_mul_f32_e32 v10, s20, v10
	v_fma_f32 v12, v9, s20, -v12
	v_fmac_f32_e32 v10, s21, v9
	v_add_f32_e32 v9, v1, v12
	v_add_f32_e32 v10, v11, v10
	flat_store_dwordx2 v[3:4], v[9:10]
	s_and_b64 exec, exec, vcc
	s_cbranch_execz .LBB1762_21
; %bb.20:
	v_mov_b32_e32 v1, 0
	flat_store_dword v[3:4], v1 offset:4
.LBB1762_21:
	s_or_b64 exec, exec, s[2:3]
	v_cmp_le_i32_e32 vcc, v8, v2
	s_and_b64 s[0:1], vcc, s[0:1]
	s_and_saveexec_b64 s[2:3], s[0:1]
	s_cbranch_execz .LBB1762_24
; %bb.22:
	v_ashrrev_i32_e32 v3, 31, v2
	v_lshlrev_b64 v[1:2], 3, v[2:3]
	v_add_co_u32_e32 v1, vcc, v6, v1
	v_addc_co_u32_e32 v2, vcc, v7, v2, vcc
	flat_load_dwordx2 v[3:4], v[1:2]
	v_mul_f32_e32 v6, s15, v19
	v_mul_f32_e32 v7, s14, v19
	v_fma_f32 v6, v18, s14, -v6
	v_fmac_f32_e32 v7, s15, v18
	v_cmp_eq_u32_e32 vcc, v5, v0
	s_waitcnt vmcnt(0) lgkmcnt(0)
	v_mul_f32_e32 v8, s21, v4
	v_mul_f32_e32 v4, s20, v4
	v_fma_f32 v8, v3, s20, -v8
	v_fmac_f32_e32 v4, s21, v3
	v_add_f32_e32 v3, v6, v8
	v_add_f32_e32 v4, v7, v4
	flat_store_dwordx2 v[1:2], v[3:4]
	s_and_b64 exec, exec, vcc
	s_cbranch_execz .LBB1762_24
; %bb.23:
	v_mov_b32_e32 v0, 0
	flat_store_dword v[1:2], v0 offset:4
.LBB1762_24:
	s_endpgm
	.section	.rodata,"a",@progbits
	.p2align	6, 0x0
	.amdhsa_kernel _ZL34rocblas_syrkx_herkx_general_kernelIl19rocblas_complex_numIfELi16ELi32ELi8ELb0ELb1ELc84ELc76EKPKS1_KPS1_EviT_T0_PT8_S7_lSA_S7_lS8_PT9_S7_li
		.amdhsa_group_segment_fixed_size 4096
		.amdhsa_private_segment_fixed_size 0
		.amdhsa_kernarg_size 108
		.amdhsa_user_sgpr_count 6
		.amdhsa_user_sgpr_private_segment_buffer 1
		.amdhsa_user_sgpr_dispatch_ptr 0
		.amdhsa_user_sgpr_queue_ptr 0
		.amdhsa_user_sgpr_kernarg_segment_ptr 1
		.amdhsa_user_sgpr_dispatch_id 0
		.amdhsa_user_sgpr_flat_scratch_init 0
		.amdhsa_user_sgpr_private_segment_size 0
		.amdhsa_uses_dynamic_stack 0
		.amdhsa_system_sgpr_private_segment_wavefront_offset 0
		.amdhsa_system_sgpr_workgroup_id_x 1
		.amdhsa_system_sgpr_workgroup_id_y 1
		.amdhsa_system_sgpr_workgroup_id_z 1
		.amdhsa_system_sgpr_workgroup_info 0
		.amdhsa_system_vgpr_workitem_id 1
		.amdhsa_next_free_vgpr 50
		.amdhsa_next_free_sgpr 25
		.amdhsa_reserve_vcc 1
		.amdhsa_reserve_flat_scratch 0
		.amdhsa_float_round_mode_32 0
		.amdhsa_float_round_mode_16_64 0
		.amdhsa_float_denorm_mode_32 3
		.amdhsa_float_denorm_mode_16_64 3
		.amdhsa_dx10_clamp 1
		.amdhsa_ieee_mode 1
		.amdhsa_fp16_overflow 0
		.amdhsa_exception_fp_ieee_invalid_op 0
		.amdhsa_exception_fp_denorm_src 0
		.amdhsa_exception_fp_ieee_div_zero 0
		.amdhsa_exception_fp_ieee_overflow 0
		.amdhsa_exception_fp_ieee_underflow 0
		.amdhsa_exception_fp_ieee_inexact 0
		.amdhsa_exception_int_div_zero 0
	.end_amdhsa_kernel
	.section	.text._ZL34rocblas_syrkx_herkx_general_kernelIl19rocblas_complex_numIfELi16ELi32ELi8ELb0ELb1ELc84ELc76EKPKS1_KPS1_EviT_T0_PT8_S7_lSA_S7_lS8_PT9_S7_li,"axG",@progbits,_ZL34rocblas_syrkx_herkx_general_kernelIl19rocblas_complex_numIfELi16ELi32ELi8ELb0ELb1ELc84ELc76EKPKS1_KPS1_EviT_T0_PT8_S7_lSA_S7_lS8_PT9_S7_li,comdat
.Lfunc_end1762:
	.size	_ZL34rocblas_syrkx_herkx_general_kernelIl19rocblas_complex_numIfELi16ELi32ELi8ELb0ELb1ELc84ELc76EKPKS1_KPS1_EviT_T0_PT8_S7_lSA_S7_lS8_PT9_S7_li, .Lfunc_end1762-_ZL34rocblas_syrkx_herkx_general_kernelIl19rocblas_complex_numIfELi16ELi32ELi8ELb0ELb1ELc84ELc76EKPKS1_KPS1_EviT_T0_PT8_S7_lSA_S7_lS8_PT9_S7_li
                                        ; -- End function
	.set _ZL34rocblas_syrkx_herkx_general_kernelIl19rocblas_complex_numIfELi16ELi32ELi8ELb0ELb1ELc84ELc76EKPKS1_KPS1_EviT_T0_PT8_S7_lSA_S7_lS8_PT9_S7_li.num_vgpr, 50
	.set _ZL34rocblas_syrkx_herkx_general_kernelIl19rocblas_complex_numIfELi16ELi32ELi8ELb0ELb1ELc84ELc76EKPKS1_KPS1_EviT_T0_PT8_S7_lSA_S7_lS8_PT9_S7_li.num_agpr, 0
	.set _ZL34rocblas_syrkx_herkx_general_kernelIl19rocblas_complex_numIfELi16ELi32ELi8ELb0ELb1ELc84ELc76EKPKS1_KPS1_EviT_T0_PT8_S7_lSA_S7_lS8_PT9_S7_li.numbered_sgpr, 25
	.set _ZL34rocblas_syrkx_herkx_general_kernelIl19rocblas_complex_numIfELi16ELi32ELi8ELb0ELb1ELc84ELc76EKPKS1_KPS1_EviT_T0_PT8_S7_lSA_S7_lS8_PT9_S7_li.num_named_barrier, 0
	.set _ZL34rocblas_syrkx_herkx_general_kernelIl19rocblas_complex_numIfELi16ELi32ELi8ELb0ELb1ELc84ELc76EKPKS1_KPS1_EviT_T0_PT8_S7_lSA_S7_lS8_PT9_S7_li.private_seg_size, 0
	.set _ZL34rocblas_syrkx_herkx_general_kernelIl19rocblas_complex_numIfELi16ELi32ELi8ELb0ELb1ELc84ELc76EKPKS1_KPS1_EviT_T0_PT8_S7_lSA_S7_lS8_PT9_S7_li.uses_vcc, 1
	.set _ZL34rocblas_syrkx_herkx_general_kernelIl19rocblas_complex_numIfELi16ELi32ELi8ELb0ELb1ELc84ELc76EKPKS1_KPS1_EviT_T0_PT8_S7_lSA_S7_lS8_PT9_S7_li.uses_flat_scratch, 0
	.set _ZL34rocblas_syrkx_herkx_general_kernelIl19rocblas_complex_numIfELi16ELi32ELi8ELb0ELb1ELc84ELc76EKPKS1_KPS1_EviT_T0_PT8_S7_lSA_S7_lS8_PT9_S7_li.has_dyn_sized_stack, 0
	.set _ZL34rocblas_syrkx_herkx_general_kernelIl19rocblas_complex_numIfELi16ELi32ELi8ELb0ELb1ELc84ELc76EKPKS1_KPS1_EviT_T0_PT8_S7_lSA_S7_lS8_PT9_S7_li.has_recursion, 0
	.set _ZL34rocblas_syrkx_herkx_general_kernelIl19rocblas_complex_numIfELi16ELi32ELi8ELb0ELb1ELc84ELc76EKPKS1_KPS1_EviT_T0_PT8_S7_lSA_S7_lS8_PT9_S7_li.has_indirect_call, 0
	.section	.AMDGPU.csdata,"",@progbits
; Kernel info:
; codeLenInByte = 2468
; TotalNumSgprs: 29
; NumVgprs: 50
; ScratchSize: 0
; MemoryBound: 1
; FloatMode: 240
; IeeeMode: 1
; LDSByteSize: 4096 bytes/workgroup (compile time only)
; SGPRBlocks: 3
; VGPRBlocks: 12
; NumSGPRsForWavesPerEU: 29
; NumVGPRsForWavesPerEU: 50
; Occupancy: 4
; WaveLimiterHint : 1
; COMPUTE_PGM_RSRC2:SCRATCH_EN: 0
; COMPUTE_PGM_RSRC2:USER_SGPR: 6
; COMPUTE_PGM_RSRC2:TRAP_HANDLER: 0
; COMPUTE_PGM_RSRC2:TGID_X_EN: 1
; COMPUTE_PGM_RSRC2:TGID_Y_EN: 1
; COMPUTE_PGM_RSRC2:TGID_Z_EN: 1
; COMPUTE_PGM_RSRC2:TIDIG_COMP_CNT: 1
	.section	.text._ZL34rocblas_syrkx_herkx_general_kernelIl19rocblas_complex_numIfELi16ELi32ELi8ELb0ELb1ELc67ELc76EKPKS1_KPS1_EviT_T0_PT8_S7_lSA_S7_lS8_PT9_S7_li,"axG",@progbits,_ZL34rocblas_syrkx_herkx_general_kernelIl19rocblas_complex_numIfELi16ELi32ELi8ELb0ELb1ELc67ELc76EKPKS1_KPS1_EviT_T0_PT8_S7_lSA_S7_lS8_PT9_S7_li,comdat
	.globl	_ZL34rocblas_syrkx_herkx_general_kernelIl19rocblas_complex_numIfELi16ELi32ELi8ELb0ELb1ELc67ELc76EKPKS1_KPS1_EviT_T0_PT8_S7_lSA_S7_lS8_PT9_S7_li ; -- Begin function _ZL34rocblas_syrkx_herkx_general_kernelIl19rocblas_complex_numIfELi16ELi32ELi8ELb0ELb1ELc67ELc76EKPKS1_KPS1_EviT_T0_PT8_S7_lSA_S7_lS8_PT9_S7_li
	.p2align	8
	.type	_ZL34rocblas_syrkx_herkx_general_kernelIl19rocblas_complex_numIfELi16ELi32ELi8ELb0ELb1ELc67ELc76EKPKS1_KPS1_EviT_T0_PT8_S7_lSA_S7_lS8_PT9_S7_li,@function
_ZL34rocblas_syrkx_herkx_general_kernelIl19rocblas_complex_numIfELi16ELi32ELi8ELb0ELb1ELc67ELc76EKPKS1_KPS1_EviT_T0_PT8_S7_lSA_S7_lS8_PT9_S7_li: ; @_ZL34rocblas_syrkx_herkx_general_kernelIl19rocblas_complex_numIfELi16ELi32ELi8ELb0ELb1ELc67ELc76EKPKS1_KPS1_EviT_T0_PT8_S7_lSA_S7_lS8_PT9_S7_li
; %bb.0:
	s_load_dwordx2 s[10:11], s[4:5], 0x58
	s_load_dwordx4 s[20:23], s[4:5], 0x48
	s_load_dword s24, s[4:5], 0x0
	s_load_dwordx8 s[12:19], s[4:5], 0x8
	s_mov_b32 s9, 0
	s_lshl_b64 s[0:1], s[8:9], 3
	s_waitcnt lgkmcnt(0)
	s_add_u32 s2, s22, s0
	s_addc_u32 s3, s23, s1
	s_load_dwordx2 s[8:9], s[2:3], 0x0
	v_cmp_lt_i64_e64 s[2:3], s[12:13], 1
	s_lshl_b32 s22, s6, 5
	s_lshl_b32 s23, s7, 5
	s_and_b64 vcc, exec, s[2:3]
	s_cbranch_vccnz .LBB1763_11
; %bb.1:
	s_load_dwordx4 s[4:7], s[4:5], 0x30
	v_lshl_add_u32 v2, v1, 4, v0
	v_and_b32_e32 v5, 31, v2
	v_or_b32_e32 v6, s22, v5
	v_and_b32_e32 v11, 7, v0
	v_lshrrev_b32_e32 v3, 3, v2
	v_lshrrev_b32_e32 v10, 5, v2
	v_cmp_gt_i32_e32 vcc, s24, v6
	v_lshlrev_b32_e32 v2, 3, v5
	v_lshlrev_b32_e32 v6, 3, v11
	v_lshl_or_b32 v12, v10, 8, v2
	v_lshl_or_b32 v2, v3, 6, v6
	s_waitcnt lgkmcnt(0)
	s_add_u32 s2, s4, s0
	v_add_u32_e32 v13, 0x800, v2
	v_add_u32_e32 v2, s22, v5
	v_add_u32_e32 v4, s23, v3
	s_addc_u32 s3, s5, s1
	v_ashrrev_i32_e32 v3, 31, v2
	s_load_dwordx2 s[4:5], s[2:3], 0x0
	v_mul_lo_u32 v5, s18, v3
	v_mul_lo_u32 v8, s19, v2
	v_mad_u64_u32 v[2:3], s[2:3], s18, v2, 0
	s_add_u32 s0, s16, s0
	s_addc_u32 s1, s17, s1
	v_add3_u32 v3, v3, v5, v8
	v_lshlrev_b64 v[2:3], 3, v[2:3]
	v_lshlrev_b32_e32 v5, 3, v10
	v_ashrrev_i32_e32 v7, 31, v4
	v_mov_b32_e32 v9, 0x800
	v_add_co_u32_e64 v2, s[2:3], v2, v5
	s_load_dwordx2 s[16:17], s[0:1], 0x0
	v_cmp_gt_i32_e64 s[0:1], s24, v4
	v_lshl_add_u32 v15, v1, 6, v9
	v_addc_co_u32_e64 v3, s[2:3], 0, v3, s[2:3]
	v_mul_lo_u32 v7, s6, v7
	v_mul_lo_u32 v9, s7, v4
	v_mad_u64_u32 v[4:5], s[2:3], s6, v4, 0
	s_waitcnt lgkmcnt(0)
	v_mov_b32_e32 v8, s17
	v_add_co_u32_e64 v2, s[2:3], s16, v2
	v_add3_u32 v5, v5, v7, v9
	v_lshlrev_b64 v[4:5], 3, v[4:5]
	v_addc_co_u32_e64 v3, s[2:3], v8, v3, s[2:3]
	v_add_co_u32_e64 v4, s[2:3], v4, v6
	v_addc_co_u32_e64 v5, s[2:3], 0, v5, s[2:3]
	v_mov_b32_e32 v6, s5
	v_add_co_u32_e64 v4, s[2:3], s4, v4
	v_addc_co_u32_e64 v5, s[2:3], v6, v5, s[2:3]
	v_mov_b32_e32 v8, s12
	v_lshlrev_b32_e32 v14, 3, v0
	s_mov_b64 s[2:3], 0
	s_xor_b64 s[4:5], vcc, -1
	s_xor_b64 s[6:7], s[0:1], -1
	v_mov_b32_e32 v19, 0
	v_mov_b32_e32 v18, 0
	;; [unrolled: 1-line block ×10, first 2 shown]
	s_branch .LBB1763_3
.LBB1763_2:                             ;   in Loop: Header=BB1763_3 Depth=1
	s_or_b64 exec, exec, s[0:1]
	s_waitcnt lgkmcnt(0)
	s_barrier
	ds_read2_b64 v[24:27], v14 offset1:16
	ds_read_b128 v[28:31], v15
	ds_read_b128 v[32:35], v15 offset:16
	s_add_u32 s2, s2, 8
	v_add_co_u32_e32 v2, vcc, 64, v2
	s_waitcnt lgkmcnt(1)
	v_mul_f32_e32 v36, v28, v25
	v_fmac_f32_e32 v36, v29, v24
	v_add_f32_e32 v44, v22, v36
	ds_read_b128 v[36:39], v15 offset:1024
	v_mul_f32_e32 v7, v29, v25
	v_fma_f32 v7, v28, v24, -v7
	v_add_f32_e32 v7, v20, v7
	v_mul_f32_e32 v20, v29, v27
	v_mul_f32_e32 v22, v28, v27
	v_fma_f32 v20, v28, v26, -v20
	v_fmac_f32_e32 v22, v29, v26
	v_add_f32_e32 v28, v21, v20
	v_add_f32_e32 v29, v23, v22
	ds_read_b128 v[20:23], v15 offset:1040
	s_waitcnt lgkmcnt(1)
	v_mul_f32_e32 v40, v37, v25
	v_fma_f32 v40, v36, v24, -v40
	v_add_f32_e32 v45, v16, v40
	ds_read2_b64 v[40:43], v14 offset0:32 offset1:48
	v_mul_f32_e32 v25, v36, v25
	v_mul_f32_e32 v16, v37, v27
	v_fmac_f32_e32 v25, v37, v24
	v_fma_f32 v16, v36, v26, -v16
	v_add_f32_e32 v46, v17, v25
	v_mul_f32_e32 v17, v36, v27
	v_add_f32_e32 v36, v18, v16
	s_waitcnt lgkmcnt(0)
	v_mul_f32_e32 v16, v31, v41
	v_fma_f32 v47, v30, v40, -v16
	v_mul_f32_e32 v16, v31, v43
	v_fma_f32 v49, v30, v42, -v16
	v_mul_f32_e32 v48, v30, v41
	v_mul_f32_e32 v30, v30, v43
	v_add_f32_e32 v7, v7, v47
	v_add_f32_e32 v47, v28, v49
	v_mul_f32_e32 v28, v39, v41
	v_fmac_f32_e32 v17, v37, v26
	v_fmac_f32_e32 v48, v31, v40
	;; [unrolled: 1-line block ×3, first 2 shown]
	v_fma_f32 v49, v38, v40, -v28
	v_mul_f32_e32 v41, v38, v41
	v_mul_f32_e32 v28, v39, v43
	v_add_f32_e32 v37, v19, v17
	ds_read_b128 v[16:19], v15 offset:32
	ds_read_b128 v[24:27], v15 offset:48
	v_add_f32_e32 v44, v44, v48
	v_add_f32_e32 v48, v29, v30
	v_fmac_f32_e32 v41, v39, v40
	v_fma_f32 v40, v38, v42, -v28
	ds_read2_b64 v[28:31], v14 offset0:64 offset1:80
	v_add_f32_e32 v40, v36, v40
	v_mul_f32_e32 v38, v38, v43
	v_fmac_f32_e32 v38, v39, v42
	v_add_f32_e32 v42, v37, v38
	s_waitcnt lgkmcnt(0)
	v_mul_f32_e32 v36, v33, v29
	v_fma_f32 v36, v32, v28, -v36
	v_add_f32_e32 v7, v7, v36
	v_mul_f32_e32 v36, v33, v31
	v_mul_f32_e32 v37, v32, v29
	v_fma_f32 v36, v32, v30, -v36
	v_mul_f32_e32 v32, v32, v31
	v_fmac_f32_e32 v37, v33, v28
	v_fmac_f32_e32 v32, v33, v30
	v_add_f32_e32 v33, v47, v36
	v_mul_f32_e32 v36, v21, v29
	v_add_f32_e32 v39, v45, v49
	v_fma_f32 v36, v20, v28, -v36
	v_mul_f32_e32 v29, v20, v29
	v_add_f32_e32 v41, v46, v41
	v_fmac_f32_e32 v29, v21, v28
	v_add_f32_e32 v28, v39, v36
	v_mul_f32_e32 v36, v21, v31
	v_add_f32_e32 v43, v44, v37
	v_add_f32_e32 v29, v41, v29
	v_fma_f32 v41, v20, v30, -v36
	ds_read2_b64 v[36:39], v14 offset0:96 offset1:112
	v_mul_f32_e32 v20, v20, v31
	v_fmac_f32_e32 v20, v21, v30
	v_add_f32_e32 v21, v40, v41
	v_add_f32_e32 v32, v48, v32
	s_waitcnt lgkmcnt(0)
	v_mul_f32_e32 v30, v35, v37
	v_fma_f32 v30, v34, v36, -v30
	v_mul_f32_e32 v31, v34, v37
	v_fmac_f32_e32 v31, v35, v36
	v_add_f32_e32 v7, v7, v30
	v_mul_f32_e32 v30, v35, v39
	v_add_f32_e32 v40, v43, v31
	v_fma_f32 v30, v34, v38, -v30
	v_mul_f32_e32 v31, v34, v39
	v_fmac_f32_e32 v31, v35, v38
	v_add_f32_e32 v33, v33, v30
	v_mul_f32_e32 v30, v23, v37
	v_add_f32_e32 v32, v32, v31
	;; [unrolled: 6-line block ×3, first 2 shown]
	v_fma_f32 v34, v22, v38, -v28
	ds_read2_b64 v[28:31], v14 offset0:128 offset1:144
	v_mul_f32_e32 v22, v22, v39
	v_add_f32_e32 v20, v42, v20
	v_fmac_f32_e32 v22, v23, v38
	v_add_f32_e32 v42, v20, v22
	s_waitcnt lgkmcnt(0)
	v_mul_f32_e32 v20, v17, v29
	v_add_f32_e32 v41, v21, v34
	v_fma_f32 v20, v16, v28, -v20
	v_mul_f32_e32 v21, v16, v29
	v_fmac_f32_e32 v21, v17, v28
	v_add_f32_e32 v7, v7, v20
	v_mul_f32_e32 v20, v17, v31
	v_add_f32_e32 v40, v40, v21
	v_fma_f32 v34, v16, v30, -v20
	ds_read_b128 v[20:23], v15 offset:1056
	v_mul_f32_e32 v16, v16, v31
	v_fmac_f32_e32 v16, v17, v30
	v_add_f32_e32 v17, v33, v34
	v_add_f32_e32 v16, v32, v16
	ds_read_b128 v[32:35], v15 offset:1072
	s_waitcnt lgkmcnt(1)
	v_mul_f32_e32 v38, v21, v29
	v_fma_f32 v38, v20, v28, -v38
	v_mul_f32_e32 v29, v20, v29
	v_fmac_f32_e32 v29, v21, v28
	v_add_f32_e32 v28, v36, v38
	v_mul_f32_e32 v36, v21, v31
	v_add_f32_e32 v29, v37, v29
	v_fma_f32 v43, v20, v30, -v36
	ds_read2_b64 v[36:39], v14 offset0:160 offset1:176
	v_mul_f32_e32 v20, v20, v31
	v_fmac_f32_e32 v20, v21, v30
	v_add_f32_e32 v20, v42, v20
	v_add_f32_e32 v21, v41, v43
	s_waitcnt lgkmcnt(0)
	v_mul_f32_e32 v30, v19, v37
	v_mul_f32_e32 v31, v18, v37
	v_fma_f32 v30, v18, v36, -v30
	v_fmac_f32_e32 v31, v19, v36
	v_add_f32_e32 v7, v7, v30
	v_add_f32_e32 v30, v40, v31
	v_mul_f32_e32 v31, v19, v39
	v_fma_f32 v31, v18, v38, -v31
	v_mul_f32_e32 v18, v18, v39
	v_fmac_f32_e32 v18, v19, v38
	v_add_f32_e32 v40, v16, v18
	v_mul_f32_e32 v16, v23, v37
	v_add_f32_e32 v31, v17, v31
	v_fma_f32 v16, v22, v36, -v16
	v_mul_f32_e32 v17, v22, v37
	v_fmac_f32_e32 v17, v23, v36
	v_add_f32_e32 v28, v28, v16
	v_mul_f32_e32 v16, v23, v39
	v_add_f32_e32 v29, v29, v17
	v_fma_f32 v36, v22, v38, -v16
	ds_read2_b64 v[16:19], v14 offset0:192 offset1:208
	v_mul_f32_e32 v22, v22, v39
	v_fmac_f32_e32 v22, v23, v38
	v_add_f32_e32 v20, v20, v22
	v_add_f32_e32 v21, v21, v36
	s_waitcnt lgkmcnt(0)
	v_mul_f32_e32 v22, v25, v17
	v_mul_f32_e32 v23, v24, v17
	v_fma_f32 v22, v24, v16, -v22
	v_fmac_f32_e32 v23, v25, v16
	v_add_f32_e32 v7, v7, v22
	v_add_f32_e32 v22, v30, v23
	v_mul_f32_e32 v23, v25, v19
	v_fma_f32 v23, v24, v18, -v23
	v_mul_f32_e32 v24, v24, v19
	v_fmac_f32_e32 v24, v25, v18
	v_mul_f32_e32 v25, v33, v17
	v_mul_f32_e32 v17, v32, v17
	v_fma_f32 v25, v32, v16, -v25
	v_fmac_f32_e32 v17, v33, v16
	v_add_f32_e32 v23, v31, v23
	v_add_f32_e32 v16, v28, v25
	;; [unrolled: 1-line block ×3, first 2 shown]
	ds_read2_b64 v[28:31], v14 offset0:224 offset1:240
	v_mul_f32_e32 v25, v33, v19
	v_mul_f32_e32 v19, v32, v19
	v_fmac_f32_e32 v19, v33, v18
	v_add_f32_e32 v19, v20, v19
	s_waitcnt lgkmcnt(0)
	v_mul_f32_e32 v20, v27, v29
	v_fma_f32 v25, v32, v18, -v25
	v_fma_f32 v20, v26, v28, -v20
	v_add_f32_e32 v18, v21, v25
	v_mul_f32_e32 v21, v26, v29
	v_add_f32_e32 v20, v7, v20
	v_mul_f32_e32 v7, v27, v31
	v_mul_f32_e32 v25, v26, v31
	v_add_f32_e32 v24, v40, v24
	v_fmac_f32_e32 v21, v27, v28
	v_fma_f32 v7, v26, v30, -v7
	v_fmac_f32_e32 v25, v27, v30
	v_add_f32_e32 v22, v22, v21
	v_add_f32_e32 v21, v23, v7
	;; [unrolled: 1-line block ×3, first 2 shown]
	v_mul_f32_e32 v7, v35, v29
	v_mul_f32_e32 v24, v34, v29
	v_fma_f32 v7, v34, v28, -v7
	v_fmac_f32_e32 v24, v35, v28
	s_addc_u32 s3, s3, 0
	v_addc_co_u32_e32 v3, vcc, 0, v3, vcc
	v_add_f32_e32 v16, v16, v7
	v_add_f32_e32 v17, v17, v24
	v_mul_f32_e32 v7, v35, v31
	v_mul_f32_e32 v24, v34, v31
	v_cmp_ge_i64_e32 vcc, s[2:3], v[8:9]
	v_fma_f32 v7, v34, v30, -v7
	v_fmac_f32_e32 v24, v35, v30
	v_add_co_u32_e64 v4, s[0:1], 64, v4
	v_add_f32_e32 v18, v18, v7
	v_add_f32_e32 v19, v19, v24
	v_addc_co_u32_e64 v5, s[0:1], 0, v5, s[0:1]
	s_barrier
	s_cbranch_vccnz .LBB1763_12
.LBB1763_3:                             ; =>This Inner Loop Header: Depth=1
	v_mov_b32_e32 v7, s3
	v_add_co_u32_e32 v24, vcc, s2, v10
	v_addc_co_u32_e32 v25, vcc, 0, v7, vcc
	v_cmp_le_i64_e32 vcc, s[12:13], v[24:25]
	s_or_b64 s[0:1], s[4:5], vcc
	s_and_saveexec_b64 s[16:17], s[0:1]
	s_xor_b64 s[0:1], exec, s[16:17]
; %bb.4:                                ;   in Loop: Header=BB1763_3 Depth=1
	ds_write_b32 v12, v6
; %bb.5:                                ;   in Loop: Header=BB1763_3 Depth=1
	s_or_saveexec_b64 s[0:1], s[0:1]
	v_mov_b32_e32 v7, 0
	s_xor_b64 exec, exec, s[0:1]
	s_cbranch_execz .LBB1763_7
; %bb.6:                                ;   in Loop: Header=BB1763_3 Depth=1
	flat_load_dwordx2 v[24:25], v[2:3]
	s_waitcnt vmcnt(0) lgkmcnt(0)
	v_xor_b32_e32 v7, 0x80000000, v25
	ds_write_b32 v12, v24
.LBB1763_7:                             ;   in Loop: Header=BB1763_3 Depth=1
	s_or_b64 exec, exec, s[0:1]
	v_mov_b32_e32 v25, s3
	v_add_co_u32_e32 v24, vcc, s2, v11
	v_addc_co_u32_e32 v25, vcc, 0, v25, vcc
	v_cmp_le_i64_e32 vcc, s[12:13], v[24:25]
	ds_write_b32 v12, v7 offset:4
	s_or_b64 s[0:1], vcc, s[6:7]
	s_and_saveexec_b64 s[16:17], s[0:1]
	s_xor_b64 s[0:1], exec, s[16:17]
; %bb.8:                                ;   in Loop: Header=BB1763_3 Depth=1
	v_mov_b32_e32 v7, v6
	ds_write_b64 v13, v[6:7]
; %bb.9:                                ;   in Loop: Header=BB1763_3 Depth=1
	s_andn2_saveexec_b64 s[0:1], s[0:1]
	s_cbranch_execz .LBB1763_2
; %bb.10:                               ;   in Loop: Header=BB1763_3 Depth=1
	flat_load_dwordx2 v[24:25], v[4:5]
	s_waitcnt vmcnt(0) lgkmcnt(0)
	ds_write_b64 v13, v[24:25]
	s_branch .LBB1763_2
.LBB1763_11:
	v_mov_b32_e32 v20, 0
	v_mov_b32_e32 v22, 0
	;; [unrolled: 1-line block ×8, first 2 shown]
.LBB1763_12:
	v_add_u32_e32 v5, s23, v1
	v_ashrrev_i32_e32 v1, 31, v5
	v_mul_lo_u32 v3, s10, v1
	v_mul_lo_u32 v4, s11, v5
	v_mad_u64_u32 v[1:2], s[0:1], s10, v5, 0
	v_add_u32_e32 v0, s22, v0
	v_cmp_le_i32_e64 s[0:1], v5, v0
	v_add3_u32 v2, v2, v3, v4
	v_lshlrev_b64 v[1:2], 3, v[1:2]
	s_waitcnt lgkmcnt(0)
	v_mov_b32_e32 v3, s9
	v_add_co_u32_e32 v4, vcc, s8, v1
	v_addc_co_u32_e32 v6, vcc, v3, v2, vcc
	v_cmp_gt_i32_e32 vcc, s24, v0
	s_and_b64 s[0:1], s[0:1], vcc
	s_and_saveexec_b64 s[2:3], s[0:1]
	s_cbranch_execz .LBB1763_15
; %bb.13:
	v_ashrrev_i32_e32 v1, 31, v0
	v_lshlrev_b64 v[1:2], 3, v[0:1]
	v_mul_f32_e32 v3, s15, v22
	v_add_co_u32_e64 v1, s[0:1], v4, v1
	v_addc_co_u32_e64 v2, s[0:1], v6, v2, s[0:1]
	flat_load_dwordx2 v[7:8], v[1:2]
	v_mul_f32_e32 v9, s14, v22
	v_fma_f32 v3, v20, s14, -v3
	v_fmac_f32_e32 v9, s15, v20
	v_cmp_eq_u32_e64 s[0:1], v5, v0
	s_waitcnt vmcnt(0) lgkmcnt(0)
	v_mul_f32_e32 v10, s21, v8
	v_mul_f32_e32 v8, s20, v8
	v_fma_f32 v10, v7, s20, -v10
	v_fmac_f32_e32 v8, s21, v7
	v_add_f32_e32 v7, v3, v10
	v_add_f32_e32 v8, v9, v8
	flat_store_dwordx2 v[1:2], v[7:8]
	s_and_b64 exec, exec, s[0:1]
	s_cbranch_execz .LBB1763_15
; %bb.14:
	v_mov_b32_e32 v3, 0
	flat_store_dword v[1:2], v3 offset:4
.LBB1763_15:
	s_or_b64 exec, exec, s[2:3]
	v_add_u32_e32 v2, 16, v0
	v_cmp_le_i32_e64 s[2:3], v5, v2
	v_cmp_gt_i32_e64 s[0:1], s24, v2
	s_and_b64 s[2:3], s[2:3], s[0:1]
	s_and_saveexec_b64 s[4:5], s[2:3]
	s_cbranch_execz .LBB1763_18
; %bb.16:
	v_ashrrev_i32_e32 v3, 31, v2
	v_lshlrev_b64 v[7:8], 3, v[2:3]
	v_mul_f32_e32 v1, s15, v23
	v_add_co_u32_e64 v3, s[2:3], v4, v7
	v_addc_co_u32_e64 v4, s[2:3], v6, v8, s[2:3]
	flat_load_dwordx2 v[6:7], v[3:4]
	v_mul_f32_e32 v8, s14, v23
	v_fma_f32 v1, v21, s14, -v1
	v_fmac_f32_e32 v8, s15, v21
	v_cmp_eq_u32_e64 s[2:3], v5, v2
	s_waitcnt vmcnt(0) lgkmcnt(0)
	v_mul_f32_e32 v9, s21, v7
	v_mul_f32_e32 v7, s20, v7
	v_fma_f32 v9, v6, s20, -v9
	v_fmac_f32_e32 v7, s21, v6
	v_add_f32_e32 v6, v1, v9
	v_add_f32_e32 v7, v8, v7
	flat_store_dwordx2 v[3:4], v[6:7]
	s_and_b64 exec, exec, s[2:3]
	s_cbranch_execz .LBB1763_18
; %bb.17:
	v_mov_b32_e32 v1, 0
	flat_store_dword v[3:4], v1 offset:4
.LBB1763_18:
	s_or_b64 exec, exec, s[4:5]
	v_add_u32_e32 v8, 16, v5
	v_ashrrev_i32_e32 v1, 31, v8
	v_mul_lo_u32 v6, s11, v8
	v_mad_u64_u32 v[3:4], s[2:3], s10, v8, 0
	v_mul_lo_u32 v1, s10, v1
	v_add3_u32 v4, v4, v1, v6
	v_lshlrev_b64 v[3:4], 3, v[3:4]
	v_mov_b32_e32 v1, s9
	v_add_co_u32_e64 v6, s[2:3], s8, v3
	v_addc_co_u32_e64 v7, s[2:3], v1, v4, s[2:3]
	v_cmp_le_i32_e64 s[2:3], v8, v0
	s_and_b64 s[4:5], s[2:3], vcc
	s_and_saveexec_b64 s[2:3], s[4:5]
	s_cbranch_execz .LBB1763_21
; %bb.19:
	v_ashrrev_i32_e32 v1, 31, v0
	v_lshlrev_b64 v[3:4], 3, v[0:1]
	v_mul_f32_e32 v1, s15, v17
	v_add_co_u32_e32 v3, vcc, v6, v3
	v_addc_co_u32_e32 v4, vcc, v7, v4, vcc
	flat_load_dwordx2 v[9:10], v[3:4]
	v_mul_f32_e32 v11, s14, v17
	v_fma_f32 v1, v16, s14, -v1
	v_fmac_f32_e32 v11, s15, v16
	v_cmp_eq_u32_e32 vcc, v8, v0
	s_waitcnt vmcnt(0) lgkmcnt(0)
	v_mul_f32_e32 v12, s21, v10
	v_mul_f32_e32 v10, s20, v10
	v_fma_f32 v12, v9, s20, -v12
	v_fmac_f32_e32 v10, s21, v9
	v_add_f32_e32 v9, v1, v12
	v_add_f32_e32 v10, v11, v10
	flat_store_dwordx2 v[3:4], v[9:10]
	s_and_b64 exec, exec, vcc
	s_cbranch_execz .LBB1763_21
; %bb.20:
	v_mov_b32_e32 v1, 0
	flat_store_dword v[3:4], v1 offset:4
.LBB1763_21:
	s_or_b64 exec, exec, s[2:3]
	v_cmp_le_i32_e32 vcc, v8, v2
	s_and_b64 s[0:1], vcc, s[0:1]
	s_and_saveexec_b64 s[2:3], s[0:1]
	s_cbranch_execz .LBB1763_24
; %bb.22:
	v_ashrrev_i32_e32 v3, 31, v2
	v_lshlrev_b64 v[1:2], 3, v[2:3]
	v_add_co_u32_e32 v1, vcc, v6, v1
	v_addc_co_u32_e32 v2, vcc, v7, v2, vcc
	flat_load_dwordx2 v[3:4], v[1:2]
	v_mul_f32_e32 v6, s15, v19
	v_mul_f32_e32 v7, s14, v19
	v_fma_f32 v6, v18, s14, -v6
	v_fmac_f32_e32 v7, s15, v18
	v_cmp_eq_u32_e32 vcc, v5, v0
	s_waitcnt vmcnt(0) lgkmcnt(0)
	v_mul_f32_e32 v8, s21, v4
	v_mul_f32_e32 v4, s20, v4
	v_fma_f32 v8, v3, s20, -v8
	v_fmac_f32_e32 v4, s21, v3
	v_add_f32_e32 v3, v6, v8
	v_add_f32_e32 v4, v7, v4
	flat_store_dwordx2 v[1:2], v[3:4]
	s_and_b64 exec, exec, vcc
	s_cbranch_execz .LBB1763_24
; %bb.23:
	v_mov_b32_e32 v0, 0
	flat_store_dword v[1:2], v0 offset:4
.LBB1763_24:
	s_endpgm
	.section	.rodata,"a",@progbits
	.p2align	6, 0x0
	.amdhsa_kernel _ZL34rocblas_syrkx_herkx_general_kernelIl19rocblas_complex_numIfELi16ELi32ELi8ELb0ELb1ELc67ELc76EKPKS1_KPS1_EviT_T0_PT8_S7_lSA_S7_lS8_PT9_S7_li
		.amdhsa_group_segment_fixed_size 4096
		.amdhsa_private_segment_fixed_size 0
		.amdhsa_kernarg_size 108
		.amdhsa_user_sgpr_count 6
		.amdhsa_user_sgpr_private_segment_buffer 1
		.amdhsa_user_sgpr_dispatch_ptr 0
		.amdhsa_user_sgpr_queue_ptr 0
		.amdhsa_user_sgpr_kernarg_segment_ptr 1
		.amdhsa_user_sgpr_dispatch_id 0
		.amdhsa_user_sgpr_flat_scratch_init 0
		.amdhsa_user_sgpr_private_segment_size 0
		.amdhsa_uses_dynamic_stack 0
		.amdhsa_system_sgpr_private_segment_wavefront_offset 0
		.amdhsa_system_sgpr_workgroup_id_x 1
		.amdhsa_system_sgpr_workgroup_id_y 1
		.amdhsa_system_sgpr_workgroup_id_z 1
		.amdhsa_system_sgpr_workgroup_info 0
		.amdhsa_system_vgpr_workitem_id 1
		.amdhsa_next_free_vgpr 50
		.amdhsa_next_free_sgpr 25
		.amdhsa_reserve_vcc 1
		.amdhsa_reserve_flat_scratch 0
		.amdhsa_float_round_mode_32 0
		.amdhsa_float_round_mode_16_64 0
		.amdhsa_float_denorm_mode_32 3
		.amdhsa_float_denorm_mode_16_64 3
		.amdhsa_dx10_clamp 1
		.amdhsa_ieee_mode 1
		.amdhsa_fp16_overflow 0
		.amdhsa_exception_fp_ieee_invalid_op 0
		.amdhsa_exception_fp_denorm_src 0
		.amdhsa_exception_fp_ieee_div_zero 0
		.amdhsa_exception_fp_ieee_overflow 0
		.amdhsa_exception_fp_ieee_underflow 0
		.amdhsa_exception_fp_ieee_inexact 0
		.amdhsa_exception_int_div_zero 0
	.end_amdhsa_kernel
	.section	.text._ZL34rocblas_syrkx_herkx_general_kernelIl19rocblas_complex_numIfELi16ELi32ELi8ELb0ELb1ELc67ELc76EKPKS1_KPS1_EviT_T0_PT8_S7_lSA_S7_lS8_PT9_S7_li,"axG",@progbits,_ZL34rocblas_syrkx_herkx_general_kernelIl19rocblas_complex_numIfELi16ELi32ELi8ELb0ELb1ELc67ELc76EKPKS1_KPS1_EviT_T0_PT8_S7_lSA_S7_lS8_PT9_S7_li,comdat
.Lfunc_end1763:
	.size	_ZL34rocblas_syrkx_herkx_general_kernelIl19rocblas_complex_numIfELi16ELi32ELi8ELb0ELb1ELc67ELc76EKPKS1_KPS1_EviT_T0_PT8_S7_lSA_S7_lS8_PT9_S7_li, .Lfunc_end1763-_ZL34rocblas_syrkx_herkx_general_kernelIl19rocblas_complex_numIfELi16ELi32ELi8ELb0ELb1ELc67ELc76EKPKS1_KPS1_EviT_T0_PT8_S7_lSA_S7_lS8_PT9_S7_li
                                        ; -- End function
	.set _ZL34rocblas_syrkx_herkx_general_kernelIl19rocblas_complex_numIfELi16ELi32ELi8ELb0ELb1ELc67ELc76EKPKS1_KPS1_EviT_T0_PT8_S7_lSA_S7_lS8_PT9_S7_li.num_vgpr, 50
	.set _ZL34rocblas_syrkx_herkx_general_kernelIl19rocblas_complex_numIfELi16ELi32ELi8ELb0ELb1ELc67ELc76EKPKS1_KPS1_EviT_T0_PT8_S7_lSA_S7_lS8_PT9_S7_li.num_agpr, 0
	.set _ZL34rocblas_syrkx_herkx_general_kernelIl19rocblas_complex_numIfELi16ELi32ELi8ELb0ELb1ELc67ELc76EKPKS1_KPS1_EviT_T0_PT8_S7_lSA_S7_lS8_PT9_S7_li.numbered_sgpr, 25
	.set _ZL34rocblas_syrkx_herkx_general_kernelIl19rocblas_complex_numIfELi16ELi32ELi8ELb0ELb1ELc67ELc76EKPKS1_KPS1_EviT_T0_PT8_S7_lSA_S7_lS8_PT9_S7_li.num_named_barrier, 0
	.set _ZL34rocblas_syrkx_herkx_general_kernelIl19rocblas_complex_numIfELi16ELi32ELi8ELb0ELb1ELc67ELc76EKPKS1_KPS1_EviT_T0_PT8_S7_lSA_S7_lS8_PT9_S7_li.private_seg_size, 0
	.set _ZL34rocblas_syrkx_herkx_general_kernelIl19rocblas_complex_numIfELi16ELi32ELi8ELb0ELb1ELc67ELc76EKPKS1_KPS1_EviT_T0_PT8_S7_lSA_S7_lS8_PT9_S7_li.uses_vcc, 1
	.set _ZL34rocblas_syrkx_herkx_general_kernelIl19rocblas_complex_numIfELi16ELi32ELi8ELb0ELb1ELc67ELc76EKPKS1_KPS1_EviT_T0_PT8_S7_lSA_S7_lS8_PT9_S7_li.uses_flat_scratch, 0
	.set _ZL34rocblas_syrkx_herkx_general_kernelIl19rocblas_complex_numIfELi16ELi32ELi8ELb0ELb1ELc67ELc76EKPKS1_KPS1_EviT_T0_PT8_S7_lSA_S7_lS8_PT9_S7_li.has_dyn_sized_stack, 0
	.set _ZL34rocblas_syrkx_herkx_general_kernelIl19rocblas_complex_numIfELi16ELi32ELi8ELb0ELb1ELc67ELc76EKPKS1_KPS1_EviT_T0_PT8_S7_lSA_S7_lS8_PT9_S7_li.has_recursion, 0
	.set _ZL34rocblas_syrkx_herkx_general_kernelIl19rocblas_complex_numIfELi16ELi32ELi8ELb0ELb1ELc67ELc76EKPKS1_KPS1_EviT_T0_PT8_S7_lSA_S7_lS8_PT9_S7_li.has_indirect_call, 0
	.section	.AMDGPU.csdata,"",@progbits
; Kernel info:
; codeLenInByte = 2488
; TotalNumSgprs: 29
; NumVgprs: 50
; ScratchSize: 0
; MemoryBound: 1
; FloatMode: 240
; IeeeMode: 1
; LDSByteSize: 4096 bytes/workgroup (compile time only)
; SGPRBlocks: 3
; VGPRBlocks: 12
; NumSGPRsForWavesPerEU: 29
; NumVGPRsForWavesPerEU: 50
; Occupancy: 4
; WaveLimiterHint : 1
; COMPUTE_PGM_RSRC2:SCRATCH_EN: 0
; COMPUTE_PGM_RSRC2:USER_SGPR: 6
; COMPUTE_PGM_RSRC2:TRAP_HANDLER: 0
; COMPUTE_PGM_RSRC2:TGID_X_EN: 1
; COMPUTE_PGM_RSRC2:TGID_Y_EN: 1
; COMPUTE_PGM_RSRC2:TGID_Z_EN: 1
; COMPUTE_PGM_RSRC2:TIDIG_COMP_CNT: 1
	.section	.text._ZL34rocblas_syrkx_herkx_general_kernelIl19rocblas_complex_numIfELi16ELi32ELi8ELb0ELb1ELc78ELc76EKPKS1_KPS1_EviT_T0_PT8_S7_lSA_S7_lS8_PT9_S7_li,"axG",@progbits,_ZL34rocblas_syrkx_herkx_general_kernelIl19rocblas_complex_numIfELi16ELi32ELi8ELb0ELb1ELc78ELc76EKPKS1_KPS1_EviT_T0_PT8_S7_lSA_S7_lS8_PT9_S7_li,comdat
	.globl	_ZL34rocblas_syrkx_herkx_general_kernelIl19rocblas_complex_numIfELi16ELi32ELi8ELb0ELb1ELc78ELc76EKPKS1_KPS1_EviT_T0_PT8_S7_lSA_S7_lS8_PT9_S7_li ; -- Begin function _ZL34rocblas_syrkx_herkx_general_kernelIl19rocblas_complex_numIfELi16ELi32ELi8ELb0ELb1ELc78ELc76EKPKS1_KPS1_EviT_T0_PT8_S7_lSA_S7_lS8_PT9_S7_li
	.p2align	8
	.type	_ZL34rocblas_syrkx_herkx_general_kernelIl19rocblas_complex_numIfELi16ELi32ELi8ELb0ELb1ELc78ELc76EKPKS1_KPS1_EviT_T0_PT8_S7_lSA_S7_lS8_PT9_S7_li,@function
_ZL34rocblas_syrkx_herkx_general_kernelIl19rocblas_complex_numIfELi16ELi32ELi8ELb0ELb1ELc78ELc76EKPKS1_KPS1_EviT_T0_PT8_S7_lSA_S7_lS8_PT9_S7_li: ; @_ZL34rocblas_syrkx_herkx_general_kernelIl19rocblas_complex_numIfELi16ELi32ELi8ELb0ELb1ELc78ELc76EKPKS1_KPS1_EviT_T0_PT8_S7_lSA_S7_lS8_PT9_S7_li
; %bb.0:
	s_load_dwordx2 s[10:11], s[4:5], 0x58
	s_load_dwordx4 s[20:23], s[4:5], 0x48
	s_load_dword s24, s[4:5], 0x0
	s_load_dwordx8 s[12:19], s[4:5], 0x8
	s_mov_b32 s9, 0
	s_lshl_b64 s[0:1], s[8:9], 3
	s_waitcnt lgkmcnt(0)
	s_add_u32 s2, s22, s0
	s_addc_u32 s3, s23, s1
	s_load_dwordx2 s[8:9], s[2:3], 0x0
	v_cmp_lt_i64_e64 s[2:3], s[12:13], 1
	s_lshl_b32 s22, s6, 5
	s_lshl_b32 s23, s7, 5
	s_and_b64 vcc, exec, s[2:3]
	s_cbranch_vccnz .LBB1764_11
; %bb.1:
	s_load_dwordx4 s[4:7], s[4:5], 0x30
	v_lshl_add_u32 v2, v1, 4, v0
	v_and_b32_e32 v8, 31, v2
	v_lshrrev_b32_e32 v5, 3, v2
	v_or_b32_e32 v3, s22, v8
	s_waitcnt lgkmcnt(0)
	s_add_u32 s2, s4, s0
	v_lshrrev_b32_e32 v10, 5, v2
	s_addc_u32 s3, s5, s1
	v_lshlrev_b32_e32 v2, 3, v8
	s_load_dwordx2 s[26:27], s[2:3], 0x0
	v_cmp_gt_i32_e32 vcc, s24, v3
	v_lshl_or_b32 v12, v10, 8, v2
	v_mad_u64_u32 v[2:3], s[2:3], s18, v10, 0
	v_and_b32_e32 v11, 7, v0
	v_add_u32_e32 v4, s23, v5
	v_lshlrev_b32_e32 v6, 3, v11
	v_lshl_or_b32 v5, v5, 6, v6
	v_mad_u64_u32 v[6:7], s[2:3], s19, v10, v[3:4]
	v_mov_b32_e32 v3, 0x800
	v_lshl_add_u32 v15, v1, 6, v3
	v_mov_b32_e32 v3, v6
	v_add_u32_e32 v6, s22, v8
	v_ashrrev_i32_e32 v7, 31, v6
	v_mad_u64_u32 v[8:9], s[2:3], s6, v11, 0
	v_lshlrev_b64 v[2:3], 3, v[2:3]
	v_lshlrev_b64 v[6:7], 3, v[6:7]
	s_add_u32 s0, s16, s0
	v_add_co_u32_e64 v16, s[2:3], v2, v6
	s_addc_u32 s1, s17, s1
	v_addc_co_u32_e64 v3, s[2:3], v3, v7, s[2:3]
	v_mov_b32_e32 v2, v9
	s_load_dwordx2 s[4:5], s[0:1], 0x0
	v_mad_u64_u32 v[6:7], s[2:3], s7, v11, v[2:3]
	v_add_u32_e32 v13, 0x800, v5
	v_ashrrev_i32_e32 v5, 31, v4
	v_mov_b32_e32 v9, v6
	v_cmp_gt_i32_e64 s[0:1], s24, v4
	s_waitcnt lgkmcnt(0)
	v_mov_b32_e32 v17, s5
	v_add_co_u32_e64 v2, s[2:3], s4, v16
	v_lshlrev_b64 v[6:7], 3, v[8:9]
	v_lshlrev_b64 v[4:5], 3, v[4:5]
	v_addc_co_u32_e64 v3, s[2:3], v17, v3, s[2:3]
	v_add_co_u32_e64 v4, s[2:3], v6, v4
	v_addc_co_u32_e64 v5, s[2:3], v7, v5, s[2:3]
	v_mov_b32_e32 v6, s27
	v_add_co_u32_e64 v4, s[2:3], s26, v4
	v_addc_co_u32_e64 v5, s[2:3], v6, v5, s[2:3]
	s_lshl_b64 s[4:5], s[18:19], 6
	s_lshl_b64 s[2:3], s[6:7], 6
	v_mov_b32_e32 v8, s12
	v_lshlrev_b32_e32 v14, 3, v0
	s_mov_b64 s[6:7], 0
	s_xor_b64 s[16:17], vcc, -1
	s_xor_b64 s[18:19], s[0:1], -1
	v_mov_b32_e32 v16, s5
	v_mov_b32_e32 v17, s3
	;; [unrolled: 1-line block ×12, first 2 shown]
	s_branch .LBB1764_3
.LBB1764_2:                             ;   in Loop: Header=BB1764_3 Depth=1
	s_or_b64 exec, exec, s[0:1]
	ds_write_b32 v13, v7 offset:4
	s_waitcnt lgkmcnt(0)
	s_barrier
	ds_read2_b64 v[26:29], v14 offset1:16
	ds_read_b128 v[30:33], v15
	ds_read_b128 v[34:37], v15 offset:16
	s_add_u32 s6, s6, 8
	v_add_co_u32_e32 v2, vcc, s4, v2
	s_waitcnt lgkmcnt(1)
	v_mul_f32_e32 v38, v30, v27
	v_fmac_f32_e32 v38, v31, v26
	v_add_f32_e32 v42, v25, v38
	ds_read_b128 v[38:41], v15 offset:1024
	v_mul_f32_e32 v7, v31, v27
	v_fma_f32 v7, v30, v26, -v7
	v_add_f32_e32 v7, v24, v7
	v_mul_f32_e32 v24, v31, v29
	v_mul_f32_e32 v25, v30, v29
	v_fma_f32 v24, v30, v28, -v24
	v_fmac_f32_e32 v25, v31, v28
	v_add_f32_e32 v30, v22, v24
	v_add_f32_e32 v31, v23, v25
	ds_read_b128 v[22:25], v15 offset:1040
	s_waitcnt lgkmcnt(1)
	v_mul_f32_e32 v43, v39, v27
	v_mul_f32_e32 v44, v38, v27
	v_fma_f32 v43, v38, v26, -v43
	v_fmac_f32_e32 v44, v39, v26
	v_mul_f32_e32 v26, v39, v29
	v_fma_f32 v45, v38, v28, -v26
	v_mul_f32_e32 v38, v38, v29
	v_fmac_f32_e32 v38, v39, v28
	ds_read2_b64 v[26:29], v14 offset0:32 offset1:48
	v_add_f32_e32 v39, v20, v45
	v_add_f32_e32 v38, v21, v38
	;; [unrolled: 1-line block ×4, first 2 shown]
	s_waitcnt lgkmcnt(0)
	v_mul_f32_e32 v20, v33, v27
	v_fma_f32 v20, v32, v26, -v20
	v_mul_f32_e32 v21, v32, v27
	v_fmac_f32_e32 v21, v33, v26
	v_add_f32_e32 v7, v7, v20
	v_mul_f32_e32 v20, v33, v29
	v_add_f32_e32 v42, v42, v21
	v_fma_f32 v20, v32, v28, -v20
	v_mul_f32_e32 v21, v32, v29
	v_fmac_f32_e32 v21, v33, v28
	v_add_f32_e32 v30, v30, v20
	v_mul_f32_e32 v20, v41, v27
	v_add_f32_e32 v31, v31, v21
	;; [unrolled: 6-line block ×3, first 2 shown]
	v_fma_f32 v32, v40, v28, -v18
	ds_read2_b64 v[18:21], v14 offset0:64 offset1:80
	v_mul_f32_e32 v29, v40, v29
	v_fmac_f32_e32 v29, v41, v28
	v_add_f32_e32 v33, v38, v29
	v_add_f32_e32 v32, v39, v32
	s_waitcnt lgkmcnt(0)
	v_mul_f32_e32 v28, v35, v19
	v_fma_f32 v28, v34, v18, -v28
	v_mul_f32_e32 v29, v34, v19
	v_add_f32_e32 v7, v7, v28
	v_mul_f32_e32 v28, v35, v21
	v_fmac_f32_e32 v29, v35, v18
	v_fma_f32 v28, v34, v20, -v28
	v_add_f32_e32 v38, v42, v29
	v_mul_f32_e32 v29, v34, v21
	v_add_f32_e32 v30, v30, v28
	v_mul_f32_e32 v28, v23, v19
	v_mul_f32_e32 v19, v22, v19
	v_fmac_f32_e32 v29, v35, v20
	v_fma_f32 v28, v22, v18, -v28
	v_fmac_f32_e32 v19, v23, v18
	v_add_f32_e32 v31, v31, v29
	v_add_f32_e32 v34, v26, v28
	;; [unrolled: 1-line block ×3, first 2 shown]
	ds_read2_b64 v[26:29], v14 offset0:96 offset1:112
	v_mul_f32_e32 v18, v23, v21
	v_fma_f32 v39, v22, v20, -v18
	v_mul_f32_e32 v22, v22, v21
	v_fmac_f32_e32 v22, v23, v20
	v_add_f32_e32 v23, v32, v39
	s_waitcnt lgkmcnt(0)
	v_mul_f32_e32 v32, v37, v27
	v_fma_f32 v32, v36, v26, -v32
	v_add_f32_e32 v22, v33, v22
	v_mul_f32_e32 v33, v36, v27
	v_add_f32_e32 v7, v7, v32
	v_mul_f32_e32 v32, v37, v29
	v_fmac_f32_e32 v33, v37, v26
	v_fma_f32 v32, v36, v28, -v32
	v_add_f32_e32 v38, v38, v33
	v_mul_f32_e32 v33, v36, v29
	v_add_f32_e32 v39, v30, v32
	v_mul_f32_e32 v30, v25, v27
	v_fmac_f32_e32 v33, v37, v28
	v_fma_f32 v30, v24, v26, -v30
	ds_read_b128 v[18:21], v15 offset:32
	v_add_f32_e32 v40, v31, v33
	v_add_f32_e32 v42, v34, v30
	ds_read2_b64 v[30:33], v14 offset0:128 offset1:144
	v_mul_f32_e32 v27, v24, v27
	v_fmac_f32_e32 v27, v25, v26
	v_mul_f32_e32 v26, v25, v29
	v_fma_f32 v26, v24, v28, -v26
	v_mul_f32_e32 v24, v24, v29
	v_fmac_f32_e32 v24, v25, v28
	v_add_f32_e32 v43, v35, v27
	v_add_f32_e32 v23, v23, v26
	;; [unrolled: 1-line block ×3, first 2 shown]
	ds_read_b128 v[24:27], v15 offset:48
	s_waitcnt lgkmcnt(1)
	v_mul_f32_e32 v28, v19, v31
	ds_read_b128 v[34:37], v15 offset:1056
	v_fma_f32 v28, v18, v30, -v28
	v_add_f32_e32 v7, v7, v28
	v_mul_f32_e32 v28, v19, v33
	v_mul_f32_e32 v29, v18, v31
	v_fma_f32 v28, v18, v32, -v28
	v_mul_f32_e32 v18, v18, v33
	v_fmac_f32_e32 v29, v19, v30
	v_fmac_f32_e32 v18, v19, v32
	v_add_f32_e32 v44, v38, v29
	v_add_f32_e32 v19, v39, v28
	;; [unrolled: 1-line block ×3, first 2 shown]
	ds_read_b128 v[38:41], v15 offset:1072
	s_waitcnt lgkmcnt(1)
	v_mul_f32_e32 v28, v35, v31
	v_fma_f32 v45, v34, v30, -v28
	v_mul_f32_e32 v46, v34, v31
	v_mul_f32_e32 v28, v35, v33
	v_fmac_f32_e32 v46, v35, v30
	v_fma_f32 v47, v34, v32, -v28
	ds_read2_b64 v[28:31], v14 offset0:160 offset1:176
	v_mul_f32_e32 v33, v34, v33
	v_fmac_f32_e32 v33, v35, v32
	v_add_f32_e32 v22, v22, v33
	v_add_f32_e32 v32, v42, v45
	s_waitcnt lgkmcnt(0)
	v_mul_f32_e32 v33, v21, v29
	v_mul_f32_e32 v35, v20, v29
	v_fma_f32 v33, v20, v28, -v33
	v_fmac_f32_e32 v35, v21, v28
	v_add_f32_e32 v7, v7, v33
	v_add_f32_e32 v33, v44, v35
	v_mul_f32_e32 v35, v21, v31
	v_fma_f32 v35, v20, v30, -v35
	v_mul_f32_e32 v20, v20, v31
	v_fmac_f32_e32 v20, v21, v30
	v_add_f32_e32 v42, v18, v20
	v_mul_f32_e32 v18, v37, v29
	v_add_f32_e32 v35, v19, v35
	v_fma_f32 v18, v36, v28, -v18
	v_mul_f32_e32 v19, v36, v29
	v_add_f32_e32 v34, v43, v46
	v_fmac_f32_e32 v19, v37, v28
	v_add_f32_e32 v28, v32, v18
	v_mul_f32_e32 v18, v37, v31
	v_add_f32_e32 v29, v34, v19
	v_fma_f32 v32, v36, v30, -v18
	ds_read2_b64 v[18:21], v14 offset0:192 offset1:208
	v_mul_f32_e32 v31, v36, v31
	v_fmac_f32_e32 v31, v37, v30
	v_add_f32_e32 v22, v22, v31
	v_add_f32_e32 v23, v23, v47
	s_waitcnt lgkmcnt(0)
	v_mul_f32_e32 v30, v25, v19
	v_fma_f32 v30, v24, v18, -v30
	v_add_f32_e32 v7, v7, v30
	v_mul_f32_e32 v30, v25, v21
	v_mul_f32_e32 v31, v24, v19
	v_fma_f32 v30, v24, v20, -v30
	v_mul_f32_e32 v24, v24, v21
	v_fmac_f32_e32 v24, v25, v20
	v_add_f32_e32 v34, v42, v24
	v_mul_f32_e32 v24, v39, v19
	v_mul_f32_e32 v19, v38, v19
	v_fmac_f32_e32 v31, v25, v18
	v_fma_f32 v24, v38, v18, -v24
	v_fmac_f32_e32 v19, v39, v18
	v_add_f32_e32 v23, v23, v32
	v_add_f32_e32 v32, v33, v31
	;; [unrolled: 1-line block ×5, first 2 shown]
	ds_read2_b64 v[28:31], v14 offset0:224 offset1:240
	v_mul_f32_e32 v24, v39, v21
	v_mul_f32_e32 v21, v38, v21
	v_fmac_f32_e32 v21, v39, v20
	v_add_f32_e32 v21, v22, v21
	s_waitcnt lgkmcnt(0)
	v_mul_f32_e32 v22, v27, v29
	v_fma_f32 v24, v38, v20, -v24
	v_fma_f32 v22, v26, v28, -v22
	v_add_f32_e32 v20, v23, v24
	v_mul_f32_e32 v23, v26, v29
	v_add_f32_e32 v24, v7, v22
	v_mul_f32_e32 v7, v27, v31
	v_fmac_f32_e32 v23, v27, v28
	v_fma_f32 v7, v26, v30, -v7
	v_add_f32_e32 v25, v32, v23
	v_mul_f32_e32 v23, v26, v31
	v_add_f32_e32 v22, v33, v7
	v_mul_f32_e32 v7, v41, v29
	v_mul_f32_e32 v26, v40, v29
	v_fma_f32 v7, v40, v28, -v7
	v_fmac_f32_e32 v26, v41, v28
	s_addc_u32 s7, s7, 0
	v_addc_co_u32_e32 v3, vcc, v3, v16, vcc
	v_add_f32_e32 v18, v18, v7
	v_add_f32_e32 v19, v19, v26
	v_mul_f32_e32 v7, v41, v31
	v_mul_f32_e32 v26, v40, v31
	v_cmp_ge_i64_e32 vcc, s[6:7], v[8:9]
	v_fmac_f32_e32 v23, v27, v30
	v_fma_f32 v7, v40, v30, -v7
	v_fmac_f32_e32 v26, v41, v30
	v_add_co_u32_e64 v4, s[0:1], s2, v4
	v_add_f32_e32 v23, v34, v23
	v_add_f32_e32 v20, v20, v7
	;; [unrolled: 1-line block ×3, first 2 shown]
	v_addc_co_u32_e64 v5, s[0:1], v5, v17, s[0:1]
	s_barrier
	s_cbranch_vccnz .LBB1764_12
.LBB1764_3:                             ; =>This Inner Loop Header: Depth=1
	v_mov_b32_e32 v7, s7
	v_add_co_u32_e32 v26, vcc, s6, v10
	v_addc_co_u32_e32 v27, vcc, 0, v7, vcc
	v_cmp_le_i64_e32 vcc, s[12:13], v[26:27]
	s_or_b64 s[0:1], s[16:17], vcc
	s_and_saveexec_b64 s[26:27], s[0:1]
	s_xor_b64 s[0:1], exec, s[26:27]
; %bb.4:                                ;   in Loop: Header=BB1764_3 Depth=1
	v_mov_b32_e32 v7, v6
	ds_write_b64 v12, v[6:7]
; %bb.5:                                ;   in Loop: Header=BB1764_3 Depth=1
	s_andn2_saveexec_b64 s[0:1], s[0:1]
	s_cbranch_execz .LBB1764_7
; %bb.6:                                ;   in Loop: Header=BB1764_3 Depth=1
	flat_load_dwordx2 v[26:27], v[2:3]
	s_waitcnt vmcnt(0) lgkmcnt(0)
	ds_write_b64 v12, v[26:27]
.LBB1764_7:                             ;   in Loop: Header=BB1764_3 Depth=1
	s_or_b64 exec, exec, s[0:1]
	v_mov_b32_e32 v7, s7
	v_add_co_u32_e32 v26, vcc, s6, v11
	v_addc_co_u32_e32 v27, vcc, 0, v7, vcc
	v_cmp_le_i64_e32 vcc, s[12:13], v[26:27]
	s_or_b64 s[0:1], vcc, s[18:19]
	s_and_saveexec_b64 s[26:27], s[0:1]
	s_xor_b64 s[0:1], exec, s[26:27]
; %bb.8:                                ;   in Loop: Header=BB1764_3 Depth=1
	ds_write_b32 v13, v6
; %bb.9:                                ;   in Loop: Header=BB1764_3 Depth=1
	s_or_saveexec_b64 s[0:1], s[0:1]
	v_mov_b32_e32 v7, 0
	s_xor_b64 exec, exec, s[0:1]
	s_cbranch_execz .LBB1764_2
; %bb.10:                               ;   in Loop: Header=BB1764_3 Depth=1
	flat_load_dwordx2 v[26:27], v[4:5]
	s_waitcnt vmcnt(0) lgkmcnt(0)
	v_xor_b32_e32 v7, 0x80000000, v27
	ds_write_b32 v13, v26
	s_branch .LBB1764_2
.LBB1764_11:
	v_mov_b32_e32 v24, 0
	v_mov_b32_e32 v25, 0
	;; [unrolled: 1-line block ×8, first 2 shown]
.LBB1764_12:
	v_add_u32_e32 v5, s23, v1
	v_ashrrev_i32_e32 v1, 31, v5
	v_mul_lo_u32 v3, s10, v1
	v_mul_lo_u32 v4, s11, v5
	v_mad_u64_u32 v[1:2], s[0:1], s10, v5, 0
	v_add_u32_e32 v0, s22, v0
	v_cmp_le_i32_e64 s[0:1], v5, v0
	v_add3_u32 v2, v2, v3, v4
	v_lshlrev_b64 v[1:2], 3, v[1:2]
	s_waitcnt lgkmcnt(0)
	v_mov_b32_e32 v3, s9
	v_add_co_u32_e32 v4, vcc, s8, v1
	v_addc_co_u32_e32 v6, vcc, v3, v2, vcc
	v_cmp_gt_i32_e32 vcc, s24, v0
	s_and_b64 s[0:1], s[0:1], vcc
	s_and_saveexec_b64 s[2:3], s[0:1]
	s_cbranch_execz .LBB1764_15
; %bb.13:
	v_ashrrev_i32_e32 v1, 31, v0
	v_lshlrev_b64 v[1:2], 3, v[0:1]
	v_mul_f32_e32 v3, s15, v25
	v_add_co_u32_e64 v1, s[0:1], v4, v1
	v_addc_co_u32_e64 v2, s[0:1], v6, v2, s[0:1]
	flat_load_dwordx2 v[7:8], v[1:2]
	v_mul_f32_e32 v9, s14, v25
	v_fma_f32 v3, v24, s14, -v3
	v_fmac_f32_e32 v9, s15, v24
	v_cmp_eq_u32_e64 s[0:1], v5, v0
	s_waitcnt vmcnt(0) lgkmcnt(0)
	v_mul_f32_e32 v10, s21, v8
	v_mul_f32_e32 v8, s20, v8
	v_fma_f32 v10, v7, s20, -v10
	v_fmac_f32_e32 v8, s21, v7
	v_add_f32_e32 v7, v3, v10
	v_add_f32_e32 v8, v9, v8
	flat_store_dwordx2 v[1:2], v[7:8]
	s_and_b64 exec, exec, s[0:1]
	s_cbranch_execz .LBB1764_15
; %bb.14:
	v_mov_b32_e32 v3, 0
	flat_store_dword v[1:2], v3 offset:4
.LBB1764_15:
	s_or_b64 exec, exec, s[2:3]
	v_add_u32_e32 v2, 16, v0
	v_cmp_le_i32_e64 s[2:3], v5, v2
	v_cmp_gt_i32_e64 s[0:1], s24, v2
	s_and_b64 s[2:3], s[2:3], s[0:1]
	s_and_saveexec_b64 s[4:5], s[2:3]
	s_cbranch_execz .LBB1764_18
; %bb.16:
	v_ashrrev_i32_e32 v3, 31, v2
	v_lshlrev_b64 v[7:8], 3, v[2:3]
	v_mul_f32_e32 v1, s15, v23
	v_add_co_u32_e64 v3, s[2:3], v4, v7
	v_addc_co_u32_e64 v4, s[2:3], v6, v8, s[2:3]
	flat_load_dwordx2 v[6:7], v[3:4]
	v_mul_f32_e32 v8, s14, v23
	v_fma_f32 v1, v22, s14, -v1
	v_fmac_f32_e32 v8, s15, v22
	v_cmp_eq_u32_e64 s[2:3], v5, v2
	s_waitcnt vmcnt(0) lgkmcnt(0)
	v_mul_f32_e32 v9, s21, v7
	v_mul_f32_e32 v7, s20, v7
	v_fma_f32 v9, v6, s20, -v9
	v_fmac_f32_e32 v7, s21, v6
	v_add_f32_e32 v6, v1, v9
	v_add_f32_e32 v7, v8, v7
	flat_store_dwordx2 v[3:4], v[6:7]
	s_and_b64 exec, exec, s[2:3]
	s_cbranch_execz .LBB1764_18
; %bb.17:
	v_mov_b32_e32 v1, 0
	flat_store_dword v[3:4], v1 offset:4
.LBB1764_18:
	s_or_b64 exec, exec, s[4:5]
	v_add_u32_e32 v8, 16, v5
	v_ashrrev_i32_e32 v1, 31, v8
	v_mul_lo_u32 v6, s11, v8
	v_mad_u64_u32 v[3:4], s[2:3], s10, v8, 0
	v_mul_lo_u32 v1, s10, v1
	v_add3_u32 v4, v4, v1, v6
	v_lshlrev_b64 v[3:4], 3, v[3:4]
	v_mov_b32_e32 v1, s9
	v_add_co_u32_e64 v6, s[2:3], s8, v3
	v_addc_co_u32_e64 v7, s[2:3], v1, v4, s[2:3]
	v_cmp_le_i32_e64 s[2:3], v8, v0
	s_and_b64 s[4:5], s[2:3], vcc
	s_and_saveexec_b64 s[2:3], s[4:5]
	s_cbranch_execz .LBB1764_21
; %bb.19:
	v_ashrrev_i32_e32 v1, 31, v0
	v_lshlrev_b64 v[3:4], 3, v[0:1]
	v_mul_f32_e32 v1, s15, v19
	v_add_co_u32_e32 v3, vcc, v6, v3
	v_addc_co_u32_e32 v4, vcc, v7, v4, vcc
	flat_load_dwordx2 v[9:10], v[3:4]
	v_mul_f32_e32 v11, s14, v19
	v_fma_f32 v1, v18, s14, -v1
	v_fmac_f32_e32 v11, s15, v18
	v_cmp_eq_u32_e32 vcc, v8, v0
	s_waitcnt vmcnt(0) lgkmcnt(0)
	v_mul_f32_e32 v12, s21, v10
	v_mul_f32_e32 v10, s20, v10
	v_fma_f32 v12, v9, s20, -v12
	v_fmac_f32_e32 v10, s21, v9
	v_add_f32_e32 v9, v1, v12
	v_add_f32_e32 v10, v11, v10
	flat_store_dwordx2 v[3:4], v[9:10]
	s_and_b64 exec, exec, vcc
	s_cbranch_execz .LBB1764_21
; %bb.20:
	v_mov_b32_e32 v1, 0
	flat_store_dword v[3:4], v1 offset:4
.LBB1764_21:
	s_or_b64 exec, exec, s[2:3]
	v_cmp_le_i32_e32 vcc, v8, v2
	s_and_b64 s[0:1], vcc, s[0:1]
	s_and_saveexec_b64 s[2:3], s[0:1]
	s_cbranch_execz .LBB1764_24
; %bb.22:
	v_ashrrev_i32_e32 v3, 31, v2
	v_lshlrev_b64 v[1:2], 3, v[2:3]
	v_add_co_u32_e32 v1, vcc, v6, v1
	v_addc_co_u32_e32 v2, vcc, v7, v2, vcc
	flat_load_dwordx2 v[3:4], v[1:2]
	v_mul_f32_e32 v6, s15, v21
	v_mul_f32_e32 v7, s14, v21
	v_fma_f32 v6, v20, s14, -v6
	v_fmac_f32_e32 v7, s15, v20
	v_cmp_eq_u32_e32 vcc, v5, v0
	s_waitcnt vmcnt(0) lgkmcnt(0)
	v_mul_f32_e32 v8, s21, v4
	v_mul_f32_e32 v4, s20, v4
	v_fma_f32 v8, v3, s20, -v8
	v_fmac_f32_e32 v4, s21, v3
	v_add_f32_e32 v3, v6, v8
	v_add_f32_e32 v4, v7, v4
	flat_store_dwordx2 v[1:2], v[3:4]
	s_and_b64 exec, exec, vcc
	s_cbranch_execz .LBB1764_24
; %bb.23:
	v_mov_b32_e32 v0, 0
	flat_store_dword v[1:2], v0 offset:4
.LBB1764_24:
	s_endpgm
	.section	.rodata,"a",@progbits
	.p2align	6, 0x0
	.amdhsa_kernel _ZL34rocblas_syrkx_herkx_general_kernelIl19rocblas_complex_numIfELi16ELi32ELi8ELb0ELb1ELc78ELc76EKPKS1_KPS1_EviT_T0_PT8_S7_lSA_S7_lS8_PT9_S7_li
		.amdhsa_group_segment_fixed_size 4096
		.amdhsa_private_segment_fixed_size 0
		.amdhsa_kernarg_size 108
		.amdhsa_user_sgpr_count 6
		.amdhsa_user_sgpr_private_segment_buffer 1
		.amdhsa_user_sgpr_dispatch_ptr 0
		.amdhsa_user_sgpr_queue_ptr 0
		.amdhsa_user_sgpr_kernarg_segment_ptr 1
		.amdhsa_user_sgpr_dispatch_id 0
		.amdhsa_user_sgpr_flat_scratch_init 0
		.amdhsa_user_sgpr_private_segment_size 0
		.amdhsa_uses_dynamic_stack 0
		.amdhsa_system_sgpr_private_segment_wavefront_offset 0
		.amdhsa_system_sgpr_workgroup_id_x 1
		.amdhsa_system_sgpr_workgroup_id_y 1
		.amdhsa_system_sgpr_workgroup_id_z 1
		.amdhsa_system_sgpr_workgroup_info 0
		.amdhsa_system_vgpr_workitem_id 1
		.amdhsa_next_free_vgpr 48
		.amdhsa_next_free_sgpr 28
		.amdhsa_reserve_vcc 1
		.amdhsa_reserve_flat_scratch 0
		.amdhsa_float_round_mode_32 0
		.amdhsa_float_round_mode_16_64 0
		.amdhsa_float_denorm_mode_32 3
		.amdhsa_float_denorm_mode_16_64 3
		.amdhsa_dx10_clamp 1
		.amdhsa_ieee_mode 1
		.amdhsa_fp16_overflow 0
		.amdhsa_exception_fp_ieee_invalid_op 0
		.amdhsa_exception_fp_denorm_src 0
		.amdhsa_exception_fp_ieee_div_zero 0
		.amdhsa_exception_fp_ieee_overflow 0
		.amdhsa_exception_fp_ieee_underflow 0
		.amdhsa_exception_fp_ieee_inexact 0
		.amdhsa_exception_int_div_zero 0
	.end_amdhsa_kernel
	.section	.text._ZL34rocblas_syrkx_herkx_general_kernelIl19rocblas_complex_numIfELi16ELi32ELi8ELb0ELb1ELc78ELc76EKPKS1_KPS1_EviT_T0_PT8_S7_lSA_S7_lS8_PT9_S7_li,"axG",@progbits,_ZL34rocblas_syrkx_herkx_general_kernelIl19rocblas_complex_numIfELi16ELi32ELi8ELb0ELb1ELc78ELc76EKPKS1_KPS1_EviT_T0_PT8_S7_lSA_S7_lS8_PT9_S7_li,comdat
.Lfunc_end1764:
	.size	_ZL34rocblas_syrkx_herkx_general_kernelIl19rocblas_complex_numIfELi16ELi32ELi8ELb0ELb1ELc78ELc76EKPKS1_KPS1_EviT_T0_PT8_S7_lSA_S7_lS8_PT9_S7_li, .Lfunc_end1764-_ZL34rocblas_syrkx_herkx_general_kernelIl19rocblas_complex_numIfELi16ELi32ELi8ELb0ELb1ELc78ELc76EKPKS1_KPS1_EviT_T0_PT8_S7_lSA_S7_lS8_PT9_S7_li
                                        ; -- End function
	.set _ZL34rocblas_syrkx_herkx_general_kernelIl19rocblas_complex_numIfELi16ELi32ELi8ELb0ELb1ELc78ELc76EKPKS1_KPS1_EviT_T0_PT8_S7_lSA_S7_lS8_PT9_S7_li.num_vgpr, 48
	.set _ZL34rocblas_syrkx_herkx_general_kernelIl19rocblas_complex_numIfELi16ELi32ELi8ELb0ELb1ELc78ELc76EKPKS1_KPS1_EviT_T0_PT8_S7_lSA_S7_lS8_PT9_S7_li.num_agpr, 0
	.set _ZL34rocblas_syrkx_herkx_general_kernelIl19rocblas_complex_numIfELi16ELi32ELi8ELb0ELb1ELc78ELc76EKPKS1_KPS1_EviT_T0_PT8_S7_lSA_S7_lS8_PT9_S7_li.numbered_sgpr, 28
	.set _ZL34rocblas_syrkx_herkx_general_kernelIl19rocblas_complex_numIfELi16ELi32ELi8ELb0ELb1ELc78ELc76EKPKS1_KPS1_EviT_T0_PT8_S7_lSA_S7_lS8_PT9_S7_li.num_named_barrier, 0
	.set _ZL34rocblas_syrkx_herkx_general_kernelIl19rocblas_complex_numIfELi16ELi32ELi8ELb0ELb1ELc78ELc76EKPKS1_KPS1_EviT_T0_PT8_S7_lSA_S7_lS8_PT9_S7_li.private_seg_size, 0
	.set _ZL34rocblas_syrkx_herkx_general_kernelIl19rocblas_complex_numIfELi16ELi32ELi8ELb0ELb1ELc78ELc76EKPKS1_KPS1_EviT_T0_PT8_S7_lSA_S7_lS8_PT9_S7_li.uses_vcc, 1
	.set _ZL34rocblas_syrkx_herkx_general_kernelIl19rocblas_complex_numIfELi16ELi32ELi8ELb0ELb1ELc78ELc76EKPKS1_KPS1_EviT_T0_PT8_S7_lSA_S7_lS8_PT9_S7_li.uses_flat_scratch, 0
	.set _ZL34rocblas_syrkx_herkx_general_kernelIl19rocblas_complex_numIfELi16ELi32ELi8ELb0ELb1ELc78ELc76EKPKS1_KPS1_EviT_T0_PT8_S7_lSA_S7_lS8_PT9_S7_li.has_dyn_sized_stack, 0
	.set _ZL34rocblas_syrkx_herkx_general_kernelIl19rocblas_complex_numIfELi16ELi32ELi8ELb0ELb1ELc78ELc76EKPKS1_KPS1_EviT_T0_PT8_S7_lSA_S7_lS8_PT9_S7_li.has_recursion, 0
	.set _ZL34rocblas_syrkx_herkx_general_kernelIl19rocblas_complex_numIfELi16ELi32ELi8ELb0ELb1ELc78ELc76EKPKS1_KPS1_EviT_T0_PT8_S7_lSA_S7_lS8_PT9_S7_li.has_indirect_call, 0
	.section	.AMDGPU.csdata,"",@progbits
; Kernel info:
; codeLenInByte = 2496
; TotalNumSgprs: 32
; NumVgprs: 48
; ScratchSize: 0
; MemoryBound: 1
; FloatMode: 240
; IeeeMode: 1
; LDSByteSize: 4096 bytes/workgroup (compile time only)
; SGPRBlocks: 3
; VGPRBlocks: 11
; NumSGPRsForWavesPerEU: 32
; NumVGPRsForWavesPerEU: 48
; Occupancy: 5
; WaveLimiterHint : 1
; COMPUTE_PGM_RSRC2:SCRATCH_EN: 0
; COMPUTE_PGM_RSRC2:USER_SGPR: 6
; COMPUTE_PGM_RSRC2:TRAP_HANDLER: 0
; COMPUTE_PGM_RSRC2:TGID_X_EN: 1
; COMPUTE_PGM_RSRC2:TGID_Y_EN: 1
; COMPUTE_PGM_RSRC2:TGID_Z_EN: 1
; COMPUTE_PGM_RSRC2:TIDIG_COMP_CNT: 1
	.section	.text._ZL34rocblas_syrkx_herkx_general_kernelIl19rocblas_complex_numIfELi16ELi32ELi8ELb0ELb1ELc84ELc85EKPKS1_KPS1_EviT_T0_PT8_S7_lSA_S7_lS8_PT9_S7_li,"axG",@progbits,_ZL34rocblas_syrkx_herkx_general_kernelIl19rocblas_complex_numIfELi16ELi32ELi8ELb0ELb1ELc84ELc85EKPKS1_KPS1_EviT_T0_PT8_S7_lSA_S7_lS8_PT9_S7_li,comdat
	.globl	_ZL34rocblas_syrkx_herkx_general_kernelIl19rocblas_complex_numIfELi16ELi32ELi8ELb0ELb1ELc84ELc85EKPKS1_KPS1_EviT_T0_PT8_S7_lSA_S7_lS8_PT9_S7_li ; -- Begin function _ZL34rocblas_syrkx_herkx_general_kernelIl19rocblas_complex_numIfELi16ELi32ELi8ELb0ELb1ELc84ELc85EKPKS1_KPS1_EviT_T0_PT8_S7_lSA_S7_lS8_PT9_S7_li
	.p2align	8
	.type	_ZL34rocblas_syrkx_herkx_general_kernelIl19rocblas_complex_numIfELi16ELi32ELi8ELb0ELb1ELc84ELc85EKPKS1_KPS1_EviT_T0_PT8_S7_lSA_S7_lS8_PT9_S7_li,@function
_ZL34rocblas_syrkx_herkx_general_kernelIl19rocblas_complex_numIfELi16ELi32ELi8ELb0ELb1ELc84ELc85EKPKS1_KPS1_EviT_T0_PT8_S7_lSA_S7_lS8_PT9_S7_li: ; @_ZL34rocblas_syrkx_herkx_general_kernelIl19rocblas_complex_numIfELi16ELi32ELi8ELb0ELb1ELc84ELc85EKPKS1_KPS1_EviT_T0_PT8_S7_lSA_S7_lS8_PT9_S7_li
; %bb.0:
	s_load_dwordx2 s[10:11], s[4:5], 0x58
	s_load_dwordx4 s[20:23], s[4:5], 0x48
	s_load_dword s24, s[4:5], 0x0
	s_load_dwordx8 s[12:19], s[4:5], 0x8
	s_mov_b32 s9, 0
	s_lshl_b64 s[0:1], s[8:9], 3
	s_waitcnt lgkmcnt(0)
	s_add_u32 s2, s22, s0
	s_addc_u32 s3, s23, s1
	s_load_dwordx2 s[8:9], s[2:3], 0x0
	v_cmp_lt_i64_e64 s[2:3], s[12:13], 1
	s_lshl_b32 s22, s6, 5
	s_lshl_b32 s23, s7, 5
	s_and_b64 vcc, exec, s[2:3]
	s_cbranch_vccnz .LBB1765_11
; %bb.1:
	s_load_dwordx4 s[4:7], s[4:5], 0x30
	v_lshl_add_u32 v2, v1, 4, v0
	v_and_b32_e32 v5, 31, v2
	v_or_b32_e32 v6, s22, v5
	v_and_b32_e32 v11, 7, v0
	v_lshrrev_b32_e32 v3, 3, v2
	v_lshrrev_b32_e32 v10, 5, v2
	v_cmp_gt_i32_e32 vcc, s24, v6
	v_lshlrev_b32_e32 v2, 3, v5
	v_lshlrev_b32_e32 v6, 3, v11
	v_lshl_or_b32 v12, v10, 8, v2
	v_lshl_or_b32 v2, v3, 6, v6
	s_waitcnt lgkmcnt(0)
	s_add_u32 s2, s4, s0
	v_add_u32_e32 v13, 0x800, v2
	v_add_u32_e32 v2, s22, v5
	;; [unrolled: 1-line block ×3, first 2 shown]
	s_addc_u32 s3, s5, s1
	v_ashrrev_i32_e32 v3, 31, v2
	s_load_dwordx2 s[4:5], s[2:3], 0x0
	v_mul_lo_u32 v5, s18, v3
	v_mul_lo_u32 v8, s19, v2
	v_mad_u64_u32 v[2:3], s[2:3], s18, v2, 0
	s_add_u32 s0, s16, s0
	s_addc_u32 s1, s17, s1
	v_add3_u32 v3, v3, v5, v8
	v_lshlrev_b64 v[2:3], 3, v[2:3]
	v_lshlrev_b32_e32 v5, 3, v10
	v_ashrrev_i32_e32 v7, 31, v4
	v_mov_b32_e32 v9, 0x800
	v_add_co_u32_e64 v2, s[2:3], v2, v5
	s_load_dwordx2 s[16:17], s[0:1], 0x0
	v_cmp_gt_i32_e64 s[0:1], s24, v4
	v_lshl_add_u32 v15, v1, 6, v9
	v_addc_co_u32_e64 v3, s[2:3], 0, v3, s[2:3]
	v_mul_lo_u32 v7, s6, v7
	v_mul_lo_u32 v9, s7, v4
	v_mad_u64_u32 v[4:5], s[2:3], s6, v4, 0
	s_waitcnt lgkmcnt(0)
	v_mov_b32_e32 v8, s17
	v_add_co_u32_e64 v2, s[2:3], s16, v2
	v_add3_u32 v5, v5, v7, v9
	v_lshlrev_b64 v[4:5], 3, v[4:5]
	v_addc_co_u32_e64 v3, s[2:3], v8, v3, s[2:3]
	v_add_co_u32_e64 v4, s[2:3], v4, v6
	v_addc_co_u32_e64 v5, s[2:3], 0, v5, s[2:3]
	v_mov_b32_e32 v6, s5
	v_add_co_u32_e64 v4, s[2:3], s4, v4
	v_addc_co_u32_e64 v5, s[2:3], v6, v5, s[2:3]
	v_mov_b32_e32 v8, s12
	v_lshlrev_b32_e32 v14, 3, v0
	s_mov_b64 s[2:3], 0
	s_xor_b64 s[4:5], vcc, -1
	s_xor_b64 s[6:7], s[0:1], -1
	v_mov_b32_e32 v19, 0
	v_mov_b32_e32 v18, 0
	;; [unrolled: 1-line block ×10, first 2 shown]
	s_branch .LBB1765_3
.LBB1765_2:                             ;   in Loop: Header=BB1765_3 Depth=1
	s_or_b64 exec, exec, s[0:1]
	s_waitcnt lgkmcnt(0)
	s_barrier
	ds_read2_b64 v[24:27], v14 offset1:16
	ds_read_b128 v[28:31], v15
	ds_read_b128 v[32:35], v15 offset:16
	s_add_u32 s2, s2, 8
	v_add_co_u32_e32 v2, vcc, 64, v2
	s_waitcnt lgkmcnt(1)
	v_mul_f32_e32 v36, v28, v25
	v_fmac_f32_e32 v36, v29, v24
	v_add_f32_e32 v44, v22, v36
	ds_read_b128 v[36:39], v15 offset:1024
	v_mul_f32_e32 v7, v29, v25
	v_fma_f32 v7, v28, v24, -v7
	v_add_f32_e32 v7, v20, v7
	v_mul_f32_e32 v20, v29, v27
	v_mul_f32_e32 v22, v28, v27
	v_fma_f32 v20, v28, v26, -v20
	v_fmac_f32_e32 v22, v29, v26
	v_add_f32_e32 v28, v21, v20
	v_add_f32_e32 v29, v23, v22
	ds_read_b128 v[20:23], v15 offset:1040
	s_waitcnt lgkmcnt(1)
	v_mul_f32_e32 v40, v37, v25
	v_fma_f32 v40, v36, v24, -v40
	v_add_f32_e32 v45, v16, v40
	ds_read2_b64 v[40:43], v14 offset0:32 offset1:48
	v_mul_f32_e32 v25, v36, v25
	v_mul_f32_e32 v16, v37, v27
	v_fmac_f32_e32 v25, v37, v24
	v_fma_f32 v16, v36, v26, -v16
	v_add_f32_e32 v46, v17, v25
	v_mul_f32_e32 v17, v36, v27
	v_add_f32_e32 v36, v18, v16
	s_waitcnt lgkmcnt(0)
	v_mul_f32_e32 v16, v31, v41
	v_fma_f32 v47, v30, v40, -v16
	v_mul_f32_e32 v16, v31, v43
	v_fma_f32 v49, v30, v42, -v16
	v_mul_f32_e32 v48, v30, v41
	v_mul_f32_e32 v30, v30, v43
	v_add_f32_e32 v7, v7, v47
	v_add_f32_e32 v47, v28, v49
	v_mul_f32_e32 v28, v39, v41
	v_fmac_f32_e32 v17, v37, v26
	v_fmac_f32_e32 v48, v31, v40
	;; [unrolled: 1-line block ×3, first 2 shown]
	v_fma_f32 v49, v38, v40, -v28
	v_mul_f32_e32 v41, v38, v41
	v_mul_f32_e32 v28, v39, v43
	v_add_f32_e32 v37, v19, v17
	ds_read_b128 v[16:19], v15 offset:32
	ds_read_b128 v[24:27], v15 offset:48
	v_add_f32_e32 v44, v44, v48
	v_add_f32_e32 v48, v29, v30
	v_fmac_f32_e32 v41, v39, v40
	v_fma_f32 v40, v38, v42, -v28
	ds_read2_b64 v[28:31], v14 offset0:64 offset1:80
	v_add_f32_e32 v40, v36, v40
	v_mul_f32_e32 v38, v38, v43
	v_fmac_f32_e32 v38, v39, v42
	v_add_f32_e32 v42, v37, v38
	s_waitcnt lgkmcnt(0)
	v_mul_f32_e32 v36, v33, v29
	v_fma_f32 v36, v32, v28, -v36
	v_add_f32_e32 v7, v7, v36
	v_mul_f32_e32 v36, v33, v31
	v_mul_f32_e32 v37, v32, v29
	v_fma_f32 v36, v32, v30, -v36
	v_mul_f32_e32 v32, v32, v31
	v_fmac_f32_e32 v37, v33, v28
	v_fmac_f32_e32 v32, v33, v30
	v_add_f32_e32 v33, v47, v36
	v_mul_f32_e32 v36, v21, v29
	v_add_f32_e32 v39, v45, v49
	v_fma_f32 v36, v20, v28, -v36
	v_mul_f32_e32 v29, v20, v29
	v_add_f32_e32 v41, v46, v41
	v_fmac_f32_e32 v29, v21, v28
	v_add_f32_e32 v28, v39, v36
	v_mul_f32_e32 v36, v21, v31
	v_add_f32_e32 v43, v44, v37
	v_add_f32_e32 v29, v41, v29
	v_fma_f32 v41, v20, v30, -v36
	ds_read2_b64 v[36:39], v14 offset0:96 offset1:112
	v_mul_f32_e32 v20, v20, v31
	v_fmac_f32_e32 v20, v21, v30
	v_add_f32_e32 v21, v40, v41
	v_add_f32_e32 v32, v48, v32
	s_waitcnt lgkmcnt(0)
	v_mul_f32_e32 v30, v35, v37
	v_fma_f32 v30, v34, v36, -v30
	v_mul_f32_e32 v31, v34, v37
	v_fmac_f32_e32 v31, v35, v36
	v_add_f32_e32 v7, v7, v30
	v_mul_f32_e32 v30, v35, v39
	v_add_f32_e32 v40, v43, v31
	v_fma_f32 v30, v34, v38, -v30
	v_mul_f32_e32 v31, v34, v39
	v_fmac_f32_e32 v31, v35, v38
	v_add_f32_e32 v33, v33, v30
	v_mul_f32_e32 v30, v23, v37
	v_add_f32_e32 v32, v32, v31
	v_fma_f32 v30, v22, v36, -v30
	v_mul_f32_e32 v31, v22, v37
	v_fmac_f32_e32 v31, v23, v36
	v_add_f32_e32 v36, v28, v30
	v_mul_f32_e32 v28, v23, v39
	v_add_f32_e32 v37, v29, v31
	v_fma_f32 v34, v22, v38, -v28
	ds_read2_b64 v[28:31], v14 offset0:128 offset1:144
	v_mul_f32_e32 v22, v22, v39
	v_add_f32_e32 v20, v42, v20
	v_fmac_f32_e32 v22, v23, v38
	v_add_f32_e32 v42, v20, v22
	s_waitcnt lgkmcnt(0)
	v_mul_f32_e32 v20, v17, v29
	v_add_f32_e32 v41, v21, v34
	v_fma_f32 v20, v16, v28, -v20
	v_mul_f32_e32 v21, v16, v29
	v_fmac_f32_e32 v21, v17, v28
	v_add_f32_e32 v7, v7, v20
	v_mul_f32_e32 v20, v17, v31
	v_add_f32_e32 v40, v40, v21
	v_fma_f32 v34, v16, v30, -v20
	ds_read_b128 v[20:23], v15 offset:1056
	v_mul_f32_e32 v16, v16, v31
	v_fmac_f32_e32 v16, v17, v30
	v_add_f32_e32 v17, v33, v34
	v_add_f32_e32 v16, v32, v16
	ds_read_b128 v[32:35], v15 offset:1072
	s_waitcnt lgkmcnt(1)
	v_mul_f32_e32 v38, v21, v29
	v_fma_f32 v38, v20, v28, -v38
	v_mul_f32_e32 v29, v20, v29
	v_fmac_f32_e32 v29, v21, v28
	v_add_f32_e32 v28, v36, v38
	v_mul_f32_e32 v36, v21, v31
	v_add_f32_e32 v29, v37, v29
	v_fma_f32 v43, v20, v30, -v36
	ds_read2_b64 v[36:39], v14 offset0:160 offset1:176
	v_mul_f32_e32 v20, v20, v31
	v_fmac_f32_e32 v20, v21, v30
	v_add_f32_e32 v20, v42, v20
	v_add_f32_e32 v21, v41, v43
	s_waitcnt lgkmcnt(0)
	v_mul_f32_e32 v30, v19, v37
	v_mul_f32_e32 v31, v18, v37
	v_fma_f32 v30, v18, v36, -v30
	v_fmac_f32_e32 v31, v19, v36
	v_add_f32_e32 v7, v7, v30
	v_add_f32_e32 v30, v40, v31
	v_mul_f32_e32 v31, v19, v39
	v_fma_f32 v31, v18, v38, -v31
	v_mul_f32_e32 v18, v18, v39
	v_fmac_f32_e32 v18, v19, v38
	v_add_f32_e32 v40, v16, v18
	v_mul_f32_e32 v16, v23, v37
	v_add_f32_e32 v31, v17, v31
	v_fma_f32 v16, v22, v36, -v16
	v_mul_f32_e32 v17, v22, v37
	v_fmac_f32_e32 v17, v23, v36
	v_add_f32_e32 v28, v28, v16
	v_mul_f32_e32 v16, v23, v39
	v_add_f32_e32 v29, v29, v17
	v_fma_f32 v36, v22, v38, -v16
	ds_read2_b64 v[16:19], v14 offset0:192 offset1:208
	v_mul_f32_e32 v22, v22, v39
	v_fmac_f32_e32 v22, v23, v38
	v_add_f32_e32 v20, v20, v22
	v_add_f32_e32 v21, v21, v36
	s_waitcnt lgkmcnt(0)
	v_mul_f32_e32 v22, v25, v17
	v_mul_f32_e32 v23, v24, v17
	v_fma_f32 v22, v24, v16, -v22
	v_fmac_f32_e32 v23, v25, v16
	v_add_f32_e32 v7, v7, v22
	v_add_f32_e32 v22, v30, v23
	v_mul_f32_e32 v23, v25, v19
	v_fma_f32 v23, v24, v18, -v23
	v_mul_f32_e32 v24, v24, v19
	v_fmac_f32_e32 v24, v25, v18
	v_mul_f32_e32 v25, v33, v17
	v_mul_f32_e32 v17, v32, v17
	v_fma_f32 v25, v32, v16, -v25
	v_fmac_f32_e32 v17, v33, v16
	v_add_f32_e32 v23, v31, v23
	v_add_f32_e32 v16, v28, v25
	;; [unrolled: 1-line block ×3, first 2 shown]
	ds_read2_b64 v[28:31], v14 offset0:224 offset1:240
	v_mul_f32_e32 v25, v33, v19
	v_mul_f32_e32 v19, v32, v19
	v_fmac_f32_e32 v19, v33, v18
	v_add_f32_e32 v19, v20, v19
	s_waitcnt lgkmcnt(0)
	v_mul_f32_e32 v20, v27, v29
	v_fma_f32 v25, v32, v18, -v25
	v_fma_f32 v20, v26, v28, -v20
	v_add_f32_e32 v18, v21, v25
	v_mul_f32_e32 v21, v26, v29
	v_add_f32_e32 v20, v7, v20
	v_mul_f32_e32 v7, v27, v31
	v_mul_f32_e32 v25, v26, v31
	v_add_f32_e32 v24, v40, v24
	v_fmac_f32_e32 v21, v27, v28
	v_fma_f32 v7, v26, v30, -v7
	v_fmac_f32_e32 v25, v27, v30
	v_add_f32_e32 v22, v22, v21
	v_add_f32_e32 v21, v23, v7
	;; [unrolled: 1-line block ×3, first 2 shown]
	v_mul_f32_e32 v7, v35, v29
	v_mul_f32_e32 v24, v34, v29
	v_fma_f32 v7, v34, v28, -v7
	v_fmac_f32_e32 v24, v35, v28
	s_addc_u32 s3, s3, 0
	v_addc_co_u32_e32 v3, vcc, 0, v3, vcc
	v_add_f32_e32 v16, v16, v7
	v_add_f32_e32 v17, v17, v24
	v_mul_f32_e32 v7, v35, v31
	v_mul_f32_e32 v24, v34, v31
	v_cmp_ge_i64_e32 vcc, s[2:3], v[8:9]
	v_fma_f32 v7, v34, v30, -v7
	v_fmac_f32_e32 v24, v35, v30
	v_add_co_u32_e64 v4, s[0:1], 64, v4
	v_add_f32_e32 v18, v18, v7
	v_add_f32_e32 v19, v19, v24
	v_addc_co_u32_e64 v5, s[0:1], 0, v5, s[0:1]
	s_barrier
	s_cbranch_vccnz .LBB1765_12
.LBB1765_3:                             ; =>This Inner Loop Header: Depth=1
	v_mov_b32_e32 v7, s3
	v_add_co_u32_e32 v24, vcc, s2, v10
	v_addc_co_u32_e32 v25, vcc, 0, v7, vcc
	v_cmp_le_i64_e32 vcc, s[12:13], v[24:25]
	s_or_b64 s[0:1], s[4:5], vcc
	s_and_saveexec_b64 s[16:17], s[0:1]
	s_xor_b64 s[0:1], exec, s[16:17]
; %bb.4:                                ;   in Loop: Header=BB1765_3 Depth=1
	v_mov_b32_e32 v7, v6
	ds_write_b64 v12, v[6:7]
; %bb.5:                                ;   in Loop: Header=BB1765_3 Depth=1
	s_andn2_saveexec_b64 s[0:1], s[0:1]
	s_cbranch_execz .LBB1765_7
; %bb.6:                                ;   in Loop: Header=BB1765_3 Depth=1
	flat_load_dwordx2 v[24:25], v[2:3]
	s_waitcnt vmcnt(0) lgkmcnt(0)
	ds_write_b64 v12, v[24:25]
.LBB1765_7:                             ;   in Loop: Header=BB1765_3 Depth=1
	s_or_b64 exec, exec, s[0:1]
	v_mov_b32_e32 v7, s3
	v_add_co_u32_e32 v24, vcc, s2, v11
	v_addc_co_u32_e32 v25, vcc, 0, v7, vcc
	v_cmp_le_i64_e32 vcc, s[12:13], v[24:25]
	s_or_b64 s[0:1], vcc, s[6:7]
	s_and_saveexec_b64 s[16:17], s[0:1]
	s_xor_b64 s[0:1], exec, s[16:17]
; %bb.8:                                ;   in Loop: Header=BB1765_3 Depth=1
	v_mov_b32_e32 v7, v6
	ds_write_b64 v13, v[6:7]
; %bb.9:                                ;   in Loop: Header=BB1765_3 Depth=1
	s_andn2_saveexec_b64 s[0:1], s[0:1]
	s_cbranch_execz .LBB1765_2
; %bb.10:                               ;   in Loop: Header=BB1765_3 Depth=1
	flat_load_dwordx2 v[24:25], v[4:5]
	s_waitcnt vmcnt(0) lgkmcnt(0)
	ds_write_b64 v13, v[24:25]
	s_branch .LBB1765_2
.LBB1765_11:
	v_mov_b32_e32 v20, 0
	v_mov_b32_e32 v22, 0
	;; [unrolled: 1-line block ×8, first 2 shown]
.LBB1765_12:
	v_add_u32_e32 v5, s23, v1
	v_ashrrev_i32_e32 v1, 31, v5
	v_mul_lo_u32 v3, s10, v1
	v_mul_lo_u32 v4, s11, v5
	v_mad_u64_u32 v[1:2], s[0:1], s10, v5, 0
	v_add_u32_e32 v0, s22, v0
	v_cmp_gt_i32_e32 vcc, s24, v5
	v_add3_u32 v2, v2, v3, v4
	v_lshlrev_b64 v[1:2], 3, v[1:2]
	s_waitcnt lgkmcnt(0)
	v_mov_b32_e32 v3, s9
	v_add_co_u32_e64 v4, s[0:1], s8, v1
	v_addc_co_u32_e64 v6, s[0:1], v3, v2, s[0:1]
	v_cmp_le_i32_e64 s[0:1], v0, v5
	s_and_b64 s[0:1], vcc, s[0:1]
	s_and_saveexec_b64 s[2:3], s[0:1]
	s_cbranch_execz .LBB1765_15
; %bb.13:
	v_ashrrev_i32_e32 v1, 31, v0
	v_lshlrev_b64 v[1:2], 3, v[0:1]
	v_mul_f32_e32 v3, s15, v22
	v_add_co_u32_e64 v1, s[0:1], v4, v1
	v_addc_co_u32_e64 v2, s[0:1], v6, v2, s[0:1]
	flat_load_dwordx2 v[7:8], v[1:2]
	v_mul_f32_e32 v9, s14, v22
	v_fma_f32 v3, v20, s14, -v3
	v_fmac_f32_e32 v9, s15, v20
	v_cmp_eq_u32_e64 s[0:1], v5, v0
	s_waitcnt vmcnt(0) lgkmcnt(0)
	v_mul_f32_e32 v10, s21, v8
	v_mul_f32_e32 v8, s20, v8
	v_fma_f32 v10, v7, s20, -v10
	v_fmac_f32_e32 v8, s21, v7
	v_add_f32_e32 v7, v3, v10
	v_add_f32_e32 v8, v9, v8
	flat_store_dwordx2 v[1:2], v[7:8]
	s_and_b64 exec, exec, s[0:1]
	s_cbranch_execz .LBB1765_15
; %bb.14:
	v_mov_b32_e32 v3, 0
	flat_store_dword v[1:2], v3 offset:4
.LBB1765_15:
	s_or_b64 exec, exec, s[2:3]
	v_add_u32_e32 v2, 16, v0
	v_cmp_le_i32_e64 s[0:1], v2, v5
	s_and_b64 s[2:3], vcc, s[0:1]
	s_and_saveexec_b64 s[0:1], s[2:3]
	s_cbranch_execz .LBB1765_18
; %bb.16:
	v_ashrrev_i32_e32 v3, 31, v2
	v_lshlrev_b64 v[7:8], 3, v[2:3]
	v_mul_f32_e32 v1, s15, v23
	v_add_co_u32_e32 v3, vcc, v4, v7
	v_addc_co_u32_e32 v4, vcc, v6, v8, vcc
	flat_load_dwordx2 v[6:7], v[3:4]
	v_mul_f32_e32 v8, s14, v23
	v_fma_f32 v1, v21, s14, -v1
	v_fmac_f32_e32 v8, s15, v21
	v_cmp_eq_u32_e32 vcc, v5, v2
	s_waitcnt vmcnt(0) lgkmcnt(0)
	v_mul_f32_e32 v9, s21, v7
	v_mul_f32_e32 v7, s20, v7
	v_fma_f32 v9, v6, s20, -v9
	v_fmac_f32_e32 v7, s21, v6
	v_add_f32_e32 v6, v1, v9
	v_add_f32_e32 v7, v8, v7
	flat_store_dwordx2 v[3:4], v[6:7]
	s_and_b64 exec, exec, vcc
	s_cbranch_execz .LBB1765_18
; %bb.17:
	v_mov_b32_e32 v1, 0
	flat_store_dword v[3:4], v1 offset:4
.LBB1765_18:
	s_or_b64 exec, exec, s[0:1]
	v_add_u32_e32 v8, 16, v5
	v_ashrrev_i32_e32 v1, 31, v8
	v_mul_lo_u32 v1, s10, v1
	v_mul_lo_u32 v6, s11, v8
	v_mad_u64_u32 v[3:4], s[0:1], s10, v8, 0
	v_cmp_gt_i32_e32 vcc, s24, v8
	v_add3_u32 v4, v4, v1, v6
	v_lshlrev_b64 v[3:4], 3, v[3:4]
	v_mov_b32_e32 v1, s9
	v_add_co_u32_e64 v6, s[0:1], s8, v3
	v_addc_co_u32_e64 v7, s[0:1], v1, v4, s[0:1]
	v_cmp_le_i32_e64 s[0:1], v0, v8
	s_and_b64 s[0:1], vcc, s[0:1]
	s_and_saveexec_b64 s[2:3], s[0:1]
	s_cbranch_execz .LBB1765_21
; %bb.19:
	v_ashrrev_i32_e32 v1, 31, v0
	v_lshlrev_b64 v[3:4], 3, v[0:1]
	v_mul_f32_e32 v1, s15, v17
	v_add_co_u32_e64 v3, s[0:1], v6, v3
	v_addc_co_u32_e64 v4, s[0:1], v7, v4, s[0:1]
	flat_load_dwordx2 v[9:10], v[3:4]
	v_mul_f32_e32 v11, s14, v17
	v_fma_f32 v1, v16, s14, -v1
	v_fmac_f32_e32 v11, s15, v16
	v_cmp_eq_u32_e64 s[0:1], v8, v0
	s_waitcnt vmcnt(0) lgkmcnt(0)
	v_mul_f32_e32 v12, s21, v10
	v_mul_f32_e32 v10, s20, v10
	v_fma_f32 v12, v9, s20, -v12
	v_fmac_f32_e32 v10, s21, v9
	v_add_f32_e32 v9, v1, v12
	v_add_f32_e32 v10, v11, v10
	flat_store_dwordx2 v[3:4], v[9:10]
	s_and_b64 exec, exec, s[0:1]
	s_cbranch_execz .LBB1765_21
; %bb.20:
	v_mov_b32_e32 v1, 0
	flat_store_dword v[3:4], v1 offset:4
.LBB1765_21:
	s_or_b64 exec, exec, s[2:3]
	v_cmp_le_i32_e64 s[0:1], v2, v8
	s_and_b64 s[0:1], vcc, s[0:1]
	s_and_saveexec_b64 s[2:3], s[0:1]
	s_cbranch_execz .LBB1765_24
; %bb.22:
	v_ashrrev_i32_e32 v3, 31, v2
	v_lshlrev_b64 v[1:2], 3, v[2:3]
	v_add_co_u32_e32 v1, vcc, v6, v1
	v_addc_co_u32_e32 v2, vcc, v7, v2, vcc
	flat_load_dwordx2 v[3:4], v[1:2]
	v_mul_f32_e32 v6, s15, v19
	v_mul_f32_e32 v7, s14, v19
	v_fma_f32 v6, v18, s14, -v6
	v_fmac_f32_e32 v7, s15, v18
	v_cmp_eq_u32_e32 vcc, v5, v0
	s_waitcnt vmcnt(0) lgkmcnt(0)
	v_mul_f32_e32 v8, s21, v4
	v_mul_f32_e32 v4, s20, v4
	v_fma_f32 v8, v3, s20, -v8
	v_fmac_f32_e32 v4, s21, v3
	v_add_f32_e32 v3, v6, v8
	v_add_f32_e32 v4, v7, v4
	flat_store_dwordx2 v[1:2], v[3:4]
	s_and_b64 exec, exec, vcc
	s_cbranch_execz .LBB1765_24
; %bb.23:
	v_mov_b32_e32 v0, 0
	flat_store_dword v[1:2], v0 offset:4
.LBB1765_24:
	s_endpgm
	.section	.rodata,"a",@progbits
	.p2align	6, 0x0
	.amdhsa_kernel _ZL34rocblas_syrkx_herkx_general_kernelIl19rocblas_complex_numIfELi16ELi32ELi8ELb0ELb1ELc84ELc85EKPKS1_KPS1_EviT_T0_PT8_S7_lSA_S7_lS8_PT9_S7_li
		.amdhsa_group_segment_fixed_size 4096
		.amdhsa_private_segment_fixed_size 0
		.amdhsa_kernarg_size 108
		.amdhsa_user_sgpr_count 6
		.amdhsa_user_sgpr_private_segment_buffer 1
		.amdhsa_user_sgpr_dispatch_ptr 0
		.amdhsa_user_sgpr_queue_ptr 0
		.amdhsa_user_sgpr_kernarg_segment_ptr 1
		.amdhsa_user_sgpr_dispatch_id 0
		.amdhsa_user_sgpr_flat_scratch_init 0
		.amdhsa_user_sgpr_private_segment_size 0
		.amdhsa_uses_dynamic_stack 0
		.amdhsa_system_sgpr_private_segment_wavefront_offset 0
		.amdhsa_system_sgpr_workgroup_id_x 1
		.amdhsa_system_sgpr_workgroup_id_y 1
		.amdhsa_system_sgpr_workgroup_id_z 1
		.amdhsa_system_sgpr_workgroup_info 0
		.amdhsa_system_vgpr_workitem_id 1
		.amdhsa_next_free_vgpr 50
		.amdhsa_next_free_sgpr 25
		.amdhsa_reserve_vcc 1
		.amdhsa_reserve_flat_scratch 0
		.amdhsa_float_round_mode_32 0
		.amdhsa_float_round_mode_16_64 0
		.amdhsa_float_denorm_mode_32 3
		.amdhsa_float_denorm_mode_16_64 3
		.amdhsa_dx10_clamp 1
		.amdhsa_ieee_mode 1
		.amdhsa_fp16_overflow 0
		.amdhsa_exception_fp_ieee_invalid_op 0
		.amdhsa_exception_fp_denorm_src 0
		.amdhsa_exception_fp_ieee_div_zero 0
		.amdhsa_exception_fp_ieee_overflow 0
		.amdhsa_exception_fp_ieee_underflow 0
		.amdhsa_exception_fp_ieee_inexact 0
		.amdhsa_exception_int_div_zero 0
	.end_amdhsa_kernel
	.section	.text._ZL34rocblas_syrkx_herkx_general_kernelIl19rocblas_complex_numIfELi16ELi32ELi8ELb0ELb1ELc84ELc85EKPKS1_KPS1_EviT_T0_PT8_S7_lSA_S7_lS8_PT9_S7_li,"axG",@progbits,_ZL34rocblas_syrkx_herkx_general_kernelIl19rocblas_complex_numIfELi16ELi32ELi8ELb0ELb1ELc84ELc85EKPKS1_KPS1_EviT_T0_PT8_S7_lSA_S7_lS8_PT9_S7_li,comdat
.Lfunc_end1765:
	.size	_ZL34rocblas_syrkx_herkx_general_kernelIl19rocblas_complex_numIfELi16ELi32ELi8ELb0ELb1ELc84ELc85EKPKS1_KPS1_EviT_T0_PT8_S7_lSA_S7_lS8_PT9_S7_li, .Lfunc_end1765-_ZL34rocblas_syrkx_herkx_general_kernelIl19rocblas_complex_numIfELi16ELi32ELi8ELb0ELb1ELc84ELc85EKPKS1_KPS1_EviT_T0_PT8_S7_lSA_S7_lS8_PT9_S7_li
                                        ; -- End function
	.set _ZL34rocblas_syrkx_herkx_general_kernelIl19rocblas_complex_numIfELi16ELi32ELi8ELb0ELb1ELc84ELc85EKPKS1_KPS1_EviT_T0_PT8_S7_lSA_S7_lS8_PT9_S7_li.num_vgpr, 50
	.set _ZL34rocblas_syrkx_herkx_general_kernelIl19rocblas_complex_numIfELi16ELi32ELi8ELb0ELb1ELc84ELc85EKPKS1_KPS1_EviT_T0_PT8_S7_lSA_S7_lS8_PT9_S7_li.num_agpr, 0
	.set _ZL34rocblas_syrkx_herkx_general_kernelIl19rocblas_complex_numIfELi16ELi32ELi8ELb0ELb1ELc84ELc85EKPKS1_KPS1_EviT_T0_PT8_S7_lSA_S7_lS8_PT9_S7_li.numbered_sgpr, 25
	.set _ZL34rocblas_syrkx_herkx_general_kernelIl19rocblas_complex_numIfELi16ELi32ELi8ELb0ELb1ELc84ELc85EKPKS1_KPS1_EviT_T0_PT8_S7_lSA_S7_lS8_PT9_S7_li.num_named_barrier, 0
	.set _ZL34rocblas_syrkx_herkx_general_kernelIl19rocblas_complex_numIfELi16ELi32ELi8ELb0ELb1ELc84ELc85EKPKS1_KPS1_EviT_T0_PT8_S7_lSA_S7_lS8_PT9_S7_li.private_seg_size, 0
	.set _ZL34rocblas_syrkx_herkx_general_kernelIl19rocblas_complex_numIfELi16ELi32ELi8ELb0ELb1ELc84ELc85EKPKS1_KPS1_EviT_T0_PT8_S7_lSA_S7_lS8_PT9_S7_li.uses_vcc, 1
	.set _ZL34rocblas_syrkx_herkx_general_kernelIl19rocblas_complex_numIfELi16ELi32ELi8ELb0ELb1ELc84ELc85EKPKS1_KPS1_EviT_T0_PT8_S7_lSA_S7_lS8_PT9_S7_li.uses_flat_scratch, 0
	.set _ZL34rocblas_syrkx_herkx_general_kernelIl19rocblas_complex_numIfELi16ELi32ELi8ELb0ELb1ELc84ELc85EKPKS1_KPS1_EviT_T0_PT8_S7_lSA_S7_lS8_PT9_S7_li.has_dyn_sized_stack, 0
	.set _ZL34rocblas_syrkx_herkx_general_kernelIl19rocblas_complex_numIfELi16ELi32ELi8ELb0ELb1ELc84ELc85EKPKS1_KPS1_EviT_T0_PT8_S7_lSA_S7_lS8_PT9_S7_li.has_recursion, 0
	.set _ZL34rocblas_syrkx_herkx_general_kernelIl19rocblas_complex_numIfELi16ELi32ELi8ELb0ELb1ELc84ELc85EKPKS1_KPS1_EviT_T0_PT8_S7_lSA_S7_lS8_PT9_S7_li.has_indirect_call, 0
	.section	.AMDGPU.csdata,"",@progbits
; Kernel info:
; codeLenInByte = 2476
; TotalNumSgprs: 29
; NumVgprs: 50
; ScratchSize: 0
; MemoryBound: 1
; FloatMode: 240
; IeeeMode: 1
; LDSByteSize: 4096 bytes/workgroup (compile time only)
; SGPRBlocks: 3
; VGPRBlocks: 12
; NumSGPRsForWavesPerEU: 29
; NumVGPRsForWavesPerEU: 50
; Occupancy: 4
; WaveLimiterHint : 1
; COMPUTE_PGM_RSRC2:SCRATCH_EN: 0
; COMPUTE_PGM_RSRC2:USER_SGPR: 6
; COMPUTE_PGM_RSRC2:TRAP_HANDLER: 0
; COMPUTE_PGM_RSRC2:TGID_X_EN: 1
; COMPUTE_PGM_RSRC2:TGID_Y_EN: 1
; COMPUTE_PGM_RSRC2:TGID_Z_EN: 1
; COMPUTE_PGM_RSRC2:TIDIG_COMP_CNT: 1
	.section	.text._ZL34rocblas_syrkx_herkx_general_kernelIl19rocblas_complex_numIfELi16ELi32ELi8ELb0ELb1ELc67ELc85EKPKS1_KPS1_EviT_T0_PT8_S7_lSA_S7_lS8_PT9_S7_li,"axG",@progbits,_ZL34rocblas_syrkx_herkx_general_kernelIl19rocblas_complex_numIfELi16ELi32ELi8ELb0ELb1ELc67ELc85EKPKS1_KPS1_EviT_T0_PT8_S7_lSA_S7_lS8_PT9_S7_li,comdat
	.globl	_ZL34rocblas_syrkx_herkx_general_kernelIl19rocblas_complex_numIfELi16ELi32ELi8ELb0ELb1ELc67ELc85EKPKS1_KPS1_EviT_T0_PT8_S7_lSA_S7_lS8_PT9_S7_li ; -- Begin function _ZL34rocblas_syrkx_herkx_general_kernelIl19rocblas_complex_numIfELi16ELi32ELi8ELb0ELb1ELc67ELc85EKPKS1_KPS1_EviT_T0_PT8_S7_lSA_S7_lS8_PT9_S7_li
	.p2align	8
	.type	_ZL34rocblas_syrkx_herkx_general_kernelIl19rocblas_complex_numIfELi16ELi32ELi8ELb0ELb1ELc67ELc85EKPKS1_KPS1_EviT_T0_PT8_S7_lSA_S7_lS8_PT9_S7_li,@function
_ZL34rocblas_syrkx_herkx_general_kernelIl19rocblas_complex_numIfELi16ELi32ELi8ELb0ELb1ELc67ELc85EKPKS1_KPS1_EviT_T0_PT8_S7_lSA_S7_lS8_PT9_S7_li: ; @_ZL34rocblas_syrkx_herkx_general_kernelIl19rocblas_complex_numIfELi16ELi32ELi8ELb0ELb1ELc67ELc85EKPKS1_KPS1_EviT_T0_PT8_S7_lSA_S7_lS8_PT9_S7_li
; %bb.0:
	s_load_dwordx2 s[10:11], s[4:5], 0x58
	s_load_dwordx4 s[20:23], s[4:5], 0x48
	s_load_dword s24, s[4:5], 0x0
	s_load_dwordx8 s[12:19], s[4:5], 0x8
	s_mov_b32 s9, 0
	s_lshl_b64 s[0:1], s[8:9], 3
	s_waitcnt lgkmcnt(0)
	s_add_u32 s2, s22, s0
	s_addc_u32 s3, s23, s1
	s_load_dwordx2 s[8:9], s[2:3], 0x0
	v_cmp_lt_i64_e64 s[2:3], s[12:13], 1
	s_lshl_b32 s22, s6, 5
	s_lshl_b32 s23, s7, 5
	s_and_b64 vcc, exec, s[2:3]
	s_cbranch_vccnz .LBB1766_11
; %bb.1:
	s_load_dwordx4 s[4:7], s[4:5], 0x30
	v_lshl_add_u32 v2, v1, 4, v0
	v_and_b32_e32 v5, 31, v2
	v_or_b32_e32 v6, s22, v5
	v_and_b32_e32 v11, 7, v0
	v_lshrrev_b32_e32 v3, 3, v2
	v_lshrrev_b32_e32 v10, 5, v2
	v_cmp_gt_i32_e32 vcc, s24, v6
	v_lshlrev_b32_e32 v2, 3, v5
	v_lshlrev_b32_e32 v6, 3, v11
	v_lshl_or_b32 v12, v10, 8, v2
	v_lshl_or_b32 v2, v3, 6, v6
	s_waitcnt lgkmcnt(0)
	s_add_u32 s2, s4, s0
	v_add_u32_e32 v13, 0x800, v2
	v_add_u32_e32 v2, s22, v5
	;; [unrolled: 1-line block ×3, first 2 shown]
	s_addc_u32 s3, s5, s1
	v_ashrrev_i32_e32 v3, 31, v2
	s_load_dwordx2 s[4:5], s[2:3], 0x0
	v_mul_lo_u32 v5, s18, v3
	v_mul_lo_u32 v8, s19, v2
	v_mad_u64_u32 v[2:3], s[2:3], s18, v2, 0
	s_add_u32 s0, s16, s0
	s_addc_u32 s1, s17, s1
	v_add3_u32 v3, v3, v5, v8
	v_lshlrev_b64 v[2:3], 3, v[2:3]
	v_lshlrev_b32_e32 v5, 3, v10
	v_ashrrev_i32_e32 v7, 31, v4
	v_mov_b32_e32 v9, 0x800
	v_add_co_u32_e64 v2, s[2:3], v2, v5
	s_load_dwordx2 s[16:17], s[0:1], 0x0
	v_cmp_gt_i32_e64 s[0:1], s24, v4
	v_lshl_add_u32 v15, v1, 6, v9
	v_addc_co_u32_e64 v3, s[2:3], 0, v3, s[2:3]
	v_mul_lo_u32 v7, s6, v7
	v_mul_lo_u32 v9, s7, v4
	v_mad_u64_u32 v[4:5], s[2:3], s6, v4, 0
	s_waitcnt lgkmcnt(0)
	v_mov_b32_e32 v8, s17
	v_add_co_u32_e64 v2, s[2:3], s16, v2
	v_add3_u32 v5, v5, v7, v9
	v_lshlrev_b64 v[4:5], 3, v[4:5]
	v_addc_co_u32_e64 v3, s[2:3], v8, v3, s[2:3]
	v_add_co_u32_e64 v4, s[2:3], v4, v6
	v_addc_co_u32_e64 v5, s[2:3], 0, v5, s[2:3]
	v_mov_b32_e32 v6, s5
	v_add_co_u32_e64 v4, s[2:3], s4, v4
	v_addc_co_u32_e64 v5, s[2:3], v6, v5, s[2:3]
	v_mov_b32_e32 v8, s12
	v_lshlrev_b32_e32 v14, 3, v0
	s_mov_b64 s[2:3], 0
	s_xor_b64 s[4:5], vcc, -1
	s_xor_b64 s[6:7], s[0:1], -1
	v_mov_b32_e32 v19, 0
	v_mov_b32_e32 v18, 0
	;; [unrolled: 1-line block ×10, first 2 shown]
	s_branch .LBB1766_3
.LBB1766_2:                             ;   in Loop: Header=BB1766_3 Depth=1
	s_or_b64 exec, exec, s[0:1]
	s_waitcnt lgkmcnt(0)
	s_barrier
	ds_read2_b64 v[24:27], v14 offset1:16
	ds_read_b128 v[28:31], v15
	ds_read_b128 v[32:35], v15 offset:16
	s_add_u32 s2, s2, 8
	v_add_co_u32_e32 v2, vcc, 64, v2
	s_waitcnt lgkmcnt(1)
	v_mul_f32_e32 v36, v28, v25
	v_fmac_f32_e32 v36, v29, v24
	v_add_f32_e32 v44, v22, v36
	ds_read_b128 v[36:39], v15 offset:1024
	v_mul_f32_e32 v7, v29, v25
	v_fma_f32 v7, v28, v24, -v7
	v_add_f32_e32 v7, v20, v7
	v_mul_f32_e32 v20, v29, v27
	v_mul_f32_e32 v22, v28, v27
	v_fma_f32 v20, v28, v26, -v20
	v_fmac_f32_e32 v22, v29, v26
	v_add_f32_e32 v28, v21, v20
	v_add_f32_e32 v29, v23, v22
	ds_read_b128 v[20:23], v15 offset:1040
	s_waitcnt lgkmcnt(1)
	v_mul_f32_e32 v40, v37, v25
	v_fma_f32 v40, v36, v24, -v40
	v_add_f32_e32 v45, v16, v40
	ds_read2_b64 v[40:43], v14 offset0:32 offset1:48
	v_mul_f32_e32 v25, v36, v25
	v_mul_f32_e32 v16, v37, v27
	v_fmac_f32_e32 v25, v37, v24
	v_fma_f32 v16, v36, v26, -v16
	v_add_f32_e32 v46, v17, v25
	v_mul_f32_e32 v17, v36, v27
	v_add_f32_e32 v36, v18, v16
	s_waitcnt lgkmcnt(0)
	v_mul_f32_e32 v16, v31, v41
	v_fma_f32 v47, v30, v40, -v16
	v_mul_f32_e32 v16, v31, v43
	v_fma_f32 v49, v30, v42, -v16
	v_mul_f32_e32 v48, v30, v41
	v_mul_f32_e32 v30, v30, v43
	v_add_f32_e32 v7, v7, v47
	v_add_f32_e32 v47, v28, v49
	v_mul_f32_e32 v28, v39, v41
	v_fmac_f32_e32 v17, v37, v26
	v_fmac_f32_e32 v48, v31, v40
	;; [unrolled: 1-line block ×3, first 2 shown]
	v_fma_f32 v49, v38, v40, -v28
	v_mul_f32_e32 v41, v38, v41
	v_mul_f32_e32 v28, v39, v43
	v_add_f32_e32 v37, v19, v17
	ds_read_b128 v[16:19], v15 offset:32
	ds_read_b128 v[24:27], v15 offset:48
	v_add_f32_e32 v44, v44, v48
	v_add_f32_e32 v48, v29, v30
	v_fmac_f32_e32 v41, v39, v40
	v_fma_f32 v40, v38, v42, -v28
	ds_read2_b64 v[28:31], v14 offset0:64 offset1:80
	v_add_f32_e32 v40, v36, v40
	v_mul_f32_e32 v38, v38, v43
	v_fmac_f32_e32 v38, v39, v42
	v_add_f32_e32 v42, v37, v38
	s_waitcnt lgkmcnt(0)
	v_mul_f32_e32 v36, v33, v29
	v_fma_f32 v36, v32, v28, -v36
	v_add_f32_e32 v7, v7, v36
	v_mul_f32_e32 v36, v33, v31
	v_mul_f32_e32 v37, v32, v29
	v_fma_f32 v36, v32, v30, -v36
	v_mul_f32_e32 v32, v32, v31
	v_fmac_f32_e32 v37, v33, v28
	v_fmac_f32_e32 v32, v33, v30
	v_add_f32_e32 v33, v47, v36
	v_mul_f32_e32 v36, v21, v29
	v_add_f32_e32 v39, v45, v49
	v_fma_f32 v36, v20, v28, -v36
	v_mul_f32_e32 v29, v20, v29
	v_add_f32_e32 v41, v46, v41
	v_fmac_f32_e32 v29, v21, v28
	v_add_f32_e32 v28, v39, v36
	v_mul_f32_e32 v36, v21, v31
	v_add_f32_e32 v43, v44, v37
	v_add_f32_e32 v29, v41, v29
	v_fma_f32 v41, v20, v30, -v36
	ds_read2_b64 v[36:39], v14 offset0:96 offset1:112
	v_mul_f32_e32 v20, v20, v31
	v_fmac_f32_e32 v20, v21, v30
	v_add_f32_e32 v21, v40, v41
	v_add_f32_e32 v32, v48, v32
	s_waitcnt lgkmcnt(0)
	v_mul_f32_e32 v30, v35, v37
	v_fma_f32 v30, v34, v36, -v30
	v_mul_f32_e32 v31, v34, v37
	v_fmac_f32_e32 v31, v35, v36
	v_add_f32_e32 v7, v7, v30
	v_mul_f32_e32 v30, v35, v39
	v_add_f32_e32 v40, v43, v31
	v_fma_f32 v30, v34, v38, -v30
	v_mul_f32_e32 v31, v34, v39
	v_fmac_f32_e32 v31, v35, v38
	v_add_f32_e32 v33, v33, v30
	v_mul_f32_e32 v30, v23, v37
	v_add_f32_e32 v32, v32, v31
	;; [unrolled: 6-line block ×3, first 2 shown]
	v_fma_f32 v34, v22, v38, -v28
	ds_read2_b64 v[28:31], v14 offset0:128 offset1:144
	v_mul_f32_e32 v22, v22, v39
	v_add_f32_e32 v20, v42, v20
	v_fmac_f32_e32 v22, v23, v38
	v_add_f32_e32 v42, v20, v22
	s_waitcnt lgkmcnt(0)
	v_mul_f32_e32 v20, v17, v29
	v_add_f32_e32 v41, v21, v34
	v_fma_f32 v20, v16, v28, -v20
	v_mul_f32_e32 v21, v16, v29
	v_fmac_f32_e32 v21, v17, v28
	v_add_f32_e32 v7, v7, v20
	v_mul_f32_e32 v20, v17, v31
	v_add_f32_e32 v40, v40, v21
	v_fma_f32 v34, v16, v30, -v20
	ds_read_b128 v[20:23], v15 offset:1056
	v_mul_f32_e32 v16, v16, v31
	v_fmac_f32_e32 v16, v17, v30
	v_add_f32_e32 v17, v33, v34
	v_add_f32_e32 v16, v32, v16
	ds_read_b128 v[32:35], v15 offset:1072
	s_waitcnt lgkmcnt(1)
	v_mul_f32_e32 v38, v21, v29
	v_fma_f32 v38, v20, v28, -v38
	v_mul_f32_e32 v29, v20, v29
	v_fmac_f32_e32 v29, v21, v28
	v_add_f32_e32 v28, v36, v38
	v_mul_f32_e32 v36, v21, v31
	v_add_f32_e32 v29, v37, v29
	v_fma_f32 v43, v20, v30, -v36
	ds_read2_b64 v[36:39], v14 offset0:160 offset1:176
	v_mul_f32_e32 v20, v20, v31
	v_fmac_f32_e32 v20, v21, v30
	v_add_f32_e32 v20, v42, v20
	v_add_f32_e32 v21, v41, v43
	s_waitcnt lgkmcnt(0)
	v_mul_f32_e32 v30, v19, v37
	v_mul_f32_e32 v31, v18, v37
	v_fma_f32 v30, v18, v36, -v30
	v_fmac_f32_e32 v31, v19, v36
	v_add_f32_e32 v7, v7, v30
	v_add_f32_e32 v30, v40, v31
	v_mul_f32_e32 v31, v19, v39
	v_fma_f32 v31, v18, v38, -v31
	v_mul_f32_e32 v18, v18, v39
	v_fmac_f32_e32 v18, v19, v38
	v_add_f32_e32 v40, v16, v18
	v_mul_f32_e32 v16, v23, v37
	v_add_f32_e32 v31, v17, v31
	v_fma_f32 v16, v22, v36, -v16
	v_mul_f32_e32 v17, v22, v37
	v_fmac_f32_e32 v17, v23, v36
	v_add_f32_e32 v28, v28, v16
	v_mul_f32_e32 v16, v23, v39
	v_add_f32_e32 v29, v29, v17
	v_fma_f32 v36, v22, v38, -v16
	ds_read2_b64 v[16:19], v14 offset0:192 offset1:208
	v_mul_f32_e32 v22, v22, v39
	v_fmac_f32_e32 v22, v23, v38
	v_add_f32_e32 v20, v20, v22
	v_add_f32_e32 v21, v21, v36
	s_waitcnt lgkmcnt(0)
	v_mul_f32_e32 v22, v25, v17
	v_mul_f32_e32 v23, v24, v17
	v_fma_f32 v22, v24, v16, -v22
	v_fmac_f32_e32 v23, v25, v16
	v_add_f32_e32 v7, v7, v22
	v_add_f32_e32 v22, v30, v23
	v_mul_f32_e32 v23, v25, v19
	v_fma_f32 v23, v24, v18, -v23
	v_mul_f32_e32 v24, v24, v19
	v_fmac_f32_e32 v24, v25, v18
	v_mul_f32_e32 v25, v33, v17
	v_mul_f32_e32 v17, v32, v17
	v_fma_f32 v25, v32, v16, -v25
	v_fmac_f32_e32 v17, v33, v16
	v_add_f32_e32 v23, v31, v23
	v_add_f32_e32 v16, v28, v25
	;; [unrolled: 1-line block ×3, first 2 shown]
	ds_read2_b64 v[28:31], v14 offset0:224 offset1:240
	v_mul_f32_e32 v25, v33, v19
	v_mul_f32_e32 v19, v32, v19
	v_fmac_f32_e32 v19, v33, v18
	v_add_f32_e32 v19, v20, v19
	s_waitcnt lgkmcnt(0)
	v_mul_f32_e32 v20, v27, v29
	v_fma_f32 v25, v32, v18, -v25
	v_fma_f32 v20, v26, v28, -v20
	v_add_f32_e32 v18, v21, v25
	v_mul_f32_e32 v21, v26, v29
	v_add_f32_e32 v20, v7, v20
	v_mul_f32_e32 v7, v27, v31
	v_mul_f32_e32 v25, v26, v31
	v_add_f32_e32 v24, v40, v24
	v_fmac_f32_e32 v21, v27, v28
	v_fma_f32 v7, v26, v30, -v7
	v_fmac_f32_e32 v25, v27, v30
	v_add_f32_e32 v22, v22, v21
	v_add_f32_e32 v21, v23, v7
	;; [unrolled: 1-line block ×3, first 2 shown]
	v_mul_f32_e32 v7, v35, v29
	v_mul_f32_e32 v24, v34, v29
	v_fma_f32 v7, v34, v28, -v7
	v_fmac_f32_e32 v24, v35, v28
	s_addc_u32 s3, s3, 0
	v_addc_co_u32_e32 v3, vcc, 0, v3, vcc
	v_add_f32_e32 v16, v16, v7
	v_add_f32_e32 v17, v17, v24
	v_mul_f32_e32 v7, v35, v31
	v_mul_f32_e32 v24, v34, v31
	v_cmp_ge_i64_e32 vcc, s[2:3], v[8:9]
	v_fma_f32 v7, v34, v30, -v7
	v_fmac_f32_e32 v24, v35, v30
	v_add_co_u32_e64 v4, s[0:1], 64, v4
	v_add_f32_e32 v18, v18, v7
	v_add_f32_e32 v19, v19, v24
	v_addc_co_u32_e64 v5, s[0:1], 0, v5, s[0:1]
	s_barrier
	s_cbranch_vccnz .LBB1766_12
.LBB1766_3:                             ; =>This Inner Loop Header: Depth=1
	v_mov_b32_e32 v7, s3
	v_add_co_u32_e32 v24, vcc, s2, v10
	v_addc_co_u32_e32 v25, vcc, 0, v7, vcc
	v_cmp_le_i64_e32 vcc, s[12:13], v[24:25]
	s_or_b64 s[0:1], s[4:5], vcc
	s_and_saveexec_b64 s[16:17], s[0:1]
	s_xor_b64 s[0:1], exec, s[16:17]
; %bb.4:                                ;   in Loop: Header=BB1766_3 Depth=1
	ds_write_b32 v12, v6
; %bb.5:                                ;   in Loop: Header=BB1766_3 Depth=1
	s_or_saveexec_b64 s[0:1], s[0:1]
	v_mov_b32_e32 v7, 0
	s_xor_b64 exec, exec, s[0:1]
	s_cbranch_execz .LBB1766_7
; %bb.6:                                ;   in Loop: Header=BB1766_3 Depth=1
	flat_load_dwordx2 v[24:25], v[2:3]
	s_waitcnt vmcnt(0) lgkmcnt(0)
	v_xor_b32_e32 v7, 0x80000000, v25
	ds_write_b32 v12, v24
.LBB1766_7:                             ;   in Loop: Header=BB1766_3 Depth=1
	s_or_b64 exec, exec, s[0:1]
	v_mov_b32_e32 v25, s3
	v_add_co_u32_e32 v24, vcc, s2, v11
	v_addc_co_u32_e32 v25, vcc, 0, v25, vcc
	v_cmp_le_i64_e32 vcc, s[12:13], v[24:25]
	ds_write_b32 v12, v7 offset:4
	s_or_b64 s[0:1], vcc, s[6:7]
	s_and_saveexec_b64 s[16:17], s[0:1]
	s_xor_b64 s[0:1], exec, s[16:17]
; %bb.8:                                ;   in Loop: Header=BB1766_3 Depth=1
	v_mov_b32_e32 v7, v6
	ds_write_b64 v13, v[6:7]
; %bb.9:                                ;   in Loop: Header=BB1766_3 Depth=1
	s_andn2_saveexec_b64 s[0:1], s[0:1]
	s_cbranch_execz .LBB1766_2
; %bb.10:                               ;   in Loop: Header=BB1766_3 Depth=1
	flat_load_dwordx2 v[24:25], v[4:5]
	s_waitcnt vmcnt(0) lgkmcnt(0)
	ds_write_b64 v13, v[24:25]
	s_branch .LBB1766_2
.LBB1766_11:
	v_mov_b32_e32 v20, 0
	v_mov_b32_e32 v22, 0
	;; [unrolled: 1-line block ×8, first 2 shown]
.LBB1766_12:
	v_add_u32_e32 v5, s23, v1
	v_ashrrev_i32_e32 v1, 31, v5
	v_mul_lo_u32 v3, s10, v1
	v_mul_lo_u32 v4, s11, v5
	v_mad_u64_u32 v[1:2], s[0:1], s10, v5, 0
	v_add_u32_e32 v0, s22, v0
	v_cmp_gt_i32_e32 vcc, s24, v5
	v_add3_u32 v2, v2, v3, v4
	v_lshlrev_b64 v[1:2], 3, v[1:2]
	s_waitcnt lgkmcnt(0)
	v_mov_b32_e32 v3, s9
	v_add_co_u32_e64 v4, s[0:1], s8, v1
	v_addc_co_u32_e64 v6, s[0:1], v3, v2, s[0:1]
	v_cmp_le_i32_e64 s[0:1], v0, v5
	s_and_b64 s[0:1], vcc, s[0:1]
	s_and_saveexec_b64 s[2:3], s[0:1]
	s_cbranch_execz .LBB1766_15
; %bb.13:
	v_ashrrev_i32_e32 v1, 31, v0
	v_lshlrev_b64 v[1:2], 3, v[0:1]
	v_mul_f32_e32 v3, s15, v22
	v_add_co_u32_e64 v1, s[0:1], v4, v1
	v_addc_co_u32_e64 v2, s[0:1], v6, v2, s[0:1]
	flat_load_dwordx2 v[7:8], v[1:2]
	v_mul_f32_e32 v9, s14, v22
	v_fma_f32 v3, v20, s14, -v3
	v_fmac_f32_e32 v9, s15, v20
	v_cmp_eq_u32_e64 s[0:1], v5, v0
	s_waitcnt vmcnt(0) lgkmcnt(0)
	v_mul_f32_e32 v10, s21, v8
	v_mul_f32_e32 v8, s20, v8
	v_fma_f32 v10, v7, s20, -v10
	v_fmac_f32_e32 v8, s21, v7
	v_add_f32_e32 v7, v3, v10
	v_add_f32_e32 v8, v9, v8
	flat_store_dwordx2 v[1:2], v[7:8]
	s_and_b64 exec, exec, s[0:1]
	s_cbranch_execz .LBB1766_15
; %bb.14:
	v_mov_b32_e32 v3, 0
	flat_store_dword v[1:2], v3 offset:4
.LBB1766_15:
	s_or_b64 exec, exec, s[2:3]
	v_add_u32_e32 v2, 16, v0
	v_cmp_le_i32_e64 s[0:1], v2, v5
	s_and_b64 s[2:3], vcc, s[0:1]
	s_and_saveexec_b64 s[0:1], s[2:3]
	s_cbranch_execz .LBB1766_18
; %bb.16:
	v_ashrrev_i32_e32 v3, 31, v2
	v_lshlrev_b64 v[7:8], 3, v[2:3]
	v_mul_f32_e32 v1, s15, v23
	v_add_co_u32_e32 v3, vcc, v4, v7
	v_addc_co_u32_e32 v4, vcc, v6, v8, vcc
	flat_load_dwordx2 v[6:7], v[3:4]
	v_mul_f32_e32 v8, s14, v23
	v_fma_f32 v1, v21, s14, -v1
	v_fmac_f32_e32 v8, s15, v21
	v_cmp_eq_u32_e32 vcc, v5, v2
	s_waitcnt vmcnt(0) lgkmcnt(0)
	v_mul_f32_e32 v9, s21, v7
	v_mul_f32_e32 v7, s20, v7
	v_fma_f32 v9, v6, s20, -v9
	v_fmac_f32_e32 v7, s21, v6
	v_add_f32_e32 v6, v1, v9
	v_add_f32_e32 v7, v8, v7
	flat_store_dwordx2 v[3:4], v[6:7]
	s_and_b64 exec, exec, vcc
	s_cbranch_execz .LBB1766_18
; %bb.17:
	v_mov_b32_e32 v1, 0
	flat_store_dword v[3:4], v1 offset:4
.LBB1766_18:
	s_or_b64 exec, exec, s[0:1]
	v_add_u32_e32 v8, 16, v5
	v_ashrrev_i32_e32 v1, 31, v8
	v_mul_lo_u32 v1, s10, v1
	v_mul_lo_u32 v6, s11, v8
	v_mad_u64_u32 v[3:4], s[0:1], s10, v8, 0
	v_cmp_gt_i32_e32 vcc, s24, v8
	v_add3_u32 v4, v4, v1, v6
	v_lshlrev_b64 v[3:4], 3, v[3:4]
	v_mov_b32_e32 v1, s9
	v_add_co_u32_e64 v6, s[0:1], s8, v3
	v_addc_co_u32_e64 v7, s[0:1], v1, v4, s[0:1]
	v_cmp_le_i32_e64 s[0:1], v0, v8
	s_and_b64 s[0:1], vcc, s[0:1]
	s_and_saveexec_b64 s[2:3], s[0:1]
	s_cbranch_execz .LBB1766_21
; %bb.19:
	v_ashrrev_i32_e32 v1, 31, v0
	v_lshlrev_b64 v[3:4], 3, v[0:1]
	v_mul_f32_e32 v1, s15, v17
	v_add_co_u32_e64 v3, s[0:1], v6, v3
	v_addc_co_u32_e64 v4, s[0:1], v7, v4, s[0:1]
	flat_load_dwordx2 v[9:10], v[3:4]
	v_mul_f32_e32 v11, s14, v17
	v_fma_f32 v1, v16, s14, -v1
	v_fmac_f32_e32 v11, s15, v16
	v_cmp_eq_u32_e64 s[0:1], v8, v0
	s_waitcnt vmcnt(0) lgkmcnt(0)
	v_mul_f32_e32 v12, s21, v10
	v_mul_f32_e32 v10, s20, v10
	v_fma_f32 v12, v9, s20, -v12
	v_fmac_f32_e32 v10, s21, v9
	v_add_f32_e32 v9, v1, v12
	v_add_f32_e32 v10, v11, v10
	flat_store_dwordx2 v[3:4], v[9:10]
	s_and_b64 exec, exec, s[0:1]
	s_cbranch_execz .LBB1766_21
; %bb.20:
	v_mov_b32_e32 v1, 0
	flat_store_dword v[3:4], v1 offset:4
.LBB1766_21:
	s_or_b64 exec, exec, s[2:3]
	v_cmp_le_i32_e64 s[0:1], v2, v8
	s_and_b64 s[0:1], vcc, s[0:1]
	s_and_saveexec_b64 s[2:3], s[0:1]
	s_cbranch_execz .LBB1766_24
; %bb.22:
	v_ashrrev_i32_e32 v3, 31, v2
	v_lshlrev_b64 v[1:2], 3, v[2:3]
	v_add_co_u32_e32 v1, vcc, v6, v1
	v_addc_co_u32_e32 v2, vcc, v7, v2, vcc
	flat_load_dwordx2 v[3:4], v[1:2]
	v_mul_f32_e32 v6, s15, v19
	v_mul_f32_e32 v7, s14, v19
	v_fma_f32 v6, v18, s14, -v6
	v_fmac_f32_e32 v7, s15, v18
	v_cmp_eq_u32_e32 vcc, v5, v0
	s_waitcnt vmcnt(0) lgkmcnt(0)
	v_mul_f32_e32 v8, s21, v4
	v_mul_f32_e32 v4, s20, v4
	v_fma_f32 v8, v3, s20, -v8
	v_fmac_f32_e32 v4, s21, v3
	v_add_f32_e32 v3, v6, v8
	v_add_f32_e32 v4, v7, v4
	flat_store_dwordx2 v[1:2], v[3:4]
	s_and_b64 exec, exec, vcc
	s_cbranch_execz .LBB1766_24
; %bb.23:
	v_mov_b32_e32 v0, 0
	flat_store_dword v[1:2], v0 offset:4
.LBB1766_24:
	s_endpgm
	.section	.rodata,"a",@progbits
	.p2align	6, 0x0
	.amdhsa_kernel _ZL34rocblas_syrkx_herkx_general_kernelIl19rocblas_complex_numIfELi16ELi32ELi8ELb0ELb1ELc67ELc85EKPKS1_KPS1_EviT_T0_PT8_S7_lSA_S7_lS8_PT9_S7_li
		.amdhsa_group_segment_fixed_size 4096
		.amdhsa_private_segment_fixed_size 0
		.amdhsa_kernarg_size 108
		.amdhsa_user_sgpr_count 6
		.amdhsa_user_sgpr_private_segment_buffer 1
		.amdhsa_user_sgpr_dispatch_ptr 0
		.amdhsa_user_sgpr_queue_ptr 0
		.amdhsa_user_sgpr_kernarg_segment_ptr 1
		.amdhsa_user_sgpr_dispatch_id 0
		.amdhsa_user_sgpr_flat_scratch_init 0
		.amdhsa_user_sgpr_private_segment_size 0
		.amdhsa_uses_dynamic_stack 0
		.amdhsa_system_sgpr_private_segment_wavefront_offset 0
		.amdhsa_system_sgpr_workgroup_id_x 1
		.amdhsa_system_sgpr_workgroup_id_y 1
		.amdhsa_system_sgpr_workgroup_id_z 1
		.amdhsa_system_sgpr_workgroup_info 0
		.amdhsa_system_vgpr_workitem_id 1
		.amdhsa_next_free_vgpr 50
		.amdhsa_next_free_sgpr 25
		.amdhsa_reserve_vcc 1
		.amdhsa_reserve_flat_scratch 0
		.amdhsa_float_round_mode_32 0
		.amdhsa_float_round_mode_16_64 0
		.amdhsa_float_denorm_mode_32 3
		.amdhsa_float_denorm_mode_16_64 3
		.amdhsa_dx10_clamp 1
		.amdhsa_ieee_mode 1
		.amdhsa_fp16_overflow 0
		.amdhsa_exception_fp_ieee_invalid_op 0
		.amdhsa_exception_fp_denorm_src 0
		.amdhsa_exception_fp_ieee_div_zero 0
		.amdhsa_exception_fp_ieee_overflow 0
		.amdhsa_exception_fp_ieee_underflow 0
		.amdhsa_exception_fp_ieee_inexact 0
		.amdhsa_exception_int_div_zero 0
	.end_amdhsa_kernel
	.section	.text._ZL34rocblas_syrkx_herkx_general_kernelIl19rocblas_complex_numIfELi16ELi32ELi8ELb0ELb1ELc67ELc85EKPKS1_KPS1_EviT_T0_PT8_S7_lSA_S7_lS8_PT9_S7_li,"axG",@progbits,_ZL34rocblas_syrkx_herkx_general_kernelIl19rocblas_complex_numIfELi16ELi32ELi8ELb0ELb1ELc67ELc85EKPKS1_KPS1_EviT_T0_PT8_S7_lSA_S7_lS8_PT9_S7_li,comdat
.Lfunc_end1766:
	.size	_ZL34rocblas_syrkx_herkx_general_kernelIl19rocblas_complex_numIfELi16ELi32ELi8ELb0ELb1ELc67ELc85EKPKS1_KPS1_EviT_T0_PT8_S7_lSA_S7_lS8_PT9_S7_li, .Lfunc_end1766-_ZL34rocblas_syrkx_herkx_general_kernelIl19rocblas_complex_numIfELi16ELi32ELi8ELb0ELb1ELc67ELc85EKPKS1_KPS1_EviT_T0_PT8_S7_lSA_S7_lS8_PT9_S7_li
                                        ; -- End function
	.set _ZL34rocblas_syrkx_herkx_general_kernelIl19rocblas_complex_numIfELi16ELi32ELi8ELb0ELb1ELc67ELc85EKPKS1_KPS1_EviT_T0_PT8_S7_lSA_S7_lS8_PT9_S7_li.num_vgpr, 50
	.set _ZL34rocblas_syrkx_herkx_general_kernelIl19rocblas_complex_numIfELi16ELi32ELi8ELb0ELb1ELc67ELc85EKPKS1_KPS1_EviT_T0_PT8_S7_lSA_S7_lS8_PT9_S7_li.num_agpr, 0
	.set _ZL34rocblas_syrkx_herkx_general_kernelIl19rocblas_complex_numIfELi16ELi32ELi8ELb0ELb1ELc67ELc85EKPKS1_KPS1_EviT_T0_PT8_S7_lSA_S7_lS8_PT9_S7_li.numbered_sgpr, 25
	.set _ZL34rocblas_syrkx_herkx_general_kernelIl19rocblas_complex_numIfELi16ELi32ELi8ELb0ELb1ELc67ELc85EKPKS1_KPS1_EviT_T0_PT8_S7_lSA_S7_lS8_PT9_S7_li.num_named_barrier, 0
	.set _ZL34rocblas_syrkx_herkx_general_kernelIl19rocblas_complex_numIfELi16ELi32ELi8ELb0ELb1ELc67ELc85EKPKS1_KPS1_EviT_T0_PT8_S7_lSA_S7_lS8_PT9_S7_li.private_seg_size, 0
	.set _ZL34rocblas_syrkx_herkx_general_kernelIl19rocblas_complex_numIfELi16ELi32ELi8ELb0ELb1ELc67ELc85EKPKS1_KPS1_EviT_T0_PT8_S7_lSA_S7_lS8_PT9_S7_li.uses_vcc, 1
	.set _ZL34rocblas_syrkx_herkx_general_kernelIl19rocblas_complex_numIfELi16ELi32ELi8ELb0ELb1ELc67ELc85EKPKS1_KPS1_EviT_T0_PT8_S7_lSA_S7_lS8_PT9_S7_li.uses_flat_scratch, 0
	.set _ZL34rocblas_syrkx_herkx_general_kernelIl19rocblas_complex_numIfELi16ELi32ELi8ELb0ELb1ELc67ELc85EKPKS1_KPS1_EviT_T0_PT8_S7_lSA_S7_lS8_PT9_S7_li.has_dyn_sized_stack, 0
	.set _ZL34rocblas_syrkx_herkx_general_kernelIl19rocblas_complex_numIfELi16ELi32ELi8ELb0ELb1ELc67ELc85EKPKS1_KPS1_EviT_T0_PT8_S7_lSA_S7_lS8_PT9_S7_li.has_recursion, 0
	.set _ZL34rocblas_syrkx_herkx_general_kernelIl19rocblas_complex_numIfELi16ELi32ELi8ELb0ELb1ELc67ELc85EKPKS1_KPS1_EviT_T0_PT8_S7_lSA_S7_lS8_PT9_S7_li.has_indirect_call, 0
	.section	.AMDGPU.csdata,"",@progbits
; Kernel info:
; codeLenInByte = 2496
; TotalNumSgprs: 29
; NumVgprs: 50
; ScratchSize: 0
; MemoryBound: 1
; FloatMode: 240
; IeeeMode: 1
; LDSByteSize: 4096 bytes/workgroup (compile time only)
; SGPRBlocks: 3
; VGPRBlocks: 12
; NumSGPRsForWavesPerEU: 29
; NumVGPRsForWavesPerEU: 50
; Occupancy: 4
; WaveLimiterHint : 1
; COMPUTE_PGM_RSRC2:SCRATCH_EN: 0
; COMPUTE_PGM_RSRC2:USER_SGPR: 6
; COMPUTE_PGM_RSRC2:TRAP_HANDLER: 0
; COMPUTE_PGM_RSRC2:TGID_X_EN: 1
; COMPUTE_PGM_RSRC2:TGID_Y_EN: 1
; COMPUTE_PGM_RSRC2:TGID_Z_EN: 1
; COMPUTE_PGM_RSRC2:TIDIG_COMP_CNT: 1
	.section	.text._ZL34rocblas_syrkx_herkx_general_kernelIl19rocblas_complex_numIfELi16ELi32ELi8ELb0ELb1ELc78ELc85EKPKS1_KPS1_EviT_T0_PT8_S7_lSA_S7_lS8_PT9_S7_li,"axG",@progbits,_ZL34rocblas_syrkx_herkx_general_kernelIl19rocblas_complex_numIfELi16ELi32ELi8ELb0ELb1ELc78ELc85EKPKS1_KPS1_EviT_T0_PT8_S7_lSA_S7_lS8_PT9_S7_li,comdat
	.globl	_ZL34rocblas_syrkx_herkx_general_kernelIl19rocblas_complex_numIfELi16ELi32ELi8ELb0ELb1ELc78ELc85EKPKS1_KPS1_EviT_T0_PT8_S7_lSA_S7_lS8_PT9_S7_li ; -- Begin function _ZL34rocblas_syrkx_herkx_general_kernelIl19rocblas_complex_numIfELi16ELi32ELi8ELb0ELb1ELc78ELc85EKPKS1_KPS1_EviT_T0_PT8_S7_lSA_S7_lS8_PT9_S7_li
	.p2align	8
	.type	_ZL34rocblas_syrkx_herkx_general_kernelIl19rocblas_complex_numIfELi16ELi32ELi8ELb0ELb1ELc78ELc85EKPKS1_KPS1_EviT_T0_PT8_S7_lSA_S7_lS8_PT9_S7_li,@function
_ZL34rocblas_syrkx_herkx_general_kernelIl19rocblas_complex_numIfELi16ELi32ELi8ELb0ELb1ELc78ELc85EKPKS1_KPS1_EviT_T0_PT8_S7_lSA_S7_lS8_PT9_S7_li: ; @_ZL34rocblas_syrkx_herkx_general_kernelIl19rocblas_complex_numIfELi16ELi32ELi8ELb0ELb1ELc78ELc85EKPKS1_KPS1_EviT_T0_PT8_S7_lSA_S7_lS8_PT9_S7_li
; %bb.0:
	s_load_dwordx2 s[10:11], s[4:5], 0x58
	s_load_dwordx4 s[20:23], s[4:5], 0x48
	s_load_dword s24, s[4:5], 0x0
	s_load_dwordx8 s[12:19], s[4:5], 0x8
	s_mov_b32 s9, 0
	s_lshl_b64 s[0:1], s[8:9], 3
	s_waitcnt lgkmcnt(0)
	s_add_u32 s2, s22, s0
	s_addc_u32 s3, s23, s1
	s_load_dwordx2 s[8:9], s[2:3], 0x0
	v_cmp_lt_i64_e64 s[2:3], s[12:13], 1
	s_lshl_b32 s22, s6, 5
	s_lshl_b32 s23, s7, 5
	s_and_b64 vcc, exec, s[2:3]
	s_cbranch_vccnz .LBB1767_11
; %bb.1:
	s_load_dwordx4 s[4:7], s[4:5], 0x30
	v_lshl_add_u32 v2, v1, 4, v0
	v_and_b32_e32 v8, 31, v2
	v_lshrrev_b32_e32 v5, 3, v2
	v_or_b32_e32 v3, s22, v8
	s_waitcnt lgkmcnt(0)
	s_add_u32 s2, s4, s0
	v_lshrrev_b32_e32 v10, 5, v2
	s_addc_u32 s3, s5, s1
	v_lshlrev_b32_e32 v2, 3, v8
	s_load_dwordx2 s[26:27], s[2:3], 0x0
	v_cmp_gt_i32_e32 vcc, s24, v3
	v_lshl_or_b32 v12, v10, 8, v2
	v_mad_u64_u32 v[2:3], s[2:3], s18, v10, 0
	v_and_b32_e32 v11, 7, v0
	v_add_u32_e32 v4, s23, v5
	v_lshlrev_b32_e32 v6, 3, v11
	v_lshl_or_b32 v5, v5, 6, v6
	v_mad_u64_u32 v[6:7], s[2:3], s19, v10, v[3:4]
	v_mov_b32_e32 v3, 0x800
	v_lshl_add_u32 v15, v1, 6, v3
	v_mov_b32_e32 v3, v6
	v_add_u32_e32 v6, s22, v8
	v_ashrrev_i32_e32 v7, 31, v6
	v_mad_u64_u32 v[8:9], s[2:3], s6, v11, 0
	v_lshlrev_b64 v[2:3], 3, v[2:3]
	v_lshlrev_b64 v[6:7], 3, v[6:7]
	s_add_u32 s0, s16, s0
	v_add_co_u32_e64 v16, s[2:3], v2, v6
	s_addc_u32 s1, s17, s1
	v_addc_co_u32_e64 v3, s[2:3], v3, v7, s[2:3]
	v_mov_b32_e32 v2, v9
	s_load_dwordx2 s[4:5], s[0:1], 0x0
	v_mad_u64_u32 v[6:7], s[2:3], s7, v11, v[2:3]
	v_add_u32_e32 v13, 0x800, v5
	v_ashrrev_i32_e32 v5, 31, v4
	v_mov_b32_e32 v9, v6
	v_cmp_gt_i32_e64 s[0:1], s24, v4
	s_waitcnt lgkmcnt(0)
	v_mov_b32_e32 v17, s5
	v_add_co_u32_e64 v2, s[2:3], s4, v16
	v_lshlrev_b64 v[6:7], 3, v[8:9]
	v_lshlrev_b64 v[4:5], 3, v[4:5]
	v_addc_co_u32_e64 v3, s[2:3], v17, v3, s[2:3]
	v_add_co_u32_e64 v4, s[2:3], v6, v4
	v_addc_co_u32_e64 v5, s[2:3], v7, v5, s[2:3]
	v_mov_b32_e32 v6, s27
	v_add_co_u32_e64 v4, s[2:3], s26, v4
	v_addc_co_u32_e64 v5, s[2:3], v6, v5, s[2:3]
	s_lshl_b64 s[4:5], s[18:19], 6
	s_lshl_b64 s[2:3], s[6:7], 6
	v_mov_b32_e32 v8, s12
	v_lshlrev_b32_e32 v14, 3, v0
	s_mov_b64 s[6:7], 0
	s_xor_b64 s[16:17], vcc, -1
	s_xor_b64 s[18:19], s[0:1], -1
	v_mov_b32_e32 v16, s5
	v_mov_b32_e32 v17, s3
	;; [unrolled: 1-line block ×12, first 2 shown]
	s_branch .LBB1767_3
.LBB1767_2:                             ;   in Loop: Header=BB1767_3 Depth=1
	s_or_b64 exec, exec, s[0:1]
	ds_write_b32 v13, v7 offset:4
	s_waitcnt lgkmcnt(0)
	s_barrier
	ds_read2_b64 v[26:29], v14 offset1:16
	ds_read_b128 v[30:33], v15
	ds_read_b128 v[34:37], v15 offset:16
	s_add_u32 s6, s6, 8
	v_add_co_u32_e32 v2, vcc, s4, v2
	s_waitcnt lgkmcnt(1)
	v_mul_f32_e32 v38, v30, v27
	v_fmac_f32_e32 v38, v31, v26
	v_add_f32_e32 v42, v25, v38
	ds_read_b128 v[38:41], v15 offset:1024
	v_mul_f32_e32 v7, v31, v27
	v_fma_f32 v7, v30, v26, -v7
	v_add_f32_e32 v7, v24, v7
	v_mul_f32_e32 v24, v31, v29
	v_mul_f32_e32 v25, v30, v29
	v_fma_f32 v24, v30, v28, -v24
	v_fmac_f32_e32 v25, v31, v28
	v_add_f32_e32 v30, v22, v24
	v_add_f32_e32 v31, v23, v25
	ds_read_b128 v[22:25], v15 offset:1040
	s_waitcnt lgkmcnt(1)
	v_mul_f32_e32 v43, v39, v27
	v_mul_f32_e32 v44, v38, v27
	v_fma_f32 v43, v38, v26, -v43
	v_fmac_f32_e32 v44, v39, v26
	v_mul_f32_e32 v26, v39, v29
	v_fma_f32 v45, v38, v28, -v26
	v_mul_f32_e32 v38, v38, v29
	v_fmac_f32_e32 v38, v39, v28
	ds_read2_b64 v[26:29], v14 offset0:32 offset1:48
	v_add_f32_e32 v39, v20, v45
	v_add_f32_e32 v38, v21, v38
	;; [unrolled: 1-line block ×4, first 2 shown]
	s_waitcnt lgkmcnt(0)
	v_mul_f32_e32 v20, v33, v27
	v_fma_f32 v20, v32, v26, -v20
	v_mul_f32_e32 v21, v32, v27
	v_fmac_f32_e32 v21, v33, v26
	v_add_f32_e32 v7, v7, v20
	v_mul_f32_e32 v20, v33, v29
	v_add_f32_e32 v42, v42, v21
	v_fma_f32 v20, v32, v28, -v20
	v_mul_f32_e32 v21, v32, v29
	v_fmac_f32_e32 v21, v33, v28
	v_add_f32_e32 v30, v30, v20
	v_mul_f32_e32 v20, v41, v27
	v_add_f32_e32 v31, v31, v21
	;; [unrolled: 6-line block ×3, first 2 shown]
	v_fma_f32 v32, v40, v28, -v18
	ds_read2_b64 v[18:21], v14 offset0:64 offset1:80
	v_mul_f32_e32 v29, v40, v29
	v_fmac_f32_e32 v29, v41, v28
	v_add_f32_e32 v33, v38, v29
	v_add_f32_e32 v32, v39, v32
	s_waitcnt lgkmcnt(0)
	v_mul_f32_e32 v28, v35, v19
	v_fma_f32 v28, v34, v18, -v28
	v_mul_f32_e32 v29, v34, v19
	v_add_f32_e32 v7, v7, v28
	v_mul_f32_e32 v28, v35, v21
	v_fmac_f32_e32 v29, v35, v18
	v_fma_f32 v28, v34, v20, -v28
	v_add_f32_e32 v38, v42, v29
	v_mul_f32_e32 v29, v34, v21
	v_add_f32_e32 v30, v30, v28
	v_mul_f32_e32 v28, v23, v19
	v_mul_f32_e32 v19, v22, v19
	v_fmac_f32_e32 v29, v35, v20
	v_fma_f32 v28, v22, v18, -v28
	v_fmac_f32_e32 v19, v23, v18
	v_add_f32_e32 v31, v31, v29
	v_add_f32_e32 v34, v26, v28
	;; [unrolled: 1-line block ×3, first 2 shown]
	ds_read2_b64 v[26:29], v14 offset0:96 offset1:112
	v_mul_f32_e32 v18, v23, v21
	v_fma_f32 v39, v22, v20, -v18
	v_mul_f32_e32 v22, v22, v21
	v_fmac_f32_e32 v22, v23, v20
	v_add_f32_e32 v23, v32, v39
	s_waitcnt lgkmcnt(0)
	v_mul_f32_e32 v32, v37, v27
	v_fma_f32 v32, v36, v26, -v32
	v_add_f32_e32 v22, v33, v22
	v_mul_f32_e32 v33, v36, v27
	v_add_f32_e32 v7, v7, v32
	v_mul_f32_e32 v32, v37, v29
	v_fmac_f32_e32 v33, v37, v26
	v_fma_f32 v32, v36, v28, -v32
	v_add_f32_e32 v38, v38, v33
	v_mul_f32_e32 v33, v36, v29
	v_add_f32_e32 v39, v30, v32
	v_mul_f32_e32 v30, v25, v27
	v_fmac_f32_e32 v33, v37, v28
	v_fma_f32 v30, v24, v26, -v30
	ds_read_b128 v[18:21], v15 offset:32
	v_add_f32_e32 v40, v31, v33
	v_add_f32_e32 v42, v34, v30
	ds_read2_b64 v[30:33], v14 offset0:128 offset1:144
	v_mul_f32_e32 v27, v24, v27
	v_fmac_f32_e32 v27, v25, v26
	v_mul_f32_e32 v26, v25, v29
	v_fma_f32 v26, v24, v28, -v26
	v_mul_f32_e32 v24, v24, v29
	v_fmac_f32_e32 v24, v25, v28
	v_add_f32_e32 v43, v35, v27
	v_add_f32_e32 v23, v23, v26
	;; [unrolled: 1-line block ×3, first 2 shown]
	ds_read_b128 v[24:27], v15 offset:48
	s_waitcnt lgkmcnt(1)
	v_mul_f32_e32 v28, v19, v31
	ds_read_b128 v[34:37], v15 offset:1056
	v_fma_f32 v28, v18, v30, -v28
	v_add_f32_e32 v7, v7, v28
	v_mul_f32_e32 v28, v19, v33
	v_mul_f32_e32 v29, v18, v31
	v_fma_f32 v28, v18, v32, -v28
	v_mul_f32_e32 v18, v18, v33
	v_fmac_f32_e32 v29, v19, v30
	v_fmac_f32_e32 v18, v19, v32
	v_add_f32_e32 v44, v38, v29
	v_add_f32_e32 v19, v39, v28
	;; [unrolled: 1-line block ×3, first 2 shown]
	ds_read_b128 v[38:41], v15 offset:1072
	s_waitcnt lgkmcnt(1)
	v_mul_f32_e32 v28, v35, v31
	v_fma_f32 v45, v34, v30, -v28
	v_mul_f32_e32 v46, v34, v31
	v_mul_f32_e32 v28, v35, v33
	v_fmac_f32_e32 v46, v35, v30
	v_fma_f32 v47, v34, v32, -v28
	ds_read2_b64 v[28:31], v14 offset0:160 offset1:176
	v_mul_f32_e32 v33, v34, v33
	v_fmac_f32_e32 v33, v35, v32
	v_add_f32_e32 v22, v22, v33
	v_add_f32_e32 v32, v42, v45
	s_waitcnt lgkmcnt(0)
	v_mul_f32_e32 v33, v21, v29
	v_mul_f32_e32 v35, v20, v29
	v_fma_f32 v33, v20, v28, -v33
	v_fmac_f32_e32 v35, v21, v28
	v_add_f32_e32 v7, v7, v33
	v_add_f32_e32 v33, v44, v35
	v_mul_f32_e32 v35, v21, v31
	v_fma_f32 v35, v20, v30, -v35
	v_mul_f32_e32 v20, v20, v31
	v_fmac_f32_e32 v20, v21, v30
	v_add_f32_e32 v42, v18, v20
	v_mul_f32_e32 v18, v37, v29
	v_add_f32_e32 v35, v19, v35
	v_fma_f32 v18, v36, v28, -v18
	v_mul_f32_e32 v19, v36, v29
	v_add_f32_e32 v34, v43, v46
	v_fmac_f32_e32 v19, v37, v28
	v_add_f32_e32 v28, v32, v18
	v_mul_f32_e32 v18, v37, v31
	v_add_f32_e32 v29, v34, v19
	v_fma_f32 v32, v36, v30, -v18
	ds_read2_b64 v[18:21], v14 offset0:192 offset1:208
	v_mul_f32_e32 v31, v36, v31
	v_fmac_f32_e32 v31, v37, v30
	v_add_f32_e32 v22, v22, v31
	v_add_f32_e32 v23, v23, v47
	s_waitcnt lgkmcnt(0)
	v_mul_f32_e32 v30, v25, v19
	v_fma_f32 v30, v24, v18, -v30
	v_add_f32_e32 v7, v7, v30
	v_mul_f32_e32 v30, v25, v21
	v_mul_f32_e32 v31, v24, v19
	v_fma_f32 v30, v24, v20, -v30
	v_mul_f32_e32 v24, v24, v21
	v_fmac_f32_e32 v24, v25, v20
	v_add_f32_e32 v34, v42, v24
	v_mul_f32_e32 v24, v39, v19
	v_mul_f32_e32 v19, v38, v19
	v_fmac_f32_e32 v31, v25, v18
	v_fma_f32 v24, v38, v18, -v24
	v_fmac_f32_e32 v19, v39, v18
	v_add_f32_e32 v23, v23, v32
	v_add_f32_e32 v32, v33, v31
	;; [unrolled: 1-line block ×5, first 2 shown]
	ds_read2_b64 v[28:31], v14 offset0:224 offset1:240
	v_mul_f32_e32 v24, v39, v21
	v_mul_f32_e32 v21, v38, v21
	v_fmac_f32_e32 v21, v39, v20
	v_add_f32_e32 v21, v22, v21
	s_waitcnt lgkmcnt(0)
	v_mul_f32_e32 v22, v27, v29
	v_fma_f32 v24, v38, v20, -v24
	v_fma_f32 v22, v26, v28, -v22
	v_add_f32_e32 v20, v23, v24
	v_mul_f32_e32 v23, v26, v29
	v_add_f32_e32 v24, v7, v22
	v_mul_f32_e32 v7, v27, v31
	v_fmac_f32_e32 v23, v27, v28
	v_fma_f32 v7, v26, v30, -v7
	v_add_f32_e32 v25, v32, v23
	v_mul_f32_e32 v23, v26, v31
	v_add_f32_e32 v22, v33, v7
	v_mul_f32_e32 v7, v41, v29
	v_mul_f32_e32 v26, v40, v29
	v_fma_f32 v7, v40, v28, -v7
	v_fmac_f32_e32 v26, v41, v28
	s_addc_u32 s7, s7, 0
	v_addc_co_u32_e32 v3, vcc, v3, v16, vcc
	v_add_f32_e32 v18, v18, v7
	v_add_f32_e32 v19, v19, v26
	v_mul_f32_e32 v7, v41, v31
	v_mul_f32_e32 v26, v40, v31
	v_cmp_ge_i64_e32 vcc, s[6:7], v[8:9]
	v_fmac_f32_e32 v23, v27, v30
	v_fma_f32 v7, v40, v30, -v7
	v_fmac_f32_e32 v26, v41, v30
	v_add_co_u32_e64 v4, s[0:1], s2, v4
	v_add_f32_e32 v23, v34, v23
	v_add_f32_e32 v20, v20, v7
	;; [unrolled: 1-line block ×3, first 2 shown]
	v_addc_co_u32_e64 v5, s[0:1], v5, v17, s[0:1]
	s_barrier
	s_cbranch_vccnz .LBB1767_12
.LBB1767_3:                             ; =>This Inner Loop Header: Depth=1
	v_mov_b32_e32 v7, s7
	v_add_co_u32_e32 v26, vcc, s6, v10
	v_addc_co_u32_e32 v27, vcc, 0, v7, vcc
	v_cmp_le_i64_e32 vcc, s[12:13], v[26:27]
	s_or_b64 s[0:1], s[16:17], vcc
	s_and_saveexec_b64 s[26:27], s[0:1]
	s_xor_b64 s[0:1], exec, s[26:27]
; %bb.4:                                ;   in Loop: Header=BB1767_3 Depth=1
	v_mov_b32_e32 v7, v6
	ds_write_b64 v12, v[6:7]
; %bb.5:                                ;   in Loop: Header=BB1767_3 Depth=1
	s_andn2_saveexec_b64 s[0:1], s[0:1]
	s_cbranch_execz .LBB1767_7
; %bb.6:                                ;   in Loop: Header=BB1767_3 Depth=1
	flat_load_dwordx2 v[26:27], v[2:3]
	s_waitcnt vmcnt(0) lgkmcnt(0)
	ds_write_b64 v12, v[26:27]
.LBB1767_7:                             ;   in Loop: Header=BB1767_3 Depth=1
	s_or_b64 exec, exec, s[0:1]
	v_mov_b32_e32 v7, s7
	v_add_co_u32_e32 v26, vcc, s6, v11
	v_addc_co_u32_e32 v27, vcc, 0, v7, vcc
	v_cmp_le_i64_e32 vcc, s[12:13], v[26:27]
	s_or_b64 s[0:1], vcc, s[18:19]
	s_and_saveexec_b64 s[26:27], s[0:1]
	s_xor_b64 s[0:1], exec, s[26:27]
; %bb.8:                                ;   in Loop: Header=BB1767_3 Depth=1
	ds_write_b32 v13, v6
; %bb.9:                                ;   in Loop: Header=BB1767_3 Depth=1
	s_or_saveexec_b64 s[0:1], s[0:1]
	v_mov_b32_e32 v7, 0
	s_xor_b64 exec, exec, s[0:1]
	s_cbranch_execz .LBB1767_2
; %bb.10:                               ;   in Loop: Header=BB1767_3 Depth=1
	flat_load_dwordx2 v[26:27], v[4:5]
	s_waitcnt vmcnt(0) lgkmcnt(0)
	v_xor_b32_e32 v7, 0x80000000, v27
	ds_write_b32 v13, v26
	s_branch .LBB1767_2
.LBB1767_11:
	v_mov_b32_e32 v24, 0
	v_mov_b32_e32 v25, 0
	;; [unrolled: 1-line block ×8, first 2 shown]
.LBB1767_12:
	v_add_u32_e32 v5, s23, v1
	v_ashrrev_i32_e32 v1, 31, v5
	v_mul_lo_u32 v3, s10, v1
	v_mul_lo_u32 v4, s11, v5
	v_mad_u64_u32 v[1:2], s[0:1], s10, v5, 0
	v_add_u32_e32 v0, s22, v0
	v_cmp_gt_i32_e32 vcc, s24, v5
	v_add3_u32 v2, v2, v3, v4
	v_lshlrev_b64 v[1:2], 3, v[1:2]
	s_waitcnt lgkmcnt(0)
	v_mov_b32_e32 v3, s9
	v_add_co_u32_e64 v4, s[0:1], s8, v1
	v_addc_co_u32_e64 v6, s[0:1], v3, v2, s[0:1]
	v_cmp_le_i32_e64 s[0:1], v0, v5
	s_and_b64 s[0:1], vcc, s[0:1]
	s_and_saveexec_b64 s[2:3], s[0:1]
	s_cbranch_execz .LBB1767_15
; %bb.13:
	v_ashrrev_i32_e32 v1, 31, v0
	v_lshlrev_b64 v[1:2], 3, v[0:1]
	v_mul_f32_e32 v3, s15, v25
	v_add_co_u32_e64 v1, s[0:1], v4, v1
	v_addc_co_u32_e64 v2, s[0:1], v6, v2, s[0:1]
	flat_load_dwordx2 v[7:8], v[1:2]
	v_mul_f32_e32 v9, s14, v25
	v_fma_f32 v3, v24, s14, -v3
	v_fmac_f32_e32 v9, s15, v24
	v_cmp_eq_u32_e64 s[0:1], v5, v0
	s_waitcnt vmcnt(0) lgkmcnt(0)
	v_mul_f32_e32 v10, s21, v8
	v_mul_f32_e32 v8, s20, v8
	v_fma_f32 v10, v7, s20, -v10
	v_fmac_f32_e32 v8, s21, v7
	v_add_f32_e32 v7, v3, v10
	v_add_f32_e32 v8, v9, v8
	flat_store_dwordx2 v[1:2], v[7:8]
	s_and_b64 exec, exec, s[0:1]
	s_cbranch_execz .LBB1767_15
; %bb.14:
	v_mov_b32_e32 v3, 0
	flat_store_dword v[1:2], v3 offset:4
.LBB1767_15:
	s_or_b64 exec, exec, s[2:3]
	v_add_u32_e32 v2, 16, v0
	v_cmp_le_i32_e64 s[0:1], v2, v5
	s_and_b64 s[2:3], vcc, s[0:1]
	s_and_saveexec_b64 s[0:1], s[2:3]
	s_cbranch_execz .LBB1767_18
; %bb.16:
	v_ashrrev_i32_e32 v3, 31, v2
	v_lshlrev_b64 v[7:8], 3, v[2:3]
	v_mul_f32_e32 v1, s15, v23
	v_add_co_u32_e32 v3, vcc, v4, v7
	v_addc_co_u32_e32 v4, vcc, v6, v8, vcc
	flat_load_dwordx2 v[6:7], v[3:4]
	v_mul_f32_e32 v8, s14, v23
	v_fma_f32 v1, v22, s14, -v1
	v_fmac_f32_e32 v8, s15, v22
	v_cmp_eq_u32_e32 vcc, v5, v2
	s_waitcnt vmcnt(0) lgkmcnt(0)
	v_mul_f32_e32 v9, s21, v7
	v_mul_f32_e32 v7, s20, v7
	v_fma_f32 v9, v6, s20, -v9
	v_fmac_f32_e32 v7, s21, v6
	v_add_f32_e32 v6, v1, v9
	v_add_f32_e32 v7, v8, v7
	flat_store_dwordx2 v[3:4], v[6:7]
	s_and_b64 exec, exec, vcc
	s_cbranch_execz .LBB1767_18
; %bb.17:
	v_mov_b32_e32 v1, 0
	flat_store_dword v[3:4], v1 offset:4
.LBB1767_18:
	s_or_b64 exec, exec, s[0:1]
	v_add_u32_e32 v8, 16, v5
	v_ashrrev_i32_e32 v1, 31, v8
	v_mul_lo_u32 v1, s10, v1
	v_mul_lo_u32 v6, s11, v8
	v_mad_u64_u32 v[3:4], s[0:1], s10, v8, 0
	v_cmp_gt_i32_e32 vcc, s24, v8
	v_add3_u32 v4, v4, v1, v6
	v_lshlrev_b64 v[3:4], 3, v[3:4]
	v_mov_b32_e32 v1, s9
	v_add_co_u32_e64 v6, s[0:1], s8, v3
	v_addc_co_u32_e64 v7, s[0:1], v1, v4, s[0:1]
	v_cmp_le_i32_e64 s[0:1], v0, v8
	s_and_b64 s[0:1], vcc, s[0:1]
	s_and_saveexec_b64 s[2:3], s[0:1]
	s_cbranch_execz .LBB1767_21
; %bb.19:
	v_ashrrev_i32_e32 v1, 31, v0
	v_lshlrev_b64 v[3:4], 3, v[0:1]
	v_mul_f32_e32 v1, s15, v19
	v_add_co_u32_e64 v3, s[0:1], v6, v3
	v_addc_co_u32_e64 v4, s[0:1], v7, v4, s[0:1]
	flat_load_dwordx2 v[9:10], v[3:4]
	v_mul_f32_e32 v11, s14, v19
	v_fma_f32 v1, v18, s14, -v1
	v_fmac_f32_e32 v11, s15, v18
	v_cmp_eq_u32_e64 s[0:1], v8, v0
	s_waitcnt vmcnt(0) lgkmcnt(0)
	v_mul_f32_e32 v12, s21, v10
	v_mul_f32_e32 v10, s20, v10
	v_fma_f32 v12, v9, s20, -v12
	v_fmac_f32_e32 v10, s21, v9
	v_add_f32_e32 v9, v1, v12
	v_add_f32_e32 v10, v11, v10
	flat_store_dwordx2 v[3:4], v[9:10]
	s_and_b64 exec, exec, s[0:1]
	s_cbranch_execz .LBB1767_21
; %bb.20:
	v_mov_b32_e32 v1, 0
	flat_store_dword v[3:4], v1 offset:4
.LBB1767_21:
	s_or_b64 exec, exec, s[2:3]
	v_cmp_le_i32_e64 s[0:1], v2, v8
	s_and_b64 s[0:1], vcc, s[0:1]
	s_and_saveexec_b64 s[2:3], s[0:1]
	s_cbranch_execz .LBB1767_24
; %bb.22:
	v_ashrrev_i32_e32 v3, 31, v2
	v_lshlrev_b64 v[1:2], 3, v[2:3]
	v_add_co_u32_e32 v1, vcc, v6, v1
	v_addc_co_u32_e32 v2, vcc, v7, v2, vcc
	flat_load_dwordx2 v[3:4], v[1:2]
	v_mul_f32_e32 v6, s15, v21
	v_mul_f32_e32 v7, s14, v21
	v_fma_f32 v6, v20, s14, -v6
	v_fmac_f32_e32 v7, s15, v20
	v_cmp_eq_u32_e32 vcc, v5, v0
	s_waitcnt vmcnt(0) lgkmcnt(0)
	v_mul_f32_e32 v8, s21, v4
	v_mul_f32_e32 v4, s20, v4
	v_fma_f32 v8, v3, s20, -v8
	v_fmac_f32_e32 v4, s21, v3
	v_add_f32_e32 v3, v6, v8
	v_add_f32_e32 v4, v7, v4
	flat_store_dwordx2 v[1:2], v[3:4]
	s_and_b64 exec, exec, vcc
	s_cbranch_execz .LBB1767_24
; %bb.23:
	v_mov_b32_e32 v0, 0
	flat_store_dword v[1:2], v0 offset:4
.LBB1767_24:
	s_endpgm
	.section	.rodata,"a",@progbits
	.p2align	6, 0x0
	.amdhsa_kernel _ZL34rocblas_syrkx_herkx_general_kernelIl19rocblas_complex_numIfELi16ELi32ELi8ELb0ELb1ELc78ELc85EKPKS1_KPS1_EviT_T0_PT8_S7_lSA_S7_lS8_PT9_S7_li
		.amdhsa_group_segment_fixed_size 4096
		.amdhsa_private_segment_fixed_size 0
		.amdhsa_kernarg_size 108
		.amdhsa_user_sgpr_count 6
		.amdhsa_user_sgpr_private_segment_buffer 1
		.amdhsa_user_sgpr_dispatch_ptr 0
		.amdhsa_user_sgpr_queue_ptr 0
		.amdhsa_user_sgpr_kernarg_segment_ptr 1
		.amdhsa_user_sgpr_dispatch_id 0
		.amdhsa_user_sgpr_flat_scratch_init 0
		.amdhsa_user_sgpr_private_segment_size 0
		.amdhsa_uses_dynamic_stack 0
		.amdhsa_system_sgpr_private_segment_wavefront_offset 0
		.amdhsa_system_sgpr_workgroup_id_x 1
		.amdhsa_system_sgpr_workgroup_id_y 1
		.amdhsa_system_sgpr_workgroup_id_z 1
		.amdhsa_system_sgpr_workgroup_info 0
		.amdhsa_system_vgpr_workitem_id 1
		.amdhsa_next_free_vgpr 48
		.amdhsa_next_free_sgpr 28
		.amdhsa_reserve_vcc 1
		.amdhsa_reserve_flat_scratch 0
		.amdhsa_float_round_mode_32 0
		.amdhsa_float_round_mode_16_64 0
		.amdhsa_float_denorm_mode_32 3
		.amdhsa_float_denorm_mode_16_64 3
		.amdhsa_dx10_clamp 1
		.amdhsa_ieee_mode 1
		.amdhsa_fp16_overflow 0
		.amdhsa_exception_fp_ieee_invalid_op 0
		.amdhsa_exception_fp_denorm_src 0
		.amdhsa_exception_fp_ieee_div_zero 0
		.amdhsa_exception_fp_ieee_overflow 0
		.amdhsa_exception_fp_ieee_underflow 0
		.amdhsa_exception_fp_ieee_inexact 0
		.amdhsa_exception_int_div_zero 0
	.end_amdhsa_kernel
	.section	.text._ZL34rocblas_syrkx_herkx_general_kernelIl19rocblas_complex_numIfELi16ELi32ELi8ELb0ELb1ELc78ELc85EKPKS1_KPS1_EviT_T0_PT8_S7_lSA_S7_lS8_PT9_S7_li,"axG",@progbits,_ZL34rocblas_syrkx_herkx_general_kernelIl19rocblas_complex_numIfELi16ELi32ELi8ELb0ELb1ELc78ELc85EKPKS1_KPS1_EviT_T0_PT8_S7_lSA_S7_lS8_PT9_S7_li,comdat
.Lfunc_end1767:
	.size	_ZL34rocblas_syrkx_herkx_general_kernelIl19rocblas_complex_numIfELi16ELi32ELi8ELb0ELb1ELc78ELc85EKPKS1_KPS1_EviT_T0_PT8_S7_lSA_S7_lS8_PT9_S7_li, .Lfunc_end1767-_ZL34rocblas_syrkx_herkx_general_kernelIl19rocblas_complex_numIfELi16ELi32ELi8ELb0ELb1ELc78ELc85EKPKS1_KPS1_EviT_T0_PT8_S7_lSA_S7_lS8_PT9_S7_li
                                        ; -- End function
	.set _ZL34rocblas_syrkx_herkx_general_kernelIl19rocblas_complex_numIfELi16ELi32ELi8ELb0ELb1ELc78ELc85EKPKS1_KPS1_EviT_T0_PT8_S7_lSA_S7_lS8_PT9_S7_li.num_vgpr, 48
	.set _ZL34rocblas_syrkx_herkx_general_kernelIl19rocblas_complex_numIfELi16ELi32ELi8ELb0ELb1ELc78ELc85EKPKS1_KPS1_EviT_T0_PT8_S7_lSA_S7_lS8_PT9_S7_li.num_agpr, 0
	.set _ZL34rocblas_syrkx_herkx_general_kernelIl19rocblas_complex_numIfELi16ELi32ELi8ELb0ELb1ELc78ELc85EKPKS1_KPS1_EviT_T0_PT8_S7_lSA_S7_lS8_PT9_S7_li.numbered_sgpr, 28
	.set _ZL34rocblas_syrkx_herkx_general_kernelIl19rocblas_complex_numIfELi16ELi32ELi8ELb0ELb1ELc78ELc85EKPKS1_KPS1_EviT_T0_PT8_S7_lSA_S7_lS8_PT9_S7_li.num_named_barrier, 0
	.set _ZL34rocblas_syrkx_herkx_general_kernelIl19rocblas_complex_numIfELi16ELi32ELi8ELb0ELb1ELc78ELc85EKPKS1_KPS1_EviT_T0_PT8_S7_lSA_S7_lS8_PT9_S7_li.private_seg_size, 0
	.set _ZL34rocblas_syrkx_herkx_general_kernelIl19rocblas_complex_numIfELi16ELi32ELi8ELb0ELb1ELc78ELc85EKPKS1_KPS1_EviT_T0_PT8_S7_lSA_S7_lS8_PT9_S7_li.uses_vcc, 1
	.set _ZL34rocblas_syrkx_herkx_general_kernelIl19rocblas_complex_numIfELi16ELi32ELi8ELb0ELb1ELc78ELc85EKPKS1_KPS1_EviT_T0_PT8_S7_lSA_S7_lS8_PT9_S7_li.uses_flat_scratch, 0
	.set _ZL34rocblas_syrkx_herkx_general_kernelIl19rocblas_complex_numIfELi16ELi32ELi8ELb0ELb1ELc78ELc85EKPKS1_KPS1_EviT_T0_PT8_S7_lSA_S7_lS8_PT9_S7_li.has_dyn_sized_stack, 0
	.set _ZL34rocblas_syrkx_herkx_general_kernelIl19rocblas_complex_numIfELi16ELi32ELi8ELb0ELb1ELc78ELc85EKPKS1_KPS1_EviT_T0_PT8_S7_lSA_S7_lS8_PT9_S7_li.has_recursion, 0
	.set _ZL34rocblas_syrkx_herkx_general_kernelIl19rocblas_complex_numIfELi16ELi32ELi8ELb0ELb1ELc78ELc85EKPKS1_KPS1_EviT_T0_PT8_S7_lSA_S7_lS8_PT9_S7_li.has_indirect_call, 0
	.section	.AMDGPU.csdata,"",@progbits
; Kernel info:
; codeLenInByte = 2504
; TotalNumSgprs: 32
; NumVgprs: 48
; ScratchSize: 0
; MemoryBound: 1
; FloatMode: 240
; IeeeMode: 1
; LDSByteSize: 4096 bytes/workgroup (compile time only)
; SGPRBlocks: 3
; VGPRBlocks: 11
; NumSGPRsForWavesPerEU: 32
; NumVGPRsForWavesPerEU: 48
; Occupancy: 5
; WaveLimiterHint : 1
; COMPUTE_PGM_RSRC2:SCRATCH_EN: 0
; COMPUTE_PGM_RSRC2:USER_SGPR: 6
; COMPUTE_PGM_RSRC2:TRAP_HANDLER: 0
; COMPUTE_PGM_RSRC2:TGID_X_EN: 1
; COMPUTE_PGM_RSRC2:TGID_Y_EN: 1
; COMPUTE_PGM_RSRC2:TGID_Z_EN: 1
; COMPUTE_PGM_RSRC2:TIDIG_COMP_CNT: 1
	.section	.text._ZL26rocblas_syr2k_scale_kernelIlLi128ELi8ELb1E19rocblas_complex_numIfES1_PKPS1_EvbiT_T3_T4_T5_S5_li,"axG",@progbits,_ZL26rocblas_syr2k_scale_kernelIlLi128ELi8ELb1E19rocblas_complex_numIfES1_PKPS1_EvbiT_T3_T4_T5_S5_li,comdat
	.globl	_ZL26rocblas_syr2k_scale_kernelIlLi128ELi8ELb1E19rocblas_complex_numIfES1_PKPS1_EvbiT_T3_T4_T5_S5_li ; -- Begin function _ZL26rocblas_syr2k_scale_kernelIlLi128ELi8ELb1E19rocblas_complex_numIfES1_PKPS1_EvbiT_T3_T4_T5_S5_li
	.p2align	8
	.type	_ZL26rocblas_syr2k_scale_kernelIlLi128ELi8ELb1E19rocblas_complex_numIfES1_PKPS1_EvbiT_T3_T4_T5_S5_li,@function
_ZL26rocblas_syr2k_scale_kernelIlLi128ELi8ELb1E19rocblas_complex_numIfES1_PKPS1_EvbiT_T3_T4_T5_S5_li: ; @_ZL26rocblas_syr2k_scale_kernelIlLi128ELi8ELb1E19rocblas_complex_numIfES1_PKPS1_EvbiT_T3_T4_T5_S5_li
; %bb.0:
	s_load_dwordx4 s[0:3], s[4:5], 0x10
	s_waitcnt lgkmcnt(0)
	v_cmp_eq_f32_e64 s[10:11], s2, 1.0
	v_cmp_eq_f32_e64 s[12:13], s3, 0
	s_and_b64 s[10:11], s[10:11], s[12:13]
	s_andn2_b64 vcc, exec, s[10:11]
	s_mov_b64 s[10:11], -1
	s_cbranch_vccnz .LBB1768_3
; %bb.1:
	s_load_dwordx2 s[10:11], s[4:5], 0x8
	s_waitcnt lgkmcnt(0)
	s_cmp_lg_u64 s[10:11], 0
	s_cbranch_scc0 .LBB1768_8
; %bb.2:
	v_cmp_neq_f32_e64 s[10:11], s0, 0
	v_cmp_neq_f32_e64 s[0:1], s1, 0
	s_or_b64 s[10:11], s[10:11], s[0:1]
.LBB1768_3:
	s_and_b64 vcc, exec, s[10:11]
	s_cbranch_vccz .LBB1768_9
; %bb.4:
	s_load_dwordx2 s[0:1], s[4:5], 0x0
	s_load_dword s9, s[4:5], 0x4c
	s_waitcnt lgkmcnt(0)
	s_bitcmp1_b32 s0, 0
	s_cselect_b64 vcc, -1, 0
	s_lshr_b32 s0, s9, 16
	s_and_b32 s9, s9, 0xffff
	s_mul_i32 s6, s6, s9
	s_mul_i32 s7, s7, s0
	v_add_u32_e32 v0, s6, v0
	v_add_u32_e32 v4, s7, v1
	v_cndmask_b32_e32 v1, v4, v0, vcc
	v_cndmask_b32_e32 v2, v0, v4, vcc
	v_max_u32_e32 v3, v0, v4
	v_cmp_gt_u32_e32 vcc, s1, v3
	v_cmp_le_i32_e64 s[0:1], v1, v2
	s_and_b64 s[0:1], vcc, s[0:1]
	s_and_saveexec_b64 s[6:7], s[0:1]
	s_cbranch_execz .LBB1768_9
; %bb.5:
	s_load_dwordx4 s[12:15], s[4:5], 0x20
	s_load_dwordx2 s[0:1], s[4:5], 0x30
	s_mov_b32 s9, 0
	s_lshl_b64 s[4:5], s[8:9], 3
	s_waitcnt lgkmcnt(0)
	v_mad_u64_u32 v[2:3], s[6:7], s14, v4, 0
	s_add_u32 s4, s12, s4
	s_addc_u32 s5, s13, s5
	v_mov_b32_e32 v1, v3
	s_load_dwordx2 s[4:5], s[4:5], 0x0
	v_mad_u64_u32 v[5:6], s[6:7], s15, v4, v[1:2]
	s_lshl_b64 s[0:1], s[0:1], 3
	v_mov_b32_e32 v1, 0
	v_mov_b32_e32 v3, v5
	s_waitcnt lgkmcnt(0)
	s_add_u32 s0, s4, s0
	v_lshlrev_b64 v[2:3], 3, v[2:3]
	s_addc_u32 s1, s5, s1
	v_mov_b32_e32 v5, s1
	v_add_co_u32_e32 v6, vcc, s0, v2
	v_addc_co_u32_e32 v5, vcc, v5, v3, vcc
	v_lshlrev_b64 v[2:3], 3, v[0:1]
	s_or_b32 s0, s2, s3
	v_add_co_u32_e32 v2, vcc, v6, v2
	s_bitset0_b32 s0, 31
	v_addc_co_u32_e32 v3, vcc, v5, v3, vcc
	s_cmp_eq_u32 s0, 0
	v_mov_b32_e32 v5, v1
	s_cbranch_scc1 .LBB1768_7
; %bb.6:
	flat_load_dwordx2 v[6:7], v[2:3]
	s_waitcnt vmcnt(0) lgkmcnt(0)
	v_mul_f32_e32 v1, s3, v7
	v_mul_f32_e32 v5, s2, v7
	v_fma_f32 v1, v6, s2, -v1
	v_fmac_f32_e32 v5, s3, v6
.LBB1768_7:
	v_cmp_ne_u32_e32 vcc, v0, v4
	v_cndmask_b32_e32 v5, 0, v5, vcc
	v_mov_b32_e32 v4, v1
	flat_store_dwordx2 v[2:3], v[4:5]
	s_endpgm
.LBB1768_8:
.LBB1768_9:
	s_endpgm
	.section	.rodata,"a",@progbits
	.p2align	6, 0x0
	.amdhsa_kernel _ZL26rocblas_syr2k_scale_kernelIlLi128ELi8ELb1E19rocblas_complex_numIfES1_PKPS1_EvbiT_T3_T4_T5_S5_li
		.amdhsa_group_segment_fixed_size 0
		.amdhsa_private_segment_fixed_size 0
		.amdhsa_kernarg_size 320
		.amdhsa_user_sgpr_count 6
		.amdhsa_user_sgpr_private_segment_buffer 1
		.amdhsa_user_sgpr_dispatch_ptr 0
		.amdhsa_user_sgpr_queue_ptr 0
		.amdhsa_user_sgpr_kernarg_segment_ptr 1
		.amdhsa_user_sgpr_dispatch_id 0
		.amdhsa_user_sgpr_flat_scratch_init 0
		.amdhsa_user_sgpr_private_segment_size 0
		.amdhsa_uses_dynamic_stack 0
		.amdhsa_system_sgpr_private_segment_wavefront_offset 0
		.amdhsa_system_sgpr_workgroup_id_x 1
		.amdhsa_system_sgpr_workgroup_id_y 1
		.amdhsa_system_sgpr_workgroup_id_z 1
		.amdhsa_system_sgpr_workgroup_info 0
		.amdhsa_system_vgpr_workitem_id 1
		.amdhsa_next_free_vgpr 8
		.amdhsa_next_free_sgpr 16
		.amdhsa_reserve_vcc 1
		.amdhsa_reserve_flat_scratch 0
		.amdhsa_float_round_mode_32 0
		.amdhsa_float_round_mode_16_64 0
		.amdhsa_float_denorm_mode_32 3
		.amdhsa_float_denorm_mode_16_64 3
		.amdhsa_dx10_clamp 1
		.amdhsa_ieee_mode 1
		.amdhsa_fp16_overflow 0
		.amdhsa_exception_fp_ieee_invalid_op 0
		.amdhsa_exception_fp_denorm_src 0
		.amdhsa_exception_fp_ieee_div_zero 0
		.amdhsa_exception_fp_ieee_overflow 0
		.amdhsa_exception_fp_ieee_underflow 0
		.amdhsa_exception_fp_ieee_inexact 0
		.amdhsa_exception_int_div_zero 0
	.end_amdhsa_kernel
	.section	.text._ZL26rocblas_syr2k_scale_kernelIlLi128ELi8ELb1E19rocblas_complex_numIfES1_PKPS1_EvbiT_T3_T4_T5_S5_li,"axG",@progbits,_ZL26rocblas_syr2k_scale_kernelIlLi128ELi8ELb1E19rocblas_complex_numIfES1_PKPS1_EvbiT_T3_T4_T5_S5_li,comdat
.Lfunc_end1768:
	.size	_ZL26rocblas_syr2k_scale_kernelIlLi128ELi8ELb1E19rocblas_complex_numIfES1_PKPS1_EvbiT_T3_T4_T5_S5_li, .Lfunc_end1768-_ZL26rocblas_syr2k_scale_kernelIlLi128ELi8ELb1E19rocblas_complex_numIfES1_PKPS1_EvbiT_T3_T4_T5_S5_li
                                        ; -- End function
	.set _ZL26rocblas_syr2k_scale_kernelIlLi128ELi8ELb1E19rocblas_complex_numIfES1_PKPS1_EvbiT_T3_T4_T5_S5_li.num_vgpr, 8
	.set _ZL26rocblas_syr2k_scale_kernelIlLi128ELi8ELb1E19rocblas_complex_numIfES1_PKPS1_EvbiT_T3_T4_T5_S5_li.num_agpr, 0
	.set _ZL26rocblas_syr2k_scale_kernelIlLi128ELi8ELb1E19rocblas_complex_numIfES1_PKPS1_EvbiT_T3_T4_T5_S5_li.numbered_sgpr, 16
	.set _ZL26rocblas_syr2k_scale_kernelIlLi128ELi8ELb1E19rocblas_complex_numIfES1_PKPS1_EvbiT_T3_T4_T5_S5_li.num_named_barrier, 0
	.set _ZL26rocblas_syr2k_scale_kernelIlLi128ELi8ELb1E19rocblas_complex_numIfES1_PKPS1_EvbiT_T3_T4_T5_S5_li.private_seg_size, 0
	.set _ZL26rocblas_syr2k_scale_kernelIlLi128ELi8ELb1E19rocblas_complex_numIfES1_PKPS1_EvbiT_T3_T4_T5_S5_li.uses_vcc, 1
	.set _ZL26rocblas_syr2k_scale_kernelIlLi128ELi8ELb1E19rocblas_complex_numIfES1_PKPS1_EvbiT_T3_T4_T5_S5_li.uses_flat_scratch, 0
	.set _ZL26rocblas_syr2k_scale_kernelIlLi128ELi8ELb1E19rocblas_complex_numIfES1_PKPS1_EvbiT_T3_T4_T5_S5_li.has_dyn_sized_stack, 0
	.set _ZL26rocblas_syr2k_scale_kernelIlLi128ELi8ELb1E19rocblas_complex_numIfES1_PKPS1_EvbiT_T3_T4_T5_S5_li.has_recursion, 0
	.set _ZL26rocblas_syr2k_scale_kernelIlLi128ELi8ELb1E19rocblas_complex_numIfES1_PKPS1_EvbiT_T3_T4_T5_S5_li.has_indirect_call, 0
	.section	.AMDGPU.csdata,"",@progbits
; Kernel info:
; codeLenInByte = 388
; TotalNumSgprs: 20
; NumVgprs: 8
; ScratchSize: 0
; MemoryBound: 0
; FloatMode: 240
; IeeeMode: 1
; LDSByteSize: 0 bytes/workgroup (compile time only)
; SGPRBlocks: 2
; VGPRBlocks: 1
; NumSGPRsForWavesPerEU: 20
; NumVGPRsForWavesPerEU: 8
; Occupancy: 10
; WaveLimiterHint : 1
; COMPUTE_PGM_RSRC2:SCRATCH_EN: 0
; COMPUTE_PGM_RSRC2:USER_SGPR: 6
; COMPUTE_PGM_RSRC2:TRAP_HANDLER: 0
; COMPUTE_PGM_RSRC2:TGID_X_EN: 1
; COMPUTE_PGM_RSRC2:TGID_Y_EN: 1
; COMPUTE_PGM_RSRC2:TGID_Z_EN: 1
; COMPUTE_PGM_RSRC2:TIDIG_COMP_CNT: 1
	.section	.text._ZL26rocblas_syr2k_her2k_kernelIlLb0ELb1ELb0ELi32EPK19rocblas_complex_numIfEPKS3_PKPS1_EvbiT_T4_T5_S9_lSB_S9_lT6_S9_li,"axG",@progbits,_ZL26rocblas_syr2k_her2k_kernelIlLb0ELb1ELb0ELi32EPK19rocblas_complex_numIfEPKS3_PKPS1_EvbiT_T4_T5_S9_lSB_S9_lT6_S9_li,comdat
	.globl	_ZL26rocblas_syr2k_her2k_kernelIlLb0ELb1ELb0ELi32EPK19rocblas_complex_numIfEPKS3_PKPS1_EvbiT_T4_T5_S9_lSB_S9_lT6_S9_li ; -- Begin function _ZL26rocblas_syr2k_her2k_kernelIlLb0ELb1ELb0ELi32EPK19rocblas_complex_numIfEPKS3_PKPS1_EvbiT_T4_T5_S9_lSB_S9_lT6_S9_li
	.p2align	8
	.type	_ZL26rocblas_syr2k_her2k_kernelIlLb0ELb1ELb0ELi32EPK19rocblas_complex_numIfEPKS3_PKPS1_EvbiT_T4_T5_S9_lSB_S9_lT6_S9_li,@function
_ZL26rocblas_syr2k_her2k_kernelIlLb0ELb1ELb0ELi32EPK19rocblas_complex_numIfEPKS3_PKPS1_EvbiT_T4_T5_S9_lSB_S9_lT6_S9_li: ; @_ZL26rocblas_syr2k_her2k_kernelIlLb0ELb1ELb0ELi32EPK19rocblas_complex_numIfEPKS3_PKPS1_EvbiT_T4_T5_S9_lSB_S9_lT6_S9_li
; %bb.0:
	s_load_dwordx16 s[12:27], s[4:5], 0x8
	s_waitcnt lgkmcnt(0)
	s_load_dwordx2 s[10:11], s[14:15], 0x0
	s_waitcnt lgkmcnt(0)
	v_cmp_eq_f32_e64 s[0:1], s10, 0
	v_cmp_eq_f32_e64 s[2:3], s11, 0
	s_and_b64 s[0:1], s[0:1], s[2:3]
	s_and_b64 vcc, exec, s[0:1]
	s_cbranch_vccnz .LBB1769_13
; %bb.1:
	s_load_dwordx2 s[14:15], s[4:5], 0x0
	s_lshl_b32 s7, s7, 5
	s_lshl_b32 s6, s6, 5
	s_waitcnt lgkmcnt(0)
	s_and_b32 s0, 1, s14
	s_cmp_eq_u32 s0, 1
	s_cselect_b64 s[0:1], -1, 0
	s_and_b64 s[2:3], s[0:1], exec
	s_cselect_b32 s2, s6, s7
	s_cselect_b32 s3, s7, s6
	s_cmp_gt_i32 s2, s3
	s_cbranch_scc1 .LBB1769_13
; %bb.2:
	s_load_dwordx4 s[28:31], s[4:5], 0x48
	s_load_dwordx2 s[34:35], s[4:5], 0x58
	s_mov_b32 s9, 0
	s_lshl_b64 s[2:3], s[8:9], 3
	v_add_u32_e32 v14, s6, v0
	s_waitcnt lgkmcnt(0)
	s_add_u32 s4, s28, s2
	s_addc_u32 s5, s29, s3
	s_load_dwordx2 s[4:5], s[4:5], 0x0
	v_add_u32_e32 v18, s7, v1
	v_cmp_lt_i64_e64 s[6:7], s[12:13], 1
	s_lshl_b64 s[8:9], s[34:35], 3
	v_ashrrev_i32_e32 v17, 31, v14
	s_waitcnt lgkmcnt(0)
	s_add_u32 s14, s4, s8
	s_addc_u32 s28, s5, s9
	s_and_b64 vcc, exec, s[6:7]
	s_cbranch_vccnz .LBB1769_11
; %bb.3:
	s_add_u32 s4, s16, s2
	v_lshlrev_b32_e32 v24, 8, v0
	v_lshlrev_b32_e32 v2, 3, v1
	s_addc_u32 s5, s17, s3
	v_add_u32_e32 v25, v24, v2
	v_or_b32_e32 v26, 0x2000, v2
	v_ashrrev_i32_e32 v2, 31, v18
	s_load_dwordx2 s[16:17], s[4:5], 0x0
	v_mul_lo_u32 v7, s31, v18
	v_mul_lo_u32 v8, s30, v2
	v_mad_u64_u32 v[2:3], s[4:5], s30, v18, 0
	v_cndmask_b32_e64 v4, v14, v18, s[0:1]
	v_cndmask_b32_e64 v5, v18, v14, s[0:1]
	v_max_i32_e32 v6, v14, v18
	s_add_u32 s2, s22, s2
	v_cmp_gt_i32_e32 vcc, s15, v6
	v_cmp_le_i32_e64 s[4:5], v5, v4
	s_addc_u32 s3, s23, s3
	s_and_b64 s[6:7], s[4:5], vcc
	v_add3_u32 v3, v3, v8, v7
	v_mad_u64_u32 v[4:5], s[4:5], s24, v0, 0
	v_lshlrev_b64 v[2:3], 3, v[2:3]
	v_mov_b32_e32 v6, s28
	v_add_co_u32_e32 v7, vcc, s14, v2
	v_mov_b32_e32 v16, v14
	v_addc_co_u32_e32 v8, vcc, v6, v3, vcc
	v_mad_u64_u32 v[5:6], s[4:5], s25, v0, v[5:6]
	v_lshlrev_b64 v[2:3], 3, v[16:17]
	s_lshl_b64 s[4:5], s[26:27], 3
	v_add_co_u32_e32 v20, vcc, v7, v2
	v_addc_co_u32_e32 v21, vcc, v8, v3, vcc
	v_lshlrev_b64 v[2:3], 3, v[4:5]
	v_mov_b32_e32 v4, s5
	v_add_co_u32_e32 v6, vcc, s4, v2
	v_mov_b32_e32 v15, 0
	v_addc_co_u32_e32 v7, vcc, v3, v4, vcc
	v_mad_u64_u32 v[4:5], s[4:5], s18, v1, 0
	v_mov_b32_e32 v19, v15
	v_lshlrev_b64 v[2:3], 3, v[18:19]
	s_load_dwordx2 s[8:9], s[2:3], 0x0
	v_add_co_u32_e32 v6, vcc, v6, v2
	v_mov_b32_e32 v2, v5
	v_addc_co_u32_e32 v7, vcc, v7, v3, vcc
	v_mad_u64_u32 v[2:3], s[4:5], s19, v1, v[2:3]
	s_waitcnt lgkmcnt(0)
	v_mov_b32_e32 v8, s9
	v_add_co_u32_e32 v22, vcc, s8, v6
	v_mov_b32_e32 v5, v2
	v_lshlrev_b64 v[2:3], 3, v[4:5]
	v_addc_co_u32_e32 v23, vcc, v8, v7, vcc
	s_lshl_b64 s[4:5], s[20:21], 3
	v_mov_b32_e32 v4, s5
	v_add_co_u32_e32 v5, vcc, s4, v2
	v_addc_co_u32_e32 v4, vcc, v3, v4, vcc
	v_lshlrev_b64 v[2:3], 3, v[14:15]
	s_ashr_i32 s3, s15, 31
	v_add_co_u32_e32 v2, vcc, v5, v2
	s_mov_b32 s2, s15
	v_addc_co_u32_e32 v3, vcc, v4, v3, vcc
	v_cmp_gt_i64_e64 s[0:1], s[2:3], v[14:15]
	v_cmp_gt_i64_e64 s[2:3], s[2:3], v[18:19]
	v_mov_b32_e32 v4, s17
	v_add_co_u32_e32 v15, vcc, s16, v2
	v_add_u32_e32 v27, v26, v24
	s_lshl_b64 s[8:9], s[24:25], 8
	v_addc_co_u32_e32 v16, vcc, v4, v3, vcc
	s_lshl_b64 s[16:17], s[18:19], 8
	s_mov_b64 s[18:19], 0
	s_branch .LBB1769_5
.LBB1769_4:                             ;   in Loop: Header=BB1769_5 Depth=1
	s_or_b64 exec, exec, s[4:5]
	v_mov_b32_e32 v2, s9
	v_add_co_u32_e32 v22, vcc, s8, v22
	s_add_u32 s18, s18, 32
	v_addc_co_u32_e32 v23, vcc, v23, v2, vcc
	v_mov_b32_e32 v2, s12
	s_addc_u32 s19, s19, 0
	v_mov_b32_e32 v3, s13
	v_cmp_ge_i64_e32 vcc, s[18:19], v[2:3]
	v_mov_b32_e32 v4, s17
	v_add_co_u32_e64 v15, s[4:5], s16, v15
	v_addc_co_u32_e64 v16, s[4:5], v16, v4, s[4:5]
	s_waitcnt vmcnt(0) lgkmcnt(0)
	s_barrier
	s_cbranch_vccnz .LBB1769_11
.LBB1769_5:                             ; =>This Inner Loop Header: Depth=1
	v_mov_b32_e32 v3, s19
	v_add_co_u32_e32 v2, vcc, s18, v1
	v_addc_co_u32_e32 v3, vcc, 0, v3, vcc
	v_cmp_gt_i64_e32 vcc, s[12:13], v[2:3]
	v_mov_b32_e32 v2, 0
	s_and_b64 s[20:21], s[0:1], vcc
	v_mov_b32_e32 v3, 0
	s_and_saveexec_b64 s[4:5], s[20:21]
	s_cbranch_execz .LBB1769_7
; %bb.6:                                ;   in Loop: Header=BB1769_5 Depth=1
	flat_load_dwordx2 v[2:3], v[15:16]
.LBB1769_7:                             ;   in Loop: Header=BB1769_5 Depth=1
	s_or_b64 exec, exec, s[4:5]
	v_mov_b32_e32 v5, s19
	v_add_co_u32_e32 v4, vcc, s18, v0
	v_addc_co_u32_e32 v5, vcc, 0, v5, vcc
	v_cmp_gt_i64_e32 vcc, s[12:13], v[4:5]
	s_waitcnt vmcnt(0) lgkmcnt(0)
	ds_write_b64 v25, v[2:3]
	s_and_b64 s[20:21], s[2:3], vcc
	v_mov_b32_e32 v3, 0
	v_mov_b32_e32 v2, 0
	s_and_saveexec_b64 s[4:5], s[20:21]
	s_cbranch_execz .LBB1769_9
; %bb.8:                                ;   in Loop: Header=BB1769_5 Depth=1
	flat_load_dwordx2 v[2:3], v[22:23]
	s_waitcnt vmcnt(0) lgkmcnt(0)
	v_xor_b32_e32 v3, 0x80000000, v3
.LBB1769_9:                             ;   in Loop: Header=BB1769_5 Depth=1
	s_or_b64 exec, exec, s[4:5]
	ds_write_b64 v27, v[2:3]
	s_waitcnt lgkmcnt(0)
	s_barrier
	s_and_saveexec_b64 s[4:5], s[6:7]
	s_cbranch_execz .LBB1769_4
; %bb.10:                               ;   in Loop: Header=BB1769_5 Depth=1
	ds_read2_b64 v[2:5], v26 offset1:32
	ds_read_b128 v[6:9], v24
	ds_read_b128 v[10:13], v24 offset:16
	ds_read2_b64 v[28:31], v26 offset0:64 offset1:96
	s_waitcnt lgkmcnt(2)
	v_mul_f32_e32 v19, v3, v7
	v_mul_f32_e32 v32, v2, v7
	v_fma_f32 v19, v2, v6, -v19
	v_mul_f32_e32 v2, v5, v9
	v_fma_f32 v33, v4, v8, -v2
	s_waitcnt lgkmcnt(0)
	v_mul_f32_e32 v2, v29, v11
	v_fmac_f32_e32 v32, v3, v6
	v_mul_f32_e32 v34, v4, v9
	v_fma_f32 v35, v28, v10, -v2
	v_mul_f32_e32 v28, v28, v11
	v_mul_f32_e32 v2, v31, v13
	v_fmac_f32_e32 v34, v5, v8
	v_fmac_f32_e32 v28, v29, v10
	v_fma_f32 v29, v30, v12, -v2
	v_mul_f32_e32 v30, v30, v13
	v_add_f32_e32 v10, 0, v19
	v_add_f32_e32 v11, 0, v32
	v_fmac_f32_e32 v30, v31, v12
	ds_read_b128 v[2:5], v24 offset:32
	ds_read_b128 v[6:9], v24 offset:48
	v_add_f32_e32 v19, v10, v33
	v_add_f32_e32 v31, v11, v34
	ds_read2_b64 v[10:13], v26 offset0:128 offset1:160
	v_add_f32_e32 v19, v19, v35
	v_add_f32_e32 v28, v31, v28
	;; [unrolled: 1-line block ×4, first 2 shown]
	s_waitcnt lgkmcnt(0)
	v_mul_f32_e32 v29, v11, v3
	v_mul_f32_e32 v3, v10, v3
	v_fma_f32 v29, v10, v2, -v29
	v_fmac_f32_e32 v3, v11, v2
	v_add_f32_e32 v2, v19, v29
	v_add_f32_e32 v3, v28, v3
	ds_read2_b64 v[28:31], v26 offset0:192 offset1:224
	v_mul_f32_e32 v10, v13, v5
	v_mul_f32_e32 v5, v12, v5
	v_fma_f32 v10, v12, v4, -v10
	v_fmac_f32_e32 v5, v13, v4
	s_waitcnt lgkmcnt(0)
	v_mul_f32_e32 v4, v29, v7
	v_add_f32_e32 v2, v2, v10
	v_add_f32_e32 v3, v3, v5
	v_fma_f32 v4, v28, v6, -v4
	v_mul_f32_e32 v5, v28, v7
	v_fmac_f32_e32 v5, v29, v6
	v_add_f32_e32 v6, v2, v4
	v_mul_f32_e32 v2, v31, v9
	v_add_u32_e32 v32, 0x800, v26
	v_add_f32_e32 v7, v3, v5
	v_fma_f32 v13, v30, v8, -v2
	v_mul_f32_e32 v19, v30, v9
	ds_read_b128 v[2:5], v24 offset:64
	ds_read2_b64 v[9:12], v32 offset1:32
	v_fmac_f32_e32 v19, v31, v8
	ds_read_b128 v[28:31], v24 offset:80
	v_add_f32_e32 v6, v6, v13
	v_add_f32_e32 v7, v7, v19
	s_waitcnt lgkmcnt(1)
	v_mul_f32_e32 v8, v10, v3
	v_fma_f32 v8, v9, v2, -v8
	v_mul_f32_e32 v3, v9, v3
	v_fmac_f32_e32 v3, v10, v2
	v_add_f32_e32 v2, v6, v8
	v_mul_f32_e32 v6, v12, v5
	v_add_f32_e32 v3, v7, v3
	v_fma_f32 v10, v11, v4, -v6
	ds_read2_b64 v[6:9], v32 offset0:64 offset1:96
	v_mul_f32_e32 v5, v11, v5
	v_fmac_f32_e32 v5, v12, v4
	v_add_f32_e32 v2, v2, v10
	v_add_f32_e32 v3, v3, v5
	s_waitcnt lgkmcnt(0)
	v_mul_f32_e32 v4, v7, v29
	v_fma_f32 v4, v6, v28, -v4
	v_mul_f32_e32 v5, v6, v29
	v_fmac_f32_e32 v5, v7, v28
	v_add_f32_e32 v6, v2, v4
	v_mul_f32_e32 v2, v9, v31
	v_add_f32_e32 v7, v3, v5
	v_fma_f32 v19, v8, v30, -v2
	ds_read_b128 v[2:5], v24 offset:96
	ds_read2_b64 v[10:13], v32 offset0:128 offset1:160
	v_mul_f32_e32 v8, v8, v31
	v_fmac_f32_e32 v8, v9, v30
	v_add_f32_e32 v19, v6, v19
	v_add_f32_e32 v28, v7, v8
	s_waitcnt lgkmcnt(0)
	v_mul_f32_e32 v29, v11, v3
	v_mul_f32_e32 v3, v10, v3
	v_fma_f32 v29, v10, v2, -v29
	v_fmac_f32_e32 v3, v11, v2
	ds_read_b128 v[6:9], v24 offset:112
	v_add_f32_e32 v2, v19, v29
	v_add_f32_e32 v3, v28, v3
	ds_read2_b64 v[28:31], v32 offset0:192 offset1:224
	v_mul_f32_e32 v10, v13, v5
	v_mul_f32_e32 v5, v12, v5
	v_fma_f32 v10, v12, v4, -v10
	v_fmac_f32_e32 v5, v13, v4
	s_waitcnt lgkmcnt(0)
	v_mul_f32_e32 v4, v29, v7
	v_add_f32_e32 v2, v2, v10
	v_add_f32_e32 v3, v3, v5
	v_fma_f32 v4, v28, v6, -v4
	v_mul_f32_e32 v5, v28, v7
	v_fmac_f32_e32 v5, v29, v6
	v_add_f32_e32 v6, v2, v4
	v_mul_f32_e32 v2, v31, v9
	v_add_u32_e32 v19, 0x1000, v26
	v_add_f32_e32 v7, v3, v5
	v_fma_f32 v13, v30, v8, -v2
	v_mul_f32_e32 v28, v30, v9
	ds_read_b128 v[2:5], v24 offset:128
	ds_read2_b64 v[9:12], v19 offset1:32
	v_fmac_f32_e32 v28, v31, v8
	v_add_f32_e32 v7, v7, v28
	ds_read_b128 v[28:31], v24 offset:144
	v_add_f32_e32 v6, v6, v13
	s_waitcnt lgkmcnt(1)
	v_mul_f32_e32 v8, v10, v3
	v_mul_f32_e32 v3, v9, v3
	v_fma_f32 v8, v9, v2, -v8
	v_fmac_f32_e32 v3, v10, v2
	v_add_f32_e32 v2, v6, v8
	v_add_f32_e32 v3, v7, v3
	ds_read2_b64 v[7:10], v19 offset0:64 offset1:96
	v_mul_f32_e32 v6, v12, v5
	v_mul_f32_e32 v5, v11, v5
	v_fma_f32 v6, v11, v4, -v6
	v_fmac_f32_e32 v5, v12, v4
	s_waitcnt lgkmcnt(0)
	v_mul_f32_e32 v4, v8, v29
	v_add_f32_e32 v2, v2, v6
	v_add_f32_e32 v3, v3, v5
	v_fma_f32 v4, v7, v28, -v4
	v_mul_f32_e32 v5, v7, v29
	v_fmac_f32_e32 v5, v8, v28
	v_add_f32_e32 v11, v2, v4
	v_mul_f32_e32 v2, v10, v31
	v_add_f32_e32 v12, v3, v5
	v_fma_f32 v13, v9, v30, -v2
	v_mul_f32_e32 v28, v9, v31
	ds_read_b128 v[2:5], v24 offset:160
	ds_read2_b64 v[6:9], v19 offset0:128 offset1:160
	v_fmac_f32_e32 v28, v10, v30
	v_add_f32_e32 v31, v12, v28
	v_add_f32_e32 v30, v11, v13
	ds_read_b128 v[10:13], v24 offset:176
	s_waitcnt lgkmcnt(1)
	v_mul_f32_e32 v28, v7, v3
	v_fma_f32 v32, v6, v2, -v28
	flat_load_dwordx2 v[28:29], v[20:21]
	v_mul_f32_e32 v6, v6, v3
	v_fmac_f32_e32 v6, v7, v2
	v_mul_f32_e32 v2, v9, v5
	v_fma_f32 v7, v8, v4, -v2
	v_mul_f32_e32 v8, v8, v5
	v_fmac_f32_e32 v8, v9, v4
	ds_read2_b64 v[2:5], v19 offset0:192 offset1:224
	v_add_f32_e32 v6, v31, v6
	v_add_f32_e32 v9, v30, v32
	;; [unrolled: 1-line block ×4, first 2 shown]
	s_waitcnt lgkmcnt(0)
	v_mul_f32_e32 v6, v3, v11
	v_fma_f32 v6, v2, v10, -v6
	v_mul_f32_e32 v11, v2, v11
	v_mul_f32_e32 v2, v5, v13
	;; [unrolled: 1-line block ×3, first 2 shown]
	v_add_u32_e32 v31, 0x1800, v26
	v_fmac_f32_e32 v11, v3, v10
	v_add_f32_e32 v10, v7, v6
	v_fma_f32 v30, v4, v12, -v2
	ds_read_b128 v[6:9], v24 offset:192
	v_fmac_f32_e32 v13, v5, v12
	ds_read2_b64 v[2:5], v31 offset1:32
	v_add_f32_e32 v11, v19, v11
	v_add_f32_e32 v19, v10, v30
	;; [unrolled: 1-line block ×3, first 2 shown]
	ds_read_b128 v[10:13], v24 offset:208
	s_waitcnt lgkmcnt(0)
	v_mul_f32_e32 v32, v3, v7
	v_fma_f32 v32, v2, v6, -v32
	v_mul_f32_e32 v7, v2, v7
	v_mul_f32_e32 v2, v5, v9
	;; [unrolled: 1-line block ×3, first 2 shown]
	v_fmac_f32_e32 v7, v3, v6
	v_fma_f32 v6, v4, v8, -v2
	v_fmac_f32_e32 v9, v5, v8
	ds_read2_b64 v[2:5], v31 offset0:64 offset1:96
	v_add_f32_e32 v7, v30, v7
	v_add_f32_e32 v8, v19, v32
	;; [unrolled: 1-line block ×4, first 2 shown]
	s_waitcnt lgkmcnt(0)
	v_mul_f32_e32 v7, v3, v11
	v_fma_f32 v7, v2, v10, -v7
	v_mul_f32_e32 v11, v2, v11
	v_mul_f32_e32 v2, v5, v13
	;; [unrolled: 1-line block ×3, first 2 shown]
	v_fmac_f32_e32 v11, v3, v10
	v_add_f32_e32 v10, v6, v7
	v_fma_f32 v30, v4, v12, -v2
	ds_read_b128 v[6:9], v24 offset:224
	v_fmac_f32_e32 v13, v5, v12
	ds_read2_b64 v[2:5], v31 offset0:128 offset1:160
	v_add_f32_e32 v11, v19, v11
	v_add_f32_e32 v19, v10, v30
	;; [unrolled: 1-line block ×3, first 2 shown]
	ds_read_b128 v[10:13], v24 offset:240
	s_waitcnt lgkmcnt(0)
	v_mul_f32_e32 v32, v3, v7
	v_fma_f32 v32, v2, v6, -v32
	v_mul_f32_e32 v7, v2, v7
	v_mul_f32_e32 v2, v5, v9
	;; [unrolled: 1-line block ×3, first 2 shown]
	v_fmac_f32_e32 v7, v3, v6
	v_fma_f32 v6, v4, v8, -v2
	v_fmac_f32_e32 v9, v5, v8
	ds_read2_b64 v[2:5], v31 offset0:192 offset1:224
	v_add_f32_e32 v8, v19, v32
	v_add_f32_e32 v6, v8, v6
	;; [unrolled: 1-line block ×4, first 2 shown]
	s_waitcnt lgkmcnt(0)
	v_mul_f32_e32 v8, v3, v11
	v_fma_f32 v8, v2, v10, -v8
	v_mul_f32_e32 v2, v2, v11
	v_fmac_f32_e32 v2, v3, v10
	v_add_f32_e32 v3, v6, v8
	v_mul_f32_e32 v6, v5, v13
	v_fma_f32 v6, v4, v12, -v6
	v_mul_f32_e32 v4, v4, v13
	v_add_f32_e32 v2, v7, v2
	v_fmac_f32_e32 v4, v5, v12
	v_add_f32_e32 v2, v2, v4
	v_add_f32_e32 v3, v3, v6
	v_mul_f32_e32 v4, s11, v2
	v_mul_f32_e32 v5, s10, v2
	v_fma_f32 v4, s10, v3, -v4
	v_fmac_f32_e32 v5, s11, v3
	s_waitcnt vmcnt(0)
	v_add_f32_e32 v2, v28, v4
	v_add_f32_e32 v3, v29, v5
	flat_store_dwordx2 v[20:21], v[2:3]
	s_branch .LBB1769_4
.LBB1769_11:
	v_cmp_eq_u32_e32 vcc, v14, v18
	v_cmp_gt_i32_e64 s[0:1], s15, v14
	s_and_b64 s[0:1], vcc, s[0:1]
	s_and_saveexec_b64 s[2:3], s[0:1]
	s_cbranch_execz .LBB1769_13
; %bb.12:
	v_mul_lo_u32 v2, s31, v14
	v_mul_lo_u32 v3, s30, v17
	v_mad_u64_u32 v[0:1], s[0:1], s30, v14, 0
	v_mov_b32_e32 v15, v17
	v_add3_u32 v1, v1, v3, v2
	v_lshlrev_b64 v[0:1], 3, v[0:1]
	v_mov_b32_e32 v2, s28
	v_add_co_u32_e32 v3, vcc, s14, v0
	v_addc_co_u32_e32 v2, vcc, v2, v1, vcc
	v_lshlrev_b64 v[0:1], 3, v[14:15]
	v_add_co_u32_e32 v0, vcc, v3, v0
	v_addc_co_u32_e32 v1, vcc, v2, v1, vcc
	v_mov_b32_e32 v2, 0
	flat_store_dword v[0:1], v2 offset:4
.LBB1769_13:
	s_endpgm
	.section	.rodata,"a",@progbits
	.p2align	6, 0x0
	.amdhsa_kernel _ZL26rocblas_syr2k_her2k_kernelIlLb0ELb1ELb0ELi32EPK19rocblas_complex_numIfEPKS3_PKPS1_EvbiT_T4_T5_S9_lSB_S9_lT6_S9_li
		.amdhsa_group_segment_fixed_size 16384
		.amdhsa_private_segment_fixed_size 0
		.amdhsa_kernarg_size 100
		.amdhsa_user_sgpr_count 6
		.amdhsa_user_sgpr_private_segment_buffer 1
		.amdhsa_user_sgpr_dispatch_ptr 0
		.amdhsa_user_sgpr_queue_ptr 0
		.amdhsa_user_sgpr_kernarg_segment_ptr 1
		.amdhsa_user_sgpr_dispatch_id 0
		.amdhsa_user_sgpr_flat_scratch_init 0
		.amdhsa_user_sgpr_private_segment_size 0
		.amdhsa_uses_dynamic_stack 0
		.amdhsa_system_sgpr_private_segment_wavefront_offset 0
		.amdhsa_system_sgpr_workgroup_id_x 1
		.amdhsa_system_sgpr_workgroup_id_y 1
		.amdhsa_system_sgpr_workgroup_id_z 1
		.amdhsa_system_sgpr_workgroup_info 0
		.amdhsa_system_vgpr_workitem_id 1
		.amdhsa_next_free_vgpr 36
		.amdhsa_next_free_sgpr 61
		.amdhsa_reserve_vcc 1
		.amdhsa_reserve_flat_scratch 0
		.amdhsa_float_round_mode_32 0
		.amdhsa_float_round_mode_16_64 0
		.amdhsa_float_denorm_mode_32 3
		.amdhsa_float_denorm_mode_16_64 3
		.amdhsa_dx10_clamp 1
		.amdhsa_ieee_mode 1
		.amdhsa_fp16_overflow 0
		.amdhsa_exception_fp_ieee_invalid_op 0
		.amdhsa_exception_fp_denorm_src 0
		.amdhsa_exception_fp_ieee_div_zero 0
		.amdhsa_exception_fp_ieee_overflow 0
		.amdhsa_exception_fp_ieee_underflow 0
		.amdhsa_exception_fp_ieee_inexact 0
		.amdhsa_exception_int_div_zero 0
	.end_amdhsa_kernel
	.section	.text._ZL26rocblas_syr2k_her2k_kernelIlLb0ELb1ELb0ELi32EPK19rocblas_complex_numIfEPKS3_PKPS1_EvbiT_T4_T5_S9_lSB_S9_lT6_S9_li,"axG",@progbits,_ZL26rocblas_syr2k_her2k_kernelIlLb0ELb1ELb0ELi32EPK19rocblas_complex_numIfEPKS3_PKPS1_EvbiT_T4_T5_S9_lSB_S9_lT6_S9_li,comdat
.Lfunc_end1769:
	.size	_ZL26rocblas_syr2k_her2k_kernelIlLb0ELb1ELb0ELi32EPK19rocblas_complex_numIfEPKS3_PKPS1_EvbiT_T4_T5_S9_lSB_S9_lT6_S9_li, .Lfunc_end1769-_ZL26rocblas_syr2k_her2k_kernelIlLb0ELb1ELb0ELi32EPK19rocblas_complex_numIfEPKS3_PKPS1_EvbiT_T4_T5_S9_lSB_S9_lT6_S9_li
                                        ; -- End function
	.set _ZL26rocblas_syr2k_her2k_kernelIlLb0ELb1ELb0ELi32EPK19rocblas_complex_numIfEPKS3_PKPS1_EvbiT_T4_T5_S9_lSB_S9_lT6_S9_li.num_vgpr, 36
	.set _ZL26rocblas_syr2k_her2k_kernelIlLb0ELb1ELb0ELi32EPK19rocblas_complex_numIfEPKS3_PKPS1_EvbiT_T4_T5_S9_lSB_S9_lT6_S9_li.num_agpr, 0
	.set _ZL26rocblas_syr2k_her2k_kernelIlLb0ELb1ELb0ELi32EPK19rocblas_complex_numIfEPKS3_PKPS1_EvbiT_T4_T5_S9_lSB_S9_lT6_S9_li.numbered_sgpr, 36
	.set _ZL26rocblas_syr2k_her2k_kernelIlLb0ELb1ELb0ELi32EPK19rocblas_complex_numIfEPKS3_PKPS1_EvbiT_T4_T5_S9_lSB_S9_lT6_S9_li.num_named_barrier, 0
	.set _ZL26rocblas_syr2k_her2k_kernelIlLb0ELb1ELb0ELi32EPK19rocblas_complex_numIfEPKS3_PKPS1_EvbiT_T4_T5_S9_lSB_S9_lT6_S9_li.private_seg_size, 0
	.set _ZL26rocblas_syr2k_her2k_kernelIlLb0ELb1ELb0ELi32EPK19rocblas_complex_numIfEPKS3_PKPS1_EvbiT_T4_T5_S9_lSB_S9_lT6_S9_li.uses_vcc, 1
	.set _ZL26rocblas_syr2k_her2k_kernelIlLb0ELb1ELb0ELi32EPK19rocblas_complex_numIfEPKS3_PKPS1_EvbiT_T4_T5_S9_lSB_S9_lT6_S9_li.uses_flat_scratch, 0
	.set _ZL26rocblas_syr2k_her2k_kernelIlLb0ELb1ELb0ELi32EPK19rocblas_complex_numIfEPKS3_PKPS1_EvbiT_T4_T5_S9_lSB_S9_lT6_S9_li.has_dyn_sized_stack, 0
	.set _ZL26rocblas_syr2k_her2k_kernelIlLb0ELb1ELb0ELi32EPK19rocblas_complex_numIfEPKS3_PKPS1_EvbiT_T4_T5_S9_lSB_S9_lT6_S9_li.has_recursion, 0
	.set _ZL26rocblas_syr2k_her2k_kernelIlLb0ELb1ELb0ELi32EPK19rocblas_complex_numIfEPKS3_PKPS1_EvbiT_T4_T5_S9_lSB_S9_lT6_S9_li.has_indirect_call, 0
	.section	.AMDGPU.csdata,"",@progbits
; Kernel info:
; codeLenInByte = 2172
; TotalNumSgprs: 40
; NumVgprs: 36
; ScratchSize: 0
; MemoryBound: 0
; FloatMode: 240
; IeeeMode: 1
; LDSByteSize: 16384 bytes/workgroup (compile time only)
; SGPRBlocks: 8
; VGPRBlocks: 8
; NumSGPRsForWavesPerEU: 65
; NumVGPRsForWavesPerEU: 36
; Occupancy: 7
; WaveLimiterHint : 1
; COMPUTE_PGM_RSRC2:SCRATCH_EN: 0
; COMPUTE_PGM_RSRC2:USER_SGPR: 6
; COMPUTE_PGM_RSRC2:TRAP_HANDLER: 0
; COMPUTE_PGM_RSRC2:TGID_X_EN: 1
; COMPUTE_PGM_RSRC2:TGID_Y_EN: 1
; COMPUTE_PGM_RSRC2:TGID_Z_EN: 1
; COMPUTE_PGM_RSRC2:TIDIG_COMP_CNT: 1
	.section	.text._ZL26rocblas_syr2k_her2k_kernelIlLb0ELb1ELb1ELi32EPK19rocblas_complex_numIfEPKS3_PKPS1_EvbiT_T4_T5_S9_lSB_S9_lT6_S9_li,"axG",@progbits,_ZL26rocblas_syr2k_her2k_kernelIlLb0ELb1ELb1ELi32EPK19rocblas_complex_numIfEPKS3_PKPS1_EvbiT_T4_T5_S9_lSB_S9_lT6_S9_li,comdat
	.globl	_ZL26rocblas_syr2k_her2k_kernelIlLb0ELb1ELb1ELi32EPK19rocblas_complex_numIfEPKS3_PKPS1_EvbiT_T4_T5_S9_lSB_S9_lT6_S9_li ; -- Begin function _ZL26rocblas_syr2k_her2k_kernelIlLb0ELb1ELb1ELi32EPK19rocblas_complex_numIfEPKS3_PKPS1_EvbiT_T4_T5_S9_lSB_S9_lT6_S9_li
	.p2align	8
	.type	_ZL26rocblas_syr2k_her2k_kernelIlLb0ELb1ELb1ELi32EPK19rocblas_complex_numIfEPKS3_PKPS1_EvbiT_T4_T5_S9_lSB_S9_lT6_S9_li,@function
_ZL26rocblas_syr2k_her2k_kernelIlLb0ELb1ELb1ELi32EPK19rocblas_complex_numIfEPKS3_PKPS1_EvbiT_T4_T5_S9_lSB_S9_lT6_S9_li: ; @_ZL26rocblas_syr2k_her2k_kernelIlLb0ELb1ELb1ELi32EPK19rocblas_complex_numIfEPKS3_PKPS1_EvbiT_T4_T5_S9_lSB_S9_lT6_S9_li
; %bb.0:
	s_load_dwordx16 s[12:27], s[4:5], 0x8
	s_waitcnt lgkmcnt(0)
	s_load_dwordx2 s[10:11], s[14:15], 0x0
	s_waitcnt lgkmcnt(0)
	v_cmp_eq_f32_e64 s[0:1], s10, 0
	v_cmp_eq_f32_e64 s[2:3], s11, 0
	s_and_b64 s[0:1], s[0:1], s[2:3]
	s_and_b64 vcc, exec, s[0:1]
	s_cbranch_vccnz .LBB1770_13
; %bb.1:
	s_load_dwordx2 s[14:15], s[4:5], 0x0
	s_lshl_b32 s7, s7, 5
	s_lshl_b32 s6, s6, 5
	s_waitcnt lgkmcnt(0)
	s_and_b32 s0, 1, s14
	s_cmp_eq_u32 s0, 1
	s_cselect_b64 s[0:1], -1, 0
	s_and_b64 s[2:3], s[0:1], exec
	s_cselect_b32 s2, s6, s7
	s_cselect_b32 s3, s7, s6
	s_cmp_gt_i32 s2, s3
	s_cbranch_scc1 .LBB1770_13
; %bb.2:
	s_load_dwordx4 s[28:31], s[4:5], 0x48
	s_load_dwordx2 s[34:35], s[4:5], 0x58
	s_mov_b32 s9, 0
	s_lshl_b64 s[2:3], s[8:9], 3
	v_add_u32_e32 v10, s6, v0
	s_waitcnt lgkmcnt(0)
	s_add_u32 s4, s28, s2
	s_addc_u32 s5, s29, s3
	s_load_dwordx2 s[4:5], s[4:5], 0x0
	v_add_u32_e32 v12, s7, v1
	v_cmp_lt_i64_e64 s[6:7], s[12:13], 1
	s_lshl_b64 s[8:9], s[34:35], 3
	v_ashrrev_i32_e32 v19, 31, v10
	s_waitcnt lgkmcnt(0)
	s_add_u32 s14, s4, s8
	s_addc_u32 s28, s5, s9
	s_and_b64 vcc, exec, s[6:7]
	s_cbranch_vccnz .LBB1770_11
; %bb.3:
	s_add_u32 s4, s16, s2
	s_addc_u32 s5, s17, s3
	v_ashrrev_i32_e32 v2, 31, v12
	s_load_dwordx2 s[8:9], s[4:5], 0x0
	v_mul_lo_u32 v8, s31, v12
	v_mul_lo_u32 v9, s30, v2
	v_mad_u64_u32 v[2:3], s[4:5], s30, v12, 0
	v_cndmask_b32_e64 v4, v10, v12, s[0:1]
	v_cndmask_b32_e64 v5, v12, v10, s[0:1]
	v_max_i32_e32 v6, v10, v12
	s_add_u32 s2, s22, s2
	v_cmp_gt_i32_e32 vcc, s15, v6
	v_cmp_le_i32_e64 s[4:5], v5, v4
	s_addc_u32 s3, s23, s3
	s_and_b64 s[6:7], s[4:5], vcc
	v_add3_u32 v3, v3, v9, v8
	v_mad_u64_u32 v[4:5], s[4:5], s24, v12, 0
	v_lshlrev_b64 v[2:3], 3, v[2:3]
	s_load_dwordx2 s[16:17], s[2:3], 0x0
	s_ashr_i32 s3, s15, 31
	s_mov_b32 s2, s15
	v_mov_b32_e32 v11, 0
	v_mov_b32_e32 v6, s28
	v_add_co_u32_e32 v8, vcc, s14, v2
	v_cmp_gt_i64_e64 s[0:1], s[2:3], v[10:11]
	v_mov_b32_e32 v13, v11
	v_mov_b32_e32 v11, v19
	v_addc_co_u32_e32 v9, vcc, v6, v3, vcc
	v_mad_u64_u32 v[5:6], s[4:5], s25, v12, v[5:6]
	v_lshlrev_b64 v[2:3], 3, v[10:11]
	v_cmp_gt_i64_e64 s[2:3], s[2:3], v[12:13]
	v_add_co_u32_e32 v13, vcc, v8, v2
	v_addc_co_u32_e32 v14, vcc, v9, v3, vcc
	v_lshlrev_b64 v[2:3], 3, v[4:5]
	s_lshl_b64 s[4:5], s[26:27], 3
	v_mov_b32_e32 v4, s5
	v_add_co_u32_e32 v5, vcc, s4, v2
	v_addc_co_u32_e32 v4, vcc, v3, v4, vcc
	v_mad_u64_u32 v[2:3], s[4:5], s18, v10, 0
	v_lshlrev_b32_e32 v6, 3, v0
	v_add_co_u32_e32 v5, vcc, v5, v6
	v_addc_co_u32_e32 v6, vcc, 0, v4, vcc
	v_mad_u64_u32 v[3:4], s[4:5], s19, v10, v[3:4]
	s_waitcnt lgkmcnt(0)
	v_mov_b32_e32 v8, s17
	v_add_co_u32_e32 v15, vcc, s16, v5
	v_lshlrev_b64 v[2:3], 3, v[2:3]
	v_addc_co_u32_e32 v16, vcc, v8, v6, vcc
	s_lshl_b64 s[4:5], s[20:21], 3
	v_mov_b32_e32 v4, s5
	v_add_co_u32_e32 v2, vcc, s4, v2
	v_lshlrev_b32_e32 v7, 3, v1
	v_addc_co_u32_e32 v3, vcc, v3, v4, vcc
	v_add_co_u32_e32 v2, vcc, v2, v7
	v_addc_co_u32_e32 v3, vcc, 0, v3, vcc
	v_lshlrev_b32_e32 v20, 8, v0
	v_or_b32_e32 v22, 0x2000, v7
	v_mov_b32_e32 v4, s9
	v_add_co_u32_e32 v17, vcc, s8, v2
	v_add_u32_e32 v21, v20, v7
	v_addc_co_u32_e32 v18, vcc, v4, v3, vcc
	s_mov_b64 s[8:9], 0
	v_add_u32_e32 v11, 0x800, v22
	v_add_u32_e32 v23, 0x1000, v22
	;; [unrolled: 1-line block ×3, first 2 shown]
	s_branch .LBB1770_5
.LBB1770_4:                             ;   in Loop: Header=BB1770_5 Depth=1
	s_or_b64 exec, exec, s[4:5]
	s_add_u32 s8, s8, 32
	v_add_co_u32_e32 v15, vcc, 0x100, v15
	v_mov_b32_e32 v2, s12
	s_addc_u32 s9, s9, 0
	v_addc_co_u32_e32 v16, vcc, 0, v16, vcc
	v_mov_b32_e32 v3, s13
	v_add_co_u32_e32 v17, vcc, 0x100, v17
	v_cmp_ge_i64_e64 s[4:5], s[8:9], v[2:3]
	v_addc_co_u32_e32 v18, vcc, 0, v18, vcc
	s_and_b64 vcc, exec, s[4:5]
	s_waitcnt vmcnt(0) lgkmcnt(0)
	s_barrier
	s_cbranch_vccnz .LBB1770_11
.LBB1770_5:                             ; =>This Inner Loop Header: Depth=1
	v_mov_b32_e32 v3, s9
	v_add_co_u32_e32 v2, vcc, s8, v1
	v_addc_co_u32_e32 v3, vcc, 0, v3, vcc
	v_cmp_gt_i64_e32 vcc, s[12:13], v[2:3]
	v_mov_b32_e32 v2, 0
	s_and_b64 s[16:17], s[0:1], vcc
	v_mov_b32_e32 v3, 0
	v_mov_b32_e32 v4, 0
	s_and_saveexec_b64 s[4:5], s[16:17]
	s_cbranch_execz .LBB1770_7
; %bb.6:                                ;   in Loop: Header=BB1770_5 Depth=1
	flat_load_dwordx2 v[3:4], v[17:18]
	s_waitcnt vmcnt(0) lgkmcnt(0)
	v_xor_b32_e32 v4, 0x80000000, v4
.LBB1770_7:                             ;   in Loop: Header=BB1770_5 Depth=1
	s_or_b64 exec, exec, s[4:5]
	v_mov_b32_e32 v6, s9
	v_add_co_u32_e32 v5, vcc, s8, v0
	v_addc_co_u32_e32 v6, vcc, 0, v6, vcc
	v_cmp_gt_i64_e32 vcc, s[12:13], v[5:6]
	ds_write_b64 v21, v[3:4]
	s_and_b64 s[16:17], s[2:3], vcc
	v_mov_b32_e32 v3, 0
	s_and_saveexec_b64 s[4:5], s[16:17]
	s_cbranch_execz .LBB1770_9
; %bb.8:                                ;   in Loop: Header=BB1770_5 Depth=1
	flat_load_dwordx2 v[2:3], v[15:16]
.LBB1770_9:                             ;   in Loop: Header=BB1770_5 Depth=1
	s_or_b64 exec, exec, s[4:5]
	v_add_u32_e32 v4, v22, v20
	s_waitcnt vmcnt(0) lgkmcnt(0)
	ds_write_b64 v4, v[2:3]
	s_waitcnt lgkmcnt(0)
	s_barrier
	s_and_saveexec_b64 s[4:5], s[6:7]
	s_cbranch_execz .LBB1770_4
; %bb.10:                               ;   in Loop: Header=BB1770_5 Depth=1
	ds_read2_b64 v[2:5], v22 offset1:32
	ds_read_b128 v[6:9], v20
	ds_read_b128 v[25:28], v20 offset:16
	s_waitcnt lgkmcnt(1)
	v_mul_f32_e32 v29, v3, v7
	v_fma_f32 v34, v2, v6, -v29
	ds_read2_b64 v[29:32], v22 offset0:64 offset1:96
	v_mul_f32_e32 v33, v2, v7
	v_mul_f32_e32 v2, v5, v9
	v_fma_f32 v35, v4, v8, -v2
	v_fmac_f32_e32 v33, v3, v6
	s_waitcnt lgkmcnt(0)
	v_mul_f32_e32 v2, v30, v26
	v_mul_f32_e32 v36, v4, v9
	v_fma_f32 v37, v29, v25, -v2
	v_mul_f32_e32 v29, v29, v26
	v_mul_f32_e32 v2, v32, v28
	v_fmac_f32_e32 v36, v5, v8
	v_fmac_f32_e32 v29, v30, v25
	v_fma_f32 v30, v31, v27, -v2
	v_mul_f32_e32 v31, v31, v28
	v_add_f32_e32 v25, 0, v34
	v_add_f32_e32 v26, 0, v33
	v_fmac_f32_e32 v31, v32, v27
	ds_read_b128 v[2:5], v20 offset:32
	ds_read_b128 v[6:9], v20 offset:48
	v_add_f32_e32 v32, v25, v35
	v_add_f32_e32 v33, v26, v36
	ds_read2_b64 v[25:28], v22 offset0:128 offset1:160
	v_add_f32_e32 v29, v33, v29
	v_add_f32_e32 v29, v29, v31
	;; [unrolled: 1-line block ×4, first 2 shown]
	s_waitcnt lgkmcnt(0)
	v_mul_f32_e32 v31, v26, v3
	v_fma_f32 v31, v25, v2, -v31
	v_mul_f32_e32 v25, v25, v3
	v_fmac_f32_e32 v25, v26, v2
	v_mul_f32_e32 v2, v28, v5
	v_fma_f32 v26, v27, v4, -v2
	v_mul_f32_e32 v27, v27, v5
	v_fmac_f32_e32 v27, v28, v4
	ds_read2_b64 v[2:5], v22 offset0:192 offset1:224
	v_add_f32_e32 v25, v29, v25
	v_add_f32_e32 v28, v30, v31
	;; [unrolled: 1-line block ×4, first 2 shown]
	s_waitcnt lgkmcnt(0)
	v_mul_f32_e32 v25, v3, v7
	v_fma_f32 v25, v2, v6, -v25
	v_mul_f32_e32 v7, v2, v7
	v_mul_f32_e32 v2, v5, v9
	;; [unrolled: 1-line block ×3, first 2 shown]
	v_fmac_f32_e32 v7, v3, v6
	v_add_f32_e32 v6, v26, v25
	v_fma_f32 v30, v4, v8, -v2
	ds_read_b128 v[25:28], v20 offset:64
	v_fmac_f32_e32 v9, v5, v8
	ds_read2_b64 v[2:5], v11 offset1:32
	v_add_f32_e32 v7, v29, v7
	v_add_f32_e32 v29, v6, v30
	;; [unrolled: 1-line block ×3, first 2 shown]
	ds_read_b128 v[6:9], v20 offset:80
	s_waitcnt lgkmcnt(1)
	v_mul_f32_e32 v31, v3, v26
	v_fma_f32 v31, v2, v25, -v31
	v_mul_f32_e32 v26, v2, v26
	v_mul_f32_e32 v2, v5, v28
	;; [unrolled: 1-line block ×3, first 2 shown]
	v_fmac_f32_e32 v26, v3, v25
	v_fma_f32 v25, v4, v27, -v2
	v_fmac_f32_e32 v28, v5, v27
	ds_read2_b64 v[2:5], v11 offset0:64 offset1:96
	v_add_f32_e32 v26, v30, v26
	v_add_f32_e32 v27, v29, v31
	;; [unrolled: 1-line block ×4, first 2 shown]
	s_waitcnt lgkmcnt(0)
	v_mul_f32_e32 v26, v3, v7
	v_fma_f32 v26, v2, v6, -v26
	v_mul_f32_e32 v7, v2, v7
	v_mul_f32_e32 v2, v5, v9
	;; [unrolled: 1-line block ×3, first 2 shown]
	v_fmac_f32_e32 v7, v3, v6
	v_add_f32_e32 v6, v25, v26
	v_fma_f32 v30, v4, v8, -v2
	ds_read_b128 v[25:28], v20 offset:96
	v_fmac_f32_e32 v9, v5, v8
	ds_read2_b64 v[2:5], v11 offset0:128 offset1:160
	v_add_f32_e32 v7, v29, v7
	v_add_f32_e32 v29, v6, v30
	;; [unrolled: 1-line block ×3, first 2 shown]
	ds_read_b128 v[6:9], v20 offset:112
	s_waitcnt lgkmcnt(1)
	v_mul_f32_e32 v31, v3, v26
	v_fma_f32 v31, v2, v25, -v31
	v_mul_f32_e32 v26, v2, v26
	v_mul_f32_e32 v2, v5, v28
	v_mul_f32_e32 v28, v4, v28
	v_fmac_f32_e32 v26, v3, v25
	v_fma_f32 v25, v4, v27, -v2
	v_fmac_f32_e32 v28, v5, v27
	ds_read2_b64 v[2:5], v11 offset0:192 offset1:224
	v_add_f32_e32 v26, v30, v26
	v_add_f32_e32 v27, v29, v31
	;; [unrolled: 1-line block ×4, first 2 shown]
	s_waitcnt lgkmcnt(0)
	v_mul_f32_e32 v26, v3, v7
	v_fma_f32 v26, v2, v6, -v26
	v_mul_f32_e32 v7, v2, v7
	v_mul_f32_e32 v2, v5, v9
	;; [unrolled: 1-line block ×3, first 2 shown]
	v_fmac_f32_e32 v7, v3, v6
	v_add_f32_e32 v6, v25, v26
	v_fma_f32 v30, v4, v8, -v2
	ds_read_b128 v[25:28], v20 offset:128
	v_fmac_f32_e32 v9, v5, v8
	ds_read2_b64 v[2:5], v23 offset1:32
	v_add_f32_e32 v7, v29, v7
	v_add_f32_e32 v29, v6, v30
	;; [unrolled: 1-line block ×3, first 2 shown]
	ds_read_b128 v[6:9], v20 offset:144
	s_waitcnt lgkmcnt(1)
	v_mul_f32_e32 v31, v3, v26
	v_fma_f32 v31, v2, v25, -v31
	v_mul_f32_e32 v2, v2, v26
	v_fmac_f32_e32 v2, v3, v25
	v_mul_f32_e32 v3, v5, v28
	v_fma_f32 v3, v4, v27, -v3
	v_mul_f32_e32 v4, v4, v28
	v_fmac_f32_e32 v4, v5, v27
	ds_read2_b64 v[25:28], v23 offset0:64 offset1:96
	v_add_f32_e32 v2, v30, v2
	v_add_f32_e32 v30, v2, v4
	;; [unrolled: 1-line block ×4, first 2 shown]
	s_waitcnt lgkmcnt(0)
	v_mul_f32_e32 v2, v26, v7
	v_fma_f32 v31, v25, v6, -v2
	v_mul_f32_e32 v25, v25, v7
	v_mul_f32_e32 v2, v28, v9
	v_fmac_f32_e32 v25, v26, v6
	v_fma_f32 v26, v27, v8, -v2
	v_mul_f32_e32 v27, v27, v9
	ds_read_b128 v[2:5], v20 offset:160
	v_fmac_f32_e32 v27, v28, v8
	ds_read2_b64 v[6:9], v23 offset0:128 offset1:160
	v_add_f32_e32 v28, v29, v31
	v_add_f32_e32 v29, v30, v25
	;; [unrolled: 1-line block ×4, first 2 shown]
	ds_read_b128 v[27:30], v20 offset:176
	s_waitcnt lgkmcnt(1)
	v_mul_f32_e32 v31, v7, v3
	v_fma_f32 v33, v6, v2, -v31
	flat_load_dwordx2 v[31:32], v[13:14]
	v_mul_f32_e32 v6, v6, v3
	v_fmac_f32_e32 v6, v7, v2
	v_mul_f32_e32 v2, v9, v5
	v_fma_f32 v7, v8, v4, -v2
	v_mul_f32_e32 v8, v8, v5
	v_fmac_f32_e32 v8, v9, v4
	ds_read2_b64 v[2:5], v23 offset0:192 offset1:224
	v_add_f32_e32 v6, v26, v6
	v_add_f32_e32 v26, v6, v8
	;; [unrolled: 1-line block ×4, first 2 shown]
	s_waitcnt lgkmcnt(0)
	v_mul_f32_e32 v6, v3, v28
	v_fma_f32 v33, v2, v27, -v6
	v_mul_f32_e32 v28, v2, v28
	v_mul_f32_e32 v2, v5, v30
	v_mul_f32_e32 v30, v4, v30
	v_fmac_f32_e32 v28, v3, v27
	v_fma_f32 v27, v4, v29, -v2
	v_fmac_f32_e32 v30, v5, v29
	ds_read_b128 v[2:5], v20 offset:192
	ds_read2_b64 v[6:9], v24 offset1:32
	v_add_f32_e32 v25, v25, v33
	v_add_f32_e32 v26, v26, v28
	;; [unrolled: 1-line block ×4, first 2 shown]
	s_waitcnt lgkmcnt(0)
	v_mul_f32_e32 v33, v7, v3
	v_fma_f32 v33, v6, v2, -v33
	v_mul_f32_e32 v6, v6, v3
	v_fmac_f32_e32 v6, v7, v2
	v_mul_f32_e32 v2, v9, v5
	v_fma_f32 v7, v8, v4, -v2
	v_mul_f32_e32 v8, v8, v5
	ds_read_b128 v[25:28], v20 offset:208
	v_fmac_f32_e32 v8, v9, v4
	ds_read2_b64 v[2:5], v24 offset0:64 offset1:96
	v_add_f32_e32 v6, v30, v6
	v_add_f32_e32 v30, v6, v8
	;; [unrolled: 1-line block ×4, first 2 shown]
	s_waitcnt lgkmcnt(0)
	v_mul_f32_e32 v6, v3, v26
	v_fma_f32 v33, v2, v25, -v6
	v_mul_f32_e32 v26, v2, v26
	v_mul_f32_e32 v2, v5, v28
	;; [unrolled: 1-line block ×3, first 2 shown]
	v_fmac_f32_e32 v26, v3, v25
	v_fma_f32 v25, v4, v27, -v2
	v_fmac_f32_e32 v28, v5, v27
	ds_read_b128 v[2:5], v20 offset:224
	ds_read2_b64 v[6:9], v24 offset0:128 offset1:160
	v_add_f32_e32 v27, v29, v33
	v_add_f32_e32 v26, v30, v26
	v_add_f32_e32 v29, v27, v25
	v_add_f32_e32 v30, v26, v28
	s_waitcnt lgkmcnt(0)
	v_mul_f32_e32 v33, v7, v3
	v_fma_f32 v33, v6, v2, -v33
	v_mul_f32_e32 v6, v6, v3
	v_fmac_f32_e32 v6, v7, v2
	v_mul_f32_e32 v2, v9, v5
	v_fma_f32 v7, v8, v4, -v2
	v_mul_f32_e32 v8, v8, v5
	ds_read_b128 v[25:28], v20 offset:240
	v_fmac_f32_e32 v8, v9, v4
	ds_read2_b64 v[2:5], v24 offset0:192 offset1:224
	v_add_f32_e32 v6, v30, v6
	v_add_f32_e32 v6, v6, v8
	;; [unrolled: 1-line block ×4, first 2 shown]
	s_waitcnt lgkmcnt(0)
	v_mul_f32_e32 v8, v3, v26
	v_fma_f32 v8, v2, v25, -v8
	v_mul_f32_e32 v2, v2, v26
	v_fmac_f32_e32 v2, v3, v25
	v_add_f32_e32 v2, v6, v2
	v_mul_f32_e32 v6, v5, v28
	v_fma_f32 v6, v4, v27, -v6
	v_mul_f32_e32 v4, v4, v28
	v_fmac_f32_e32 v4, v5, v27
	v_add_f32_e32 v3, v7, v8
	v_add_f32_e32 v2, v2, v4
	;; [unrolled: 1-line block ×3, first 2 shown]
	v_mul_f32_e32 v4, s11, v2
	v_mul_f32_e32 v5, s10, v2
	v_fma_f32 v4, s10, v3, -v4
	v_fmac_f32_e32 v5, s11, v3
	s_waitcnt vmcnt(0)
	v_add_f32_e32 v2, v31, v4
	v_add_f32_e32 v3, v32, v5
	flat_store_dwordx2 v[13:14], v[2:3]
	s_branch .LBB1770_4
.LBB1770_11:
	v_cmp_eq_u32_e32 vcc, v10, v12
	v_cmp_gt_i32_e64 s[0:1], s15, v10
	s_and_b64 s[0:1], vcc, s[0:1]
	s_and_saveexec_b64 s[2:3], s[0:1]
	s_cbranch_execz .LBB1770_13
; %bb.12:
	v_mul_lo_u32 v2, s31, v10
	v_mul_lo_u32 v3, s30, v19
	v_mad_u64_u32 v[0:1], s[0:1], s30, v10, 0
	v_mov_b32_e32 v11, v19
	v_add3_u32 v1, v1, v3, v2
	v_lshlrev_b64 v[0:1], 3, v[0:1]
	v_mov_b32_e32 v2, s28
	v_add_co_u32_e32 v3, vcc, s14, v0
	v_addc_co_u32_e32 v2, vcc, v2, v1, vcc
	v_lshlrev_b64 v[0:1], 3, v[10:11]
	v_add_co_u32_e32 v0, vcc, v3, v0
	v_addc_co_u32_e32 v1, vcc, v2, v1, vcc
	v_mov_b32_e32 v2, 0
	flat_store_dword v[0:1], v2 offset:4
.LBB1770_13:
	s_endpgm
	.section	.rodata,"a",@progbits
	.p2align	6, 0x0
	.amdhsa_kernel _ZL26rocblas_syr2k_her2k_kernelIlLb0ELb1ELb1ELi32EPK19rocblas_complex_numIfEPKS3_PKPS1_EvbiT_T4_T5_S9_lSB_S9_lT6_S9_li
		.amdhsa_group_segment_fixed_size 16384
		.amdhsa_private_segment_fixed_size 0
		.amdhsa_kernarg_size 100
		.amdhsa_user_sgpr_count 6
		.amdhsa_user_sgpr_private_segment_buffer 1
		.amdhsa_user_sgpr_dispatch_ptr 0
		.amdhsa_user_sgpr_queue_ptr 0
		.amdhsa_user_sgpr_kernarg_segment_ptr 1
		.amdhsa_user_sgpr_dispatch_id 0
		.amdhsa_user_sgpr_flat_scratch_init 0
		.amdhsa_user_sgpr_private_segment_size 0
		.amdhsa_uses_dynamic_stack 0
		.amdhsa_system_sgpr_private_segment_wavefront_offset 0
		.amdhsa_system_sgpr_workgroup_id_x 1
		.amdhsa_system_sgpr_workgroup_id_y 1
		.amdhsa_system_sgpr_workgroup_id_z 1
		.amdhsa_system_sgpr_workgroup_info 0
		.amdhsa_system_vgpr_workitem_id 1
		.amdhsa_next_free_vgpr 38
		.amdhsa_next_free_sgpr 61
		.amdhsa_reserve_vcc 1
		.amdhsa_reserve_flat_scratch 0
		.amdhsa_float_round_mode_32 0
		.amdhsa_float_round_mode_16_64 0
		.amdhsa_float_denorm_mode_32 3
		.amdhsa_float_denorm_mode_16_64 3
		.amdhsa_dx10_clamp 1
		.amdhsa_ieee_mode 1
		.amdhsa_fp16_overflow 0
		.amdhsa_exception_fp_ieee_invalid_op 0
		.amdhsa_exception_fp_denorm_src 0
		.amdhsa_exception_fp_ieee_div_zero 0
		.amdhsa_exception_fp_ieee_overflow 0
		.amdhsa_exception_fp_ieee_underflow 0
		.amdhsa_exception_fp_ieee_inexact 0
		.amdhsa_exception_int_div_zero 0
	.end_amdhsa_kernel
	.section	.text._ZL26rocblas_syr2k_her2k_kernelIlLb0ELb1ELb1ELi32EPK19rocblas_complex_numIfEPKS3_PKPS1_EvbiT_T4_T5_S9_lSB_S9_lT6_S9_li,"axG",@progbits,_ZL26rocblas_syr2k_her2k_kernelIlLb0ELb1ELb1ELi32EPK19rocblas_complex_numIfEPKS3_PKPS1_EvbiT_T4_T5_S9_lSB_S9_lT6_S9_li,comdat
.Lfunc_end1770:
	.size	_ZL26rocblas_syr2k_her2k_kernelIlLb0ELb1ELb1ELi32EPK19rocblas_complex_numIfEPKS3_PKPS1_EvbiT_T4_T5_S9_lSB_S9_lT6_S9_li, .Lfunc_end1770-_ZL26rocblas_syr2k_her2k_kernelIlLb0ELb1ELb1ELi32EPK19rocblas_complex_numIfEPKS3_PKPS1_EvbiT_T4_T5_S9_lSB_S9_lT6_S9_li
                                        ; -- End function
	.set _ZL26rocblas_syr2k_her2k_kernelIlLb0ELb1ELb1ELi32EPK19rocblas_complex_numIfEPKS3_PKPS1_EvbiT_T4_T5_S9_lSB_S9_lT6_S9_li.num_vgpr, 38
	.set _ZL26rocblas_syr2k_her2k_kernelIlLb0ELb1ELb1ELi32EPK19rocblas_complex_numIfEPKS3_PKPS1_EvbiT_T4_T5_S9_lSB_S9_lT6_S9_li.num_agpr, 0
	.set _ZL26rocblas_syr2k_her2k_kernelIlLb0ELb1ELb1ELi32EPK19rocblas_complex_numIfEPKS3_PKPS1_EvbiT_T4_T5_S9_lSB_S9_lT6_S9_li.numbered_sgpr, 36
	.set _ZL26rocblas_syr2k_her2k_kernelIlLb0ELb1ELb1ELi32EPK19rocblas_complex_numIfEPKS3_PKPS1_EvbiT_T4_T5_S9_lSB_S9_lT6_S9_li.num_named_barrier, 0
	.set _ZL26rocblas_syr2k_her2k_kernelIlLb0ELb1ELb1ELi32EPK19rocblas_complex_numIfEPKS3_PKPS1_EvbiT_T4_T5_S9_lSB_S9_lT6_S9_li.private_seg_size, 0
	.set _ZL26rocblas_syr2k_her2k_kernelIlLb0ELb1ELb1ELi32EPK19rocblas_complex_numIfEPKS3_PKPS1_EvbiT_T4_T5_S9_lSB_S9_lT6_S9_li.uses_vcc, 1
	.set _ZL26rocblas_syr2k_her2k_kernelIlLb0ELb1ELb1ELi32EPK19rocblas_complex_numIfEPKS3_PKPS1_EvbiT_T4_T5_S9_lSB_S9_lT6_S9_li.uses_flat_scratch, 0
	.set _ZL26rocblas_syr2k_her2k_kernelIlLb0ELb1ELb1ELi32EPK19rocblas_complex_numIfEPKS3_PKPS1_EvbiT_T4_T5_S9_lSB_S9_lT6_S9_li.has_dyn_sized_stack, 0
	.set _ZL26rocblas_syr2k_her2k_kernelIlLb0ELb1ELb1ELi32EPK19rocblas_complex_numIfEPKS3_PKPS1_EvbiT_T4_T5_S9_lSB_S9_lT6_S9_li.has_recursion, 0
	.set _ZL26rocblas_syr2k_her2k_kernelIlLb0ELb1ELb1ELi32EPK19rocblas_complex_numIfEPKS3_PKPS1_EvbiT_T4_T5_S9_lSB_S9_lT6_S9_li.has_indirect_call, 0
	.section	.AMDGPU.csdata,"",@progbits
; Kernel info:
; codeLenInByte = 2144
; TotalNumSgprs: 40
; NumVgprs: 38
; ScratchSize: 0
; MemoryBound: 0
; FloatMode: 240
; IeeeMode: 1
; LDSByteSize: 16384 bytes/workgroup (compile time only)
; SGPRBlocks: 8
; VGPRBlocks: 9
; NumSGPRsForWavesPerEU: 65
; NumVGPRsForWavesPerEU: 38
; Occupancy: 6
; WaveLimiterHint : 1
; COMPUTE_PGM_RSRC2:SCRATCH_EN: 0
; COMPUTE_PGM_RSRC2:USER_SGPR: 6
; COMPUTE_PGM_RSRC2:TRAP_HANDLER: 0
; COMPUTE_PGM_RSRC2:TGID_X_EN: 1
; COMPUTE_PGM_RSRC2:TGID_Y_EN: 1
; COMPUTE_PGM_RSRC2:TGID_Z_EN: 1
; COMPUTE_PGM_RSRC2:TIDIG_COMP_CNT: 1
	.section	.text._ZL26rocblas_syr2k_her2k_kernelIlLb0ELb1ELb0ELi32E19rocblas_complex_numIdEPKPKS1_PKPS1_EvbiT_T4_T5_S9_lSB_S9_lT6_S9_li,"axG",@progbits,_ZL26rocblas_syr2k_her2k_kernelIlLb0ELb1ELb0ELi32E19rocblas_complex_numIdEPKPKS1_PKPS1_EvbiT_T4_T5_S9_lSB_S9_lT6_S9_li,comdat
	.globl	_ZL26rocblas_syr2k_her2k_kernelIlLb0ELb1ELb0ELi32E19rocblas_complex_numIdEPKPKS1_PKPS1_EvbiT_T4_T5_S9_lSB_S9_lT6_S9_li ; -- Begin function _ZL26rocblas_syr2k_her2k_kernelIlLb0ELb1ELb0ELi32E19rocblas_complex_numIdEPKPKS1_PKPS1_EvbiT_T4_T5_S9_lSB_S9_lT6_S9_li
	.p2align	8
	.type	_ZL26rocblas_syr2k_her2k_kernelIlLb0ELb1ELb0ELi32E19rocblas_complex_numIdEPKPKS1_PKPS1_EvbiT_T4_T5_S9_lSB_S9_lT6_S9_li,@function
_ZL26rocblas_syr2k_her2k_kernelIlLb0ELb1ELb0ELi32E19rocblas_complex_numIdEPKPKS1_PKPS1_EvbiT_T4_T5_S9_lSB_S9_lT6_S9_li: ; @_ZL26rocblas_syr2k_her2k_kernelIlLb0ELb1ELb0ELi32E19rocblas_complex_numIdEPKPKS1_PKPS1_EvbiT_T4_T5_S9_lSB_S9_lT6_S9_li
; %bb.0:
	s_load_dwordx16 s[12:27], s[4:5], 0x8
	s_waitcnt lgkmcnt(0)
	v_cmp_eq_f64_e64 s[0:1], s[14:15], 0
	v_cmp_eq_f64_e64 s[2:3], s[16:17], 0
	s_and_b64 s[0:1], s[0:1], s[2:3]
	s_and_b64 vcc, exec, s[0:1]
	s_cbranch_vccnz .LBB1771_13
; %bb.1:
	s_load_dwordx2 s[10:11], s[4:5], 0x0
	s_lshl_b32 s7, s7, 5
	s_lshl_b32 s6, s6, 5
	s_waitcnt lgkmcnt(0)
	s_and_b32 s0, 1, s10
	s_cmp_eq_u32 s0, 1
	s_cselect_b64 s[0:1], -1, 0
	s_and_b64 s[2:3], s[0:1], exec
	s_cselect_b32 s2, s6, s7
	s_cselect_b32 s3, s7, s6
	s_cmp_gt_i32 s2, s3
	s_cbranch_scc1 .LBB1771_13
; %bb.2:
	s_load_dwordx8 s[36:43], s[4:5], 0x48
	s_mov_b32 s9, 0
	s_lshl_b64 s[2:3], s[8:9], 3
	v_add_u32_e32 v8, s6, v0
	v_add_u32_e32 v12, s7, v1
	s_waitcnt lgkmcnt(0)
	s_add_u32 s4, s38, s2
	s_addc_u32 s5, s39, s3
	s_load_dwordx2 s[4:5], s[4:5], 0x0
	v_cmp_lt_i64_e64 s[6:7], s[12:13], 1
	s_lshl_b64 s[8:9], s[42:43], 4
	v_ashrrev_i32_e32 v11, 31, v8
	s_waitcnt lgkmcnt(0)
	s_add_u32 s10, s4, s8
	s_addc_u32 s28, s5, s9
	s_and_b64 vcc, exec, s[6:7]
	s_cbranch_vccnz .LBB1771_11
; %bb.3:
	s_add_u32 s4, s18, s2
	v_lshlrev_b32_e32 v18, 9, v0
	v_lshlrev_b32_e32 v2, 4, v1
	s_addc_u32 s5, s19, s3
	v_add_u32_e32 v19, v18, v2
	v_or_b32_e32 v20, 0x4000, v2
	v_ashrrev_i32_e32 v2, 31, v12
	s_load_dwordx2 s[18:19], s[4:5], 0x0
	v_mul_lo_u32 v7, s41, v12
	v_mul_lo_u32 v10, s40, v2
	v_mad_u64_u32 v[2:3], s[4:5], s40, v12, 0
	v_cndmask_b32_e64 v4, v8, v12, s[0:1]
	v_cndmask_b32_e64 v5, v12, v8, s[0:1]
	v_max_i32_e32 v6, v8, v12
	s_add_u32 s2, s24, s2
	v_cmp_gt_i32_e32 vcc, s11, v6
	v_cmp_le_i32_e64 s[4:5], v5, v4
	s_addc_u32 s3, s25, s3
	s_and_b64 s[6:7], s[4:5], vcc
	v_add3_u32 v3, v3, v10, v7
	v_mad_u64_u32 v[4:5], s[4:5], s26, v0, 0
	v_lshlrev_b64 v[2:3], 4, v[2:3]
	v_mov_b32_e32 v6, s28
	v_add_co_u32_e32 v7, vcc, s10, v2
	v_mov_b32_e32 v10, v8
	v_addc_co_u32_e32 v15, vcc, v6, v3, vcc
	v_mad_u64_u32 v[5:6], s[4:5], s27, v0, v[5:6]
	v_lshlrev_b64 v[2:3], 4, v[10:11]
	s_lshl_b64 s[4:5], s[36:37], 4
	v_add_co_u32_e32 v14, vcc, v7, v2
	v_addc_co_u32_e32 v15, vcc, v15, v3, vcc
	v_lshlrev_b64 v[2:3], 4, v[4:5]
	v_mov_b32_e32 v4, s5
	v_add_co_u32_e32 v6, vcc, s4, v2
	v_mov_b32_e32 v9, 0
	v_addc_co_u32_e32 v7, vcc, v3, v4, vcc
	v_mad_u64_u32 v[4:5], s[4:5], s20, v1, 0
	v_mov_b32_e32 v13, v9
	v_lshlrev_b64 v[2:3], 4, v[12:13]
	s_load_dwordx2 s[8:9], s[2:3], 0x0
	v_add_co_u32_e32 v6, vcc, v6, v2
	v_mov_b32_e32 v2, v5
	v_addc_co_u32_e32 v7, vcc, v7, v3, vcc
	v_mad_u64_u32 v[2:3], s[4:5], s21, v1, v[2:3]
	s_waitcnt lgkmcnt(0)
	v_mov_b32_e32 v10, s9
	v_add_co_u32_e32 v16, vcc, s8, v6
	v_mov_b32_e32 v5, v2
	v_lshlrev_b64 v[2:3], 4, v[4:5]
	v_addc_co_u32_e32 v17, vcc, v10, v7, vcc
	s_lshl_b64 s[4:5], s[22:23], 4
	v_mov_b32_e32 v4, s5
	v_add_co_u32_e32 v5, vcc, s4, v2
	v_addc_co_u32_e32 v4, vcc, v3, v4, vcc
	v_lshlrev_b64 v[2:3], 4, v[8:9]
	s_ashr_i32 s3, s11, 31
	v_add_co_u32_e32 v2, vcc, v5, v2
	s_mov_b32 s2, s11
	v_addc_co_u32_e32 v3, vcc, v4, v3, vcc
	v_cmp_gt_i64_e64 s[0:1], s[2:3], v[8:9]
	v_cmp_gt_i64_e64 s[2:3], s[2:3], v[12:13]
	v_mov_b32_e32 v4, s19
	v_add_co_u32_e32 v9, vcc, s18, v2
	v_add_u32_e32 v21, v20, v18
	s_lshl_b64 s[8:9], s[26:27], 9
	v_addc_co_u32_e32 v10, vcc, v4, v3, vcc
	s_lshl_b64 s[18:19], s[20:21], 9
	s_mov_b64 s[20:21], 0
	s_branch .LBB1771_5
.LBB1771_4:                             ;   in Loop: Header=BB1771_5 Depth=1
	s_or_b64 exec, exec, s[4:5]
	v_mov_b32_e32 v2, s9
	v_add_co_u32_e32 v16, vcc, s8, v16
	s_add_u32 s20, s20, 32
	v_addc_co_u32_e32 v17, vcc, v17, v2, vcc
	v_mov_b32_e32 v2, s12
	s_addc_u32 s21, s21, 0
	v_mov_b32_e32 v3, s13
	v_cmp_ge_i64_e32 vcc, s[20:21], v[2:3]
	v_mov_b32_e32 v4, s19
	v_add_co_u32_e64 v9, s[4:5], s18, v9
	v_addc_co_u32_e64 v10, s[4:5], v10, v4, s[4:5]
	s_waitcnt vmcnt(0) lgkmcnt(0)
	s_barrier
	s_cbranch_vccnz .LBB1771_11
.LBB1771_5:                             ; =>This Inner Loop Header: Depth=1
	v_mov_b32_e32 v3, s21
	v_add_co_u32_e32 v2, vcc, s20, v1
	v_addc_co_u32_e32 v3, vcc, 0, v3, vcc
	v_cmp_gt_i64_e32 vcc, s[12:13], v[2:3]
	v_mov_b32_e32 v2, 0
	v_mov_b32_e32 v4, 0
	;; [unrolled: 1-line block ×6, first 2 shown]
	s_and_b64 s[22:23], s[0:1], vcc
	s_and_saveexec_b64 s[4:5], s[22:23]
	s_cbranch_execz .LBB1771_7
; %bb.6:                                ;   in Loop: Header=BB1771_5 Depth=1
	flat_load_dwordx4 v[4:7], v[9:10]
.LBB1771_7:                             ;   in Loop: Header=BB1771_5 Depth=1
	s_or_b64 exec, exec, s[4:5]
	s_waitcnt vmcnt(0) lgkmcnt(0)
	ds_write_b128 v19, v[4:7]
	v_mov_b32_e32 v5, s21
	v_add_co_u32_e32 v4, vcc, s20, v0
	v_addc_co_u32_e32 v5, vcc, 0, v5, vcc
	v_cmp_gt_i64_e32 vcc, s[12:13], v[4:5]
	v_mov_b32_e32 v4, 0
	v_mov_b32_e32 v5, 0
	s_and_b64 s[22:23], s[2:3], vcc
	s_and_saveexec_b64 s[4:5], s[22:23]
	s_cbranch_execz .LBB1771_9
; %bb.8:                                ;   in Loop: Header=BB1771_5 Depth=1
	flat_load_dwordx4 v[2:5], v[16:17]
	s_waitcnt vmcnt(0) lgkmcnt(0)
	v_xor_b32_e32 v5, 0x80000000, v5
.LBB1771_9:                             ;   in Loop: Header=BB1771_5 Depth=1
	s_or_b64 exec, exec, s[4:5]
	ds_write_b128 v21, v[2:5]
	s_waitcnt lgkmcnt(0)
	s_barrier
	s_and_saveexec_b64 s[4:5], s[6:7]
	s_cbranch_execz .LBB1771_4
; %bb.10:                               ;   in Loop: Header=BB1771_5 Depth=1
	ds_read_b128 v[22:25], v20
	ds_read_b128 v[26:29], v18
	ds_read_b128 v[30:33], v18 offset:16
	ds_read_b128 v[34:37], v18 offset:32
	ds_read_b128 v[2:5], v18 offset:48
	s_waitcnt lgkmcnt(3)
	v_mul_f64 v[6:7], v[24:25], v[28:29]
	v_fma_f64 v[6:7], v[22:23], v[26:27], -v[6:7]
	v_mul_f64 v[22:23], v[22:23], v[28:29]
	v_add_f64 v[6:7], v[6:7], 0
	v_fma_f64 v[22:23], v[24:25], v[26:27], v[22:23]
	v_add_f64 v[26:27], v[22:23], 0
	ds_read_b128 v[22:25], v20 offset:512
	s_waitcnt lgkmcnt(0)
	v_mul_f64 v[28:29], v[24:25], v[32:33]
	v_fma_f64 v[28:29], v[22:23], v[30:31], -v[28:29]
	v_mul_f64 v[22:23], v[22:23], v[32:33]
	v_add_f64 v[6:7], v[6:7], v[28:29]
	v_fma_f64 v[22:23], v[24:25], v[30:31], v[22:23]
	v_add_f64 v[26:27], v[26:27], v[22:23]
	ds_read_b128 v[22:25], v20 offset:1024
	;; [unrolled: 8-line block ×3, first 2 shown]
	s_waitcnt lgkmcnt(0)
	v_mul_f64 v[28:29], v[24:25], v[4:5]
	v_mul_f64 v[4:5], v[22:23], v[4:5]
	v_fma_f64 v[28:29], v[22:23], v[2:3], -v[28:29]
	v_fma_f64 v[2:3], v[24:25], v[2:3], v[4:5]
	v_add_f64 v[6:7], v[6:7], v[28:29]
	v_add_f64 v[26:27], v[26:27], v[2:3]
	ds_read_b128 v[2:5], v20 offset:2048
	ds_read_b128 v[22:25], v18 offset:64
	s_waitcnt lgkmcnt(0)
	v_mul_f64 v[28:29], v[4:5], v[24:25]
	v_fma_f64 v[28:29], v[2:3], v[22:23], -v[28:29]
	v_mul_f64 v[2:3], v[2:3], v[24:25]
	v_add_f64 v[6:7], v[6:7], v[28:29]
	v_fma_f64 v[2:3], v[4:5], v[22:23], v[2:3]
	v_add_f64 v[26:27], v[26:27], v[2:3]
	ds_read_b128 v[2:5], v20 offset:2560
	ds_read_b128 v[22:25], v18 offset:80
	s_waitcnt lgkmcnt(0)
	v_mul_f64 v[28:29], v[4:5], v[24:25]
	v_fma_f64 v[28:29], v[2:3], v[22:23], -v[28:29]
	v_mul_f64 v[2:3], v[2:3], v[24:25]
	v_add_f64 v[6:7], v[6:7], v[28:29]
	v_fma_f64 v[2:3], v[4:5], v[22:23], v[2:3]
	v_add_f64 v[26:27], v[26:27], v[2:3]
	ds_read_b128 v[2:5], v20 offset:3072
	ds_read_b128 v[22:25], v18 offset:96
	s_waitcnt lgkmcnt(0)
	v_mul_f64 v[28:29], v[4:5], v[24:25]
	v_fma_f64 v[28:29], v[2:3], v[22:23], -v[28:29]
	v_mul_f64 v[2:3], v[2:3], v[24:25]
	v_add_f64 v[6:7], v[6:7], v[28:29]
	v_fma_f64 v[2:3], v[4:5], v[22:23], v[2:3]
	v_add_f64 v[26:27], v[26:27], v[2:3]
	ds_read_b128 v[2:5], v20 offset:3584
	ds_read_b128 v[22:25], v18 offset:112
	s_waitcnt lgkmcnt(0)
	v_mul_f64 v[28:29], v[4:5], v[24:25]
	v_fma_f64 v[28:29], v[2:3], v[22:23], -v[28:29]
	v_mul_f64 v[2:3], v[2:3], v[24:25]
	v_add_f64 v[6:7], v[6:7], v[28:29]
	v_fma_f64 v[2:3], v[4:5], v[22:23], v[2:3]
	v_add_f64 v[26:27], v[26:27], v[2:3]
	ds_read_b128 v[2:5], v20 offset:4096
	ds_read_b128 v[22:25], v18 offset:128
	s_waitcnt lgkmcnt(0)
	v_mul_f64 v[28:29], v[4:5], v[24:25]
	v_fma_f64 v[28:29], v[2:3], v[22:23], -v[28:29]
	v_mul_f64 v[2:3], v[2:3], v[24:25]
	v_add_f64 v[6:7], v[6:7], v[28:29]
	v_fma_f64 v[2:3], v[4:5], v[22:23], v[2:3]
	v_add_f64 v[26:27], v[26:27], v[2:3]
	ds_read_b128 v[2:5], v20 offset:4608
	ds_read_b128 v[22:25], v18 offset:144
	s_waitcnt lgkmcnt(0)
	v_mul_f64 v[28:29], v[4:5], v[24:25]
	v_fma_f64 v[28:29], v[2:3], v[22:23], -v[28:29]
	v_mul_f64 v[2:3], v[2:3], v[24:25]
	v_add_f64 v[6:7], v[6:7], v[28:29]
	v_fma_f64 v[2:3], v[4:5], v[22:23], v[2:3]
	v_add_f64 v[26:27], v[26:27], v[2:3]
	ds_read_b128 v[2:5], v20 offset:5120
	ds_read_b128 v[22:25], v18 offset:160
	s_waitcnt lgkmcnt(0)
	v_mul_f64 v[28:29], v[4:5], v[24:25]
	v_fma_f64 v[28:29], v[2:3], v[22:23], -v[28:29]
	v_mul_f64 v[2:3], v[2:3], v[24:25]
	v_add_f64 v[6:7], v[6:7], v[28:29]
	v_fma_f64 v[2:3], v[4:5], v[22:23], v[2:3]
	v_add_f64 v[26:27], v[26:27], v[2:3]
	ds_read_b128 v[2:5], v20 offset:5632
	ds_read_b128 v[22:25], v18 offset:176
	s_waitcnt lgkmcnt(0)
	v_mul_f64 v[28:29], v[4:5], v[24:25]
	v_fma_f64 v[28:29], v[2:3], v[22:23], -v[28:29]
	v_mul_f64 v[2:3], v[2:3], v[24:25]
	v_add_f64 v[6:7], v[6:7], v[28:29]
	v_fma_f64 v[2:3], v[4:5], v[22:23], v[2:3]
	v_add_f64 v[26:27], v[26:27], v[2:3]
	ds_read_b128 v[2:5], v20 offset:6144
	ds_read_b128 v[22:25], v18 offset:192
	s_waitcnt lgkmcnt(0)
	v_mul_f64 v[28:29], v[4:5], v[24:25]
	v_fma_f64 v[28:29], v[2:3], v[22:23], -v[28:29]
	v_mul_f64 v[2:3], v[2:3], v[24:25]
	v_add_f64 v[6:7], v[6:7], v[28:29]
	v_fma_f64 v[2:3], v[4:5], v[22:23], v[2:3]
	v_add_f64 v[26:27], v[26:27], v[2:3]
	ds_read_b128 v[2:5], v20 offset:6656
	ds_read_b128 v[22:25], v18 offset:208
	s_waitcnt lgkmcnt(0)
	v_mul_f64 v[28:29], v[4:5], v[24:25]
	v_fma_f64 v[28:29], v[2:3], v[22:23], -v[28:29]
	v_mul_f64 v[2:3], v[2:3], v[24:25]
	v_add_f64 v[6:7], v[6:7], v[28:29]
	v_fma_f64 v[2:3], v[4:5], v[22:23], v[2:3]
	v_add_f64 v[26:27], v[26:27], v[2:3]
	ds_read_b128 v[2:5], v20 offset:7168
	ds_read_b128 v[22:25], v18 offset:224
	s_waitcnt lgkmcnt(0)
	v_mul_f64 v[28:29], v[4:5], v[24:25]
	v_fma_f64 v[28:29], v[2:3], v[22:23], -v[28:29]
	v_mul_f64 v[2:3], v[2:3], v[24:25]
	v_add_f64 v[6:7], v[6:7], v[28:29]
	v_fma_f64 v[2:3], v[4:5], v[22:23], v[2:3]
	v_add_f64 v[26:27], v[26:27], v[2:3]
	ds_read_b128 v[2:5], v20 offset:7680
	ds_read_b128 v[22:25], v18 offset:240
	s_waitcnt lgkmcnt(0)
	v_mul_f64 v[28:29], v[4:5], v[24:25]
	v_fma_f64 v[28:29], v[2:3], v[22:23], -v[28:29]
	v_mul_f64 v[2:3], v[2:3], v[24:25]
	v_add_f64 v[6:7], v[6:7], v[28:29]
	v_fma_f64 v[2:3], v[4:5], v[22:23], v[2:3]
	v_add_f64 v[26:27], v[26:27], v[2:3]
	ds_read_b128 v[2:5], v20 offset:8192
	ds_read_b128 v[22:25], v18 offset:256
	s_waitcnt lgkmcnt(0)
	v_mul_f64 v[28:29], v[4:5], v[24:25]
	v_fma_f64 v[28:29], v[2:3], v[22:23], -v[28:29]
	v_mul_f64 v[2:3], v[2:3], v[24:25]
	v_add_f64 v[6:7], v[6:7], v[28:29]
	v_fma_f64 v[2:3], v[4:5], v[22:23], v[2:3]
	v_add_f64 v[26:27], v[26:27], v[2:3]
	ds_read_b128 v[2:5], v20 offset:8704
	ds_read_b128 v[22:25], v18 offset:272
	s_waitcnt lgkmcnt(0)
	v_mul_f64 v[28:29], v[4:5], v[24:25]
	v_fma_f64 v[28:29], v[2:3], v[22:23], -v[28:29]
	v_mul_f64 v[2:3], v[2:3], v[24:25]
	v_add_f64 v[6:7], v[6:7], v[28:29]
	v_fma_f64 v[2:3], v[4:5], v[22:23], v[2:3]
	v_add_f64 v[26:27], v[26:27], v[2:3]
	ds_read_b128 v[2:5], v20 offset:9216
	ds_read_b128 v[22:25], v18 offset:288
	s_waitcnt lgkmcnt(0)
	v_mul_f64 v[28:29], v[4:5], v[24:25]
	v_fma_f64 v[28:29], v[2:3], v[22:23], -v[28:29]
	v_mul_f64 v[2:3], v[2:3], v[24:25]
	v_add_f64 v[6:7], v[6:7], v[28:29]
	v_fma_f64 v[2:3], v[4:5], v[22:23], v[2:3]
	v_add_f64 v[26:27], v[26:27], v[2:3]
	ds_read_b128 v[2:5], v20 offset:9728
	ds_read_b128 v[22:25], v18 offset:304
	s_waitcnt lgkmcnt(0)
	v_mul_f64 v[28:29], v[4:5], v[24:25]
	v_fma_f64 v[28:29], v[2:3], v[22:23], -v[28:29]
	v_mul_f64 v[2:3], v[2:3], v[24:25]
	v_add_f64 v[6:7], v[6:7], v[28:29]
	v_fma_f64 v[2:3], v[4:5], v[22:23], v[2:3]
	v_add_f64 v[26:27], v[26:27], v[2:3]
	ds_read_b128 v[2:5], v20 offset:10240
	ds_read_b128 v[22:25], v18 offset:320
	s_waitcnt lgkmcnt(0)
	v_mul_f64 v[28:29], v[4:5], v[24:25]
	v_fma_f64 v[28:29], v[2:3], v[22:23], -v[28:29]
	v_mul_f64 v[2:3], v[2:3], v[24:25]
	v_add_f64 v[6:7], v[6:7], v[28:29]
	v_fma_f64 v[2:3], v[4:5], v[22:23], v[2:3]
	v_add_f64 v[26:27], v[26:27], v[2:3]
	ds_read_b128 v[2:5], v20 offset:10752
	ds_read_b128 v[22:25], v18 offset:336
	s_waitcnt lgkmcnt(0)
	v_mul_f64 v[28:29], v[4:5], v[24:25]
	v_fma_f64 v[28:29], v[2:3], v[22:23], -v[28:29]
	v_mul_f64 v[2:3], v[2:3], v[24:25]
	v_add_f64 v[6:7], v[6:7], v[28:29]
	v_fma_f64 v[2:3], v[4:5], v[22:23], v[2:3]
	v_add_f64 v[26:27], v[26:27], v[2:3]
	ds_read_b128 v[2:5], v20 offset:11264
	ds_read_b128 v[22:25], v18 offset:352
	s_waitcnt lgkmcnt(0)
	v_mul_f64 v[28:29], v[4:5], v[24:25]
	v_fma_f64 v[28:29], v[2:3], v[22:23], -v[28:29]
	v_mul_f64 v[2:3], v[2:3], v[24:25]
	v_add_f64 v[6:7], v[6:7], v[28:29]
	v_fma_f64 v[2:3], v[4:5], v[22:23], v[2:3]
	v_add_f64 v[26:27], v[26:27], v[2:3]
	ds_read_b128 v[2:5], v20 offset:11776
	ds_read_b128 v[22:25], v18 offset:368
	s_waitcnt lgkmcnt(0)
	v_mul_f64 v[28:29], v[4:5], v[24:25]
	v_fma_f64 v[28:29], v[2:3], v[22:23], -v[28:29]
	v_mul_f64 v[2:3], v[2:3], v[24:25]
	v_add_f64 v[6:7], v[6:7], v[28:29]
	v_fma_f64 v[2:3], v[4:5], v[22:23], v[2:3]
	v_add_f64 v[26:27], v[26:27], v[2:3]
	ds_read_b128 v[2:5], v20 offset:12288
	ds_read_b128 v[22:25], v18 offset:384
	s_waitcnt lgkmcnt(0)
	v_mul_f64 v[28:29], v[4:5], v[24:25]
	v_fma_f64 v[28:29], v[2:3], v[22:23], -v[28:29]
	v_mul_f64 v[2:3], v[2:3], v[24:25]
	v_add_f64 v[6:7], v[6:7], v[28:29]
	v_fma_f64 v[2:3], v[4:5], v[22:23], v[2:3]
	v_add_f64 v[26:27], v[26:27], v[2:3]
	ds_read_b128 v[2:5], v20 offset:12800
	ds_read_b128 v[22:25], v18 offset:400
	s_waitcnt lgkmcnt(0)
	v_mul_f64 v[28:29], v[4:5], v[24:25]
	v_fma_f64 v[28:29], v[2:3], v[22:23], -v[28:29]
	v_mul_f64 v[2:3], v[2:3], v[24:25]
	v_add_f64 v[6:7], v[6:7], v[28:29]
	v_fma_f64 v[2:3], v[4:5], v[22:23], v[2:3]
	v_add_f64 v[26:27], v[26:27], v[2:3]
	ds_read_b128 v[2:5], v20 offset:13312
	ds_read_b128 v[22:25], v18 offset:416
	s_waitcnt lgkmcnt(0)
	v_mul_f64 v[28:29], v[4:5], v[24:25]
	v_fma_f64 v[28:29], v[2:3], v[22:23], -v[28:29]
	v_mul_f64 v[2:3], v[2:3], v[24:25]
	v_add_f64 v[6:7], v[6:7], v[28:29]
	v_fma_f64 v[2:3], v[4:5], v[22:23], v[2:3]
	v_add_f64 v[26:27], v[26:27], v[2:3]
	ds_read_b128 v[2:5], v20 offset:13824
	ds_read_b128 v[22:25], v18 offset:432
	s_waitcnt lgkmcnt(0)
	v_mul_f64 v[28:29], v[4:5], v[24:25]
	v_fma_f64 v[28:29], v[2:3], v[22:23], -v[28:29]
	v_mul_f64 v[2:3], v[2:3], v[24:25]
	v_add_f64 v[6:7], v[6:7], v[28:29]
	v_fma_f64 v[2:3], v[4:5], v[22:23], v[2:3]
	v_add_f64 v[26:27], v[26:27], v[2:3]
	ds_read_b128 v[2:5], v20 offset:14336
	ds_read_b128 v[22:25], v18 offset:448
	s_waitcnt lgkmcnt(0)
	v_mul_f64 v[28:29], v[4:5], v[24:25]
	v_fma_f64 v[28:29], v[2:3], v[22:23], -v[28:29]
	v_mul_f64 v[2:3], v[2:3], v[24:25]
	v_add_f64 v[6:7], v[6:7], v[28:29]
	v_fma_f64 v[2:3], v[4:5], v[22:23], v[2:3]
	v_add_f64 v[26:27], v[26:27], v[2:3]
	ds_read_b128 v[2:5], v20 offset:14848
	ds_read_b128 v[22:25], v18 offset:464
	s_waitcnt lgkmcnt(0)
	v_mul_f64 v[28:29], v[4:5], v[24:25]
	v_fma_f64 v[28:29], v[2:3], v[22:23], -v[28:29]
	v_mul_f64 v[2:3], v[2:3], v[24:25]
	v_add_f64 v[6:7], v[6:7], v[28:29]
	v_fma_f64 v[2:3], v[4:5], v[22:23], v[2:3]
	v_add_f64 v[26:27], v[26:27], v[2:3]
	ds_read_b128 v[2:5], v20 offset:15360
	ds_read_b128 v[22:25], v18 offset:480
	s_waitcnt lgkmcnt(0)
	v_mul_f64 v[28:29], v[4:5], v[24:25]
	v_fma_f64 v[28:29], v[2:3], v[22:23], -v[28:29]
	v_mul_f64 v[2:3], v[2:3], v[24:25]
	v_add_f64 v[6:7], v[6:7], v[28:29]
	v_fma_f64 v[2:3], v[4:5], v[22:23], v[2:3]
	v_add_f64 v[26:27], v[26:27], v[2:3]
	ds_read_b128 v[2:5], v20 offset:15872
	ds_read_b128 v[22:25], v18 offset:496
	s_waitcnt lgkmcnt(0)
	v_mul_f64 v[28:29], v[4:5], v[24:25]
	v_fma_f64 v[28:29], v[2:3], v[22:23], -v[28:29]
	v_mul_f64 v[2:3], v[2:3], v[24:25]
	v_fma_f64 v[2:3], v[4:5], v[22:23], v[2:3]
	flat_load_dwordx4 v[22:25], v[14:15]
	v_add_f64 v[4:5], v[6:7], v[28:29]
	v_add_f64 v[6:7], v[26:27], v[2:3]
	v_mul_f64 v[2:3], s[16:17], v[6:7]
	v_mul_f64 v[6:7], s[14:15], v[6:7]
	v_fma_f64 v[2:3], s[14:15], v[4:5], -v[2:3]
	v_fma_f64 v[4:5], s[16:17], v[4:5], v[6:7]
	s_waitcnt vmcnt(0) lgkmcnt(0)
	v_add_f64 v[2:3], v[22:23], v[2:3]
	v_add_f64 v[4:5], v[24:25], v[4:5]
	flat_store_dwordx4 v[14:15], v[2:5]
	s_branch .LBB1771_4
.LBB1771_11:
	v_cmp_eq_u32_e32 vcc, v8, v12
	v_cmp_gt_i32_e64 s[0:1], s11, v8
	s_and_b64 s[0:1], vcc, s[0:1]
	s_and_saveexec_b64 s[2:3], s[0:1]
	s_cbranch_execz .LBB1771_13
; %bb.12:
	v_mul_lo_u32 v2, s41, v8
	v_mul_lo_u32 v3, s40, v11
	v_mad_u64_u32 v[0:1], s[0:1], s40, v8, 0
	v_mov_b32_e32 v9, v11
	v_add3_u32 v1, v1, v3, v2
	v_lshlrev_b64 v[0:1], 4, v[0:1]
	v_mov_b32_e32 v2, s28
	v_add_co_u32_e32 v3, vcc, s10, v0
	v_addc_co_u32_e32 v2, vcc, v2, v1, vcc
	v_lshlrev_b64 v[0:1], 4, v[8:9]
	v_add_co_u32_e32 v0, vcc, v3, v0
	v_addc_co_u32_e32 v1, vcc, v2, v1, vcc
	v_mov_b32_e32 v2, 0
	v_mov_b32_e32 v3, v2
	flat_store_dwordx2 v[0:1], v[2:3] offset:8
.LBB1771_13:
	s_endpgm
	.section	.rodata,"a",@progbits
	.p2align	6, 0x0
	.amdhsa_kernel _ZL26rocblas_syr2k_her2k_kernelIlLb0ELb1ELb0ELi32E19rocblas_complex_numIdEPKPKS1_PKPS1_EvbiT_T4_T5_S9_lSB_S9_lT6_S9_li
		.amdhsa_group_segment_fixed_size 32768
		.amdhsa_private_segment_fixed_size 0
		.amdhsa_kernarg_size 108
		.amdhsa_user_sgpr_count 6
		.amdhsa_user_sgpr_private_segment_buffer 1
		.amdhsa_user_sgpr_dispatch_ptr 0
		.amdhsa_user_sgpr_queue_ptr 0
		.amdhsa_user_sgpr_kernarg_segment_ptr 1
		.amdhsa_user_sgpr_dispatch_id 0
		.amdhsa_user_sgpr_flat_scratch_init 0
		.amdhsa_user_sgpr_private_segment_size 0
		.amdhsa_uses_dynamic_stack 0
		.amdhsa_system_sgpr_private_segment_wavefront_offset 0
		.amdhsa_system_sgpr_workgroup_id_x 1
		.amdhsa_system_sgpr_workgroup_id_y 1
		.amdhsa_system_sgpr_workgroup_id_z 1
		.amdhsa_system_sgpr_workgroup_info 0
		.amdhsa_system_vgpr_workitem_id 1
		.amdhsa_next_free_vgpr 38
		.amdhsa_next_free_sgpr 61
		.amdhsa_reserve_vcc 1
		.amdhsa_reserve_flat_scratch 0
		.amdhsa_float_round_mode_32 0
		.amdhsa_float_round_mode_16_64 0
		.amdhsa_float_denorm_mode_32 3
		.amdhsa_float_denorm_mode_16_64 3
		.amdhsa_dx10_clamp 1
		.amdhsa_ieee_mode 1
		.amdhsa_fp16_overflow 0
		.amdhsa_exception_fp_ieee_invalid_op 0
		.amdhsa_exception_fp_denorm_src 0
		.amdhsa_exception_fp_ieee_div_zero 0
		.amdhsa_exception_fp_ieee_overflow 0
		.amdhsa_exception_fp_ieee_underflow 0
		.amdhsa_exception_fp_ieee_inexact 0
		.amdhsa_exception_int_div_zero 0
	.end_amdhsa_kernel
	.section	.text._ZL26rocblas_syr2k_her2k_kernelIlLb0ELb1ELb0ELi32E19rocblas_complex_numIdEPKPKS1_PKPS1_EvbiT_T4_T5_S9_lSB_S9_lT6_S9_li,"axG",@progbits,_ZL26rocblas_syr2k_her2k_kernelIlLb0ELb1ELb0ELi32E19rocblas_complex_numIdEPKPKS1_PKPS1_EvbiT_T4_T5_S9_lSB_S9_lT6_S9_li,comdat
.Lfunc_end1771:
	.size	_ZL26rocblas_syr2k_her2k_kernelIlLb0ELb1ELb0ELi32E19rocblas_complex_numIdEPKPKS1_PKPS1_EvbiT_T4_T5_S9_lSB_S9_lT6_S9_li, .Lfunc_end1771-_ZL26rocblas_syr2k_her2k_kernelIlLb0ELb1ELb0ELi32E19rocblas_complex_numIdEPKPKS1_PKPS1_EvbiT_T4_T5_S9_lSB_S9_lT6_S9_li
                                        ; -- End function
	.set _ZL26rocblas_syr2k_her2k_kernelIlLb0ELb1ELb0ELi32E19rocblas_complex_numIdEPKPKS1_PKPS1_EvbiT_T4_T5_S9_lSB_S9_lT6_S9_li.num_vgpr, 38
	.set _ZL26rocblas_syr2k_her2k_kernelIlLb0ELb1ELb0ELi32E19rocblas_complex_numIdEPKPKS1_PKPS1_EvbiT_T4_T5_S9_lSB_S9_lT6_S9_li.num_agpr, 0
	.set _ZL26rocblas_syr2k_her2k_kernelIlLb0ELb1ELb0ELi32E19rocblas_complex_numIdEPKPKS1_PKPS1_EvbiT_T4_T5_S9_lSB_S9_lT6_S9_li.numbered_sgpr, 44
	.set _ZL26rocblas_syr2k_her2k_kernelIlLb0ELb1ELb0ELi32E19rocblas_complex_numIdEPKPKS1_PKPS1_EvbiT_T4_T5_S9_lSB_S9_lT6_S9_li.num_named_barrier, 0
	.set _ZL26rocblas_syr2k_her2k_kernelIlLb0ELb1ELb0ELi32E19rocblas_complex_numIdEPKPKS1_PKPS1_EvbiT_T4_T5_S9_lSB_S9_lT6_S9_li.private_seg_size, 0
	.set _ZL26rocblas_syr2k_her2k_kernelIlLb0ELb1ELb0ELi32E19rocblas_complex_numIdEPKPKS1_PKPS1_EvbiT_T4_T5_S9_lSB_S9_lT6_S9_li.uses_vcc, 1
	.set _ZL26rocblas_syr2k_her2k_kernelIlLb0ELb1ELb0ELi32E19rocblas_complex_numIdEPKPKS1_PKPS1_EvbiT_T4_T5_S9_lSB_S9_lT6_S9_li.uses_flat_scratch, 0
	.set _ZL26rocblas_syr2k_her2k_kernelIlLb0ELb1ELb0ELi32E19rocblas_complex_numIdEPKPKS1_PKPS1_EvbiT_T4_T5_S9_lSB_S9_lT6_S9_li.has_dyn_sized_stack, 0
	.set _ZL26rocblas_syr2k_her2k_kernelIlLb0ELb1ELb0ELi32E19rocblas_complex_numIdEPKPKS1_PKPS1_EvbiT_T4_T5_S9_lSB_S9_lT6_S9_li.has_recursion, 0
	.set _ZL26rocblas_syr2k_her2k_kernelIlLb0ELb1ELb0ELi32E19rocblas_complex_numIdEPKPKS1_PKPS1_EvbiT_T4_T5_S9_lSB_S9_lT6_S9_li.has_indirect_call, 0
	.section	.AMDGPU.csdata,"",@progbits
; Kernel info:
; codeLenInByte = 3128
; TotalNumSgprs: 48
; NumVgprs: 38
; ScratchSize: 0
; MemoryBound: 1
; FloatMode: 240
; IeeeMode: 1
; LDSByteSize: 32768 bytes/workgroup (compile time only)
; SGPRBlocks: 8
; VGPRBlocks: 9
; NumSGPRsForWavesPerEU: 65
; NumVGPRsForWavesPerEU: 38
; Occupancy: 6
; WaveLimiterHint : 1
; COMPUTE_PGM_RSRC2:SCRATCH_EN: 0
; COMPUTE_PGM_RSRC2:USER_SGPR: 6
; COMPUTE_PGM_RSRC2:TRAP_HANDLER: 0
; COMPUTE_PGM_RSRC2:TGID_X_EN: 1
; COMPUTE_PGM_RSRC2:TGID_Y_EN: 1
; COMPUTE_PGM_RSRC2:TGID_Z_EN: 1
; COMPUTE_PGM_RSRC2:TIDIG_COMP_CNT: 1
	.section	.text._ZL26rocblas_syr2k_her2k_kernelIlLb0ELb1ELb1ELi32E19rocblas_complex_numIdEPKPKS1_PKPS1_EvbiT_T4_T5_S9_lSB_S9_lT6_S9_li,"axG",@progbits,_ZL26rocblas_syr2k_her2k_kernelIlLb0ELb1ELb1ELi32E19rocblas_complex_numIdEPKPKS1_PKPS1_EvbiT_T4_T5_S9_lSB_S9_lT6_S9_li,comdat
	.globl	_ZL26rocblas_syr2k_her2k_kernelIlLb0ELb1ELb1ELi32E19rocblas_complex_numIdEPKPKS1_PKPS1_EvbiT_T4_T5_S9_lSB_S9_lT6_S9_li ; -- Begin function _ZL26rocblas_syr2k_her2k_kernelIlLb0ELb1ELb1ELi32E19rocblas_complex_numIdEPKPKS1_PKPS1_EvbiT_T4_T5_S9_lSB_S9_lT6_S9_li
	.p2align	8
	.type	_ZL26rocblas_syr2k_her2k_kernelIlLb0ELb1ELb1ELi32E19rocblas_complex_numIdEPKPKS1_PKPS1_EvbiT_T4_T5_S9_lSB_S9_lT6_S9_li,@function
_ZL26rocblas_syr2k_her2k_kernelIlLb0ELb1ELb1ELi32E19rocblas_complex_numIdEPKPKS1_PKPS1_EvbiT_T4_T5_S9_lSB_S9_lT6_S9_li: ; @_ZL26rocblas_syr2k_her2k_kernelIlLb0ELb1ELb1ELi32E19rocblas_complex_numIdEPKPKS1_PKPS1_EvbiT_T4_T5_S9_lSB_S9_lT6_S9_li
; %bb.0:
	s_load_dwordx16 s[12:27], s[4:5], 0x8
	s_waitcnt lgkmcnt(0)
	v_cmp_eq_f64_e64 s[0:1], s[14:15], 0
	v_cmp_eq_f64_e64 s[2:3], s[16:17], 0
	s_and_b64 s[0:1], s[0:1], s[2:3]
	s_and_b64 vcc, exec, s[0:1]
	s_cbranch_vccnz .LBB1772_13
; %bb.1:
	s_load_dwordx2 s[10:11], s[4:5], 0x0
	s_lshl_b32 s7, s7, 5
	s_lshl_b32 s6, s6, 5
	s_waitcnt lgkmcnt(0)
	s_and_b32 s0, 1, s10
	s_cmp_eq_u32 s0, 1
	s_cselect_b64 s[0:1], -1, 0
	s_and_b64 s[2:3], s[0:1], exec
	s_cselect_b32 s2, s6, s7
	s_cselect_b32 s3, s7, s6
	s_cmp_gt_i32 s2, s3
	s_cbranch_scc1 .LBB1772_13
; %bb.2:
	s_load_dwordx8 s[36:43], s[4:5], 0x48
	s_mov_b32 s9, 0
	s_lshl_b64 s[2:3], s[8:9], 3
	v_add_u32_e32 v8, s6, v0
	v_add_u32_e32 v10, s7, v1
	s_waitcnt lgkmcnt(0)
	s_add_u32 s4, s38, s2
	s_addc_u32 s5, s39, s3
	s_load_dwordx2 s[4:5], s[4:5], 0x0
	v_cmp_lt_i64_e64 s[6:7], s[12:13], 1
	s_lshl_b64 s[8:9], s[42:43], 4
	v_ashrrev_i32_e32 v17, 31, v8
	s_waitcnt lgkmcnt(0)
	s_add_u32 s10, s4, s8
	s_addc_u32 s28, s5, s9
	s_and_b64 vcc, exec, s[6:7]
	s_cbranch_vccnz .LBB1772_11
; %bb.3:
	s_add_u32 s4, s18, s2
	s_addc_u32 s5, s19, s3
	s_add_u32 s2, s24, s2
	s_addc_u32 s3, s25, s3
	v_mov_b32_e32 v9, 0
	s_load_dwordx2 s[18:19], s[2:3], 0x0
	s_ashr_i32 s3, s11, 31
	s_mov_b32 s2, s11
	v_mov_b32_e32 v11, v9
	v_ashrrev_i32_e32 v2, 31, v10
	s_load_dwordx2 s[8:9], s[4:5], 0x0
	v_cndmask_b32_e64 v4, v8, v10, s[0:1]
	v_cndmask_b32_e64 v5, v10, v8, s[0:1]
	v_cmp_gt_i64_e64 s[0:1], s[2:3], v[8:9]
	v_cmp_gt_i64_e64 s[2:3], s[2:3], v[10:11]
	v_mul_lo_u32 v9, s41, v10
	v_mul_lo_u32 v11, s40, v2
	v_mad_u64_u32 v[2:3], s[4:5], s40, v10, 0
	v_max_i32_e32 v6, v8, v10
	v_cmp_gt_i32_e32 vcc, s11, v6
	v_cmp_le_i32_e64 s[4:5], v5, v4
	s_and_b64 s[6:7], s[4:5], vcc
	v_add3_u32 v3, v3, v11, v9
	v_mad_u64_u32 v[4:5], s[4:5], s26, v10, 0
	v_lshlrev_b64 v[2:3], 4, v[2:3]
	v_mov_b32_e32 v6, s28
	v_add_co_u32_e32 v11, vcc, s10, v2
	v_mov_b32_e32 v9, v17
	v_addc_co_u32_e32 v12, vcc, v6, v3, vcc
	v_mad_u64_u32 v[5:6], s[4:5], s27, v10, v[5:6]
	v_lshlrev_b64 v[2:3], 4, v[8:9]
	s_lshl_b64 s[4:5], s[36:37], 4
	v_add_co_u32_e32 v11, vcc, v11, v2
	v_addc_co_u32_e32 v12, vcc, v12, v3, vcc
	v_lshlrev_b64 v[2:3], 4, v[4:5]
	v_mov_b32_e32 v4, s5
	v_add_co_u32_e32 v5, vcc, s4, v2
	v_addc_co_u32_e32 v4, vcc, v3, v4, vcc
	v_mad_u64_u32 v[2:3], s[4:5], s20, v8, 0
	v_lshlrev_b32_e32 v6, 4, v0
	v_add_co_u32_e32 v5, vcc, v5, v6
	v_addc_co_u32_e32 v6, vcc, 0, v4, vcc
	v_mad_u64_u32 v[3:4], s[4:5], s21, v8, v[3:4]
	s_waitcnt lgkmcnt(0)
	v_mov_b32_e32 v9, s19
	v_add_co_u32_e32 v13, vcc, s18, v5
	v_lshlrev_b64 v[2:3], 4, v[2:3]
	v_addc_co_u32_e32 v14, vcc, v9, v6, vcc
	s_lshl_b64 s[4:5], s[22:23], 4
	v_mov_b32_e32 v4, s5
	v_add_co_u32_e32 v2, vcc, s4, v2
	v_lshlrev_b32_e32 v7, 4, v1
	v_addc_co_u32_e32 v3, vcc, v3, v4, vcc
	v_add_co_u32_e32 v2, vcc, v2, v7
	v_addc_co_u32_e32 v3, vcc, 0, v3, vcc
	v_lshlrev_b32_e32 v18, 9, v0
	v_or_b32_e32 v20, 0x4000, v7
	v_mov_b32_e32 v4, s9
	v_add_co_u32_e32 v15, vcc, s8, v2
	v_add_u32_e32 v19, v18, v7
	v_add_u32_e32 v21, v20, v18
	v_addc_co_u32_e32 v16, vcc, v4, v3, vcc
	s_mov_b64 s[8:9], 0
	s_branch .LBB1772_5
.LBB1772_4:                             ;   in Loop: Header=BB1772_5 Depth=1
	s_or_b64 exec, exec, s[4:5]
	s_add_u32 s8, s8, 32
	v_add_co_u32_e32 v13, vcc, 0x200, v13
	v_mov_b32_e32 v2, s12
	s_addc_u32 s9, s9, 0
	v_addc_co_u32_e32 v14, vcc, 0, v14, vcc
	v_mov_b32_e32 v3, s13
	v_add_co_u32_e32 v15, vcc, 0x200, v15
	v_cmp_ge_i64_e64 s[4:5], s[8:9], v[2:3]
	v_addc_co_u32_e32 v16, vcc, 0, v16, vcc
	s_and_b64 vcc, exec, s[4:5]
	s_waitcnt vmcnt(0) lgkmcnt(0)
	s_barrier
	s_cbranch_vccnz .LBB1772_11
.LBB1772_5:                             ; =>This Inner Loop Header: Depth=1
	v_mov_b32_e32 v3, s9
	v_add_co_u32_e32 v2, vcc, s8, v1
	v_addc_co_u32_e32 v3, vcc, 0, v3, vcc
	v_cmp_gt_i64_e32 vcc, s[12:13], v[2:3]
	v_mov_b32_e32 v2, 0
	v_mov_b32_e32 v4, 0
	v_mov_b32_e32 v6, 0
	v_mov_b32_e32 v3, 0
	v_mov_b32_e32 v5, 0
	v_mov_b32_e32 v7, 0
	s_and_b64 s[18:19], s[0:1], vcc
	s_and_saveexec_b64 s[4:5], s[18:19]
	s_cbranch_execz .LBB1772_7
; %bb.6:                                ;   in Loop: Header=BB1772_5 Depth=1
	flat_load_dwordx4 v[4:7], v[15:16]
	s_waitcnt vmcnt(0) lgkmcnt(0)
	v_xor_b32_e32 v7, 0x80000000, v7
.LBB1772_7:                             ;   in Loop: Header=BB1772_5 Depth=1
	s_or_b64 exec, exec, s[4:5]
	ds_write_b128 v19, v[4:7]
	v_mov_b32_e32 v5, s9
	v_add_co_u32_e32 v4, vcc, s8, v0
	v_addc_co_u32_e32 v5, vcc, 0, v5, vcc
	v_cmp_gt_i64_e32 vcc, s[12:13], v[4:5]
	v_mov_b32_e32 v4, 0
	v_mov_b32_e32 v5, 0
	s_and_b64 s[18:19], s[2:3], vcc
	s_and_saveexec_b64 s[4:5], s[18:19]
	s_cbranch_execz .LBB1772_9
; %bb.8:                                ;   in Loop: Header=BB1772_5 Depth=1
	flat_load_dwordx4 v[2:5], v[13:14]
.LBB1772_9:                             ;   in Loop: Header=BB1772_5 Depth=1
	s_or_b64 exec, exec, s[4:5]
	s_waitcnt vmcnt(0) lgkmcnt(0)
	ds_write_b128 v21, v[2:5]
	s_waitcnt lgkmcnt(0)
	s_barrier
	s_and_saveexec_b64 s[4:5], s[6:7]
	s_cbranch_execz .LBB1772_4
; %bb.10:                               ;   in Loop: Header=BB1772_5 Depth=1
	ds_read_b128 v[22:25], v20
	ds_read_b128 v[26:29], v18
	ds_read_b128 v[30:33], v18 offset:16
	ds_read_b128 v[34:37], v18 offset:32
	;; [unrolled: 1-line block ×3, first 2 shown]
	s_waitcnt lgkmcnt(3)
	v_mul_f64 v[6:7], v[24:25], v[28:29]
	v_fma_f64 v[6:7], v[22:23], v[26:27], -v[6:7]
	v_mul_f64 v[22:23], v[22:23], v[28:29]
	v_add_f64 v[6:7], v[6:7], 0
	v_fma_f64 v[22:23], v[24:25], v[26:27], v[22:23]
	v_add_f64 v[26:27], v[22:23], 0
	ds_read_b128 v[22:25], v20 offset:512
	s_waitcnt lgkmcnt(0)
	v_mul_f64 v[28:29], v[24:25], v[32:33]
	v_fma_f64 v[28:29], v[22:23], v[30:31], -v[28:29]
	v_mul_f64 v[22:23], v[22:23], v[32:33]
	v_add_f64 v[6:7], v[6:7], v[28:29]
	v_fma_f64 v[22:23], v[24:25], v[30:31], v[22:23]
	v_add_f64 v[26:27], v[26:27], v[22:23]
	ds_read_b128 v[22:25], v20 offset:1024
	;; [unrolled: 8-line block ×3, first 2 shown]
	s_waitcnt lgkmcnt(0)
	v_mul_f64 v[28:29], v[24:25], v[4:5]
	v_mul_f64 v[4:5], v[22:23], v[4:5]
	v_fma_f64 v[28:29], v[22:23], v[2:3], -v[28:29]
	v_fma_f64 v[2:3], v[24:25], v[2:3], v[4:5]
	v_add_f64 v[6:7], v[6:7], v[28:29]
	v_add_f64 v[26:27], v[26:27], v[2:3]
	ds_read_b128 v[2:5], v20 offset:2048
	ds_read_b128 v[22:25], v18 offset:64
	s_waitcnt lgkmcnt(0)
	v_mul_f64 v[28:29], v[4:5], v[24:25]
	v_fma_f64 v[28:29], v[2:3], v[22:23], -v[28:29]
	v_mul_f64 v[2:3], v[2:3], v[24:25]
	v_add_f64 v[6:7], v[6:7], v[28:29]
	v_fma_f64 v[2:3], v[4:5], v[22:23], v[2:3]
	v_add_f64 v[26:27], v[26:27], v[2:3]
	ds_read_b128 v[2:5], v20 offset:2560
	ds_read_b128 v[22:25], v18 offset:80
	s_waitcnt lgkmcnt(0)
	v_mul_f64 v[28:29], v[4:5], v[24:25]
	v_fma_f64 v[28:29], v[2:3], v[22:23], -v[28:29]
	v_mul_f64 v[2:3], v[2:3], v[24:25]
	v_add_f64 v[6:7], v[6:7], v[28:29]
	v_fma_f64 v[2:3], v[4:5], v[22:23], v[2:3]
	;; [unrolled: 9-line block ×27, first 2 shown]
	v_add_f64 v[26:27], v[26:27], v[2:3]
	ds_read_b128 v[2:5], v20 offset:15872
	ds_read_b128 v[22:25], v18 offset:496
	s_waitcnt lgkmcnt(0)
	v_mul_f64 v[28:29], v[4:5], v[24:25]
	v_fma_f64 v[28:29], v[2:3], v[22:23], -v[28:29]
	v_mul_f64 v[2:3], v[2:3], v[24:25]
	v_fma_f64 v[2:3], v[4:5], v[22:23], v[2:3]
	flat_load_dwordx4 v[22:25], v[11:12]
	v_add_f64 v[4:5], v[6:7], v[28:29]
	v_add_f64 v[6:7], v[26:27], v[2:3]
	v_mul_f64 v[2:3], s[16:17], v[6:7]
	v_mul_f64 v[6:7], s[14:15], v[6:7]
	v_fma_f64 v[2:3], s[14:15], v[4:5], -v[2:3]
	v_fma_f64 v[4:5], s[16:17], v[4:5], v[6:7]
	s_waitcnt vmcnt(0) lgkmcnt(0)
	v_add_f64 v[2:3], v[22:23], v[2:3]
	v_add_f64 v[4:5], v[24:25], v[4:5]
	flat_store_dwordx4 v[11:12], v[2:5]
	s_branch .LBB1772_4
.LBB1772_11:
	v_cmp_eq_u32_e32 vcc, v8, v10
	v_cmp_gt_i32_e64 s[0:1], s11, v8
	s_and_b64 s[0:1], vcc, s[0:1]
	s_and_saveexec_b64 s[2:3], s[0:1]
	s_cbranch_execz .LBB1772_13
; %bb.12:
	v_mul_lo_u32 v2, s41, v8
	v_mul_lo_u32 v3, s40, v17
	v_mad_u64_u32 v[0:1], s[0:1], s40, v8, 0
	v_mov_b32_e32 v9, v17
	v_add3_u32 v1, v1, v3, v2
	v_lshlrev_b64 v[0:1], 4, v[0:1]
	v_mov_b32_e32 v2, s28
	v_add_co_u32_e32 v3, vcc, s10, v0
	v_addc_co_u32_e32 v2, vcc, v2, v1, vcc
	v_lshlrev_b64 v[0:1], 4, v[8:9]
	v_add_co_u32_e32 v0, vcc, v3, v0
	v_addc_co_u32_e32 v1, vcc, v2, v1, vcc
	v_mov_b32_e32 v2, 0
	v_mov_b32_e32 v3, v2
	flat_store_dwordx2 v[0:1], v[2:3] offset:8
.LBB1772_13:
	s_endpgm
	.section	.rodata,"a",@progbits
	.p2align	6, 0x0
	.amdhsa_kernel _ZL26rocblas_syr2k_her2k_kernelIlLb0ELb1ELb1ELi32E19rocblas_complex_numIdEPKPKS1_PKPS1_EvbiT_T4_T5_S9_lSB_S9_lT6_S9_li
		.amdhsa_group_segment_fixed_size 32768
		.amdhsa_private_segment_fixed_size 0
		.amdhsa_kernarg_size 108
		.amdhsa_user_sgpr_count 6
		.amdhsa_user_sgpr_private_segment_buffer 1
		.amdhsa_user_sgpr_dispatch_ptr 0
		.amdhsa_user_sgpr_queue_ptr 0
		.amdhsa_user_sgpr_kernarg_segment_ptr 1
		.amdhsa_user_sgpr_dispatch_id 0
		.amdhsa_user_sgpr_flat_scratch_init 0
		.amdhsa_user_sgpr_private_segment_size 0
		.amdhsa_uses_dynamic_stack 0
		.amdhsa_system_sgpr_private_segment_wavefront_offset 0
		.amdhsa_system_sgpr_workgroup_id_x 1
		.amdhsa_system_sgpr_workgroup_id_y 1
		.amdhsa_system_sgpr_workgroup_id_z 1
		.amdhsa_system_sgpr_workgroup_info 0
		.amdhsa_system_vgpr_workitem_id 1
		.amdhsa_next_free_vgpr 38
		.amdhsa_next_free_sgpr 61
		.amdhsa_reserve_vcc 1
		.amdhsa_reserve_flat_scratch 0
		.amdhsa_float_round_mode_32 0
		.amdhsa_float_round_mode_16_64 0
		.amdhsa_float_denorm_mode_32 3
		.amdhsa_float_denorm_mode_16_64 3
		.amdhsa_dx10_clamp 1
		.amdhsa_ieee_mode 1
		.amdhsa_fp16_overflow 0
		.amdhsa_exception_fp_ieee_invalid_op 0
		.amdhsa_exception_fp_denorm_src 0
		.amdhsa_exception_fp_ieee_div_zero 0
		.amdhsa_exception_fp_ieee_overflow 0
		.amdhsa_exception_fp_ieee_underflow 0
		.amdhsa_exception_fp_ieee_inexact 0
		.amdhsa_exception_int_div_zero 0
	.end_amdhsa_kernel
	.section	.text._ZL26rocblas_syr2k_her2k_kernelIlLb0ELb1ELb1ELi32E19rocblas_complex_numIdEPKPKS1_PKPS1_EvbiT_T4_T5_S9_lSB_S9_lT6_S9_li,"axG",@progbits,_ZL26rocblas_syr2k_her2k_kernelIlLb0ELb1ELb1ELi32E19rocblas_complex_numIdEPKPKS1_PKPS1_EvbiT_T4_T5_S9_lSB_S9_lT6_S9_li,comdat
.Lfunc_end1772:
	.size	_ZL26rocblas_syr2k_her2k_kernelIlLb0ELb1ELb1ELi32E19rocblas_complex_numIdEPKPKS1_PKPS1_EvbiT_T4_T5_S9_lSB_S9_lT6_S9_li, .Lfunc_end1772-_ZL26rocblas_syr2k_her2k_kernelIlLb0ELb1ELb1ELi32E19rocblas_complex_numIdEPKPKS1_PKPS1_EvbiT_T4_T5_S9_lSB_S9_lT6_S9_li
                                        ; -- End function
	.set _ZL26rocblas_syr2k_her2k_kernelIlLb0ELb1ELb1ELi32E19rocblas_complex_numIdEPKPKS1_PKPS1_EvbiT_T4_T5_S9_lSB_S9_lT6_S9_li.num_vgpr, 38
	.set _ZL26rocblas_syr2k_her2k_kernelIlLb0ELb1ELb1ELi32E19rocblas_complex_numIdEPKPKS1_PKPS1_EvbiT_T4_T5_S9_lSB_S9_lT6_S9_li.num_agpr, 0
	.set _ZL26rocblas_syr2k_her2k_kernelIlLb0ELb1ELb1ELi32E19rocblas_complex_numIdEPKPKS1_PKPS1_EvbiT_T4_T5_S9_lSB_S9_lT6_S9_li.numbered_sgpr, 44
	.set _ZL26rocblas_syr2k_her2k_kernelIlLb0ELb1ELb1ELi32E19rocblas_complex_numIdEPKPKS1_PKPS1_EvbiT_T4_T5_S9_lSB_S9_lT6_S9_li.num_named_barrier, 0
	.set _ZL26rocblas_syr2k_her2k_kernelIlLb0ELb1ELb1ELi32E19rocblas_complex_numIdEPKPKS1_PKPS1_EvbiT_T4_T5_S9_lSB_S9_lT6_S9_li.private_seg_size, 0
	.set _ZL26rocblas_syr2k_her2k_kernelIlLb0ELb1ELb1ELi32E19rocblas_complex_numIdEPKPKS1_PKPS1_EvbiT_T4_T5_S9_lSB_S9_lT6_S9_li.uses_vcc, 1
	.set _ZL26rocblas_syr2k_her2k_kernelIlLb0ELb1ELb1ELi32E19rocblas_complex_numIdEPKPKS1_PKPS1_EvbiT_T4_T5_S9_lSB_S9_lT6_S9_li.uses_flat_scratch, 0
	.set _ZL26rocblas_syr2k_her2k_kernelIlLb0ELb1ELb1ELi32E19rocblas_complex_numIdEPKPKS1_PKPS1_EvbiT_T4_T5_S9_lSB_S9_lT6_S9_li.has_dyn_sized_stack, 0
	.set _ZL26rocblas_syr2k_her2k_kernelIlLb0ELb1ELb1ELi32E19rocblas_complex_numIdEPKPKS1_PKPS1_EvbiT_T4_T5_S9_lSB_S9_lT6_S9_li.has_recursion, 0
	.set _ZL26rocblas_syr2k_her2k_kernelIlLb0ELb1ELb1ELi32E19rocblas_complex_numIdEPKPKS1_PKPS1_EvbiT_T4_T5_S9_lSB_S9_lT6_S9_li.has_indirect_call, 0
	.section	.AMDGPU.csdata,"",@progbits
; Kernel info:
; codeLenInByte = 3100
; TotalNumSgprs: 48
; NumVgprs: 38
; ScratchSize: 0
; MemoryBound: 1
; FloatMode: 240
; IeeeMode: 1
; LDSByteSize: 32768 bytes/workgroup (compile time only)
; SGPRBlocks: 8
; VGPRBlocks: 9
; NumSGPRsForWavesPerEU: 65
; NumVGPRsForWavesPerEU: 38
; Occupancy: 6
; WaveLimiterHint : 1
; COMPUTE_PGM_RSRC2:SCRATCH_EN: 0
; COMPUTE_PGM_RSRC2:USER_SGPR: 6
; COMPUTE_PGM_RSRC2:TRAP_HANDLER: 0
; COMPUTE_PGM_RSRC2:TGID_X_EN: 1
; COMPUTE_PGM_RSRC2:TGID_Y_EN: 1
; COMPUTE_PGM_RSRC2:TGID_Z_EN: 1
; COMPUTE_PGM_RSRC2:TIDIG_COMP_CNT: 1
	.section	.text._ZL37rocblas_syrkx_herkx_restricted_kernelIl19rocblas_complex_numIdELi16ELi32ELi8ELi1ELi1ELb1ELc84ELc76EKPKS1_KPS1_EviT_PT9_S7_lS9_S7_lPT10_S7_li,"axG",@progbits,_ZL37rocblas_syrkx_herkx_restricted_kernelIl19rocblas_complex_numIdELi16ELi32ELi8ELi1ELi1ELb1ELc84ELc76EKPKS1_KPS1_EviT_PT9_S7_lS9_S7_lPT10_S7_li,comdat
	.globl	_ZL37rocblas_syrkx_herkx_restricted_kernelIl19rocblas_complex_numIdELi16ELi32ELi8ELi1ELi1ELb1ELc84ELc76EKPKS1_KPS1_EviT_PT9_S7_lS9_S7_lPT10_S7_li ; -- Begin function _ZL37rocblas_syrkx_herkx_restricted_kernelIl19rocblas_complex_numIdELi16ELi32ELi8ELi1ELi1ELb1ELc84ELc76EKPKS1_KPS1_EviT_PT9_S7_lS9_S7_lPT10_S7_li
	.p2align	8
	.type	_ZL37rocblas_syrkx_herkx_restricted_kernelIl19rocblas_complex_numIdELi16ELi32ELi8ELi1ELi1ELb1ELc84ELc76EKPKS1_KPS1_EviT_PT9_S7_lS9_S7_lPT10_S7_li,@function
_ZL37rocblas_syrkx_herkx_restricted_kernelIl19rocblas_complex_numIdELi16ELi32ELi8ELi1ELi1ELb1ELc84ELc76EKPKS1_KPS1_EviT_PT9_S7_lS9_S7_lPT10_S7_li: ; @_ZL37rocblas_syrkx_herkx_restricted_kernelIl19rocblas_complex_numIdELi16ELi32ELi8ELi1ELi1ELb1ELc84ELc76EKPKS1_KPS1_EviT_PT9_S7_lS9_S7_lPT10_S7_li
; %bb.0:
	s_load_dwordx4 s[12:15], s[4:5], 0x40
	s_load_dwordx4 s[0:3], s[4:5], 0x8
	s_mov_b32 s9, 0
	s_lshl_b64 s[10:11], s[8:9], 3
	s_waitcnt lgkmcnt(0)
	s_add_u32 s8, s12, s10
	s_addc_u32 s9, s13, s11
	s_load_dwordx2 s[8:9], s[8:9], 0x0
	v_cmp_lt_i64_e64 s[12:13], s[0:1], 1
	s_lshl_b32 s6, s6, 5
	s_lshl_b32 s7, s7, 5
	s_and_b64 vcc, exec, s[12:13]
	s_cbranch_vccnz .LBB1773_3
; %bb.1:
	s_load_dwordx2 s[12:13], s[4:5], 0x18
	s_load_dwordx4 s[16:19], s[4:5], 0x28
	v_lshl_add_u32 v6, v1, 4, v0
	v_lshrrev_b32_e32 v8, 3, v6
	v_add_u32_e32 v4, s7, v8
	v_ashrrev_i32_e32 v5, 31, v4
	v_and_b32_e32 v2, 7, v0
	v_mov_b32_e32 v3, 0
	s_waitcnt lgkmcnt(0)
	v_mul_lo_u32 v7, s18, v5
	v_mul_lo_u32 v9, s19, v4
	v_mad_u64_u32 v[4:5], s[18:19], s18, v4, v[2:3]
	s_add_u32 s2, s2, s10
	v_lshlrev_b32_e32 v2, 4, v2
	v_add3_u32 v5, v9, v5, v7
	v_and_b32_e32 v9, 31, v6
	s_addc_u32 s3, s3, s11
	v_lshl_or_b32 v2, v8, 7, v2
	v_add_u32_e32 v8, s6, v9
	s_add_u32 s10, s16, s10
	v_lshrrev_b32_e32 v6, 5, v6
	v_mov_b32_e32 v7, v3
	v_lshlrev_b32_e32 v3, 4, v9
	v_add_u32_e32 v23, 0x1000, v2
	v_ashrrev_i32_e32 v2, 31, v8
	s_addc_u32 s11, s17, s11
	v_lshl_or_b32 v22, v6, 9, v3
	v_mul_lo_u32 v9, s12, v2
	v_mad_u64_u32 v[2:3], s[16:17], s12, v8, v[6:7]
	v_mul_lo_u32 v6, s13, v8
	s_load_dwordx2 s[2:3], s[2:3], 0x0
	v_lshlrev_b64 v[4:5], 4, v[4:5]
	s_load_dwordx2 s[10:11], s[10:11], 0x0
	v_add3_u32 v3, v6, v3, v9
	v_lshlrev_b64 v[2:3], 4, v[2:3]
	s_waitcnt lgkmcnt(0)
	v_mov_b32_e32 v6, s3
	v_add_co_u32_e32 v2, vcc, s2, v2
	v_addc_co_u32_e32 v3, vcc, v6, v3, vcc
	v_mov_b32_e32 v7, 0x1000
	v_mov_b32_e32 v6, s11
	v_add_co_u32_e32 v4, vcc, s10, v4
	v_lshl_add_u32 v25, v1, 7, v7
	v_addc_co_u32_e32 v5, vcc, v6, v5, vcc
	v_mov_b32_e32 v10, 0
	v_mov_b32_e32 v12, 0
	;; [unrolled: 1-line block ×8, first 2 shown]
	v_lshlrev_b32_e32 v24, 4, v0
	v_mov_b32_e32 v11, 0
	v_mov_b32_e32 v13, 0
	;; [unrolled: 1-line block ×8, first 2 shown]
	s_mov_b64 s[2:3], 0
.LBB1773_2:                             ; =>This Inner Loop Header: Depth=1
	flat_load_dwordx4 v[26:29], v[2:3]
	s_add_u32 s2, s2, 8
	v_add_co_u32_e32 v2, vcc, 0x80, v2
	s_addc_u32 s3, s3, 0
	v_addc_co_u32_e32 v3, vcc, 0, v3, vcc
	s_waitcnt vmcnt(0) lgkmcnt(0)
	ds_write_b128 v22, v[26:29]
	flat_load_dwordx4 v[26:29], v[4:5]
	v_add_co_u32_e32 v4, vcc, 0x80, v4
	v_addc_co_u32_e32 v5, vcc, 0, v5, vcc
	s_waitcnt vmcnt(0) lgkmcnt(0)
	ds_write_b128 v23, v[26:29]
	s_waitcnt lgkmcnt(0)
	s_barrier
	ds_read_b128 v[26:29], v25
	ds_read_b128 v[30:33], v25 offset:16
	ds_read_b128 v[34:37], v25 offset:32
	ds_read_b128 v[38:41], v25 offset:48
	ds_read_b128 v[42:45], v24
	s_waitcnt lgkmcnt(0)
	v_mul_f64 v[46:47], v[28:29], v[44:45]
	v_mul_f64 v[48:49], v[26:27], v[44:45]
	v_fma_f64 v[46:47], v[26:27], v[42:43], -v[46:47]
	v_fma_f64 v[48:49], v[28:29], v[42:43], v[48:49]
	v_add_f64 v[46:47], v[18:19], v[46:47]
	v_add_f64 v[48:49], v[48:49], v[20:21]
	ds_read_b128 v[18:21], v24 offset:256
	s_waitcnt lgkmcnt(0)
	v_mul_f64 v[50:51], v[28:29], v[20:21]
	v_fma_f64 v[50:51], v[26:27], v[18:19], -v[50:51]
	v_mul_f64 v[26:27], v[26:27], v[20:21]
	v_fma_f64 v[26:27], v[28:29], v[18:19], v[26:27]
	v_add_f64 v[28:29], v[6:7], v[50:51]
	v_add_f64 v[26:27], v[26:27], v[8:9]
	ds_read_b128 v[6:9], v25 offset:2048
	s_waitcnt lgkmcnt(0)
	v_mul_f64 v[50:51], v[8:9], v[44:45]
	v_mul_f64 v[44:45], v[6:7], v[44:45]
	v_fma_f64 v[50:51], v[6:7], v[42:43], -v[50:51]
	v_fma_f64 v[42:43], v[8:9], v[42:43], v[44:45]
	v_add_f64 v[44:45], v[14:15], v[50:51]
	v_mul_f64 v[14:15], v[8:9], v[20:21]
	v_add_f64 v[42:43], v[42:43], v[16:17]
	v_fma_f64 v[14:15], v[6:7], v[18:19], -v[14:15]
	v_mul_f64 v[6:7], v[6:7], v[20:21]
	v_fma_f64 v[6:7], v[8:9], v[18:19], v[6:7]
	v_add_f64 v[18:19], v[12:13], v[14:15]
	v_add_f64 v[20:21], v[6:7], v[10:11]
	ds_read_b128 v[6:9], v24 offset:512
	s_waitcnt lgkmcnt(0)
	v_mul_f64 v[10:11], v[32:33], v[8:9]
	v_mul_f64 v[12:13], v[30:31], v[8:9]
	v_fma_f64 v[10:11], v[30:31], v[6:7], -v[10:11]
	v_fma_f64 v[12:13], v[32:33], v[6:7], v[12:13]
	v_add_f64 v[46:47], v[46:47], v[10:11]
	v_add_f64 v[48:49], v[12:13], v[48:49]
	ds_read_b128 v[10:13], v24 offset:768
	s_waitcnt lgkmcnt(0)
	v_mul_f64 v[14:15], v[32:33], v[12:13]
	v_mul_f64 v[16:17], v[30:31], v[12:13]
	v_fma_f64 v[14:15], v[30:31], v[10:11], -v[14:15]
	;; [unrolled: 8-line block ×3, first 2 shown]
	v_fma_f64 v[6:7], v[16:17], v[6:7], v[8:9]
	v_mul_f64 v[8:9], v[14:15], v[12:13]
	v_add_f64 v[30:31], v[44:45], v[30:31]
	v_add_f64 v[32:33], v[6:7], v[42:43]
	v_mul_f64 v[6:7], v[16:17], v[12:13]
	v_fma_f64 v[8:9], v[16:17], v[10:11], v[8:9]
	v_fma_f64 v[6:7], v[14:15], v[10:11], -v[6:7]
	v_add_f64 v[20:21], v[8:9], v[20:21]
	v_add_f64 v[18:19], v[18:19], v[6:7]
	ds_read_b128 v[6:9], v24 offset:1024
	s_waitcnt lgkmcnt(0)
	v_mul_f64 v[10:11], v[36:37], v[8:9]
	v_mul_f64 v[12:13], v[34:35], v[8:9]
	v_fma_f64 v[10:11], v[34:35], v[6:7], -v[10:11]
	v_fma_f64 v[12:13], v[36:37], v[6:7], v[12:13]
	v_add_f64 v[42:43], v[46:47], v[10:11]
	v_add_f64 v[44:45], v[12:13], v[48:49]
	ds_read_b128 v[10:13], v24 offset:1280
	s_waitcnt lgkmcnt(0)
	v_mul_f64 v[14:15], v[36:37], v[12:13]
	v_mul_f64 v[16:17], v[34:35], v[12:13]
	v_fma_f64 v[14:15], v[34:35], v[10:11], -v[14:15]
	v_fma_f64 v[16:17], v[36:37], v[10:11], v[16:17]
	;; [unrolled: 8-line block ×3, first 2 shown]
	v_mul_f64 v[8:9], v[14:15], v[12:13]
	v_add_f64 v[30:31], v[30:31], v[34:35]
	v_add_f64 v[32:33], v[6:7], v[32:33]
	v_mul_f64 v[6:7], v[16:17], v[12:13]
	v_fma_f64 v[8:9], v[16:17], v[10:11], v[8:9]
	v_fma_f64 v[6:7], v[14:15], v[10:11], -v[6:7]
	v_add_f64 v[20:21], v[8:9], v[20:21]
	v_add_f64 v[18:19], v[18:19], v[6:7]
	ds_read_b128 v[6:9], v24 offset:1536
	s_waitcnt lgkmcnt(0)
	v_mul_f64 v[10:11], v[40:41], v[8:9]
	v_mul_f64 v[12:13], v[38:39], v[8:9]
	v_fma_f64 v[10:11], v[38:39], v[6:7], -v[10:11]
	v_fma_f64 v[12:13], v[40:41], v[6:7], v[12:13]
	v_add_f64 v[34:35], v[42:43], v[10:11]
	v_add_f64 v[36:37], v[12:13], v[44:45]
	ds_read_b128 v[10:13], v24 offset:1792
	s_waitcnt lgkmcnt(0)
	v_mul_f64 v[14:15], v[40:41], v[12:13]
	v_mul_f64 v[16:17], v[38:39], v[12:13]
	v_fma_f64 v[14:15], v[38:39], v[10:11], -v[14:15]
	v_fma_f64 v[16:17], v[40:41], v[10:11], v[16:17]
	;; [unrolled: 8-line block ×3, first 2 shown]
	v_mul_f64 v[8:9], v[14:15], v[12:13]
	v_add_f64 v[30:31], v[30:31], v[38:39]
	v_add_f64 v[32:33], v[6:7], v[32:33]
	v_mul_f64 v[6:7], v[16:17], v[12:13]
	v_fma_f64 v[8:9], v[16:17], v[10:11], v[8:9]
	v_fma_f64 v[6:7], v[14:15], v[10:11], -v[6:7]
	v_add_f64 v[20:21], v[8:9], v[20:21]
	v_add_f64 v[18:19], v[18:19], v[6:7]
	ds_read_b128 v[6:9], v25 offset:64
	ds_read_b128 v[10:13], v24 offset:2048
	s_waitcnt lgkmcnt(0)
	v_mul_f64 v[14:15], v[8:9], v[12:13]
	v_mul_f64 v[16:17], v[6:7], v[12:13]
	v_fma_f64 v[14:15], v[6:7], v[10:11], -v[14:15]
	v_fma_f64 v[16:17], v[8:9], v[10:11], v[16:17]
	v_add_f64 v[34:35], v[34:35], v[14:15]
	v_add_f64 v[36:37], v[16:17], v[36:37]
	ds_read_b128 v[14:17], v24 offset:2304
	s_waitcnt lgkmcnt(0)
	v_mul_f64 v[38:39], v[8:9], v[16:17]
	v_fma_f64 v[38:39], v[6:7], v[14:15], -v[38:39]
	v_mul_f64 v[6:7], v[6:7], v[16:17]
	v_add_f64 v[28:29], v[28:29], v[38:39]
	v_fma_f64 v[6:7], v[8:9], v[14:15], v[6:7]
	v_add_f64 v[26:27], v[6:7], v[26:27]
	ds_read_b128 v[6:9], v25 offset:2112
	s_waitcnt lgkmcnt(0)
	v_mul_f64 v[38:39], v[8:9], v[12:13]
	v_mul_f64 v[12:13], v[6:7], v[12:13]
	v_fma_f64 v[38:39], v[6:7], v[10:11], -v[38:39]
	v_fma_f64 v[10:11], v[8:9], v[10:11], v[12:13]
	v_add_f64 v[30:31], v[30:31], v[38:39]
	v_add_f64 v[32:33], v[10:11], v[32:33]
	v_mul_f64 v[10:11], v[8:9], v[16:17]
	v_fma_f64 v[10:11], v[6:7], v[14:15], -v[10:11]
	v_mul_f64 v[6:7], v[6:7], v[16:17]
	v_add_f64 v[18:19], v[18:19], v[10:11]
	v_fma_f64 v[6:7], v[8:9], v[14:15], v[6:7]
	v_add_f64 v[20:21], v[6:7], v[20:21]
	ds_read_b128 v[6:9], v25 offset:80
	ds_read_b128 v[10:13], v24 offset:2560
	s_waitcnt lgkmcnt(0)
	v_mul_f64 v[14:15], v[8:9], v[12:13]
	v_mul_f64 v[16:17], v[6:7], v[12:13]
	v_fma_f64 v[14:15], v[6:7], v[10:11], -v[14:15]
	v_fma_f64 v[16:17], v[8:9], v[10:11], v[16:17]
	v_add_f64 v[34:35], v[34:35], v[14:15]
	v_add_f64 v[36:37], v[16:17], v[36:37]
	ds_read_b128 v[14:17], v24 offset:2816
	s_waitcnt lgkmcnt(0)
	v_mul_f64 v[38:39], v[8:9], v[16:17]
	v_fma_f64 v[38:39], v[6:7], v[14:15], -v[38:39]
	v_mul_f64 v[6:7], v[6:7], v[16:17]
	v_add_f64 v[28:29], v[28:29], v[38:39]
	v_fma_f64 v[6:7], v[8:9], v[14:15], v[6:7]
	v_add_f64 v[26:27], v[6:7], v[26:27]
	ds_read_b128 v[6:9], v25 offset:2128
	s_waitcnt lgkmcnt(0)
	v_mul_f64 v[38:39], v[8:9], v[12:13]
	v_mul_f64 v[12:13], v[6:7], v[12:13]
	v_fma_f64 v[38:39], v[6:7], v[10:11], -v[38:39]
	v_fma_f64 v[10:11], v[8:9], v[10:11], v[12:13]
	v_add_f64 v[30:31], v[30:31], v[38:39]
	v_add_f64 v[32:33], v[10:11], v[32:33]
	v_mul_f64 v[10:11], v[8:9], v[16:17]
	v_fma_f64 v[10:11], v[6:7], v[14:15], -v[10:11]
	v_mul_f64 v[6:7], v[6:7], v[16:17]
	v_add_f64 v[18:19], v[18:19], v[10:11]
	v_fma_f64 v[6:7], v[8:9], v[14:15], v[6:7]
	v_add_f64 v[20:21], v[6:7], v[20:21]
	ds_read_b128 v[6:9], v25 offset:96
	ds_read_b128 v[10:13], v24 offset:3072
	s_waitcnt lgkmcnt(0)
	v_mul_f64 v[14:15], v[8:9], v[12:13]
	v_mul_f64 v[16:17], v[6:7], v[12:13]
	v_fma_f64 v[14:15], v[6:7], v[10:11], -v[14:15]
	v_fma_f64 v[16:17], v[8:9], v[10:11], v[16:17]
	v_add_f64 v[34:35], v[34:35], v[14:15]
	v_add_f64 v[36:37], v[16:17], v[36:37]
	ds_read_b128 v[14:17], v24 offset:3328
	s_waitcnt lgkmcnt(0)
	v_mul_f64 v[38:39], v[8:9], v[16:17]
	v_fma_f64 v[38:39], v[6:7], v[14:15], -v[38:39]
	v_mul_f64 v[6:7], v[6:7], v[16:17]
	v_add_f64 v[38:39], v[28:29], v[38:39]
	v_fma_f64 v[6:7], v[8:9], v[14:15], v[6:7]
	v_add_f64 v[40:41], v[6:7], v[26:27]
	ds_read_b128 v[6:9], v25 offset:2144
	s_waitcnt lgkmcnt(0)
	v_mul_f64 v[26:27], v[8:9], v[12:13]
	v_mul_f64 v[12:13], v[6:7], v[12:13]
	v_fma_f64 v[26:27], v[6:7], v[10:11], -v[26:27]
	v_fma_f64 v[10:11], v[8:9], v[10:11], v[12:13]
	v_add_f64 v[42:43], v[30:31], v[26:27]
	v_add_f64 v[44:45], v[10:11], v[32:33]
	v_mul_f64 v[10:11], v[8:9], v[16:17]
	v_fma_f64 v[10:11], v[6:7], v[14:15], -v[10:11]
	v_mul_f64 v[6:7], v[6:7], v[16:17]
	v_add_f64 v[46:47], v[18:19], v[10:11]
	v_fma_f64 v[6:7], v[8:9], v[14:15], v[6:7]
	v_add_f64 v[48:49], v[6:7], v[20:21]
	ds_read_b128 v[6:9], v25 offset:112
	ds_read_b128 v[10:13], v24 offset:3584
	;; [unrolled: 1-line block ×4, first 2 shown]
	s_waitcnt lgkmcnt(0)
	s_barrier
	v_mul_f64 v[14:15], v[8:9], v[12:13]
	v_mul_f64 v[16:17], v[6:7], v[12:13]
	v_fma_f64 v[14:15], v[6:7], v[10:11], -v[14:15]
	v_fma_f64 v[16:17], v[8:9], v[10:11], v[16:17]
	v_add_f64 v[18:19], v[34:35], v[14:15]
	v_mul_f64 v[14:15], v[8:9], v[28:29]
	v_add_f64 v[20:21], v[16:17], v[36:37]
	v_fma_f64 v[14:15], v[6:7], v[26:27], -v[14:15]
	v_mul_f64 v[6:7], v[6:7], v[28:29]
	v_fma_f64 v[8:9], v[8:9], v[26:27], v[6:7]
	v_add_f64 v[6:7], v[38:39], v[14:15]
	v_mul_f64 v[14:15], v[32:33], v[12:13]
	v_mul_f64 v[12:13], v[30:31], v[12:13]
	v_add_f64 v[8:9], v[8:9], v[40:41]
	v_fma_f64 v[14:15], v[30:31], v[10:11], -v[14:15]
	v_fma_f64 v[10:11], v[32:33], v[10:11], v[12:13]
	v_mul_f64 v[12:13], v[30:31], v[28:29]
	v_add_f64 v[14:15], v[42:43], v[14:15]
	v_add_f64 v[16:17], v[10:11], v[44:45]
	v_mul_f64 v[10:11], v[32:33], v[28:29]
	v_fma_f64 v[10:11], v[30:31], v[26:27], -v[10:11]
	v_fma_f64 v[26:27], v[32:33], v[26:27], v[12:13]
	v_add_f64 v[12:13], v[46:47], v[10:11]
	v_add_f64 v[10:11], v[26:27], v[48:49]
	v_mov_b32_e32 v27, s3
	v_mov_b32_e32 v26, s2
	v_cmp_le_u64_e32 vcc, s[0:1], v[26:27]
	s_cbranch_vccz .LBB1773_2
	s_branch .LBB1773_4
.LBB1773_3:
	v_mov_b32_e32 v18, 0
	v_mov_b32_e32 v20, 0
	;; [unrolled: 1-line block ×16, first 2 shown]
.LBB1773_4:
	v_add_u32_e32 v4, s7, v1
	v_ashrrev_i32_e32 v1, 31, v4
	v_mul_lo_u32 v3, s14, v1
	v_mul_lo_u32 v5, s15, v4
	v_mad_u64_u32 v[1:2], s[0:1], s14, v4, 0
	s_load_dword s4, s[4:5], 0x0
	v_add_u32_e32 v0, s6, v0
	v_add3_u32 v2, v2, v3, v5
	v_lshlrev_b64 v[1:2], 4, v[1:2]
	s_waitcnt lgkmcnt(0)
	v_mov_b32_e32 v3, s9
	v_add_co_u32_e32 v5, vcc, s8, v1
	v_addc_co_u32_e32 v22, vcc, v3, v2, vcc
	v_cmp_le_i32_e64 s[0:1], v4, v0
	v_cmp_gt_i32_e32 vcc, s4, v0
	s_and_b64 s[0:1], s[0:1], vcc
	s_and_saveexec_b64 s[2:3], s[0:1]
	s_cbranch_execz .LBB1773_6
; %bb.5:
	v_ashrrev_i32_e32 v1, 31, v0
	v_lshlrev_b64 v[1:2], 4, v[0:1]
	v_add_co_u32_e64 v1, s[0:1], v5, v1
	v_addc_co_u32_e64 v2, s[0:1], v22, v2, s[0:1]
	flat_load_dwordx4 v[23:26], v[1:2]
	v_cmp_ne_u32_e64 s[0:1], v4, v0
	s_waitcnt vmcnt(0) lgkmcnt(0)
	v_add_f64 v[20:21], v[20:21], v[25:26]
	v_add_f64 v[18:19], v[18:19], v[23:24]
	v_cndmask_b32_e64 v21, 0, v21, s[0:1]
	v_cndmask_b32_e64 v20, 0, v20, s[0:1]
	flat_store_dwordx4 v[1:2], v[18:21]
.LBB1773_6:
	s_or_b64 exec, exec, s[2:3]
	v_add_u32_e32 v2, 16, v0
	v_cmp_le_i32_e64 s[2:3], v4, v2
	v_cmp_gt_i32_e64 s[0:1], s4, v2
	s_and_b64 s[2:3], s[2:3], s[0:1]
	s_and_saveexec_b64 s[4:5], s[2:3]
	s_cbranch_execz .LBB1773_8
; %bb.7:
	v_ashrrev_i32_e32 v3, 31, v2
	v_lshlrev_b64 v[18:19], 4, v[2:3]
	v_add_co_u32_e64 v23, s[2:3], v5, v18
	v_addc_co_u32_e64 v24, s[2:3], v22, v19, s[2:3]
	flat_load_dwordx4 v[18:21], v[23:24]
	v_cmp_ne_u32_e64 s[2:3], v4, v2
	s_waitcnt vmcnt(0) lgkmcnt(0)
	v_add_f64 v[20:21], v[8:9], v[20:21]
	v_add_f64 v[5:6], v[6:7], v[18:19]
	v_cndmask_b32_e64 v8, 0, v21, s[2:3]
	v_cndmask_b32_e64 v7, 0, v20, s[2:3]
	flat_store_dwordx4 v[23:24], v[5:8]
.LBB1773_8:
	s_or_b64 exec, exec, s[4:5]
	v_add_u32_e32 v3, 16, v4
	v_ashrrev_i32_e32 v1, 31, v3
	v_mul_lo_u32 v7, s15, v3
	v_mad_u64_u32 v[5:6], s[2:3], s14, v3, 0
	v_mul_lo_u32 v1, s14, v1
	v_add3_u32 v6, v6, v1, v7
	v_lshlrev_b64 v[5:6], 4, v[5:6]
	v_mov_b32_e32 v1, s9
	v_add_co_u32_e64 v5, s[2:3], s8, v5
	v_addc_co_u32_e64 v6, s[2:3], v1, v6, s[2:3]
	v_cmp_le_i32_e64 s[2:3], v3, v0
	s_and_b64 s[4:5], s[2:3], vcc
	s_and_saveexec_b64 s[2:3], s[4:5]
	s_cbranch_execz .LBB1773_10
; %bb.9:
	v_ashrrev_i32_e32 v1, 31, v0
	v_lshlrev_b64 v[7:8], 4, v[0:1]
	v_add_co_u32_e32 v7, vcc, v5, v7
	v_addc_co_u32_e32 v8, vcc, v6, v8, vcc
	flat_load_dwordx4 v[18:21], v[7:8]
	v_cmp_ne_u32_e32 vcc, v3, v0
	s_waitcnt vmcnt(0) lgkmcnt(0)
	v_add_f64 v[16:17], v[16:17], v[20:21]
	v_add_f64 v[14:15], v[14:15], v[18:19]
	v_cndmask_b32_e32 v17, 0, v17, vcc
	v_cndmask_b32_e32 v16, 0, v16, vcc
	flat_store_dwordx4 v[7:8], v[14:17]
.LBB1773_10:
	s_or_b64 exec, exec, s[2:3]
	v_cmp_le_i32_e32 vcc, v3, v2
	s_and_b64 s[0:1], vcc, s[0:1]
	s_and_saveexec_b64 s[2:3], s[0:1]
	s_cbranch_execz .LBB1773_12
; %bb.11:
	v_ashrrev_i32_e32 v3, 31, v2
	v_lshlrev_b64 v[1:2], 4, v[2:3]
	v_add_co_u32_e32 v14, vcc, v5, v1
	v_addc_co_u32_e32 v15, vcc, v6, v2, vcc
	flat_load_dwordx4 v[5:8], v[14:15]
	v_cmp_ne_u32_e32 vcc, v4, v0
	s_waitcnt vmcnt(0) lgkmcnt(0)
	v_add_f64 v[7:8], v[10:11], v[7:8]
	v_add_f64 v[1:2], v[12:13], v[5:6]
	v_cndmask_b32_e32 v4, 0, v8, vcc
	v_cndmask_b32_e32 v3, 0, v7, vcc
	flat_store_dwordx4 v[14:15], v[1:4]
.LBB1773_12:
	s_endpgm
	.section	.rodata,"a",@progbits
	.p2align	6, 0x0
	.amdhsa_kernel _ZL37rocblas_syrkx_herkx_restricted_kernelIl19rocblas_complex_numIdELi16ELi32ELi8ELi1ELi1ELb1ELc84ELc76EKPKS1_KPS1_EviT_PT9_S7_lS9_S7_lPT10_S7_li
		.amdhsa_group_segment_fixed_size 8192
		.amdhsa_private_segment_fixed_size 0
		.amdhsa_kernarg_size 92
		.amdhsa_user_sgpr_count 6
		.amdhsa_user_sgpr_private_segment_buffer 1
		.amdhsa_user_sgpr_dispatch_ptr 0
		.amdhsa_user_sgpr_queue_ptr 0
		.amdhsa_user_sgpr_kernarg_segment_ptr 1
		.amdhsa_user_sgpr_dispatch_id 0
		.amdhsa_user_sgpr_flat_scratch_init 0
		.amdhsa_user_sgpr_private_segment_size 0
		.amdhsa_uses_dynamic_stack 0
		.amdhsa_system_sgpr_private_segment_wavefront_offset 0
		.amdhsa_system_sgpr_workgroup_id_x 1
		.amdhsa_system_sgpr_workgroup_id_y 1
		.amdhsa_system_sgpr_workgroup_id_z 1
		.amdhsa_system_sgpr_workgroup_info 0
		.amdhsa_system_vgpr_workitem_id 1
		.amdhsa_next_free_vgpr 52
		.amdhsa_next_free_sgpr 61
		.amdhsa_reserve_vcc 1
		.amdhsa_reserve_flat_scratch 0
		.amdhsa_float_round_mode_32 0
		.amdhsa_float_round_mode_16_64 0
		.amdhsa_float_denorm_mode_32 3
		.amdhsa_float_denorm_mode_16_64 3
		.amdhsa_dx10_clamp 1
		.amdhsa_ieee_mode 1
		.amdhsa_fp16_overflow 0
		.amdhsa_exception_fp_ieee_invalid_op 0
		.amdhsa_exception_fp_denorm_src 0
		.amdhsa_exception_fp_ieee_div_zero 0
		.amdhsa_exception_fp_ieee_overflow 0
		.amdhsa_exception_fp_ieee_underflow 0
		.amdhsa_exception_fp_ieee_inexact 0
		.amdhsa_exception_int_div_zero 0
	.end_amdhsa_kernel
	.section	.text._ZL37rocblas_syrkx_herkx_restricted_kernelIl19rocblas_complex_numIdELi16ELi32ELi8ELi1ELi1ELb1ELc84ELc76EKPKS1_KPS1_EviT_PT9_S7_lS9_S7_lPT10_S7_li,"axG",@progbits,_ZL37rocblas_syrkx_herkx_restricted_kernelIl19rocblas_complex_numIdELi16ELi32ELi8ELi1ELi1ELb1ELc84ELc76EKPKS1_KPS1_EviT_PT9_S7_lS9_S7_lPT10_S7_li,comdat
.Lfunc_end1773:
	.size	_ZL37rocblas_syrkx_herkx_restricted_kernelIl19rocblas_complex_numIdELi16ELi32ELi8ELi1ELi1ELb1ELc84ELc76EKPKS1_KPS1_EviT_PT9_S7_lS9_S7_lPT10_S7_li, .Lfunc_end1773-_ZL37rocblas_syrkx_herkx_restricted_kernelIl19rocblas_complex_numIdELi16ELi32ELi8ELi1ELi1ELb1ELc84ELc76EKPKS1_KPS1_EviT_PT9_S7_lS9_S7_lPT10_S7_li
                                        ; -- End function
	.set _ZL37rocblas_syrkx_herkx_restricted_kernelIl19rocblas_complex_numIdELi16ELi32ELi8ELi1ELi1ELb1ELc84ELc76EKPKS1_KPS1_EviT_PT9_S7_lS9_S7_lPT10_S7_li.num_vgpr, 52
	.set _ZL37rocblas_syrkx_herkx_restricted_kernelIl19rocblas_complex_numIdELi16ELi32ELi8ELi1ELi1ELb1ELc84ELc76EKPKS1_KPS1_EviT_PT9_S7_lS9_S7_lPT10_S7_li.num_agpr, 0
	.set _ZL37rocblas_syrkx_herkx_restricted_kernelIl19rocblas_complex_numIdELi16ELi32ELi8ELi1ELi1ELb1ELc84ELc76EKPKS1_KPS1_EviT_PT9_S7_lS9_S7_lPT10_S7_li.numbered_sgpr, 20
	.set _ZL37rocblas_syrkx_herkx_restricted_kernelIl19rocblas_complex_numIdELi16ELi32ELi8ELi1ELi1ELb1ELc84ELc76EKPKS1_KPS1_EviT_PT9_S7_lS9_S7_lPT10_S7_li.num_named_barrier, 0
	.set _ZL37rocblas_syrkx_herkx_restricted_kernelIl19rocblas_complex_numIdELi16ELi32ELi8ELi1ELi1ELb1ELc84ELc76EKPKS1_KPS1_EviT_PT9_S7_lS9_S7_lPT10_S7_li.private_seg_size, 0
	.set _ZL37rocblas_syrkx_herkx_restricted_kernelIl19rocblas_complex_numIdELi16ELi32ELi8ELi1ELi1ELb1ELc84ELc76EKPKS1_KPS1_EviT_PT9_S7_lS9_S7_lPT10_S7_li.uses_vcc, 1
	.set _ZL37rocblas_syrkx_herkx_restricted_kernelIl19rocblas_complex_numIdELi16ELi32ELi8ELi1ELi1ELb1ELc84ELc76EKPKS1_KPS1_EviT_PT9_S7_lS9_S7_lPT10_S7_li.uses_flat_scratch, 0
	.set _ZL37rocblas_syrkx_herkx_restricted_kernelIl19rocblas_complex_numIdELi16ELi32ELi8ELi1ELi1ELb1ELc84ELc76EKPKS1_KPS1_EviT_PT9_S7_lS9_S7_lPT10_S7_li.has_dyn_sized_stack, 0
	.set _ZL37rocblas_syrkx_herkx_restricted_kernelIl19rocblas_complex_numIdELi16ELi32ELi8ELi1ELi1ELb1ELc84ELc76EKPKS1_KPS1_EviT_PT9_S7_lS9_S7_lPT10_S7_li.has_recursion, 0
	.set _ZL37rocblas_syrkx_herkx_restricted_kernelIl19rocblas_complex_numIdELi16ELi32ELi8ELi1ELi1ELb1ELc84ELc76EKPKS1_KPS1_EviT_PT9_S7_lS9_S7_lPT10_S7_li.has_indirect_call, 0
	.section	.AMDGPU.csdata,"",@progbits
; Kernel info:
; codeLenInByte = 3008
; TotalNumSgprs: 24
; NumVgprs: 52
; ScratchSize: 0
; MemoryBound: 0
; FloatMode: 240
; IeeeMode: 1
; LDSByteSize: 8192 bytes/workgroup (compile time only)
; SGPRBlocks: 8
; VGPRBlocks: 12
; NumSGPRsForWavesPerEU: 65
; NumVGPRsForWavesPerEU: 52
; Occupancy: 4
; WaveLimiterHint : 1
; COMPUTE_PGM_RSRC2:SCRATCH_EN: 0
; COMPUTE_PGM_RSRC2:USER_SGPR: 6
; COMPUTE_PGM_RSRC2:TRAP_HANDLER: 0
; COMPUTE_PGM_RSRC2:TGID_X_EN: 1
; COMPUTE_PGM_RSRC2:TGID_Y_EN: 1
; COMPUTE_PGM_RSRC2:TGID_Z_EN: 1
; COMPUTE_PGM_RSRC2:TIDIG_COMP_CNT: 1
	.section	.text._ZL37rocblas_syrkx_herkx_restricted_kernelIl19rocblas_complex_numIdELi16ELi32ELi8ELi1ELi1ELb1ELc67ELc76EKPKS1_KPS1_EviT_PT9_S7_lS9_S7_lPT10_S7_li,"axG",@progbits,_ZL37rocblas_syrkx_herkx_restricted_kernelIl19rocblas_complex_numIdELi16ELi32ELi8ELi1ELi1ELb1ELc67ELc76EKPKS1_KPS1_EviT_PT9_S7_lS9_S7_lPT10_S7_li,comdat
	.globl	_ZL37rocblas_syrkx_herkx_restricted_kernelIl19rocblas_complex_numIdELi16ELi32ELi8ELi1ELi1ELb1ELc67ELc76EKPKS1_KPS1_EviT_PT9_S7_lS9_S7_lPT10_S7_li ; -- Begin function _ZL37rocblas_syrkx_herkx_restricted_kernelIl19rocblas_complex_numIdELi16ELi32ELi8ELi1ELi1ELb1ELc67ELc76EKPKS1_KPS1_EviT_PT9_S7_lS9_S7_lPT10_S7_li
	.p2align	8
	.type	_ZL37rocblas_syrkx_herkx_restricted_kernelIl19rocblas_complex_numIdELi16ELi32ELi8ELi1ELi1ELb1ELc67ELc76EKPKS1_KPS1_EviT_PT9_S7_lS9_S7_lPT10_S7_li,@function
_ZL37rocblas_syrkx_herkx_restricted_kernelIl19rocblas_complex_numIdELi16ELi32ELi8ELi1ELi1ELb1ELc67ELc76EKPKS1_KPS1_EviT_PT9_S7_lS9_S7_lPT10_S7_li: ; @_ZL37rocblas_syrkx_herkx_restricted_kernelIl19rocblas_complex_numIdELi16ELi32ELi8ELi1ELi1ELb1ELc67ELc76EKPKS1_KPS1_EviT_PT9_S7_lS9_S7_lPT10_S7_li
; %bb.0:
	s_load_dwordx4 s[12:15], s[4:5], 0x40
	s_load_dwordx4 s[0:3], s[4:5], 0x8
	s_mov_b32 s9, 0
	s_lshl_b64 s[10:11], s[8:9], 3
	s_waitcnt lgkmcnt(0)
	s_add_u32 s8, s12, s10
	s_addc_u32 s9, s13, s11
	s_load_dwordx2 s[8:9], s[8:9], 0x0
	v_cmp_lt_i64_e64 s[12:13], s[0:1], 1
	s_lshl_b32 s6, s6, 5
	s_lshl_b32 s7, s7, 5
	s_and_b64 vcc, exec, s[12:13]
	s_cbranch_vccnz .LBB1774_3
; %bb.1:
	s_load_dwordx2 s[12:13], s[4:5], 0x18
	s_load_dwordx4 s[16:19], s[4:5], 0x28
	v_lshl_add_u32 v6, v1, 4, v0
	v_lshrrev_b32_e32 v8, 3, v6
	v_add_u32_e32 v4, s7, v8
	v_ashrrev_i32_e32 v5, 31, v4
	v_and_b32_e32 v2, 7, v0
	v_mov_b32_e32 v3, 0
	s_waitcnt lgkmcnt(0)
	v_mul_lo_u32 v7, s18, v5
	v_mul_lo_u32 v9, s19, v4
	v_mad_u64_u32 v[4:5], s[18:19], s18, v4, v[2:3]
	s_add_u32 s2, s2, s10
	v_lshlrev_b32_e32 v2, 4, v2
	v_add3_u32 v5, v9, v5, v7
	v_and_b32_e32 v9, 31, v6
	s_addc_u32 s3, s3, s11
	v_lshl_or_b32 v2, v8, 7, v2
	v_add_u32_e32 v8, s6, v9
	s_add_u32 s10, s16, s10
	v_lshrrev_b32_e32 v6, 5, v6
	v_mov_b32_e32 v7, v3
	v_lshlrev_b32_e32 v3, 4, v9
	v_add_u32_e32 v23, 0x1000, v2
	v_ashrrev_i32_e32 v2, 31, v8
	s_addc_u32 s11, s17, s11
	v_lshl_or_b32 v22, v6, 9, v3
	v_mul_lo_u32 v9, s12, v2
	v_mad_u64_u32 v[2:3], s[16:17], s12, v8, v[6:7]
	v_mul_lo_u32 v6, s13, v8
	s_load_dwordx2 s[2:3], s[2:3], 0x0
	v_lshlrev_b64 v[4:5], 4, v[4:5]
	s_load_dwordx2 s[10:11], s[10:11], 0x0
	v_add3_u32 v3, v6, v3, v9
	v_lshlrev_b64 v[2:3], 4, v[2:3]
	s_waitcnt lgkmcnt(0)
	v_mov_b32_e32 v6, s3
	v_add_co_u32_e32 v2, vcc, s2, v2
	v_addc_co_u32_e32 v3, vcc, v6, v3, vcc
	v_mov_b32_e32 v7, 0x1000
	v_mov_b32_e32 v6, s11
	v_add_co_u32_e32 v4, vcc, s10, v4
	v_lshl_add_u32 v25, v1, 7, v7
	v_addc_co_u32_e32 v5, vcc, v6, v5, vcc
	v_mov_b32_e32 v10, 0
	v_mov_b32_e32 v12, 0
	;; [unrolled: 1-line block ×8, first 2 shown]
	v_lshlrev_b32_e32 v24, 4, v0
	v_mov_b32_e32 v11, 0
	v_mov_b32_e32 v13, 0
	;; [unrolled: 1-line block ×8, first 2 shown]
	s_mov_b64 s[2:3], 0
.LBB1774_2:                             ; =>This Inner Loop Header: Depth=1
	flat_load_dwordx4 v[26:29], v[2:3]
	s_add_u32 s2, s2, 8
	v_add_co_u32_e32 v2, vcc, 0x80, v2
	s_addc_u32 s3, s3, 0
	v_addc_co_u32_e32 v3, vcc, 0, v3, vcc
	s_waitcnt vmcnt(0) lgkmcnt(0)
	v_xor_b32_e32 v29, 0x80000000, v29
	ds_write_b128 v22, v[26:29]
	flat_load_dwordx4 v[26:29], v[4:5]
	v_add_co_u32_e32 v4, vcc, 0x80, v4
	v_addc_co_u32_e32 v5, vcc, 0, v5, vcc
	s_waitcnt vmcnt(0) lgkmcnt(0)
	ds_write_b128 v23, v[26:29]
	s_waitcnt lgkmcnt(0)
	s_barrier
	ds_read_b128 v[26:29], v25
	ds_read_b128 v[30:33], v25 offset:16
	ds_read_b128 v[34:37], v25 offset:32
	;; [unrolled: 1-line block ×3, first 2 shown]
	ds_read_b128 v[42:45], v24
	s_waitcnt lgkmcnt(0)
	v_mul_f64 v[46:47], v[28:29], v[44:45]
	v_mul_f64 v[48:49], v[26:27], v[44:45]
	v_fma_f64 v[46:47], v[26:27], v[42:43], -v[46:47]
	v_fma_f64 v[48:49], v[28:29], v[42:43], v[48:49]
	v_add_f64 v[46:47], v[18:19], v[46:47]
	v_add_f64 v[48:49], v[48:49], v[20:21]
	ds_read_b128 v[18:21], v24 offset:256
	s_waitcnt lgkmcnt(0)
	v_mul_f64 v[50:51], v[28:29], v[20:21]
	v_fma_f64 v[50:51], v[26:27], v[18:19], -v[50:51]
	v_mul_f64 v[26:27], v[26:27], v[20:21]
	v_fma_f64 v[26:27], v[28:29], v[18:19], v[26:27]
	v_add_f64 v[28:29], v[6:7], v[50:51]
	v_add_f64 v[26:27], v[26:27], v[8:9]
	ds_read_b128 v[6:9], v25 offset:2048
	s_waitcnt lgkmcnt(0)
	v_mul_f64 v[50:51], v[8:9], v[44:45]
	v_mul_f64 v[44:45], v[6:7], v[44:45]
	v_fma_f64 v[50:51], v[6:7], v[42:43], -v[50:51]
	v_fma_f64 v[42:43], v[8:9], v[42:43], v[44:45]
	v_add_f64 v[44:45], v[14:15], v[50:51]
	v_mul_f64 v[14:15], v[8:9], v[20:21]
	v_add_f64 v[42:43], v[42:43], v[16:17]
	v_fma_f64 v[14:15], v[6:7], v[18:19], -v[14:15]
	v_mul_f64 v[6:7], v[6:7], v[20:21]
	v_fma_f64 v[6:7], v[8:9], v[18:19], v[6:7]
	v_add_f64 v[18:19], v[12:13], v[14:15]
	v_add_f64 v[20:21], v[6:7], v[10:11]
	ds_read_b128 v[6:9], v24 offset:512
	s_waitcnt lgkmcnt(0)
	v_mul_f64 v[10:11], v[32:33], v[8:9]
	v_mul_f64 v[12:13], v[30:31], v[8:9]
	v_fma_f64 v[10:11], v[30:31], v[6:7], -v[10:11]
	v_fma_f64 v[12:13], v[32:33], v[6:7], v[12:13]
	v_add_f64 v[46:47], v[46:47], v[10:11]
	v_add_f64 v[48:49], v[12:13], v[48:49]
	ds_read_b128 v[10:13], v24 offset:768
	s_waitcnt lgkmcnt(0)
	v_mul_f64 v[14:15], v[32:33], v[12:13]
	v_mul_f64 v[16:17], v[30:31], v[12:13]
	v_fma_f64 v[14:15], v[30:31], v[10:11], -v[14:15]
	;; [unrolled: 8-line block ×3, first 2 shown]
	v_fma_f64 v[6:7], v[16:17], v[6:7], v[8:9]
	v_mul_f64 v[8:9], v[14:15], v[12:13]
	v_add_f64 v[30:31], v[44:45], v[30:31]
	v_add_f64 v[32:33], v[6:7], v[42:43]
	v_mul_f64 v[6:7], v[16:17], v[12:13]
	v_fma_f64 v[8:9], v[16:17], v[10:11], v[8:9]
	v_fma_f64 v[6:7], v[14:15], v[10:11], -v[6:7]
	v_add_f64 v[20:21], v[8:9], v[20:21]
	v_add_f64 v[18:19], v[18:19], v[6:7]
	ds_read_b128 v[6:9], v24 offset:1024
	s_waitcnt lgkmcnt(0)
	v_mul_f64 v[10:11], v[36:37], v[8:9]
	v_mul_f64 v[12:13], v[34:35], v[8:9]
	v_fma_f64 v[10:11], v[34:35], v[6:7], -v[10:11]
	v_fma_f64 v[12:13], v[36:37], v[6:7], v[12:13]
	v_add_f64 v[42:43], v[46:47], v[10:11]
	v_add_f64 v[44:45], v[12:13], v[48:49]
	ds_read_b128 v[10:13], v24 offset:1280
	s_waitcnt lgkmcnt(0)
	v_mul_f64 v[14:15], v[36:37], v[12:13]
	v_mul_f64 v[16:17], v[34:35], v[12:13]
	v_fma_f64 v[14:15], v[34:35], v[10:11], -v[14:15]
	v_fma_f64 v[16:17], v[36:37], v[10:11], v[16:17]
	;; [unrolled: 8-line block ×3, first 2 shown]
	v_mul_f64 v[8:9], v[14:15], v[12:13]
	v_add_f64 v[30:31], v[30:31], v[34:35]
	v_add_f64 v[32:33], v[6:7], v[32:33]
	v_mul_f64 v[6:7], v[16:17], v[12:13]
	v_fma_f64 v[8:9], v[16:17], v[10:11], v[8:9]
	v_fma_f64 v[6:7], v[14:15], v[10:11], -v[6:7]
	v_add_f64 v[20:21], v[8:9], v[20:21]
	v_add_f64 v[18:19], v[18:19], v[6:7]
	ds_read_b128 v[6:9], v24 offset:1536
	s_waitcnt lgkmcnt(0)
	v_mul_f64 v[10:11], v[40:41], v[8:9]
	v_mul_f64 v[12:13], v[38:39], v[8:9]
	v_fma_f64 v[10:11], v[38:39], v[6:7], -v[10:11]
	v_fma_f64 v[12:13], v[40:41], v[6:7], v[12:13]
	v_add_f64 v[34:35], v[42:43], v[10:11]
	v_add_f64 v[36:37], v[12:13], v[44:45]
	ds_read_b128 v[10:13], v24 offset:1792
	s_waitcnt lgkmcnt(0)
	v_mul_f64 v[14:15], v[40:41], v[12:13]
	v_mul_f64 v[16:17], v[38:39], v[12:13]
	v_fma_f64 v[14:15], v[38:39], v[10:11], -v[14:15]
	v_fma_f64 v[16:17], v[40:41], v[10:11], v[16:17]
	;; [unrolled: 8-line block ×3, first 2 shown]
	v_mul_f64 v[8:9], v[14:15], v[12:13]
	v_add_f64 v[30:31], v[30:31], v[38:39]
	v_add_f64 v[32:33], v[6:7], v[32:33]
	v_mul_f64 v[6:7], v[16:17], v[12:13]
	v_fma_f64 v[8:9], v[16:17], v[10:11], v[8:9]
	v_fma_f64 v[6:7], v[14:15], v[10:11], -v[6:7]
	v_add_f64 v[20:21], v[8:9], v[20:21]
	v_add_f64 v[18:19], v[18:19], v[6:7]
	ds_read_b128 v[6:9], v25 offset:64
	ds_read_b128 v[10:13], v24 offset:2048
	s_waitcnt lgkmcnt(0)
	v_mul_f64 v[14:15], v[8:9], v[12:13]
	v_mul_f64 v[16:17], v[6:7], v[12:13]
	v_fma_f64 v[14:15], v[6:7], v[10:11], -v[14:15]
	v_fma_f64 v[16:17], v[8:9], v[10:11], v[16:17]
	v_add_f64 v[34:35], v[34:35], v[14:15]
	v_add_f64 v[36:37], v[16:17], v[36:37]
	ds_read_b128 v[14:17], v24 offset:2304
	s_waitcnt lgkmcnt(0)
	v_mul_f64 v[38:39], v[8:9], v[16:17]
	v_fma_f64 v[38:39], v[6:7], v[14:15], -v[38:39]
	v_mul_f64 v[6:7], v[6:7], v[16:17]
	v_add_f64 v[28:29], v[28:29], v[38:39]
	v_fma_f64 v[6:7], v[8:9], v[14:15], v[6:7]
	v_add_f64 v[26:27], v[6:7], v[26:27]
	ds_read_b128 v[6:9], v25 offset:2112
	s_waitcnt lgkmcnt(0)
	v_mul_f64 v[38:39], v[8:9], v[12:13]
	v_mul_f64 v[12:13], v[6:7], v[12:13]
	v_fma_f64 v[38:39], v[6:7], v[10:11], -v[38:39]
	v_fma_f64 v[10:11], v[8:9], v[10:11], v[12:13]
	v_add_f64 v[30:31], v[30:31], v[38:39]
	v_add_f64 v[32:33], v[10:11], v[32:33]
	v_mul_f64 v[10:11], v[8:9], v[16:17]
	v_fma_f64 v[10:11], v[6:7], v[14:15], -v[10:11]
	v_mul_f64 v[6:7], v[6:7], v[16:17]
	v_add_f64 v[18:19], v[18:19], v[10:11]
	v_fma_f64 v[6:7], v[8:9], v[14:15], v[6:7]
	v_add_f64 v[20:21], v[6:7], v[20:21]
	ds_read_b128 v[6:9], v25 offset:80
	ds_read_b128 v[10:13], v24 offset:2560
	s_waitcnt lgkmcnt(0)
	v_mul_f64 v[14:15], v[8:9], v[12:13]
	v_mul_f64 v[16:17], v[6:7], v[12:13]
	v_fma_f64 v[14:15], v[6:7], v[10:11], -v[14:15]
	v_fma_f64 v[16:17], v[8:9], v[10:11], v[16:17]
	v_add_f64 v[34:35], v[34:35], v[14:15]
	v_add_f64 v[36:37], v[16:17], v[36:37]
	ds_read_b128 v[14:17], v24 offset:2816
	s_waitcnt lgkmcnt(0)
	v_mul_f64 v[38:39], v[8:9], v[16:17]
	v_fma_f64 v[38:39], v[6:7], v[14:15], -v[38:39]
	v_mul_f64 v[6:7], v[6:7], v[16:17]
	v_add_f64 v[28:29], v[28:29], v[38:39]
	v_fma_f64 v[6:7], v[8:9], v[14:15], v[6:7]
	v_add_f64 v[26:27], v[6:7], v[26:27]
	ds_read_b128 v[6:9], v25 offset:2128
	s_waitcnt lgkmcnt(0)
	v_mul_f64 v[38:39], v[8:9], v[12:13]
	v_mul_f64 v[12:13], v[6:7], v[12:13]
	v_fma_f64 v[38:39], v[6:7], v[10:11], -v[38:39]
	v_fma_f64 v[10:11], v[8:9], v[10:11], v[12:13]
	v_add_f64 v[30:31], v[30:31], v[38:39]
	v_add_f64 v[32:33], v[10:11], v[32:33]
	v_mul_f64 v[10:11], v[8:9], v[16:17]
	v_fma_f64 v[10:11], v[6:7], v[14:15], -v[10:11]
	v_mul_f64 v[6:7], v[6:7], v[16:17]
	v_add_f64 v[18:19], v[18:19], v[10:11]
	v_fma_f64 v[6:7], v[8:9], v[14:15], v[6:7]
	;; [unrolled: 31-line block ×3, first 2 shown]
	v_add_f64 v[48:49], v[6:7], v[20:21]
	ds_read_b128 v[6:9], v25 offset:112
	ds_read_b128 v[10:13], v24 offset:3584
	;; [unrolled: 1-line block ×4, first 2 shown]
	s_waitcnt lgkmcnt(0)
	s_barrier
	v_mul_f64 v[14:15], v[8:9], v[12:13]
	v_mul_f64 v[16:17], v[6:7], v[12:13]
	v_fma_f64 v[14:15], v[6:7], v[10:11], -v[14:15]
	v_fma_f64 v[16:17], v[8:9], v[10:11], v[16:17]
	v_add_f64 v[18:19], v[34:35], v[14:15]
	v_mul_f64 v[14:15], v[8:9], v[28:29]
	v_add_f64 v[20:21], v[16:17], v[36:37]
	v_fma_f64 v[14:15], v[6:7], v[26:27], -v[14:15]
	v_mul_f64 v[6:7], v[6:7], v[28:29]
	v_fma_f64 v[8:9], v[8:9], v[26:27], v[6:7]
	v_add_f64 v[6:7], v[38:39], v[14:15]
	v_mul_f64 v[14:15], v[32:33], v[12:13]
	v_mul_f64 v[12:13], v[30:31], v[12:13]
	v_add_f64 v[8:9], v[8:9], v[40:41]
	v_fma_f64 v[14:15], v[30:31], v[10:11], -v[14:15]
	v_fma_f64 v[10:11], v[32:33], v[10:11], v[12:13]
	v_mul_f64 v[12:13], v[30:31], v[28:29]
	v_add_f64 v[14:15], v[42:43], v[14:15]
	v_add_f64 v[16:17], v[10:11], v[44:45]
	v_mul_f64 v[10:11], v[32:33], v[28:29]
	v_fma_f64 v[10:11], v[30:31], v[26:27], -v[10:11]
	v_fma_f64 v[26:27], v[32:33], v[26:27], v[12:13]
	v_add_f64 v[12:13], v[46:47], v[10:11]
	v_add_f64 v[10:11], v[26:27], v[48:49]
	v_mov_b32_e32 v27, s3
	v_mov_b32_e32 v26, s2
	v_cmp_le_u64_e32 vcc, s[0:1], v[26:27]
	s_cbranch_vccz .LBB1774_2
	s_branch .LBB1774_4
.LBB1774_3:
	v_mov_b32_e32 v18, 0
	v_mov_b32_e32 v20, 0
	;; [unrolled: 1-line block ×16, first 2 shown]
.LBB1774_4:
	v_add_u32_e32 v4, s7, v1
	v_ashrrev_i32_e32 v1, 31, v4
	v_mul_lo_u32 v3, s14, v1
	v_mul_lo_u32 v5, s15, v4
	v_mad_u64_u32 v[1:2], s[0:1], s14, v4, 0
	s_load_dword s4, s[4:5], 0x0
	v_add_u32_e32 v0, s6, v0
	v_add3_u32 v2, v2, v3, v5
	v_lshlrev_b64 v[1:2], 4, v[1:2]
	s_waitcnt lgkmcnt(0)
	v_mov_b32_e32 v3, s9
	v_add_co_u32_e32 v5, vcc, s8, v1
	v_addc_co_u32_e32 v22, vcc, v3, v2, vcc
	v_cmp_le_i32_e64 s[0:1], v4, v0
	v_cmp_gt_i32_e32 vcc, s4, v0
	s_and_b64 s[0:1], s[0:1], vcc
	s_and_saveexec_b64 s[2:3], s[0:1]
	s_cbranch_execz .LBB1774_6
; %bb.5:
	v_ashrrev_i32_e32 v1, 31, v0
	v_lshlrev_b64 v[1:2], 4, v[0:1]
	v_add_co_u32_e64 v1, s[0:1], v5, v1
	v_addc_co_u32_e64 v2, s[0:1], v22, v2, s[0:1]
	flat_load_dwordx4 v[23:26], v[1:2]
	v_cmp_ne_u32_e64 s[0:1], v4, v0
	s_waitcnt vmcnt(0) lgkmcnt(0)
	v_add_f64 v[20:21], v[20:21], v[25:26]
	v_add_f64 v[18:19], v[18:19], v[23:24]
	v_cndmask_b32_e64 v21, 0, v21, s[0:1]
	v_cndmask_b32_e64 v20, 0, v20, s[0:1]
	flat_store_dwordx4 v[1:2], v[18:21]
.LBB1774_6:
	s_or_b64 exec, exec, s[2:3]
	v_add_u32_e32 v2, 16, v0
	v_cmp_le_i32_e64 s[2:3], v4, v2
	v_cmp_gt_i32_e64 s[0:1], s4, v2
	s_and_b64 s[2:3], s[2:3], s[0:1]
	s_and_saveexec_b64 s[4:5], s[2:3]
	s_cbranch_execz .LBB1774_8
; %bb.7:
	v_ashrrev_i32_e32 v3, 31, v2
	v_lshlrev_b64 v[18:19], 4, v[2:3]
	v_add_co_u32_e64 v23, s[2:3], v5, v18
	v_addc_co_u32_e64 v24, s[2:3], v22, v19, s[2:3]
	flat_load_dwordx4 v[18:21], v[23:24]
	v_cmp_ne_u32_e64 s[2:3], v4, v2
	s_waitcnt vmcnt(0) lgkmcnt(0)
	v_add_f64 v[20:21], v[8:9], v[20:21]
	v_add_f64 v[5:6], v[6:7], v[18:19]
	v_cndmask_b32_e64 v8, 0, v21, s[2:3]
	v_cndmask_b32_e64 v7, 0, v20, s[2:3]
	flat_store_dwordx4 v[23:24], v[5:8]
.LBB1774_8:
	s_or_b64 exec, exec, s[4:5]
	v_add_u32_e32 v3, 16, v4
	v_ashrrev_i32_e32 v1, 31, v3
	v_mul_lo_u32 v7, s15, v3
	v_mad_u64_u32 v[5:6], s[2:3], s14, v3, 0
	v_mul_lo_u32 v1, s14, v1
	v_add3_u32 v6, v6, v1, v7
	v_lshlrev_b64 v[5:6], 4, v[5:6]
	v_mov_b32_e32 v1, s9
	v_add_co_u32_e64 v5, s[2:3], s8, v5
	v_addc_co_u32_e64 v6, s[2:3], v1, v6, s[2:3]
	v_cmp_le_i32_e64 s[2:3], v3, v0
	s_and_b64 s[4:5], s[2:3], vcc
	s_and_saveexec_b64 s[2:3], s[4:5]
	s_cbranch_execz .LBB1774_10
; %bb.9:
	v_ashrrev_i32_e32 v1, 31, v0
	v_lshlrev_b64 v[7:8], 4, v[0:1]
	v_add_co_u32_e32 v7, vcc, v5, v7
	v_addc_co_u32_e32 v8, vcc, v6, v8, vcc
	flat_load_dwordx4 v[18:21], v[7:8]
	v_cmp_ne_u32_e32 vcc, v3, v0
	s_waitcnt vmcnt(0) lgkmcnt(0)
	v_add_f64 v[16:17], v[16:17], v[20:21]
	v_add_f64 v[14:15], v[14:15], v[18:19]
	v_cndmask_b32_e32 v17, 0, v17, vcc
	v_cndmask_b32_e32 v16, 0, v16, vcc
	flat_store_dwordx4 v[7:8], v[14:17]
.LBB1774_10:
	s_or_b64 exec, exec, s[2:3]
	v_cmp_le_i32_e32 vcc, v3, v2
	s_and_b64 s[0:1], vcc, s[0:1]
	s_and_saveexec_b64 s[2:3], s[0:1]
	s_cbranch_execz .LBB1774_12
; %bb.11:
	v_ashrrev_i32_e32 v3, 31, v2
	v_lshlrev_b64 v[1:2], 4, v[2:3]
	v_add_co_u32_e32 v14, vcc, v5, v1
	v_addc_co_u32_e32 v15, vcc, v6, v2, vcc
	flat_load_dwordx4 v[5:8], v[14:15]
	v_cmp_ne_u32_e32 vcc, v4, v0
	s_waitcnt vmcnt(0) lgkmcnt(0)
	v_add_f64 v[7:8], v[10:11], v[7:8]
	v_add_f64 v[1:2], v[12:13], v[5:6]
	v_cndmask_b32_e32 v4, 0, v8, vcc
	v_cndmask_b32_e32 v3, 0, v7, vcc
	flat_store_dwordx4 v[14:15], v[1:4]
.LBB1774_12:
	s_endpgm
	.section	.rodata,"a",@progbits
	.p2align	6, 0x0
	.amdhsa_kernel _ZL37rocblas_syrkx_herkx_restricted_kernelIl19rocblas_complex_numIdELi16ELi32ELi8ELi1ELi1ELb1ELc67ELc76EKPKS1_KPS1_EviT_PT9_S7_lS9_S7_lPT10_S7_li
		.amdhsa_group_segment_fixed_size 8192
		.amdhsa_private_segment_fixed_size 0
		.amdhsa_kernarg_size 92
		.amdhsa_user_sgpr_count 6
		.amdhsa_user_sgpr_private_segment_buffer 1
		.amdhsa_user_sgpr_dispatch_ptr 0
		.amdhsa_user_sgpr_queue_ptr 0
		.amdhsa_user_sgpr_kernarg_segment_ptr 1
		.amdhsa_user_sgpr_dispatch_id 0
		.amdhsa_user_sgpr_flat_scratch_init 0
		.amdhsa_user_sgpr_private_segment_size 0
		.amdhsa_uses_dynamic_stack 0
		.amdhsa_system_sgpr_private_segment_wavefront_offset 0
		.amdhsa_system_sgpr_workgroup_id_x 1
		.amdhsa_system_sgpr_workgroup_id_y 1
		.amdhsa_system_sgpr_workgroup_id_z 1
		.amdhsa_system_sgpr_workgroup_info 0
		.amdhsa_system_vgpr_workitem_id 1
		.amdhsa_next_free_vgpr 52
		.amdhsa_next_free_sgpr 61
		.amdhsa_reserve_vcc 1
		.amdhsa_reserve_flat_scratch 0
		.amdhsa_float_round_mode_32 0
		.amdhsa_float_round_mode_16_64 0
		.amdhsa_float_denorm_mode_32 3
		.amdhsa_float_denorm_mode_16_64 3
		.amdhsa_dx10_clamp 1
		.amdhsa_ieee_mode 1
		.amdhsa_fp16_overflow 0
		.amdhsa_exception_fp_ieee_invalid_op 0
		.amdhsa_exception_fp_denorm_src 0
		.amdhsa_exception_fp_ieee_div_zero 0
		.amdhsa_exception_fp_ieee_overflow 0
		.amdhsa_exception_fp_ieee_underflow 0
		.amdhsa_exception_fp_ieee_inexact 0
		.amdhsa_exception_int_div_zero 0
	.end_amdhsa_kernel
	.section	.text._ZL37rocblas_syrkx_herkx_restricted_kernelIl19rocblas_complex_numIdELi16ELi32ELi8ELi1ELi1ELb1ELc67ELc76EKPKS1_KPS1_EviT_PT9_S7_lS9_S7_lPT10_S7_li,"axG",@progbits,_ZL37rocblas_syrkx_herkx_restricted_kernelIl19rocblas_complex_numIdELi16ELi32ELi8ELi1ELi1ELb1ELc67ELc76EKPKS1_KPS1_EviT_PT9_S7_lS9_S7_lPT10_S7_li,comdat
.Lfunc_end1774:
	.size	_ZL37rocblas_syrkx_herkx_restricted_kernelIl19rocblas_complex_numIdELi16ELi32ELi8ELi1ELi1ELb1ELc67ELc76EKPKS1_KPS1_EviT_PT9_S7_lS9_S7_lPT10_S7_li, .Lfunc_end1774-_ZL37rocblas_syrkx_herkx_restricted_kernelIl19rocblas_complex_numIdELi16ELi32ELi8ELi1ELi1ELb1ELc67ELc76EKPKS1_KPS1_EviT_PT9_S7_lS9_S7_lPT10_S7_li
                                        ; -- End function
	.set _ZL37rocblas_syrkx_herkx_restricted_kernelIl19rocblas_complex_numIdELi16ELi32ELi8ELi1ELi1ELb1ELc67ELc76EKPKS1_KPS1_EviT_PT9_S7_lS9_S7_lPT10_S7_li.num_vgpr, 52
	.set _ZL37rocblas_syrkx_herkx_restricted_kernelIl19rocblas_complex_numIdELi16ELi32ELi8ELi1ELi1ELb1ELc67ELc76EKPKS1_KPS1_EviT_PT9_S7_lS9_S7_lPT10_S7_li.num_agpr, 0
	.set _ZL37rocblas_syrkx_herkx_restricted_kernelIl19rocblas_complex_numIdELi16ELi32ELi8ELi1ELi1ELb1ELc67ELc76EKPKS1_KPS1_EviT_PT9_S7_lS9_S7_lPT10_S7_li.numbered_sgpr, 20
	.set _ZL37rocblas_syrkx_herkx_restricted_kernelIl19rocblas_complex_numIdELi16ELi32ELi8ELi1ELi1ELb1ELc67ELc76EKPKS1_KPS1_EviT_PT9_S7_lS9_S7_lPT10_S7_li.num_named_barrier, 0
	.set _ZL37rocblas_syrkx_herkx_restricted_kernelIl19rocblas_complex_numIdELi16ELi32ELi8ELi1ELi1ELb1ELc67ELc76EKPKS1_KPS1_EviT_PT9_S7_lS9_S7_lPT10_S7_li.private_seg_size, 0
	.set _ZL37rocblas_syrkx_herkx_restricted_kernelIl19rocblas_complex_numIdELi16ELi32ELi8ELi1ELi1ELb1ELc67ELc76EKPKS1_KPS1_EviT_PT9_S7_lS9_S7_lPT10_S7_li.uses_vcc, 1
	.set _ZL37rocblas_syrkx_herkx_restricted_kernelIl19rocblas_complex_numIdELi16ELi32ELi8ELi1ELi1ELb1ELc67ELc76EKPKS1_KPS1_EviT_PT9_S7_lS9_S7_lPT10_S7_li.uses_flat_scratch, 0
	.set _ZL37rocblas_syrkx_herkx_restricted_kernelIl19rocblas_complex_numIdELi16ELi32ELi8ELi1ELi1ELb1ELc67ELc76EKPKS1_KPS1_EviT_PT9_S7_lS9_S7_lPT10_S7_li.has_dyn_sized_stack, 0
	.set _ZL37rocblas_syrkx_herkx_restricted_kernelIl19rocblas_complex_numIdELi16ELi32ELi8ELi1ELi1ELb1ELc67ELc76EKPKS1_KPS1_EviT_PT9_S7_lS9_S7_lPT10_S7_li.has_recursion, 0
	.set _ZL37rocblas_syrkx_herkx_restricted_kernelIl19rocblas_complex_numIdELi16ELi32ELi8ELi1ELi1ELb1ELc67ELc76EKPKS1_KPS1_EviT_PT9_S7_lS9_S7_lPT10_S7_li.has_indirect_call, 0
	.section	.AMDGPU.csdata,"",@progbits
; Kernel info:
; codeLenInByte = 3016
; TotalNumSgprs: 24
; NumVgprs: 52
; ScratchSize: 0
; MemoryBound: 0
; FloatMode: 240
; IeeeMode: 1
; LDSByteSize: 8192 bytes/workgroup (compile time only)
; SGPRBlocks: 8
; VGPRBlocks: 12
; NumSGPRsForWavesPerEU: 65
; NumVGPRsForWavesPerEU: 52
; Occupancy: 4
; WaveLimiterHint : 1
; COMPUTE_PGM_RSRC2:SCRATCH_EN: 0
; COMPUTE_PGM_RSRC2:USER_SGPR: 6
; COMPUTE_PGM_RSRC2:TRAP_HANDLER: 0
; COMPUTE_PGM_RSRC2:TGID_X_EN: 1
; COMPUTE_PGM_RSRC2:TGID_Y_EN: 1
; COMPUTE_PGM_RSRC2:TGID_Z_EN: 1
; COMPUTE_PGM_RSRC2:TIDIG_COMP_CNT: 1
	.section	.text._ZL37rocblas_syrkx_herkx_restricted_kernelIl19rocblas_complex_numIdELi16ELi32ELi8ELi1ELi1ELb1ELc78ELc76EKPKS1_KPS1_EviT_PT9_S7_lS9_S7_lPT10_S7_li,"axG",@progbits,_ZL37rocblas_syrkx_herkx_restricted_kernelIl19rocblas_complex_numIdELi16ELi32ELi8ELi1ELi1ELb1ELc78ELc76EKPKS1_KPS1_EviT_PT9_S7_lS9_S7_lPT10_S7_li,comdat
	.globl	_ZL37rocblas_syrkx_herkx_restricted_kernelIl19rocblas_complex_numIdELi16ELi32ELi8ELi1ELi1ELb1ELc78ELc76EKPKS1_KPS1_EviT_PT9_S7_lS9_S7_lPT10_S7_li ; -- Begin function _ZL37rocblas_syrkx_herkx_restricted_kernelIl19rocblas_complex_numIdELi16ELi32ELi8ELi1ELi1ELb1ELc78ELc76EKPKS1_KPS1_EviT_PT9_S7_lS9_S7_lPT10_S7_li
	.p2align	8
	.type	_ZL37rocblas_syrkx_herkx_restricted_kernelIl19rocblas_complex_numIdELi16ELi32ELi8ELi1ELi1ELb1ELc78ELc76EKPKS1_KPS1_EviT_PT9_S7_lS9_S7_lPT10_S7_li,@function
_ZL37rocblas_syrkx_herkx_restricted_kernelIl19rocblas_complex_numIdELi16ELi32ELi8ELi1ELi1ELb1ELc78ELc76EKPKS1_KPS1_EviT_PT9_S7_lS9_S7_lPT10_S7_li: ; @_ZL37rocblas_syrkx_herkx_restricted_kernelIl19rocblas_complex_numIdELi16ELi32ELi8ELi1ELi1ELb1ELc78ELc76EKPKS1_KPS1_EviT_PT9_S7_lS9_S7_lPT10_S7_li
; %bb.0:
	s_load_dwordx4 s[12:15], s[4:5], 0x40
	s_load_dwordx4 s[0:3], s[4:5], 0x8
	s_mov_b32 s9, 0
	s_lshl_b64 s[16:17], s[8:9], 3
	s_waitcnt lgkmcnt(0)
	s_add_u32 s8, s12, s16
	s_addc_u32 s9, s13, s17
	s_load_dwordx2 s[12:13], s[8:9], 0x0
	v_cmp_lt_i64_e64 s[8:9], s[0:1], 1
	s_lshl_b32 s18, s6, 5
	s_lshl_b32 s19, s7, 5
	s_and_b64 vcc, exec, s[8:9]
	s_cbranch_vccnz .LBB1775_3
; %bb.1:
	s_load_dwordx2 s[6:7], s[4:5], 0x18
	s_load_dwordx4 s[8:11], s[4:5], 0x28
	v_lshl_add_u32 v7, v1, 4, v0
	v_lshrrev_b32_e32 v8, 3, v7
	v_add_u32_e32 v2, s19, v8
	v_and_b32_e32 v6, 7, v0
	v_ashrrev_i32_e32 v3, 31, v2
	s_waitcnt lgkmcnt(0)
	v_mad_u64_u32 v[4:5], s[20:21], s10, v6, v[2:3]
	s_add_u32 s2, s2, s16
	s_addc_u32 s3, s3, s17
	v_mov_b32_e32 v2, v5
	v_mad_u64_u32 v[2:3], s[20:21], s11, v6, v[2:3]
	v_lshrrev_b32_e32 v9, 5, v7
	s_add_u32 s8, s8, s16
	v_mov_b32_e32 v5, v2
	v_and_b32_e32 v2, 31, v7
	v_lshlrev_b32_e32 v3, 4, v2
	v_add_u32_e32 v2, s18, v2
	v_lshl_or_b32 v22, v9, 9, v3
	v_ashrrev_i32_e32 v3, 31, v2
	s_addc_u32 s9, s9, s17
	v_mad_u64_u32 v[2:3], s[16:17], s6, v9, v[2:3]
	v_lshlrev_b32_e32 v6, 4, v6
	v_lshl_or_b32 v6, v8, 7, v6
	v_add_u32_e32 v23, 0x1000, v6
	v_mad_u64_u32 v[6:7], s[16:17], s7, v9, v[3:4]
	s_load_dwordx2 s[2:3], s[2:3], 0x0
	v_mov_b32_e32 v3, 0x1000
	s_load_dwordx2 s[8:9], s[8:9], 0x0
	v_lshl_add_u32 v25, v1, 7, v3
	v_mov_b32_e32 v3, v6
	v_lshlrev_b64 v[2:3], 4, v[2:3]
	s_waitcnt lgkmcnt(0)
	v_mov_b32_e32 v6, s3
	v_add_co_u32_e32 v2, vcc, s2, v2
	v_lshlrev_b64 v[4:5], 4, v[4:5]
	v_addc_co_u32_e32 v3, vcc, v6, v3, vcc
	v_mov_b32_e32 v6, s9
	v_add_co_u32_e32 v4, vcc, s8, v4
	s_lshl_b64 s[2:3], s[6:7], 7
	v_addc_co_u32_e32 v5, vcc, v6, v5, vcc
	s_lshl_b64 s[6:7], s[10:11], 7
	v_mov_b32_e32 v10, 0
	v_mov_b32_e32 v12, 0
	;; [unrolled: 1-line block ×8, first 2 shown]
	v_lshlrev_b32_e32 v24, 4, v0
	v_mov_b32_e32 v11, 0
	s_mov_b64 s[8:9], 0
	v_mov_b32_e32 v26, s3
	v_mov_b32_e32 v13, 0
	v_mov_b32_e32 v17, 0
	v_mov_b32_e32 v15, 0
	v_mov_b32_e32 v9, 0
	v_mov_b32_e32 v7, 0
	v_mov_b32_e32 v21, 0
	v_mov_b32_e32 v19, 0
	v_mov_b32_e32 v27, s7
.LBB1775_2:                             ; =>This Inner Loop Header: Depth=1
	flat_load_dwordx4 v[28:31], v[2:3]
	s_add_u32 s8, s8, 8
	v_add_co_u32_e32 v2, vcc, s2, v2
	s_addc_u32 s9, s9, 0
	v_addc_co_u32_e32 v3, vcc, v3, v26, vcc
	s_waitcnt vmcnt(0) lgkmcnt(0)
	ds_write_b128 v22, v[28:31]
	flat_load_dwordx4 v[28:31], v[4:5]
	v_add_co_u32_e32 v4, vcc, s6, v4
	v_addc_co_u32_e32 v5, vcc, v5, v27, vcc
	s_waitcnt vmcnt(0) lgkmcnt(0)
	v_xor_b32_e32 v31, 0x80000000, v31
	ds_write_b128 v23, v[28:31]
	s_waitcnt lgkmcnt(0)
	s_barrier
	ds_read_b128 v[28:31], v25
	ds_read_b128 v[32:35], v25 offset:16
	ds_read_b128 v[36:39], v25 offset:32
	;; [unrolled: 1-line block ×3, first 2 shown]
	ds_read_b128 v[44:47], v24
	s_waitcnt lgkmcnt(0)
	v_mul_f64 v[48:49], v[30:31], v[46:47]
	v_mul_f64 v[50:51], v[28:29], v[46:47]
	v_fma_f64 v[48:49], v[28:29], v[44:45], -v[48:49]
	v_fma_f64 v[50:51], v[30:31], v[44:45], v[50:51]
	v_add_f64 v[48:49], v[18:19], v[48:49]
	v_add_f64 v[50:51], v[50:51], v[20:21]
	ds_read_b128 v[18:21], v24 offset:256
	s_waitcnt lgkmcnt(0)
	v_mul_f64 v[52:53], v[30:31], v[20:21]
	v_fma_f64 v[52:53], v[28:29], v[18:19], -v[52:53]
	v_mul_f64 v[28:29], v[28:29], v[20:21]
	v_fma_f64 v[28:29], v[30:31], v[18:19], v[28:29]
	v_add_f64 v[30:31], v[6:7], v[52:53]
	v_add_f64 v[28:29], v[28:29], v[8:9]
	ds_read_b128 v[6:9], v25 offset:2048
	s_waitcnt lgkmcnt(0)
	v_mul_f64 v[52:53], v[8:9], v[46:47]
	v_mul_f64 v[46:47], v[6:7], v[46:47]
	v_fma_f64 v[52:53], v[6:7], v[44:45], -v[52:53]
	v_fma_f64 v[44:45], v[8:9], v[44:45], v[46:47]
	v_add_f64 v[46:47], v[14:15], v[52:53]
	v_mul_f64 v[14:15], v[8:9], v[20:21]
	v_add_f64 v[44:45], v[44:45], v[16:17]
	v_fma_f64 v[14:15], v[6:7], v[18:19], -v[14:15]
	v_mul_f64 v[6:7], v[6:7], v[20:21]
	v_fma_f64 v[6:7], v[8:9], v[18:19], v[6:7]
	v_add_f64 v[18:19], v[12:13], v[14:15]
	v_add_f64 v[20:21], v[6:7], v[10:11]
	ds_read_b128 v[6:9], v24 offset:512
	s_waitcnt lgkmcnt(0)
	v_mul_f64 v[10:11], v[34:35], v[8:9]
	v_mul_f64 v[12:13], v[32:33], v[8:9]
	v_fma_f64 v[10:11], v[32:33], v[6:7], -v[10:11]
	v_fma_f64 v[12:13], v[34:35], v[6:7], v[12:13]
	v_add_f64 v[48:49], v[48:49], v[10:11]
	v_add_f64 v[50:51], v[12:13], v[50:51]
	ds_read_b128 v[10:13], v24 offset:768
	s_waitcnt lgkmcnt(0)
	v_mul_f64 v[14:15], v[34:35], v[12:13]
	v_mul_f64 v[16:17], v[32:33], v[12:13]
	v_fma_f64 v[14:15], v[32:33], v[10:11], -v[14:15]
	;; [unrolled: 8-line block ×3, first 2 shown]
	v_fma_f64 v[6:7], v[16:17], v[6:7], v[8:9]
	v_mul_f64 v[8:9], v[14:15], v[12:13]
	v_add_f64 v[32:33], v[46:47], v[32:33]
	v_add_f64 v[34:35], v[6:7], v[44:45]
	v_mul_f64 v[6:7], v[16:17], v[12:13]
	v_fma_f64 v[8:9], v[16:17], v[10:11], v[8:9]
	v_fma_f64 v[6:7], v[14:15], v[10:11], -v[6:7]
	v_add_f64 v[20:21], v[8:9], v[20:21]
	v_add_f64 v[18:19], v[18:19], v[6:7]
	ds_read_b128 v[6:9], v24 offset:1024
	s_waitcnt lgkmcnt(0)
	v_mul_f64 v[10:11], v[38:39], v[8:9]
	v_mul_f64 v[12:13], v[36:37], v[8:9]
	v_fma_f64 v[10:11], v[36:37], v[6:7], -v[10:11]
	v_fma_f64 v[12:13], v[38:39], v[6:7], v[12:13]
	v_add_f64 v[44:45], v[48:49], v[10:11]
	v_add_f64 v[46:47], v[12:13], v[50:51]
	ds_read_b128 v[10:13], v24 offset:1280
	s_waitcnt lgkmcnt(0)
	v_mul_f64 v[14:15], v[38:39], v[12:13]
	v_mul_f64 v[16:17], v[36:37], v[12:13]
	v_fma_f64 v[14:15], v[36:37], v[10:11], -v[14:15]
	v_fma_f64 v[16:17], v[38:39], v[10:11], v[16:17]
	;; [unrolled: 8-line block ×3, first 2 shown]
	v_mul_f64 v[8:9], v[14:15], v[12:13]
	v_add_f64 v[32:33], v[32:33], v[36:37]
	v_add_f64 v[34:35], v[6:7], v[34:35]
	v_mul_f64 v[6:7], v[16:17], v[12:13]
	v_fma_f64 v[8:9], v[16:17], v[10:11], v[8:9]
	v_fma_f64 v[6:7], v[14:15], v[10:11], -v[6:7]
	v_add_f64 v[20:21], v[8:9], v[20:21]
	v_add_f64 v[18:19], v[18:19], v[6:7]
	ds_read_b128 v[6:9], v24 offset:1536
	s_waitcnt lgkmcnt(0)
	v_mul_f64 v[10:11], v[42:43], v[8:9]
	v_mul_f64 v[12:13], v[40:41], v[8:9]
	v_fma_f64 v[10:11], v[40:41], v[6:7], -v[10:11]
	v_fma_f64 v[12:13], v[42:43], v[6:7], v[12:13]
	v_add_f64 v[36:37], v[44:45], v[10:11]
	v_add_f64 v[38:39], v[12:13], v[46:47]
	ds_read_b128 v[10:13], v24 offset:1792
	s_waitcnt lgkmcnt(0)
	v_mul_f64 v[14:15], v[42:43], v[12:13]
	v_mul_f64 v[16:17], v[40:41], v[12:13]
	v_fma_f64 v[14:15], v[40:41], v[10:11], -v[14:15]
	v_fma_f64 v[16:17], v[42:43], v[10:11], v[16:17]
	;; [unrolled: 8-line block ×3, first 2 shown]
	v_mul_f64 v[8:9], v[14:15], v[12:13]
	v_add_f64 v[32:33], v[32:33], v[40:41]
	v_add_f64 v[34:35], v[6:7], v[34:35]
	v_mul_f64 v[6:7], v[16:17], v[12:13]
	v_fma_f64 v[8:9], v[16:17], v[10:11], v[8:9]
	v_fma_f64 v[6:7], v[14:15], v[10:11], -v[6:7]
	v_add_f64 v[20:21], v[8:9], v[20:21]
	v_add_f64 v[18:19], v[18:19], v[6:7]
	ds_read_b128 v[6:9], v25 offset:64
	ds_read_b128 v[10:13], v24 offset:2048
	s_waitcnt lgkmcnt(0)
	v_mul_f64 v[14:15], v[8:9], v[12:13]
	v_mul_f64 v[16:17], v[6:7], v[12:13]
	v_fma_f64 v[14:15], v[6:7], v[10:11], -v[14:15]
	v_fma_f64 v[16:17], v[8:9], v[10:11], v[16:17]
	v_add_f64 v[36:37], v[36:37], v[14:15]
	v_add_f64 v[38:39], v[16:17], v[38:39]
	ds_read_b128 v[14:17], v24 offset:2304
	s_waitcnt lgkmcnt(0)
	v_mul_f64 v[40:41], v[8:9], v[16:17]
	v_fma_f64 v[40:41], v[6:7], v[14:15], -v[40:41]
	v_mul_f64 v[6:7], v[6:7], v[16:17]
	v_add_f64 v[30:31], v[30:31], v[40:41]
	v_fma_f64 v[6:7], v[8:9], v[14:15], v[6:7]
	v_add_f64 v[28:29], v[6:7], v[28:29]
	ds_read_b128 v[6:9], v25 offset:2112
	s_waitcnt lgkmcnt(0)
	v_mul_f64 v[40:41], v[8:9], v[12:13]
	v_mul_f64 v[12:13], v[6:7], v[12:13]
	v_fma_f64 v[40:41], v[6:7], v[10:11], -v[40:41]
	v_fma_f64 v[10:11], v[8:9], v[10:11], v[12:13]
	v_add_f64 v[32:33], v[32:33], v[40:41]
	v_add_f64 v[34:35], v[10:11], v[34:35]
	v_mul_f64 v[10:11], v[8:9], v[16:17]
	v_fma_f64 v[10:11], v[6:7], v[14:15], -v[10:11]
	v_mul_f64 v[6:7], v[6:7], v[16:17]
	v_add_f64 v[18:19], v[18:19], v[10:11]
	v_fma_f64 v[6:7], v[8:9], v[14:15], v[6:7]
	v_add_f64 v[20:21], v[6:7], v[20:21]
	ds_read_b128 v[6:9], v25 offset:80
	ds_read_b128 v[10:13], v24 offset:2560
	s_waitcnt lgkmcnt(0)
	v_mul_f64 v[14:15], v[8:9], v[12:13]
	v_mul_f64 v[16:17], v[6:7], v[12:13]
	v_fma_f64 v[14:15], v[6:7], v[10:11], -v[14:15]
	v_fma_f64 v[16:17], v[8:9], v[10:11], v[16:17]
	v_add_f64 v[36:37], v[36:37], v[14:15]
	v_add_f64 v[38:39], v[16:17], v[38:39]
	ds_read_b128 v[14:17], v24 offset:2816
	s_waitcnt lgkmcnt(0)
	v_mul_f64 v[40:41], v[8:9], v[16:17]
	v_fma_f64 v[40:41], v[6:7], v[14:15], -v[40:41]
	v_mul_f64 v[6:7], v[6:7], v[16:17]
	v_add_f64 v[30:31], v[30:31], v[40:41]
	v_fma_f64 v[6:7], v[8:9], v[14:15], v[6:7]
	v_add_f64 v[28:29], v[6:7], v[28:29]
	ds_read_b128 v[6:9], v25 offset:2128
	s_waitcnt lgkmcnt(0)
	v_mul_f64 v[40:41], v[8:9], v[12:13]
	v_mul_f64 v[12:13], v[6:7], v[12:13]
	v_fma_f64 v[40:41], v[6:7], v[10:11], -v[40:41]
	v_fma_f64 v[10:11], v[8:9], v[10:11], v[12:13]
	v_add_f64 v[32:33], v[32:33], v[40:41]
	v_add_f64 v[34:35], v[10:11], v[34:35]
	v_mul_f64 v[10:11], v[8:9], v[16:17]
	v_fma_f64 v[10:11], v[6:7], v[14:15], -v[10:11]
	v_mul_f64 v[6:7], v[6:7], v[16:17]
	v_add_f64 v[18:19], v[18:19], v[10:11]
	v_fma_f64 v[6:7], v[8:9], v[14:15], v[6:7]
	;; [unrolled: 31-line block ×3, first 2 shown]
	v_add_f64 v[50:51], v[6:7], v[20:21]
	ds_read_b128 v[6:9], v25 offset:112
	ds_read_b128 v[10:13], v24 offset:3584
	;; [unrolled: 1-line block ×4, first 2 shown]
	s_waitcnt lgkmcnt(0)
	s_barrier
	v_mul_f64 v[14:15], v[8:9], v[12:13]
	v_mul_f64 v[16:17], v[6:7], v[12:13]
	v_fma_f64 v[14:15], v[6:7], v[10:11], -v[14:15]
	v_fma_f64 v[16:17], v[8:9], v[10:11], v[16:17]
	v_add_f64 v[18:19], v[36:37], v[14:15]
	v_mul_f64 v[14:15], v[8:9], v[30:31]
	v_add_f64 v[20:21], v[16:17], v[38:39]
	v_fma_f64 v[14:15], v[6:7], v[28:29], -v[14:15]
	v_mul_f64 v[6:7], v[6:7], v[30:31]
	v_fma_f64 v[8:9], v[8:9], v[28:29], v[6:7]
	v_add_f64 v[6:7], v[40:41], v[14:15]
	v_mul_f64 v[14:15], v[34:35], v[12:13]
	v_mul_f64 v[12:13], v[32:33], v[12:13]
	v_add_f64 v[8:9], v[8:9], v[42:43]
	v_fma_f64 v[14:15], v[32:33], v[10:11], -v[14:15]
	v_fma_f64 v[10:11], v[34:35], v[10:11], v[12:13]
	v_mul_f64 v[12:13], v[32:33], v[30:31]
	v_add_f64 v[14:15], v[44:45], v[14:15]
	v_add_f64 v[16:17], v[10:11], v[46:47]
	v_mul_f64 v[10:11], v[34:35], v[30:31]
	v_fma_f64 v[10:11], v[32:33], v[28:29], -v[10:11]
	v_fma_f64 v[28:29], v[34:35], v[28:29], v[12:13]
	v_add_f64 v[12:13], v[48:49], v[10:11]
	v_add_f64 v[10:11], v[28:29], v[50:51]
	v_mov_b32_e32 v29, s9
	v_mov_b32_e32 v28, s8
	v_cmp_le_u64_e32 vcc, s[0:1], v[28:29]
	s_cbranch_vccz .LBB1775_2
	s_branch .LBB1775_4
.LBB1775_3:
	v_mov_b32_e32 v18, 0
	v_mov_b32_e32 v20, 0
	;; [unrolled: 1-line block ×16, first 2 shown]
.LBB1775_4:
	v_add_u32_e32 v4, s19, v1
	v_ashrrev_i32_e32 v1, 31, v4
	v_mul_lo_u32 v3, s14, v1
	v_mul_lo_u32 v5, s15, v4
	v_mad_u64_u32 v[1:2], s[0:1], s14, v4, 0
	s_load_dword s4, s[4:5], 0x0
	v_add_u32_e32 v0, s18, v0
	v_add3_u32 v2, v2, v3, v5
	v_lshlrev_b64 v[1:2], 4, v[1:2]
	s_waitcnt lgkmcnt(0)
	v_mov_b32_e32 v3, s13
	v_add_co_u32_e32 v5, vcc, s12, v1
	v_addc_co_u32_e32 v22, vcc, v3, v2, vcc
	v_cmp_le_i32_e64 s[0:1], v4, v0
	v_cmp_gt_i32_e32 vcc, s4, v0
	s_and_b64 s[0:1], s[0:1], vcc
	s_and_saveexec_b64 s[2:3], s[0:1]
	s_cbranch_execz .LBB1775_6
; %bb.5:
	v_ashrrev_i32_e32 v1, 31, v0
	v_lshlrev_b64 v[1:2], 4, v[0:1]
	v_add_co_u32_e64 v1, s[0:1], v5, v1
	v_addc_co_u32_e64 v2, s[0:1], v22, v2, s[0:1]
	flat_load_dwordx4 v[23:26], v[1:2]
	v_cmp_ne_u32_e64 s[0:1], v4, v0
	s_waitcnt vmcnt(0) lgkmcnt(0)
	v_add_f64 v[20:21], v[20:21], v[25:26]
	v_add_f64 v[18:19], v[18:19], v[23:24]
	v_cndmask_b32_e64 v21, 0, v21, s[0:1]
	v_cndmask_b32_e64 v20, 0, v20, s[0:1]
	flat_store_dwordx4 v[1:2], v[18:21]
.LBB1775_6:
	s_or_b64 exec, exec, s[2:3]
	v_add_u32_e32 v2, 16, v0
	v_cmp_le_i32_e64 s[2:3], v4, v2
	v_cmp_gt_i32_e64 s[0:1], s4, v2
	s_and_b64 s[2:3], s[2:3], s[0:1]
	s_and_saveexec_b64 s[4:5], s[2:3]
	s_cbranch_execz .LBB1775_8
; %bb.7:
	v_ashrrev_i32_e32 v3, 31, v2
	v_lshlrev_b64 v[18:19], 4, v[2:3]
	v_add_co_u32_e64 v23, s[2:3], v5, v18
	v_addc_co_u32_e64 v24, s[2:3], v22, v19, s[2:3]
	flat_load_dwordx4 v[18:21], v[23:24]
	v_cmp_ne_u32_e64 s[2:3], v4, v2
	s_waitcnt vmcnt(0) lgkmcnt(0)
	v_add_f64 v[20:21], v[8:9], v[20:21]
	v_add_f64 v[5:6], v[6:7], v[18:19]
	v_cndmask_b32_e64 v8, 0, v21, s[2:3]
	v_cndmask_b32_e64 v7, 0, v20, s[2:3]
	flat_store_dwordx4 v[23:24], v[5:8]
.LBB1775_8:
	s_or_b64 exec, exec, s[4:5]
	v_add_u32_e32 v3, 16, v4
	v_ashrrev_i32_e32 v1, 31, v3
	v_mul_lo_u32 v7, s15, v3
	v_mad_u64_u32 v[5:6], s[2:3], s14, v3, 0
	v_mul_lo_u32 v1, s14, v1
	v_add3_u32 v6, v6, v1, v7
	v_lshlrev_b64 v[5:6], 4, v[5:6]
	v_mov_b32_e32 v1, s13
	v_add_co_u32_e64 v5, s[2:3], s12, v5
	v_addc_co_u32_e64 v6, s[2:3], v1, v6, s[2:3]
	v_cmp_le_i32_e64 s[2:3], v3, v0
	s_and_b64 s[4:5], s[2:3], vcc
	s_and_saveexec_b64 s[2:3], s[4:5]
	s_cbranch_execz .LBB1775_10
; %bb.9:
	v_ashrrev_i32_e32 v1, 31, v0
	v_lshlrev_b64 v[7:8], 4, v[0:1]
	v_add_co_u32_e32 v7, vcc, v5, v7
	v_addc_co_u32_e32 v8, vcc, v6, v8, vcc
	flat_load_dwordx4 v[18:21], v[7:8]
	v_cmp_ne_u32_e32 vcc, v3, v0
	s_waitcnt vmcnt(0) lgkmcnt(0)
	v_add_f64 v[16:17], v[16:17], v[20:21]
	v_add_f64 v[14:15], v[14:15], v[18:19]
	v_cndmask_b32_e32 v17, 0, v17, vcc
	v_cndmask_b32_e32 v16, 0, v16, vcc
	flat_store_dwordx4 v[7:8], v[14:17]
.LBB1775_10:
	s_or_b64 exec, exec, s[2:3]
	v_cmp_le_i32_e32 vcc, v3, v2
	s_and_b64 s[0:1], vcc, s[0:1]
	s_and_saveexec_b64 s[2:3], s[0:1]
	s_cbranch_execz .LBB1775_12
; %bb.11:
	v_ashrrev_i32_e32 v3, 31, v2
	v_lshlrev_b64 v[1:2], 4, v[2:3]
	v_add_co_u32_e32 v14, vcc, v5, v1
	v_addc_co_u32_e32 v15, vcc, v6, v2, vcc
	flat_load_dwordx4 v[5:8], v[14:15]
	v_cmp_ne_u32_e32 vcc, v4, v0
	s_waitcnt vmcnt(0) lgkmcnt(0)
	v_add_f64 v[7:8], v[10:11], v[7:8]
	v_add_f64 v[1:2], v[12:13], v[5:6]
	v_cndmask_b32_e32 v4, 0, v8, vcc
	v_cndmask_b32_e32 v3, 0, v7, vcc
	flat_store_dwordx4 v[14:15], v[1:4]
.LBB1775_12:
	s_endpgm
	.section	.rodata,"a",@progbits
	.p2align	6, 0x0
	.amdhsa_kernel _ZL37rocblas_syrkx_herkx_restricted_kernelIl19rocblas_complex_numIdELi16ELi32ELi8ELi1ELi1ELb1ELc78ELc76EKPKS1_KPS1_EviT_PT9_S7_lS9_S7_lPT10_S7_li
		.amdhsa_group_segment_fixed_size 8192
		.amdhsa_private_segment_fixed_size 0
		.amdhsa_kernarg_size 92
		.amdhsa_user_sgpr_count 6
		.amdhsa_user_sgpr_private_segment_buffer 1
		.amdhsa_user_sgpr_dispatch_ptr 0
		.amdhsa_user_sgpr_queue_ptr 0
		.amdhsa_user_sgpr_kernarg_segment_ptr 1
		.amdhsa_user_sgpr_dispatch_id 0
		.amdhsa_user_sgpr_flat_scratch_init 0
		.amdhsa_user_sgpr_private_segment_size 0
		.amdhsa_uses_dynamic_stack 0
		.amdhsa_system_sgpr_private_segment_wavefront_offset 0
		.amdhsa_system_sgpr_workgroup_id_x 1
		.amdhsa_system_sgpr_workgroup_id_y 1
		.amdhsa_system_sgpr_workgroup_id_z 1
		.amdhsa_system_sgpr_workgroup_info 0
		.amdhsa_system_vgpr_workitem_id 1
		.amdhsa_next_free_vgpr 54
		.amdhsa_next_free_sgpr 61
		.amdhsa_reserve_vcc 1
		.amdhsa_reserve_flat_scratch 0
		.amdhsa_float_round_mode_32 0
		.amdhsa_float_round_mode_16_64 0
		.amdhsa_float_denorm_mode_32 3
		.amdhsa_float_denorm_mode_16_64 3
		.amdhsa_dx10_clamp 1
		.amdhsa_ieee_mode 1
		.amdhsa_fp16_overflow 0
		.amdhsa_exception_fp_ieee_invalid_op 0
		.amdhsa_exception_fp_denorm_src 0
		.amdhsa_exception_fp_ieee_div_zero 0
		.amdhsa_exception_fp_ieee_overflow 0
		.amdhsa_exception_fp_ieee_underflow 0
		.amdhsa_exception_fp_ieee_inexact 0
		.amdhsa_exception_int_div_zero 0
	.end_amdhsa_kernel
	.section	.text._ZL37rocblas_syrkx_herkx_restricted_kernelIl19rocblas_complex_numIdELi16ELi32ELi8ELi1ELi1ELb1ELc78ELc76EKPKS1_KPS1_EviT_PT9_S7_lS9_S7_lPT10_S7_li,"axG",@progbits,_ZL37rocblas_syrkx_herkx_restricted_kernelIl19rocblas_complex_numIdELi16ELi32ELi8ELi1ELi1ELb1ELc78ELc76EKPKS1_KPS1_EviT_PT9_S7_lS9_S7_lPT10_S7_li,comdat
.Lfunc_end1775:
	.size	_ZL37rocblas_syrkx_herkx_restricted_kernelIl19rocblas_complex_numIdELi16ELi32ELi8ELi1ELi1ELb1ELc78ELc76EKPKS1_KPS1_EviT_PT9_S7_lS9_S7_lPT10_S7_li, .Lfunc_end1775-_ZL37rocblas_syrkx_herkx_restricted_kernelIl19rocblas_complex_numIdELi16ELi32ELi8ELi1ELi1ELb1ELc78ELc76EKPKS1_KPS1_EviT_PT9_S7_lS9_S7_lPT10_S7_li
                                        ; -- End function
	.set _ZL37rocblas_syrkx_herkx_restricted_kernelIl19rocblas_complex_numIdELi16ELi32ELi8ELi1ELi1ELb1ELc78ELc76EKPKS1_KPS1_EviT_PT9_S7_lS9_S7_lPT10_S7_li.num_vgpr, 54
	.set _ZL37rocblas_syrkx_herkx_restricted_kernelIl19rocblas_complex_numIdELi16ELi32ELi8ELi1ELi1ELb1ELc78ELc76EKPKS1_KPS1_EviT_PT9_S7_lS9_S7_lPT10_S7_li.num_agpr, 0
	.set _ZL37rocblas_syrkx_herkx_restricted_kernelIl19rocblas_complex_numIdELi16ELi32ELi8ELi1ELi1ELb1ELc78ELc76EKPKS1_KPS1_EviT_PT9_S7_lS9_S7_lPT10_S7_li.numbered_sgpr, 22
	.set _ZL37rocblas_syrkx_herkx_restricted_kernelIl19rocblas_complex_numIdELi16ELi32ELi8ELi1ELi1ELb1ELc78ELc76EKPKS1_KPS1_EviT_PT9_S7_lS9_S7_lPT10_S7_li.num_named_barrier, 0
	.set _ZL37rocblas_syrkx_herkx_restricted_kernelIl19rocblas_complex_numIdELi16ELi32ELi8ELi1ELi1ELb1ELc78ELc76EKPKS1_KPS1_EviT_PT9_S7_lS9_S7_lPT10_S7_li.private_seg_size, 0
	.set _ZL37rocblas_syrkx_herkx_restricted_kernelIl19rocblas_complex_numIdELi16ELi32ELi8ELi1ELi1ELb1ELc78ELc76EKPKS1_KPS1_EviT_PT9_S7_lS9_S7_lPT10_S7_li.uses_vcc, 1
	.set _ZL37rocblas_syrkx_herkx_restricted_kernelIl19rocblas_complex_numIdELi16ELi32ELi8ELi1ELi1ELb1ELc78ELc76EKPKS1_KPS1_EviT_PT9_S7_lS9_S7_lPT10_S7_li.uses_flat_scratch, 0
	.set _ZL37rocblas_syrkx_herkx_restricted_kernelIl19rocblas_complex_numIdELi16ELi32ELi8ELi1ELi1ELb1ELc78ELc76EKPKS1_KPS1_EviT_PT9_S7_lS9_S7_lPT10_S7_li.has_dyn_sized_stack, 0
	.set _ZL37rocblas_syrkx_herkx_restricted_kernelIl19rocblas_complex_numIdELi16ELi32ELi8ELi1ELi1ELb1ELc78ELc76EKPKS1_KPS1_EviT_PT9_S7_lS9_S7_lPT10_S7_li.has_recursion, 0
	.set _ZL37rocblas_syrkx_herkx_restricted_kernelIl19rocblas_complex_numIdELi16ELi32ELi8ELi1ELi1ELb1ELc78ELc76EKPKS1_KPS1_EviT_PT9_S7_lS9_S7_lPT10_S7_li.has_indirect_call, 0
	.section	.AMDGPU.csdata,"",@progbits
; Kernel info:
; codeLenInByte = 2996
; TotalNumSgprs: 26
; NumVgprs: 54
; ScratchSize: 0
; MemoryBound: 0
; FloatMode: 240
; IeeeMode: 1
; LDSByteSize: 8192 bytes/workgroup (compile time only)
; SGPRBlocks: 8
; VGPRBlocks: 13
; NumSGPRsForWavesPerEU: 65
; NumVGPRsForWavesPerEU: 54
; Occupancy: 4
; WaveLimiterHint : 1
; COMPUTE_PGM_RSRC2:SCRATCH_EN: 0
; COMPUTE_PGM_RSRC2:USER_SGPR: 6
; COMPUTE_PGM_RSRC2:TRAP_HANDLER: 0
; COMPUTE_PGM_RSRC2:TGID_X_EN: 1
; COMPUTE_PGM_RSRC2:TGID_Y_EN: 1
; COMPUTE_PGM_RSRC2:TGID_Z_EN: 1
; COMPUTE_PGM_RSRC2:TIDIG_COMP_CNT: 1
	.section	.text._ZL37rocblas_syrkx_herkx_restricted_kernelIl19rocblas_complex_numIdELi16ELi32ELi8ELi1ELi1ELb1ELc84ELc85EKPKS1_KPS1_EviT_PT9_S7_lS9_S7_lPT10_S7_li,"axG",@progbits,_ZL37rocblas_syrkx_herkx_restricted_kernelIl19rocblas_complex_numIdELi16ELi32ELi8ELi1ELi1ELb1ELc84ELc85EKPKS1_KPS1_EviT_PT9_S7_lS9_S7_lPT10_S7_li,comdat
	.globl	_ZL37rocblas_syrkx_herkx_restricted_kernelIl19rocblas_complex_numIdELi16ELi32ELi8ELi1ELi1ELb1ELc84ELc85EKPKS1_KPS1_EviT_PT9_S7_lS9_S7_lPT10_S7_li ; -- Begin function _ZL37rocblas_syrkx_herkx_restricted_kernelIl19rocblas_complex_numIdELi16ELi32ELi8ELi1ELi1ELb1ELc84ELc85EKPKS1_KPS1_EviT_PT9_S7_lS9_S7_lPT10_S7_li
	.p2align	8
	.type	_ZL37rocblas_syrkx_herkx_restricted_kernelIl19rocblas_complex_numIdELi16ELi32ELi8ELi1ELi1ELb1ELc84ELc85EKPKS1_KPS1_EviT_PT9_S7_lS9_S7_lPT10_S7_li,@function
_ZL37rocblas_syrkx_herkx_restricted_kernelIl19rocblas_complex_numIdELi16ELi32ELi8ELi1ELi1ELb1ELc84ELc85EKPKS1_KPS1_EviT_PT9_S7_lS9_S7_lPT10_S7_li: ; @_ZL37rocblas_syrkx_herkx_restricted_kernelIl19rocblas_complex_numIdELi16ELi32ELi8ELi1ELi1ELb1ELc84ELc85EKPKS1_KPS1_EviT_PT9_S7_lS9_S7_lPT10_S7_li
; %bb.0:
	s_load_dwordx4 s[0:3], s[4:5], 0x40
	s_load_dwordx4 s[12:15], s[4:5], 0x8
	s_mov_b32 s9, 0
	s_lshl_b64 s[10:11], s[8:9], 3
	s_waitcnt lgkmcnt(0)
	s_add_u32 s0, s0, s10
	s_addc_u32 s1, s1, s11
	s_load_dwordx2 s[8:9], s[0:1], 0x0
	v_cmp_lt_i64_e64 s[0:1], s[12:13], 1
	s_lshl_b32 s6, s6, 5
	s_lshl_b32 s7, s7, 5
	s_and_b64 vcc, exec, s[0:1]
	s_cbranch_vccnz .LBB1776_3
; %bb.1:
	s_load_dwordx2 s[0:1], s[4:5], 0x18
	s_load_dwordx4 s[16:19], s[4:5], 0x28
	v_lshl_add_u32 v6, v1, 4, v0
	v_lshrrev_b32_e32 v8, 3, v6
	v_add_u32_e32 v4, s7, v8
	v_ashrrev_i32_e32 v5, 31, v4
	v_and_b32_e32 v2, 7, v0
	v_mov_b32_e32 v3, 0
	s_waitcnt lgkmcnt(0)
	v_mul_lo_u32 v7, s18, v5
	v_mul_lo_u32 v9, s19, v4
	v_mad_u64_u32 v[4:5], s[18:19], s18, v4, v[2:3]
	s_add_u32 s14, s14, s10
	v_lshlrev_b32_e32 v2, 4, v2
	v_add3_u32 v5, v9, v5, v7
	v_and_b32_e32 v9, 31, v6
	s_addc_u32 s15, s15, s11
	v_lshl_or_b32 v2, v8, 7, v2
	v_add_u32_e32 v8, s6, v9
	s_add_u32 s10, s16, s10
	v_lshrrev_b32_e32 v6, 5, v6
	v_mov_b32_e32 v7, v3
	v_lshlrev_b32_e32 v3, 4, v9
	v_add_u32_e32 v23, 0x1000, v2
	v_ashrrev_i32_e32 v2, 31, v8
	s_addc_u32 s11, s17, s11
	v_lshl_or_b32 v22, v6, 9, v3
	v_mul_lo_u32 v9, s0, v2
	v_mad_u64_u32 v[2:3], s[16:17], s0, v8, v[6:7]
	v_mul_lo_u32 v6, s1, v8
	s_load_dwordx2 s[14:15], s[14:15], 0x0
	v_lshlrev_b64 v[4:5], 4, v[4:5]
	s_load_dwordx2 s[10:11], s[10:11], 0x0
	v_add3_u32 v3, v6, v3, v9
	v_lshlrev_b64 v[2:3], 4, v[2:3]
	s_waitcnt lgkmcnt(0)
	v_mov_b32_e32 v6, s15
	v_add_co_u32_e32 v2, vcc, s14, v2
	v_addc_co_u32_e32 v3, vcc, v6, v3, vcc
	v_mov_b32_e32 v7, 0x1000
	v_mov_b32_e32 v6, s11
	v_add_co_u32_e32 v4, vcc, s10, v4
	v_lshl_add_u32 v25, v1, 7, v7
	v_addc_co_u32_e32 v5, vcc, v6, v5, vcc
	v_mov_b32_e32 v10, 0
	v_mov_b32_e32 v12, 0
	;; [unrolled: 1-line block ×8, first 2 shown]
	v_lshlrev_b32_e32 v24, 4, v0
	v_mov_b32_e32 v11, 0
	v_mov_b32_e32 v13, 0
	;; [unrolled: 1-line block ×8, first 2 shown]
	s_mov_b64 s[0:1], 0
.LBB1776_2:                             ; =>This Inner Loop Header: Depth=1
	flat_load_dwordx4 v[26:29], v[2:3]
	s_add_u32 s0, s0, 8
	v_add_co_u32_e32 v2, vcc, 0x80, v2
	s_addc_u32 s1, s1, 0
	v_addc_co_u32_e32 v3, vcc, 0, v3, vcc
	s_waitcnt vmcnt(0) lgkmcnt(0)
	ds_write_b128 v22, v[26:29]
	flat_load_dwordx4 v[26:29], v[4:5]
	v_add_co_u32_e32 v4, vcc, 0x80, v4
	v_addc_co_u32_e32 v5, vcc, 0, v5, vcc
	s_waitcnt vmcnt(0) lgkmcnt(0)
	ds_write_b128 v23, v[26:29]
	s_waitcnt lgkmcnt(0)
	s_barrier
	ds_read_b128 v[26:29], v25
	ds_read_b128 v[30:33], v25 offset:16
	ds_read_b128 v[34:37], v25 offset:32
	;; [unrolled: 1-line block ×3, first 2 shown]
	ds_read_b128 v[42:45], v24
	s_waitcnt lgkmcnt(0)
	v_mul_f64 v[46:47], v[28:29], v[44:45]
	v_mul_f64 v[48:49], v[26:27], v[44:45]
	v_fma_f64 v[46:47], v[26:27], v[42:43], -v[46:47]
	v_fma_f64 v[48:49], v[28:29], v[42:43], v[48:49]
	v_add_f64 v[46:47], v[18:19], v[46:47]
	v_add_f64 v[48:49], v[48:49], v[20:21]
	ds_read_b128 v[18:21], v24 offset:256
	s_waitcnt lgkmcnt(0)
	v_mul_f64 v[50:51], v[28:29], v[20:21]
	v_fma_f64 v[50:51], v[26:27], v[18:19], -v[50:51]
	v_mul_f64 v[26:27], v[26:27], v[20:21]
	v_fma_f64 v[26:27], v[28:29], v[18:19], v[26:27]
	v_add_f64 v[28:29], v[6:7], v[50:51]
	v_add_f64 v[26:27], v[26:27], v[8:9]
	ds_read_b128 v[6:9], v25 offset:2048
	s_waitcnt lgkmcnt(0)
	v_mul_f64 v[50:51], v[8:9], v[44:45]
	v_mul_f64 v[44:45], v[6:7], v[44:45]
	v_fma_f64 v[50:51], v[6:7], v[42:43], -v[50:51]
	v_fma_f64 v[42:43], v[8:9], v[42:43], v[44:45]
	v_add_f64 v[44:45], v[14:15], v[50:51]
	v_mul_f64 v[14:15], v[8:9], v[20:21]
	v_add_f64 v[42:43], v[42:43], v[16:17]
	v_fma_f64 v[14:15], v[6:7], v[18:19], -v[14:15]
	v_mul_f64 v[6:7], v[6:7], v[20:21]
	v_fma_f64 v[6:7], v[8:9], v[18:19], v[6:7]
	v_add_f64 v[18:19], v[12:13], v[14:15]
	v_add_f64 v[20:21], v[6:7], v[10:11]
	ds_read_b128 v[6:9], v24 offset:512
	s_waitcnt lgkmcnt(0)
	v_mul_f64 v[10:11], v[32:33], v[8:9]
	v_mul_f64 v[12:13], v[30:31], v[8:9]
	v_fma_f64 v[10:11], v[30:31], v[6:7], -v[10:11]
	v_fma_f64 v[12:13], v[32:33], v[6:7], v[12:13]
	v_add_f64 v[46:47], v[46:47], v[10:11]
	v_add_f64 v[48:49], v[12:13], v[48:49]
	ds_read_b128 v[10:13], v24 offset:768
	s_waitcnt lgkmcnt(0)
	v_mul_f64 v[14:15], v[32:33], v[12:13]
	v_mul_f64 v[16:17], v[30:31], v[12:13]
	v_fma_f64 v[14:15], v[30:31], v[10:11], -v[14:15]
	;; [unrolled: 8-line block ×3, first 2 shown]
	v_fma_f64 v[6:7], v[16:17], v[6:7], v[8:9]
	v_mul_f64 v[8:9], v[14:15], v[12:13]
	v_add_f64 v[30:31], v[44:45], v[30:31]
	v_add_f64 v[32:33], v[6:7], v[42:43]
	v_mul_f64 v[6:7], v[16:17], v[12:13]
	v_fma_f64 v[8:9], v[16:17], v[10:11], v[8:9]
	v_fma_f64 v[6:7], v[14:15], v[10:11], -v[6:7]
	v_add_f64 v[20:21], v[8:9], v[20:21]
	v_add_f64 v[18:19], v[18:19], v[6:7]
	ds_read_b128 v[6:9], v24 offset:1024
	s_waitcnt lgkmcnt(0)
	v_mul_f64 v[10:11], v[36:37], v[8:9]
	v_mul_f64 v[12:13], v[34:35], v[8:9]
	v_fma_f64 v[10:11], v[34:35], v[6:7], -v[10:11]
	v_fma_f64 v[12:13], v[36:37], v[6:7], v[12:13]
	v_add_f64 v[42:43], v[46:47], v[10:11]
	v_add_f64 v[44:45], v[12:13], v[48:49]
	ds_read_b128 v[10:13], v24 offset:1280
	s_waitcnt lgkmcnt(0)
	v_mul_f64 v[14:15], v[36:37], v[12:13]
	v_mul_f64 v[16:17], v[34:35], v[12:13]
	v_fma_f64 v[14:15], v[34:35], v[10:11], -v[14:15]
	v_fma_f64 v[16:17], v[36:37], v[10:11], v[16:17]
	;; [unrolled: 8-line block ×3, first 2 shown]
	v_mul_f64 v[8:9], v[14:15], v[12:13]
	v_add_f64 v[30:31], v[30:31], v[34:35]
	v_add_f64 v[32:33], v[6:7], v[32:33]
	v_mul_f64 v[6:7], v[16:17], v[12:13]
	v_fma_f64 v[8:9], v[16:17], v[10:11], v[8:9]
	v_fma_f64 v[6:7], v[14:15], v[10:11], -v[6:7]
	v_add_f64 v[20:21], v[8:9], v[20:21]
	v_add_f64 v[18:19], v[18:19], v[6:7]
	ds_read_b128 v[6:9], v24 offset:1536
	s_waitcnt lgkmcnt(0)
	v_mul_f64 v[10:11], v[40:41], v[8:9]
	v_mul_f64 v[12:13], v[38:39], v[8:9]
	v_fma_f64 v[10:11], v[38:39], v[6:7], -v[10:11]
	v_fma_f64 v[12:13], v[40:41], v[6:7], v[12:13]
	v_add_f64 v[34:35], v[42:43], v[10:11]
	v_add_f64 v[36:37], v[12:13], v[44:45]
	ds_read_b128 v[10:13], v24 offset:1792
	s_waitcnt lgkmcnt(0)
	v_mul_f64 v[14:15], v[40:41], v[12:13]
	v_mul_f64 v[16:17], v[38:39], v[12:13]
	v_fma_f64 v[14:15], v[38:39], v[10:11], -v[14:15]
	v_fma_f64 v[16:17], v[40:41], v[10:11], v[16:17]
	;; [unrolled: 8-line block ×3, first 2 shown]
	v_mul_f64 v[8:9], v[14:15], v[12:13]
	v_add_f64 v[30:31], v[30:31], v[38:39]
	v_add_f64 v[32:33], v[6:7], v[32:33]
	v_mul_f64 v[6:7], v[16:17], v[12:13]
	v_fma_f64 v[8:9], v[16:17], v[10:11], v[8:9]
	v_fma_f64 v[6:7], v[14:15], v[10:11], -v[6:7]
	v_add_f64 v[20:21], v[8:9], v[20:21]
	v_add_f64 v[18:19], v[18:19], v[6:7]
	ds_read_b128 v[6:9], v25 offset:64
	ds_read_b128 v[10:13], v24 offset:2048
	s_waitcnt lgkmcnt(0)
	v_mul_f64 v[14:15], v[8:9], v[12:13]
	v_mul_f64 v[16:17], v[6:7], v[12:13]
	v_fma_f64 v[14:15], v[6:7], v[10:11], -v[14:15]
	v_fma_f64 v[16:17], v[8:9], v[10:11], v[16:17]
	v_add_f64 v[34:35], v[34:35], v[14:15]
	v_add_f64 v[36:37], v[16:17], v[36:37]
	ds_read_b128 v[14:17], v24 offset:2304
	s_waitcnt lgkmcnt(0)
	v_mul_f64 v[38:39], v[8:9], v[16:17]
	v_fma_f64 v[38:39], v[6:7], v[14:15], -v[38:39]
	v_mul_f64 v[6:7], v[6:7], v[16:17]
	v_add_f64 v[28:29], v[28:29], v[38:39]
	v_fma_f64 v[6:7], v[8:9], v[14:15], v[6:7]
	v_add_f64 v[26:27], v[6:7], v[26:27]
	ds_read_b128 v[6:9], v25 offset:2112
	s_waitcnt lgkmcnt(0)
	v_mul_f64 v[38:39], v[8:9], v[12:13]
	v_mul_f64 v[12:13], v[6:7], v[12:13]
	v_fma_f64 v[38:39], v[6:7], v[10:11], -v[38:39]
	v_fma_f64 v[10:11], v[8:9], v[10:11], v[12:13]
	v_add_f64 v[30:31], v[30:31], v[38:39]
	v_add_f64 v[32:33], v[10:11], v[32:33]
	v_mul_f64 v[10:11], v[8:9], v[16:17]
	v_fma_f64 v[10:11], v[6:7], v[14:15], -v[10:11]
	v_mul_f64 v[6:7], v[6:7], v[16:17]
	v_add_f64 v[18:19], v[18:19], v[10:11]
	v_fma_f64 v[6:7], v[8:9], v[14:15], v[6:7]
	v_add_f64 v[20:21], v[6:7], v[20:21]
	ds_read_b128 v[6:9], v25 offset:80
	ds_read_b128 v[10:13], v24 offset:2560
	s_waitcnt lgkmcnt(0)
	v_mul_f64 v[14:15], v[8:9], v[12:13]
	v_mul_f64 v[16:17], v[6:7], v[12:13]
	v_fma_f64 v[14:15], v[6:7], v[10:11], -v[14:15]
	v_fma_f64 v[16:17], v[8:9], v[10:11], v[16:17]
	v_add_f64 v[34:35], v[34:35], v[14:15]
	v_add_f64 v[36:37], v[16:17], v[36:37]
	ds_read_b128 v[14:17], v24 offset:2816
	s_waitcnt lgkmcnt(0)
	v_mul_f64 v[38:39], v[8:9], v[16:17]
	v_fma_f64 v[38:39], v[6:7], v[14:15], -v[38:39]
	v_mul_f64 v[6:7], v[6:7], v[16:17]
	v_add_f64 v[28:29], v[28:29], v[38:39]
	v_fma_f64 v[6:7], v[8:9], v[14:15], v[6:7]
	v_add_f64 v[26:27], v[6:7], v[26:27]
	ds_read_b128 v[6:9], v25 offset:2128
	s_waitcnt lgkmcnt(0)
	v_mul_f64 v[38:39], v[8:9], v[12:13]
	v_mul_f64 v[12:13], v[6:7], v[12:13]
	v_fma_f64 v[38:39], v[6:7], v[10:11], -v[38:39]
	v_fma_f64 v[10:11], v[8:9], v[10:11], v[12:13]
	v_add_f64 v[30:31], v[30:31], v[38:39]
	v_add_f64 v[32:33], v[10:11], v[32:33]
	v_mul_f64 v[10:11], v[8:9], v[16:17]
	v_fma_f64 v[10:11], v[6:7], v[14:15], -v[10:11]
	v_mul_f64 v[6:7], v[6:7], v[16:17]
	v_add_f64 v[18:19], v[18:19], v[10:11]
	v_fma_f64 v[6:7], v[8:9], v[14:15], v[6:7]
	;; [unrolled: 31-line block ×3, first 2 shown]
	v_add_f64 v[48:49], v[6:7], v[20:21]
	ds_read_b128 v[6:9], v25 offset:112
	ds_read_b128 v[10:13], v24 offset:3584
	;; [unrolled: 1-line block ×4, first 2 shown]
	s_waitcnt lgkmcnt(0)
	s_barrier
	v_mul_f64 v[14:15], v[8:9], v[12:13]
	v_mul_f64 v[16:17], v[6:7], v[12:13]
	v_fma_f64 v[14:15], v[6:7], v[10:11], -v[14:15]
	v_fma_f64 v[16:17], v[8:9], v[10:11], v[16:17]
	v_add_f64 v[18:19], v[34:35], v[14:15]
	v_mul_f64 v[14:15], v[8:9], v[28:29]
	v_add_f64 v[20:21], v[16:17], v[36:37]
	v_fma_f64 v[14:15], v[6:7], v[26:27], -v[14:15]
	v_mul_f64 v[6:7], v[6:7], v[28:29]
	v_fma_f64 v[8:9], v[8:9], v[26:27], v[6:7]
	v_add_f64 v[6:7], v[38:39], v[14:15]
	v_mul_f64 v[14:15], v[32:33], v[12:13]
	v_mul_f64 v[12:13], v[30:31], v[12:13]
	v_add_f64 v[8:9], v[8:9], v[40:41]
	v_fma_f64 v[14:15], v[30:31], v[10:11], -v[14:15]
	v_fma_f64 v[10:11], v[32:33], v[10:11], v[12:13]
	v_mul_f64 v[12:13], v[30:31], v[28:29]
	v_add_f64 v[14:15], v[42:43], v[14:15]
	v_add_f64 v[16:17], v[10:11], v[44:45]
	v_mul_f64 v[10:11], v[32:33], v[28:29]
	v_fma_f64 v[10:11], v[30:31], v[26:27], -v[10:11]
	v_fma_f64 v[26:27], v[32:33], v[26:27], v[12:13]
	v_add_f64 v[12:13], v[46:47], v[10:11]
	v_add_f64 v[10:11], v[26:27], v[48:49]
	v_mov_b32_e32 v27, s1
	v_mov_b32_e32 v26, s0
	v_cmp_le_u64_e32 vcc, s[12:13], v[26:27]
	s_cbranch_vccz .LBB1776_2
	s_branch .LBB1776_4
.LBB1776_3:
	v_mov_b32_e32 v18, 0
	v_mov_b32_e32 v20, 0
	;; [unrolled: 1-line block ×16, first 2 shown]
.LBB1776_4:
	v_add_u32_e32 v4, s7, v1
	v_ashrrev_i32_e32 v1, 31, v4
	v_mul_lo_u32 v3, s2, v1
	v_mul_lo_u32 v5, s3, v4
	v_mad_u64_u32 v[1:2], s[0:1], s2, v4, 0
	s_load_dword s10, s[4:5], 0x0
	v_add_u32_e32 v0, s6, v0
	v_add3_u32 v2, v2, v3, v5
	v_lshlrev_b64 v[1:2], 4, v[1:2]
	s_waitcnt lgkmcnt(0)
	v_mov_b32_e32 v3, s9
	v_add_co_u32_e64 v5, s[0:1], s8, v1
	v_addc_co_u32_e64 v22, s[0:1], v3, v2, s[0:1]
	v_cmp_gt_i32_e32 vcc, s10, v4
	v_cmp_le_i32_e64 s[0:1], v0, v4
	s_and_b64 s[0:1], vcc, s[0:1]
	s_and_saveexec_b64 s[4:5], s[0:1]
	s_cbranch_execz .LBB1776_6
; %bb.5:
	v_ashrrev_i32_e32 v1, 31, v0
	v_lshlrev_b64 v[1:2], 4, v[0:1]
	v_add_co_u32_e64 v1, s[0:1], v5, v1
	v_addc_co_u32_e64 v2, s[0:1], v22, v2, s[0:1]
	flat_load_dwordx4 v[23:26], v[1:2]
	v_cmp_ne_u32_e64 s[0:1], v4, v0
	s_waitcnt vmcnt(0) lgkmcnt(0)
	v_add_f64 v[20:21], v[20:21], v[25:26]
	v_add_f64 v[18:19], v[18:19], v[23:24]
	v_cndmask_b32_e64 v21, 0, v21, s[0:1]
	v_cndmask_b32_e64 v20, 0, v20, s[0:1]
	flat_store_dwordx4 v[1:2], v[18:21]
.LBB1776_6:
	s_or_b64 exec, exec, s[4:5]
	v_add_u32_e32 v2, 16, v0
	v_cmp_le_i32_e64 s[0:1], v2, v4
	s_and_b64 s[4:5], vcc, s[0:1]
	s_and_saveexec_b64 s[0:1], s[4:5]
	s_cbranch_execz .LBB1776_8
; %bb.7:
	v_ashrrev_i32_e32 v3, 31, v2
	v_lshlrev_b64 v[18:19], 4, v[2:3]
	v_add_co_u32_e32 v23, vcc, v5, v18
	v_addc_co_u32_e32 v24, vcc, v22, v19, vcc
	flat_load_dwordx4 v[18:21], v[23:24]
	v_cmp_ne_u32_e32 vcc, v4, v2
	s_waitcnt vmcnt(0) lgkmcnt(0)
	v_add_f64 v[20:21], v[8:9], v[20:21]
	v_add_f64 v[5:6], v[6:7], v[18:19]
	v_cndmask_b32_e32 v8, 0, v21, vcc
	v_cndmask_b32_e32 v7, 0, v20, vcc
	flat_store_dwordx4 v[23:24], v[5:8]
.LBB1776_8:
	s_or_b64 exec, exec, s[0:1]
	v_add_u32_e32 v3, 16, v4
	v_ashrrev_i32_e32 v1, 31, v3
	v_mul_lo_u32 v1, s2, v1
	v_mul_lo_u32 v7, s3, v3
	v_mad_u64_u32 v[5:6], s[0:1], s2, v3, 0
	v_cmp_gt_i32_e32 vcc, s10, v3
	v_add3_u32 v6, v6, v1, v7
	v_lshlrev_b64 v[5:6], 4, v[5:6]
	v_mov_b32_e32 v1, s9
	v_add_co_u32_e64 v5, s[0:1], s8, v5
	v_addc_co_u32_e64 v6, s[0:1], v1, v6, s[0:1]
	v_cmp_le_i32_e64 s[0:1], v0, v3
	s_and_b64 s[0:1], vcc, s[0:1]
	s_and_saveexec_b64 s[2:3], s[0:1]
	s_cbranch_execz .LBB1776_10
; %bb.9:
	v_ashrrev_i32_e32 v1, 31, v0
	v_lshlrev_b64 v[7:8], 4, v[0:1]
	v_add_co_u32_e64 v7, s[0:1], v5, v7
	v_addc_co_u32_e64 v8, s[0:1], v6, v8, s[0:1]
	flat_load_dwordx4 v[18:21], v[7:8]
	v_cmp_ne_u32_e64 s[0:1], v3, v0
	s_waitcnt vmcnt(0) lgkmcnt(0)
	v_add_f64 v[16:17], v[16:17], v[20:21]
	v_add_f64 v[14:15], v[14:15], v[18:19]
	v_cndmask_b32_e64 v17, 0, v17, s[0:1]
	v_cndmask_b32_e64 v16, 0, v16, s[0:1]
	flat_store_dwordx4 v[7:8], v[14:17]
.LBB1776_10:
	s_or_b64 exec, exec, s[2:3]
	v_cmp_le_i32_e64 s[0:1], v2, v3
	s_and_b64 s[0:1], vcc, s[0:1]
	s_and_saveexec_b64 s[2:3], s[0:1]
	s_cbranch_execz .LBB1776_12
; %bb.11:
	v_ashrrev_i32_e32 v3, 31, v2
	v_lshlrev_b64 v[1:2], 4, v[2:3]
	v_add_co_u32_e32 v14, vcc, v5, v1
	v_addc_co_u32_e32 v15, vcc, v6, v2, vcc
	flat_load_dwordx4 v[5:8], v[14:15]
	v_cmp_ne_u32_e32 vcc, v4, v0
	s_waitcnt vmcnt(0) lgkmcnt(0)
	v_add_f64 v[7:8], v[10:11], v[7:8]
	v_add_f64 v[1:2], v[12:13], v[5:6]
	v_cndmask_b32_e32 v4, 0, v8, vcc
	v_cndmask_b32_e32 v3, 0, v7, vcc
	flat_store_dwordx4 v[14:15], v[1:4]
.LBB1776_12:
	s_endpgm
	.section	.rodata,"a",@progbits
	.p2align	6, 0x0
	.amdhsa_kernel _ZL37rocblas_syrkx_herkx_restricted_kernelIl19rocblas_complex_numIdELi16ELi32ELi8ELi1ELi1ELb1ELc84ELc85EKPKS1_KPS1_EviT_PT9_S7_lS9_S7_lPT10_S7_li
		.amdhsa_group_segment_fixed_size 8192
		.amdhsa_private_segment_fixed_size 0
		.amdhsa_kernarg_size 92
		.amdhsa_user_sgpr_count 6
		.amdhsa_user_sgpr_private_segment_buffer 1
		.amdhsa_user_sgpr_dispatch_ptr 0
		.amdhsa_user_sgpr_queue_ptr 0
		.amdhsa_user_sgpr_kernarg_segment_ptr 1
		.amdhsa_user_sgpr_dispatch_id 0
		.amdhsa_user_sgpr_flat_scratch_init 0
		.amdhsa_user_sgpr_private_segment_size 0
		.amdhsa_uses_dynamic_stack 0
		.amdhsa_system_sgpr_private_segment_wavefront_offset 0
		.amdhsa_system_sgpr_workgroup_id_x 1
		.amdhsa_system_sgpr_workgroup_id_y 1
		.amdhsa_system_sgpr_workgroup_id_z 1
		.amdhsa_system_sgpr_workgroup_info 0
		.amdhsa_system_vgpr_workitem_id 1
		.amdhsa_next_free_vgpr 52
		.amdhsa_next_free_sgpr 61
		.amdhsa_reserve_vcc 1
		.amdhsa_reserve_flat_scratch 0
		.amdhsa_float_round_mode_32 0
		.amdhsa_float_round_mode_16_64 0
		.amdhsa_float_denorm_mode_32 3
		.amdhsa_float_denorm_mode_16_64 3
		.amdhsa_dx10_clamp 1
		.amdhsa_ieee_mode 1
		.amdhsa_fp16_overflow 0
		.amdhsa_exception_fp_ieee_invalid_op 0
		.amdhsa_exception_fp_denorm_src 0
		.amdhsa_exception_fp_ieee_div_zero 0
		.amdhsa_exception_fp_ieee_overflow 0
		.amdhsa_exception_fp_ieee_underflow 0
		.amdhsa_exception_fp_ieee_inexact 0
		.amdhsa_exception_int_div_zero 0
	.end_amdhsa_kernel
	.section	.text._ZL37rocblas_syrkx_herkx_restricted_kernelIl19rocblas_complex_numIdELi16ELi32ELi8ELi1ELi1ELb1ELc84ELc85EKPKS1_KPS1_EviT_PT9_S7_lS9_S7_lPT10_S7_li,"axG",@progbits,_ZL37rocblas_syrkx_herkx_restricted_kernelIl19rocblas_complex_numIdELi16ELi32ELi8ELi1ELi1ELb1ELc84ELc85EKPKS1_KPS1_EviT_PT9_S7_lS9_S7_lPT10_S7_li,comdat
.Lfunc_end1776:
	.size	_ZL37rocblas_syrkx_herkx_restricted_kernelIl19rocblas_complex_numIdELi16ELi32ELi8ELi1ELi1ELb1ELc84ELc85EKPKS1_KPS1_EviT_PT9_S7_lS9_S7_lPT10_S7_li, .Lfunc_end1776-_ZL37rocblas_syrkx_herkx_restricted_kernelIl19rocblas_complex_numIdELi16ELi32ELi8ELi1ELi1ELb1ELc84ELc85EKPKS1_KPS1_EviT_PT9_S7_lS9_S7_lPT10_S7_li
                                        ; -- End function
	.set _ZL37rocblas_syrkx_herkx_restricted_kernelIl19rocblas_complex_numIdELi16ELi32ELi8ELi1ELi1ELb1ELc84ELc85EKPKS1_KPS1_EviT_PT9_S7_lS9_S7_lPT10_S7_li.num_vgpr, 52
	.set _ZL37rocblas_syrkx_herkx_restricted_kernelIl19rocblas_complex_numIdELi16ELi32ELi8ELi1ELi1ELb1ELc84ELc85EKPKS1_KPS1_EviT_PT9_S7_lS9_S7_lPT10_S7_li.num_agpr, 0
	.set _ZL37rocblas_syrkx_herkx_restricted_kernelIl19rocblas_complex_numIdELi16ELi32ELi8ELi1ELi1ELb1ELc84ELc85EKPKS1_KPS1_EviT_PT9_S7_lS9_S7_lPT10_S7_li.numbered_sgpr, 20
	.set _ZL37rocblas_syrkx_herkx_restricted_kernelIl19rocblas_complex_numIdELi16ELi32ELi8ELi1ELi1ELb1ELc84ELc85EKPKS1_KPS1_EviT_PT9_S7_lS9_S7_lPT10_S7_li.num_named_barrier, 0
	.set _ZL37rocblas_syrkx_herkx_restricted_kernelIl19rocblas_complex_numIdELi16ELi32ELi8ELi1ELi1ELb1ELc84ELc85EKPKS1_KPS1_EviT_PT9_S7_lS9_S7_lPT10_S7_li.private_seg_size, 0
	.set _ZL37rocblas_syrkx_herkx_restricted_kernelIl19rocblas_complex_numIdELi16ELi32ELi8ELi1ELi1ELb1ELc84ELc85EKPKS1_KPS1_EviT_PT9_S7_lS9_S7_lPT10_S7_li.uses_vcc, 1
	.set _ZL37rocblas_syrkx_herkx_restricted_kernelIl19rocblas_complex_numIdELi16ELi32ELi8ELi1ELi1ELb1ELc84ELc85EKPKS1_KPS1_EviT_PT9_S7_lS9_S7_lPT10_S7_li.uses_flat_scratch, 0
	.set _ZL37rocblas_syrkx_herkx_restricted_kernelIl19rocblas_complex_numIdELi16ELi32ELi8ELi1ELi1ELb1ELc84ELc85EKPKS1_KPS1_EviT_PT9_S7_lS9_S7_lPT10_S7_li.has_dyn_sized_stack, 0
	.set _ZL37rocblas_syrkx_herkx_restricted_kernelIl19rocblas_complex_numIdELi16ELi32ELi8ELi1ELi1ELb1ELc84ELc85EKPKS1_KPS1_EviT_PT9_S7_lS9_S7_lPT10_S7_li.has_recursion, 0
	.set _ZL37rocblas_syrkx_herkx_restricted_kernelIl19rocblas_complex_numIdELi16ELi32ELi8ELi1ELi1ELb1ELc84ELc85EKPKS1_KPS1_EviT_PT9_S7_lS9_S7_lPT10_S7_li.has_indirect_call, 0
	.section	.AMDGPU.csdata,"",@progbits
; Kernel info:
; codeLenInByte = 3016
; TotalNumSgprs: 24
; NumVgprs: 52
; ScratchSize: 0
; MemoryBound: 0
; FloatMode: 240
; IeeeMode: 1
; LDSByteSize: 8192 bytes/workgroup (compile time only)
; SGPRBlocks: 8
; VGPRBlocks: 12
; NumSGPRsForWavesPerEU: 65
; NumVGPRsForWavesPerEU: 52
; Occupancy: 4
; WaveLimiterHint : 1
; COMPUTE_PGM_RSRC2:SCRATCH_EN: 0
; COMPUTE_PGM_RSRC2:USER_SGPR: 6
; COMPUTE_PGM_RSRC2:TRAP_HANDLER: 0
; COMPUTE_PGM_RSRC2:TGID_X_EN: 1
; COMPUTE_PGM_RSRC2:TGID_Y_EN: 1
; COMPUTE_PGM_RSRC2:TGID_Z_EN: 1
; COMPUTE_PGM_RSRC2:TIDIG_COMP_CNT: 1
	.section	.text._ZL37rocblas_syrkx_herkx_restricted_kernelIl19rocblas_complex_numIdELi16ELi32ELi8ELi1ELi1ELb1ELc67ELc85EKPKS1_KPS1_EviT_PT9_S7_lS9_S7_lPT10_S7_li,"axG",@progbits,_ZL37rocblas_syrkx_herkx_restricted_kernelIl19rocblas_complex_numIdELi16ELi32ELi8ELi1ELi1ELb1ELc67ELc85EKPKS1_KPS1_EviT_PT9_S7_lS9_S7_lPT10_S7_li,comdat
	.globl	_ZL37rocblas_syrkx_herkx_restricted_kernelIl19rocblas_complex_numIdELi16ELi32ELi8ELi1ELi1ELb1ELc67ELc85EKPKS1_KPS1_EviT_PT9_S7_lS9_S7_lPT10_S7_li ; -- Begin function _ZL37rocblas_syrkx_herkx_restricted_kernelIl19rocblas_complex_numIdELi16ELi32ELi8ELi1ELi1ELb1ELc67ELc85EKPKS1_KPS1_EviT_PT9_S7_lS9_S7_lPT10_S7_li
	.p2align	8
	.type	_ZL37rocblas_syrkx_herkx_restricted_kernelIl19rocblas_complex_numIdELi16ELi32ELi8ELi1ELi1ELb1ELc67ELc85EKPKS1_KPS1_EviT_PT9_S7_lS9_S7_lPT10_S7_li,@function
_ZL37rocblas_syrkx_herkx_restricted_kernelIl19rocblas_complex_numIdELi16ELi32ELi8ELi1ELi1ELb1ELc67ELc85EKPKS1_KPS1_EviT_PT9_S7_lS9_S7_lPT10_S7_li: ; @_ZL37rocblas_syrkx_herkx_restricted_kernelIl19rocblas_complex_numIdELi16ELi32ELi8ELi1ELi1ELb1ELc67ELc85EKPKS1_KPS1_EviT_PT9_S7_lS9_S7_lPT10_S7_li
; %bb.0:
	s_load_dwordx4 s[0:3], s[4:5], 0x40
	s_load_dwordx4 s[12:15], s[4:5], 0x8
	s_mov_b32 s9, 0
	s_lshl_b64 s[10:11], s[8:9], 3
	s_waitcnt lgkmcnt(0)
	s_add_u32 s0, s0, s10
	s_addc_u32 s1, s1, s11
	s_load_dwordx2 s[8:9], s[0:1], 0x0
	v_cmp_lt_i64_e64 s[0:1], s[12:13], 1
	s_lshl_b32 s6, s6, 5
	s_lshl_b32 s7, s7, 5
	s_and_b64 vcc, exec, s[0:1]
	s_cbranch_vccnz .LBB1777_3
; %bb.1:
	s_load_dwordx2 s[0:1], s[4:5], 0x18
	s_load_dwordx4 s[16:19], s[4:5], 0x28
	v_lshl_add_u32 v6, v1, 4, v0
	v_lshrrev_b32_e32 v8, 3, v6
	v_add_u32_e32 v4, s7, v8
	v_ashrrev_i32_e32 v5, 31, v4
	v_and_b32_e32 v2, 7, v0
	v_mov_b32_e32 v3, 0
	s_waitcnt lgkmcnt(0)
	v_mul_lo_u32 v7, s18, v5
	v_mul_lo_u32 v9, s19, v4
	v_mad_u64_u32 v[4:5], s[18:19], s18, v4, v[2:3]
	s_add_u32 s14, s14, s10
	v_lshlrev_b32_e32 v2, 4, v2
	v_add3_u32 v5, v9, v5, v7
	v_and_b32_e32 v9, 31, v6
	s_addc_u32 s15, s15, s11
	v_lshl_or_b32 v2, v8, 7, v2
	v_add_u32_e32 v8, s6, v9
	s_add_u32 s10, s16, s10
	v_lshrrev_b32_e32 v6, 5, v6
	v_mov_b32_e32 v7, v3
	v_lshlrev_b32_e32 v3, 4, v9
	v_add_u32_e32 v23, 0x1000, v2
	v_ashrrev_i32_e32 v2, 31, v8
	s_addc_u32 s11, s17, s11
	v_lshl_or_b32 v22, v6, 9, v3
	v_mul_lo_u32 v9, s0, v2
	v_mad_u64_u32 v[2:3], s[16:17], s0, v8, v[6:7]
	v_mul_lo_u32 v6, s1, v8
	s_load_dwordx2 s[14:15], s[14:15], 0x0
	v_lshlrev_b64 v[4:5], 4, v[4:5]
	s_load_dwordx2 s[10:11], s[10:11], 0x0
	v_add3_u32 v3, v6, v3, v9
	v_lshlrev_b64 v[2:3], 4, v[2:3]
	s_waitcnt lgkmcnt(0)
	v_mov_b32_e32 v6, s15
	v_add_co_u32_e32 v2, vcc, s14, v2
	v_addc_co_u32_e32 v3, vcc, v6, v3, vcc
	v_mov_b32_e32 v7, 0x1000
	v_mov_b32_e32 v6, s11
	v_add_co_u32_e32 v4, vcc, s10, v4
	v_lshl_add_u32 v25, v1, 7, v7
	v_addc_co_u32_e32 v5, vcc, v6, v5, vcc
	v_mov_b32_e32 v10, 0
	v_mov_b32_e32 v12, 0
	;; [unrolled: 1-line block ×8, first 2 shown]
	v_lshlrev_b32_e32 v24, 4, v0
	v_mov_b32_e32 v11, 0
	v_mov_b32_e32 v13, 0
	;; [unrolled: 1-line block ×8, first 2 shown]
	s_mov_b64 s[0:1], 0
.LBB1777_2:                             ; =>This Inner Loop Header: Depth=1
	flat_load_dwordx4 v[26:29], v[2:3]
	s_add_u32 s0, s0, 8
	v_add_co_u32_e32 v2, vcc, 0x80, v2
	s_addc_u32 s1, s1, 0
	v_addc_co_u32_e32 v3, vcc, 0, v3, vcc
	s_waitcnt vmcnt(0) lgkmcnt(0)
	v_xor_b32_e32 v29, 0x80000000, v29
	ds_write_b128 v22, v[26:29]
	flat_load_dwordx4 v[26:29], v[4:5]
	v_add_co_u32_e32 v4, vcc, 0x80, v4
	v_addc_co_u32_e32 v5, vcc, 0, v5, vcc
	s_waitcnt vmcnt(0) lgkmcnt(0)
	ds_write_b128 v23, v[26:29]
	s_waitcnt lgkmcnt(0)
	s_barrier
	ds_read_b128 v[26:29], v25
	ds_read_b128 v[30:33], v25 offset:16
	ds_read_b128 v[34:37], v25 offset:32
	;; [unrolled: 1-line block ×3, first 2 shown]
	ds_read_b128 v[42:45], v24
	s_waitcnt lgkmcnt(0)
	v_mul_f64 v[46:47], v[28:29], v[44:45]
	v_mul_f64 v[48:49], v[26:27], v[44:45]
	v_fma_f64 v[46:47], v[26:27], v[42:43], -v[46:47]
	v_fma_f64 v[48:49], v[28:29], v[42:43], v[48:49]
	v_add_f64 v[46:47], v[18:19], v[46:47]
	v_add_f64 v[48:49], v[48:49], v[20:21]
	ds_read_b128 v[18:21], v24 offset:256
	s_waitcnt lgkmcnt(0)
	v_mul_f64 v[50:51], v[28:29], v[20:21]
	v_fma_f64 v[50:51], v[26:27], v[18:19], -v[50:51]
	v_mul_f64 v[26:27], v[26:27], v[20:21]
	v_fma_f64 v[26:27], v[28:29], v[18:19], v[26:27]
	v_add_f64 v[28:29], v[6:7], v[50:51]
	v_add_f64 v[26:27], v[26:27], v[8:9]
	ds_read_b128 v[6:9], v25 offset:2048
	s_waitcnt lgkmcnt(0)
	v_mul_f64 v[50:51], v[8:9], v[44:45]
	v_mul_f64 v[44:45], v[6:7], v[44:45]
	v_fma_f64 v[50:51], v[6:7], v[42:43], -v[50:51]
	v_fma_f64 v[42:43], v[8:9], v[42:43], v[44:45]
	v_add_f64 v[44:45], v[14:15], v[50:51]
	v_mul_f64 v[14:15], v[8:9], v[20:21]
	v_add_f64 v[42:43], v[42:43], v[16:17]
	v_fma_f64 v[14:15], v[6:7], v[18:19], -v[14:15]
	v_mul_f64 v[6:7], v[6:7], v[20:21]
	v_fma_f64 v[6:7], v[8:9], v[18:19], v[6:7]
	v_add_f64 v[18:19], v[12:13], v[14:15]
	v_add_f64 v[20:21], v[6:7], v[10:11]
	ds_read_b128 v[6:9], v24 offset:512
	s_waitcnt lgkmcnt(0)
	v_mul_f64 v[10:11], v[32:33], v[8:9]
	v_mul_f64 v[12:13], v[30:31], v[8:9]
	v_fma_f64 v[10:11], v[30:31], v[6:7], -v[10:11]
	v_fma_f64 v[12:13], v[32:33], v[6:7], v[12:13]
	v_add_f64 v[46:47], v[46:47], v[10:11]
	v_add_f64 v[48:49], v[12:13], v[48:49]
	ds_read_b128 v[10:13], v24 offset:768
	s_waitcnt lgkmcnt(0)
	v_mul_f64 v[14:15], v[32:33], v[12:13]
	v_mul_f64 v[16:17], v[30:31], v[12:13]
	v_fma_f64 v[14:15], v[30:31], v[10:11], -v[14:15]
	;; [unrolled: 8-line block ×3, first 2 shown]
	v_fma_f64 v[6:7], v[16:17], v[6:7], v[8:9]
	v_mul_f64 v[8:9], v[14:15], v[12:13]
	v_add_f64 v[30:31], v[44:45], v[30:31]
	v_add_f64 v[32:33], v[6:7], v[42:43]
	v_mul_f64 v[6:7], v[16:17], v[12:13]
	v_fma_f64 v[8:9], v[16:17], v[10:11], v[8:9]
	v_fma_f64 v[6:7], v[14:15], v[10:11], -v[6:7]
	v_add_f64 v[20:21], v[8:9], v[20:21]
	v_add_f64 v[18:19], v[18:19], v[6:7]
	ds_read_b128 v[6:9], v24 offset:1024
	s_waitcnt lgkmcnt(0)
	v_mul_f64 v[10:11], v[36:37], v[8:9]
	v_mul_f64 v[12:13], v[34:35], v[8:9]
	v_fma_f64 v[10:11], v[34:35], v[6:7], -v[10:11]
	v_fma_f64 v[12:13], v[36:37], v[6:7], v[12:13]
	v_add_f64 v[42:43], v[46:47], v[10:11]
	v_add_f64 v[44:45], v[12:13], v[48:49]
	ds_read_b128 v[10:13], v24 offset:1280
	s_waitcnt lgkmcnt(0)
	v_mul_f64 v[14:15], v[36:37], v[12:13]
	v_mul_f64 v[16:17], v[34:35], v[12:13]
	v_fma_f64 v[14:15], v[34:35], v[10:11], -v[14:15]
	v_fma_f64 v[16:17], v[36:37], v[10:11], v[16:17]
	;; [unrolled: 8-line block ×3, first 2 shown]
	v_mul_f64 v[8:9], v[14:15], v[12:13]
	v_add_f64 v[30:31], v[30:31], v[34:35]
	v_add_f64 v[32:33], v[6:7], v[32:33]
	v_mul_f64 v[6:7], v[16:17], v[12:13]
	v_fma_f64 v[8:9], v[16:17], v[10:11], v[8:9]
	v_fma_f64 v[6:7], v[14:15], v[10:11], -v[6:7]
	v_add_f64 v[20:21], v[8:9], v[20:21]
	v_add_f64 v[18:19], v[18:19], v[6:7]
	ds_read_b128 v[6:9], v24 offset:1536
	s_waitcnt lgkmcnt(0)
	v_mul_f64 v[10:11], v[40:41], v[8:9]
	v_mul_f64 v[12:13], v[38:39], v[8:9]
	v_fma_f64 v[10:11], v[38:39], v[6:7], -v[10:11]
	v_fma_f64 v[12:13], v[40:41], v[6:7], v[12:13]
	v_add_f64 v[34:35], v[42:43], v[10:11]
	v_add_f64 v[36:37], v[12:13], v[44:45]
	ds_read_b128 v[10:13], v24 offset:1792
	s_waitcnt lgkmcnt(0)
	v_mul_f64 v[14:15], v[40:41], v[12:13]
	v_mul_f64 v[16:17], v[38:39], v[12:13]
	v_fma_f64 v[14:15], v[38:39], v[10:11], -v[14:15]
	v_fma_f64 v[16:17], v[40:41], v[10:11], v[16:17]
	;; [unrolled: 8-line block ×3, first 2 shown]
	v_mul_f64 v[8:9], v[14:15], v[12:13]
	v_add_f64 v[30:31], v[30:31], v[38:39]
	v_add_f64 v[32:33], v[6:7], v[32:33]
	v_mul_f64 v[6:7], v[16:17], v[12:13]
	v_fma_f64 v[8:9], v[16:17], v[10:11], v[8:9]
	v_fma_f64 v[6:7], v[14:15], v[10:11], -v[6:7]
	v_add_f64 v[20:21], v[8:9], v[20:21]
	v_add_f64 v[18:19], v[18:19], v[6:7]
	ds_read_b128 v[6:9], v25 offset:64
	ds_read_b128 v[10:13], v24 offset:2048
	s_waitcnt lgkmcnt(0)
	v_mul_f64 v[14:15], v[8:9], v[12:13]
	v_mul_f64 v[16:17], v[6:7], v[12:13]
	v_fma_f64 v[14:15], v[6:7], v[10:11], -v[14:15]
	v_fma_f64 v[16:17], v[8:9], v[10:11], v[16:17]
	v_add_f64 v[34:35], v[34:35], v[14:15]
	v_add_f64 v[36:37], v[16:17], v[36:37]
	ds_read_b128 v[14:17], v24 offset:2304
	s_waitcnt lgkmcnt(0)
	v_mul_f64 v[38:39], v[8:9], v[16:17]
	v_fma_f64 v[38:39], v[6:7], v[14:15], -v[38:39]
	v_mul_f64 v[6:7], v[6:7], v[16:17]
	v_add_f64 v[28:29], v[28:29], v[38:39]
	v_fma_f64 v[6:7], v[8:9], v[14:15], v[6:7]
	v_add_f64 v[26:27], v[6:7], v[26:27]
	ds_read_b128 v[6:9], v25 offset:2112
	s_waitcnt lgkmcnt(0)
	v_mul_f64 v[38:39], v[8:9], v[12:13]
	v_mul_f64 v[12:13], v[6:7], v[12:13]
	v_fma_f64 v[38:39], v[6:7], v[10:11], -v[38:39]
	v_fma_f64 v[10:11], v[8:9], v[10:11], v[12:13]
	v_add_f64 v[30:31], v[30:31], v[38:39]
	v_add_f64 v[32:33], v[10:11], v[32:33]
	v_mul_f64 v[10:11], v[8:9], v[16:17]
	v_fma_f64 v[10:11], v[6:7], v[14:15], -v[10:11]
	v_mul_f64 v[6:7], v[6:7], v[16:17]
	v_add_f64 v[18:19], v[18:19], v[10:11]
	v_fma_f64 v[6:7], v[8:9], v[14:15], v[6:7]
	v_add_f64 v[20:21], v[6:7], v[20:21]
	ds_read_b128 v[6:9], v25 offset:80
	ds_read_b128 v[10:13], v24 offset:2560
	s_waitcnt lgkmcnt(0)
	v_mul_f64 v[14:15], v[8:9], v[12:13]
	v_mul_f64 v[16:17], v[6:7], v[12:13]
	v_fma_f64 v[14:15], v[6:7], v[10:11], -v[14:15]
	v_fma_f64 v[16:17], v[8:9], v[10:11], v[16:17]
	v_add_f64 v[34:35], v[34:35], v[14:15]
	v_add_f64 v[36:37], v[16:17], v[36:37]
	ds_read_b128 v[14:17], v24 offset:2816
	s_waitcnt lgkmcnt(0)
	v_mul_f64 v[38:39], v[8:9], v[16:17]
	v_fma_f64 v[38:39], v[6:7], v[14:15], -v[38:39]
	v_mul_f64 v[6:7], v[6:7], v[16:17]
	v_add_f64 v[28:29], v[28:29], v[38:39]
	v_fma_f64 v[6:7], v[8:9], v[14:15], v[6:7]
	v_add_f64 v[26:27], v[6:7], v[26:27]
	ds_read_b128 v[6:9], v25 offset:2128
	s_waitcnt lgkmcnt(0)
	v_mul_f64 v[38:39], v[8:9], v[12:13]
	v_mul_f64 v[12:13], v[6:7], v[12:13]
	v_fma_f64 v[38:39], v[6:7], v[10:11], -v[38:39]
	v_fma_f64 v[10:11], v[8:9], v[10:11], v[12:13]
	v_add_f64 v[30:31], v[30:31], v[38:39]
	v_add_f64 v[32:33], v[10:11], v[32:33]
	v_mul_f64 v[10:11], v[8:9], v[16:17]
	v_fma_f64 v[10:11], v[6:7], v[14:15], -v[10:11]
	v_mul_f64 v[6:7], v[6:7], v[16:17]
	v_add_f64 v[18:19], v[18:19], v[10:11]
	v_fma_f64 v[6:7], v[8:9], v[14:15], v[6:7]
	;; [unrolled: 31-line block ×3, first 2 shown]
	v_add_f64 v[48:49], v[6:7], v[20:21]
	ds_read_b128 v[6:9], v25 offset:112
	ds_read_b128 v[10:13], v24 offset:3584
	;; [unrolled: 1-line block ×4, first 2 shown]
	s_waitcnt lgkmcnt(0)
	s_barrier
	v_mul_f64 v[14:15], v[8:9], v[12:13]
	v_mul_f64 v[16:17], v[6:7], v[12:13]
	v_fma_f64 v[14:15], v[6:7], v[10:11], -v[14:15]
	v_fma_f64 v[16:17], v[8:9], v[10:11], v[16:17]
	v_add_f64 v[18:19], v[34:35], v[14:15]
	v_mul_f64 v[14:15], v[8:9], v[28:29]
	v_add_f64 v[20:21], v[16:17], v[36:37]
	v_fma_f64 v[14:15], v[6:7], v[26:27], -v[14:15]
	v_mul_f64 v[6:7], v[6:7], v[28:29]
	v_fma_f64 v[8:9], v[8:9], v[26:27], v[6:7]
	v_add_f64 v[6:7], v[38:39], v[14:15]
	v_mul_f64 v[14:15], v[32:33], v[12:13]
	v_mul_f64 v[12:13], v[30:31], v[12:13]
	v_add_f64 v[8:9], v[8:9], v[40:41]
	v_fma_f64 v[14:15], v[30:31], v[10:11], -v[14:15]
	v_fma_f64 v[10:11], v[32:33], v[10:11], v[12:13]
	v_mul_f64 v[12:13], v[30:31], v[28:29]
	v_add_f64 v[14:15], v[42:43], v[14:15]
	v_add_f64 v[16:17], v[10:11], v[44:45]
	v_mul_f64 v[10:11], v[32:33], v[28:29]
	v_fma_f64 v[10:11], v[30:31], v[26:27], -v[10:11]
	v_fma_f64 v[26:27], v[32:33], v[26:27], v[12:13]
	v_add_f64 v[12:13], v[46:47], v[10:11]
	v_add_f64 v[10:11], v[26:27], v[48:49]
	v_mov_b32_e32 v27, s1
	v_mov_b32_e32 v26, s0
	v_cmp_le_u64_e32 vcc, s[12:13], v[26:27]
	s_cbranch_vccz .LBB1777_2
	s_branch .LBB1777_4
.LBB1777_3:
	v_mov_b32_e32 v18, 0
	v_mov_b32_e32 v20, 0
	;; [unrolled: 1-line block ×16, first 2 shown]
.LBB1777_4:
	v_add_u32_e32 v4, s7, v1
	v_ashrrev_i32_e32 v1, 31, v4
	v_mul_lo_u32 v3, s2, v1
	v_mul_lo_u32 v5, s3, v4
	v_mad_u64_u32 v[1:2], s[0:1], s2, v4, 0
	s_load_dword s10, s[4:5], 0x0
	v_add_u32_e32 v0, s6, v0
	v_add3_u32 v2, v2, v3, v5
	v_lshlrev_b64 v[1:2], 4, v[1:2]
	s_waitcnt lgkmcnt(0)
	v_mov_b32_e32 v3, s9
	v_add_co_u32_e64 v5, s[0:1], s8, v1
	v_addc_co_u32_e64 v22, s[0:1], v3, v2, s[0:1]
	v_cmp_gt_i32_e32 vcc, s10, v4
	v_cmp_le_i32_e64 s[0:1], v0, v4
	s_and_b64 s[0:1], vcc, s[0:1]
	s_and_saveexec_b64 s[4:5], s[0:1]
	s_cbranch_execz .LBB1777_6
; %bb.5:
	v_ashrrev_i32_e32 v1, 31, v0
	v_lshlrev_b64 v[1:2], 4, v[0:1]
	v_add_co_u32_e64 v1, s[0:1], v5, v1
	v_addc_co_u32_e64 v2, s[0:1], v22, v2, s[0:1]
	flat_load_dwordx4 v[23:26], v[1:2]
	v_cmp_ne_u32_e64 s[0:1], v4, v0
	s_waitcnt vmcnt(0) lgkmcnt(0)
	v_add_f64 v[20:21], v[20:21], v[25:26]
	v_add_f64 v[18:19], v[18:19], v[23:24]
	v_cndmask_b32_e64 v21, 0, v21, s[0:1]
	v_cndmask_b32_e64 v20, 0, v20, s[0:1]
	flat_store_dwordx4 v[1:2], v[18:21]
.LBB1777_6:
	s_or_b64 exec, exec, s[4:5]
	v_add_u32_e32 v2, 16, v0
	v_cmp_le_i32_e64 s[0:1], v2, v4
	s_and_b64 s[4:5], vcc, s[0:1]
	s_and_saveexec_b64 s[0:1], s[4:5]
	s_cbranch_execz .LBB1777_8
; %bb.7:
	v_ashrrev_i32_e32 v3, 31, v2
	v_lshlrev_b64 v[18:19], 4, v[2:3]
	v_add_co_u32_e32 v23, vcc, v5, v18
	v_addc_co_u32_e32 v24, vcc, v22, v19, vcc
	flat_load_dwordx4 v[18:21], v[23:24]
	v_cmp_ne_u32_e32 vcc, v4, v2
	s_waitcnt vmcnt(0) lgkmcnt(0)
	v_add_f64 v[20:21], v[8:9], v[20:21]
	v_add_f64 v[5:6], v[6:7], v[18:19]
	v_cndmask_b32_e32 v8, 0, v21, vcc
	v_cndmask_b32_e32 v7, 0, v20, vcc
	flat_store_dwordx4 v[23:24], v[5:8]
.LBB1777_8:
	s_or_b64 exec, exec, s[0:1]
	v_add_u32_e32 v3, 16, v4
	v_ashrrev_i32_e32 v1, 31, v3
	v_mul_lo_u32 v1, s2, v1
	v_mul_lo_u32 v7, s3, v3
	v_mad_u64_u32 v[5:6], s[0:1], s2, v3, 0
	v_cmp_gt_i32_e32 vcc, s10, v3
	v_add3_u32 v6, v6, v1, v7
	v_lshlrev_b64 v[5:6], 4, v[5:6]
	v_mov_b32_e32 v1, s9
	v_add_co_u32_e64 v5, s[0:1], s8, v5
	v_addc_co_u32_e64 v6, s[0:1], v1, v6, s[0:1]
	v_cmp_le_i32_e64 s[0:1], v0, v3
	s_and_b64 s[0:1], vcc, s[0:1]
	s_and_saveexec_b64 s[2:3], s[0:1]
	s_cbranch_execz .LBB1777_10
; %bb.9:
	v_ashrrev_i32_e32 v1, 31, v0
	v_lshlrev_b64 v[7:8], 4, v[0:1]
	v_add_co_u32_e64 v7, s[0:1], v5, v7
	v_addc_co_u32_e64 v8, s[0:1], v6, v8, s[0:1]
	flat_load_dwordx4 v[18:21], v[7:8]
	v_cmp_ne_u32_e64 s[0:1], v3, v0
	s_waitcnt vmcnt(0) lgkmcnt(0)
	v_add_f64 v[16:17], v[16:17], v[20:21]
	v_add_f64 v[14:15], v[14:15], v[18:19]
	v_cndmask_b32_e64 v17, 0, v17, s[0:1]
	v_cndmask_b32_e64 v16, 0, v16, s[0:1]
	flat_store_dwordx4 v[7:8], v[14:17]
.LBB1777_10:
	s_or_b64 exec, exec, s[2:3]
	v_cmp_le_i32_e64 s[0:1], v2, v3
	s_and_b64 s[0:1], vcc, s[0:1]
	s_and_saveexec_b64 s[2:3], s[0:1]
	s_cbranch_execz .LBB1777_12
; %bb.11:
	v_ashrrev_i32_e32 v3, 31, v2
	v_lshlrev_b64 v[1:2], 4, v[2:3]
	v_add_co_u32_e32 v14, vcc, v5, v1
	v_addc_co_u32_e32 v15, vcc, v6, v2, vcc
	flat_load_dwordx4 v[5:8], v[14:15]
	v_cmp_ne_u32_e32 vcc, v4, v0
	s_waitcnt vmcnt(0) lgkmcnt(0)
	v_add_f64 v[7:8], v[10:11], v[7:8]
	v_add_f64 v[1:2], v[12:13], v[5:6]
	v_cndmask_b32_e32 v4, 0, v8, vcc
	v_cndmask_b32_e32 v3, 0, v7, vcc
	flat_store_dwordx4 v[14:15], v[1:4]
.LBB1777_12:
	s_endpgm
	.section	.rodata,"a",@progbits
	.p2align	6, 0x0
	.amdhsa_kernel _ZL37rocblas_syrkx_herkx_restricted_kernelIl19rocblas_complex_numIdELi16ELi32ELi8ELi1ELi1ELb1ELc67ELc85EKPKS1_KPS1_EviT_PT9_S7_lS9_S7_lPT10_S7_li
		.amdhsa_group_segment_fixed_size 8192
		.amdhsa_private_segment_fixed_size 0
		.amdhsa_kernarg_size 92
		.amdhsa_user_sgpr_count 6
		.amdhsa_user_sgpr_private_segment_buffer 1
		.amdhsa_user_sgpr_dispatch_ptr 0
		.amdhsa_user_sgpr_queue_ptr 0
		.amdhsa_user_sgpr_kernarg_segment_ptr 1
		.amdhsa_user_sgpr_dispatch_id 0
		.amdhsa_user_sgpr_flat_scratch_init 0
		.amdhsa_user_sgpr_private_segment_size 0
		.amdhsa_uses_dynamic_stack 0
		.amdhsa_system_sgpr_private_segment_wavefront_offset 0
		.amdhsa_system_sgpr_workgroup_id_x 1
		.amdhsa_system_sgpr_workgroup_id_y 1
		.amdhsa_system_sgpr_workgroup_id_z 1
		.amdhsa_system_sgpr_workgroup_info 0
		.amdhsa_system_vgpr_workitem_id 1
		.amdhsa_next_free_vgpr 52
		.amdhsa_next_free_sgpr 61
		.amdhsa_reserve_vcc 1
		.amdhsa_reserve_flat_scratch 0
		.amdhsa_float_round_mode_32 0
		.amdhsa_float_round_mode_16_64 0
		.amdhsa_float_denorm_mode_32 3
		.amdhsa_float_denorm_mode_16_64 3
		.amdhsa_dx10_clamp 1
		.amdhsa_ieee_mode 1
		.amdhsa_fp16_overflow 0
		.amdhsa_exception_fp_ieee_invalid_op 0
		.amdhsa_exception_fp_denorm_src 0
		.amdhsa_exception_fp_ieee_div_zero 0
		.amdhsa_exception_fp_ieee_overflow 0
		.amdhsa_exception_fp_ieee_underflow 0
		.amdhsa_exception_fp_ieee_inexact 0
		.amdhsa_exception_int_div_zero 0
	.end_amdhsa_kernel
	.section	.text._ZL37rocblas_syrkx_herkx_restricted_kernelIl19rocblas_complex_numIdELi16ELi32ELi8ELi1ELi1ELb1ELc67ELc85EKPKS1_KPS1_EviT_PT9_S7_lS9_S7_lPT10_S7_li,"axG",@progbits,_ZL37rocblas_syrkx_herkx_restricted_kernelIl19rocblas_complex_numIdELi16ELi32ELi8ELi1ELi1ELb1ELc67ELc85EKPKS1_KPS1_EviT_PT9_S7_lS9_S7_lPT10_S7_li,comdat
.Lfunc_end1777:
	.size	_ZL37rocblas_syrkx_herkx_restricted_kernelIl19rocblas_complex_numIdELi16ELi32ELi8ELi1ELi1ELb1ELc67ELc85EKPKS1_KPS1_EviT_PT9_S7_lS9_S7_lPT10_S7_li, .Lfunc_end1777-_ZL37rocblas_syrkx_herkx_restricted_kernelIl19rocblas_complex_numIdELi16ELi32ELi8ELi1ELi1ELb1ELc67ELc85EKPKS1_KPS1_EviT_PT9_S7_lS9_S7_lPT10_S7_li
                                        ; -- End function
	.set _ZL37rocblas_syrkx_herkx_restricted_kernelIl19rocblas_complex_numIdELi16ELi32ELi8ELi1ELi1ELb1ELc67ELc85EKPKS1_KPS1_EviT_PT9_S7_lS9_S7_lPT10_S7_li.num_vgpr, 52
	.set _ZL37rocblas_syrkx_herkx_restricted_kernelIl19rocblas_complex_numIdELi16ELi32ELi8ELi1ELi1ELb1ELc67ELc85EKPKS1_KPS1_EviT_PT9_S7_lS9_S7_lPT10_S7_li.num_agpr, 0
	.set _ZL37rocblas_syrkx_herkx_restricted_kernelIl19rocblas_complex_numIdELi16ELi32ELi8ELi1ELi1ELb1ELc67ELc85EKPKS1_KPS1_EviT_PT9_S7_lS9_S7_lPT10_S7_li.numbered_sgpr, 20
	.set _ZL37rocblas_syrkx_herkx_restricted_kernelIl19rocblas_complex_numIdELi16ELi32ELi8ELi1ELi1ELb1ELc67ELc85EKPKS1_KPS1_EviT_PT9_S7_lS9_S7_lPT10_S7_li.num_named_barrier, 0
	.set _ZL37rocblas_syrkx_herkx_restricted_kernelIl19rocblas_complex_numIdELi16ELi32ELi8ELi1ELi1ELb1ELc67ELc85EKPKS1_KPS1_EviT_PT9_S7_lS9_S7_lPT10_S7_li.private_seg_size, 0
	.set _ZL37rocblas_syrkx_herkx_restricted_kernelIl19rocblas_complex_numIdELi16ELi32ELi8ELi1ELi1ELb1ELc67ELc85EKPKS1_KPS1_EviT_PT9_S7_lS9_S7_lPT10_S7_li.uses_vcc, 1
	.set _ZL37rocblas_syrkx_herkx_restricted_kernelIl19rocblas_complex_numIdELi16ELi32ELi8ELi1ELi1ELb1ELc67ELc85EKPKS1_KPS1_EviT_PT9_S7_lS9_S7_lPT10_S7_li.uses_flat_scratch, 0
	.set _ZL37rocblas_syrkx_herkx_restricted_kernelIl19rocblas_complex_numIdELi16ELi32ELi8ELi1ELi1ELb1ELc67ELc85EKPKS1_KPS1_EviT_PT9_S7_lS9_S7_lPT10_S7_li.has_dyn_sized_stack, 0
	.set _ZL37rocblas_syrkx_herkx_restricted_kernelIl19rocblas_complex_numIdELi16ELi32ELi8ELi1ELi1ELb1ELc67ELc85EKPKS1_KPS1_EviT_PT9_S7_lS9_S7_lPT10_S7_li.has_recursion, 0
	.set _ZL37rocblas_syrkx_herkx_restricted_kernelIl19rocblas_complex_numIdELi16ELi32ELi8ELi1ELi1ELb1ELc67ELc85EKPKS1_KPS1_EviT_PT9_S7_lS9_S7_lPT10_S7_li.has_indirect_call, 0
	.section	.AMDGPU.csdata,"",@progbits
; Kernel info:
; codeLenInByte = 3024
; TotalNumSgprs: 24
; NumVgprs: 52
; ScratchSize: 0
; MemoryBound: 0
; FloatMode: 240
; IeeeMode: 1
; LDSByteSize: 8192 bytes/workgroup (compile time only)
; SGPRBlocks: 8
; VGPRBlocks: 12
; NumSGPRsForWavesPerEU: 65
; NumVGPRsForWavesPerEU: 52
; Occupancy: 4
; WaveLimiterHint : 1
; COMPUTE_PGM_RSRC2:SCRATCH_EN: 0
; COMPUTE_PGM_RSRC2:USER_SGPR: 6
; COMPUTE_PGM_RSRC2:TRAP_HANDLER: 0
; COMPUTE_PGM_RSRC2:TGID_X_EN: 1
; COMPUTE_PGM_RSRC2:TGID_Y_EN: 1
; COMPUTE_PGM_RSRC2:TGID_Z_EN: 1
; COMPUTE_PGM_RSRC2:TIDIG_COMP_CNT: 1
	.section	.text._ZL37rocblas_syrkx_herkx_restricted_kernelIl19rocblas_complex_numIdELi16ELi32ELi8ELi1ELi1ELb1ELc78ELc85EKPKS1_KPS1_EviT_PT9_S7_lS9_S7_lPT10_S7_li,"axG",@progbits,_ZL37rocblas_syrkx_herkx_restricted_kernelIl19rocblas_complex_numIdELi16ELi32ELi8ELi1ELi1ELb1ELc78ELc85EKPKS1_KPS1_EviT_PT9_S7_lS9_S7_lPT10_S7_li,comdat
	.globl	_ZL37rocblas_syrkx_herkx_restricted_kernelIl19rocblas_complex_numIdELi16ELi32ELi8ELi1ELi1ELb1ELc78ELc85EKPKS1_KPS1_EviT_PT9_S7_lS9_S7_lPT10_S7_li ; -- Begin function _ZL37rocblas_syrkx_herkx_restricted_kernelIl19rocblas_complex_numIdELi16ELi32ELi8ELi1ELi1ELb1ELc78ELc85EKPKS1_KPS1_EviT_PT9_S7_lS9_S7_lPT10_S7_li
	.p2align	8
	.type	_ZL37rocblas_syrkx_herkx_restricted_kernelIl19rocblas_complex_numIdELi16ELi32ELi8ELi1ELi1ELb1ELc78ELc85EKPKS1_KPS1_EviT_PT9_S7_lS9_S7_lPT10_S7_li,@function
_ZL37rocblas_syrkx_herkx_restricted_kernelIl19rocblas_complex_numIdELi16ELi32ELi8ELi1ELi1ELb1ELc78ELc85EKPKS1_KPS1_EviT_PT9_S7_lS9_S7_lPT10_S7_li: ; @_ZL37rocblas_syrkx_herkx_restricted_kernelIl19rocblas_complex_numIdELi16ELi32ELi8ELi1ELi1ELb1ELc78ELc85EKPKS1_KPS1_EviT_PT9_S7_lS9_S7_lPT10_S7_li
; %bb.0:
	s_load_dwordx4 s[0:3], s[4:5], 0x40
	s_load_dwordx4 s[12:15], s[4:5], 0x8
	s_mov_b32 s9, 0
	s_lshl_b64 s[18:19], s[8:9], 3
	s_waitcnt lgkmcnt(0)
	s_add_u32 s0, s0, s18
	s_addc_u32 s1, s1, s19
	s_load_dwordx2 s[16:17], s[0:1], 0x0
	v_cmp_lt_i64_e64 s[0:1], s[12:13], 1
	s_lshl_b32 s20, s6, 5
	s_lshl_b32 s21, s7, 5
	s_and_b64 vcc, exec, s[0:1]
	s_cbranch_vccnz .LBB1778_3
; %bb.1:
	s_load_dwordx2 s[0:1], s[4:5], 0x18
	s_load_dwordx4 s[8:11], s[4:5], 0x28
	v_lshl_add_u32 v7, v1, 4, v0
	v_lshrrev_b32_e32 v8, 3, v7
	v_add_u32_e32 v2, s21, v8
	v_and_b32_e32 v6, 7, v0
	v_ashrrev_i32_e32 v3, 31, v2
	s_waitcnt lgkmcnt(0)
	v_mad_u64_u32 v[4:5], s[6:7], s10, v6, v[2:3]
	s_add_u32 s6, s14, s18
	s_addc_u32 s7, s15, s19
	v_mov_b32_e32 v2, v5
	v_mad_u64_u32 v[2:3], s[14:15], s11, v6, v[2:3]
	v_lshrrev_b32_e32 v9, 5, v7
	v_lshlrev_b32_e32 v6, 4, v6
	v_mov_b32_e32 v5, v2
	v_and_b32_e32 v2, 31, v7
	v_lshlrev_b32_e32 v3, 4, v2
	v_add_u32_e32 v2, s20, v2
	v_lshl_or_b32 v22, v9, 9, v3
	v_ashrrev_i32_e32 v3, 31, v2
	v_mad_u64_u32 v[2:3], s[14:15], s0, v9, v[2:3]
	v_lshl_or_b32 v6, v8, 7, v6
	v_add_u32_e32 v23, 0x1000, v6
	v_mad_u64_u32 v[6:7], s[14:15], s1, v9, v[3:4]
	s_load_dwordx2 s[6:7], s[6:7], 0x0
	s_add_u32 s8, s8, s18
	s_addc_u32 s9, s9, s19
	v_mov_b32_e32 v3, 0x1000
	s_load_dwordx2 s[8:9], s[8:9], 0x0
	v_lshl_add_u32 v25, v1, 7, v3
	v_mov_b32_e32 v3, v6
	v_lshlrev_b64 v[2:3], 4, v[2:3]
	s_waitcnt lgkmcnt(0)
	v_mov_b32_e32 v6, s7
	v_add_co_u32_e32 v2, vcc, s6, v2
	v_lshlrev_b64 v[4:5], 4, v[4:5]
	v_addc_co_u32_e32 v3, vcc, v6, v3, vcc
	v_mov_b32_e32 v6, s9
	v_add_co_u32_e32 v4, vcc, s8, v4
	s_lshl_b64 s[0:1], s[0:1], 7
	v_addc_co_u32_e32 v5, vcc, v6, v5, vcc
	s_lshl_b64 s[6:7], s[10:11], 7
	v_mov_b32_e32 v10, 0
	v_mov_b32_e32 v12, 0
	;; [unrolled: 1-line block ×8, first 2 shown]
	v_lshlrev_b32_e32 v24, 4, v0
	v_mov_b32_e32 v11, 0
	s_mov_b64 s[8:9], 0
	v_mov_b32_e32 v26, s1
	v_mov_b32_e32 v13, 0
	;; [unrolled: 1-line block ×9, first 2 shown]
.LBB1778_2:                             ; =>This Inner Loop Header: Depth=1
	flat_load_dwordx4 v[28:31], v[2:3]
	s_add_u32 s8, s8, 8
	v_add_co_u32_e32 v2, vcc, s0, v2
	s_addc_u32 s9, s9, 0
	v_addc_co_u32_e32 v3, vcc, v3, v26, vcc
	s_waitcnt vmcnt(0) lgkmcnt(0)
	ds_write_b128 v22, v[28:31]
	flat_load_dwordx4 v[28:31], v[4:5]
	v_add_co_u32_e32 v4, vcc, s6, v4
	v_addc_co_u32_e32 v5, vcc, v5, v27, vcc
	s_waitcnt vmcnt(0) lgkmcnt(0)
	v_xor_b32_e32 v31, 0x80000000, v31
	ds_write_b128 v23, v[28:31]
	s_waitcnt lgkmcnt(0)
	s_barrier
	ds_read_b128 v[28:31], v25
	ds_read_b128 v[32:35], v25 offset:16
	ds_read_b128 v[36:39], v25 offset:32
	;; [unrolled: 1-line block ×3, first 2 shown]
	ds_read_b128 v[44:47], v24
	s_waitcnt lgkmcnt(0)
	v_mul_f64 v[48:49], v[30:31], v[46:47]
	v_mul_f64 v[50:51], v[28:29], v[46:47]
	v_fma_f64 v[48:49], v[28:29], v[44:45], -v[48:49]
	v_fma_f64 v[50:51], v[30:31], v[44:45], v[50:51]
	v_add_f64 v[48:49], v[18:19], v[48:49]
	v_add_f64 v[50:51], v[50:51], v[20:21]
	ds_read_b128 v[18:21], v24 offset:256
	s_waitcnt lgkmcnt(0)
	v_mul_f64 v[52:53], v[30:31], v[20:21]
	v_fma_f64 v[52:53], v[28:29], v[18:19], -v[52:53]
	v_mul_f64 v[28:29], v[28:29], v[20:21]
	v_fma_f64 v[28:29], v[30:31], v[18:19], v[28:29]
	v_add_f64 v[30:31], v[6:7], v[52:53]
	v_add_f64 v[28:29], v[28:29], v[8:9]
	ds_read_b128 v[6:9], v25 offset:2048
	s_waitcnt lgkmcnt(0)
	v_mul_f64 v[52:53], v[8:9], v[46:47]
	v_mul_f64 v[46:47], v[6:7], v[46:47]
	v_fma_f64 v[52:53], v[6:7], v[44:45], -v[52:53]
	v_fma_f64 v[44:45], v[8:9], v[44:45], v[46:47]
	v_add_f64 v[46:47], v[14:15], v[52:53]
	v_mul_f64 v[14:15], v[8:9], v[20:21]
	v_add_f64 v[44:45], v[44:45], v[16:17]
	v_fma_f64 v[14:15], v[6:7], v[18:19], -v[14:15]
	v_mul_f64 v[6:7], v[6:7], v[20:21]
	v_fma_f64 v[6:7], v[8:9], v[18:19], v[6:7]
	v_add_f64 v[18:19], v[12:13], v[14:15]
	v_add_f64 v[20:21], v[6:7], v[10:11]
	ds_read_b128 v[6:9], v24 offset:512
	s_waitcnt lgkmcnt(0)
	v_mul_f64 v[10:11], v[34:35], v[8:9]
	v_mul_f64 v[12:13], v[32:33], v[8:9]
	v_fma_f64 v[10:11], v[32:33], v[6:7], -v[10:11]
	v_fma_f64 v[12:13], v[34:35], v[6:7], v[12:13]
	v_add_f64 v[48:49], v[48:49], v[10:11]
	v_add_f64 v[50:51], v[12:13], v[50:51]
	ds_read_b128 v[10:13], v24 offset:768
	s_waitcnt lgkmcnt(0)
	v_mul_f64 v[14:15], v[34:35], v[12:13]
	v_mul_f64 v[16:17], v[32:33], v[12:13]
	v_fma_f64 v[14:15], v[32:33], v[10:11], -v[14:15]
	;; [unrolled: 8-line block ×3, first 2 shown]
	v_fma_f64 v[6:7], v[16:17], v[6:7], v[8:9]
	v_mul_f64 v[8:9], v[14:15], v[12:13]
	v_add_f64 v[32:33], v[46:47], v[32:33]
	v_add_f64 v[34:35], v[6:7], v[44:45]
	v_mul_f64 v[6:7], v[16:17], v[12:13]
	v_fma_f64 v[8:9], v[16:17], v[10:11], v[8:9]
	v_fma_f64 v[6:7], v[14:15], v[10:11], -v[6:7]
	v_add_f64 v[20:21], v[8:9], v[20:21]
	v_add_f64 v[18:19], v[18:19], v[6:7]
	ds_read_b128 v[6:9], v24 offset:1024
	s_waitcnt lgkmcnt(0)
	v_mul_f64 v[10:11], v[38:39], v[8:9]
	v_mul_f64 v[12:13], v[36:37], v[8:9]
	v_fma_f64 v[10:11], v[36:37], v[6:7], -v[10:11]
	v_fma_f64 v[12:13], v[38:39], v[6:7], v[12:13]
	v_add_f64 v[44:45], v[48:49], v[10:11]
	v_add_f64 v[46:47], v[12:13], v[50:51]
	ds_read_b128 v[10:13], v24 offset:1280
	s_waitcnt lgkmcnt(0)
	v_mul_f64 v[14:15], v[38:39], v[12:13]
	v_mul_f64 v[16:17], v[36:37], v[12:13]
	v_fma_f64 v[14:15], v[36:37], v[10:11], -v[14:15]
	v_fma_f64 v[16:17], v[38:39], v[10:11], v[16:17]
	;; [unrolled: 8-line block ×3, first 2 shown]
	v_mul_f64 v[8:9], v[14:15], v[12:13]
	v_add_f64 v[32:33], v[32:33], v[36:37]
	v_add_f64 v[34:35], v[6:7], v[34:35]
	v_mul_f64 v[6:7], v[16:17], v[12:13]
	v_fma_f64 v[8:9], v[16:17], v[10:11], v[8:9]
	v_fma_f64 v[6:7], v[14:15], v[10:11], -v[6:7]
	v_add_f64 v[20:21], v[8:9], v[20:21]
	v_add_f64 v[18:19], v[18:19], v[6:7]
	ds_read_b128 v[6:9], v24 offset:1536
	s_waitcnt lgkmcnt(0)
	v_mul_f64 v[10:11], v[42:43], v[8:9]
	v_mul_f64 v[12:13], v[40:41], v[8:9]
	v_fma_f64 v[10:11], v[40:41], v[6:7], -v[10:11]
	v_fma_f64 v[12:13], v[42:43], v[6:7], v[12:13]
	v_add_f64 v[36:37], v[44:45], v[10:11]
	v_add_f64 v[38:39], v[12:13], v[46:47]
	ds_read_b128 v[10:13], v24 offset:1792
	s_waitcnt lgkmcnt(0)
	v_mul_f64 v[14:15], v[42:43], v[12:13]
	v_mul_f64 v[16:17], v[40:41], v[12:13]
	v_fma_f64 v[14:15], v[40:41], v[10:11], -v[14:15]
	v_fma_f64 v[16:17], v[42:43], v[10:11], v[16:17]
	;; [unrolled: 8-line block ×3, first 2 shown]
	v_mul_f64 v[8:9], v[14:15], v[12:13]
	v_add_f64 v[32:33], v[32:33], v[40:41]
	v_add_f64 v[34:35], v[6:7], v[34:35]
	v_mul_f64 v[6:7], v[16:17], v[12:13]
	v_fma_f64 v[8:9], v[16:17], v[10:11], v[8:9]
	v_fma_f64 v[6:7], v[14:15], v[10:11], -v[6:7]
	v_add_f64 v[20:21], v[8:9], v[20:21]
	v_add_f64 v[18:19], v[18:19], v[6:7]
	ds_read_b128 v[6:9], v25 offset:64
	ds_read_b128 v[10:13], v24 offset:2048
	s_waitcnt lgkmcnt(0)
	v_mul_f64 v[14:15], v[8:9], v[12:13]
	v_mul_f64 v[16:17], v[6:7], v[12:13]
	v_fma_f64 v[14:15], v[6:7], v[10:11], -v[14:15]
	v_fma_f64 v[16:17], v[8:9], v[10:11], v[16:17]
	v_add_f64 v[36:37], v[36:37], v[14:15]
	v_add_f64 v[38:39], v[16:17], v[38:39]
	ds_read_b128 v[14:17], v24 offset:2304
	s_waitcnt lgkmcnt(0)
	v_mul_f64 v[40:41], v[8:9], v[16:17]
	v_fma_f64 v[40:41], v[6:7], v[14:15], -v[40:41]
	v_mul_f64 v[6:7], v[6:7], v[16:17]
	v_add_f64 v[30:31], v[30:31], v[40:41]
	v_fma_f64 v[6:7], v[8:9], v[14:15], v[6:7]
	v_add_f64 v[28:29], v[6:7], v[28:29]
	ds_read_b128 v[6:9], v25 offset:2112
	s_waitcnt lgkmcnt(0)
	v_mul_f64 v[40:41], v[8:9], v[12:13]
	v_mul_f64 v[12:13], v[6:7], v[12:13]
	v_fma_f64 v[40:41], v[6:7], v[10:11], -v[40:41]
	v_fma_f64 v[10:11], v[8:9], v[10:11], v[12:13]
	v_add_f64 v[32:33], v[32:33], v[40:41]
	v_add_f64 v[34:35], v[10:11], v[34:35]
	v_mul_f64 v[10:11], v[8:9], v[16:17]
	v_fma_f64 v[10:11], v[6:7], v[14:15], -v[10:11]
	v_mul_f64 v[6:7], v[6:7], v[16:17]
	v_add_f64 v[18:19], v[18:19], v[10:11]
	v_fma_f64 v[6:7], v[8:9], v[14:15], v[6:7]
	v_add_f64 v[20:21], v[6:7], v[20:21]
	ds_read_b128 v[6:9], v25 offset:80
	ds_read_b128 v[10:13], v24 offset:2560
	s_waitcnt lgkmcnt(0)
	v_mul_f64 v[14:15], v[8:9], v[12:13]
	v_mul_f64 v[16:17], v[6:7], v[12:13]
	v_fma_f64 v[14:15], v[6:7], v[10:11], -v[14:15]
	v_fma_f64 v[16:17], v[8:9], v[10:11], v[16:17]
	v_add_f64 v[36:37], v[36:37], v[14:15]
	v_add_f64 v[38:39], v[16:17], v[38:39]
	ds_read_b128 v[14:17], v24 offset:2816
	s_waitcnt lgkmcnt(0)
	v_mul_f64 v[40:41], v[8:9], v[16:17]
	v_fma_f64 v[40:41], v[6:7], v[14:15], -v[40:41]
	v_mul_f64 v[6:7], v[6:7], v[16:17]
	v_add_f64 v[30:31], v[30:31], v[40:41]
	v_fma_f64 v[6:7], v[8:9], v[14:15], v[6:7]
	v_add_f64 v[28:29], v[6:7], v[28:29]
	ds_read_b128 v[6:9], v25 offset:2128
	s_waitcnt lgkmcnt(0)
	v_mul_f64 v[40:41], v[8:9], v[12:13]
	v_mul_f64 v[12:13], v[6:7], v[12:13]
	v_fma_f64 v[40:41], v[6:7], v[10:11], -v[40:41]
	v_fma_f64 v[10:11], v[8:9], v[10:11], v[12:13]
	v_add_f64 v[32:33], v[32:33], v[40:41]
	v_add_f64 v[34:35], v[10:11], v[34:35]
	v_mul_f64 v[10:11], v[8:9], v[16:17]
	v_fma_f64 v[10:11], v[6:7], v[14:15], -v[10:11]
	v_mul_f64 v[6:7], v[6:7], v[16:17]
	v_add_f64 v[18:19], v[18:19], v[10:11]
	v_fma_f64 v[6:7], v[8:9], v[14:15], v[6:7]
	;; [unrolled: 31-line block ×3, first 2 shown]
	v_add_f64 v[50:51], v[6:7], v[20:21]
	ds_read_b128 v[6:9], v25 offset:112
	ds_read_b128 v[10:13], v24 offset:3584
	;; [unrolled: 1-line block ×4, first 2 shown]
	s_waitcnt lgkmcnt(0)
	s_barrier
	v_mul_f64 v[14:15], v[8:9], v[12:13]
	v_mul_f64 v[16:17], v[6:7], v[12:13]
	v_fma_f64 v[14:15], v[6:7], v[10:11], -v[14:15]
	v_fma_f64 v[16:17], v[8:9], v[10:11], v[16:17]
	v_add_f64 v[18:19], v[36:37], v[14:15]
	v_mul_f64 v[14:15], v[8:9], v[30:31]
	v_add_f64 v[20:21], v[16:17], v[38:39]
	v_fma_f64 v[14:15], v[6:7], v[28:29], -v[14:15]
	v_mul_f64 v[6:7], v[6:7], v[30:31]
	v_fma_f64 v[8:9], v[8:9], v[28:29], v[6:7]
	v_add_f64 v[6:7], v[40:41], v[14:15]
	v_mul_f64 v[14:15], v[34:35], v[12:13]
	v_mul_f64 v[12:13], v[32:33], v[12:13]
	v_add_f64 v[8:9], v[8:9], v[42:43]
	v_fma_f64 v[14:15], v[32:33], v[10:11], -v[14:15]
	v_fma_f64 v[10:11], v[34:35], v[10:11], v[12:13]
	v_mul_f64 v[12:13], v[32:33], v[30:31]
	v_add_f64 v[14:15], v[44:45], v[14:15]
	v_add_f64 v[16:17], v[10:11], v[46:47]
	v_mul_f64 v[10:11], v[34:35], v[30:31]
	v_fma_f64 v[10:11], v[32:33], v[28:29], -v[10:11]
	v_fma_f64 v[28:29], v[34:35], v[28:29], v[12:13]
	v_add_f64 v[12:13], v[48:49], v[10:11]
	v_add_f64 v[10:11], v[28:29], v[50:51]
	v_mov_b32_e32 v29, s9
	v_mov_b32_e32 v28, s8
	v_cmp_le_u64_e32 vcc, s[12:13], v[28:29]
	s_cbranch_vccz .LBB1778_2
	s_branch .LBB1778_4
.LBB1778_3:
	v_mov_b32_e32 v18, 0
	v_mov_b32_e32 v20, 0
	;; [unrolled: 1-line block ×16, first 2 shown]
.LBB1778_4:
	v_add_u32_e32 v4, s21, v1
	v_ashrrev_i32_e32 v1, 31, v4
	v_mul_lo_u32 v3, s2, v1
	v_mul_lo_u32 v5, s3, v4
	v_mad_u64_u32 v[1:2], s[0:1], s2, v4, 0
	s_load_dword s6, s[4:5], 0x0
	v_add_u32_e32 v0, s20, v0
	v_add3_u32 v2, v2, v3, v5
	v_lshlrev_b64 v[1:2], 4, v[1:2]
	s_waitcnt lgkmcnt(0)
	v_mov_b32_e32 v3, s17
	v_add_co_u32_e64 v5, s[0:1], s16, v1
	v_addc_co_u32_e64 v22, s[0:1], v3, v2, s[0:1]
	v_cmp_gt_i32_e32 vcc, s6, v4
	v_cmp_le_i32_e64 s[0:1], v0, v4
	s_and_b64 s[0:1], vcc, s[0:1]
	s_and_saveexec_b64 s[4:5], s[0:1]
	s_cbranch_execz .LBB1778_6
; %bb.5:
	v_ashrrev_i32_e32 v1, 31, v0
	v_lshlrev_b64 v[1:2], 4, v[0:1]
	v_add_co_u32_e64 v1, s[0:1], v5, v1
	v_addc_co_u32_e64 v2, s[0:1], v22, v2, s[0:1]
	flat_load_dwordx4 v[23:26], v[1:2]
	v_cmp_ne_u32_e64 s[0:1], v4, v0
	s_waitcnt vmcnt(0) lgkmcnt(0)
	v_add_f64 v[20:21], v[20:21], v[25:26]
	v_add_f64 v[18:19], v[18:19], v[23:24]
	v_cndmask_b32_e64 v21, 0, v21, s[0:1]
	v_cndmask_b32_e64 v20, 0, v20, s[0:1]
	flat_store_dwordx4 v[1:2], v[18:21]
.LBB1778_6:
	s_or_b64 exec, exec, s[4:5]
	v_add_u32_e32 v2, 16, v0
	v_cmp_le_i32_e64 s[0:1], v2, v4
	s_and_b64 s[4:5], vcc, s[0:1]
	s_and_saveexec_b64 s[0:1], s[4:5]
	s_cbranch_execz .LBB1778_8
; %bb.7:
	v_ashrrev_i32_e32 v3, 31, v2
	v_lshlrev_b64 v[18:19], 4, v[2:3]
	v_add_co_u32_e32 v23, vcc, v5, v18
	v_addc_co_u32_e32 v24, vcc, v22, v19, vcc
	flat_load_dwordx4 v[18:21], v[23:24]
	v_cmp_ne_u32_e32 vcc, v4, v2
	s_waitcnt vmcnt(0) lgkmcnt(0)
	v_add_f64 v[20:21], v[8:9], v[20:21]
	v_add_f64 v[5:6], v[6:7], v[18:19]
	v_cndmask_b32_e32 v8, 0, v21, vcc
	v_cndmask_b32_e32 v7, 0, v20, vcc
	flat_store_dwordx4 v[23:24], v[5:8]
.LBB1778_8:
	s_or_b64 exec, exec, s[0:1]
	v_add_u32_e32 v3, 16, v4
	v_ashrrev_i32_e32 v1, 31, v3
	v_mul_lo_u32 v1, s2, v1
	v_mul_lo_u32 v7, s3, v3
	v_mad_u64_u32 v[5:6], s[0:1], s2, v3, 0
	v_cmp_gt_i32_e32 vcc, s6, v3
	v_add3_u32 v6, v6, v1, v7
	v_lshlrev_b64 v[5:6], 4, v[5:6]
	v_mov_b32_e32 v1, s17
	v_add_co_u32_e64 v5, s[0:1], s16, v5
	v_addc_co_u32_e64 v6, s[0:1], v1, v6, s[0:1]
	v_cmp_le_i32_e64 s[0:1], v0, v3
	s_and_b64 s[0:1], vcc, s[0:1]
	s_and_saveexec_b64 s[2:3], s[0:1]
	s_cbranch_execz .LBB1778_10
; %bb.9:
	v_ashrrev_i32_e32 v1, 31, v0
	v_lshlrev_b64 v[7:8], 4, v[0:1]
	v_add_co_u32_e64 v7, s[0:1], v5, v7
	v_addc_co_u32_e64 v8, s[0:1], v6, v8, s[0:1]
	flat_load_dwordx4 v[18:21], v[7:8]
	v_cmp_ne_u32_e64 s[0:1], v3, v0
	s_waitcnt vmcnt(0) lgkmcnt(0)
	v_add_f64 v[16:17], v[16:17], v[20:21]
	v_add_f64 v[14:15], v[14:15], v[18:19]
	v_cndmask_b32_e64 v17, 0, v17, s[0:1]
	v_cndmask_b32_e64 v16, 0, v16, s[0:1]
	flat_store_dwordx4 v[7:8], v[14:17]
.LBB1778_10:
	s_or_b64 exec, exec, s[2:3]
	v_cmp_le_i32_e64 s[0:1], v2, v3
	s_and_b64 s[0:1], vcc, s[0:1]
	s_and_saveexec_b64 s[2:3], s[0:1]
	s_cbranch_execz .LBB1778_12
; %bb.11:
	v_ashrrev_i32_e32 v3, 31, v2
	v_lshlrev_b64 v[1:2], 4, v[2:3]
	v_add_co_u32_e32 v14, vcc, v5, v1
	v_addc_co_u32_e32 v15, vcc, v6, v2, vcc
	flat_load_dwordx4 v[5:8], v[14:15]
	v_cmp_ne_u32_e32 vcc, v4, v0
	s_waitcnt vmcnt(0) lgkmcnt(0)
	v_add_f64 v[7:8], v[10:11], v[7:8]
	v_add_f64 v[1:2], v[12:13], v[5:6]
	v_cndmask_b32_e32 v4, 0, v8, vcc
	v_cndmask_b32_e32 v3, 0, v7, vcc
	flat_store_dwordx4 v[14:15], v[1:4]
.LBB1778_12:
	s_endpgm
	.section	.rodata,"a",@progbits
	.p2align	6, 0x0
	.amdhsa_kernel _ZL37rocblas_syrkx_herkx_restricted_kernelIl19rocblas_complex_numIdELi16ELi32ELi8ELi1ELi1ELb1ELc78ELc85EKPKS1_KPS1_EviT_PT9_S7_lS9_S7_lPT10_S7_li
		.amdhsa_group_segment_fixed_size 8192
		.amdhsa_private_segment_fixed_size 0
		.amdhsa_kernarg_size 92
		.amdhsa_user_sgpr_count 6
		.amdhsa_user_sgpr_private_segment_buffer 1
		.amdhsa_user_sgpr_dispatch_ptr 0
		.amdhsa_user_sgpr_queue_ptr 0
		.amdhsa_user_sgpr_kernarg_segment_ptr 1
		.amdhsa_user_sgpr_dispatch_id 0
		.amdhsa_user_sgpr_flat_scratch_init 0
		.amdhsa_user_sgpr_private_segment_size 0
		.amdhsa_uses_dynamic_stack 0
		.amdhsa_system_sgpr_private_segment_wavefront_offset 0
		.amdhsa_system_sgpr_workgroup_id_x 1
		.amdhsa_system_sgpr_workgroup_id_y 1
		.amdhsa_system_sgpr_workgroup_id_z 1
		.amdhsa_system_sgpr_workgroup_info 0
		.amdhsa_system_vgpr_workitem_id 1
		.amdhsa_next_free_vgpr 54
		.amdhsa_next_free_sgpr 61
		.amdhsa_reserve_vcc 1
		.amdhsa_reserve_flat_scratch 0
		.amdhsa_float_round_mode_32 0
		.amdhsa_float_round_mode_16_64 0
		.amdhsa_float_denorm_mode_32 3
		.amdhsa_float_denorm_mode_16_64 3
		.amdhsa_dx10_clamp 1
		.amdhsa_ieee_mode 1
		.amdhsa_fp16_overflow 0
		.amdhsa_exception_fp_ieee_invalid_op 0
		.amdhsa_exception_fp_denorm_src 0
		.amdhsa_exception_fp_ieee_div_zero 0
		.amdhsa_exception_fp_ieee_overflow 0
		.amdhsa_exception_fp_ieee_underflow 0
		.amdhsa_exception_fp_ieee_inexact 0
		.amdhsa_exception_int_div_zero 0
	.end_amdhsa_kernel
	.section	.text._ZL37rocblas_syrkx_herkx_restricted_kernelIl19rocblas_complex_numIdELi16ELi32ELi8ELi1ELi1ELb1ELc78ELc85EKPKS1_KPS1_EviT_PT9_S7_lS9_S7_lPT10_S7_li,"axG",@progbits,_ZL37rocblas_syrkx_herkx_restricted_kernelIl19rocblas_complex_numIdELi16ELi32ELi8ELi1ELi1ELb1ELc78ELc85EKPKS1_KPS1_EviT_PT9_S7_lS9_S7_lPT10_S7_li,comdat
.Lfunc_end1778:
	.size	_ZL37rocblas_syrkx_herkx_restricted_kernelIl19rocblas_complex_numIdELi16ELi32ELi8ELi1ELi1ELb1ELc78ELc85EKPKS1_KPS1_EviT_PT9_S7_lS9_S7_lPT10_S7_li, .Lfunc_end1778-_ZL37rocblas_syrkx_herkx_restricted_kernelIl19rocblas_complex_numIdELi16ELi32ELi8ELi1ELi1ELb1ELc78ELc85EKPKS1_KPS1_EviT_PT9_S7_lS9_S7_lPT10_S7_li
                                        ; -- End function
	.set _ZL37rocblas_syrkx_herkx_restricted_kernelIl19rocblas_complex_numIdELi16ELi32ELi8ELi1ELi1ELb1ELc78ELc85EKPKS1_KPS1_EviT_PT9_S7_lS9_S7_lPT10_S7_li.num_vgpr, 54
	.set _ZL37rocblas_syrkx_herkx_restricted_kernelIl19rocblas_complex_numIdELi16ELi32ELi8ELi1ELi1ELb1ELc78ELc85EKPKS1_KPS1_EviT_PT9_S7_lS9_S7_lPT10_S7_li.num_agpr, 0
	.set _ZL37rocblas_syrkx_herkx_restricted_kernelIl19rocblas_complex_numIdELi16ELi32ELi8ELi1ELi1ELb1ELc78ELc85EKPKS1_KPS1_EviT_PT9_S7_lS9_S7_lPT10_S7_li.numbered_sgpr, 22
	.set _ZL37rocblas_syrkx_herkx_restricted_kernelIl19rocblas_complex_numIdELi16ELi32ELi8ELi1ELi1ELb1ELc78ELc85EKPKS1_KPS1_EviT_PT9_S7_lS9_S7_lPT10_S7_li.num_named_barrier, 0
	.set _ZL37rocblas_syrkx_herkx_restricted_kernelIl19rocblas_complex_numIdELi16ELi32ELi8ELi1ELi1ELb1ELc78ELc85EKPKS1_KPS1_EviT_PT9_S7_lS9_S7_lPT10_S7_li.private_seg_size, 0
	.set _ZL37rocblas_syrkx_herkx_restricted_kernelIl19rocblas_complex_numIdELi16ELi32ELi8ELi1ELi1ELb1ELc78ELc85EKPKS1_KPS1_EviT_PT9_S7_lS9_S7_lPT10_S7_li.uses_vcc, 1
	.set _ZL37rocblas_syrkx_herkx_restricted_kernelIl19rocblas_complex_numIdELi16ELi32ELi8ELi1ELi1ELb1ELc78ELc85EKPKS1_KPS1_EviT_PT9_S7_lS9_S7_lPT10_S7_li.uses_flat_scratch, 0
	.set _ZL37rocblas_syrkx_herkx_restricted_kernelIl19rocblas_complex_numIdELi16ELi32ELi8ELi1ELi1ELb1ELc78ELc85EKPKS1_KPS1_EviT_PT9_S7_lS9_S7_lPT10_S7_li.has_dyn_sized_stack, 0
	.set _ZL37rocblas_syrkx_herkx_restricted_kernelIl19rocblas_complex_numIdELi16ELi32ELi8ELi1ELi1ELb1ELc78ELc85EKPKS1_KPS1_EviT_PT9_S7_lS9_S7_lPT10_S7_li.has_recursion, 0
	.set _ZL37rocblas_syrkx_herkx_restricted_kernelIl19rocblas_complex_numIdELi16ELi32ELi8ELi1ELi1ELb1ELc78ELc85EKPKS1_KPS1_EviT_PT9_S7_lS9_S7_lPT10_S7_li.has_indirect_call, 0
	.section	.AMDGPU.csdata,"",@progbits
; Kernel info:
; codeLenInByte = 3004
; TotalNumSgprs: 26
; NumVgprs: 54
; ScratchSize: 0
; MemoryBound: 0
; FloatMode: 240
; IeeeMode: 1
; LDSByteSize: 8192 bytes/workgroup (compile time only)
; SGPRBlocks: 8
; VGPRBlocks: 13
; NumSGPRsForWavesPerEU: 65
; NumVGPRsForWavesPerEU: 54
; Occupancy: 4
; WaveLimiterHint : 1
; COMPUTE_PGM_RSRC2:SCRATCH_EN: 0
; COMPUTE_PGM_RSRC2:USER_SGPR: 6
; COMPUTE_PGM_RSRC2:TRAP_HANDLER: 0
; COMPUTE_PGM_RSRC2:TGID_X_EN: 1
; COMPUTE_PGM_RSRC2:TGID_Y_EN: 1
; COMPUTE_PGM_RSRC2:TGID_Z_EN: 1
; COMPUTE_PGM_RSRC2:TIDIG_COMP_CNT: 1
	.section	.text._ZL37rocblas_syrkx_herkx_restricted_kernelIl19rocblas_complex_numIdELi16ELi32ELi8ELi1ELin1ELb1ELc84ELc76EKPKS1_KPS1_EviT_PT9_S7_lS9_S7_lPT10_S7_li,"axG",@progbits,_ZL37rocblas_syrkx_herkx_restricted_kernelIl19rocblas_complex_numIdELi16ELi32ELi8ELi1ELin1ELb1ELc84ELc76EKPKS1_KPS1_EviT_PT9_S7_lS9_S7_lPT10_S7_li,comdat
	.globl	_ZL37rocblas_syrkx_herkx_restricted_kernelIl19rocblas_complex_numIdELi16ELi32ELi8ELi1ELin1ELb1ELc84ELc76EKPKS1_KPS1_EviT_PT9_S7_lS9_S7_lPT10_S7_li ; -- Begin function _ZL37rocblas_syrkx_herkx_restricted_kernelIl19rocblas_complex_numIdELi16ELi32ELi8ELi1ELin1ELb1ELc84ELc76EKPKS1_KPS1_EviT_PT9_S7_lS9_S7_lPT10_S7_li
	.p2align	8
	.type	_ZL37rocblas_syrkx_herkx_restricted_kernelIl19rocblas_complex_numIdELi16ELi32ELi8ELi1ELin1ELb1ELc84ELc76EKPKS1_KPS1_EviT_PT9_S7_lS9_S7_lPT10_S7_li,@function
_ZL37rocblas_syrkx_herkx_restricted_kernelIl19rocblas_complex_numIdELi16ELi32ELi8ELi1ELin1ELb1ELc84ELc76EKPKS1_KPS1_EviT_PT9_S7_lS9_S7_lPT10_S7_li: ; @_ZL37rocblas_syrkx_herkx_restricted_kernelIl19rocblas_complex_numIdELi16ELi32ELi8ELi1ELin1ELb1ELc84ELc76EKPKS1_KPS1_EviT_PT9_S7_lS9_S7_lPT10_S7_li
; %bb.0:
	s_load_dwordx4 s[12:15], s[4:5], 0x40
	s_load_dwordx4 s[0:3], s[4:5], 0x8
	s_mov_b32 s9, 0
	s_lshl_b64 s[10:11], s[8:9], 3
	s_waitcnt lgkmcnt(0)
	s_add_u32 s8, s12, s10
	s_addc_u32 s9, s13, s11
	s_load_dwordx2 s[8:9], s[8:9], 0x0
	v_cmp_lt_i64_e64 s[12:13], s[0:1], 1
	s_lshl_b32 s6, s6, 5
	s_lshl_b32 s7, s7, 5
	s_and_b64 vcc, exec, s[12:13]
	s_cbranch_vccnz .LBB1779_3
; %bb.1:
	s_load_dwordx2 s[12:13], s[4:5], 0x18
	s_load_dwordx4 s[16:19], s[4:5], 0x28
	v_lshl_add_u32 v6, v1, 4, v0
	v_lshrrev_b32_e32 v8, 3, v6
	v_add_u32_e32 v4, s7, v8
	v_ashrrev_i32_e32 v5, 31, v4
	v_and_b32_e32 v2, 7, v0
	v_mov_b32_e32 v3, 0
	s_waitcnt lgkmcnt(0)
	v_mul_lo_u32 v7, s18, v5
	v_mul_lo_u32 v9, s19, v4
	v_mad_u64_u32 v[4:5], s[18:19], s18, v4, v[2:3]
	s_add_u32 s2, s2, s10
	v_lshlrev_b32_e32 v2, 4, v2
	v_add3_u32 v5, v9, v5, v7
	v_and_b32_e32 v9, 31, v6
	s_addc_u32 s3, s3, s11
	v_lshl_or_b32 v2, v8, 7, v2
	v_add_u32_e32 v8, s6, v9
	s_add_u32 s10, s16, s10
	v_lshrrev_b32_e32 v6, 5, v6
	v_mov_b32_e32 v7, v3
	v_lshlrev_b32_e32 v3, 4, v9
	v_add_u32_e32 v23, 0x1000, v2
	v_ashrrev_i32_e32 v2, 31, v8
	s_addc_u32 s11, s17, s11
	v_lshl_or_b32 v22, v6, 9, v3
	v_mul_lo_u32 v9, s12, v2
	v_mad_u64_u32 v[2:3], s[16:17], s12, v8, v[6:7]
	v_mul_lo_u32 v6, s13, v8
	s_load_dwordx2 s[2:3], s[2:3], 0x0
	v_lshlrev_b64 v[4:5], 4, v[4:5]
	s_load_dwordx2 s[10:11], s[10:11], 0x0
	v_add3_u32 v3, v6, v3, v9
	v_lshlrev_b64 v[2:3], 4, v[2:3]
	s_waitcnt lgkmcnt(0)
	v_mov_b32_e32 v6, s3
	v_add_co_u32_e32 v2, vcc, s2, v2
	v_addc_co_u32_e32 v3, vcc, v6, v3, vcc
	v_mov_b32_e32 v7, 0x1000
	v_mov_b32_e32 v6, s11
	v_add_co_u32_e32 v4, vcc, s10, v4
	v_lshl_add_u32 v25, v1, 7, v7
	v_addc_co_u32_e32 v5, vcc, v6, v5, vcc
	v_mov_b32_e32 v10, 0
	v_mov_b32_e32 v12, 0
	;; [unrolled: 1-line block ×8, first 2 shown]
	v_lshlrev_b32_e32 v24, 4, v0
	v_mov_b32_e32 v11, 0
	v_mov_b32_e32 v13, 0
	;; [unrolled: 1-line block ×8, first 2 shown]
	s_mov_b64 s[2:3], 0
.LBB1779_2:                             ; =>This Inner Loop Header: Depth=1
	flat_load_dwordx4 v[26:29], v[2:3]
	s_add_u32 s2, s2, 8
	v_add_co_u32_e32 v2, vcc, 0x80, v2
	s_addc_u32 s3, s3, 0
	v_addc_co_u32_e32 v3, vcc, 0, v3, vcc
	s_waitcnt vmcnt(0) lgkmcnt(0)
	ds_write_b128 v22, v[26:29]
	flat_load_dwordx4 v[26:29], v[4:5]
	v_add_co_u32_e32 v4, vcc, 0x80, v4
	v_addc_co_u32_e32 v5, vcc, 0, v5, vcc
	s_waitcnt vmcnt(0) lgkmcnt(0)
	ds_write_b128 v23, v[26:29]
	s_waitcnt lgkmcnt(0)
	s_barrier
	ds_read_b128 v[26:29], v25
	ds_read_b128 v[30:33], v25 offset:16
	ds_read_b128 v[34:37], v25 offset:32
	;; [unrolled: 1-line block ×3, first 2 shown]
	ds_read_b128 v[42:45], v24
	s_waitcnt lgkmcnt(0)
	v_mul_f64 v[46:47], v[28:29], v[44:45]
	v_mul_f64 v[48:49], v[26:27], v[44:45]
	v_fma_f64 v[46:47], v[26:27], v[42:43], -v[46:47]
	v_fma_f64 v[48:49], v[28:29], v[42:43], v[48:49]
	v_add_f64 v[46:47], v[18:19], v[46:47]
	v_add_f64 v[48:49], v[48:49], v[20:21]
	ds_read_b128 v[18:21], v24 offset:256
	s_waitcnt lgkmcnt(0)
	v_mul_f64 v[50:51], v[28:29], v[20:21]
	v_fma_f64 v[50:51], v[26:27], v[18:19], -v[50:51]
	v_mul_f64 v[26:27], v[26:27], v[20:21]
	v_fma_f64 v[26:27], v[28:29], v[18:19], v[26:27]
	v_add_f64 v[28:29], v[6:7], v[50:51]
	v_add_f64 v[26:27], v[26:27], v[8:9]
	ds_read_b128 v[6:9], v25 offset:2048
	s_waitcnt lgkmcnt(0)
	v_mul_f64 v[50:51], v[8:9], v[44:45]
	v_mul_f64 v[44:45], v[6:7], v[44:45]
	v_fma_f64 v[50:51], v[6:7], v[42:43], -v[50:51]
	v_fma_f64 v[42:43], v[8:9], v[42:43], v[44:45]
	v_add_f64 v[44:45], v[14:15], v[50:51]
	v_mul_f64 v[14:15], v[8:9], v[20:21]
	v_add_f64 v[42:43], v[42:43], v[16:17]
	v_fma_f64 v[14:15], v[6:7], v[18:19], -v[14:15]
	v_mul_f64 v[6:7], v[6:7], v[20:21]
	v_fma_f64 v[6:7], v[8:9], v[18:19], v[6:7]
	v_add_f64 v[18:19], v[12:13], v[14:15]
	v_add_f64 v[20:21], v[6:7], v[10:11]
	ds_read_b128 v[6:9], v24 offset:512
	s_waitcnt lgkmcnt(0)
	v_mul_f64 v[10:11], v[32:33], v[8:9]
	v_mul_f64 v[12:13], v[30:31], v[8:9]
	v_fma_f64 v[10:11], v[30:31], v[6:7], -v[10:11]
	v_fma_f64 v[12:13], v[32:33], v[6:7], v[12:13]
	v_add_f64 v[46:47], v[46:47], v[10:11]
	v_add_f64 v[48:49], v[12:13], v[48:49]
	ds_read_b128 v[10:13], v24 offset:768
	s_waitcnt lgkmcnt(0)
	v_mul_f64 v[14:15], v[32:33], v[12:13]
	v_mul_f64 v[16:17], v[30:31], v[12:13]
	v_fma_f64 v[14:15], v[30:31], v[10:11], -v[14:15]
	;; [unrolled: 8-line block ×3, first 2 shown]
	v_fma_f64 v[6:7], v[16:17], v[6:7], v[8:9]
	v_mul_f64 v[8:9], v[14:15], v[12:13]
	v_add_f64 v[30:31], v[44:45], v[30:31]
	v_add_f64 v[32:33], v[6:7], v[42:43]
	v_mul_f64 v[6:7], v[16:17], v[12:13]
	v_fma_f64 v[8:9], v[16:17], v[10:11], v[8:9]
	v_fma_f64 v[6:7], v[14:15], v[10:11], -v[6:7]
	v_add_f64 v[20:21], v[8:9], v[20:21]
	v_add_f64 v[18:19], v[18:19], v[6:7]
	ds_read_b128 v[6:9], v24 offset:1024
	s_waitcnt lgkmcnt(0)
	v_mul_f64 v[10:11], v[36:37], v[8:9]
	v_mul_f64 v[12:13], v[34:35], v[8:9]
	v_fma_f64 v[10:11], v[34:35], v[6:7], -v[10:11]
	v_fma_f64 v[12:13], v[36:37], v[6:7], v[12:13]
	v_add_f64 v[42:43], v[46:47], v[10:11]
	v_add_f64 v[44:45], v[12:13], v[48:49]
	ds_read_b128 v[10:13], v24 offset:1280
	s_waitcnt lgkmcnt(0)
	v_mul_f64 v[14:15], v[36:37], v[12:13]
	v_mul_f64 v[16:17], v[34:35], v[12:13]
	v_fma_f64 v[14:15], v[34:35], v[10:11], -v[14:15]
	v_fma_f64 v[16:17], v[36:37], v[10:11], v[16:17]
	;; [unrolled: 8-line block ×3, first 2 shown]
	v_mul_f64 v[8:9], v[14:15], v[12:13]
	v_add_f64 v[30:31], v[30:31], v[34:35]
	v_add_f64 v[32:33], v[6:7], v[32:33]
	v_mul_f64 v[6:7], v[16:17], v[12:13]
	v_fma_f64 v[8:9], v[16:17], v[10:11], v[8:9]
	v_fma_f64 v[6:7], v[14:15], v[10:11], -v[6:7]
	v_add_f64 v[20:21], v[8:9], v[20:21]
	v_add_f64 v[18:19], v[18:19], v[6:7]
	ds_read_b128 v[6:9], v24 offset:1536
	s_waitcnt lgkmcnt(0)
	v_mul_f64 v[10:11], v[40:41], v[8:9]
	v_mul_f64 v[12:13], v[38:39], v[8:9]
	v_fma_f64 v[10:11], v[38:39], v[6:7], -v[10:11]
	v_fma_f64 v[12:13], v[40:41], v[6:7], v[12:13]
	v_add_f64 v[34:35], v[42:43], v[10:11]
	v_add_f64 v[36:37], v[12:13], v[44:45]
	ds_read_b128 v[10:13], v24 offset:1792
	s_waitcnt lgkmcnt(0)
	v_mul_f64 v[14:15], v[40:41], v[12:13]
	v_mul_f64 v[16:17], v[38:39], v[12:13]
	v_fma_f64 v[14:15], v[38:39], v[10:11], -v[14:15]
	v_fma_f64 v[16:17], v[40:41], v[10:11], v[16:17]
	;; [unrolled: 8-line block ×3, first 2 shown]
	v_mul_f64 v[8:9], v[14:15], v[12:13]
	v_add_f64 v[30:31], v[30:31], v[38:39]
	v_add_f64 v[32:33], v[6:7], v[32:33]
	v_mul_f64 v[6:7], v[16:17], v[12:13]
	v_fma_f64 v[8:9], v[16:17], v[10:11], v[8:9]
	v_fma_f64 v[6:7], v[14:15], v[10:11], -v[6:7]
	v_add_f64 v[20:21], v[8:9], v[20:21]
	v_add_f64 v[18:19], v[18:19], v[6:7]
	ds_read_b128 v[6:9], v25 offset:64
	ds_read_b128 v[10:13], v24 offset:2048
	s_waitcnt lgkmcnt(0)
	v_mul_f64 v[14:15], v[8:9], v[12:13]
	v_mul_f64 v[16:17], v[6:7], v[12:13]
	v_fma_f64 v[14:15], v[6:7], v[10:11], -v[14:15]
	v_fma_f64 v[16:17], v[8:9], v[10:11], v[16:17]
	v_add_f64 v[34:35], v[34:35], v[14:15]
	v_add_f64 v[36:37], v[16:17], v[36:37]
	ds_read_b128 v[14:17], v24 offset:2304
	s_waitcnt lgkmcnt(0)
	v_mul_f64 v[38:39], v[8:9], v[16:17]
	v_fma_f64 v[38:39], v[6:7], v[14:15], -v[38:39]
	v_mul_f64 v[6:7], v[6:7], v[16:17]
	v_add_f64 v[28:29], v[28:29], v[38:39]
	v_fma_f64 v[6:7], v[8:9], v[14:15], v[6:7]
	v_add_f64 v[26:27], v[6:7], v[26:27]
	ds_read_b128 v[6:9], v25 offset:2112
	s_waitcnt lgkmcnt(0)
	v_mul_f64 v[38:39], v[8:9], v[12:13]
	v_mul_f64 v[12:13], v[6:7], v[12:13]
	v_fma_f64 v[38:39], v[6:7], v[10:11], -v[38:39]
	v_fma_f64 v[10:11], v[8:9], v[10:11], v[12:13]
	v_add_f64 v[30:31], v[30:31], v[38:39]
	v_add_f64 v[32:33], v[10:11], v[32:33]
	v_mul_f64 v[10:11], v[8:9], v[16:17]
	v_fma_f64 v[10:11], v[6:7], v[14:15], -v[10:11]
	v_mul_f64 v[6:7], v[6:7], v[16:17]
	v_add_f64 v[18:19], v[18:19], v[10:11]
	v_fma_f64 v[6:7], v[8:9], v[14:15], v[6:7]
	v_add_f64 v[20:21], v[6:7], v[20:21]
	ds_read_b128 v[6:9], v25 offset:80
	ds_read_b128 v[10:13], v24 offset:2560
	s_waitcnt lgkmcnt(0)
	v_mul_f64 v[14:15], v[8:9], v[12:13]
	v_mul_f64 v[16:17], v[6:7], v[12:13]
	v_fma_f64 v[14:15], v[6:7], v[10:11], -v[14:15]
	v_fma_f64 v[16:17], v[8:9], v[10:11], v[16:17]
	v_add_f64 v[34:35], v[34:35], v[14:15]
	v_add_f64 v[36:37], v[16:17], v[36:37]
	ds_read_b128 v[14:17], v24 offset:2816
	s_waitcnt lgkmcnt(0)
	v_mul_f64 v[38:39], v[8:9], v[16:17]
	v_fma_f64 v[38:39], v[6:7], v[14:15], -v[38:39]
	v_mul_f64 v[6:7], v[6:7], v[16:17]
	v_add_f64 v[28:29], v[28:29], v[38:39]
	v_fma_f64 v[6:7], v[8:9], v[14:15], v[6:7]
	v_add_f64 v[26:27], v[6:7], v[26:27]
	ds_read_b128 v[6:9], v25 offset:2128
	s_waitcnt lgkmcnt(0)
	v_mul_f64 v[38:39], v[8:9], v[12:13]
	v_mul_f64 v[12:13], v[6:7], v[12:13]
	v_fma_f64 v[38:39], v[6:7], v[10:11], -v[38:39]
	v_fma_f64 v[10:11], v[8:9], v[10:11], v[12:13]
	v_add_f64 v[30:31], v[30:31], v[38:39]
	v_add_f64 v[32:33], v[10:11], v[32:33]
	v_mul_f64 v[10:11], v[8:9], v[16:17]
	v_fma_f64 v[10:11], v[6:7], v[14:15], -v[10:11]
	v_mul_f64 v[6:7], v[6:7], v[16:17]
	v_add_f64 v[18:19], v[18:19], v[10:11]
	v_fma_f64 v[6:7], v[8:9], v[14:15], v[6:7]
	;; [unrolled: 31-line block ×3, first 2 shown]
	v_add_f64 v[48:49], v[6:7], v[20:21]
	ds_read_b128 v[6:9], v25 offset:112
	ds_read_b128 v[10:13], v24 offset:3584
	;; [unrolled: 1-line block ×4, first 2 shown]
	s_waitcnt lgkmcnt(0)
	s_barrier
	v_mul_f64 v[14:15], v[8:9], v[12:13]
	v_mul_f64 v[16:17], v[6:7], v[12:13]
	v_fma_f64 v[14:15], v[6:7], v[10:11], -v[14:15]
	v_fma_f64 v[16:17], v[8:9], v[10:11], v[16:17]
	v_add_f64 v[18:19], v[34:35], v[14:15]
	v_mul_f64 v[14:15], v[8:9], v[28:29]
	v_add_f64 v[20:21], v[16:17], v[36:37]
	v_fma_f64 v[14:15], v[6:7], v[26:27], -v[14:15]
	v_mul_f64 v[6:7], v[6:7], v[28:29]
	v_fma_f64 v[8:9], v[8:9], v[26:27], v[6:7]
	v_add_f64 v[6:7], v[38:39], v[14:15]
	v_mul_f64 v[14:15], v[32:33], v[12:13]
	v_mul_f64 v[12:13], v[30:31], v[12:13]
	v_add_f64 v[8:9], v[8:9], v[40:41]
	v_fma_f64 v[14:15], v[30:31], v[10:11], -v[14:15]
	v_fma_f64 v[10:11], v[32:33], v[10:11], v[12:13]
	v_mul_f64 v[12:13], v[30:31], v[28:29]
	v_add_f64 v[14:15], v[42:43], v[14:15]
	v_add_f64 v[16:17], v[10:11], v[44:45]
	v_mul_f64 v[10:11], v[32:33], v[28:29]
	v_fma_f64 v[10:11], v[30:31], v[26:27], -v[10:11]
	v_fma_f64 v[26:27], v[32:33], v[26:27], v[12:13]
	v_add_f64 v[12:13], v[46:47], v[10:11]
	v_add_f64 v[10:11], v[26:27], v[48:49]
	v_mov_b32_e32 v27, s3
	v_mov_b32_e32 v26, s2
	v_cmp_le_u64_e32 vcc, s[0:1], v[26:27]
	s_cbranch_vccz .LBB1779_2
	s_branch .LBB1779_4
.LBB1779_3:
	v_mov_b32_e32 v18, 0
	v_mov_b32_e32 v20, 0
	;; [unrolled: 1-line block ×16, first 2 shown]
.LBB1779_4:
	v_add_u32_e32 v4, s7, v1
	v_ashrrev_i32_e32 v1, 31, v4
	v_mul_lo_u32 v3, s14, v1
	v_mul_lo_u32 v5, s15, v4
	v_mad_u64_u32 v[1:2], s[0:1], s14, v4, 0
	s_load_dword s4, s[4:5], 0x0
	v_add_u32_e32 v0, s6, v0
	v_add3_u32 v2, v2, v3, v5
	v_lshlrev_b64 v[1:2], 4, v[1:2]
	s_waitcnt lgkmcnt(0)
	v_mov_b32_e32 v3, s9
	v_add_co_u32_e32 v5, vcc, s8, v1
	v_addc_co_u32_e32 v22, vcc, v3, v2, vcc
	v_cmp_le_i32_e64 s[0:1], v4, v0
	v_cmp_gt_i32_e32 vcc, s4, v0
	s_and_b64 s[0:1], s[0:1], vcc
	s_and_saveexec_b64 s[2:3], s[0:1]
	s_cbranch_execz .LBB1779_6
; %bb.5:
	v_ashrrev_i32_e32 v1, 31, v0
	v_lshlrev_b64 v[1:2], 4, v[0:1]
	v_add_co_u32_e64 v1, s[0:1], v5, v1
	v_addc_co_u32_e64 v2, s[0:1], v22, v2, s[0:1]
	flat_load_dwordx4 v[23:26], v[1:2]
	v_cmp_ne_u32_e64 s[0:1], v4, v0
	s_waitcnt vmcnt(0) lgkmcnt(0)
	v_add_f64 v[20:21], v[20:21], -v[25:26]
	v_add_f64 v[18:19], v[18:19], -v[23:24]
	v_cndmask_b32_e64 v21, 0, v21, s[0:1]
	v_cndmask_b32_e64 v20, 0, v20, s[0:1]
	flat_store_dwordx4 v[1:2], v[18:21]
.LBB1779_6:
	s_or_b64 exec, exec, s[2:3]
	v_add_u32_e32 v2, 16, v0
	v_cmp_le_i32_e64 s[2:3], v4, v2
	v_cmp_gt_i32_e64 s[0:1], s4, v2
	s_and_b64 s[2:3], s[2:3], s[0:1]
	s_and_saveexec_b64 s[4:5], s[2:3]
	s_cbranch_execz .LBB1779_8
; %bb.7:
	v_ashrrev_i32_e32 v3, 31, v2
	v_lshlrev_b64 v[18:19], 4, v[2:3]
	v_add_co_u32_e64 v23, s[2:3], v5, v18
	v_addc_co_u32_e64 v24, s[2:3], v22, v19, s[2:3]
	flat_load_dwordx4 v[18:21], v[23:24]
	v_cmp_ne_u32_e64 s[2:3], v4, v2
	s_waitcnt vmcnt(0) lgkmcnt(0)
	v_add_f64 v[20:21], v[8:9], -v[20:21]
	v_add_f64 v[5:6], v[6:7], -v[18:19]
	v_cndmask_b32_e64 v8, 0, v21, s[2:3]
	v_cndmask_b32_e64 v7, 0, v20, s[2:3]
	flat_store_dwordx4 v[23:24], v[5:8]
.LBB1779_8:
	s_or_b64 exec, exec, s[4:5]
	v_add_u32_e32 v3, 16, v4
	v_ashrrev_i32_e32 v1, 31, v3
	v_mul_lo_u32 v7, s15, v3
	v_mad_u64_u32 v[5:6], s[2:3], s14, v3, 0
	v_mul_lo_u32 v1, s14, v1
	v_add3_u32 v6, v6, v1, v7
	v_lshlrev_b64 v[5:6], 4, v[5:6]
	v_mov_b32_e32 v1, s9
	v_add_co_u32_e64 v5, s[2:3], s8, v5
	v_addc_co_u32_e64 v6, s[2:3], v1, v6, s[2:3]
	v_cmp_le_i32_e64 s[2:3], v3, v0
	s_and_b64 s[4:5], s[2:3], vcc
	s_and_saveexec_b64 s[2:3], s[4:5]
	s_cbranch_execz .LBB1779_10
; %bb.9:
	v_ashrrev_i32_e32 v1, 31, v0
	v_lshlrev_b64 v[7:8], 4, v[0:1]
	v_add_co_u32_e32 v7, vcc, v5, v7
	v_addc_co_u32_e32 v8, vcc, v6, v8, vcc
	flat_load_dwordx4 v[18:21], v[7:8]
	v_cmp_ne_u32_e32 vcc, v3, v0
	s_waitcnt vmcnt(0) lgkmcnt(0)
	v_add_f64 v[16:17], v[16:17], -v[20:21]
	v_add_f64 v[14:15], v[14:15], -v[18:19]
	v_cndmask_b32_e32 v17, 0, v17, vcc
	v_cndmask_b32_e32 v16, 0, v16, vcc
	flat_store_dwordx4 v[7:8], v[14:17]
.LBB1779_10:
	s_or_b64 exec, exec, s[2:3]
	v_cmp_le_i32_e32 vcc, v3, v2
	s_and_b64 s[0:1], vcc, s[0:1]
	s_and_saveexec_b64 s[2:3], s[0:1]
	s_cbranch_execz .LBB1779_12
; %bb.11:
	v_ashrrev_i32_e32 v3, 31, v2
	v_lshlrev_b64 v[1:2], 4, v[2:3]
	v_add_co_u32_e32 v14, vcc, v5, v1
	v_addc_co_u32_e32 v15, vcc, v6, v2, vcc
	flat_load_dwordx4 v[5:8], v[14:15]
	v_cmp_ne_u32_e32 vcc, v4, v0
	s_waitcnt vmcnt(0) lgkmcnt(0)
	v_add_f64 v[7:8], v[10:11], -v[7:8]
	v_add_f64 v[1:2], v[12:13], -v[5:6]
	v_cndmask_b32_e32 v4, 0, v8, vcc
	v_cndmask_b32_e32 v3, 0, v7, vcc
	flat_store_dwordx4 v[14:15], v[1:4]
.LBB1779_12:
	s_endpgm
	.section	.rodata,"a",@progbits
	.p2align	6, 0x0
	.amdhsa_kernel _ZL37rocblas_syrkx_herkx_restricted_kernelIl19rocblas_complex_numIdELi16ELi32ELi8ELi1ELin1ELb1ELc84ELc76EKPKS1_KPS1_EviT_PT9_S7_lS9_S7_lPT10_S7_li
		.amdhsa_group_segment_fixed_size 8192
		.amdhsa_private_segment_fixed_size 0
		.amdhsa_kernarg_size 92
		.amdhsa_user_sgpr_count 6
		.amdhsa_user_sgpr_private_segment_buffer 1
		.amdhsa_user_sgpr_dispatch_ptr 0
		.amdhsa_user_sgpr_queue_ptr 0
		.amdhsa_user_sgpr_kernarg_segment_ptr 1
		.amdhsa_user_sgpr_dispatch_id 0
		.amdhsa_user_sgpr_flat_scratch_init 0
		.amdhsa_user_sgpr_private_segment_size 0
		.amdhsa_uses_dynamic_stack 0
		.amdhsa_system_sgpr_private_segment_wavefront_offset 0
		.amdhsa_system_sgpr_workgroup_id_x 1
		.amdhsa_system_sgpr_workgroup_id_y 1
		.amdhsa_system_sgpr_workgroup_id_z 1
		.amdhsa_system_sgpr_workgroup_info 0
		.amdhsa_system_vgpr_workitem_id 1
		.amdhsa_next_free_vgpr 52
		.amdhsa_next_free_sgpr 61
		.amdhsa_reserve_vcc 1
		.amdhsa_reserve_flat_scratch 0
		.amdhsa_float_round_mode_32 0
		.amdhsa_float_round_mode_16_64 0
		.amdhsa_float_denorm_mode_32 3
		.amdhsa_float_denorm_mode_16_64 3
		.amdhsa_dx10_clamp 1
		.amdhsa_ieee_mode 1
		.amdhsa_fp16_overflow 0
		.amdhsa_exception_fp_ieee_invalid_op 0
		.amdhsa_exception_fp_denorm_src 0
		.amdhsa_exception_fp_ieee_div_zero 0
		.amdhsa_exception_fp_ieee_overflow 0
		.amdhsa_exception_fp_ieee_underflow 0
		.amdhsa_exception_fp_ieee_inexact 0
		.amdhsa_exception_int_div_zero 0
	.end_amdhsa_kernel
	.section	.text._ZL37rocblas_syrkx_herkx_restricted_kernelIl19rocblas_complex_numIdELi16ELi32ELi8ELi1ELin1ELb1ELc84ELc76EKPKS1_KPS1_EviT_PT9_S7_lS9_S7_lPT10_S7_li,"axG",@progbits,_ZL37rocblas_syrkx_herkx_restricted_kernelIl19rocblas_complex_numIdELi16ELi32ELi8ELi1ELin1ELb1ELc84ELc76EKPKS1_KPS1_EviT_PT9_S7_lS9_S7_lPT10_S7_li,comdat
.Lfunc_end1779:
	.size	_ZL37rocblas_syrkx_herkx_restricted_kernelIl19rocblas_complex_numIdELi16ELi32ELi8ELi1ELin1ELb1ELc84ELc76EKPKS1_KPS1_EviT_PT9_S7_lS9_S7_lPT10_S7_li, .Lfunc_end1779-_ZL37rocblas_syrkx_herkx_restricted_kernelIl19rocblas_complex_numIdELi16ELi32ELi8ELi1ELin1ELb1ELc84ELc76EKPKS1_KPS1_EviT_PT9_S7_lS9_S7_lPT10_S7_li
                                        ; -- End function
	.set _ZL37rocblas_syrkx_herkx_restricted_kernelIl19rocblas_complex_numIdELi16ELi32ELi8ELi1ELin1ELb1ELc84ELc76EKPKS1_KPS1_EviT_PT9_S7_lS9_S7_lPT10_S7_li.num_vgpr, 52
	.set _ZL37rocblas_syrkx_herkx_restricted_kernelIl19rocblas_complex_numIdELi16ELi32ELi8ELi1ELin1ELb1ELc84ELc76EKPKS1_KPS1_EviT_PT9_S7_lS9_S7_lPT10_S7_li.num_agpr, 0
	.set _ZL37rocblas_syrkx_herkx_restricted_kernelIl19rocblas_complex_numIdELi16ELi32ELi8ELi1ELin1ELb1ELc84ELc76EKPKS1_KPS1_EviT_PT9_S7_lS9_S7_lPT10_S7_li.numbered_sgpr, 20
	.set _ZL37rocblas_syrkx_herkx_restricted_kernelIl19rocblas_complex_numIdELi16ELi32ELi8ELi1ELin1ELb1ELc84ELc76EKPKS1_KPS1_EviT_PT9_S7_lS9_S7_lPT10_S7_li.num_named_barrier, 0
	.set _ZL37rocblas_syrkx_herkx_restricted_kernelIl19rocblas_complex_numIdELi16ELi32ELi8ELi1ELin1ELb1ELc84ELc76EKPKS1_KPS1_EviT_PT9_S7_lS9_S7_lPT10_S7_li.private_seg_size, 0
	.set _ZL37rocblas_syrkx_herkx_restricted_kernelIl19rocblas_complex_numIdELi16ELi32ELi8ELi1ELin1ELb1ELc84ELc76EKPKS1_KPS1_EviT_PT9_S7_lS9_S7_lPT10_S7_li.uses_vcc, 1
	.set _ZL37rocblas_syrkx_herkx_restricted_kernelIl19rocblas_complex_numIdELi16ELi32ELi8ELi1ELin1ELb1ELc84ELc76EKPKS1_KPS1_EviT_PT9_S7_lS9_S7_lPT10_S7_li.uses_flat_scratch, 0
	.set _ZL37rocblas_syrkx_herkx_restricted_kernelIl19rocblas_complex_numIdELi16ELi32ELi8ELi1ELin1ELb1ELc84ELc76EKPKS1_KPS1_EviT_PT9_S7_lS9_S7_lPT10_S7_li.has_dyn_sized_stack, 0
	.set _ZL37rocblas_syrkx_herkx_restricted_kernelIl19rocblas_complex_numIdELi16ELi32ELi8ELi1ELin1ELb1ELc84ELc76EKPKS1_KPS1_EviT_PT9_S7_lS9_S7_lPT10_S7_li.has_recursion, 0
	.set _ZL37rocblas_syrkx_herkx_restricted_kernelIl19rocblas_complex_numIdELi16ELi32ELi8ELi1ELin1ELb1ELc84ELc76EKPKS1_KPS1_EviT_PT9_S7_lS9_S7_lPT10_S7_li.has_indirect_call, 0
	.section	.AMDGPU.csdata,"",@progbits
; Kernel info:
; codeLenInByte = 3008
; TotalNumSgprs: 24
; NumVgprs: 52
; ScratchSize: 0
; MemoryBound: 0
; FloatMode: 240
; IeeeMode: 1
; LDSByteSize: 8192 bytes/workgroup (compile time only)
; SGPRBlocks: 8
; VGPRBlocks: 12
; NumSGPRsForWavesPerEU: 65
; NumVGPRsForWavesPerEU: 52
; Occupancy: 4
; WaveLimiterHint : 1
; COMPUTE_PGM_RSRC2:SCRATCH_EN: 0
; COMPUTE_PGM_RSRC2:USER_SGPR: 6
; COMPUTE_PGM_RSRC2:TRAP_HANDLER: 0
; COMPUTE_PGM_RSRC2:TGID_X_EN: 1
; COMPUTE_PGM_RSRC2:TGID_Y_EN: 1
; COMPUTE_PGM_RSRC2:TGID_Z_EN: 1
; COMPUTE_PGM_RSRC2:TIDIG_COMP_CNT: 1
	.section	.text._ZL37rocblas_syrkx_herkx_restricted_kernelIl19rocblas_complex_numIdELi16ELi32ELi8ELi1ELin1ELb1ELc67ELc76EKPKS1_KPS1_EviT_PT9_S7_lS9_S7_lPT10_S7_li,"axG",@progbits,_ZL37rocblas_syrkx_herkx_restricted_kernelIl19rocblas_complex_numIdELi16ELi32ELi8ELi1ELin1ELb1ELc67ELc76EKPKS1_KPS1_EviT_PT9_S7_lS9_S7_lPT10_S7_li,comdat
	.globl	_ZL37rocblas_syrkx_herkx_restricted_kernelIl19rocblas_complex_numIdELi16ELi32ELi8ELi1ELin1ELb1ELc67ELc76EKPKS1_KPS1_EviT_PT9_S7_lS9_S7_lPT10_S7_li ; -- Begin function _ZL37rocblas_syrkx_herkx_restricted_kernelIl19rocblas_complex_numIdELi16ELi32ELi8ELi1ELin1ELb1ELc67ELc76EKPKS1_KPS1_EviT_PT9_S7_lS9_S7_lPT10_S7_li
	.p2align	8
	.type	_ZL37rocblas_syrkx_herkx_restricted_kernelIl19rocblas_complex_numIdELi16ELi32ELi8ELi1ELin1ELb1ELc67ELc76EKPKS1_KPS1_EviT_PT9_S7_lS9_S7_lPT10_S7_li,@function
_ZL37rocblas_syrkx_herkx_restricted_kernelIl19rocblas_complex_numIdELi16ELi32ELi8ELi1ELin1ELb1ELc67ELc76EKPKS1_KPS1_EviT_PT9_S7_lS9_S7_lPT10_S7_li: ; @_ZL37rocblas_syrkx_herkx_restricted_kernelIl19rocblas_complex_numIdELi16ELi32ELi8ELi1ELin1ELb1ELc67ELc76EKPKS1_KPS1_EviT_PT9_S7_lS9_S7_lPT10_S7_li
; %bb.0:
	s_load_dwordx4 s[12:15], s[4:5], 0x40
	s_load_dwordx4 s[0:3], s[4:5], 0x8
	s_mov_b32 s9, 0
	s_lshl_b64 s[10:11], s[8:9], 3
	s_waitcnt lgkmcnt(0)
	s_add_u32 s8, s12, s10
	s_addc_u32 s9, s13, s11
	s_load_dwordx2 s[8:9], s[8:9], 0x0
	v_cmp_lt_i64_e64 s[12:13], s[0:1], 1
	s_lshl_b32 s6, s6, 5
	s_lshl_b32 s7, s7, 5
	s_and_b64 vcc, exec, s[12:13]
	s_cbranch_vccnz .LBB1780_3
; %bb.1:
	s_load_dwordx2 s[12:13], s[4:5], 0x18
	s_load_dwordx4 s[16:19], s[4:5], 0x28
	v_lshl_add_u32 v6, v1, 4, v0
	v_lshrrev_b32_e32 v8, 3, v6
	v_add_u32_e32 v4, s7, v8
	v_ashrrev_i32_e32 v5, 31, v4
	v_and_b32_e32 v2, 7, v0
	v_mov_b32_e32 v3, 0
	s_waitcnt lgkmcnt(0)
	v_mul_lo_u32 v7, s18, v5
	v_mul_lo_u32 v9, s19, v4
	v_mad_u64_u32 v[4:5], s[18:19], s18, v4, v[2:3]
	s_add_u32 s2, s2, s10
	v_lshlrev_b32_e32 v2, 4, v2
	v_add3_u32 v5, v9, v5, v7
	v_and_b32_e32 v9, 31, v6
	s_addc_u32 s3, s3, s11
	v_lshl_or_b32 v2, v8, 7, v2
	v_add_u32_e32 v8, s6, v9
	s_add_u32 s10, s16, s10
	v_lshrrev_b32_e32 v6, 5, v6
	v_mov_b32_e32 v7, v3
	v_lshlrev_b32_e32 v3, 4, v9
	v_add_u32_e32 v23, 0x1000, v2
	v_ashrrev_i32_e32 v2, 31, v8
	s_addc_u32 s11, s17, s11
	v_lshl_or_b32 v22, v6, 9, v3
	v_mul_lo_u32 v9, s12, v2
	v_mad_u64_u32 v[2:3], s[16:17], s12, v8, v[6:7]
	v_mul_lo_u32 v6, s13, v8
	s_load_dwordx2 s[2:3], s[2:3], 0x0
	v_lshlrev_b64 v[4:5], 4, v[4:5]
	s_load_dwordx2 s[10:11], s[10:11], 0x0
	v_add3_u32 v3, v6, v3, v9
	v_lshlrev_b64 v[2:3], 4, v[2:3]
	s_waitcnt lgkmcnt(0)
	v_mov_b32_e32 v6, s3
	v_add_co_u32_e32 v2, vcc, s2, v2
	v_addc_co_u32_e32 v3, vcc, v6, v3, vcc
	v_mov_b32_e32 v7, 0x1000
	v_mov_b32_e32 v6, s11
	v_add_co_u32_e32 v4, vcc, s10, v4
	v_lshl_add_u32 v25, v1, 7, v7
	v_addc_co_u32_e32 v5, vcc, v6, v5, vcc
	v_mov_b32_e32 v10, 0
	v_mov_b32_e32 v12, 0
	;; [unrolled: 1-line block ×8, first 2 shown]
	v_lshlrev_b32_e32 v24, 4, v0
	v_mov_b32_e32 v11, 0
	v_mov_b32_e32 v13, 0
	;; [unrolled: 1-line block ×8, first 2 shown]
	s_mov_b64 s[2:3], 0
.LBB1780_2:                             ; =>This Inner Loop Header: Depth=1
	flat_load_dwordx4 v[26:29], v[2:3]
	s_add_u32 s2, s2, 8
	v_add_co_u32_e32 v2, vcc, 0x80, v2
	s_addc_u32 s3, s3, 0
	v_addc_co_u32_e32 v3, vcc, 0, v3, vcc
	s_waitcnt vmcnt(0) lgkmcnt(0)
	v_xor_b32_e32 v29, 0x80000000, v29
	ds_write_b128 v22, v[26:29]
	flat_load_dwordx4 v[26:29], v[4:5]
	v_add_co_u32_e32 v4, vcc, 0x80, v4
	v_addc_co_u32_e32 v5, vcc, 0, v5, vcc
	s_waitcnt vmcnt(0) lgkmcnt(0)
	ds_write_b128 v23, v[26:29]
	s_waitcnt lgkmcnt(0)
	s_barrier
	ds_read_b128 v[26:29], v25
	ds_read_b128 v[30:33], v25 offset:16
	ds_read_b128 v[34:37], v25 offset:32
	;; [unrolled: 1-line block ×3, first 2 shown]
	ds_read_b128 v[42:45], v24
	s_waitcnt lgkmcnt(0)
	v_mul_f64 v[46:47], v[28:29], v[44:45]
	v_mul_f64 v[48:49], v[26:27], v[44:45]
	v_fma_f64 v[46:47], v[26:27], v[42:43], -v[46:47]
	v_fma_f64 v[48:49], v[28:29], v[42:43], v[48:49]
	v_add_f64 v[46:47], v[18:19], v[46:47]
	v_add_f64 v[48:49], v[48:49], v[20:21]
	ds_read_b128 v[18:21], v24 offset:256
	s_waitcnt lgkmcnt(0)
	v_mul_f64 v[50:51], v[28:29], v[20:21]
	v_fma_f64 v[50:51], v[26:27], v[18:19], -v[50:51]
	v_mul_f64 v[26:27], v[26:27], v[20:21]
	v_fma_f64 v[26:27], v[28:29], v[18:19], v[26:27]
	v_add_f64 v[28:29], v[6:7], v[50:51]
	v_add_f64 v[26:27], v[26:27], v[8:9]
	ds_read_b128 v[6:9], v25 offset:2048
	s_waitcnt lgkmcnt(0)
	v_mul_f64 v[50:51], v[8:9], v[44:45]
	v_mul_f64 v[44:45], v[6:7], v[44:45]
	v_fma_f64 v[50:51], v[6:7], v[42:43], -v[50:51]
	v_fma_f64 v[42:43], v[8:9], v[42:43], v[44:45]
	v_add_f64 v[44:45], v[14:15], v[50:51]
	v_mul_f64 v[14:15], v[8:9], v[20:21]
	v_add_f64 v[42:43], v[42:43], v[16:17]
	v_fma_f64 v[14:15], v[6:7], v[18:19], -v[14:15]
	v_mul_f64 v[6:7], v[6:7], v[20:21]
	v_fma_f64 v[6:7], v[8:9], v[18:19], v[6:7]
	v_add_f64 v[18:19], v[12:13], v[14:15]
	v_add_f64 v[20:21], v[6:7], v[10:11]
	ds_read_b128 v[6:9], v24 offset:512
	s_waitcnt lgkmcnt(0)
	v_mul_f64 v[10:11], v[32:33], v[8:9]
	v_mul_f64 v[12:13], v[30:31], v[8:9]
	v_fma_f64 v[10:11], v[30:31], v[6:7], -v[10:11]
	v_fma_f64 v[12:13], v[32:33], v[6:7], v[12:13]
	v_add_f64 v[46:47], v[46:47], v[10:11]
	v_add_f64 v[48:49], v[12:13], v[48:49]
	ds_read_b128 v[10:13], v24 offset:768
	s_waitcnt lgkmcnt(0)
	v_mul_f64 v[14:15], v[32:33], v[12:13]
	v_mul_f64 v[16:17], v[30:31], v[12:13]
	v_fma_f64 v[14:15], v[30:31], v[10:11], -v[14:15]
	;; [unrolled: 8-line block ×3, first 2 shown]
	v_fma_f64 v[6:7], v[16:17], v[6:7], v[8:9]
	v_mul_f64 v[8:9], v[14:15], v[12:13]
	v_add_f64 v[30:31], v[44:45], v[30:31]
	v_add_f64 v[32:33], v[6:7], v[42:43]
	v_mul_f64 v[6:7], v[16:17], v[12:13]
	v_fma_f64 v[8:9], v[16:17], v[10:11], v[8:9]
	v_fma_f64 v[6:7], v[14:15], v[10:11], -v[6:7]
	v_add_f64 v[20:21], v[8:9], v[20:21]
	v_add_f64 v[18:19], v[18:19], v[6:7]
	ds_read_b128 v[6:9], v24 offset:1024
	s_waitcnt lgkmcnt(0)
	v_mul_f64 v[10:11], v[36:37], v[8:9]
	v_mul_f64 v[12:13], v[34:35], v[8:9]
	v_fma_f64 v[10:11], v[34:35], v[6:7], -v[10:11]
	v_fma_f64 v[12:13], v[36:37], v[6:7], v[12:13]
	v_add_f64 v[42:43], v[46:47], v[10:11]
	v_add_f64 v[44:45], v[12:13], v[48:49]
	ds_read_b128 v[10:13], v24 offset:1280
	s_waitcnt lgkmcnt(0)
	v_mul_f64 v[14:15], v[36:37], v[12:13]
	v_mul_f64 v[16:17], v[34:35], v[12:13]
	v_fma_f64 v[14:15], v[34:35], v[10:11], -v[14:15]
	v_fma_f64 v[16:17], v[36:37], v[10:11], v[16:17]
	;; [unrolled: 8-line block ×3, first 2 shown]
	v_mul_f64 v[8:9], v[14:15], v[12:13]
	v_add_f64 v[30:31], v[30:31], v[34:35]
	v_add_f64 v[32:33], v[6:7], v[32:33]
	v_mul_f64 v[6:7], v[16:17], v[12:13]
	v_fma_f64 v[8:9], v[16:17], v[10:11], v[8:9]
	v_fma_f64 v[6:7], v[14:15], v[10:11], -v[6:7]
	v_add_f64 v[20:21], v[8:9], v[20:21]
	v_add_f64 v[18:19], v[18:19], v[6:7]
	ds_read_b128 v[6:9], v24 offset:1536
	s_waitcnt lgkmcnt(0)
	v_mul_f64 v[10:11], v[40:41], v[8:9]
	v_mul_f64 v[12:13], v[38:39], v[8:9]
	v_fma_f64 v[10:11], v[38:39], v[6:7], -v[10:11]
	v_fma_f64 v[12:13], v[40:41], v[6:7], v[12:13]
	v_add_f64 v[34:35], v[42:43], v[10:11]
	v_add_f64 v[36:37], v[12:13], v[44:45]
	ds_read_b128 v[10:13], v24 offset:1792
	s_waitcnt lgkmcnt(0)
	v_mul_f64 v[14:15], v[40:41], v[12:13]
	v_mul_f64 v[16:17], v[38:39], v[12:13]
	v_fma_f64 v[14:15], v[38:39], v[10:11], -v[14:15]
	v_fma_f64 v[16:17], v[40:41], v[10:11], v[16:17]
	;; [unrolled: 8-line block ×3, first 2 shown]
	v_mul_f64 v[8:9], v[14:15], v[12:13]
	v_add_f64 v[30:31], v[30:31], v[38:39]
	v_add_f64 v[32:33], v[6:7], v[32:33]
	v_mul_f64 v[6:7], v[16:17], v[12:13]
	v_fma_f64 v[8:9], v[16:17], v[10:11], v[8:9]
	v_fma_f64 v[6:7], v[14:15], v[10:11], -v[6:7]
	v_add_f64 v[20:21], v[8:9], v[20:21]
	v_add_f64 v[18:19], v[18:19], v[6:7]
	ds_read_b128 v[6:9], v25 offset:64
	ds_read_b128 v[10:13], v24 offset:2048
	s_waitcnt lgkmcnt(0)
	v_mul_f64 v[14:15], v[8:9], v[12:13]
	v_mul_f64 v[16:17], v[6:7], v[12:13]
	v_fma_f64 v[14:15], v[6:7], v[10:11], -v[14:15]
	v_fma_f64 v[16:17], v[8:9], v[10:11], v[16:17]
	v_add_f64 v[34:35], v[34:35], v[14:15]
	v_add_f64 v[36:37], v[16:17], v[36:37]
	ds_read_b128 v[14:17], v24 offset:2304
	s_waitcnt lgkmcnt(0)
	v_mul_f64 v[38:39], v[8:9], v[16:17]
	v_fma_f64 v[38:39], v[6:7], v[14:15], -v[38:39]
	v_mul_f64 v[6:7], v[6:7], v[16:17]
	v_add_f64 v[28:29], v[28:29], v[38:39]
	v_fma_f64 v[6:7], v[8:9], v[14:15], v[6:7]
	v_add_f64 v[26:27], v[6:7], v[26:27]
	ds_read_b128 v[6:9], v25 offset:2112
	s_waitcnt lgkmcnt(0)
	v_mul_f64 v[38:39], v[8:9], v[12:13]
	v_mul_f64 v[12:13], v[6:7], v[12:13]
	v_fma_f64 v[38:39], v[6:7], v[10:11], -v[38:39]
	v_fma_f64 v[10:11], v[8:9], v[10:11], v[12:13]
	v_add_f64 v[30:31], v[30:31], v[38:39]
	v_add_f64 v[32:33], v[10:11], v[32:33]
	v_mul_f64 v[10:11], v[8:9], v[16:17]
	v_fma_f64 v[10:11], v[6:7], v[14:15], -v[10:11]
	v_mul_f64 v[6:7], v[6:7], v[16:17]
	v_add_f64 v[18:19], v[18:19], v[10:11]
	v_fma_f64 v[6:7], v[8:9], v[14:15], v[6:7]
	v_add_f64 v[20:21], v[6:7], v[20:21]
	ds_read_b128 v[6:9], v25 offset:80
	ds_read_b128 v[10:13], v24 offset:2560
	s_waitcnt lgkmcnt(0)
	v_mul_f64 v[14:15], v[8:9], v[12:13]
	v_mul_f64 v[16:17], v[6:7], v[12:13]
	v_fma_f64 v[14:15], v[6:7], v[10:11], -v[14:15]
	v_fma_f64 v[16:17], v[8:9], v[10:11], v[16:17]
	v_add_f64 v[34:35], v[34:35], v[14:15]
	v_add_f64 v[36:37], v[16:17], v[36:37]
	ds_read_b128 v[14:17], v24 offset:2816
	s_waitcnt lgkmcnt(0)
	v_mul_f64 v[38:39], v[8:9], v[16:17]
	v_fma_f64 v[38:39], v[6:7], v[14:15], -v[38:39]
	v_mul_f64 v[6:7], v[6:7], v[16:17]
	v_add_f64 v[28:29], v[28:29], v[38:39]
	v_fma_f64 v[6:7], v[8:9], v[14:15], v[6:7]
	v_add_f64 v[26:27], v[6:7], v[26:27]
	ds_read_b128 v[6:9], v25 offset:2128
	s_waitcnt lgkmcnt(0)
	v_mul_f64 v[38:39], v[8:9], v[12:13]
	v_mul_f64 v[12:13], v[6:7], v[12:13]
	v_fma_f64 v[38:39], v[6:7], v[10:11], -v[38:39]
	v_fma_f64 v[10:11], v[8:9], v[10:11], v[12:13]
	v_add_f64 v[30:31], v[30:31], v[38:39]
	v_add_f64 v[32:33], v[10:11], v[32:33]
	v_mul_f64 v[10:11], v[8:9], v[16:17]
	v_fma_f64 v[10:11], v[6:7], v[14:15], -v[10:11]
	v_mul_f64 v[6:7], v[6:7], v[16:17]
	v_add_f64 v[18:19], v[18:19], v[10:11]
	v_fma_f64 v[6:7], v[8:9], v[14:15], v[6:7]
	;; [unrolled: 31-line block ×3, first 2 shown]
	v_add_f64 v[48:49], v[6:7], v[20:21]
	ds_read_b128 v[6:9], v25 offset:112
	ds_read_b128 v[10:13], v24 offset:3584
	;; [unrolled: 1-line block ×4, first 2 shown]
	s_waitcnt lgkmcnt(0)
	s_barrier
	v_mul_f64 v[14:15], v[8:9], v[12:13]
	v_mul_f64 v[16:17], v[6:7], v[12:13]
	v_fma_f64 v[14:15], v[6:7], v[10:11], -v[14:15]
	v_fma_f64 v[16:17], v[8:9], v[10:11], v[16:17]
	v_add_f64 v[18:19], v[34:35], v[14:15]
	v_mul_f64 v[14:15], v[8:9], v[28:29]
	v_add_f64 v[20:21], v[16:17], v[36:37]
	v_fma_f64 v[14:15], v[6:7], v[26:27], -v[14:15]
	v_mul_f64 v[6:7], v[6:7], v[28:29]
	v_fma_f64 v[8:9], v[8:9], v[26:27], v[6:7]
	v_add_f64 v[6:7], v[38:39], v[14:15]
	v_mul_f64 v[14:15], v[32:33], v[12:13]
	v_mul_f64 v[12:13], v[30:31], v[12:13]
	v_add_f64 v[8:9], v[8:9], v[40:41]
	v_fma_f64 v[14:15], v[30:31], v[10:11], -v[14:15]
	v_fma_f64 v[10:11], v[32:33], v[10:11], v[12:13]
	v_mul_f64 v[12:13], v[30:31], v[28:29]
	v_add_f64 v[14:15], v[42:43], v[14:15]
	v_add_f64 v[16:17], v[10:11], v[44:45]
	v_mul_f64 v[10:11], v[32:33], v[28:29]
	v_fma_f64 v[10:11], v[30:31], v[26:27], -v[10:11]
	v_fma_f64 v[26:27], v[32:33], v[26:27], v[12:13]
	v_add_f64 v[12:13], v[46:47], v[10:11]
	v_add_f64 v[10:11], v[26:27], v[48:49]
	v_mov_b32_e32 v27, s3
	v_mov_b32_e32 v26, s2
	v_cmp_le_u64_e32 vcc, s[0:1], v[26:27]
	s_cbranch_vccz .LBB1780_2
	s_branch .LBB1780_4
.LBB1780_3:
	v_mov_b32_e32 v18, 0
	v_mov_b32_e32 v20, 0
	;; [unrolled: 1-line block ×16, first 2 shown]
.LBB1780_4:
	v_add_u32_e32 v4, s7, v1
	v_ashrrev_i32_e32 v1, 31, v4
	v_mul_lo_u32 v3, s14, v1
	v_mul_lo_u32 v5, s15, v4
	v_mad_u64_u32 v[1:2], s[0:1], s14, v4, 0
	s_load_dword s4, s[4:5], 0x0
	v_add_u32_e32 v0, s6, v0
	v_add3_u32 v2, v2, v3, v5
	v_lshlrev_b64 v[1:2], 4, v[1:2]
	s_waitcnt lgkmcnt(0)
	v_mov_b32_e32 v3, s9
	v_add_co_u32_e32 v5, vcc, s8, v1
	v_addc_co_u32_e32 v22, vcc, v3, v2, vcc
	v_cmp_le_i32_e64 s[0:1], v4, v0
	v_cmp_gt_i32_e32 vcc, s4, v0
	s_and_b64 s[0:1], s[0:1], vcc
	s_and_saveexec_b64 s[2:3], s[0:1]
	s_cbranch_execz .LBB1780_6
; %bb.5:
	v_ashrrev_i32_e32 v1, 31, v0
	v_lshlrev_b64 v[1:2], 4, v[0:1]
	v_add_co_u32_e64 v1, s[0:1], v5, v1
	v_addc_co_u32_e64 v2, s[0:1], v22, v2, s[0:1]
	flat_load_dwordx4 v[23:26], v[1:2]
	v_cmp_ne_u32_e64 s[0:1], v4, v0
	s_waitcnt vmcnt(0) lgkmcnt(0)
	v_add_f64 v[20:21], v[20:21], -v[25:26]
	v_add_f64 v[18:19], v[18:19], -v[23:24]
	v_cndmask_b32_e64 v21, 0, v21, s[0:1]
	v_cndmask_b32_e64 v20, 0, v20, s[0:1]
	flat_store_dwordx4 v[1:2], v[18:21]
.LBB1780_6:
	s_or_b64 exec, exec, s[2:3]
	v_add_u32_e32 v2, 16, v0
	v_cmp_le_i32_e64 s[2:3], v4, v2
	v_cmp_gt_i32_e64 s[0:1], s4, v2
	s_and_b64 s[2:3], s[2:3], s[0:1]
	s_and_saveexec_b64 s[4:5], s[2:3]
	s_cbranch_execz .LBB1780_8
; %bb.7:
	v_ashrrev_i32_e32 v3, 31, v2
	v_lshlrev_b64 v[18:19], 4, v[2:3]
	v_add_co_u32_e64 v23, s[2:3], v5, v18
	v_addc_co_u32_e64 v24, s[2:3], v22, v19, s[2:3]
	flat_load_dwordx4 v[18:21], v[23:24]
	v_cmp_ne_u32_e64 s[2:3], v4, v2
	s_waitcnt vmcnt(0) lgkmcnt(0)
	v_add_f64 v[20:21], v[8:9], -v[20:21]
	v_add_f64 v[5:6], v[6:7], -v[18:19]
	v_cndmask_b32_e64 v8, 0, v21, s[2:3]
	v_cndmask_b32_e64 v7, 0, v20, s[2:3]
	flat_store_dwordx4 v[23:24], v[5:8]
.LBB1780_8:
	s_or_b64 exec, exec, s[4:5]
	v_add_u32_e32 v3, 16, v4
	v_ashrrev_i32_e32 v1, 31, v3
	v_mul_lo_u32 v7, s15, v3
	v_mad_u64_u32 v[5:6], s[2:3], s14, v3, 0
	v_mul_lo_u32 v1, s14, v1
	v_add3_u32 v6, v6, v1, v7
	v_lshlrev_b64 v[5:6], 4, v[5:6]
	v_mov_b32_e32 v1, s9
	v_add_co_u32_e64 v5, s[2:3], s8, v5
	v_addc_co_u32_e64 v6, s[2:3], v1, v6, s[2:3]
	v_cmp_le_i32_e64 s[2:3], v3, v0
	s_and_b64 s[4:5], s[2:3], vcc
	s_and_saveexec_b64 s[2:3], s[4:5]
	s_cbranch_execz .LBB1780_10
; %bb.9:
	v_ashrrev_i32_e32 v1, 31, v0
	v_lshlrev_b64 v[7:8], 4, v[0:1]
	v_add_co_u32_e32 v7, vcc, v5, v7
	v_addc_co_u32_e32 v8, vcc, v6, v8, vcc
	flat_load_dwordx4 v[18:21], v[7:8]
	v_cmp_ne_u32_e32 vcc, v3, v0
	s_waitcnt vmcnt(0) lgkmcnt(0)
	v_add_f64 v[16:17], v[16:17], -v[20:21]
	v_add_f64 v[14:15], v[14:15], -v[18:19]
	v_cndmask_b32_e32 v17, 0, v17, vcc
	v_cndmask_b32_e32 v16, 0, v16, vcc
	flat_store_dwordx4 v[7:8], v[14:17]
.LBB1780_10:
	s_or_b64 exec, exec, s[2:3]
	v_cmp_le_i32_e32 vcc, v3, v2
	s_and_b64 s[0:1], vcc, s[0:1]
	s_and_saveexec_b64 s[2:3], s[0:1]
	s_cbranch_execz .LBB1780_12
; %bb.11:
	v_ashrrev_i32_e32 v3, 31, v2
	v_lshlrev_b64 v[1:2], 4, v[2:3]
	v_add_co_u32_e32 v14, vcc, v5, v1
	v_addc_co_u32_e32 v15, vcc, v6, v2, vcc
	flat_load_dwordx4 v[5:8], v[14:15]
	v_cmp_ne_u32_e32 vcc, v4, v0
	s_waitcnt vmcnt(0) lgkmcnt(0)
	v_add_f64 v[7:8], v[10:11], -v[7:8]
	v_add_f64 v[1:2], v[12:13], -v[5:6]
	v_cndmask_b32_e32 v4, 0, v8, vcc
	v_cndmask_b32_e32 v3, 0, v7, vcc
	flat_store_dwordx4 v[14:15], v[1:4]
.LBB1780_12:
	s_endpgm
	.section	.rodata,"a",@progbits
	.p2align	6, 0x0
	.amdhsa_kernel _ZL37rocblas_syrkx_herkx_restricted_kernelIl19rocblas_complex_numIdELi16ELi32ELi8ELi1ELin1ELb1ELc67ELc76EKPKS1_KPS1_EviT_PT9_S7_lS9_S7_lPT10_S7_li
		.amdhsa_group_segment_fixed_size 8192
		.amdhsa_private_segment_fixed_size 0
		.amdhsa_kernarg_size 92
		.amdhsa_user_sgpr_count 6
		.amdhsa_user_sgpr_private_segment_buffer 1
		.amdhsa_user_sgpr_dispatch_ptr 0
		.amdhsa_user_sgpr_queue_ptr 0
		.amdhsa_user_sgpr_kernarg_segment_ptr 1
		.amdhsa_user_sgpr_dispatch_id 0
		.amdhsa_user_sgpr_flat_scratch_init 0
		.amdhsa_user_sgpr_private_segment_size 0
		.amdhsa_uses_dynamic_stack 0
		.amdhsa_system_sgpr_private_segment_wavefront_offset 0
		.amdhsa_system_sgpr_workgroup_id_x 1
		.amdhsa_system_sgpr_workgroup_id_y 1
		.amdhsa_system_sgpr_workgroup_id_z 1
		.amdhsa_system_sgpr_workgroup_info 0
		.amdhsa_system_vgpr_workitem_id 1
		.amdhsa_next_free_vgpr 52
		.amdhsa_next_free_sgpr 61
		.amdhsa_reserve_vcc 1
		.amdhsa_reserve_flat_scratch 0
		.amdhsa_float_round_mode_32 0
		.amdhsa_float_round_mode_16_64 0
		.amdhsa_float_denorm_mode_32 3
		.amdhsa_float_denorm_mode_16_64 3
		.amdhsa_dx10_clamp 1
		.amdhsa_ieee_mode 1
		.amdhsa_fp16_overflow 0
		.amdhsa_exception_fp_ieee_invalid_op 0
		.amdhsa_exception_fp_denorm_src 0
		.amdhsa_exception_fp_ieee_div_zero 0
		.amdhsa_exception_fp_ieee_overflow 0
		.amdhsa_exception_fp_ieee_underflow 0
		.amdhsa_exception_fp_ieee_inexact 0
		.amdhsa_exception_int_div_zero 0
	.end_amdhsa_kernel
	.section	.text._ZL37rocblas_syrkx_herkx_restricted_kernelIl19rocblas_complex_numIdELi16ELi32ELi8ELi1ELin1ELb1ELc67ELc76EKPKS1_KPS1_EviT_PT9_S7_lS9_S7_lPT10_S7_li,"axG",@progbits,_ZL37rocblas_syrkx_herkx_restricted_kernelIl19rocblas_complex_numIdELi16ELi32ELi8ELi1ELin1ELb1ELc67ELc76EKPKS1_KPS1_EviT_PT9_S7_lS9_S7_lPT10_S7_li,comdat
.Lfunc_end1780:
	.size	_ZL37rocblas_syrkx_herkx_restricted_kernelIl19rocblas_complex_numIdELi16ELi32ELi8ELi1ELin1ELb1ELc67ELc76EKPKS1_KPS1_EviT_PT9_S7_lS9_S7_lPT10_S7_li, .Lfunc_end1780-_ZL37rocblas_syrkx_herkx_restricted_kernelIl19rocblas_complex_numIdELi16ELi32ELi8ELi1ELin1ELb1ELc67ELc76EKPKS1_KPS1_EviT_PT9_S7_lS9_S7_lPT10_S7_li
                                        ; -- End function
	.set _ZL37rocblas_syrkx_herkx_restricted_kernelIl19rocblas_complex_numIdELi16ELi32ELi8ELi1ELin1ELb1ELc67ELc76EKPKS1_KPS1_EviT_PT9_S7_lS9_S7_lPT10_S7_li.num_vgpr, 52
	.set _ZL37rocblas_syrkx_herkx_restricted_kernelIl19rocblas_complex_numIdELi16ELi32ELi8ELi1ELin1ELb1ELc67ELc76EKPKS1_KPS1_EviT_PT9_S7_lS9_S7_lPT10_S7_li.num_agpr, 0
	.set _ZL37rocblas_syrkx_herkx_restricted_kernelIl19rocblas_complex_numIdELi16ELi32ELi8ELi1ELin1ELb1ELc67ELc76EKPKS1_KPS1_EviT_PT9_S7_lS9_S7_lPT10_S7_li.numbered_sgpr, 20
	.set _ZL37rocblas_syrkx_herkx_restricted_kernelIl19rocblas_complex_numIdELi16ELi32ELi8ELi1ELin1ELb1ELc67ELc76EKPKS1_KPS1_EviT_PT9_S7_lS9_S7_lPT10_S7_li.num_named_barrier, 0
	.set _ZL37rocblas_syrkx_herkx_restricted_kernelIl19rocblas_complex_numIdELi16ELi32ELi8ELi1ELin1ELb1ELc67ELc76EKPKS1_KPS1_EviT_PT9_S7_lS9_S7_lPT10_S7_li.private_seg_size, 0
	.set _ZL37rocblas_syrkx_herkx_restricted_kernelIl19rocblas_complex_numIdELi16ELi32ELi8ELi1ELin1ELb1ELc67ELc76EKPKS1_KPS1_EviT_PT9_S7_lS9_S7_lPT10_S7_li.uses_vcc, 1
	.set _ZL37rocblas_syrkx_herkx_restricted_kernelIl19rocblas_complex_numIdELi16ELi32ELi8ELi1ELin1ELb1ELc67ELc76EKPKS1_KPS1_EviT_PT9_S7_lS9_S7_lPT10_S7_li.uses_flat_scratch, 0
	.set _ZL37rocblas_syrkx_herkx_restricted_kernelIl19rocblas_complex_numIdELi16ELi32ELi8ELi1ELin1ELb1ELc67ELc76EKPKS1_KPS1_EviT_PT9_S7_lS9_S7_lPT10_S7_li.has_dyn_sized_stack, 0
	.set _ZL37rocblas_syrkx_herkx_restricted_kernelIl19rocblas_complex_numIdELi16ELi32ELi8ELi1ELin1ELb1ELc67ELc76EKPKS1_KPS1_EviT_PT9_S7_lS9_S7_lPT10_S7_li.has_recursion, 0
	.set _ZL37rocblas_syrkx_herkx_restricted_kernelIl19rocblas_complex_numIdELi16ELi32ELi8ELi1ELin1ELb1ELc67ELc76EKPKS1_KPS1_EviT_PT9_S7_lS9_S7_lPT10_S7_li.has_indirect_call, 0
	.section	.AMDGPU.csdata,"",@progbits
; Kernel info:
; codeLenInByte = 3016
; TotalNumSgprs: 24
; NumVgprs: 52
; ScratchSize: 0
; MemoryBound: 0
; FloatMode: 240
; IeeeMode: 1
; LDSByteSize: 8192 bytes/workgroup (compile time only)
; SGPRBlocks: 8
; VGPRBlocks: 12
; NumSGPRsForWavesPerEU: 65
; NumVGPRsForWavesPerEU: 52
; Occupancy: 4
; WaveLimiterHint : 1
; COMPUTE_PGM_RSRC2:SCRATCH_EN: 0
; COMPUTE_PGM_RSRC2:USER_SGPR: 6
; COMPUTE_PGM_RSRC2:TRAP_HANDLER: 0
; COMPUTE_PGM_RSRC2:TGID_X_EN: 1
; COMPUTE_PGM_RSRC2:TGID_Y_EN: 1
; COMPUTE_PGM_RSRC2:TGID_Z_EN: 1
; COMPUTE_PGM_RSRC2:TIDIG_COMP_CNT: 1
	.section	.text._ZL37rocblas_syrkx_herkx_restricted_kernelIl19rocblas_complex_numIdELi16ELi32ELi8ELi1ELin1ELb1ELc78ELc76EKPKS1_KPS1_EviT_PT9_S7_lS9_S7_lPT10_S7_li,"axG",@progbits,_ZL37rocblas_syrkx_herkx_restricted_kernelIl19rocblas_complex_numIdELi16ELi32ELi8ELi1ELin1ELb1ELc78ELc76EKPKS1_KPS1_EviT_PT9_S7_lS9_S7_lPT10_S7_li,comdat
	.globl	_ZL37rocblas_syrkx_herkx_restricted_kernelIl19rocblas_complex_numIdELi16ELi32ELi8ELi1ELin1ELb1ELc78ELc76EKPKS1_KPS1_EviT_PT9_S7_lS9_S7_lPT10_S7_li ; -- Begin function _ZL37rocblas_syrkx_herkx_restricted_kernelIl19rocblas_complex_numIdELi16ELi32ELi8ELi1ELin1ELb1ELc78ELc76EKPKS1_KPS1_EviT_PT9_S7_lS9_S7_lPT10_S7_li
	.p2align	8
	.type	_ZL37rocblas_syrkx_herkx_restricted_kernelIl19rocblas_complex_numIdELi16ELi32ELi8ELi1ELin1ELb1ELc78ELc76EKPKS1_KPS1_EviT_PT9_S7_lS9_S7_lPT10_S7_li,@function
_ZL37rocblas_syrkx_herkx_restricted_kernelIl19rocblas_complex_numIdELi16ELi32ELi8ELi1ELin1ELb1ELc78ELc76EKPKS1_KPS1_EviT_PT9_S7_lS9_S7_lPT10_S7_li: ; @_ZL37rocblas_syrkx_herkx_restricted_kernelIl19rocblas_complex_numIdELi16ELi32ELi8ELi1ELin1ELb1ELc78ELc76EKPKS1_KPS1_EviT_PT9_S7_lS9_S7_lPT10_S7_li
; %bb.0:
	s_load_dwordx4 s[12:15], s[4:5], 0x40
	s_load_dwordx4 s[0:3], s[4:5], 0x8
	s_mov_b32 s9, 0
	s_lshl_b64 s[16:17], s[8:9], 3
	s_waitcnt lgkmcnt(0)
	s_add_u32 s8, s12, s16
	s_addc_u32 s9, s13, s17
	s_load_dwordx2 s[12:13], s[8:9], 0x0
	v_cmp_lt_i64_e64 s[8:9], s[0:1], 1
	s_lshl_b32 s18, s6, 5
	s_lshl_b32 s19, s7, 5
	s_and_b64 vcc, exec, s[8:9]
	s_cbranch_vccnz .LBB1781_3
; %bb.1:
	s_load_dwordx2 s[6:7], s[4:5], 0x18
	s_load_dwordx4 s[8:11], s[4:5], 0x28
	v_lshl_add_u32 v7, v1, 4, v0
	v_lshrrev_b32_e32 v8, 3, v7
	v_add_u32_e32 v2, s19, v8
	v_and_b32_e32 v6, 7, v0
	v_ashrrev_i32_e32 v3, 31, v2
	s_waitcnt lgkmcnt(0)
	v_mad_u64_u32 v[4:5], s[20:21], s10, v6, v[2:3]
	s_add_u32 s2, s2, s16
	s_addc_u32 s3, s3, s17
	v_mov_b32_e32 v2, v5
	v_mad_u64_u32 v[2:3], s[20:21], s11, v6, v[2:3]
	v_lshrrev_b32_e32 v9, 5, v7
	s_add_u32 s8, s8, s16
	v_mov_b32_e32 v5, v2
	v_and_b32_e32 v2, 31, v7
	v_lshlrev_b32_e32 v3, 4, v2
	v_add_u32_e32 v2, s18, v2
	v_lshl_or_b32 v22, v9, 9, v3
	v_ashrrev_i32_e32 v3, 31, v2
	s_addc_u32 s9, s9, s17
	v_mad_u64_u32 v[2:3], s[16:17], s6, v9, v[2:3]
	v_lshlrev_b32_e32 v6, 4, v6
	v_lshl_or_b32 v6, v8, 7, v6
	v_add_u32_e32 v23, 0x1000, v6
	v_mad_u64_u32 v[6:7], s[16:17], s7, v9, v[3:4]
	s_load_dwordx2 s[2:3], s[2:3], 0x0
	v_mov_b32_e32 v3, 0x1000
	s_load_dwordx2 s[8:9], s[8:9], 0x0
	v_lshl_add_u32 v25, v1, 7, v3
	v_mov_b32_e32 v3, v6
	v_lshlrev_b64 v[2:3], 4, v[2:3]
	s_waitcnt lgkmcnt(0)
	v_mov_b32_e32 v6, s3
	v_add_co_u32_e32 v2, vcc, s2, v2
	v_lshlrev_b64 v[4:5], 4, v[4:5]
	v_addc_co_u32_e32 v3, vcc, v6, v3, vcc
	v_mov_b32_e32 v6, s9
	v_add_co_u32_e32 v4, vcc, s8, v4
	s_lshl_b64 s[2:3], s[6:7], 7
	v_addc_co_u32_e32 v5, vcc, v6, v5, vcc
	s_lshl_b64 s[6:7], s[10:11], 7
	v_mov_b32_e32 v10, 0
	v_mov_b32_e32 v12, 0
	;; [unrolled: 1-line block ×8, first 2 shown]
	v_lshlrev_b32_e32 v24, 4, v0
	v_mov_b32_e32 v11, 0
	s_mov_b64 s[8:9], 0
	v_mov_b32_e32 v26, s3
	v_mov_b32_e32 v13, 0
	;; [unrolled: 1-line block ×9, first 2 shown]
.LBB1781_2:                             ; =>This Inner Loop Header: Depth=1
	flat_load_dwordx4 v[28:31], v[2:3]
	s_add_u32 s8, s8, 8
	v_add_co_u32_e32 v2, vcc, s2, v2
	s_addc_u32 s9, s9, 0
	v_addc_co_u32_e32 v3, vcc, v3, v26, vcc
	s_waitcnt vmcnt(0) lgkmcnt(0)
	ds_write_b128 v22, v[28:31]
	flat_load_dwordx4 v[28:31], v[4:5]
	v_add_co_u32_e32 v4, vcc, s6, v4
	v_addc_co_u32_e32 v5, vcc, v5, v27, vcc
	s_waitcnt vmcnt(0) lgkmcnt(0)
	v_xor_b32_e32 v31, 0x80000000, v31
	ds_write_b128 v23, v[28:31]
	s_waitcnt lgkmcnt(0)
	s_barrier
	ds_read_b128 v[28:31], v25
	ds_read_b128 v[32:35], v25 offset:16
	ds_read_b128 v[36:39], v25 offset:32
	;; [unrolled: 1-line block ×3, first 2 shown]
	ds_read_b128 v[44:47], v24
	s_waitcnt lgkmcnt(0)
	v_mul_f64 v[48:49], v[30:31], v[46:47]
	v_mul_f64 v[50:51], v[28:29], v[46:47]
	v_fma_f64 v[48:49], v[28:29], v[44:45], -v[48:49]
	v_fma_f64 v[50:51], v[30:31], v[44:45], v[50:51]
	v_add_f64 v[48:49], v[18:19], v[48:49]
	v_add_f64 v[50:51], v[50:51], v[20:21]
	ds_read_b128 v[18:21], v24 offset:256
	s_waitcnt lgkmcnt(0)
	v_mul_f64 v[52:53], v[30:31], v[20:21]
	v_fma_f64 v[52:53], v[28:29], v[18:19], -v[52:53]
	v_mul_f64 v[28:29], v[28:29], v[20:21]
	v_fma_f64 v[28:29], v[30:31], v[18:19], v[28:29]
	v_add_f64 v[30:31], v[6:7], v[52:53]
	v_add_f64 v[28:29], v[28:29], v[8:9]
	ds_read_b128 v[6:9], v25 offset:2048
	s_waitcnt lgkmcnt(0)
	v_mul_f64 v[52:53], v[8:9], v[46:47]
	v_mul_f64 v[46:47], v[6:7], v[46:47]
	v_fma_f64 v[52:53], v[6:7], v[44:45], -v[52:53]
	v_fma_f64 v[44:45], v[8:9], v[44:45], v[46:47]
	v_add_f64 v[46:47], v[14:15], v[52:53]
	v_mul_f64 v[14:15], v[8:9], v[20:21]
	v_add_f64 v[44:45], v[44:45], v[16:17]
	v_fma_f64 v[14:15], v[6:7], v[18:19], -v[14:15]
	v_mul_f64 v[6:7], v[6:7], v[20:21]
	v_fma_f64 v[6:7], v[8:9], v[18:19], v[6:7]
	v_add_f64 v[18:19], v[12:13], v[14:15]
	v_add_f64 v[20:21], v[6:7], v[10:11]
	ds_read_b128 v[6:9], v24 offset:512
	s_waitcnt lgkmcnt(0)
	v_mul_f64 v[10:11], v[34:35], v[8:9]
	v_mul_f64 v[12:13], v[32:33], v[8:9]
	v_fma_f64 v[10:11], v[32:33], v[6:7], -v[10:11]
	v_fma_f64 v[12:13], v[34:35], v[6:7], v[12:13]
	v_add_f64 v[48:49], v[48:49], v[10:11]
	v_add_f64 v[50:51], v[12:13], v[50:51]
	ds_read_b128 v[10:13], v24 offset:768
	s_waitcnt lgkmcnt(0)
	v_mul_f64 v[14:15], v[34:35], v[12:13]
	v_mul_f64 v[16:17], v[32:33], v[12:13]
	v_fma_f64 v[14:15], v[32:33], v[10:11], -v[14:15]
	;; [unrolled: 8-line block ×3, first 2 shown]
	v_fma_f64 v[6:7], v[16:17], v[6:7], v[8:9]
	v_mul_f64 v[8:9], v[14:15], v[12:13]
	v_add_f64 v[32:33], v[46:47], v[32:33]
	v_add_f64 v[34:35], v[6:7], v[44:45]
	v_mul_f64 v[6:7], v[16:17], v[12:13]
	v_fma_f64 v[8:9], v[16:17], v[10:11], v[8:9]
	v_fma_f64 v[6:7], v[14:15], v[10:11], -v[6:7]
	v_add_f64 v[20:21], v[8:9], v[20:21]
	v_add_f64 v[18:19], v[18:19], v[6:7]
	ds_read_b128 v[6:9], v24 offset:1024
	s_waitcnt lgkmcnt(0)
	v_mul_f64 v[10:11], v[38:39], v[8:9]
	v_mul_f64 v[12:13], v[36:37], v[8:9]
	v_fma_f64 v[10:11], v[36:37], v[6:7], -v[10:11]
	v_fma_f64 v[12:13], v[38:39], v[6:7], v[12:13]
	v_add_f64 v[44:45], v[48:49], v[10:11]
	v_add_f64 v[46:47], v[12:13], v[50:51]
	ds_read_b128 v[10:13], v24 offset:1280
	s_waitcnt lgkmcnt(0)
	v_mul_f64 v[14:15], v[38:39], v[12:13]
	v_mul_f64 v[16:17], v[36:37], v[12:13]
	v_fma_f64 v[14:15], v[36:37], v[10:11], -v[14:15]
	v_fma_f64 v[16:17], v[38:39], v[10:11], v[16:17]
	;; [unrolled: 8-line block ×3, first 2 shown]
	v_mul_f64 v[8:9], v[14:15], v[12:13]
	v_add_f64 v[32:33], v[32:33], v[36:37]
	v_add_f64 v[34:35], v[6:7], v[34:35]
	v_mul_f64 v[6:7], v[16:17], v[12:13]
	v_fma_f64 v[8:9], v[16:17], v[10:11], v[8:9]
	v_fma_f64 v[6:7], v[14:15], v[10:11], -v[6:7]
	v_add_f64 v[20:21], v[8:9], v[20:21]
	v_add_f64 v[18:19], v[18:19], v[6:7]
	ds_read_b128 v[6:9], v24 offset:1536
	s_waitcnt lgkmcnt(0)
	v_mul_f64 v[10:11], v[42:43], v[8:9]
	v_mul_f64 v[12:13], v[40:41], v[8:9]
	v_fma_f64 v[10:11], v[40:41], v[6:7], -v[10:11]
	v_fma_f64 v[12:13], v[42:43], v[6:7], v[12:13]
	v_add_f64 v[36:37], v[44:45], v[10:11]
	v_add_f64 v[38:39], v[12:13], v[46:47]
	ds_read_b128 v[10:13], v24 offset:1792
	s_waitcnt lgkmcnt(0)
	v_mul_f64 v[14:15], v[42:43], v[12:13]
	v_mul_f64 v[16:17], v[40:41], v[12:13]
	v_fma_f64 v[14:15], v[40:41], v[10:11], -v[14:15]
	v_fma_f64 v[16:17], v[42:43], v[10:11], v[16:17]
	;; [unrolled: 8-line block ×3, first 2 shown]
	v_mul_f64 v[8:9], v[14:15], v[12:13]
	v_add_f64 v[32:33], v[32:33], v[40:41]
	v_add_f64 v[34:35], v[6:7], v[34:35]
	v_mul_f64 v[6:7], v[16:17], v[12:13]
	v_fma_f64 v[8:9], v[16:17], v[10:11], v[8:9]
	v_fma_f64 v[6:7], v[14:15], v[10:11], -v[6:7]
	v_add_f64 v[20:21], v[8:9], v[20:21]
	v_add_f64 v[18:19], v[18:19], v[6:7]
	ds_read_b128 v[6:9], v25 offset:64
	ds_read_b128 v[10:13], v24 offset:2048
	s_waitcnt lgkmcnt(0)
	v_mul_f64 v[14:15], v[8:9], v[12:13]
	v_mul_f64 v[16:17], v[6:7], v[12:13]
	v_fma_f64 v[14:15], v[6:7], v[10:11], -v[14:15]
	v_fma_f64 v[16:17], v[8:9], v[10:11], v[16:17]
	v_add_f64 v[36:37], v[36:37], v[14:15]
	v_add_f64 v[38:39], v[16:17], v[38:39]
	ds_read_b128 v[14:17], v24 offset:2304
	s_waitcnt lgkmcnt(0)
	v_mul_f64 v[40:41], v[8:9], v[16:17]
	v_fma_f64 v[40:41], v[6:7], v[14:15], -v[40:41]
	v_mul_f64 v[6:7], v[6:7], v[16:17]
	v_add_f64 v[30:31], v[30:31], v[40:41]
	v_fma_f64 v[6:7], v[8:9], v[14:15], v[6:7]
	v_add_f64 v[28:29], v[6:7], v[28:29]
	ds_read_b128 v[6:9], v25 offset:2112
	s_waitcnt lgkmcnt(0)
	v_mul_f64 v[40:41], v[8:9], v[12:13]
	v_mul_f64 v[12:13], v[6:7], v[12:13]
	v_fma_f64 v[40:41], v[6:7], v[10:11], -v[40:41]
	v_fma_f64 v[10:11], v[8:9], v[10:11], v[12:13]
	v_add_f64 v[32:33], v[32:33], v[40:41]
	v_add_f64 v[34:35], v[10:11], v[34:35]
	v_mul_f64 v[10:11], v[8:9], v[16:17]
	v_fma_f64 v[10:11], v[6:7], v[14:15], -v[10:11]
	v_mul_f64 v[6:7], v[6:7], v[16:17]
	v_add_f64 v[18:19], v[18:19], v[10:11]
	v_fma_f64 v[6:7], v[8:9], v[14:15], v[6:7]
	v_add_f64 v[20:21], v[6:7], v[20:21]
	ds_read_b128 v[6:9], v25 offset:80
	ds_read_b128 v[10:13], v24 offset:2560
	s_waitcnt lgkmcnt(0)
	v_mul_f64 v[14:15], v[8:9], v[12:13]
	v_mul_f64 v[16:17], v[6:7], v[12:13]
	v_fma_f64 v[14:15], v[6:7], v[10:11], -v[14:15]
	v_fma_f64 v[16:17], v[8:9], v[10:11], v[16:17]
	v_add_f64 v[36:37], v[36:37], v[14:15]
	v_add_f64 v[38:39], v[16:17], v[38:39]
	ds_read_b128 v[14:17], v24 offset:2816
	s_waitcnt lgkmcnt(0)
	v_mul_f64 v[40:41], v[8:9], v[16:17]
	v_fma_f64 v[40:41], v[6:7], v[14:15], -v[40:41]
	v_mul_f64 v[6:7], v[6:7], v[16:17]
	v_add_f64 v[30:31], v[30:31], v[40:41]
	v_fma_f64 v[6:7], v[8:9], v[14:15], v[6:7]
	v_add_f64 v[28:29], v[6:7], v[28:29]
	ds_read_b128 v[6:9], v25 offset:2128
	s_waitcnt lgkmcnt(0)
	v_mul_f64 v[40:41], v[8:9], v[12:13]
	v_mul_f64 v[12:13], v[6:7], v[12:13]
	v_fma_f64 v[40:41], v[6:7], v[10:11], -v[40:41]
	v_fma_f64 v[10:11], v[8:9], v[10:11], v[12:13]
	v_add_f64 v[32:33], v[32:33], v[40:41]
	v_add_f64 v[34:35], v[10:11], v[34:35]
	v_mul_f64 v[10:11], v[8:9], v[16:17]
	v_fma_f64 v[10:11], v[6:7], v[14:15], -v[10:11]
	v_mul_f64 v[6:7], v[6:7], v[16:17]
	v_add_f64 v[18:19], v[18:19], v[10:11]
	v_fma_f64 v[6:7], v[8:9], v[14:15], v[6:7]
	;; [unrolled: 31-line block ×3, first 2 shown]
	v_add_f64 v[50:51], v[6:7], v[20:21]
	ds_read_b128 v[6:9], v25 offset:112
	ds_read_b128 v[10:13], v24 offset:3584
	;; [unrolled: 1-line block ×4, first 2 shown]
	s_waitcnt lgkmcnt(0)
	s_barrier
	v_mul_f64 v[14:15], v[8:9], v[12:13]
	v_mul_f64 v[16:17], v[6:7], v[12:13]
	v_fma_f64 v[14:15], v[6:7], v[10:11], -v[14:15]
	v_fma_f64 v[16:17], v[8:9], v[10:11], v[16:17]
	v_add_f64 v[18:19], v[36:37], v[14:15]
	v_mul_f64 v[14:15], v[8:9], v[30:31]
	v_add_f64 v[20:21], v[16:17], v[38:39]
	v_fma_f64 v[14:15], v[6:7], v[28:29], -v[14:15]
	v_mul_f64 v[6:7], v[6:7], v[30:31]
	v_fma_f64 v[8:9], v[8:9], v[28:29], v[6:7]
	v_add_f64 v[6:7], v[40:41], v[14:15]
	v_mul_f64 v[14:15], v[34:35], v[12:13]
	v_mul_f64 v[12:13], v[32:33], v[12:13]
	v_add_f64 v[8:9], v[8:9], v[42:43]
	v_fma_f64 v[14:15], v[32:33], v[10:11], -v[14:15]
	v_fma_f64 v[10:11], v[34:35], v[10:11], v[12:13]
	v_mul_f64 v[12:13], v[32:33], v[30:31]
	v_add_f64 v[14:15], v[44:45], v[14:15]
	v_add_f64 v[16:17], v[10:11], v[46:47]
	v_mul_f64 v[10:11], v[34:35], v[30:31]
	v_fma_f64 v[10:11], v[32:33], v[28:29], -v[10:11]
	v_fma_f64 v[28:29], v[34:35], v[28:29], v[12:13]
	v_add_f64 v[12:13], v[48:49], v[10:11]
	v_add_f64 v[10:11], v[28:29], v[50:51]
	v_mov_b32_e32 v29, s9
	v_mov_b32_e32 v28, s8
	v_cmp_le_u64_e32 vcc, s[0:1], v[28:29]
	s_cbranch_vccz .LBB1781_2
	s_branch .LBB1781_4
.LBB1781_3:
	v_mov_b32_e32 v18, 0
	v_mov_b32_e32 v20, 0
	;; [unrolled: 1-line block ×16, first 2 shown]
.LBB1781_4:
	v_add_u32_e32 v4, s19, v1
	v_ashrrev_i32_e32 v1, 31, v4
	v_mul_lo_u32 v3, s14, v1
	v_mul_lo_u32 v5, s15, v4
	v_mad_u64_u32 v[1:2], s[0:1], s14, v4, 0
	s_load_dword s4, s[4:5], 0x0
	v_add_u32_e32 v0, s18, v0
	v_add3_u32 v2, v2, v3, v5
	v_lshlrev_b64 v[1:2], 4, v[1:2]
	s_waitcnt lgkmcnt(0)
	v_mov_b32_e32 v3, s13
	v_add_co_u32_e32 v5, vcc, s12, v1
	v_addc_co_u32_e32 v22, vcc, v3, v2, vcc
	v_cmp_le_i32_e64 s[0:1], v4, v0
	v_cmp_gt_i32_e32 vcc, s4, v0
	s_and_b64 s[0:1], s[0:1], vcc
	s_and_saveexec_b64 s[2:3], s[0:1]
	s_cbranch_execz .LBB1781_6
; %bb.5:
	v_ashrrev_i32_e32 v1, 31, v0
	v_lshlrev_b64 v[1:2], 4, v[0:1]
	v_add_co_u32_e64 v1, s[0:1], v5, v1
	v_addc_co_u32_e64 v2, s[0:1], v22, v2, s[0:1]
	flat_load_dwordx4 v[23:26], v[1:2]
	v_cmp_ne_u32_e64 s[0:1], v4, v0
	s_waitcnt vmcnt(0) lgkmcnt(0)
	v_add_f64 v[20:21], v[20:21], -v[25:26]
	v_add_f64 v[18:19], v[18:19], -v[23:24]
	v_cndmask_b32_e64 v21, 0, v21, s[0:1]
	v_cndmask_b32_e64 v20, 0, v20, s[0:1]
	flat_store_dwordx4 v[1:2], v[18:21]
.LBB1781_6:
	s_or_b64 exec, exec, s[2:3]
	v_add_u32_e32 v2, 16, v0
	v_cmp_le_i32_e64 s[2:3], v4, v2
	v_cmp_gt_i32_e64 s[0:1], s4, v2
	s_and_b64 s[2:3], s[2:3], s[0:1]
	s_and_saveexec_b64 s[4:5], s[2:3]
	s_cbranch_execz .LBB1781_8
; %bb.7:
	v_ashrrev_i32_e32 v3, 31, v2
	v_lshlrev_b64 v[18:19], 4, v[2:3]
	v_add_co_u32_e64 v23, s[2:3], v5, v18
	v_addc_co_u32_e64 v24, s[2:3], v22, v19, s[2:3]
	flat_load_dwordx4 v[18:21], v[23:24]
	v_cmp_ne_u32_e64 s[2:3], v4, v2
	s_waitcnt vmcnt(0) lgkmcnt(0)
	v_add_f64 v[20:21], v[8:9], -v[20:21]
	v_add_f64 v[5:6], v[6:7], -v[18:19]
	v_cndmask_b32_e64 v8, 0, v21, s[2:3]
	v_cndmask_b32_e64 v7, 0, v20, s[2:3]
	flat_store_dwordx4 v[23:24], v[5:8]
.LBB1781_8:
	s_or_b64 exec, exec, s[4:5]
	v_add_u32_e32 v3, 16, v4
	v_ashrrev_i32_e32 v1, 31, v3
	v_mul_lo_u32 v7, s15, v3
	v_mad_u64_u32 v[5:6], s[2:3], s14, v3, 0
	v_mul_lo_u32 v1, s14, v1
	v_add3_u32 v6, v6, v1, v7
	v_lshlrev_b64 v[5:6], 4, v[5:6]
	v_mov_b32_e32 v1, s13
	v_add_co_u32_e64 v5, s[2:3], s12, v5
	v_addc_co_u32_e64 v6, s[2:3], v1, v6, s[2:3]
	v_cmp_le_i32_e64 s[2:3], v3, v0
	s_and_b64 s[4:5], s[2:3], vcc
	s_and_saveexec_b64 s[2:3], s[4:5]
	s_cbranch_execz .LBB1781_10
; %bb.9:
	v_ashrrev_i32_e32 v1, 31, v0
	v_lshlrev_b64 v[7:8], 4, v[0:1]
	v_add_co_u32_e32 v7, vcc, v5, v7
	v_addc_co_u32_e32 v8, vcc, v6, v8, vcc
	flat_load_dwordx4 v[18:21], v[7:8]
	v_cmp_ne_u32_e32 vcc, v3, v0
	s_waitcnt vmcnt(0) lgkmcnt(0)
	v_add_f64 v[16:17], v[16:17], -v[20:21]
	v_add_f64 v[14:15], v[14:15], -v[18:19]
	v_cndmask_b32_e32 v17, 0, v17, vcc
	v_cndmask_b32_e32 v16, 0, v16, vcc
	flat_store_dwordx4 v[7:8], v[14:17]
.LBB1781_10:
	s_or_b64 exec, exec, s[2:3]
	v_cmp_le_i32_e32 vcc, v3, v2
	s_and_b64 s[0:1], vcc, s[0:1]
	s_and_saveexec_b64 s[2:3], s[0:1]
	s_cbranch_execz .LBB1781_12
; %bb.11:
	v_ashrrev_i32_e32 v3, 31, v2
	v_lshlrev_b64 v[1:2], 4, v[2:3]
	v_add_co_u32_e32 v14, vcc, v5, v1
	v_addc_co_u32_e32 v15, vcc, v6, v2, vcc
	flat_load_dwordx4 v[5:8], v[14:15]
	v_cmp_ne_u32_e32 vcc, v4, v0
	s_waitcnt vmcnt(0) lgkmcnt(0)
	v_add_f64 v[7:8], v[10:11], -v[7:8]
	v_add_f64 v[1:2], v[12:13], -v[5:6]
	v_cndmask_b32_e32 v4, 0, v8, vcc
	v_cndmask_b32_e32 v3, 0, v7, vcc
	flat_store_dwordx4 v[14:15], v[1:4]
.LBB1781_12:
	s_endpgm
	.section	.rodata,"a",@progbits
	.p2align	6, 0x0
	.amdhsa_kernel _ZL37rocblas_syrkx_herkx_restricted_kernelIl19rocblas_complex_numIdELi16ELi32ELi8ELi1ELin1ELb1ELc78ELc76EKPKS1_KPS1_EviT_PT9_S7_lS9_S7_lPT10_S7_li
		.amdhsa_group_segment_fixed_size 8192
		.amdhsa_private_segment_fixed_size 0
		.amdhsa_kernarg_size 92
		.amdhsa_user_sgpr_count 6
		.amdhsa_user_sgpr_private_segment_buffer 1
		.amdhsa_user_sgpr_dispatch_ptr 0
		.amdhsa_user_sgpr_queue_ptr 0
		.amdhsa_user_sgpr_kernarg_segment_ptr 1
		.amdhsa_user_sgpr_dispatch_id 0
		.amdhsa_user_sgpr_flat_scratch_init 0
		.amdhsa_user_sgpr_private_segment_size 0
		.amdhsa_uses_dynamic_stack 0
		.amdhsa_system_sgpr_private_segment_wavefront_offset 0
		.amdhsa_system_sgpr_workgroup_id_x 1
		.amdhsa_system_sgpr_workgroup_id_y 1
		.amdhsa_system_sgpr_workgroup_id_z 1
		.amdhsa_system_sgpr_workgroup_info 0
		.amdhsa_system_vgpr_workitem_id 1
		.amdhsa_next_free_vgpr 54
		.amdhsa_next_free_sgpr 61
		.amdhsa_reserve_vcc 1
		.amdhsa_reserve_flat_scratch 0
		.amdhsa_float_round_mode_32 0
		.amdhsa_float_round_mode_16_64 0
		.amdhsa_float_denorm_mode_32 3
		.amdhsa_float_denorm_mode_16_64 3
		.amdhsa_dx10_clamp 1
		.amdhsa_ieee_mode 1
		.amdhsa_fp16_overflow 0
		.amdhsa_exception_fp_ieee_invalid_op 0
		.amdhsa_exception_fp_denorm_src 0
		.amdhsa_exception_fp_ieee_div_zero 0
		.amdhsa_exception_fp_ieee_overflow 0
		.amdhsa_exception_fp_ieee_underflow 0
		.amdhsa_exception_fp_ieee_inexact 0
		.amdhsa_exception_int_div_zero 0
	.end_amdhsa_kernel
	.section	.text._ZL37rocblas_syrkx_herkx_restricted_kernelIl19rocblas_complex_numIdELi16ELi32ELi8ELi1ELin1ELb1ELc78ELc76EKPKS1_KPS1_EviT_PT9_S7_lS9_S7_lPT10_S7_li,"axG",@progbits,_ZL37rocblas_syrkx_herkx_restricted_kernelIl19rocblas_complex_numIdELi16ELi32ELi8ELi1ELin1ELb1ELc78ELc76EKPKS1_KPS1_EviT_PT9_S7_lS9_S7_lPT10_S7_li,comdat
.Lfunc_end1781:
	.size	_ZL37rocblas_syrkx_herkx_restricted_kernelIl19rocblas_complex_numIdELi16ELi32ELi8ELi1ELin1ELb1ELc78ELc76EKPKS1_KPS1_EviT_PT9_S7_lS9_S7_lPT10_S7_li, .Lfunc_end1781-_ZL37rocblas_syrkx_herkx_restricted_kernelIl19rocblas_complex_numIdELi16ELi32ELi8ELi1ELin1ELb1ELc78ELc76EKPKS1_KPS1_EviT_PT9_S7_lS9_S7_lPT10_S7_li
                                        ; -- End function
	.set _ZL37rocblas_syrkx_herkx_restricted_kernelIl19rocblas_complex_numIdELi16ELi32ELi8ELi1ELin1ELb1ELc78ELc76EKPKS1_KPS1_EviT_PT9_S7_lS9_S7_lPT10_S7_li.num_vgpr, 54
	.set _ZL37rocblas_syrkx_herkx_restricted_kernelIl19rocblas_complex_numIdELi16ELi32ELi8ELi1ELin1ELb1ELc78ELc76EKPKS1_KPS1_EviT_PT9_S7_lS9_S7_lPT10_S7_li.num_agpr, 0
	.set _ZL37rocblas_syrkx_herkx_restricted_kernelIl19rocblas_complex_numIdELi16ELi32ELi8ELi1ELin1ELb1ELc78ELc76EKPKS1_KPS1_EviT_PT9_S7_lS9_S7_lPT10_S7_li.numbered_sgpr, 22
	.set _ZL37rocblas_syrkx_herkx_restricted_kernelIl19rocblas_complex_numIdELi16ELi32ELi8ELi1ELin1ELb1ELc78ELc76EKPKS1_KPS1_EviT_PT9_S7_lS9_S7_lPT10_S7_li.num_named_barrier, 0
	.set _ZL37rocblas_syrkx_herkx_restricted_kernelIl19rocblas_complex_numIdELi16ELi32ELi8ELi1ELin1ELb1ELc78ELc76EKPKS1_KPS1_EviT_PT9_S7_lS9_S7_lPT10_S7_li.private_seg_size, 0
	.set _ZL37rocblas_syrkx_herkx_restricted_kernelIl19rocblas_complex_numIdELi16ELi32ELi8ELi1ELin1ELb1ELc78ELc76EKPKS1_KPS1_EviT_PT9_S7_lS9_S7_lPT10_S7_li.uses_vcc, 1
	.set _ZL37rocblas_syrkx_herkx_restricted_kernelIl19rocblas_complex_numIdELi16ELi32ELi8ELi1ELin1ELb1ELc78ELc76EKPKS1_KPS1_EviT_PT9_S7_lS9_S7_lPT10_S7_li.uses_flat_scratch, 0
	.set _ZL37rocblas_syrkx_herkx_restricted_kernelIl19rocblas_complex_numIdELi16ELi32ELi8ELi1ELin1ELb1ELc78ELc76EKPKS1_KPS1_EviT_PT9_S7_lS9_S7_lPT10_S7_li.has_dyn_sized_stack, 0
	.set _ZL37rocblas_syrkx_herkx_restricted_kernelIl19rocblas_complex_numIdELi16ELi32ELi8ELi1ELin1ELb1ELc78ELc76EKPKS1_KPS1_EviT_PT9_S7_lS9_S7_lPT10_S7_li.has_recursion, 0
	.set _ZL37rocblas_syrkx_herkx_restricted_kernelIl19rocblas_complex_numIdELi16ELi32ELi8ELi1ELin1ELb1ELc78ELc76EKPKS1_KPS1_EviT_PT9_S7_lS9_S7_lPT10_S7_li.has_indirect_call, 0
	.section	.AMDGPU.csdata,"",@progbits
; Kernel info:
; codeLenInByte = 2996
; TotalNumSgprs: 26
; NumVgprs: 54
; ScratchSize: 0
; MemoryBound: 0
; FloatMode: 240
; IeeeMode: 1
; LDSByteSize: 8192 bytes/workgroup (compile time only)
; SGPRBlocks: 8
; VGPRBlocks: 13
; NumSGPRsForWavesPerEU: 65
; NumVGPRsForWavesPerEU: 54
; Occupancy: 4
; WaveLimiterHint : 1
; COMPUTE_PGM_RSRC2:SCRATCH_EN: 0
; COMPUTE_PGM_RSRC2:USER_SGPR: 6
; COMPUTE_PGM_RSRC2:TRAP_HANDLER: 0
; COMPUTE_PGM_RSRC2:TGID_X_EN: 1
; COMPUTE_PGM_RSRC2:TGID_Y_EN: 1
; COMPUTE_PGM_RSRC2:TGID_Z_EN: 1
; COMPUTE_PGM_RSRC2:TIDIG_COMP_CNT: 1
	.section	.text._ZL37rocblas_syrkx_herkx_restricted_kernelIl19rocblas_complex_numIdELi16ELi32ELi8ELi1ELin1ELb1ELc84ELc85EKPKS1_KPS1_EviT_PT9_S7_lS9_S7_lPT10_S7_li,"axG",@progbits,_ZL37rocblas_syrkx_herkx_restricted_kernelIl19rocblas_complex_numIdELi16ELi32ELi8ELi1ELin1ELb1ELc84ELc85EKPKS1_KPS1_EviT_PT9_S7_lS9_S7_lPT10_S7_li,comdat
	.globl	_ZL37rocblas_syrkx_herkx_restricted_kernelIl19rocblas_complex_numIdELi16ELi32ELi8ELi1ELin1ELb1ELc84ELc85EKPKS1_KPS1_EviT_PT9_S7_lS9_S7_lPT10_S7_li ; -- Begin function _ZL37rocblas_syrkx_herkx_restricted_kernelIl19rocblas_complex_numIdELi16ELi32ELi8ELi1ELin1ELb1ELc84ELc85EKPKS1_KPS1_EviT_PT9_S7_lS9_S7_lPT10_S7_li
	.p2align	8
	.type	_ZL37rocblas_syrkx_herkx_restricted_kernelIl19rocblas_complex_numIdELi16ELi32ELi8ELi1ELin1ELb1ELc84ELc85EKPKS1_KPS1_EviT_PT9_S7_lS9_S7_lPT10_S7_li,@function
_ZL37rocblas_syrkx_herkx_restricted_kernelIl19rocblas_complex_numIdELi16ELi32ELi8ELi1ELin1ELb1ELc84ELc85EKPKS1_KPS1_EviT_PT9_S7_lS9_S7_lPT10_S7_li: ; @_ZL37rocblas_syrkx_herkx_restricted_kernelIl19rocblas_complex_numIdELi16ELi32ELi8ELi1ELin1ELb1ELc84ELc85EKPKS1_KPS1_EviT_PT9_S7_lS9_S7_lPT10_S7_li
; %bb.0:
	s_load_dwordx4 s[0:3], s[4:5], 0x40
	s_load_dwordx4 s[12:15], s[4:5], 0x8
	s_mov_b32 s9, 0
	s_lshl_b64 s[10:11], s[8:9], 3
	s_waitcnt lgkmcnt(0)
	s_add_u32 s0, s0, s10
	s_addc_u32 s1, s1, s11
	s_load_dwordx2 s[8:9], s[0:1], 0x0
	v_cmp_lt_i64_e64 s[0:1], s[12:13], 1
	s_lshl_b32 s6, s6, 5
	s_lshl_b32 s7, s7, 5
	s_and_b64 vcc, exec, s[0:1]
	s_cbranch_vccnz .LBB1782_3
; %bb.1:
	s_load_dwordx2 s[0:1], s[4:5], 0x18
	s_load_dwordx4 s[16:19], s[4:5], 0x28
	v_lshl_add_u32 v6, v1, 4, v0
	v_lshrrev_b32_e32 v8, 3, v6
	v_add_u32_e32 v4, s7, v8
	v_ashrrev_i32_e32 v5, 31, v4
	v_and_b32_e32 v2, 7, v0
	v_mov_b32_e32 v3, 0
	s_waitcnt lgkmcnt(0)
	v_mul_lo_u32 v7, s18, v5
	v_mul_lo_u32 v9, s19, v4
	v_mad_u64_u32 v[4:5], s[18:19], s18, v4, v[2:3]
	s_add_u32 s14, s14, s10
	v_lshlrev_b32_e32 v2, 4, v2
	v_add3_u32 v5, v9, v5, v7
	v_and_b32_e32 v9, 31, v6
	s_addc_u32 s15, s15, s11
	v_lshl_or_b32 v2, v8, 7, v2
	v_add_u32_e32 v8, s6, v9
	s_add_u32 s10, s16, s10
	v_lshrrev_b32_e32 v6, 5, v6
	v_mov_b32_e32 v7, v3
	v_lshlrev_b32_e32 v3, 4, v9
	v_add_u32_e32 v23, 0x1000, v2
	v_ashrrev_i32_e32 v2, 31, v8
	s_addc_u32 s11, s17, s11
	v_lshl_or_b32 v22, v6, 9, v3
	v_mul_lo_u32 v9, s0, v2
	v_mad_u64_u32 v[2:3], s[16:17], s0, v8, v[6:7]
	v_mul_lo_u32 v6, s1, v8
	s_load_dwordx2 s[14:15], s[14:15], 0x0
	v_lshlrev_b64 v[4:5], 4, v[4:5]
	s_load_dwordx2 s[10:11], s[10:11], 0x0
	v_add3_u32 v3, v6, v3, v9
	v_lshlrev_b64 v[2:3], 4, v[2:3]
	s_waitcnt lgkmcnt(0)
	v_mov_b32_e32 v6, s15
	v_add_co_u32_e32 v2, vcc, s14, v2
	v_addc_co_u32_e32 v3, vcc, v6, v3, vcc
	v_mov_b32_e32 v7, 0x1000
	v_mov_b32_e32 v6, s11
	v_add_co_u32_e32 v4, vcc, s10, v4
	v_lshl_add_u32 v25, v1, 7, v7
	v_addc_co_u32_e32 v5, vcc, v6, v5, vcc
	v_mov_b32_e32 v10, 0
	v_mov_b32_e32 v12, 0
	;; [unrolled: 1-line block ×8, first 2 shown]
	v_lshlrev_b32_e32 v24, 4, v0
	v_mov_b32_e32 v11, 0
	v_mov_b32_e32 v13, 0
	;; [unrolled: 1-line block ×8, first 2 shown]
	s_mov_b64 s[0:1], 0
.LBB1782_2:                             ; =>This Inner Loop Header: Depth=1
	flat_load_dwordx4 v[26:29], v[2:3]
	s_add_u32 s0, s0, 8
	v_add_co_u32_e32 v2, vcc, 0x80, v2
	s_addc_u32 s1, s1, 0
	v_addc_co_u32_e32 v3, vcc, 0, v3, vcc
	s_waitcnt vmcnt(0) lgkmcnt(0)
	ds_write_b128 v22, v[26:29]
	flat_load_dwordx4 v[26:29], v[4:5]
	v_add_co_u32_e32 v4, vcc, 0x80, v4
	v_addc_co_u32_e32 v5, vcc, 0, v5, vcc
	s_waitcnt vmcnt(0) lgkmcnt(0)
	ds_write_b128 v23, v[26:29]
	s_waitcnt lgkmcnt(0)
	s_barrier
	ds_read_b128 v[26:29], v25
	ds_read_b128 v[30:33], v25 offset:16
	ds_read_b128 v[34:37], v25 offset:32
	;; [unrolled: 1-line block ×3, first 2 shown]
	ds_read_b128 v[42:45], v24
	s_waitcnt lgkmcnt(0)
	v_mul_f64 v[46:47], v[28:29], v[44:45]
	v_mul_f64 v[48:49], v[26:27], v[44:45]
	v_fma_f64 v[46:47], v[26:27], v[42:43], -v[46:47]
	v_fma_f64 v[48:49], v[28:29], v[42:43], v[48:49]
	v_add_f64 v[46:47], v[18:19], v[46:47]
	v_add_f64 v[48:49], v[48:49], v[20:21]
	ds_read_b128 v[18:21], v24 offset:256
	s_waitcnt lgkmcnt(0)
	v_mul_f64 v[50:51], v[28:29], v[20:21]
	v_fma_f64 v[50:51], v[26:27], v[18:19], -v[50:51]
	v_mul_f64 v[26:27], v[26:27], v[20:21]
	v_fma_f64 v[26:27], v[28:29], v[18:19], v[26:27]
	v_add_f64 v[28:29], v[6:7], v[50:51]
	v_add_f64 v[26:27], v[26:27], v[8:9]
	ds_read_b128 v[6:9], v25 offset:2048
	s_waitcnt lgkmcnt(0)
	v_mul_f64 v[50:51], v[8:9], v[44:45]
	v_mul_f64 v[44:45], v[6:7], v[44:45]
	v_fma_f64 v[50:51], v[6:7], v[42:43], -v[50:51]
	v_fma_f64 v[42:43], v[8:9], v[42:43], v[44:45]
	v_add_f64 v[44:45], v[14:15], v[50:51]
	v_mul_f64 v[14:15], v[8:9], v[20:21]
	v_add_f64 v[42:43], v[42:43], v[16:17]
	v_fma_f64 v[14:15], v[6:7], v[18:19], -v[14:15]
	v_mul_f64 v[6:7], v[6:7], v[20:21]
	v_fma_f64 v[6:7], v[8:9], v[18:19], v[6:7]
	v_add_f64 v[18:19], v[12:13], v[14:15]
	v_add_f64 v[20:21], v[6:7], v[10:11]
	ds_read_b128 v[6:9], v24 offset:512
	s_waitcnt lgkmcnt(0)
	v_mul_f64 v[10:11], v[32:33], v[8:9]
	v_mul_f64 v[12:13], v[30:31], v[8:9]
	v_fma_f64 v[10:11], v[30:31], v[6:7], -v[10:11]
	v_fma_f64 v[12:13], v[32:33], v[6:7], v[12:13]
	v_add_f64 v[46:47], v[46:47], v[10:11]
	v_add_f64 v[48:49], v[12:13], v[48:49]
	ds_read_b128 v[10:13], v24 offset:768
	s_waitcnt lgkmcnt(0)
	v_mul_f64 v[14:15], v[32:33], v[12:13]
	v_mul_f64 v[16:17], v[30:31], v[12:13]
	v_fma_f64 v[14:15], v[30:31], v[10:11], -v[14:15]
	;; [unrolled: 8-line block ×3, first 2 shown]
	v_fma_f64 v[6:7], v[16:17], v[6:7], v[8:9]
	v_mul_f64 v[8:9], v[14:15], v[12:13]
	v_add_f64 v[30:31], v[44:45], v[30:31]
	v_add_f64 v[32:33], v[6:7], v[42:43]
	v_mul_f64 v[6:7], v[16:17], v[12:13]
	v_fma_f64 v[8:9], v[16:17], v[10:11], v[8:9]
	v_fma_f64 v[6:7], v[14:15], v[10:11], -v[6:7]
	v_add_f64 v[20:21], v[8:9], v[20:21]
	v_add_f64 v[18:19], v[18:19], v[6:7]
	ds_read_b128 v[6:9], v24 offset:1024
	s_waitcnt lgkmcnt(0)
	v_mul_f64 v[10:11], v[36:37], v[8:9]
	v_mul_f64 v[12:13], v[34:35], v[8:9]
	v_fma_f64 v[10:11], v[34:35], v[6:7], -v[10:11]
	v_fma_f64 v[12:13], v[36:37], v[6:7], v[12:13]
	v_add_f64 v[42:43], v[46:47], v[10:11]
	v_add_f64 v[44:45], v[12:13], v[48:49]
	ds_read_b128 v[10:13], v24 offset:1280
	s_waitcnt lgkmcnt(0)
	v_mul_f64 v[14:15], v[36:37], v[12:13]
	v_mul_f64 v[16:17], v[34:35], v[12:13]
	v_fma_f64 v[14:15], v[34:35], v[10:11], -v[14:15]
	v_fma_f64 v[16:17], v[36:37], v[10:11], v[16:17]
	;; [unrolled: 8-line block ×3, first 2 shown]
	v_mul_f64 v[8:9], v[14:15], v[12:13]
	v_add_f64 v[30:31], v[30:31], v[34:35]
	v_add_f64 v[32:33], v[6:7], v[32:33]
	v_mul_f64 v[6:7], v[16:17], v[12:13]
	v_fma_f64 v[8:9], v[16:17], v[10:11], v[8:9]
	v_fma_f64 v[6:7], v[14:15], v[10:11], -v[6:7]
	v_add_f64 v[20:21], v[8:9], v[20:21]
	v_add_f64 v[18:19], v[18:19], v[6:7]
	ds_read_b128 v[6:9], v24 offset:1536
	s_waitcnt lgkmcnt(0)
	v_mul_f64 v[10:11], v[40:41], v[8:9]
	v_mul_f64 v[12:13], v[38:39], v[8:9]
	v_fma_f64 v[10:11], v[38:39], v[6:7], -v[10:11]
	v_fma_f64 v[12:13], v[40:41], v[6:7], v[12:13]
	v_add_f64 v[34:35], v[42:43], v[10:11]
	v_add_f64 v[36:37], v[12:13], v[44:45]
	ds_read_b128 v[10:13], v24 offset:1792
	s_waitcnt lgkmcnt(0)
	v_mul_f64 v[14:15], v[40:41], v[12:13]
	v_mul_f64 v[16:17], v[38:39], v[12:13]
	v_fma_f64 v[14:15], v[38:39], v[10:11], -v[14:15]
	v_fma_f64 v[16:17], v[40:41], v[10:11], v[16:17]
	v_add_f64 v[28:29], v[28:29], v[14:15]
	v_add_f64 v[26:27], v[16:17], v[26:27]
	ds_read_b128 v[14:17], v25 offset:2096
	s_waitcnt lgkmcnt(0)
	v_mul_f64 v[38:39], v[16:17], v[8:9]
	v_mul_f64 v[8:9], v[14:15], v[8:9]
	v_fma_f64 v[38:39], v[14:15], v[6:7], -v[38:39]
	v_fma_f64 v[6:7], v[16:17], v[6:7], v[8:9]
	v_mul_f64 v[8:9], v[14:15], v[12:13]
	v_add_f64 v[30:31], v[30:31], v[38:39]
	v_add_f64 v[32:33], v[6:7], v[32:33]
	v_mul_f64 v[6:7], v[16:17], v[12:13]
	v_fma_f64 v[8:9], v[16:17], v[10:11], v[8:9]
	v_fma_f64 v[6:7], v[14:15], v[10:11], -v[6:7]
	v_add_f64 v[20:21], v[8:9], v[20:21]
	v_add_f64 v[18:19], v[18:19], v[6:7]
	ds_read_b128 v[6:9], v25 offset:64
	ds_read_b128 v[10:13], v24 offset:2048
	s_waitcnt lgkmcnt(0)
	v_mul_f64 v[14:15], v[8:9], v[12:13]
	v_mul_f64 v[16:17], v[6:7], v[12:13]
	v_fma_f64 v[14:15], v[6:7], v[10:11], -v[14:15]
	v_fma_f64 v[16:17], v[8:9], v[10:11], v[16:17]
	v_add_f64 v[34:35], v[34:35], v[14:15]
	v_add_f64 v[36:37], v[16:17], v[36:37]
	ds_read_b128 v[14:17], v24 offset:2304
	s_waitcnt lgkmcnt(0)
	v_mul_f64 v[38:39], v[8:9], v[16:17]
	v_fma_f64 v[38:39], v[6:7], v[14:15], -v[38:39]
	v_mul_f64 v[6:7], v[6:7], v[16:17]
	v_add_f64 v[28:29], v[28:29], v[38:39]
	v_fma_f64 v[6:7], v[8:9], v[14:15], v[6:7]
	v_add_f64 v[26:27], v[6:7], v[26:27]
	ds_read_b128 v[6:9], v25 offset:2112
	s_waitcnt lgkmcnt(0)
	v_mul_f64 v[38:39], v[8:9], v[12:13]
	v_mul_f64 v[12:13], v[6:7], v[12:13]
	v_fma_f64 v[38:39], v[6:7], v[10:11], -v[38:39]
	v_fma_f64 v[10:11], v[8:9], v[10:11], v[12:13]
	v_add_f64 v[30:31], v[30:31], v[38:39]
	v_add_f64 v[32:33], v[10:11], v[32:33]
	v_mul_f64 v[10:11], v[8:9], v[16:17]
	v_fma_f64 v[10:11], v[6:7], v[14:15], -v[10:11]
	v_mul_f64 v[6:7], v[6:7], v[16:17]
	v_add_f64 v[18:19], v[18:19], v[10:11]
	v_fma_f64 v[6:7], v[8:9], v[14:15], v[6:7]
	v_add_f64 v[20:21], v[6:7], v[20:21]
	ds_read_b128 v[6:9], v25 offset:80
	ds_read_b128 v[10:13], v24 offset:2560
	s_waitcnt lgkmcnt(0)
	v_mul_f64 v[14:15], v[8:9], v[12:13]
	v_mul_f64 v[16:17], v[6:7], v[12:13]
	v_fma_f64 v[14:15], v[6:7], v[10:11], -v[14:15]
	v_fma_f64 v[16:17], v[8:9], v[10:11], v[16:17]
	v_add_f64 v[34:35], v[34:35], v[14:15]
	v_add_f64 v[36:37], v[16:17], v[36:37]
	ds_read_b128 v[14:17], v24 offset:2816
	s_waitcnt lgkmcnt(0)
	v_mul_f64 v[38:39], v[8:9], v[16:17]
	v_fma_f64 v[38:39], v[6:7], v[14:15], -v[38:39]
	v_mul_f64 v[6:7], v[6:7], v[16:17]
	v_add_f64 v[28:29], v[28:29], v[38:39]
	v_fma_f64 v[6:7], v[8:9], v[14:15], v[6:7]
	v_add_f64 v[26:27], v[6:7], v[26:27]
	ds_read_b128 v[6:9], v25 offset:2128
	s_waitcnt lgkmcnt(0)
	v_mul_f64 v[38:39], v[8:9], v[12:13]
	v_mul_f64 v[12:13], v[6:7], v[12:13]
	v_fma_f64 v[38:39], v[6:7], v[10:11], -v[38:39]
	v_fma_f64 v[10:11], v[8:9], v[10:11], v[12:13]
	v_add_f64 v[30:31], v[30:31], v[38:39]
	v_add_f64 v[32:33], v[10:11], v[32:33]
	v_mul_f64 v[10:11], v[8:9], v[16:17]
	v_fma_f64 v[10:11], v[6:7], v[14:15], -v[10:11]
	v_mul_f64 v[6:7], v[6:7], v[16:17]
	v_add_f64 v[18:19], v[18:19], v[10:11]
	v_fma_f64 v[6:7], v[8:9], v[14:15], v[6:7]
	;; [unrolled: 31-line block ×3, first 2 shown]
	v_add_f64 v[48:49], v[6:7], v[20:21]
	ds_read_b128 v[6:9], v25 offset:112
	ds_read_b128 v[10:13], v24 offset:3584
	;; [unrolled: 1-line block ×4, first 2 shown]
	s_waitcnt lgkmcnt(0)
	s_barrier
	v_mul_f64 v[14:15], v[8:9], v[12:13]
	v_mul_f64 v[16:17], v[6:7], v[12:13]
	v_fma_f64 v[14:15], v[6:7], v[10:11], -v[14:15]
	v_fma_f64 v[16:17], v[8:9], v[10:11], v[16:17]
	v_add_f64 v[18:19], v[34:35], v[14:15]
	v_mul_f64 v[14:15], v[8:9], v[28:29]
	v_add_f64 v[20:21], v[16:17], v[36:37]
	v_fma_f64 v[14:15], v[6:7], v[26:27], -v[14:15]
	v_mul_f64 v[6:7], v[6:7], v[28:29]
	v_fma_f64 v[8:9], v[8:9], v[26:27], v[6:7]
	v_add_f64 v[6:7], v[38:39], v[14:15]
	v_mul_f64 v[14:15], v[32:33], v[12:13]
	v_mul_f64 v[12:13], v[30:31], v[12:13]
	v_add_f64 v[8:9], v[8:9], v[40:41]
	v_fma_f64 v[14:15], v[30:31], v[10:11], -v[14:15]
	v_fma_f64 v[10:11], v[32:33], v[10:11], v[12:13]
	v_mul_f64 v[12:13], v[30:31], v[28:29]
	v_add_f64 v[14:15], v[42:43], v[14:15]
	v_add_f64 v[16:17], v[10:11], v[44:45]
	v_mul_f64 v[10:11], v[32:33], v[28:29]
	v_fma_f64 v[10:11], v[30:31], v[26:27], -v[10:11]
	v_fma_f64 v[26:27], v[32:33], v[26:27], v[12:13]
	v_add_f64 v[12:13], v[46:47], v[10:11]
	v_add_f64 v[10:11], v[26:27], v[48:49]
	v_mov_b32_e32 v27, s1
	v_mov_b32_e32 v26, s0
	v_cmp_le_u64_e32 vcc, s[12:13], v[26:27]
	s_cbranch_vccz .LBB1782_2
	s_branch .LBB1782_4
.LBB1782_3:
	v_mov_b32_e32 v18, 0
	v_mov_b32_e32 v20, 0
	;; [unrolled: 1-line block ×16, first 2 shown]
.LBB1782_4:
	v_add_u32_e32 v4, s7, v1
	v_ashrrev_i32_e32 v1, 31, v4
	v_mul_lo_u32 v3, s2, v1
	v_mul_lo_u32 v5, s3, v4
	v_mad_u64_u32 v[1:2], s[0:1], s2, v4, 0
	s_load_dword s10, s[4:5], 0x0
	v_add_u32_e32 v0, s6, v0
	v_add3_u32 v2, v2, v3, v5
	v_lshlrev_b64 v[1:2], 4, v[1:2]
	s_waitcnt lgkmcnt(0)
	v_mov_b32_e32 v3, s9
	v_add_co_u32_e64 v5, s[0:1], s8, v1
	v_addc_co_u32_e64 v22, s[0:1], v3, v2, s[0:1]
	v_cmp_gt_i32_e32 vcc, s10, v4
	v_cmp_le_i32_e64 s[0:1], v0, v4
	s_and_b64 s[0:1], vcc, s[0:1]
	s_and_saveexec_b64 s[4:5], s[0:1]
	s_cbranch_execz .LBB1782_6
; %bb.5:
	v_ashrrev_i32_e32 v1, 31, v0
	v_lshlrev_b64 v[1:2], 4, v[0:1]
	v_add_co_u32_e64 v1, s[0:1], v5, v1
	v_addc_co_u32_e64 v2, s[0:1], v22, v2, s[0:1]
	flat_load_dwordx4 v[23:26], v[1:2]
	v_cmp_ne_u32_e64 s[0:1], v4, v0
	s_waitcnt vmcnt(0) lgkmcnt(0)
	v_add_f64 v[20:21], v[20:21], -v[25:26]
	v_add_f64 v[18:19], v[18:19], -v[23:24]
	v_cndmask_b32_e64 v21, 0, v21, s[0:1]
	v_cndmask_b32_e64 v20, 0, v20, s[0:1]
	flat_store_dwordx4 v[1:2], v[18:21]
.LBB1782_6:
	s_or_b64 exec, exec, s[4:5]
	v_add_u32_e32 v2, 16, v0
	v_cmp_le_i32_e64 s[0:1], v2, v4
	s_and_b64 s[4:5], vcc, s[0:1]
	s_and_saveexec_b64 s[0:1], s[4:5]
	s_cbranch_execz .LBB1782_8
; %bb.7:
	v_ashrrev_i32_e32 v3, 31, v2
	v_lshlrev_b64 v[18:19], 4, v[2:3]
	v_add_co_u32_e32 v23, vcc, v5, v18
	v_addc_co_u32_e32 v24, vcc, v22, v19, vcc
	flat_load_dwordx4 v[18:21], v[23:24]
	v_cmp_ne_u32_e32 vcc, v4, v2
	s_waitcnt vmcnt(0) lgkmcnt(0)
	v_add_f64 v[20:21], v[8:9], -v[20:21]
	v_add_f64 v[5:6], v[6:7], -v[18:19]
	v_cndmask_b32_e32 v8, 0, v21, vcc
	v_cndmask_b32_e32 v7, 0, v20, vcc
	flat_store_dwordx4 v[23:24], v[5:8]
.LBB1782_8:
	s_or_b64 exec, exec, s[0:1]
	v_add_u32_e32 v3, 16, v4
	v_ashrrev_i32_e32 v1, 31, v3
	v_mul_lo_u32 v1, s2, v1
	v_mul_lo_u32 v7, s3, v3
	v_mad_u64_u32 v[5:6], s[0:1], s2, v3, 0
	v_cmp_gt_i32_e32 vcc, s10, v3
	v_add3_u32 v6, v6, v1, v7
	v_lshlrev_b64 v[5:6], 4, v[5:6]
	v_mov_b32_e32 v1, s9
	v_add_co_u32_e64 v5, s[0:1], s8, v5
	v_addc_co_u32_e64 v6, s[0:1], v1, v6, s[0:1]
	v_cmp_le_i32_e64 s[0:1], v0, v3
	s_and_b64 s[0:1], vcc, s[0:1]
	s_and_saveexec_b64 s[2:3], s[0:1]
	s_cbranch_execz .LBB1782_10
; %bb.9:
	v_ashrrev_i32_e32 v1, 31, v0
	v_lshlrev_b64 v[7:8], 4, v[0:1]
	v_add_co_u32_e64 v7, s[0:1], v5, v7
	v_addc_co_u32_e64 v8, s[0:1], v6, v8, s[0:1]
	flat_load_dwordx4 v[18:21], v[7:8]
	v_cmp_ne_u32_e64 s[0:1], v3, v0
	s_waitcnt vmcnt(0) lgkmcnt(0)
	v_add_f64 v[16:17], v[16:17], -v[20:21]
	v_add_f64 v[14:15], v[14:15], -v[18:19]
	v_cndmask_b32_e64 v17, 0, v17, s[0:1]
	v_cndmask_b32_e64 v16, 0, v16, s[0:1]
	flat_store_dwordx4 v[7:8], v[14:17]
.LBB1782_10:
	s_or_b64 exec, exec, s[2:3]
	v_cmp_le_i32_e64 s[0:1], v2, v3
	s_and_b64 s[0:1], vcc, s[0:1]
	s_and_saveexec_b64 s[2:3], s[0:1]
	s_cbranch_execz .LBB1782_12
; %bb.11:
	v_ashrrev_i32_e32 v3, 31, v2
	v_lshlrev_b64 v[1:2], 4, v[2:3]
	v_add_co_u32_e32 v14, vcc, v5, v1
	v_addc_co_u32_e32 v15, vcc, v6, v2, vcc
	flat_load_dwordx4 v[5:8], v[14:15]
	v_cmp_ne_u32_e32 vcc, v4, v0
	s_waitcnt vmcnt(0) lgkmcnt(0)
	v_add_f64 v[7:8], v[10:11], -v[7:8]
	v_add_f64 v[1:2], v[12:13], -v[5:6]
	v_cndmask_b32_e32 v4, 0, v8, vcc
	v_cndmask_b32_e32 v3, 0, v7, vcc
	flat_store_dwordx4 v[14:15], v[1:4]
.LBB1782_12:
	s_endpgm
	.section	.rodata,"a",@progbits
	.p2align	6, 0x0
	.amdhsa_kernel _ZL37rocblas_syrkx_herkx_restricted_kernelIl19rocblas_complex_numIdELi16ELi32ELi8ELi1ELin1ELb1ELc84ELc85EKPKS1_KPS1_EviT_PT9_S7_lS9_S7_lPT10_S7_li
		.amdhsa_group_segment_fixed_size 8192
		.amdhsa_private_segment_fixed_size 0
		.amdhsa_kernarg_size 92
		.amdhsa_user_sgpr_count 6
		.amdhsa_user_sgpr_private_segment_buffer 1
		.amdhsa_user_sgpr_dispatch_ptr 0
		.amdhsa_user_sgpr_queue_ptr 0
		.amdhsa_user_sgpr_kernarg_segment_ptr 1
		.amdhsa_user_sgpr_dispatch_id 0
		.amdhsa_user_sgpr_flat_scratch_init 0
		.amdhsa_user_sgpr_private_segment_size 0
		.amdhsa_uses_dynamic_stack 0
		.amdhsa_system_sgpr_private_segment_wavefront_offset 0
		.amdhsa_system_sgpr_workgroup_id_x 1
		.amdhsa_system_sgpr_workgroup_id_y 1
		.amdhsa_system_sgpr_workgroup_id_z 1
		.amdhsa_system_sgpr_workgroup_info 0
		.amdhsa_system_vgpr_workitem_id 1
		.amdhsa_next_free_vgpr 52
		.amdhsa_next_free_sgpr 61
		.amdhsa_reserve_vcc 1
		.amdhsa_reserve_flat_scratch 0
		.amdhsa_float_round_mode_32 0
		.amdhsa_float_round_mode_16_64 0
		.amdhsa_float_denorm_mode_32 3
		.amdhsa_float_denorm_mode_16_64 3
		.amdhsa_dx10_clamp 1
		.amdhsa_ieee_mode 1
		.amdhsa_fp16_overflow 0
		.amdhsa_exception_fp_ieee_invalid_op 0
		.amdhsa_exception_fp_denorm_src 0
		.amdhsa_exception_fp_ieee_div_zero 0
		.amdhsa_exception_fp_ieee_overflow 0
		.amdhsa_exception_fp_ieee_underflow 0
		.amdhsa_exception_fp_ieee_inexact 0
		.amdhsa_exception_int_div_zero 0
	.end_amdhsa_kernel
	.section	.text._ZL37rocblas_syrkx_herkx_restricted_kernelIl19rocblas_complex_numIdELi16ELi32ELi8ELi1ELin1ELb1ELc84ELc85EKPKS1_KPS1_EviT_PT9_S7_lS9_S7_lPT10_S7_li,"axG",@progbits,_ZL37rocblas_syrkx_herkx_restricted_kernelIl19rocblas_complex_numIdELi16ELi32ELi8ELi1ELin1ELb1ELc84ELc85EKPKS1_KPS1_EviT_PT9_S7_lS9_S7_lPT10_S7_li,comdat
.Lfunc_end1782:
	.size	_ZL37rocblas_syrkx_herkx_restricted_kernelIl19rocblas_complex_numIdELi16ELi32ELi8ELi1ELin1ELb1ELc84ELc85EKPKS1_KPS1_EviT_PT9_S7_lS9_S7_lPT10_S7_li, .Lfunc_end1782-_ZL37rocblas_syrkx_herkx_restricted_kernelIl19rocblas_complex_numIdELi16ELi32ELi8ELi1ELin1ELb1ELc84ELc85EKPKS1_KPS1_EviT_PT9_S7_lS9_S7_lPT10_S7_li
                                        ; -- End function
	.set _ZL37rocblas_syrkx_herkx_restricted_kernelIl19rocblas_complex_numIdELi16ELi32ELi8ELi1ELin1ELb1ELc84ELc85EKPKS1_KPS1_EviT_PT9_S7_lS9_S7_lPT10_S7_li.num_vgpr, 52
	.set _ZL37rocblas_syrkx_herkx_restricted_kernelIl19rocblas_complex_numIdELi16ELi32ELi8ELi1ELin1ELb1ELc84ELc85EKPKS1_KPS1_EviT_PT9_S7_lS9_S7_lPT10_S7_li.num_agpr, 0
	.set _ZL37rocblas_syrkx_herkx_restricted_kernelIl19rocblas_complex_numIdELi16ELi32ELi8ELi1ELin1ELb1ELc84ELc85EKPKS1_KPS1_EviT_PT9_S7_lS9_S7_lPT10_S7_li.numbered_sgpr, 20
	.set _ZL37rocblas_syrkx_herkx_restricted_kernelIl19rocblas_complex_numIdELi16ELi32ELi8ELi1ELin1ELb1ELc84ELc85EKPKS1_KPS1_EviT_PT9_S7_lS9_S7_lPT10_S7_li.num_named_barrier, 0
	.set _ZL37rocblas_syrkx_herkx_restricted_kernelIl19rocblas_complex_numIdELi16ELi32ELi8ELi1ELin1ELb1ELc84ELc85EKPKS1_KPS1_EviT_PT9_S7_lS9_S7_lPT10_S7_li.private_seg_size, 0
	.set _ZL37rocblas_syrkx_herkx_restricted_kernelIl19rocblas_complex_numIdELi16ELi32ELi8ELi1ELin1ELb1ELc84ELc85EKPKS1_KPS1_EviT_PT9_S7_lS9_S7_lPT10_S7_li.uses_vcc, 1
	.set _ZL37rocblas_syrkx_herkx_restricted_kernelIl19rocblas_complex_numIdELi16ELi32ELi8ELi1ELin1ELb1ELc84ELc85EKPKS1_KPS1_EviT_PT9_S7_lS9_S7_lPT10_S7_li.uses_flat_scratch, 0
	.set _ZL37rocblas_syrkx_herkx_restricted_kernelIl19rocblas_complex_numIdELi16ELi32ELi8ELi1ELin1ELb1ELc84ELc85EKPKS1_KPS1_EviT_PT9_S7_lS9_S7_lPT10_S7_li.has_dyn_sized_stack, 0
	.set _ZL37rocblas_syrkx_herkx_restricted_kernelIl19rocblas_complex_numIdELi16ELi32ELi8ELi1ELin1ELb1ELc84ELc85EKPKS1_KPS1_EviT_PT9_S7_lS9_S7_lPT10_S7_li.has_recursion, 0
	.set _ZL37rocblas_syrkx_herkx_restricted_kernelIl19rocblas_complex_numIdELi16ELi32ELi8ELi1ELin1ELb1ELc84ELc85EKPKS1_KPS1_EviT_PT9_S7_lS9_S7_lPT10_S7_li.has_indirect_call, 0
	.section	.AMDGPU.csdata,"",@progbits
; Kernel info:
; codeLenInByte = 3016
; TotalNumSgprs: 24
; NumVgprs: 52
; ScratchSize: 0
; MemoryBound: 0
; FloatMode: 240
; IeeeMode: 1
; LDSByteSize: 8192 bytes/workgroup (compile time only)
; SGPRBlocks: 8
; VGPRBlocks: 12
; NumSGPRsForWavesPerEU: 65
; NumVGPRsForWavesPerEU: 52
; Occupancy: 4
; WaveLimiterHint : 1
; COMPUTE_PGM_RSRC2:SCRATCH_EN: 0
; COMPUTE_PGM_RSRC2:USER_SGPR: 6
; COMPUTE_PGM_RSRC2:TRAP_HANDLER: 0
; COMPUTE_PGM_RSRC2:TGID_X_EN: 1
; COMPUTE_PGM_RSRC2:TGID_Y_EN: 1
; COMPUTE_PGM_RSRC2:TGID_Z_EN: 1
; COMPUTE_PGM_RSRC2:TIDIG_COMP_CNT: 1
	.section	.text._ZL37rocblas_syrkx_herkx_restricted_kernelIl19rocblas_complex_numIdELi16ELi32ELi8ELi1ELin1ELb1ELc67ELc85EKPKS1_KPS1_EviT_PT9_S7_lS9_S7_lPT10_S7_li,"axG",@progbits,_ZL37rocblas_syrkx_herkx_restricted_kernelIl19rocblas_complex_numIdELi16ELi32ELi8ELi1ELin1ELb1ELc67ELc85EKPKS1_KPS1_EviT_PT9_S7_lS9_S7_lPT10_S7_li,comdat
	.globl	_ZL37rocblas_syrkx_herkx_restricted_kernelIl19rocblas_complex_numIdELi16ELi32ELi8ELi1ELin1ELb1ELc67ELc85EKPKS1_KPS1_EviT_PT9_S7_lS9_S7_lPT10_S7_li ; -- Begin function _ZL37rocblas_syrkx_herkx_restricted_kernelIl19rocblas_complex_numIdELi16ELi32ELi8ELi1ELin1ELb1ELc67ELc85EKPKS1_KPS1_EviT_PT9_S7_lS9_S7_lPT10_S7_li
	.p2align	8
	.type	_ZL37rocblas_syrkx_herkx_restricted_kernelIl19rocblas_complex_numIdELi16ELi32ELi8ELi1ELin1ELb1ELc67ELc85EKPKS1_KPS1_EviT_PT9_S7_lS9_S7_lPT10_S7_li,@function
_ZL37rocblas_syrkx_herkx_restricted_kernelIl19rocblas_complex_numIdELi16ELi32ELi8ELi1ELin1ELb1ELc67ELc85EKPKS1_KPS1_EviT_PT9_S7_lS9_S7_lPT10_S7_li: ; @_ZL37rocblas_syrkx_herkx_restricted_kernelIl19rocblas_complex_numIdELi16ELi32ELi8ELi1ELin1ELb1ELc67ELc85EKPKS1_KPS1_EviT_PT9_S7_lS9_S7_lPT10_S7_li
; %bb.0:
	s_load_dwordx4 s[0:3], s[4:5], 0x40
	s_load_dwordx4 s[12:15], s[4:5], 0x8
	s_mov_b32 s9, 0
	s_lshl_b64 s[10:11], s[8:9], 3
	s_waitcnt lgkmcnt(0)
	s_add_u32 s0, s0, s10
	s_addc_u32 s1, s1, s11
	s_load_dwordx2 s[8:9], s[0:1], 0x0
	v_cmp_lt_i64_e64 s[0:1], s[12:13], 1
	s_lshl_b32 s6, s6, 5
	s_lshl_b32 s7, s7, 5
	s_and_b64 vcc, exec, s[0:1]
	s_cbranch_vccnz .LBB1783_3
; %bb.1:
	s_load_dwordx2 s[0:1], s[4:5], 0x18
	s_load_dwordx4 s[16:19], s[4:5], 0x28
	v_lshl_add_u32 v6, v1, 4, v0
	v_lshrrev_b32_e32 v8, 3, v6
	v_add_u32_e32 v4, s7, v8
	v_ashrrev_i32_e32 v5, 31, v4
	v_and_b32_e32 v2, 7, v0
	v_mov_b32_e32 v3, 0
	s_waitcnt lgkmcnt(0)
	v_mul_lo_u32 v7, s18, v5
	v_mul_lo_u32 v9, s19, v4
	v_mad_u64_u32 v[4:5], s[18:19], s18, v4, v[2:3]
	s_add_u32 s14, s14, s10
	v_lshlrev_b32_e32 v2, 4, v2
	v_add3_u32 v5, v9, v5, v7
	v_and_b32_e32 v9, 31, v6
	s_addc_u32 s15, s15, s11
	v_lshl_or_b32 v2, v8, 7, v2
	v_add_u32_e32 v8, s6, v9
	s_add_u32 s10, s16, s10
	v_lshrrev_b32_e32 v6, 5, v6
	v_mov_b32_e32 v7, v3
	v_lshlrev_b32_e32 v3, 4, v9
	v_add_u32_e32 v23, 0x1000, v2
	v_ashrrev_i32_e32 v2, 31, v8
	s_addc_u32 s11, s17, s11
	v_lshl_or_b32 v22, v6, 9, v3
	v_mul_lo_u32 v9, s0, v2
	v_mad_u64_u32 v[2:3], s[16:17], s0, v8, v[6:7]
	v_mul_lo_u32 v6, s1, v8
	s_load_dwordx2 s[14:15], s[14:15], 0x0
	v_lshlrev_b64 v[4:5], 4, v[4:5]
	s_load_dwordx2 s[10:11], s[10:11], 0x0
	v_add3_u32 v3, v6, v3, v9
	v_lshlrev_b64 v[2:3], 4, v[2:3]
	s_waitcnt lgkmcnt(0)
	v_mov_b32_e32 v6, s15
	v_add_co_u32_e32 v2, vcc, s14, v2
	v_addc_co_u32_e32 v3, vcc, v6, v3, vcc
	v_mov_b32_e32 v7, 0x1000
	v_mov_b32_e32 v6, s11
	v_add_co_u32_e32 v4, vcc, s10, v4
	v_lshl_add_u32 v25, v1, 7, v7
	v_addc_co_u32_e32 v5, vcc, v6, v5, vcc
	v_mov_b32_e32 v10, 0
	v_mov_b32_e32 v12, 0
	;; [unrolled: 1-line block ×8, first 2 shown]
	v_lshlrev_b32_e32 v24, 4, v0
	v_mov_b32_e32 v11, 0
	v_mov_b32_e32 v13, 0
	;; [unrolled: 1-line block ×8, first 2 shown]
	s_mov_b64 s[0:1], 0
.LBB1783_2:                             ; =>This Inner Loop Header: Depth=1
	flat_load_dwordx4 v[26:29], v[2:3]
	s_add_u32 s0, s0, 8
	v_add_co_u32_e32 v2, vcc, 0x80, v2
	s_addc_u32 s1, s1, 0
	v_addc_co_u32_e32 v3, vcc, 0, v3, vcc
	s_waitcnt vmcnt(0) lgkmcnt(0)
	v_xor_b32_e32 v29, 0x80000000, v29
	ds_write_b128 v22, v[26:29]
	flat_load_dwordx4 v[26:29], v[4:5]
	v_add_co_u32_e32 v4, vcc, 0x80, v4
	v_addc_co_u32_e32 v5, vcc, 0, v5, vcc
	s_waitcnt vmcnt(0) lgkmcnt(0)
	ds_write_b128 v23, v[26:29]
	s_waitcnt lgkmcnt(0)
	s_barrier
	ds_read_b128 v[26:29], v25
	ds_read_b128 v[30:33], v25 offset:16
	ds_read_b128 v[34:37], v25 offset:32
	;; [unrolled: 1-line block ×3, first 2 shown]
	ds_read_b128 v[42:45], v24
	s_waitcnt lgkmcnt(0)
	v_mul_f64 v[46:47], v[28:29], v[44:45]
	v_mul_f64 v[48:49], v[26:27], v[44:45]
	v_fma_f64 v[46:47], v[26:27], v[42:43], -v[46:47]
	v_fma_f64 v[48:49], v[28:29], v[42:43], v[48:49]
	v_add_f64 v[46:47], v[18:19], v[46:47]
	v_add_f64 v[48:49], v[48:49], v[20:21]
	ds_read_b128 v[18:21], v24 offset:256
	s_waitcnt lgkmcnt(0)
	v_mul_f64 v[50:51], v[28:29], v[20:21]
	v_fma_f64 v[50:51], v[26:27], v[18:19], -v[50:51]
	v_mul_f64 v[26:27], v[26:27], v[20:21]
	v_fma_f64 v[26:27], v[28:29], v[18:19], v[26:27]
	v_add_f64 v[28:29], v[6:7], v[50:51]
	v_add_f64 v[26:27], v[26:27], v[8:9]
	ds_read_b128 v[6:9], v25 offset:2048
	s_waitcnt lgkmcnt(0)
	v_mul_f64 v[50:51], v[8:9], v[44:45]
	v_mul_f64 v[44:45], v[6:7], v[44:45]
	v_fma_f64 v[50:51], v[6:7], v[42:43], -v[50:51]
	v_fma_f64 v[42:43], v[8:9], v[42:43], v[44:45]
	v_add_f64 v[44:45], v[14:15], v[50:51]
	v_mul_f64 v[14:15], v[8:9], v[20:21]
	v_add_f64 v[42:43], v[42:43], v[16:17]
	v_fma_f64 v[14:15], v[6:7], v[18:19], -v[14:15]
	v_mul_f64 v[6:7], v[6:7], v[20:21]
	v_fma_f64 v[6:7], v[8:9], v[18:19], v[6:7]
	v_add_f64 v[18:19], v[12:13], v[14:15]
	v_add_f64 v[20:21], v[6:7], v[10:11]
	ds_read_b128 v[6:9], v24 offset:512
	s_waitcnt lgkmcnt(0)
	v_mul_f64 v[10:11], v[32:33], v[8:9]
	v_mul_f64 v[12:13], v[30:31], v[8:9]
	v_fma_f64 v[10:11], v[30:31], v[6:7], -v[10:11]
	v_fma_f64 v[12:13], v[32:33], v[6:7], v[12:13]
	v_add_f64 v[46:47], v[46:47], v[10:11]
	v_add_f64 v[48:49], v[12:13], v[48:49]
	ds_read_b128 v[10:13], v24 offset:768
	s_waitcnt lgkmcnt(0)
	v_mul_f64 v[14:15], v[32:33], v[12:13]
	v_mul_f64 v[16:17], v[30:31], v[12:13]
	v_fma_f64 v[14:15], v[30:31], v[10:11], -v[14:15]
	;; [unrolled: 8-line block ×3, first 2 shown]
	v_fma_f64 v[6:7], v[16:17], v[6:7], v[8:9]
	v_mul_f64 v[8:9], v[14:15], v[12:13]
	v_add_f64 v[30:31], v[44:45], v[30:31]
	v_add_f64 v[32:33], v[6:7], v[42:43]
	v_mul_f64 v[6:7], v[16:17], v[12:13]
	v_fma_f64 v[8:9], v[16:17], v[10:11], v[8:9]
	v_fma_f64 v[6:7], v[14:15], v[10:11], -v[6:7]
	v_add_f64 v[20:21], v[8:9], v[20:21]
	v_add_f64 v[18:19], v[18:19], v[6:7]
	ds_read_b128 v[6:9], v24 offset:1024
	s_waitcnt lgkmcnt(0)
	v_mul_f64 v[10:11], v[36:37], v[8:9]
	v_mul_f64 v[12:13], v[34:35], v[8:9]
	v_fma_f64 v[10:11], v[34:35], v[6:7], -v[10:11]
	v_fma_f64 v[12:13], v[36:37], v[6:7], v[12:13]
	v_add_f64 v[42:43], v[46:47], v[10:11]
	v_add_f64 v[44:45], v[12:13], v[48:49]
	ds_read_b128 v[10:13], v24 offset:1280
	s_waitcnt lgkmcnt(0)
	v_mul_f64 v[14:15], v[36:37], v[12:13]
	v_mul_f64 v[16:17], v[34:35], v[12:13]
	v_fma_f64 v[14:15], v[34:35], v[10:11], -v[14:15]
	v_fma_f64 v[16:17], v[36:37], v[10:11], v[16:17]
	;; [unrolled: 8-line block ×3, first 2 shown]
	v_mul_f64 v[8:9], v[14:15], v[12:13]
	v_add_f64 v[30:31], v[30:31], v[34:35]
	v_add_f64 v[32:33], v[6:7], v[32:33]
	v_mul_f64 v[6:7], v[16:17], v[12:13]
	v_fma_f64 v[8:9], v[16:17], v[10:11], v[8:9]
	v_fma_f64 v[6:7], v[14:15], v[10:11], -v[6:7]
	v_add_f64 v[20:21], v[8:9], v[20:21]
	v_add_f64 v[18:19], v[18:19], v[6:7]
	ds_read_b128 v[6:9], v24 offset:1536
	s_waitcnt lgkmcnt(0)
	v_mul_f64 v[10:11], v[40:41], v[8:9]
	v_mul_f64 v[12:13], v[38:39], v[8:9]
	v_fma_f64 v[10:11], v[38:39], v[6:7], -v[10:11]
	v_fma_f64 v[12:13], v[40:41], v[6:7], v[12:13]
	v_add_f64 v[34:35], v[42:43], v[10:11]
	v_add_f64 v[36:37], v[12:13], v[44:45]
	ds_read_b128 v[10:13], v24 offset:1792
	s_waitcnt lgkmcnt(0)
	v_mul_f64 v[14:15], v[40:41], v[12:13]
	v_mul_f64 v[16:17], v[38:39], v[12:13]
	v_fma_f64 v[14:15], v[38:39], v[10:11], -v[14:15]
	v_fma_f64 v[16:17], v[40:41], v[10:11], v[16:17]
	;; [unrolled: 8-line block ×3, first 2 shown]
	v_mul_f64 v[8:9], v[14:15], v[12:13]
	v_add_f64 v[30:31], v[30:31], v[38:39]
	v_add_f64 v[32:33], v[6:7], v[32:33]
	v_mul_f64 v[6:7], v[16:17], v[12:13]
	v_fma_f64 v[8:9], v[16:17], v[10:11], v[8:9]
	v_fma_f64 v[6:7], v[14:15], v[10:11], -v[6:7]
	v_add_f64 v[20:21], v[8:9], v[20:21]
	v_add_f64 v[18:19], v[18:19], v[6:7]
	ds_read_b128 v[6:9], v25 offset:64
	ds_read_b128 v[10:13], v24 offset:2048
	s_waitcnt lgkmcnt(0)
	v_mul_f64 v[14:15], v[8:9], v[12:13]
	v_mul_f64 v[16:17], v[6:7], v[12:13]
	v_fma_f64 v[14:15], v[6:7], v[10:11], -v[14:15]
	v_fma_f64 v[16:17], v[8:9], v[10:11], v[16:17]
	v_add_f64 v[34:35], v[34:35], v[14:15]
	v_add_f64 v[36:37], v[16:17], v[36:37]
	ds_read_b128 v[14:17], v24 offset:2304
	s_waitcnt lgkmcnt(0)
	v_mul_f64 v[38:39], v[8:9], v[16:17]
	v_fma_f64 v[38:39], v[6:7], v[14:15], -v[38:39]
	v_mul_f64 v[6:7], v[6:7], v[16:17]
	v_add_f64 v[28:29], v[28:29], v[38:39]
	v_fma_f64 v[6:7], v[8:9], v[14:15], v[6:7]
	v_add_f64 v[26:27], v[6:7], v[26:27]
	ds_read_b128 v[6:9], v25 offset:2112
	s_waitcnt lgkmcnt(0)
	v_mul_f64 v[38:39], v[8:9], v[12:13]
	v_mul_f64 v[12:13], v[6:7], v[12:13]
	v_fma_f64 v[38:39], v[6:7], v[10:11], -v[38:39]
	v_fma_f64 v[10:11], v[8:9], v[10:11], v[12:13]
	v_add_f64 v[30:31], v[30:31], v[38:39]
	v_add_f64 v[32:33], v[10:11], v[32:33]
	v_mul_f64 v[10:11], v[8:9], v[16:17]
	v_fma_f64 v[10:11], v[6:7], v[14:15], -v[10:11]
	v_mul_f64 v[6:7], v[6:7], v[16:17]
	v_add_f64 v[18:19], v[18:19], v[10:11]
	v_fma_f64 v[6:7], v[8:9], v[14:15], v[6:7]
	v_add_f64 v[20:21], v[6:7], v[20:21]
	ds_read_b128 v[6:9], v25 offset:80
	ds_read_b128 v[10:13], v24 offset:2560
	s_waitcnt lgkmcnt(0)
	v_mul_f64 v[14:15], v[8:9], v[12:13]
	v_mul_f64 v[16:17], v[6:7], v[12:13]
	v_fma_f64 v[14:15], v[6:7], v[10:11], -v[14:15]
	v_fma_f64 v[16:17], v[8:9], v[10:11], v[16:17]
	v_add_f64 v[34:35], v[34:35], v[14:15]
	v_add_f64 v[36:37], v[16:17], v[36:37]
	ds_read_b128 v[14:17], v24 offset:2816
	s_waitcnt lgkmcnt(0)
	v_mul_f64 v[38:39], v[8:9], v[16:17]
	v_fma_f64 v[38:39], v[6:7], v[14:15], -v[38:39]
	v_mul_f64 v[6:7], v[6:7], v[16:17]
	v_add_f64 v[28:29], v[28:29], v[38:39]
	v_fma_f64 v[6:7], v[8:9], v[14:15], v[6:7]
	v_add_f64 v[26:27], v[6:7], v[26:27]
	ds_read_b128 v[6:9], v25 offset:2128
	s_waitcnt lgkmcnt(0)
	v_mul_f64 v[38:39], v[8:9], v[12:13]
	v_mul_f64 v[12:13], v[6:7], v[12:13]
	v_fma_f64 v[38:39], v[6:7], v[10:11], -v[38:39]
	v_fma_f64 v[10:11], v[8:9], v[10:11], v[12:13]
	v_add_f64 v[30:31], v[30:31], v[38:39]
	v_add_f64 v[32:33], v[10:11], v[32:33]
	v_mul_f64 v[10:11], v[8:9], v[16:17]
	v_fma_f64 v[10:11], v[6:7], v[14:15], -v[10:11]
	v_mul_f64 v[6:7], v[6:7], v[16:17]
	v_add_f64 v[18:19], v[18:19], v[10:11]
	v_fma_f64 v[6:7], v[8:9], v[14:15], v[6:7]
	;; [unrolled: 31-line block ×3, first 2 shown]
	v_add_f64 v[48:49], v[6:7], v[20:21]
	ds_read_b128 v[6:9], v25 offset:112
	ds_read_b128 v[10:13], v24 offset:3584
	ds_read_b128 v[26:29], v24 offset:3840
	ds_read_b128 v[30:33], v25 offset:2160
	s_waitcnt lgkmcnt(0)
	s_barrier
	v_mul_f64 v[14:15], v[8:9], v[12:13]
	v_mul_f64 v[16:17], v[6:7], v[12:13]
	v_fma_f64 v[14:15], v[6:7], v[10:11], -v[14:15]
	v_fma_f64 v[16:17], v[8:9], v[10:11], v[16:17]
	v_add_f64 v[18:19], v[34:35], v[14:15]
	v_mul_f64 v[14:15], v[8:9], v[28:29]
	v_add_f64 v[20:21], v[16:17], v[36:37]
	v_fma_f64 v[14:15], v[6:7], v[26:27], -v[14:15]
	v_mul_f64 v[6:7], v[6:7], v[28:29]
	v_fma_f64 v[8:9], v[8:9], v[26:27], v[6:7]
	v_add_f64 v[6:7], v[38:39], v[14:15]
	v_mul_f64 v[14:15], v[32:33], v[12:13]
	v_mul_f64 v[12:13], v[30:31], v[12:13]
	v_add_f64 v[8:9], v[8:9], v[40:41]
	v_fma_f64 v[14:15], v[30:31], v[10:11], -v[14:15]
	v_fma_f64 v[10:11], v[32:33], v[10:11], v[12:13]
	v_mul_f64 v[12:13], v[30:31], v[28:29]
	v_add_f64 v[14:15], v[42:43], v[14:15]
	v_add_f64 v[16:17], v[10:11], v[44:45]
	v_mul_f64 v[10:11], v[32:33], v[28:29]
	v_fma_f64 v[10:11], v[30:31], v[26:27], -v[10:11]
	v_fma_f64 v[26:27], v[32:33], v[26:27], v[12:13]
	v_add_f64 v[12:13], v[46:47], v[10:11]
	v_add_f64 v[10:11], v[26:27], v[48:49]
	v_mov_b32_e32 v27, s1
	v_mov_b32_e32 v26, s0
	v_cmp_le_u64_e32 vcc, s[12:13], v[26:27]
	s_cbranch_vccz .LBB1783_2
	s_branch .LBB1783_4
.LBB1783_3:
	v_mov_b32_e32 v18, 0
	v_mov_b32_e32 v20, 0
	;; [unrolled: 1-line block ×16, first 2 shown]
.LBB1783_4:
	v_add_u32_e32 v4, s7, v1
	v_ashrrev_i32_e32 v1, 31, v4
	v_mul_lo_u32 v3, s2, v1
	v_mul_lo_u32 v5, s3, v4
	v_mad_u64_u32 v[1:2], s[0:1], s2, v4, 0
	s_load_dword s10, s[4:5], 0x0
	v_add_u32_e32 v0, s6, v0
	v_add3_u32 v2, v2, v3, v5
	v_lshlrev_b64 v[1:2], 4, v[1:2]
	s_waitcnt lgkmcnt(0)
	v_mov_b32_e32 v3, s9
	v_add_co_u32_e64 v5, s[0:1], s8, v1
	v_addc_co_u32_e64 v22, s[0:1], v3, v2, s[0:1]
	v_cmp_gt_i32_e32 vcc, s10, v4
	v_cmp_le_i32_e64 s[0:1], v0, v4
	s_and_b64 s[0:1], vcc, s[0:1]
	s_and_saveexec_b64 s[4:5], s[0:1]
	s_cbranch_execz .LBB1783_6
; %bb.5:
	v_ashrrev_i32_e32 v1, 31, v0
	v_lshlrev_b64 v[1:2], 4, v[0:1]
	v_add_co_u32_e64 v1, s[0:1], v5, v1
	v_addc_co_u32_e64 v2, s[0:1], v22, v2, s[0:1]
	flat_load_dwordx4 v[23:26], v[1:2]
	v_cmp_ne_u32_e64 s[0:1], v4, v0
	s_waitcnt vmcnt(0) lgkmcnt(0)
	v_add_f64 v[20:21], v[20:21], -v[25:26]
	v_add_f64 v[18:19], v[18:19], -v[23:24]
	v_cndmask_b32_e64 v21, 0, v21, s[0:1]
	v_cndmask_b32_e64 v20, 0, v20, s[0:1]
	flat_store_dwordx4 v[1:2], v[18:21]
.LBB1783_6:
	s_or_b64 exec, exec, s[4:5]
	v_add_u32_e32 v2, 16, v0
	v_cmp_le_i32_e64 s[0:1], v2, v4
	s_and_b64 s[4:5], vcc, s[0:1]
	s_and_saveexec_b64 s[0:1], s[4:5]
	s_cbranch_execz .LBB1783_8
; %bb.7:
	v_ashrrev_i32_e32 v3, 31, v2
	v_lshlrev_b64 v[18:19], 4, v[2:3]
	v_add_co_u32_e32 v23, vcc, v5, v18
	v_addc_co_u32_e32 v24, vcc, v22, v19, vcc
	flat_load_dwordx4 v[18:21], v[23:24]
	v_cmp_ne_u32_e32 vcc, v4, v2
	s_waitcnt vmcnt(0) lgkmcnt(0)
	v_add_f64 v[20:21], v[8:9], -v[20:21]
	v_add_f64 v[5:6], v[6:7], -v[18:19]
	v_cndmask_b32_e32 v8, 0, v21, vcc
	v_cndmask_b32_e32 v7, 0, v20, vcc
	flat_store_dwordx4 v[23:24], v[5:8]
.LBB1783_8:
	s_or_b64 exec, exec, s[0:1]
	v_add_u32_e32 v3, 16, v4
	v_ashrrev_i32_e32 v1, 31, v3
	v_mul_lo_u32 v1, s2, v1
	v_mul_lo_u32 v7, s3, v3
	v_mad_u64_u32 v[5:6], s[0:1], s2, v3, 0
	v_cmp_gt_i32_e32 vcc, s10, v3
	v_add3_u32 v6, v6, v1, v7
	v_lshlrev_b64 v[5:6], 4, v[5:6]
	v_mov_b32_e32 v1, s9
	v_add_co_u32_e64 v5, s[0:1], s8, v5
	v_addc_co_u32_e64 v6, s[0:1], v1, v6, s[0:1]
	v_cmp_le_i32_e64 s[0:1], v0, v3
	s_and_b64 s[0:1], vcc, s[0:1]
	s_and_saveexec_b64 s[2:3], s[0:1]
	s_cbranch_execz .LBB1783_10
; %bb.9:
	v_ashrrev_i32_e32 v1, 31, v0
	v_lshlrev_b64 v[7:8], 4, v[0:1]
	v_add_co_u32_e64 v7, s[0:1], v5, v7
	v_addc_co_u32_e64 v8, s[0:1], v6, v8, s[0:1]
	flat_load_dwordx4 v[18:21], v[7:8]
	v_cmp_ne_u32_e64 s[0:1], v3, v0
	s_waitcnt vmcnt(0) lgkmcnt(0)
	v_add_f64 v[16:17], v[16:17], -v[20:21]
	v_add_f64 v[14:15], v[14:15], -v[18:19]
	v_cndmask_b32_e64 v17, 0, v17, s[0:1]
	v_cndmask_b32_e64 v16, 0, v16, s[0:1]
	flat_store_dwordx4 v[7:8], v[14:17]
.LBB1783_10:
	s_or_b64 exec, exec, s[2:3]
	v_cmp_le_i32_e64 s[0:1], v2, v3
	s_and_b64 s[0:1], vcc, s[0:1]
	s_and_saveexec_b64 s[2:3], s[0:1]
	s_cbranch_execz .LBB1783_12
; %bb.11:
	v_ashrrev_i32_e32 v3, 31, v2
	v_lshlrev_b64 v[1:2], 4, v[2:3]
	v_add_co_u32_e32 v14, vcc, v5, v1
	v_addc_co_u32_e32 v15, vcc, v6, v2, vcc
	flat_load_dwordx4 v[5:8], v[14:15]
	v_cmp_ne_u32_e32 vcc, v4, v0
	s_waitcnt vmcnt(0) lgkmcnt(0)
	v_add_f64 v[7:8], v[10:11], -v[7:8]
	v_add_f64 v[1:2], v[12:13], -v[5:6]
	v_cndmask_b32_e32 v4, 0, v8, vcc
	v_cndmask_b32_e32 v3, 0, v7, vcc
	flat_store_dwordx4 v[14:15], v[1:4]
.LBB1783_12:
	s_endpgm
	.section	.rodata,"a",@progbits
	.p2align	6, 0x0
	.amdhsa_kernel _ZL37rocblas_syrkx_herkx_restricted_kernelIl19rocblas_complex_numIdELi16ELi32ELi8ELi1ELin1ELb1ELc67ELc85EKPKS1_KPS1_EviT_PT9_S7_lS9_S7_lPT10_S7_li
		.amdhsa_group_segment_fixed_size 8192
		.amdhsa_private_segment_fixed_size 0
		.amdhsa_kernarg_size 92
		.amdhsa_user_sgpr_count 6
		.amdhsa_user_sgpr_private_segment_buffer 1
		.amdhsa_user_sgpr_dispatch_ptr 0
		.amdhsa_user_sgpr_queue_ptr 0
		.amdhsa_user_sgpr_kernarg_segment_ptr 1
		.amdhsa_user_sgpr_dispatch_id 0
		.amdhsa_user_sgpr_flat_scratch_init 0
		.amdhsa_user_sgpr_private_segment_size 0
		.amdhsa_uses_dynamic_stack 0
		.amdhsa_system_sgpr_private_segment_wavefront_offset 0
		.amdhsa_system_sgpr_workgroup_id_x 1
		.amdhsa_system_sgpr_workgroup_id_y 1
		.amdhsa_system_sgpr_workgroup_id_z 1
		.amdhsa_system_sgpr_workgroup_info 0
		.amdhsa_system_vgpr_workitem_id 1
		.amdhsa_next_free_vgpr 52
		.amdhsa_next_free_sgpr 61
		.amdhsa_reserve_vcc 1
		.amdhsa_reserve_flat_scratch 0
		.amdhsa_float_round_mode_32 0
		.amdhsa_float_round_mode_16_64 0
		.amdhsa_float_denorm_mode_32 3
		.amdhsa_float_denorm_mode_16_64 3
		.amdhsa_dx10_clamp 1
		.amdhsa_ieee_mode 1
		.amdhsa_fp16_overflow 0
		.amdhsa_exception_fp_ieee_invalid_op 0
		.amdhsa_exception_fp_denorm_src 0
		.amdhsa_exception_fp_ieee_div_zero 0
		.amdhsa_exception_fp_ieee_overflow 0
		.amdhsa_exception_fp_ieee_underflow 0
		.amdhsa_exception_fp_ieee_inexact 0
		.amdhsa_exception_int_div_zero 0
	.end_amdhsa_kernel
	.section	.text._ZL37rocblas_syrkx_herkx_restricted_kernelIl19rocblas_complex_numIdELi16ELi32ELi8ELi1ELin1ELb1ELc67ELc85EKPKS1_KPS1_EviT_PT9_S7_lS9_S7_lPT10_S7_li,"axG",@progbits,_ZL37rocblas_syrkx_herkx_restricted_kernelIl19rocblas_complex_numIdELi16ELi32ELi8ELi1ELin1ELb1ELc67ELc85EKPKS1_KPS1_EviT_PT9_S7_lS9_S7_lPT10_S7_li,comdat
.Lfunc_end1783:
	.size	_ZL37rocblas_syrkx_herkx_restricted_kernelIl19rocblas_complex_numIdELi16ELi32ELi8ELi1ELin1ELb1ELc67ELc85EKPKS1_KPS1_EviT_PT9_S7_lS9_S7_lPT10_S7_li, .Lfunc_end1783-_ZL37rocblas_syrkx_herkx_restricted_kernelIl19rocblas_complex_numIdELi16ELi32ELi8ELi1ELin1ELb1ELc67ELc85EKPKS1_KPS1_EviT_PT9_S7_lS9_S7_lPT10_S7_li
                                        ; -- End function
	.set _ZL37rocblas_syrkx_herkx_restricted_kernelIl19rocblas_complex_numIdELi16ELi32ELi8ELi1ELin1ELb1ELc67ELc85EKPKS1_KPS1_EviT_PT9_S7_lS9_S7_lPT10_S7_li.num_vgpr, 52
	.set _ZL37rocblas_syrkx_herkx_restricted_kernelIl19rocblas_complex_numIdELi16ELi32ELi8ELi1ELin1ELb1ELc67ELc85EKPKS1_KPS1_EviT_PT9_S7_lS9_S7_lPT10_S7_li.num_agpr, 0
	.set _ZL37rocblas_syrkx_herkx_restricted_kernelIl19rocblas_complex_numIdELi16ELi32ELi8ELi1ELin1ELb1ELc67ELc85EKPKS1_KPS1_EviT_PT9_S7_lS9_S7_lPT10_S7_li.numbered_sgpr, 20
	.set _ZL37rocblas_syrkx_herkx_restricted_kernelIl19rocblas_complex_numIdELi16ELi32ELi8ELi1ELin1ELb1ELc67ELc85EKPKS1_KPS1_EviT_PT9_S7_lS9_S7_lPT10_S7_li.num_named_barrier, 0
	.set _ZL37rocblas_syrkx_herkx_restricted_kernelIl19rocblas_complex_numIdELi16ELi32ELi8ELi1ELin1ELb1ELc67ELc85EKPKS1_KPS1_EviT_PT9_S7_lS9_S7_lPT10_S7_li.private_seg_size, 0
	.set _ZL37rocblas_syrkx_herkx_restricted_kernelIl19rocblas_complex_numIdELi16ELi32ELi8ELi1ELin1ELb1ELc67ELc85EKPKS1_KPS1_EviT_PT9_S7_lS9_S7_lPT10_S7_li.uses_vcc, 1
	.set _ZL37rocblas_syrkx_herkx_restricted_kernelIl19rocblas_complex_numIdELi16ELi32ELi8ELi1ELin1ELb1ELc67ELc85EKPKS1_KPS1_EviT_PT9_S7_lS9_S7_lPT10_S7_li.uses_flat_scratch, 0
	.set _ZL37rocblas_syrkx_herkx_restricted_kernelIl19rocblas_complex_numIdELi16ELi32ELi8ELi1ELin1ELb1ELc67ELc85EKPKS1_KPS1_EviT_PT9_S7_lS9_S7_lPT10_S7_li.has_dyn_sized_stack, 0
	.set _ZL37rocblas_syrkx_herkx_restricted_kernelIl19rocblas_complex_numIdELi16ELi32ELi8ELi1ELin1ELb1ELc67ELc85EKPKS1_KPS1_EviT_PT9_S7_lS9_S7_lPT10_S7_li.has_recursion, 0
	.set _ZL37rocblas_syrkx_herkx_restricted_kernelIl19rocblas_complex_numIdELi16ELi32ELi8ELi1ELin1ELb1ELc67ELc85EKPKS1_KPS1_EviT_PT9_S7_lS9_S7_lPT10_S7_li.has_indirect_call, 0
	.section	.AMDGPU.csdata,"",@progbits
; Kernel info:
; codeLenInByte = 3024
; TotalNumSgprs: 24
; NumVgprs: 52
; ScratchSize: 0
; MemoryBound: 0
; FloatMode: 240
; IeeeMode: 1
; LDSByteSize: 8192 bytes/workgroup (compile time only)
; SGPRBlocks: 8
; VGPRBlocks: 12
; NumSGPRsForWavesPerEU: 65
; NumVGPRsForWavesPerEU: 52
; Occupancy: 4
; WaveLimiterHint : 1
; COMPUTE_PGM_RSRC2:SCRATCH_EN: 0
; COMPUTE_PGM_RSRC2:USER_SGPR: 6
; COMPUTE_PGM_RSRC2:TRAP_HANDLER: 0
; COMPUTE_PGM_RSRC2:TGID_X_EN: 1
; COMPUTE_PGM_RSRC2:TGID_Y_EN: 1
; COMPUTE_PGM_RSRC2:TGID_Z_EN: 1
; COMPUTE_PGM_RSRC2:TIDIG_COMP_CNT: 1
	.section	.text._ZL37rocblas_syrkx_herkx_restricted_kernelIl19rocblas_complex_numIdELi16ELi32ELi8ELi1ELin1ELb1ELc78ELc85EKPKS1_KPS1_EviT_PT9_S7_lS9_S7_lPT10_S7_li,"axG",@progbits,_ZL37rocblas_syrkx_herkx_restricted_kernelIl19rocblas_complex_numIdELi16ELi32ELi8ELi1ELin1ELb1ELc78ELc85EKPKS1_KPS1_EviT_PT9_S7_lS9_S7_lPT10_S7_li,comdat
	.globl	_ZL37rocblas_syrkx_herkx_restricted_kernelIl19rocblas_complex_numIdELi16ELi32ELi8ELi1ELin1ELb1ELc78ELc85EKPKS1_KPS1_EviT_PT9_S7_lS9_S7_lPT10_S7_li ; -- Begin function _ZL37rocblas_syrkx_herkx_restricted_kernelIl19rocblas_complex_numIdELi16ELi32ELi8ELi1ELin1ELb1ELc78ELc85EKPKS1_KPS1_EviT_PT9_S7_lS9_S7_lPT10_S7_li
	.p2align	8
	.type	_ZL37rocblas_syrkx_herkx_restricted_kernelIl19rocblas_complex_numIdELi16ELi32ELi8ELi1ELin1ELb1ELc78ELc85EKPKS1_KPS1_EviT_PT9_S7_lS9_S7_lPT10_S7_li,@function
_ZL37rocblas_syrkx_herkx_restricted_kernelIl19rocblas_complex_numIdELi16ELi32ELi8ELi1ELin1ELb1ELc78ELc85EKPKS1_KPS1_EviT_PT9_S7_lS9_S7_lPT10_S7_li: ; @_ZL37rocblas_syrkx_herkx_restricted_kernelIl19rocblas_complex_numIdELi16ELi32ELi8ELi1ELin1ELb1ELc78ELc85EKPKS1_KPS1_EviT_PT9_S7_lS9_S7_lPT10_S7_li
; %bb.0:
	s_load_dwordx4 s[0:3], s[4:5], 0x40
	s_load_dwordx4 s[12:15], s[4:5], 0x8
	s_mov_b32 s9, 0
	s_lshl_b64 s[18:19], s[8:9], 3
	s_waitcnt lgkmcnt(0)
	s_add_u32 s0, s0, s18
	s_addc_u32 s1, s1, s19
	s_load_dwordx2 s[16:17], s[0:1], 0x0
	v_cmp_lt_i64_e64 s[0:1], s[12:13], 1
	s_lshl_b32 s20, s6, 5
	s_lshl_b32 s21, s7, 5
	s_and_b64 vcc, exec, s[0:1]
	s_cbranch_vccnz .LBB1784_3
; %bb.1:
	s_load_dwordx2 s[0:1], s[4:5], 0x18
	s_load_dwordx4 s[8:11], s[4:5], 0x28
	v_lshl_add_u32 v7, v1, 4, v0
	v_lshrrev_b32_e32 v8, 3, v7
	v_add_u32_e32 v2, s21, v8
	v_and_b32_e32 v6, 7, v0
	v_ashrrev_i32_e32 v3, 31, v2
	s_waitcnt lgkmcnt(0)
	v_mad_u64_u32 v[4:5], s[6:7], s10, v6, v[2:3]
	s_add_u32 s6, s14, s18
	s_addc_u32 s7, s15, s19
	v_mov_b32_e32 v2, v5
	v_mad_u64_u32 v[2:3], s[14:15], s11, v6, v[2:3]
	v_lshrrev_b32_e32 v9, 5, v7
	v_lshlrev_b32_e32 v6, 4, v6
	v_mov_b32_e32 v5, v2
	v_and_b32_e32 v2, 31, v7
	v_lshlrev_b32_e32 v3, 4, v2
	v_add_u32_e32 v2, s20, v2
	v_lshl_or_b32 v22, v9, 9, v3
	v_ashrrev_i32_e32 v3, 31, v2
	v_mad_u64_u32 v[2:3], s[14:15], s0, v9, v[2:3]
	v_lshl_or_b32 v6, v8, 7, v6
	v_add_u32_e32 v23, 0x1000, v6
	v_mad_u64_u32 v[6:7], s[14:15], s1, v9, v[3:4]
	s_load_dwordx2 s[6:7], s[6:7], 0x0
	s_add_u32 s8, s8, s18
	s_addc_u32 s9, s9, s19
	v_mov_b32_e32 v3, 0x1000
	s_load_dwordx2 s[8:9], s[8:9], 0x0
	v_lshl_add_u32 v25, v1, 7, v3
	v_mov_b32_e32 v3, v6
	v_lshlrev_b64 v[2:3], 4, v[2:3]
	s_waitcnt lgkmcnt(0)
	v_mov_b32_e32 v6, s7
	v_add_co_u32_e32 v2, vcc, s6, v2
	v_lshlrev_b64 v[4:5], 4, v[4:5]
	v_addc_co_u32_e32 v3, vcc, v6, v3, vcc
	v_mov_b32_e32 v6, s9
	v_add_co_u32_e32 v4, vcc, s8, v4
	s_lshl_b64 s[0:1], s[0:1], 7
	v_addc_co_u32_e32 v5, vcc, v6, v5, vcc
	s_lshl_b64 s[6:7], s[10:11], 7
	v_mov_b32_e32 v10, 0
	v_mov_b32_e32 v12, 0
	v_mov_b32_e32 v16, 0
	v_mov_b32_e32 v14, 0
	v_mov_b32_e32 v8, 0
	v_mov_b32_e32 v6, 0
	v_mov_b32_e32 v20, 0
	v_mov_b32_e32 v18, 0
	v_lshlrev_b32_e32 v24, 4, v0
	v_mov_b32_e32 v11, 0
	s_mov_b64 s[8:9], 0
	v_mov_b32_e32 v26, s1
	v_mov_b32_e32 v13, 0
	;; [unrolled: 1-line block ×9, first 2 shown]
.LBB1784_2:                             ; =>This Inner Loop Header: Depth=1
	flat_load_dwordx4 v[28:31], v[2:3]
	s_add_u32 s8, s8, 8
	v_add_co_u32_e32 v2, vcc, s0, v2
	s_addc_u32 s9, s9, 0
	v_addc_co_u32_e32 v3, vcc, v3, v26, vcc
	s_waitcnt vmcnt(0) lgkmcnt(0)
	ds_write_b128 v22, v[28:31]
	flat_load_dwordx4 v[28:31], v[4:5]
	v_add_co_u32_e32 v4, vcc, s6, v4
	v_addc_co_u32_e32 v5, vcc, v5, v27, vcc
	s_waitcnt vmcnt(0) lgkmcnt(0)
	v_xor_b32_e32 v31, 0x80000000, v31
	ds_write_b128 v23, v[28:31]
	s_waitcnt lgkmcnt(0)
	s_barrier
	ds_read_b128 v[28:31], v25
	ds_read_b128 v[32:35], v25 offset:16
	ds_read_b128 v[36:39], v25 offset:32
	;; [unrolled: 1-line block ×3, first 2 shown]
	ds_read_b128 v[44:47], v24
	s_waitcnt lgkmcnt(0)
	v_mul_f64 v[48:49], v[30:31], v[46:47]
	v_mul_f64 v[50:51], v[28:29], v[46:47]
	v_fma_f64 v[48:49], v[28:29], v[44:45], -v[48:49]
	v_fma_f64 v[50:51], v[30:31], v[44:45], v[50:51]
	v_add_f64 v[48:49], v[18:19], v[48:49]
	v_add_f64 v[50:51], v[50:51], v[20:21]
	ds_read_b128 v[18:21], v24 offset:256
	s_waitcnt lgkmcnt(0)
	v_mul_f64 v[52:53], v[30:31], v[20:21]
	v_fma_f64 v[52:53], v[28:29], v[18:19], -v[52:53]
	v_mul_f64 v[28:29], v[28:29], v[20:21]
	v_fma_f64 v[28:29], v[30:31], v[18:19], v[28:29]
	v_add_f64 v[30:31], v[6:7], v[52:53]
	v_add_f64 v[28:29], v[28:29], v[8:9]
	ds_read_b128 v[6:9], v25 offset:2048
	s_waitcnt lgkmcnt(0)
	v_mul_f64 v[52:53], v[8:9], v[46:47]
	v_mul_f64 v[46:47], v[6:7], v[46:47]
	v_fma_f64 v[52:53], v[6:7], v[44:45], -v[52:53]
	v_fma_f64 v[44:45], v[8:9], v[44:45], v[46:47]
	v_add_f64 v[46:47], v[14:15], v[52:53]
	v_mul_f64 v[14:15], v[8:9], v[20:21]
	v_add_f64 v[44:45], v[44:45], v[16:17]
	v_fma_f64 v[14:15], v[6:7], v[18:19], -v[14:15]
	v_mul_f64 v[6:7], v[6:7], v[20:21]
	v_fma_f64 v[6:7], v[8:9], v[18:19], v[6:7]
	v_add_f64 v[18:19], v[12:13], v[14:15]
	v_add_f64 v[20:21], v[6:7], v[10:11]
	ds_read_b128 v[6:9], v24 offset:512
	s_waitcnt lgkmcnt(0)
	v_mul_f64 v[10:11], v[34:35], v[8:9]
	v_mul_f64 v[12:13], v[32:33], v[8:9]
	v_fma_f64 v[10:11], v[32:33], v[6:7], -v[10:11]
	v_fma_f64 v[12:13], v[34:35], v[6:7], v[12:13]
	v_add_f64 v[48:49], v[48:49], v[10:11]
	v_add_f64 v[50:51], v[12:13], v[50:51]
	ds_read_b128 v[10:13], v24 offset:768
	s_waitcnt lgkmcnt(0)
	v_mul_f64 v[14:15], v[34:35], v[12:13]
	v_mul_f64 v[16:17], v[32:33], v[12:13]
	v_fma_f64 v[14:15], v[32:33], v[10:11], -v[14:15]
	;; [unrolled: 8-line block ×3, first 2 shown]
	v_fma_f64 v[6:7], v[16:17], v[6:7], v[8:9]
	v_mul_f64 v[8:9], v[14:15], v[12:13]
	v_add_f64 v[32:33], v[46:47], v[32:33]
	v_add_f64 v[34:35], v[6:7], v[44:45]
	v_mul_f64 v[6:7], v[16:17], v[12:13]
	v_fma_f64 v[8:9], v[16:17], v[10:11], v[8:9]
	v_fma_f64 v[6:7], v[14:15], v[10:11], -v[6:7]
	v_add_f64 v[20:21], v[8:9], v[20:21]
	v_add_f64 v[18:19], v[18:19], v[6:7]
	ds_read_b128 v[6:9], v24 offset:1024
	s_waitcnt lgkmcnt(0)
	v_mul_f64 v[10:11], v[38:39], v[8:9]
	v_mul_f64 v[12:13], v[36:37], v[8:9]
	v_fma_f64 v[10:11], v[36:37], v[6:7], -v[10:11]
	v_fma_f64 v[12:13], v[38:39], v[6:7], v[12:13]
	v_add_f64 v[44:45], v[48:49], v[10:11]
	v_add_f64 v[46:47], v[12:13], v[50:51]
	ds_read_b128 v[10:13], v24 offset:1280
	s_waitcnt lgkmcnt(0)
	v_mul_f64 v[14:15], v[38:39], v[12:13]
	v_mul_f64 v[16:17], v[36:37], v[12:13]
	v_fma_f64 v[14:15], v[36:37], v[10:11], -v[14:15]
	v_fma_f64 v[16:17], v[38:39], v[10:11], v[16:17]
	;; [unrolled: 8-line block ×3, first 2 shown]
	v_mul_f64 v[8:9], v[14:15], v[12:13]
	v_add_f64 v[32:33], v[32:33], v[36:37]
	v_add_f64 v[34:35], v[6:7], v[34:35]
	v_mul_f64 v[6:7], v[16:17], v[12:13]
	v_fma_f64 v[8:9], v[16:17], v[10:11], v[8:9]
	v_fma_f64 v[6:7], v[14:15], v[10:11], -v[6:7]
	v_add_f64 v[20:21], v[8:9], v[20:21]
	v_add_f64 v[18:19], v[18:19], v[6:7]
	ds_read_b128 v[6:9], v24 offset:1536
	s_waitcnt lgkmcnt(0)
	v_mul_f64 v[10:11], v[42:43], v[8:9]
	v_mul_f64 v[12:13], v[40:41], v[8:9]
	v_fma_f64 v[10:11], v[40:41], v[6:7], -v[10:11]
	v_fma_f64 v[12:13], v[42:43], v[6:7], v[12:13]
	v_add_f64 v[36:37], v[44:45], v[10:11]
	v_add_f64 v[38:39], v[12:13], v[46:47]
	ds_read_b128 v[10:13], v24 offset:1792
	s_waitcnt lgkmcnt(0)
	v_mul_f64 v[14:15], v[42:43], v[12:13]
	v_mul_f64 v[16:17], v[40:41], v[12:13]
	v_fma_f64 v[14:15], v[40:41], v[10:11], -v[14:15]
	v_fma_f64 v[16:17], v[42:43], v[10:11], v[16:17]
	;; [unrolled: 8-line block ×3, first 2 shown]
	v_mul_f64 v[8:9], v[14:15], v[12:13]
	v_add_f64 v[32:33], v[32:33], v[40:41]
	v_add_f64 v[34:35], v[6:7], v[34:35]
	v_mul_f64 v[6:7], v[16:17], v[12:13]
	v_fma_f64 v[8:9], v[16:17], v[10:11], v[8:9]
	v_fma_f64 v[6:7], v[14:15], v[10:11], -v[6:7]
	v_add_f64 v[20:21], v[8:9], v[20:21]
	v_add_f64 v[18:19], v[18:19], v[6:7]
	ds_read_b128 v[6:9], v25 offset:64
	ds_read_b128 v[10:13], v24 offset:2048
	s_waitcnt lgkmcnt(0)
	v_mul_f64 v[14:15], v[8:9], v[12:13]
	v_mul_f64 v[16:17], v[6:7], v[12:13]
	v_fma_f64 v[14:15], v[6:7], v[10:11], -v[14:15]
	v_fma_f64 v[16:17], v[8:9], v[10:11], v[16:17]
	v_add_f64 v[36:37], v[36:37], v[14:15]
	v_add_f64 v[38:39], v[16:17], v[38:39]
	ds_read_b128 v[14:17], v24 offset:2304
	s_waitcnt lgkmcnt(0)
	v_mul_f64 v[40:41], v[8:9], v[16:17]
	v_fma_f64 v[40:41], v[6:7], v[14:15], -v[40:41]
	v_mul_f64 v[6:7], v[6:7], v[16:17]
	v_add_f64 v[30:31], v[30:31], v[40:41]
	v_fma_f64 v[6:7], v[8:9], v[14:15], v[6:7]
	v_add_f64 v[28:29], v[6:7], v[28:29]
	ds_read_b128 v[6:9], v25 offset:2112
	s_waitcnt lgkmcnt(0)
	v_mul_f64 v[40:41], v[8:9], v[12:13]
	v_mul_f64 v[12:13], v[6:7], v[12:13]
	v_fma_f64 v[40:41], v[6:7], v[10:11], -v[40:41]
	v_fma_f64 v[10:11], v[8:9], v[10:11], v[12:13]
	v_add_f64 v[32:33], v[32:33], v[40:41]
	v_add_f64 v[34:35], v[10:11], v[34:35]
	v_mul_f64 v[10:11], v[8:9], v[16:17]
	v_fma_f64 v[10:11], v[6:7], v[14:15], -v[10:11]
	v_mul_f64 v[6:7], v[6:7], v[16:17]
	v_add_f64 v[18:19], v[18:19], v[10:11]
	v_fma_f64 v[6:7], v[8:9], v[14:15], v[6:7]
	v_add_f64 v[20:21], v[6:7], v[20:21]
	ds_read_b128 v[6:9], v25 offset:80
	ds_read_b128 v[10:13], v24 offset:2560
	s_waitcnt lgkmcnt(0)
	v_mul_f64 v[14:15], v[8:9], v[12:13]
	v_mul_f64 v[16:17], v[6:7], v[12:13]
	v_fma_f64 v[14:15], v[6:7], v[10:11], -v[14:15]
	v_fma_f64 v[16:17], v[8:9], v[10:11], v[16:17]
	v_add_f64 v[36:37], v[36:37], v[14:15]
	v_add_f64 v[38:39], v[16:17], v[38:39]
	ds_read_b128 v[14:17], v24 offset:2816
	s_waitcnt lgkmcnt(0)
	v_mul_f64 v[40:41], v[8:9], v[16:17]
	v_fma_f64 v[40:41], v[6:7], v[14:15], -v[40:41]
	v_mul_f64 v[6:7], v[6:7], v[16:17]
	v_add_f64 v[30:31], v[30:31], v[40:41]
	v_fma_f64 v[6:7], v[8:9], v[14:15], v[6:7]
	v_add_f64 v[28:29], v[6:7], v[28:29]
	ds_read_b128 v[6:9], v25 offset:2128
	s_waitcnt lgkmcnt(0)
	v_mul_f64 v[40:41], v[8:9], v[12:13]
	v_mul_f64 v[12:13], v[6:7], v[12:13]
	v_fma_f64 v[40:41], v[6:7], v[10:11], -v[40:41]
	v_fma_f64 v[10:11], v[8:9], v[10:11], v[12:13]
	v_add_f64 v[32:33], v[32:33], v[40:41]
	v_add_f64 v[34:35], v[10:11], v[34:35]
	v_mul_f64 v[10:11], v[8:9], v[16:17]
	v_fma_f64 v[10:11], v[6:7], v[14:15], -v[10:11]
	v_mul_f64 v[6:7], v[6:7], v[16:17]
	v_add_f64 v[18:19], v[18:19], v[10:11]
	v_fma_f64 v[6:7], v[8:9], v[14:15], v[6:7]
	;; [unrolled: 31-line block ×3, first 2 shown]
	v_add_f64 v[50:51], v[6:7], v[20:21]
	ds_read_b128 v[6:9], v25 offset:112
	ds_read_b128 v[10:13], v24 offset:3584
	;; [unrolled: 1-line block ×4, first 2 shown]
	s_waitcnt lgkmcnt(0)
	s_barrier
	v_mul_f64 v[14:15], v[8:9], v[12:13]
	v_mul_f64 v[16:17], v[6:7], v[12:13]
	v_fma_f64 v[14:15], v[6:7], v[10:11], -v[14:15]
	v_fma_f64 v[16:17], v[8:9], v[10:11], v[16:17]
	v_add_f64 v[18:19], v[36:37], v[14:15]
	v_mul_f64 v[14:15], v[8:9], v[30:31]
	v_add_f64 v[20:21], v[16:17], v[38:39]
	v_fma_f64 v[14:15], v[6:7], v[28:29], -v[14:15]
	v_mul_f64 v[6:7], v[6:7], v[30:31]
	v_fma_f64 v[8:9], v[8:9], v[28:29], v[6:7]
	v_add_f64 v[6:7], v[40:41], v[14:15]
	v_mul_f64 v[14:15], v[34:35], v[12:13]
	v_mul_f64 v[12:13], v[32:33], v[12:13]
	v_add_f64 v[8:9], v[8:9], v[42:43]
	v_fma_f64 v[14:15], v[32:33], v[10:11], -v[14:15]
	v_fma_f64 v[10:11], v[34:35], v[10:11], v[12:13]
	v_mul_f64 v[12:13], v[32:33], v[30:31]
	v_add_f64 v[14:15], v[44:45], v[14:15]
	v_add_f64 v[16:17], v[10:11], v[46:47]
	v_mul_f64 v[10:11], v[34:35], v[30:31]
	v_fma_f64 v[10:11], v[32:33], v[28:29], -v[10:11]
	v_fma_f64 v[28:29], v[34:35], v[28:29], v[12:13]
	v_add_f64 v[12:13], v[48:49], v[10:11]
	v_add_f64 v[10:11], v[28:29], v[50:51]
	v_mov_b32_e32 v29, s9
	v_mov_b32_e32 v28, s8
	v_cmp_le_u64_e32 vcc, s[12:13], v[28:29]
	s_cbranch_vccz .LBB1784_2
	s_branch .LBB1784_4
.LBB1784_3:
	v_mov_b32_e32 v18, 0
	v_mov_b32_e32 v20, 0
	;; [unrolled: 1-line block ×16, first 2 shown]
.LBB1784_4:
	v_add_u32_e32 v4, s21, v1
	v_ashrrev_i32_e32 v1, 31, v4
	v_mul_lo_u32 v3, s2, v1
	v_mul_lo_u32 v5, s3, v4
	v_mad_u64_u32 v[1:2], s[0:1], s2, v4, 0
	s_load_dword s6, s[4:5], 0x0
	v_add_u32_e32 v0, s20, v0
	v_add3_u32 v2, v2, v3, v5
	v_lshlrev_b64 v[1:2], 4, v[1:2]
	s_waitcnt lgkmcnt(0)
	v_mov_b32_e32 v3, s17
	v_add_co_u32_e64 v5, s[0:1], s16, v1
	v_addc_co_u32_e64 v22, s[0:1], v3, v2, s[0:1]
	v_cmp_gt_i32_e32 vcc, s6, v4
	v_cmp_le_i32_e64 s[0:1], v0, v4
	s_and_b64 s[0:1], vcc, s[0:1]
	s_and_saveexec_b64 s[4:5], s[0:1]
	s_cbranch_execz .LBB1784_6
; %bb.5:
	v_ashrrev_i32_e32 v1, 31, v0
	v_lshlrev_b64 v[1:2], 4, v[0:1]
	v_add_co_u32_e64 v1, s[0:1], v5, v1
	v_addc_co_u32_e64 v2, s[0:1], v22, v2, s[0:1]
	flat_load_dwordx4 v[23:26], v[1:2]
	v_cmp_ne_u32_e64 s[0:1], v4, v0
	s_waitcnt vmcnt(0) lgkmcnt(0)
	v_add_f64 v[20:21], v[20:21], -v[25:26]
	v_add_f64 v[18:19], v[18:19], -v[23:24]
	v_cndmask_b32_e64 v21, 0, v21, s[0:1]
	v_cndmask_b32_e64 v20, 0, v20, s[0:1]
	flat_store_dwordx4 v[1:2], v[18:21]
.LBB1784_6:
	s_or_b64 exec, exec, s[4:5]
	v_add_u32_e32 v2, 16, v0
	v_cmp_le_i32_e64 s[0:1], v2, v4
	s_and_b64 s[4:5], vcc, s[0:1]
	s_and_saveexec_b64 s[0:1], s[4:5]
	s_cbranch_execz .LBB1784_8
; %bb.7:
	v_ashrrev_i32_e32 v3, 31, v2
	v_lshlrev_b64 v[18:19], 4, v[2:3]
	v_add_co_u32_e32 v23, vcc, v5, v18
	v_addc_co_u32_e32 v24, vcc, v22, v19, vcc
	flat_load_dwordx4 v[18:21], v[23:24]
	v_cmp_ne_u32_e32 vcc, v4, v2
	s_waitcnt vmcnt(0) lgkmcnt(0)
	v_add_f64 v[20:21], v[8:9], -v[20:21]
	v_add_f64 v[5:6], v[6:7], -v[18:19]
	v_cndmask_b32_e32 v8, 0, v21, vcc
	v_cndmask_b32_e32 v7, 0, v20, vcc
	flat_store_dwordx4 v[23:24], v[5:8]
.LBB1784_8:
	s_or_b64 exec, exec, s[0:1]
	v_add_u32_e32 v3, 16, v4
	v_ashrrev_i32_e32 v1, 31, v3
	v_mul_lo_u32 v1, s2, v1
	v_mul_lo_u32 v7, s3, v3
	v_mad_u64_u32 v[5:6], s[0:1], s2, v3, 0
	v_cmp_gt_i32_e32 vcc, s6, v3
	v_add3_u32 v6, v6, v1, v7
	v_lshlrev_b64 v[5:6], 4, v[5:6]
	v_mov_b32_e32 v1, s17
	v_add_co_u32_e64 v5, s[0:1], s16, v5
	v_addc_co_u32_e64 v6, s[0:1], v1, v6, s[0:1]
	v_cmp_le_i32_e64 s[0:1], v0, v3
	s_and_b64 s[0:1], vcc, s[0:1]
	s_and_saveexec_b64 s[2:3], s[0:1]
	s_cbranch_execz .LBB1784_10
; %bb.9:
	v_ashrrev_i32_e32 v1, 31, v0
	v_lshlrev_b64 v[7:8], 4, v[0:1]
	v_add_co_u32_e64 v7, s[0:1], v5, v7
	v_addc_co_u32_e64 v8, s[0:1], v6, v8, s[0:1]
	flat_load_dwordx4 v[18:21], v[7:8]
	v_cmp_ne_u32_e64 s[0:1], v3, v0
	s_waitcnt vmcnt(0) lgkmcnt(0)
	v_add_f64 v[16:17], v[16:17], -v[20:21]
	v_add_f64 v[14:15], v[14:15], -v[18:19]
	v_cndmask_b32_e64 v17, 0, v17, s[0:1]
	v_cndmask_b32_e64 v16, 0, v16, s[0:1]
	flat_store_dwordx4 v[7:8], v[14:17]
.LBB1784_10:
	s_or_b64 exec, exec, s[2:3]
	v_cmp_le_i32_e64 s[0:1], v2, v3
	s_and_b64 s[0:1], vcc, s[0:1]
	s_and_saveexec_b64 s[2:3], s[0:1]
	s_cbranch_execz .LBB1784_12
; %bb.11:
	v_ashrrev_i32_e32 v3, 31, v2
	v_lshlrev_b64 v[1:2], 4, v[2:3]
	v_add_co_u32_e32 v14, vcc, v5, v1
	v_addc_co_u32_e32 v15, vcc, v6, v2, vcc
	flat_load_dwordx4 v[5:8], v[14:15]
	v_cmp_ne_u32_e32 vcc, v4, v0
	s_waitcnt vmcnt(0) lgkmcnt(0)
	v_add_f64 v[7:8], v[10:11], -v[7:8]
	v_add_f64 v[1:2], v[12:13], -v[5:6]
	v_cndmask_b32_e32 v4, 0, v8, vcc
	v_cndmask_b32_e32 v3, 0, v7, vcc
	flat_store_dwordx4 v[14:15], v[1:4]
.LBB1784_12:
	s_endpgm
	.section	.rodata,"a",@progbits
	.p2align	6, 0x0
	.amdhsa_kernel _ZL37rocblas_syrkx_herkx_restricted_kernelIl19rocblas_complex_numIdELi16ELi32ELi8ELi1ELin1ELb1ELc78ELc85EKPKS1_KPS1_EviT_PT9_S7_lS9_S7_lPT10_S7_li
		.amdhsa_group_segment_fixed_size 8192
		.amdhsa_private_segment_fixed_size 0
		.amdhsa_kernarg_size 92
		.amdhsa_user_sgpr_count 6
		.amdhsa_user_sgpr_private_segment_buffer 1
		.amdhsa_user_sgpr_dispatch_ptr 0
		.amdhsa_user_sgpr_queue_ptr 0
		.amdhsa_user_sgpr_kernarg_segment_ptr 1
		.amdhsa_user_sgpr_dispatch_id 0
		.amdhsa_user_sgpr_flat_scratch_init 0
		.amdhsa_user_sgpr_private_segment_size 0
		.amdhsa_uses_dynamic_stack 0
		.amdhsa_system_sgpr_private_segment_wavefront_offset 0
		.amdhsa_system_sgpr_workgroup_id_x 1
		.amdhsa_system_sgpr_workgroup_id_y 1
		.amdhsa_system_sgpr_workgroup_id_z 1
		.amdhsa_system_sgpr_workgroup_info 0
		.amdhsa_system_vgpr_workitem_id 1
		.amdhsa_next_free_vgpr 54
		.amdhsa_next_free_sgpr 61
		.amdhsa_reserve_vcc 1
		.amdhsa_reserve_flat_scratch 0
		.amdhsa_float_round_mode_32 0
		.amdhsa_float_round_mode_16_64 0
		.amdhsa_float_denorm_mode_32 3
		.amdhsa_float_denorm_mode_16_64 3
		.amdhsa_dx10_clamp 1
		.amdhsa_ieee_mode 1
		.amdhsa_fp16_overflow 0
		.amdhsa_exception_fp_ieee_invalid_op 0
		.amdhsa_exception_fp_denorm_src 0
		.amdhsa_exception_fp_ieee_div_zero 0
		.amdhsa_exception_fp_ieee_overflow 0
		.amdhsa_exception_fp_ieee_underflow 0
		.amdhsa_exception_fp_ieee_inexact 0
		.amdhsa_exception_int_div_zero 0
	.end_amdhsa_kernel
	.section	.text._ZL37rocblas_syrkx_herkx_restricted_kernelIl19rocblas_complex_numIdELi16ELi32ELi8ELi1ELin1ELb1ELc78ELc85EKPKS1_KPS1_EviT_PT9_S7_lS9_S7_lPT10_S7_li,"axG",@progbits,_ZL37rocblas_syrkx_herkx_restricted_kernelIl19rocblas_complex_numIdELi16ELi32ELi8ELi1ELin1ELb1ELc78ELc85EKPKS1_KPS1_EviT_PT9_S7_lS9_S7_lPT10_S7_li,comdat
.Lfunc_end1784:
	.size	_ZL37rocblas_syrkx_herkx_restricted_kernelIl19rocblas_complex_numIdELi16ELi32ELi8ELi1ELin1ELb1ELc78ELc85EKPKS1_KPS1_EviT_PT9_S7_lS9_S7_lPT10_S7_li, .Lfunc_end1784-_ZL37rocblas_syrkx_herkx_restricted_kernelIl19rocblas_complex_numIdELi16ELi32ELi8ELi1ELin1ELb1ELc78ELc85EKPKS1_KPS1_EviT_PT9_S7_lS9_S7_lPT10_S7_li
                                        ; -- End function
	.set _ZL37rocblas_syrkx_herkx_restricted_kernelIl19rocblas_complex_numIdELi16ELi32ELi8ELi1ELin1ELb1ELc78ELc85EKPKS1_KPS1_EviT_PT9_S7_lS9_S7_lPT10_S7_li.num_vgpr, 54
	.set _ZL37rocblas_syrkx_herkx_restricted_kernelIl19rocblas_complex_numIdELi16ELi32ELi8ELi1ELin1ELb1ELc78ELc85EKPKS1_KPS1_EviT_PT9_S7_lS9_S7_lPT10_S7_li.num_agpr, 0
	.set _ZL37rocblas_syrkx_herkx_restricted_kernelIl19rocblas_complex_numIdELi16ELi32ELi8ELi1ELin1ELb1ELc78ELc85EKPKS1_KPS1_EviT_PT9_S7_lS9_S7_lPT10_S7_li.numbered_sgpr, 22
	.set _ZL37rocblas_syrkx_herkx_restricted_kernelIl19rocblas_complex_numIdELi16ELi32ELi8ELi1ELin1ELb1ELc78ELc85EKPKS1_KPS1_EviT_PT9_S7_lS9_S7_lPT10_S7_li.num_named_barrier, 0
	.set _ZL37rocblas_syrkx_herkx_restricted_kernelIl19rocblas_complex_numIdELi16ELi32ELi8ELi1ELin1ELb1ELc78ELc85EKPKS1_KPS1_EviT_PT9_S7_lS9_S7_lPT10_S7_li.private_seg_size, 0
	.set _ZL37rocblas_syrkx_herkx_restricted_kernelIl19rocblas_complex_numIdELi16ELi32ELi8ELi1ELin1ELb1ELc78ELc85EKPKS1_KPS1_EviT_PT9_S7_lS9_S7_lPT10_S7_li.uses_vcc, 1
	.set _ZL37rocblas_syrkx_herkx_restricted_kernelIl19rocblas_complex_numIdELi16ELi32ELi8ELi1ELin1ELb1ELc78ELc85EKPKS1_KPS1_EviT_PT9_S7_lS9_S7_lPT10_S7_li.uses_flat_scratch, 0
	.set _ZL37rocblas_syrkx_herkx_restricted_kernelIl19rocblas_complex_numIdELi16ELi32ELi8ELi1ELin1ELb1ELc78ELc85EKPKS1_KPS1_EviT_PT9_S7_lS9_S7_lPT10_S7_li.has_dyn_sized_stack, 0
	.set _ZL37rocblas_syrkx_herkx_restricted_kernelIl19rocblas_complex_numIdELi16ELi32ELi8ELi1ELin1ELb1ELc78ELc85EKPKS1_KPS1_EviT_PT9_S7_lS9_S7_lPT10_S7_li.has_recursion, 0
	.set _ZL37rocblas_syrkx_herkx_restricted_kernelIl19rocblas_complex_numIdELi16ELi32ELi8ELi1ELin1ELb1ELc78ELc85EKPKS1_KPS1_EviT_PT9_S7_lS9_S7_lPT10_S7_li.has_indirect_call, 0
	.section	.AMDGPU.csdata,"",@progbits
; Kernel info:
; codeLenInByte = 3004
; TotalNumSgprs: 26
; NumVgprs: 54
; ScratchSize: 0
; MemoryBound: 0
; FloatMode: 240
; IeeeMode: 1
; LDSByteSize: 8192 bytes/workgroup (compile time only)
; SGPRBlocks: 8
; VGPRBlocks: 13
; NumSGPRsForWavesPerEU: 65
; NumVGPRsForWavesPerEU: 54
; Occupancy: 4
; WaveLimiterHint : 1
; COMPUTE_PGM_RSRC2:SCRATCH_EN: 0
; COMPUTE_PGM_RSRC2:USER_SGPR: 6
; COMPUTE_PGM_RSRC2:TRAP_HANDLER: 0
; COMPUTE_PGM_RSRC2:TGID_X_EN: 1
; COMPUTE_PGM_RSRC2:TGID_Y_EN: 1
; COMPUTE_PGM_RSRC2:TGID_Z_EN: 1
; COMPUTE_PGM_RSRC2:TIDIG_COMP_CNT: 1
	.section	.text._ZL37rocblas_syrkx_herkx_restricted_kernelIl19rocblas_complex_numIdELi16ELi32ELi8ELi1ELi0ELb1ELc84ELc76EKPKS1_KPS1_EviT_PT9_S7_lS9_S7_lPT10_S7_li,"axG",@progbits,_ZL37rocblas_syrkx_herkx_restricted_kernelIl19rocblas_complex_numIdELi16ELi32ELi8ELi1ELi0ELb1ELc84ELc76EKPKS1_KPS1_EviT_PT9_S7_lS9_S7_lPT10_S7_li,comdat
	.globl	_ZL37rocblas_syrkx_herkx_restricted_kernelIl19rocblas_complex_numIdELi16ELi32ELi8ELi1ELi0ELb1ELc84ELc76EKPKS1_KPS1_EviT_PT9_S7_lS9_S7_lPT10_S7_li ; -- Begin function _ZL37rocblas_syrkx_herkx_restricted_kernelIl19rocblas_complex_numIdELi16ELi32ELi8ELi1ELi0ELb1ELc84ELc76EKPKS1_KPS1_EviT_PT9_S7_lS9_S7_lPT10_S7_li
	.p2align	8
	.type	_ZL37rocblas_syrkx_herkx_restricted_kernelIl19rocblas_complex_numIdELi16ELi32ELi8ELi1ELi0ELb1ELc84ELc76EKPKS1_KPS1_EviT_PT9_S7_lS9_S7_lPT10_S7_li,@function
_ZL37rocblas_syrkx_herkx_restricted_kernelIl19rocblas_complex_numIdELi16ELi32ELi8ELi1ELi0ELb1ELc84ELc76EKPKS1_KPS1_EviT_PT9_S7_lS9_S7_lPT10_S7_li: ; @_ZL37rocblas_syrkx_herkx_restricted_kernelIl19rocblas_complex_numIdELi16ELi32ELi8ELi1ELi0ELb1ELc84ELc76EKPKS1_KPS1_EviT_PT9_S7_lS9_S7_lPT10_S7_li
; %bb.0:
	s_load_dwordx4 s[12:15], s[4:5], 0x40
	s_load_dwordx4 s[0:3], s[4:5], 0x8
	s_mov_b32 s9, 0
	s_lshl_b64 s[10:11], s[8:9], 3
	s_waitcnt lgkmcnt(0)
	s_add_u32 s8, s12, s10
	s_addc_u32 s9, s13, s11
	s_load_dwordx2 s[8:9], s[8:9], 0x0
	v_cmp_lt_i64_e64 s[12:13], s[0:1], 1
	s_lshl_b32 s6, s6, 5
	s_lshl_b32 s7, s7, 5
	s_and_b64 vcc, exec, s[12:13]
	s_cbranch_vccnz .LBB1785_3
; %bb.1:
	s_load_dwordx2 s[12:13], s[4:5], 0x18
	s_load_dwordx4 s[16:19], s[4:5], 0x28
	v_lshl_add_u32 v4, v1, 4, v0
	v_lshrrev_b32_e32 v8, 3, v4
	v_add_u32_e32 v5, s7, v8
	v_ashrrev_i32_e32 v6, 31, v5
	v_and_b32_e32 v2, 7, v0
	v_mov_b32_e32 v3, 0
	s_waitcnt lgkmcnt(0)
	v_mul_lo_u32 v9, s18, v6
	v_mul_lo_u32 v10, s19, v5
	v_mad_u64_u32 v[6:7], s[18:19], s18, v5, v[2:3]
	s_add_u32 s2, s2, s10
	v_lshlrev_b32_e32 v2, 4, v2
	v_add3_u32 v7, v10, v7, v9
	v_and_b32_e32 v9, 31, v4
	s_addc_u32 s3, s3, s11
	v_lshl_or_b32 v2, v8, 7, v2
	v_add_u32_e32 v8, s6, v9
	s_add_u32 s10, s16, s10
	v_lshrrev_b32_e32 v4, 5, v4
	v_mov_b32_e32 v5, v3
	v_lshlrev_b32_e32 v3, 4, v9
	v_add_u32_e32 v23, 0x1000, v2
	v_ashrrev_i32_e32 v2, 31, v8
	s_addc_u32 s11, s17, s11
	v_lshl_or_b32 v22, v4, 9, v3
	v_mul_lo_u32 v9, s12, v2
	v_mad_u64_u32 v[2:3], s[16:17], s12, v8, v[4:5]
	v_mul_lo_u32 v4, s13, v8
	s_load_dwordx2 s[2:3], s[2:3], 0x0
	v_mov_b32_e32 v5, 0x1000
	s_load_dwordx2 s[10:11], s[10:11], 0x0
	v_add3_u32 v3, v4, v3, v9
	v_lshlrev_b64 v[2:3], 4, v[2:3]
	v_lshl_add_u32 v25, v1, 7, v5
	s_waitcnt lgkmcnt(0)
	v_mov_b32_e32 v5, s3
	v_add_co_u32_e32 v4, vcc, s2, v2
	v_addc_co_u32_e32 v5, vcc, v5, v3, vcc
	v_lshlrev_b64 v[2:3], 4, v[6:7]
	v_mov_b32_e32 v6, s11
	v_add_co_u32_e32 v12, vcc, s10, v2
	v_addc_co_u32_e32 v13, vcc, v6, v3, vcc
	v_mov_b32_e32 v16, 0
	v_mov_b32_e32 v6, 0
	;; [unrolled: 1-line block ×8, first 2 shown]
	v_lshlrev_b32_e32 v24, 4, v0
	v_mov_b32_e32 v17, 0
	v_mov_b32_e32 v7, 0
	;; [unrolled: 1-line block ×8, first 2 shown]
	s_mov_b64 s[2:3], 0
.LBB1785_2:                             ; =>This Inner Loop Header: Depth=1
	flat_load_dwordx4 v[26:29], v[4:5]
	s_add_u32 s2, s2, 8
	v_add_co_u32_e32 v4, vcc, 0x80, v4
	s_addc_u32 s3, s3, 0
	v_addc_co_u32_e32 v5, vcc, 0, v5, vcc
	s_waitcnt vmcnt(0) lgkmcnt(0)
	ds_write_b128 v22, v[26:29]
	flat_load_dwordx4 v[26:29], v[12:13]
	v_add_co_u32_e32 v12, vcc, 0x80, v12
	v_addc_co_u32_e32 v13, vcc, 0, v13, vcc
	s_waitcnt vmcnt(0) lgkmcnt(0)
	ds_write_b128 v23, v[26:29]
	s_waitcnt lgkmcnt(0)
	s_barrier
	ds_read_b128 v[26:29], v25
	ds_read_b128 v[30:33], v25 offset:16
	ds_read_b128 v[34:37], v25 offset:32
	;; [unrolled: 1-line block ×3, first 2 shown]
	ds_read_b128 v[42:45], v24
	s_waitcnt lgkmcnt(0)
	v_mul_f64 v[46:47], v[28:29], v[44:45]
	v_mul_f64 v[48:49], v[26:27], v[44:45]
	v_fma_f64 v[46:47], v[26:27], v[42:43], -v[46:47]
	v_fma_f64 v[48:49], v[28:29], v[42:43], v[48:49]
	v_add_f64 v[10:11], v[10:11], v[46:47]
	v_add_f64 v[20:21], v[48:49], v[20:21]
	ds_read_b128 v[46:49], v24 offset:256
	s_waitcnt lgkmcnt(0)
	v_mul_f64 v[50:51], v[28:29], v[48:49]
	v_fma_f64 v[50:51], v[26:27], v[46:47], -v[50:51]
	v_mul_f64 v[26:27], v[26:27], v[48:49]
	v_add_f64 v[2:3], v[2:3], v[50:51]
	v_fma_f64 v[26:27], v[28:29], v[46:47], v[26:27]
	v_add_f64 v[50:51], v[26:27], v[14:15]
	ds_read_b128 v[26:29], v25 offset:2048
	s_waitcnt lgkmcnt(0)
	v_mul_f64 v[14:15], v[28:29], v[44:45]
	v_mul_f64 v[44:45], v[26:27], v[44:45]
	v_fma_f64 v[14:15], v[26:27], v[42:43], -v[14:15]
	v_fma_f64 v[42:43], v[28:29], v[42:43], v[44:45]
	v_add_f64 v[44:45], v[8:9], v[14:15]
	v_mul_f64 v[8:9], v[28:29], v[48:49]
	v_mul_f64 v[14:15], v[26:27], v[48:49]
	v_add_f64 v[42:43], v[42:43], v[18:19]
	v_fma_f64 v[8:9], v[26:27], v[46:47], -v[8:9]
	v_fma_f64 v[14:15], v[28:29], v[46:47], v[14:15]
	v_add_f64 v[26:27], v[6:7], v[8:9]
	ds_read_b128 v[6:9], v24 offset:512
	v_add_f64 v[28:29], v[14:15], v[16:17]
	s_waitcnt lgkmcnt(0)
	v_mul_f64 v[14:15], v[32:33], v[8:9]
	v_mul_f64 v[16:17], v[30:31], v[8:9]
	v_fma_f64 v[14:15], v[30:31], v[6:7], -v[14:15]
	v_fma_f64 v[16:17], v[32:33], v[6:7], v[16:17]
	v_add_f64 v[10:11], v[10:11], v[14:15]
	v_add_f64 v[46:47], v[16:17], v[20:21]
	ds_read_b128 v[14:17], v24 offset:768
	s_waitcnt lgkmcnt(0)
	v_mul_f64 v[18:19], v[32:33], v[16:17]
	v_mul_f64 v[20:21], v[30:31], v[16:17]
	v_fma_f64 v[18:19], v[30:31], v[14:15], -v[18:19]
	v_fma_f64 v[20:21], v[32:33], v[14:15], v[20:21]
	v_add_f64 v[2:3], v[2:3], v[18:19]
	v_add_f64 v[30:31], v[20:21], v[50:51]
	ds_read_b128 v[18:21], v25 offset:2064
	s_waitcnt lgkmcnt(0)
	v_mul_f64 v[32:33], v[20:21], v[8:9]
	v_mul_f64 v[8:9], v[18:19], v[8:9]
	v_fma_f64 v[32:33], v[18:19], v[6:7], -v[32:33]
	v_fma_f64 v[6:7], v[20:21], v[6:7], v[8:9]
	v_mul_f64 v[8:9], v[18:19], v[16:17]
	v_add_f64 v[32:33], v[44:45], v[32:33]
	v_add_f64 v[42:43], v[6:7], v[42:43]
	v_mul_f64 v[6:7], v[20:21], v[16:17]
	v_fma_f64 v[8:9], v[20:21], v[14:15], v[8:9]
	v_fma_f64 v[6:7], v[18:19], v[14:15], -v[6:7]
	v_add_f64 v[28:29], v[8:9], v[28:29]
	v_add_f64 v[26:27], v[26:27], v[6:7]
	ds_read_b128 v[6:9], v24 offset:1024
	s_waitcnt lgkmcnt(0)
	v_mul_f64 v[14:15], v[36:37], v[8:9]
	v_mul_f64 v[16:17], v[34:35], v[8:9]
	v_fma_f64 v[14:15], v[34:35], v[6:7], -v[14:15]
	v_fma_f64 v[16:17], v[36:37], v[6:7], v[16:17]
	v_add_f64 v[10:11], v[10:11], v[14:15]
	v_add_f64 v[44:45], v[16:17], v[46:47]
	ds_read_b128 v[14:17], v24 offset:1280
	s_waitcnt lgkmcnt(0)
	v_mul_f64 v[18:19], v[36:37], v[16:17]
	v_mul_f64 v[20:21], v[34:35], v[16:17]
	v_fma_f64 v[18:19], v[34:35], v[14:15], -v[18:19]
	v_fma_f64 v[20:21], v[36:37], v[14:15], v[20:21]
	v_add_f64 v[2:3], v[2:3], v[18:19]
	v_add_f64 v[30:31], v[20:21], v[30:31]
	ds_read_b128 v[18:21], v25 offset:2080
	s_waitcnt lgkmcnt(0)
	v_mul_f64 v[34:35], v[20:21], v[8:9]
	v_mul_f64 v[8:9], v[18:19], v[8:9]
	v_fma_f64 v[34:35], v[18:19], v[6:7], -v[34:35]
	v_fma_f64 v[6:7], v[20:21], v[6:7], v[8:9]
	v_mul_f64 v[8:9], v[18:19], v[16:17]
	v_add_f64 v[32:33], v[32:33], v[34:35]
	v_add_f64 v[34:35], v[6:7], v[42:43]
	v_mul_f64 v[6:7], v[20:21], v[16:17]
	v_fma_f64 v[8:9], v[20:21], v[14:15], v[8:9]
	v_fma_f64 v[6:7], v[18:19], v[14:15], -v[6:7]
	v_add_f64 v[28:29], v[8:9], v[28:29]
	v_add_f64 v[26:27], v[26:27], v[6:7]
	ds_read_b128 v[6:9], v24 offset:1536
	;; [unrolled: 30-line block ×3, first 2 shown]
	ds_read_b128 v[14:17], v24 offset:2048
	s_waitcnt lgkmcnt(0)
	v_mul_f64 v[18:19], v[8:9], v[16:17]
	v_mul_f64 v[20:21], v[6:7], v[16:17]
	v_fma_f64 v[18:19], v[6:7], v[14:15], -v[18:19]
	v_fma_f64 v[20:21], v[8:9], v[14:15], v[20:21]
	v_add_f64 v[10:11], v[10:11], v[18:19]
	v_add_f64 v[36:37], v[20:21], v[36:37]
	ds_read_b128 v[18:21], v24 offset:2304
	s_waitcnt lgkmcnt(0)
	v_mul_f64 v[38:39], v[8:9], v[20:21]
	v_fma_f64 v[38:39], v[6:7], v[18:19], -v[38:39]
	v_mul_f64 v[6:7], v[6:7], v[20:21]
	v_add_f64 v[2:3], v[2:3], v[38:39]
	v_fma_f64 v[6:7], v[8:9], v[18:19], v[6:7]
	v_add_f64 v[30:31], v[6:7], v[30:31]
	ds_read_b128 v[6:9], v25 offset:2112
	s_waitcnt lgkmcnt(0)
	v_mul_f64 v[38:39], v[8:9], v[16:17]
	v_mul_f64 v[16:17], v[6:7], v[16:17]
	v_fma_f64 v[38:39], v[6:7], v[14:15], -v[38:39]
	v_fma_f64 v[14:15], v[8:9], v[14:15], v[16:17]
	v_add_f64 v[32:33], v[32:33], v[38:39]
	v_add_f64 v[34:35], v[14:15], v[34:35]
	v_mul_f64 v[14:15], v[8:9], v[20:21]
	v_fma_f64 v[14:15], v[6:7], v[18:19], -v[14:15]
	v_mul_f64 v[6:7], v[6:7], v[20:21]
	v_add_f64 v[26:27], v[26:27], v[14:15]
	v_fma_f64 v[6:7], v[8:9], v[18:19], v[6:7]
	v_add_f64 v[28:29], v[6:7], v[28:29]
	ds_read_b128 v[6:9], v25 offset:80
	ds_read_b128 v[14:17], v24 offset:2560
	s_waitcnt lgkmcnt(0)
	v_mul_f64 v[18:19], v[8:9], v[16:17]
	v_mul_f64 v[20:21], v[6:7], v[16:17]
	v_fma_f64 v[18:19], v[6:7], v[14:15], -v[18:19]
	v_fma_f64 v[20:21], v[8:9], v[14:15], v[20:21]
	v_add_f64 v[10:11], v[10:11], v[18:19]
	v_add_f64 v[36:37], v[20:21], v[36:37]
	ds_read_b128 v[18:21], v24 offset:2816
	s_waitcnt lgkmcnt(0)
	v_mul_f64 v[38:39], v[8:9], v[20:21]
	v_fma_f64 v[38:39], v[6:7], v[18:19], -v[38:39]
	v_mul_f64 v[6:7], v[6:7], v[20:21]
	v_add_f64 v[2:3], v[2:3], v[38:39]
	v_fma_f64 v[6:7], v[8:9], v[18:19], v[6:7]
	v_add_f64 v[30:31], v[6:7], v[30:31]
	ds_read_b128 v[6:9], v25 offset:2128
	s_waitcnt lgkmcnt(0)
	v_mul_f64 v[38:39], v[8:9], v[16:17]
	v_mul_f64 v[16:17], v[6:7], v[16:17]
	v_fma_f64 v[38:39], v[6:7], v[14:15], -v[38:39]
	v_fma_f64 v[14:15], v[8:9], v[14:15], v[16:17]
	v_add_f64 v[32:33], v[32:33], v[38:39]
	v_add_f64 v[34:35], v[14:15], v[34:35]
	v_mul_f64 v[14:15], v[8:9], v[20:21]
	v_fma_f64 v[14:15], v[6:7], v[18:19], -v[14:15]
	v_mul_f64 v[6:7], v[6:7], v[20:21]
	v_add_f64 v[26:27], v[26:27], v[14:15]
	v_fma_f64 v[6:7], v[8:9], v[18:19], v[6:7]
	v_add_f64 v[28:29], v[6:7], v[28:29]
	ds_read_b128 v[6:9], v25 offset:96
	;; [unrolled: 31-line block ×3, first 2 shown]
	ds_read_b128 v[16:19], v24 offset:3584
	ds_read_b128 v[26:29], v24 offset:3840
	s_waitcnt lgkmcnt(1)
	v_mul_f64 v[14:15], v[8:9], v[18:19]
	v_mul_f64 v[20:21], v[6:7], v[18:19]
	v_fma_f64 v[14:15], v[6:7], v[16:17], -v[14:15]
	v_fma_f64 v[20:21], v[8:9], v[16:17], v[20:21]
	v_add_f64 v[10:11], v[10:11], v[14:15]
	s_waitcnt lgkmcnt(0)
	v_mul_f64 v[14:15], v[8:9], v[28:29]
	v_add_f64 v[20:21], v[20:21], v[36:37]
	v_fma_f64 v[14:15], v[6:7], v[26:27], -v[14:15]
	v_mul_f64 v[6:7], v[6:7], v[28:29]
	v_add_f64 v[2:3], v[2:3], v[14:15]
	v_fma_f64 v[6:7], v[8:9], v[26:27], v[6:7]
	v_add_f64 v[14:15], v[6:7], v[30:31]
	ds_read_b128 v[30:33], v25 offset:2160
	s_waitcnt lgkmcnt(0)
	s_barrier
	v_mul_f64 v[6:7], v[32:33], v[18:19]
	v_mul_f64 v[8:9], v[30:31], v[18:19]
	v_fma_f64 v[6:7], v[30:31], v[16:17], -v[6:7]
	v_fma_f64 v[16:17], v[32:33], v[16:17], v[8:9]
	v_add_f64 v[8:9], v[38:39], v[6:7]
	v_add_f64 v[18:19], v[16:17], v[34:35]
	v_mul_f64 v[6:7], v[32:33], v[28:29]
	v_mul_f64 v[16:17], v[30:31], v[28:29]
	v_fma_f64 v[6:7], v[30:31], v[26:27], -v[6:7]
	v_fma_f64 v[16:17], v[32:33], v[26:27], v[16:17]
	v_mov_b32_e32 v27, s3
	v_mov_b32_e32 v26, s2
	v_cmp_le_u64_e32 vcc, s[0:1], v[26:27]
	v_add_f64 v[6:7], v[40:41], v[6:7]
	v_add_f64 v[16:17], v[16:17], v[42:43]
	s_cbranch_vccz .LBB1785_2
	s_branch .LBB1785_4
.LBB1785_3:
	v_mov_b32_e32 v10, 0
	v_mov_b32_e32 v20, 0
	;; [unrolled: 1-line block ×16, first 2 shown]
.LBB1785_4:
	v_add_u32_e32 v22, s7, v1
	v_ashrrev_i32_e32 v1, 31, v22
	v_mul_lo_u32 v1, s14, v1
	v_mul_lo_u32 v12, s15, v22
	v_mad_u64_u32 v[4:5], s[0:1], s14, v22, 0
	s_load_dword s4, s[4:5], 0x0
	v_add_u32_e32 v0, s6, v0
	v_add3_u32 v5, v5, v1, v12
	v_lshlrev_b64 v[4:5], 4, v[4:5]
	s_waitcnt lgkmcnt(0)
	v_mov_b32_e32 v1, s9
	v_add_co_u32_e32 v4, vcc, s8, v4
	v_addc_co_u32_e32 v5, vcc, v1, v5, vcc
	v_cmp_le_i32_e64 s[0:1], v22, v0
	v_cmp_gt_i32_e32 vcc, s4, v0
	s_and_b64 s[0:1], s[0:1], vcc
	s_and_saveexec_b64 s[2:3], s[0:1]
	s_cbranch_execz .LBB1785_6
; %bb.5:
	v_ashrrev_i32_e32 v1, 31, v0
	v_lshlrev_b64 v[12:13], 4, v[0:1]
	v_add_co_u32_e64 v23, s[0:1], v4, v12
	v_addc_co_u32_e64 v24, s[0:1], v5, v13, s[0:1]
	v_cmp_ne_u32_e64 s[0:1], v22, v0
	v_cndmask_b32_e64 v13, 0, v21, s[0:1]
	v_cndmask_b32_e64 v12, 0, v20, s[0:1]
	flat_store_dwordx4 v[23:24], v[10:13]
.LBB1785_6:
	s_or_b64 exec, exec, s[2:3]
	v_add_u32_e32 v12, 16, v0
	v_cmp_le_i32_e64 s[2:3], v22, v12
	v_cmp_gt_i32_e64 s[0:1], s4, v12
	s_and_b64 s[2:3], s[2:3], s[0:1]
	s_and_saveexec_b64 s[4:5], s[2:3]
	s_cbranch_execz .LBB1785_8
; %bb.7:
	v_ashrrev_i32_e32 v13, 31, v12
	v_lshlrev_b64 v[10:11], 4, v[12:13]
	v_add_co_u32_e64 v10, s[2:3], v4, v10
	v_addc_co_u32_e64 v11, s[2:3], v5, v11, s[2:3]
	v_cmp_ne_u32_e64 s[2:3], v22, v12
	v_cndmask_b32_e64 v5, 0, v15, s[2:3]
	v_cndmask_b32_e64 v4, 0, v14, s[2:3]
	flat_store_dwordx4 v[10:11], v[2:5]
.LBB1785_8:
	s_or_b64 exec, exec, s[4:5]
	v_add_u32_e32 v2, 16, v22
	v_ashrrev_i32_e32 v1, 31, v2
	v_mul_lo_u32 v5, s15, v2
	v_mad_u64_u32 v[3:4], s[2:3], s14, v2, 0
	v_mul_lo_u32 v1, s14, v1
	v_add3_u32 v4, v4, v1, v5
	v_lshlrev_b64 v[3:4], 4, v[3:4]
	v_mov_b32_e32 v1, s9
	v_add_co_u32_e64 v3, s[2:3], s8, v3
	v_addc_co_u32_e64 v4, s[2:3], v1, v4, s[2:3]
	v_cmp_le_i32_e64 s[2:3], v2, v0
	s_and_b64 s[4:5], s[2:3], vcc
	s_and_saveexec_b64 s[2:3], s[4:5]
	s_cbranch_execz .LBB1785_10
; %bb.9:
	v_ashrrev_i32_e32 v1, 31, v0
	v_lshlrev_b64 v[10:11], 4, v[0:1]
	v_add_co_u32_e32 v13, vcc, v3, v10
	v_addc_co_u32_e32 v14, vcc, v4, v11, vcc
	v_cmp_ne_u32_e32 vcc, v2, v0
	v_cndmask_b32_e32 v11, 0, v19, vcc
	v_cndmask_b32_e32 v10, 0, v18, vcc
	flat_store_dwordx4 v[13:14], v[8:11]
.LBB1785_10:
	s_or_b64 exec, exec, s[2:3]
	v_cmp_le_i32_e32 vcc, v2, v12
	s_and_b64 s[0:1], vcc, s[0:1]
	s_and_saveexec_b64 s[2:3], s[0:1]
	s_cbranch_execz .LBB1785_12
; %bb.11:
	v_ashrrev_i32_e32 v13, 31, v12
	v_lshlrev_b64 v[1:2], 4, v[12:13]
	v_add_co_u32_e32 v1, vcc, v3, v1
	v_addc_co_u32_e32 v2, vcc, v4, v2, vcc
	v_cmp_ne_u32_e32 vcc, v22, v0
	v_cndmask_b32_e32 v9, 0, v17, vcc
	v_cndmask_b32_e32 v8, 0, v16, vcc
	flat_store_dwordx4 v[1:2], v[6:9]
.LBB1785_12:
	s_endpgm
	.section	.rodata,"a",@progbits
	.p2align	6, 0x0
	.amdhsa_kernel _ZL37rocblas_syrkx_herkx_restricted_kernelIl19rocblas_complex_numIdELi16ELi32ELi8ELi1ELi0ELb1ELc84ELc76EKPKS1_KPS1_EviT_PT9_S7_lS9_S7_lPT10_S7_li
		.amdhsa_group_segment_fixed_size 8192
		.amdhsa_private_segment_fixed_size 0
		.amdhsa_kernarg_size 92
		.amdhsa_user_sgpr_count 6
		.amdhsa_user_sgpr_private_segment_buffer 1
		.amdhsa_user_sgpr_dispatch_ptr 0
		.amdhsa_user_sgpr_queue_ptr 0
		.amdhsa_user_sgpr_kernarg_segment_ptr 1
		.amdhsa_user_sgpr_dispatch_id 0
		.amdhsa_user_sgpr_flat_scratch_init 0
		.amdhsa_user_sgpr_private_segment_size 0
		.amdhsa_uses_dynamic_stack 0
		.amdhsa_system_sgpr_private_segment_wavefront_offset 0
		.amdhsa_system_sgpr_workgroup_id_x 1
		.amdhsa_system_sgpr_workgroup_id_y 1
		.amdhsa_system_sgpr_workgroup_id_z 1
		.amdhsa_system_sgpr_workgroup_info 0
		.amdhsa_system_vgpr_workitem_id 1
		.amdhsa_next_free_vgpr 52
		.amdhsa_next_free_sgpr 61
		.amdhsa_reserve_vcc 1
		.amdhsa_reserve_flat_scratch 0
		.amdhsa_float_round_mode_32 0
		.amdhsa_float_round_mode_16_64 0
		.amdhsa_float_denorm_mode_32 3
		.amdhsa_float_denorm_mode_16_64 3
		.amdhsa_dx10_clamp 1
		.amdhsa_ieee_mode 1
		.amdhsa_fp16_overflow 0
		.amdhsa_exception_fp_ieee_invalid_op 0
		.amdhsa_exception_fp_denorm_src 0
		.amdhsa_exception_fp_ieee_div_zero 0
		.amdhsa_exception_fp_ieee_overflow 0
		.amdhsa_exception_fp_ieee_underflow 0
		.amdhsa_exception_fp_ieee_inexact 0
		.amdhsa_exception_int_div_zero 0
	.end_amdhsa_kernel
	.section	.text._ZL37rocblas_syrkx_herkx_restricted_kernelIl19rocblas_complex_numIdELi16ELi32ELi8ELi1ELi0ELb1ELc84ELc76EKPKS1_KPS1_EviT_PT9_S7_lS9_S7_lPT10_S7_li,"axG",@progbits,_ZL37rocblas_syrkx_herkx_restricted_kernelIl19rocblas_complex_numIdELi16ELi32ELi8ELi1ELi0ELb1ELc84ELc76EKPKS1_KPS1_EviT_PT9_S7_lS9_S7_lPT10_S7_li,comdat
.Lfunc_end1785:
	.size	_ZL37rocblas_syrkx_herkx_restricted_kernelIl19rocblas_complex_numIdELi16ELi32ELi8ELi1ELi0ELb1ELc84ELc76EKPKS1_KPS1_EviT_PT9_S7_lS9_S7_lPT10_S7_li, .Lfunc_end1785-_ZL37rocblas_syrkx_herkx_restricted_kernelIl19rocblas_complex_numIdELi16ELi32ELi8ELi1ELi0ELb1ELc84ELc76EKPKS1_KPS1_EviT_PT9_S7_lS9_S7_lPT10_S7_li
                                        ; -- End function
	.set _ZL37rocblas_syrkx_herkx_restricted_kernelIl19rocblas_complex_numIdELi16ELi32ELi8ELi1ELi0ELb1ELc84ELc76EKPKS1_KPS1_EviT_PT9_S7_lS9_S7_lPT10_S7_li.num_vgpr, 52
	.set _ZL37rocblas_syrkx_herkx_restricted_kernelIl19rocblas_complex_numIdELi16ELi32ELi8ELi1ELi0ELb1ELc84ELc76EKPKS1_KPS1_EviT_PT9_S7_lS9_S7_lPT10_S7_li.num_agpr, 0
	.set _ZL37rocblas_syrkx_herkx_restricted_kernelIl19rocblas_complex_numIdELi16ELi32ELi8ELi1ELi0ELb1ELc84ELc76EKPKS1_KPS1_EviT_PT9_S7_lS9_S7_lPT10_S7_li.numbered_sgpr, 20
	.set _ZL37rocblas_syrkx_herkx_restricted_kernelIl19rocblas_complex_numIdELi16ELi32ELi8ELi1ELi0ELb1ELc84ELc76EKPKS1_KPS1_EviT_PT9_S7_lS9_S7_lPT10_S7_li.num_named_barrier, 0
	.set _ZL37rocblas_syrkx_herkx_restricted_kernelIl19rocblas_complex_numIdELi16ELi32ELi8ELi1ELi0ELb1ELc84ELc76EKPKS1_KPS1_EviT_PT9_S7_lS9_S7_lPT10_S7_li.private_seg_size, 0
	.set _ZL37rocblas_syrkx_herkx_restricted_kernelIl19rocblas_complex_numIdELi16ELi32ELi8ELi1ELi0ELb1ELc84ELc76EKPKS1_KPS1_EviT_PT9_S7_lS9_S7_lPT10_S7_li.uses_vcc, 1
	.set _ZL37rocblas_syrkx_herkx_restricted_kernelIl19rocblas_complex_numIdELi16ELi32ELi8ELi1ELi0ELb1ELc84ELc76EKPKS1_KPS1_EviT_PT9_S7_lS9_S7_lPT10_S7_li.uses_flat_scratch, 0
	.set _ZL37rocblas_syrkx_herkx_restricted_kernelIl19rocblas_complex_numIdELi16ELi32ELi8ELi1ELi0ELb1ELc84ELc76EKPKS1_KPS1_EviT_PT9_S7_lS9_S7_lPT10_S7_li.has_dyn_sized_stack, 0
	.set _ZL37rocblas_syrkx_herkx_restricted_kernelIl19rocblas_complex_numIdELi16ELi32ELi8ELi1ELi0ELb1ELc84ELc76EKPKS1_KPS1_EviT_PT9_S7_lS9_S7_lPT10_S7_li.has_recursion, 0
	.set _ZL37rocblas_syrkx_herkx_restricted_kernelIl19rocblas_complex_numIdELi16ELi32ELi8ELi1ELi0ELb1ELc84ELc76EKPKS1_KPS1_EviT_PT9_S7_lS9_S7_lPT10_S7_li.has_indirect_call, 0
	.section	.AMDGPU.csdata,"",@progbits
; Kernel info:
; codeLenInByte = 2904
; TotalNumSgprs: 24
; NumVgprs: 52
; ScratchSize: 0
; MemoryBound: 0
; FloatMode: 240
; IeeeMode: 1
; LDSByteSize: 8192 bytes/workgroup (compile time only)
; SGPRBlocks: 8
; VGPRBlocks: 12
; NumSGPRsForWavesPerEU: 65
; NumVGPRsForWavesPerEU: 52
; Occupancy: 4
; WaveLimiterHint : 1
; COMPUTE_PGM_RSRC2:SCRATCH_EN: 0
; COMPUTE_PGM_RSRC2:USER_SGPR: 6
; COMPUTE_PGM_RSRC2:TRAP_HANDLER: 0
; COMPUTE_PGM_RSRC2:TGID_X_EN: 1
; COMPUTE_PGM_RSRC2:TGID_Y_EN: 1
; COMPUTE_PGM_RSRC2:TGID_Z_EN: 1
; COMPUTE_PGM_RSRC2:TIDIG_COMP_CNT: 1
	.section	.text._ZL37rocblas_syrkx_herkx_restricted_kernelIl19rocblas_complex_numIdELi16ELi32ELi8ELi1ELi0ELb1ELc67ELc76EKPKS1_KPS1_EviT_PT9_S7_lS9_S7_lPT10_S7_li,"axG",@progbits,_ZL37rocblas_syrkx_herkx_restricted_kernelIl19rocblas_complex_numIdELi16ELi32ELi8ELi1ELi0ELb1ELc67ELc76EKPKS1_KPS1_EviT_PT9_S7_lS9_S7_lPT10_S7_li,comdat
	.globl	_ZL37rocblas_syrkx_herkx_restricted_kernelIl19rocblas_complex_numIdELi16ELi32ELi8ELi1ELi0ELb1ELc67ELc76EKPKS1_KPS1_EviT_PT9_S7_lS9_S7_lPT10_S7_li ; -- Begin function _ZL37rocblas_syrkx_herkx_restricted_kernelIl19rocblas_complex_numIdELi16ELi32ELi8ELi1ELi0ELb1ELc67ELc76EKPKS1_KPS1_EviT_PT9_S7_lS9_S7_lPT10_S7_li
	.p2align	8
	.type	_ZL37rocblas_syrkx_herkx_restricted_kernelIl19rocblas_complex_numIdELi16ELi32ELi8ELi1ELi0ELb1ELc67ELc76EKPKS1_KPS1_EviT_PT9_S7_lS9_S7_lPT10_S7_li,@function
_ZL37rocblas_syrkx_herkx_restricted_kernelIl19rocblas_complex_numIdELi16ELi32ELi8ELi1ELi0ELb1ELc67ELc76EKPKS1_KPS1_EviT_PT9_S7_lS9_S7_lPT10_S7_li: ; @_ZL37rocblas_syrkx_herkx_restricted_kernelIl19rocblas_complex_numIdELi16ELi32ELi8ELi1ELi0ELb1ELc67ELc76EKPKS1_KPS1_EviT_PT9_S7_lS9_S7_lPT10_S7_li
; %bb.0:
	s_load_dwordx4 s[12:15], s[4:5], 0x40
	s_load_dwordx4 s[0:3], s[4:5], 0x8
	s_mov_b32 s9, 0
	s_lshl_b64 s[10:11], s[8:9], 3
	s_waitcnt lgkmcnt(0)
	s_add_u32 s8, s12, s10
	s_addc_u32 s9, s13, s11
	s_load_dwordx2 s[8:9], s[8:9], 0x0
	v_cmp_lt_i64_e64 s[12:13], s[0:1], 1
	s_lshl_b32 s6, s6, 5
	s_lshl_b32 s7, s7, 5
	s_and_b64 vcc, exec, s[12:13]
	s_cbranch_vccnz .LBB1786_3
; %bb.1:
	s_load_dwordx2 s[12:13], s[4:5], 0x18
	s_load_dwordx4 s[16:19], s[4:5], 0x28
	v_lshl_add_u32 v4, v1, 4, v0
	v_lshrrev_b32_e32 v8, 3, v4
	v_add_u32_e32 v5, s7, v8
	v_ashrrev_i32_e32 v6, 31, v5
	v_and_b32_e32 v2, 7, v0
	v_mov_b32_e32 v3, 0
	s_waitcnt lgkmcnt(0)
	v_mul_lo_u32 v9, s18, v6
	v_mul_lo_u32 v10, s19, v5
	v_mad_u64_u32 v[6:7], s[18:19], s18, v5, v[2:3]
	s_add_u32 s2, s2, s10
	v_lshlrev_b32_e32 v2, 4, v2
	v_add3_u32 v7, v10, v7, v9
	v_and_b32_e32 v9, 31, v4
	s_addc_u32 s3, s3, s11
	v_lshl_or_b32 v2, v8, 7, v2
	v_add_u32_e32 v8, s6, v9
	s_add_u32 s10, s16, s10
	v_lshrrev_b32_e32 v4, 5, v4
	v_mov_b32_e32 v5, v3
	v_lshlrev_b32_e32 v3, 4, v9
	v_add_u32_e32 v23, 0x1000, v2
	v_ashrrev_i32_e32 v2, 31, v8
	s_addc_u32 s11, s17, s11
	v_lshl_or_b32 v22, v4, 9, v3
	v_mul_lo_u32 v9, s12, v2
	v_mad_u64_u32 v[2:3], s[16:17], s12, v8, v[4:5]
	v_mul_lo_u32 v4, s13, v8
	s_load_dwordx2 s[2:3], s[2:3], 0x0
	v_mov_b32_e32 v5, 0x1000
	s_load_dwordx2 s[10:11], s[10:11], 0x0
	v_add3_u32 v3, v4, v3, v9
	v_lshlrev_b64 v[2:3], 4, v[2:3]
	v_lshl_add_u32 v25, v1, 7, v5
	s_waitcnt lgkmcnt(0)
	v_mov_b32_e32 v5, s3
	v_add_co_u32_e32 v4, vcc, s2, v2
	v_addc_co_u32_e32 v5, vcc, v5, v3, vcc
	v_lshlrev_b64 v[2:3], 4, v[6:7]
	v_mov_b32_e32 v6, s11
	v_add_co_u32_e32 v12, vcc, s10, v2
	v_addc_co_u32_e32 v13, vcc, v6, v3, vcc
	v_mov_b32_e32 v16, 0
	v_mov_b32_e32 v6, 0
	;; [unrolled: 1-line block ×8, first 2 shown]
	v_lshlrev_b32_e32 v24, 4, v0
	v_mov_b32_e32 v17, 0
	v_mov_b32_e32 v7, 0
	;; [unrolled: 1-line block ×8, first 2 shown]
	s_mov_b64 s[2:3], 0
.LBB1786_2:                             ; =>This Inner Loop Header: Depth=1
	flat_load_dwordx4 v[26:29], v[4:5]
	s_add_u32 s2, s2, 8
	v_add_co_u32_e32 v4, vcc, 0x80, v4
	s_addc_u32 s3, s3, 0
	v_addc_co_u32_e32 v5, vcc, 0, v5, vcc
	s_waitcnt vmcnt(0) lgkmcnt(0)
	v_xor_b32_e32 v29, 0x80000000, v29
	ds_write_b128 v22, v[26:29]
	flat_load_dwordx4 v[26:29], v[12:13]
	v_add_co_u32_e32 v12, vcc, 0x80, v12
	v_addc_co_u32_e32 v13, vcc, 0, v13, vcc
	s_waitcnt vmcnt(0) lgkmcnt(0)
	ds_write_b128 v23, v[26:29]
	s_waitcnt lgkmcnt(0)
	s_barrier
	ds_read_b128 v[26:29], v25
	ds_read_b128 v[30:33], v25 offset:16
	ds_read_b128 v[34:37], v25 offset:32
	;; [unrolled: 1-line block ×3, first 2 shown]
	ds_read_b128 v[42:45], v24
	s_waitcnt lgkmcnt(0)
	v_mul_f64 v[46:47], v[28:29], v[44:45]
	v_mul_f64 v[48:49], v[26:27], v[44:45]
	v_fma_f64 v[46:47], v[26:27], v[42:43], -v[46:47]
	v_fma_f64 v[48:49], v[28:29], v[42:43], v[48:49]
	v_add_f64 v[10:11], v[10:11], v[46:47]
	v_add_f64 v[20:21], v[48:49], v[20:21]
	ds_read_b128 v[46:49], v24 offset:256
	s_waitcnt lgkmcnt(0)
	v_mul_f64 v[50:51], v[28:29], v[48:49]
	v_fma_f64 v[50:51], v[26:27], v[46:47], -v[50:51]
	v_mul_f64 v[26:27], v[26:27], v[48:49]
	v_add_f64 v[2:3], v[2:3], v[50:51]
	v_fma_f64 v[26:27], v[28:29], v[46:47], v[26:27]
	v_add_f64 v[50:51], v[26:27], v[14:15]
	ds_read_b128 v[26:29], v25 offset:2048
	s_waitcnt lgkmcnt(0)
	v_mul_f64 v[14:15], v[28:29], v[44:45]
	v_mul_f64 v[44:45], v[26:27], v[44:45]
	v_fma_f64 v[14:15], v[26:27], v[42:43], -v[14:15]
	v_fma_f64 v[42:43], v[28:29], v[42:43], v[44:45]
	v_add_f64 v[44:45], v[8:9], v[14:15]
	v_mul_f64 v[8:9], v[28:29], v[48:49]
	v_mul_f64 v[14:15], v[26:27], v[48:49]
	v_add_f64 v[42:43], v[42:43], v[18:19]
	v_fma_f64 v[8:9], v[26:27], v[46:47], -v[8:9]
	v_fma_f64 v[14:15], v[28:29], v[46:47], v[14:15]
	v_add_f64 v[26:27], v[6:7], v[8:9]
	ds_read_b128 v[6:9], v24 offset:512
	v_add_f64 v[28:29], v[14:15], v[16:17]
	s_waitcnt lgkmcnt(0)
	v_mul_f64 v[14:15], v[32:33], v[8:9]
	v_mul_f64 v[16:17], v[30:31], v[8:9]
	v_fma_f64 v[14:15], v[30:31], v[6:7], -v[14:15]
	v_fma_f64 v[16:17], v[32:33], v[6:7], v[16:17]
	v_add_f64 v[10:11], v[10:11], v[14:15]
	v_add_f64 v[46:47], v[16:17], v[20:21]
	ds_read_b128 v[14:17], v24 offset:768
	s_waitcnt lgkmcnt(0)
	v_mul_f64 v[18:19], v[32:33], v[16:17]
	v_mul_f64 v[20:21], v[30:31], v[16:17]
	v_fma_f64 v[18:19], v[30:31], v[14:15], -v[18:19]
	v_fma_f64 v[20:21], v[32:33], v[14:15], v[20:21]
	v_add_f64 v[2:3], v[2:3], v[18:19]
	v_add_f64 v[30:31], v[20:21], v[50:51]
	ds_read_b128 v[18:21], v25 offset:2064
	s_waitcnt lgkmcnt(0)
	v_mul_f64 v[32:33], v[20:21], v[8:9]
	v_mul_f64 v[8:9], v[18:19], v[8:9]
	v_fma_f64 v[32:33], v[18:19], v[6:7], -v[32:33]
	v_fma_f64 v[6:7], v[20:21], v[6:7], v[8:9]
	v_mul_f64 v[8:9], v[18:19], v[16:17]
	v_add_f64 v[32:33], v[44:45], v[32:33]
	v_add_f64 v[42:43], v[6:7], v[42:43]
	v_mul_f64 v[6:7], v[20:21], v[16:17]
	v_fma_f64 v[8:9], v[20:21], v[14:15], v[8:9]
	v_fma_f64 v[6:7], v[18:19], v[14:15], -v[6:7]
	v_add_f64 v[28:29], v[8:9], v[28:29]
	v_add_f64 v[26:27], v[26:27], v[6:7]
	ds_read_b128 v[6:9], v24 offset:1024
	s_waitcnt lgkmcnt(0)
	v_mul_f64 v[14:15], v[36:37], v[8:9]
	v_mul_f64 v[16:17], v[34:35], v[8:9]
	v_fma_f64 v[14:15], v[34:35], v[6:7], -v[14:15]
	v_fma_f64 v[16:17], v[36:37], v[6:7], v[16:17]
	v_add_f64 v[10:11], v[10:11], v[14:15]
	v_add_f64 v[44:45], v[16:17], v[46:47]
	ds_read_b128 v[14:17], v24 offset:1280
	s_waitcnt lgkmcnt(0)
	v_mul_f64 v[18:19], v[36:37], v[16:17]
	v_mul_f64 v[20:21], v[34:35], v[16:17]
	v_fma_f64 v[18:19], v[34:35], v[14:15], -v[18:19]
	v_fma_f64 v[20:21], v[36:37], v[14:15], v[20:21]
	v_add_f64 v[2:3], v[2:3], v[18:19]
	v_add_f64 v[30:31], v[20:21], v[30:31]
	ds_read_b128 v[18:21], v25 offset:2080
	s_waitcnt lgkmcnt(0)
	v_mul_f64 v[34:35], v[20:21], v[8:9]
	v_mul_f64 v[8:9], v[18:19], v[8:9]
	v_fma_f64 v[34:35], v[18:19], v[6:7], -v[34:35]
	v_fma_f64 v[6:7], v[20:21], v[6:7], v[8:9]
	v_mul_f64 v[8:9], v[18:19], v[16:17]
	v_add_f64 v[32:33], v[32:33], v[34:35]
	v_add_f64 v[34:35], v[6:7], v[42:43]
	v_mul_f64 v[6:7], v[20:21], v[16:17]
	v_fma_f64 v[8:9], v[20:21], v[14:15], v[8:9]
	v_fma_f64 v[6:7], v[18:19], v[14:15], -v[6:7]
	v_add_f64 v[28:29], v[8:9], v[28:29]
	v_add_f64 v[26:27], v[26:27], v[6:7]
	ds_read_b128 v[6:9], v24 offset:1536
	;; [unrolled: 30-line block ×3, first 2 shown]
	ds_read_b128 v[14:17], v24 offset:2048
	s_waitcnt lgkmcnt(0)
	v_mul_f64 v[18:19], v[8:9], v[16:17]
	v_mul_f64 v[20:21], v[6:7], v[16:17]
	v_fma_f64 v[18:19], v[6:7], v[14:15], -v[18:19]
	v_fma_f64 v[20:21], v[8:9], v[14:15], v[20:21]
	v_add_f64 v[10:11], v[10:11], v[18:19]
	v_add_f64 v[36:37], v[20:21], v[36:37]
	ds_read_b128 v[18:21], v24 offset:2304
	s_waitcnt lgkmcnt(0)
	v_mul_f64 v[38:39], v[8:9], v[20:21]
	v_fma_f64 v[38:39], v[6:7], v[18:19], -v[38:39]
	v_mul_f64 v[6:7], v[6:7], v[20:21]
	v_add_f64 v[2:3], v[2:3], v[38:39]
	v_fma_f64 v[6:7], v[8:9], v[18:19], v[6:7]
	v_add_f64 v[30:31], v[6:7], v[30:31]
	ds_read_b128 v[6:9], v25 offset:2112
	s_waitcnt lgkmcnt(0)
	v_mul_f64 v[38:39], v[8:9], v[16:17]
	v_mul_f64 v[16:17], v[6:7], v[16:17]
	v_fma_f64 v[38:39], v[6:7], v[14:15], -v[38:39]
	v_fma_f64 v[14:15], v[8:9], v[14:15], v[16:17]
	v_add_f64 v[32:33], v[32:33], v[38:39]
	v_add_f64 v[34:35], v[14:15], v[34:35]
	v_mul_f64 v[14:15], v[8:9], v[20:21]
	v_fma_f64 v[14:15], v[6:7], v[18:19], -v[14:15]
	v_mul_f64 v[6:7], v[6:7], v[20:21]
	v_add_f64 v[26:27], v[26:27], v[14:15]
	v_fma_f64 v[6:7], v[8:9], v[18:19], v[6:7]
	v_add_f64 v[28:29], v[6:7], v[28:29]
	ds_read_b128 v[6:9], v25 offset:80
	ds_read_b128 v[14:17], v24 offset:2560
	s_waitcnt lgkmcnt(0)
	v_mul_f64 v[18:19], v[8:9], v[16:17]
	v_mul_f64 v[20:21], v[6:7], v[16:17]
	v_fma_f64 v[18:19], v[6:7], v[14:15], -v[18:19]
	v_fma_f64 v[20:21], v[8:9], v[14:15], v[20:21]
	v_add_f64 v[10:11], v[10:11], v[18:19]
	v_add_f64 v[36:37], v[20:21], v[36:37]
	ds_read_b128 v[18:21], v24 offset:2816
	s_waitcnt lgkmcnt(0)
	v_mul_f64 v[38:39], v[8:9], v[20:21]
	v_fma_f64 v[38:39], v[6:7], v[18:19], -v[38:39]
	v_mul_f64 v[6:7], v[6:7], v[20:21]
	v_add_f64 v[2:3], v[2:3], v[38:39]
	v_fma_f64 v[6:7], v[8:9], v[18:19], v[6:7]
	v_add_f64 v[30:31], v[6:7], v[30:31]
	ds_read_b128 v[6:9], v25 offset:2128
	s_waitcnt lgkmcnt(0)
	v_mul_f64 v[38:39], v[8:9], v[16:17]
	v_mul_f64 v[16:17], v[6:7], v[16:17]
	v_fma_f64 v[38:39], v[6:7], v[14:15], -v[38:39]
	v_fma_f64 v[14:15], v[8:9], v[14:15], v[16:17]
	v_add_f64 v[32:33], v[32:33], v[38:39]
	v_add_f64 v[34:35], v[14:15], v[34:35]
	v_mul_f64 v[14:15], v[8:9], v[20:21]
	v_fma_f64 v[14:15], v[6:7], v[18:19], -v[14:15]
	v_mul_f64 v[6:7], v[6:7], v[20:21]
	v_add_f64 v[26:27], v[26:27], v[14:15]
	v_fma_f64 v[6:7], v[8:9], v[18:19], v[6:7]
	v_add_f64 v[28:29], v[6:7], v[28:29]
	ds_read_b128 v[6:9], v25 offset:96
	;; [unrolled: 31-line block ×3, first 2 shown]
	ds_read_b128 v[16:19], v24 offset:3584
	ds_read_b128 v[26:29], v24 offset:3840
	s_waitcnt lgkmcnt(1)
	v_mul_f64 v[14:15], v[8:9], v[18:19]
	v_mul_f64 v[20:21], v[6:7], v[18:19]
	v_fma_f64 v[14:15], v[6:7], v[16:17], -v[14:15]
	v_fma_f64 v[20:21], v[8:9], v[16:17], v[20:21]
	v_add_f64 v[10:11], v[10:11], v[14:15]
	s_waitcnt lgkmcnt(0)
	v_mul_f64 v[14:15], v[8:9], v[28:29]
	v_add_f64 v[20:21], v[20:21], v[36:37]
	v_fma_f64 v[14:15], v[6:7], v[26:27], -v[14:15]
	v_mul_f64 v[6:7], v[6:7], v[28:29]
	v_add_f64 v[2:3], v[2:3], v[14:15]
	v_fma_f64 v[6:7], v[8:9], v[26:27], v[6:7]
	v_add_f64 v[14:15], v[6:7], v[30:31]
	ds_read_b128 v[30:33], v25 offset:2160
	s_waitcnt lgkmcnt(0)
	s_barrier
	v_mul_f64 v[6:7], v[32:33], v[18:19]
	v_mul_f64 v[8:9], v[30:31], v[18:19]
	v_fma_f64 v[6:7], v[30:31], v[16:17], -v[6:7]
	v_fma_f64 v[16:17], v[32:33], v[16:17], v[8:9]
	v_add_f64 v[8:9], v[38:39], v[6:7]
	v_add_f64 v[18:19], v[16:17], v[34:35]
	v_mul_f64 v[6:7], v[32:33], v[28:29]
	v_mul_f64 v[16:17], v[30:31], v[28:29]
	v_fma_f64 v[6:7], v[30:31], v[26:27], -v[6:7]
	v_fma_f64 v[16:17], v[32:33], v[26:27], v[16:17]
	v_mov_b32_e32 v27, s3
	v_mov_b32_e32 v26, s2
	v_cmp_le_u64_e32 vcc, s[0:1], v[26:27]
	v_add_f64 v[6:7], v[40:41], v[6:7]
	v_add_f64 v[16:17], v[16:17], v[42:43]
	s_cbranch_vccz .LBB1786_2
	s_branch .LBB1786_4
.LBB1786_3:
	v_mov_b32_e32 v10, 0
	v_mov_b32_e32 v20, 0
	;; [unrolled: 1-line block ×16, first 2 shown]
.LBB1786_4:
	v_add_u32_e32 v22, s7, v1
	v_ashrrev_i32_e32 v1, 31, v22
	v_mul_lo_u32 v1, s14, v1
	v_mul_lo_u32 v12, s15, v22
	v_mad_u64_u32 v[4:5], s[0:1], s14, v22, 0
	s_load_dword s4, s[4:5], 0x0
	v_add_u32_e32 v0, s6, v0
	v_add3_u32 v5, v5, v1, v12
	v_lshlrev_b64 v[4:5], 4, v[4:5]
	s_waitcnt lgkmcnt(0)
	v_mov_b32_e32 v1, s9
	v_add_co_u32_e32 v4, vcc, s8, v4
	v_addc_co_u32_e32 v5, vcc, v1, v5, vcc
	v_cmp_le_i32_e64 s[0:1], v22, v0
	v_cmp_gt_i32_e32 vcc, s4, v0
	s_and_b64 s[0:1], s[0:1], vcc
	s_and_saveexec_b64 s[2:3], s[0:1]
	s_cbranch_execz .LBB1786_6
; %bb.5:
	v_ashrrev_i32_e32 v1, 31, v0
	v_lshlrev_b64 v[12:13], 4, v[0:1]
	v_add_co_u32_e64 v23, s[0:1], v4, v12
	v_addc_co_u32_e64 v24, s[0:1], v5, v13, s[0:1]
	v_cmp_ne_u32_e64 s[0:1], v22, v0
	v_cndmask_b32_e64 v13, 0, v21, s[0:1]
	v_cndmask_b32_e64 v12, 0, v20, s[0:1]
	flat_store_dwordx4 v[23:24], v[10:13]
.LBB1786_6:
	s_or_b64 exec, exec, s[2:3]
	v_add_u32_e32 v12, 16, v0
	v_cmp_le_i32_e64 s[2:3], v22, v12
	v_cmp_gt_i32_e64 s[0:1], s4, v12
	s_and_b64 s[2:3], s[2:3], s[0:1]
	s_and_saveexec_b64 s[4:5], s[2:3]
	s_cbranch_execz .LBB1786_8
; %bb.7:
	v_ashrrev_i32_e32 v13, 31, v12
	v_lshlrev_b64 v[10:11], 4, v[12:13]
	v_add_co_u32_e64 v10, s[2:3], v4, v10
	v_addc_co_u32_e64 v11, s[2:3], v5, v11, s[2:3]
	v_cmp_ne_u32_e64 s[2:3], v22, v12
	v_cndmask_b32_e64 v5, 0, v15, s[2:3]
	v_cndmask_b32_e64 v4, 0, v14, s[2:3]
	flat_store_dwordx4 v[10:11], v[2:5]
.LBB1786_8:
	s_or_b64 exec, exec, s[4:5]
	v_add_u32_e32 v2, 16, v22
	v_ashrrev_i32_e32 v1, 31, v2
	v_mul_lo_u32 v5, s15, v2
	v_mad_u64_u32 v[3:4], s[2:3], s14, v2, 0
	v_mul_lo_u32 v1, s14, v1
	v_add3_u32 v4, v4, v1, v5
	v_lshlrev_b64 v[3:4], 4, v[3:4]
	v_mov_b32_e32 v1, s9
	v_add_co_u32_e64 v3, s[2:3], s8, v3
	v_addc_co_u32_e64 v4, s[2:3], v1, v4, s[2:3]
	v_cmp_le_i32_e64 s[2:3], v2, v0
	s_and_b64 s[4:5], s[2:3], vcc
	s_and_saveexec_b64 s[2:3], s[4:5]
	s_cbranch_execz .LBB1786_10
; %bb.9:
	v_ashrrev_i32_e32 v1, 31, v0
	v_lshlrev_b64 v[10:11], 4, v[0:1]
	v_add_co_u32_e32 v13, vcc, v3, v10
	v_addc_co_u32_e32 v14, vcc, v4, v11, vcc
	v_cmp_ne_u32_e32 vcc, v2, v0
	v_cndmask_b32_e32 v11, 0, v19, vcc
	v_cndmask_b32_e32 v10, 0, v18, vcc
	flat_store_dwordx4 v[13:14], v[8:11]
.LBB1786_10:
	s_or_b64 exec, exec, s[2:3]
	v_cmp_le_i32_e32 vcc, v2, v12
	s_and_b64 s[0:1], vcc, s[0:1]
	s_and_saveexec_b64 s[2:3], s[0:1]
	s_cbranch_execz .LBB1786_12
; %bb.11:
	v_ashrrev_i32_e32 v13, 31, v12
	v_lshlrev_b64 v[1:2], 4, v[12:13]
	v_add_co_u32_e32 v1, vcc, v3, v1
	v_addc_co_u32_e32 v2, vcc, v4, v2, vcc
	v_cmp_ne_u32_e32 vcc, v22, v0
	v_cndmask_b32_e32 v9, 0, v17, vcc
	v_cndmask_b32_e32 v8, 0, v16, vcc
	flat_store_dwordx4 v[1:2], v[6:9]
.LBB1786_12:
	s_endpgm
	.section	.rodata,"a",@progbits
	.p2align	6, 0x0
	.amdhsa_kernel _ZL37rocblas_syrkx_herkx_restricted_kernelIl19rocblas_complex_numIdELi16ELi32ELi8ELi1ELi0ELb1ELc67ELc76EKPKS1_KPS1_EviT_PT9_S7_lS9_S7_lPT10_S7_li
		.amdhsa_group_segment_fixed_size 8192
		.amdhsa_private_segment_fixed_size 0
		.amdhsa_kernarg_size 92
		.amdhsa_user_sgpr_count 6
		.amdhsa_user_sgpr_private_segment_buffer 1
		.amdhsa_user_sgpr_dispatch_ptr 0
		.amdhsa_user_sgpr_queue_ptr 0
		.amdhsa_user_sgpr_kernarg_segment_ptr 1
		.amdhsa_user_sgpr_dispatch_id 0
		.amdhsa_user_sgpr_flat_scratch_init 0
		.amdhsa_user_sgpr_private_segment_size 0
		.amdhsa_uses_dynamic_stack 0
		.amdhsa_system_sgpr_private_segment_wavefront_offset 0
		.amdhsa_system_sgpr_workgroup_id_x 1
		.amdhsa_system_sgpr_workgroup_id_y 1
		.amdhsa_system_sgpr_workgroup_id_z 1
		.amdhsa_system_sgpr_workgroup_info 0
		.amdhsa_system_vgpr_workitem_id 1
		.amdhsa_next_free_vgpr 52
		.amdhsa_next_free_sgpr 61
		.amdhsa_reserve_vcc 1
		.amdhsa_reserve_flat_scratch 0
		.amdhsa_float_round_mode_32 0
		.amdhsa_float_round_mode_16_64 0
		.amdhsa_float_denorm_mode_32 3
		.amdhsa_float_denorm_mode_16_64 3
		.amdhsa_dx10_clamp 1
		.amdhsa_ieee_mode 1
		.amdhsa_fp16_overflow 0
		.amdhsa_exception_fp_ieee_invalid_op 0
		.amdhsa_exception_fp_denorm_src 0
		.amdhsa_exception_fp_ieee_div_zero 0
		.amdhsa_exception_fp_ieee_overflow 0
		.amdhsa_exception_fp_ieee_underflow 0
		.amdhsa_exception_fp_ieee_inexact 0
		.amdhsa_exception_int_div_zero 0
	.end_amdhsa_kernel
	.section	.text._ZL37rocblas_syrkx_herkx_restricted_kernelIl19rocblas_complex_numIdELi16ELi32ELi8ELi1ELi0ELb1ELc67ELc76EKPKS1_KPS1_EviT_PT9_S7_lS9_S7_lPT10_S7_li,"axG",@progbits,_ZL37rocblas_syrkx_herkx_restricted_kernelIl19rocblas_complex_numIdELi16ELi32ELi8ELi1ELi0ELb1ELc67ELc76EKPKS1_KPS1_EviT_PT9_S7_lS9_S7_lPT10_S7_li,comdat
.Lfunc_end1786:
	.size	_ZL37rocblas_syrkx_herkx_restricted_kernelIl19rocblas_complex_numIdELi16ELi32ELi8ELi1ELi0ELb1ELc67ELc76EKPKS1_KPS1_EviT_PT9_S7_lS9_S7_lPT10_S7_li, .Lfunc_end1786-_ZL37rocblas_syrkx_herkx_restricted_kernelIl19rocblas_complex_numIdELi16ELi32ELi8ELi1ELi0ELb1ELc67ELc76EKPKS1_KPS1_EviT_PT9_S7_lS9_S7_lPT10_S7_li
                                        ; -- End function
	.set _ZL37rocblas_syrkx_herkx_restricted_kernelIl19rocblas_complex_numIdELi16ELi32ELi8ELi1ELi0ELb1ELc67ELc76EKPKS1_KPS1_EviT_PT9_S7_lS9_S7_lPT10_S7_li.num_vgpr, 52
	.set _ZL37rocblas_syrkx_herkx_restricted_kernelIl19rocblas_complex_numIdELi16ELi32ELi8ELi1ELi0ELb1ELc67ELc76EKPKS1_KPS1_EviT_PT9_S7_lS9_S7_lPT10_S7_li.num_agpr, 0
	.set _ZL37rocblas_syrkx_herkx_restricted_kernelIl19rocblas_complex_numIdELi16ELi32ELi8ELi1ELi0ELb1ELc67ELc76EKPKS1_KPS1_EviT_PT9_S7_lS9_S7_lPT10_S7_li.numbered_sgpr, 20
	.set _ZL37rocblas_syrkx_herkx_restricted_kernelIl19rocblas_complex_numIdELi16ELi32ELi8ELi1ELi0ELb1ELc67ELc76EKPKS1_KPS1_EviT_PT9_S7_lS9_S7_lPT10_S7_li.num_named_barrier, 0
	.set _ZL37rocblas_syrkx_herkx_restricted_kernelIl19rocblas_complex_numIdELi16ELi32ELi8ELi1ELi0ELb1ELc67ELc76EKPKS1_KPS1_EviT_PT9_S7_lS9_S7_lPT10_S7_li.private_seg_size, 0
	.set _ZL37rocblas_syrkx_herkx_restricted_kernelIl19rocblas_complex_numIdELi16ELi32ELi8ELi1ELi0ELb1ELc67ELc76EKPKS1_KPS1_EviT_PT9_S7_lS9_S7_lPT10_S7_li.uses_vcc, 1
	.set _ZL37rocblas_syrkx_herkx_restricted_kernelIl19rocblas_complex_numIdELi16ELi32ELi8ELi1ELi0ELb1ELc67ELc76EKPKS1_KPS1_EviT_PT9_S7_lS9_S7_lPT10_S7_li.uses_flat_scratch, 0
	.set _ZL37rocblas_syrkx_herkx_restricted_kernelIl19rocblas_complex_numIdELi16ELi32ELi8ELi1ELi0ELb1ELc67ELc76EKPKS1_KPS1_EviT_PT9_S7_lS9_S7_lPT10_S7_li.has_dyn_sized_stack, 0
	.set _ZL37rocblas_syrkx_herkx_restricted_kernelIl19rocblas_complex_numIdELi16ELi32ELi8ELi1ELi0ELb1ELc67ELc76EKPKS1_KPS1_EviT_PT9_S7_lS9_S7_lPT10_S7_li.has_recursion, 0
	.set _ZL37rocblas_syrkx_herkx_restricted_kernelIl19rocblas_complex_numIdELi16ELi32ELi8ELi1ELi0ELb1ELc67ELc76EKPKS1_KPS1_EviT_PT9_S7_lS9_S7_lPT10_S7_li.has_indirect_call, 0
	.section	.AMDGPU.csdata,"",@progbits
; Kernel info:
; codeLenInByte = 2912
; TotalNumSgprs: 24
; NumVgprs: 52
; ScratchSize: 0
; MemoryBound: 0
; FloatMode: 240
; IeeeMode: 1
; LDSByteSize: 8192 bytes/workgroup (compile time only)
; SGPRBlocks: 8
; VGPRBlocks: 12
; NumSGPRsForWavesPerEU: 65
; NumVGPRsForWavesPerEU: 52
; Occupancy: 4
; WaveLimiterHint : 1
; COMPUTE_PGM_RSRC2:SCRATCH_EN: 0
; COMPUTE_PGM_RSRC2:USER_SGPR: 6
; COMPUTE_PGM_RSRC2:TRAP_HANDLER: 0
; COMPUTE_PGM_RSRC2:TGID_X_EN: 1
; COMPUTE_PGM_RSRC2:TGID_Y_EN: 1
; COMPUTE_PGM_RSRC2:TGID_Z_EN: 1
; COMPUTE_PGM_RSRC2:TIDIG_COMP_CNT: 1
	.section	.text._ZL37rocblas_syrkx_herkx_restricted_kernelIl19rocblas_complex_numIdELi16ELi32ELi8ELi1ELi0ELb1ELc78ELc76EKPKS1_KPS1_EviT_PT9_S7_lS9_S7_lPT10_S7_li,"axG",@progbits,_ZL37rocblas_syrkx_herkx_restricted_kernelIl19rocblas_complex_numIdELi16ELi32ELi8ELi1ELi0ELb1ELc78ELc76EKPKS1_KPS1_EviT_PT9_S7_lS9_S7_lPT10_S7_li,comdat
	.globl	_ZL37rocblas_syrkx_herkx_restricted_kernelIl19rocblas_complex_numIdELi16ELi32ELi8ELi1ELi0ELb1ELc78ELc76EKPKS1_KPS1_EviT_PT9_S7_lS9_S7_lPT10_S7_li ; -- Begin function _ZL37rocblas_syrkx_herkx_restricted_kernelIl19rocblas_complex_numIdELi16ELi32ELi8ELi1ELi0ELb1ELc78ELc76EKPKS1_KPS1_EviT_PT9_S7_lS9_S7_lPT10_S7_li
	.p2align	8
	.type	_ZL37rocblas_syrkx_herkx_restricted_kernelIl19rocblas_complex_numIdELi16ELi32ELi8ELi1ELi0ELb1ELc78ELc76EKPKS1_KPS1_EviT_PT9_S7_lS9_S7_lPT10_S7_li,@function
_ZL37rocblas_syrkx_herkx_restricted_kernelIl19rocblas_complex_numIdELi16ELi32ELi8ELi1ELi0ELb1ELc78ELc76EKPKS1_KPS1_EviT_PT9_S7_lS9_S7_lPT10_S7_li: ; @_ZL37rocblas_syrkx_herkx_restricted_kernelIl19rocblas_complex_numIdELi16ELi32ELi8ELi1ELi0ELb1ELc78ELc76EKPKS1_KPS1_EviT_PT9_S7_lS9_S7_lPT10_S7_li
; %bb.0:
	s_load_dwordx4 s[12:15], s[4:5], 0x40
	s_load_dwordx4 s[0:3], s[4:5], 0x8
	s_mov_b32 s9, 0
	s_lshl_b64 s[16:17], s[8:9], 3
	s_waitcnt lgkmcnt(0)
	s_add_u32 s8, s12, s16
	s_addc_u32 s9, s13, s17
	s_load_dwordx2 s[12:13], s[8:9], 0x0
	v_cmp_lt_i64_e64 s[8:9], s[0:1], 1
	s_lshl_b32 s18, s6, 5
	s_lshl_b32 s19, s7, 5
	s_and_b64 vcc, exec, s[8:9]
	s_cbranch_vccnz .LBB1787_3
; %bb.1:
	s_load_dwordx2 s[6:7], s[4:5], 0x18
	s_load_dwordx4 s[8:11], s[4:5], 0x28
	v_lshl_add_u32 v5, v1, 4, v0
	v_lshrrev_b32_e32 v7, 3, v5
	v_add_u32_e32 v2, s19, v7
	v_and_b32_e32 v6, 7, v0
	v_ashrrev_i32_e32 v3, 31, v2
	s_waitcnt lgkmcnt(0)
	v_mad_u64_u32 v[2:3], s[20:21], s10, v6, v[2:3]
	s_add_u32 s2, s2, s16
	s_addc_u32 s3, s3, s17
	v_mad_u64_u32 v[3:4], s[20:21], s11, v6, v[3:4]
	v_and_b32_e32 v4, 31, v5
	v_lshrrev_b32_e32 v8, 5, v5
	v_lshlrev_b32_e32 v5, 4, v4
	v_add_u32_e32 v4, s18, v4
	s_add_u32 s8, s8, s16
	v_lshl_or_b32 v22, v8, 9, v5
	v_ashrrev_i32_e32 v5, 31, v4
	s_addc_u32 s9, s9, s17
	v_mad_u64_u32 v[4:5], s[16:17], s6, v8, v[4:5]
	v_lshlrev_b32_e32 v6, 4, v6
	v_lshl_or_b32 v6, v7, 7, v6
	v_add_u32_e32 v23, 0x1000, v6
	v_mad_u64_u32 v[5:6], s[16:17], s7, v8, v[5:6]
	s_load_dwordx2 s[2:3], s[2:3], 0x0
	v_mov_b32_e32 v6, 0x1000
	s_load_dwordx2 s[8:9], s[8:9], 0x0
	v_lshlrev_b64 v[4:5], 4, v[4:5]
	v_lshl_add_u32 v25, v1, 7, v6
	s_waitcnt lgkmcnt(0)
	v_mov_b32_e32 v6, s3
	v_add_co_u32_e32 v4, vcc, s2, v4
	v_lshlrev_b64 v[2:3], 4, v[2:3]
	v_addc_co_u32_e32 v5, vcc, v6, v5, vcc
	v_mov_b32_e32 v6, s9
	v_add_co_u32_e32 v12, vcc, s8, v2
	s_lshl_b64 s[2:3], s[6:7], 7
	v_addc_co_u32_e32 v13, vcc, v6, v3, vcc
	s_lshl_b64 s[6:7], s[10:11], 7
	v_mov_b32_e32 v16, 0
	v_mov_b32_e32 v6, 0
	;; [unrolled: 1-line block ×8, first 2 shown]
	v_lshlrev_b32_e32 v24, 4, v0
	v_mov_b32_e32 v17, 0
	s_mov_b64 s[8:9], 0
	v_mov_b32_e32 v26, s3
	v_mov_b32_e32 v7, 0
	;; [unrolled: 1-line block ×9, first 2 shown]
.LBB1787_2:                             ; =>This Inner Loop Header: Depth=1
	flat_load_dwordx4 v[28:31], v[4:5]
	s_add_u32 s8, s8, 8
	v_add_co_u32_e32 v4, vcc, s2, v4
	s_addc_u32 s9, s9, 0
	v_addc_co_u32_e32 v5, vcc, v5, v26, vcc
	s_waitcnt vmcnt(0) lgkmcnt(0)
	ds_write_b128 v22, v[28:31]
	flat_load_dwordx4 v[28:31], v[12:13]
	v_add_co_u32_e32 v12, vcc, s6, v12
	v_addc_co_u32_e32 v13, vcc, v13, v27, vcc
	s_waitcnt vmcnt(0) lgkmcnt(0)
	v_xor_b32_e32 v31, 0x80000000, v31
	ds_write_b128 v23, v[28:31]
	s_waitcnt lgkmcnt(0)
	s_barrier
	ds_read_b128 v[28:31], v25
	ds_read_b128 v[32:35], v25 offset:16
	ds_read_b128 v[36:39], v25 offset:32
	;; [unrolled: 1-line block ×3, first 2 shown]
	ds_read_b128 v[44:47], v24
	s_waitcnt lgkmcnt(0)
	v_mul_f64 v[48:49], v[30:31], v[46:47]
	v_mul_f64 v[50:51], v[28:29], v[46:47]
	v_fma_f64 v[48:49], v[28:29], v[44:45], -v[48:49]
	v_fma_f64 v[50:51], v[30:31], v[44:45], v[50:51]
	v_add_f64 v[10:11], v[10:11], v[48:49]
	v_add_f64 v[20:21], v[50:51], v[20:21]
	ds_read_b128 v[48:51], v24 offset:256
	s_waitcnt lgkmcnt(0)
	v_mul_f64 v[52:53], v[30:31], v[50:51]
	v_fma_f64 v[52:53], v[28:29], v[48:49], -v[52:53]
	v_mul_f64 v[28:29], v[28:29], v[50:51]
	v_add_f64 v[2:3], v[2:3], v[52:53]
	v_fma_f64 v[28:29], v[30:31], v[48:49], v[28:29]
	v_add_f64 v[52:53], v[28:29], v[14:15]
	ds_read_b128 v[28:31], v25 offset:2048
	s_waitcnt lgkmcnt(0)
	v_mul_f64 v[14:15], v[30:31], v[46:47]
	v_mul_f64 v[46:47], v[28:29], v[46:47]
	v_fma_f64 v[14:15], v[28:29], v[44:45], -v[14:15]
	v_fma_f64 v[44:45], v[30:31], v[44:45], v[46:47]
	v_add_f64 v[46:47], v[8:9], v[14:15]
	v_mul_f64 v[8:9], v[30:31], v[50:51]
	v_mul_f64 v[14:15], v[28:29], v[50:51]
	v_add_f64 v[44:45], v[44:45], v[18:19]
	v_fma_f64 v[8:9], v[28:29], v[48:49], -v[8:9]
	v_fma_f64 v[14:15], v[30:31], v[48:49], v[14:15]
	v_add_f64 v[28:29], v[6:7], v[8:9]
	ds_read_b128 v[6:9], v24 offset:512
	v_add_f64 v[30:31], v[14:15], v[16:17]
	s_waitcnt lgkmcnt(0)
	v_mul_f64 v[14:15], v[34:35], v[8:9]
	v_mul_f64 v[16:17], v[32:33], v[8:9]
	v_fma_f64 v[14:15], v[32:33], v[6:7], -v[14:15]
	v_fma_f64 v[16:17], v[34:35], v[6:7], v[16:17]
	v_add_f64 v[10:11], v[10:11], v[14:15]
	v_add_f64 v[48:49], v[16:17], v[20:21]
	ds_read_b128 v[14:17], v24 offset:768
	s_waitcnt lgkmcnt(0)
	v_mul_f64 v[18:19], v[34:35], v[16:17]
	v_mul_f64 v[20:21], v[32:33], v[16:17]
	v_fma_f64 v[18:19], v[32:33], v[14:15], -v[18:19]
	v_fma_f64 v[20:21], v[34:35], v[14:15], v[20:21]
	v_add_f64 v[2:3], v[2:3], v[18:19]
	v_add_f64 v[32:33], v[20:21], v[52:53]
	ds_read_b128 v[18:21], v25 offset:2064
	s_waitcnt lgkmcnt(0)
	v_mul_f64 v[34:35], v[20:21], v[8:9]
	v_mul_f64 v[8:9], v[18:19], v[8:9]
	v_fma_f64 v[34:35], v[18:19], v[6:7], -v[34:35]
	v_fma_f64 v[6:7], v[20:21], v[6:7], v[8:9]
	v_mul_f64 v[8:9], v[18:19], v[16:17]
	v_add_f64 v[34:35], v[46:47], v[34:35]
	v_add_f64 v[44:45], v[6:7], v[44:45]
	v_mul_f64 v[6:7], v[20:21], v[16:17]
	v_fma_f64 v[8:9], v[20:21], v[14:15], v[8:9]
	v_fma_f64 v[6:7], v[18:19], v[14:15], -v[6:7]
	v_add_f64 v[30:31], v[8:9], v[30:31]
	v_add_f64 v[28:29], v[28:29], v[6:7]
	ds_read_b128 v[6:9], v24 offset:1024
	s_waitcnt lgkmcnt(0)
	v_mul_f64 v[14:15], v[38:39], v[8:9]
	v_mul_f64 v[16:17], v[36:37], v[8:9]
	v_fma_f64 v[14:15], v[36:37], v[6:7], -v[14:15]
	v_fma_f64 v[16:17], v[38:39], v[6:7], v[16:17]
	v_add_f64 v[10:11], v[10:11], v[14:15]
	v_add_f64 v[46:47], v[16:17], v[48:49]
	ds_read_b128 v[14:17], v24 offset:1280
	s_waitcnt lgkmcnt(0)
	v_mul_f64 v[18:19], v[38:39], v[16:17]
	v_mul_f64 v[20:21], v[36:37], v[16:17]
	v_fma_f64 v[18:19], v[36:37], v[14:15], -v[18:19]
	v_fma_f64 v[20:21], v[38:39], v[14:15], v[20:21]
	v_add_f64 v[2:3], v[2:3], v[18:19]
	v_add_f64 v[32:33], v[20:21], v[32:33]
	ds_read_b128 v[18:21], v25 offset:2080
	s_waitcnt lgkmcnt(0)
	v_mul_f64 v[36:37], v[20:21], v[8:9]
	v_mul_f64 v[8:9], v[18:19], v[8:9]
	v_fma_f64 v[36:37], v[18:19], v[6:7], -v[36:37]
	v_fma_f64 v[6:7], v[20:21], v[6:7], v[8:9]
	v_mul_f64 v[8:9], v[18:19], v[16:17]
	v_add_f64 v[34:35], v[34:35], v[36:37]
	v_add_f64 v[36:37], v[6:7], v[44:45]
	v_mul_f64 v[6:7], v[20:21], v[16:17]
	v_fma_f64 v[8:9], v[20:21], v[14:15], v[8:9]
	v_fma_f64 v[6:7], v[18:19], v[14:15], -v[6:7]
	v_add_f64 v[30:31], v[8:9], v[30:31]
	v_add_f64 v[28:29], v[28:29], v[6:7]
	ds_read_b128 v[6:9], v24 offset:1536
	;; [unrolled: 30-line block ×3, first 2 shown]
	ds_read_b128 v[14:17], v24 offset:2048
	s_waitcnt lgkmcnt(0)
	v_mul_f64 v[18:19], v[8:9], v[16:17]
	v_mul_f64 v[20:21], v[6:7], v[16:17]
	v_fma_f64 v[18:19], v[6:7], v[14:15], -v[18:19]
	v_fma_f64 v[20:21], v[8:9], v[14:15], v[20:21]
	v_add_f64 v[10:11], v[10:11], v[18:19]
	v_add_f64 v[38:39], v[20:21], v[38:39]
	ds_read_b128 v[18:21], v24 offset:2304
	s_waitcnt lgkmcnt(0)
	v_mul_f64 v[40:41], v[8:9], v[20:21]
	v_fma_f64 v[40:41], v[6:7], v[18:19], -v[40:41]
	v_mul_f64 v[6:7], v[6:7], v[20:21]
	v_add_f64 v[2:3], v[2:3], v[40:41]
	v_fma_f64 v[6:7], v[8:9], v[18:19], v[6:7]
	v_add_f64 v[32:33], v[6:7], v[32:33]
	ds_read_b128 v[6:9], v25 offset:2112
	s_waitcnt lgkmcnt(0)
	v_mul_f64 v[40:41], v[8:9], v[16:17]
	v_mul_f64 v[16:17], v[6:7], v[16:17]
	v_fma_f64 v[40:41], v[6:7], v[14:15], -v[40:41]
	v_fma_f64 v[14:15], v[8:9], v[14:15], v[16:17]
	v_add_f64 v[34:35], v[34:35], v[40:41]
	v_add_f64 v[36:37], v[14:15], v[36:37]
	v_mul_f64 v[14:15], v[8:9], v[20:21]
	v_fma_f64 v[14:15], v[6:7], v[18:19], -v[14:15]
	v_mul_f64 v[6:7], v[6:7], v[20:21]
	v_add_f64 v[28:29], v[28:29], v[14:15]
	v_fma_f64 v[6:7], v[8:9], v[18:19], v[6:7]
	v_add_f64 v[30:31], v[6:7], v[30:31]
	ds_read_b128 v[6:9], v25 offset:80
	ds_read_b128 v[14:17], v24 offset:2560
	s_waitcnt lgkmcnt(0)
	v_mul_f64 v[18:19], v[8:9], v[16:17]
	v_mul_f64 v[20:21], v[6:7], v[16:17]
	v_fma_f64 v[18:19], v[6:7], v[14:15], -v[18:19]
	v_fma_f64 v[20:21], v[8:9], v[14:15], v[20:21]
	v_add_f64 v[10:11], v[10:11], v[18:19]
	v_add_f64 v[38:39], v[20:21], v[38:39]
	ds_read_b128 v[18:21], v24 offset:2816
	s_waitcnt lgkmcnt(0)
	v_mul_f64 v[40:41], v[8:9], v[20:21]
	v_fma_f64 v[40:41], v[6:7], v[18:19], -v[40:41]
	v_mul_f64 v[6:7], v[6:7], v[20:21]
	v_add_f64 v[2:3], v[2:3], v[40:41]
	v_fma_f64 v[6:7], v[8:9], v[18:19], v[6:7]
	v_add_f64 v[32:33], v[6:7], v[32:33]
	ds_read_b128 v[6:9], v25 offset:2128
	s_waitcnt lgkmcnt(0)
	v_mul_f64 v[40:41], v[8:9], v[16:17]
	v_mul_f64 v[16:17], v[6:7], v[16:17]
	v_fma_f64 v[40:41], v[6:7], v[14:15], -v[40:41]
	v_fma_f64 v[14:15], v[8:9], v[14:15], v[16:17]
	v_add_f64 v[34:35], v[34:35], v[40:41]
	v_add_f64 v[36:37], v[14:15], v[36:37]
	v_mul_f64 v[14:15], v[8:9], v[20:21]
	v_fma_f64 v[14:15], v[6:7], v[18:19], -v[14:15]
	v_mul_f64 v[6:7], v[6:7], v[20:21]
	v_add_f64 v[28:29], v[28:29], v[14:15]
	v_fma_f64 v[6:7], v[8:9], v[18:19], v[6:7]
	v_add_f64 v[30:31], v[6:7], v[30:31]
	ds_read_b128 v[6:9], v25 offset:96
	;; [unrolled: 31-line block ×3, first 2 shown]
	ds_read_b128 v[16:19], v24 offset:3584
	ds_read_b128 v[28:31], v24 offset:3840
	s_waitcnt lgkmcnt(1)
	v_mul_f64 v[14:15], v[8:9], v[18:19]
	v_mul_f64 v[20:21], v[6:7], v[18:19]
	v_fma_f64 v[14:15], v[6:7], v[16:17], -v[14:15]
	v_fma_f64 v[20:21], v[8:9], v[16:17], v[20:21]
	v_add_f64 v[10:11], v[10:11], v[14:15]
	s_waitcnt lgkmcnt(0)
	v_mul_f64 v[14:15], v[8:9], v[30:31]
	v_add_f64 v[20:21], v[20:21], v[38:39]
	v_fma_f64 v[14:15], v[6:7], v[28:29], -v[14:15]
	v_mul_f64 v[6:7], v[6:7], v[30:31]
	v_add_f64 v[2:3], v[2:3], v[14:15]
	v_fma_f64 v[6:7], v[8:9], v[28:29], v[6:7]
	v_add_f64 v[14:15], v[6:7], v[32:33]
	ds_read_b128 v[32:35], v25 offset:2160
	s_waitcnt lgkmcnt(0)
	s_barrier
	v_mul_f64 v[6:7], v[34:35], v[18:19]
	v_mul_f64 v[8:9], v[32:33], v[18:19]
	v_fma_f64 v[6:7], v[32:33], v[16:17], -v[6:7]
	v_fma_f64 v[16:17], v[34:35], v[16:17], v[8:9]
	v_add_f64 v[8:9], v[40:41], v[6:7]
	v_add_f64 v[18:19], v[16:17], v[36:37]
	v_mul_f64 v[6:7], v[34:35], v[30:31]
	v_mul_f64 v[16:17], v[32:33], v[30:31]
	v_fma_f64 v[6:7], v[32:33], v[28:29], -v[6:7]
	v_fma_f64 v[16:17], v[34:35], v[28:29], v[16:17]
	v_mov_b32_e32 v29, s9
	v_mov_b32_e32 v28, s8
	v_cmp_le_u64_e32 vcc, s[0:1], v[28:29]
	v_add_f64 v[6:7], v[42:43], v[6:7]
	v_add_f64 v[16:17], v[16:17], v[44:45]
	s_cbranch_vccz .LBB1787_2
	s_branch .LBB1787_4
.LBB1787_3:
	v_mov_b32_e32 v10, 0
	v_mov_b32_e32 v20, 0
	v_mov_b32_e32 v2, 0
	v_mov_b32_e32 v14, 0
	v_mov_b32_e32 v8, 0
	v_mov_b32_e32 v18, 0
	v_mov_b32_e32 v6, 0
	v_mov_b32_e32 v16, 0
	v_mov_b32_e32 v11, 0
	v_mov_b32_e32 v21, 0
	v_mov_b32_e32 v3, 0
	v_mov_b32_e32 v15, 0
	v_mov_b32_e32 v9, 0
	v_mov_b32_e32 v19, 0
	v_mov_b32_e32 v7, 0
	v_mov_b32_e32 v17, 0
.LBB1787_4:
	v_add_u32_e32 v22, s19, v1
	v_ashrrev_i32_e32 v1, 31, v22
	v_mul_lo_u32 v1, s14, v1
	v_mul_lo_u32 v12, s15, v22
	v_mad_u64_u32 v[4:5], s[0:1], s14, v22, 0
	s_load_dword s4, s[4:5], 0x0
	v_add_u32_e32 v0, s18, v0
	v_add3_u32 v5, v5, v1, v12
	v_lshlrev_b64 v[4:5], 4, v[4:5]
	s_waitcnt lgkmcnt(0)
	v_mov_b32_e32 v1, s13
	v_add_co_u32_e32 v4, vcc, s12, v4
	v_addc_co_u32_e32 v5, vcc, v1, v5, vcc
	v_cmp_le_i32_e64 s[0:1], v22, v0
	v_cmp_gt_i32_e32 vcc, s4, v0
	s_and_b64 s[0:1], s[0:1], vcc
	s_and_saveexec_b64 s[2:3], s[0:1]
	s_cbranch_execz .LBB1787_6
; %bb.5:
	v_ashrrev_i32_e32 v1, 31, v0
	v_lshlrev_b64 v[12:13], 4, v[0:1]
	v_add_co_u32_e64 v23, s[0:1], v4, v12
	v_addc_co_u32_e64 v24, s[0:1], v5, v13, s[0:1]
	v_cmp_ne_u32_e64 s[0:1], v22, v0
	v_cndmask_b32_e64 v13, 0, v21, s[0:1]
	v_cndmask_b32_e64 v12, 0, v20, s[0:1]
	flat_store_dwordx4 v[23:24], v[10:13]
.LBB1787_6:
	s_or_b64 exec, exec, s[2:3]
	v_add_u32_e32 v12, 16, v0
	v_cmp_le_i32_e64 s[2:3], v22, v12
	v_cmp_gt_i32_e64 s[0:1], s4, v12
	s_and_b64 s[2:3], s[2:3], s[0:1]
	s_and_saveexec_b64 s[4:5], s[2:3]
	s_cbranch_execz .LBB1787_8
; %bb.7:
	v_ashrrev_i32_e32 v13, 31, v12
	v_lshlrev_b64 v[10:11], 4, v[12:13]
	v_add_co_u32_e64 v10, s[2:3], v4, v10
	v_addc_co_u32_e64 v11, s[2:3], v5, v11, s[2:3]
	v_cmp_ne_u32_e64 s[2:3], v22, v12
	v_cndmask_b32_e64 v5, 0, v15, s[2:3]
	v_cndmask_b32_e64 v4, 0, v14, s[2:3]
	flat_store_dwordx4 v[10:11], v[2:5]
.LBB1787_8:
	s_or_b64 exec, exec, s[4:5]
	v_add_u32_e32 v2, 16, v22
	v_ashrrev_i32_e32 v1, 31, v2
	v_mul_lo_u32 v5, s15, v2
	v_mad_u64_u32 v[3:4], s[2:3], s14, v2, 0
	v_mul_lo_u32 v1, s14, v1
	v_add3_u32 v4, v4, v1, v5
	v_lshlrev_b64 v[3:4], 4, v[3:4]
	v_mov_b32_e32 v1, s13
	v_add_co_u32_e64 v3, s[2:3], s12, v3
	v_addc_co_u32_e64 v4, s[2:3], v1, v4, s[2:3]
	v_cmp_le_i32_e64 s[2:3], v2, v0
	s_and_b64 s[4:5], s[2:3], vcc
	s_and_saveexec_b64 s[2:3], s[4:5]
	s_cbranch_execz .LBB1787_10
; %bb.9:
	v_ashrrev_i32_e32 v1, 31, v0
	v_lshlrev_b64 v[10:11], 4, v[0:1]
	v_add_co_u32_e32 v13, vcc, v3, v10
	v_addc_co_u32_e32 v14, vcc, v4, v11, vcc
	v_cmp_ne_u32_e32 vcc, v2, v0
	v_cndmask_b32_e32 v11, 0, v19, vcc
	v_cndmask_b32_e32 v10, 0, v18, vcc
	flat_store_dwordx4 v[13:14], v[8:11]
.LBB1787_10:
	s_or_b64 exec, exec, s[2:3]
	v_cmp_le_i32_e32 vcc, v2, v12
	s_and_b64 s[0:1], vcc, s[0:1]
	s_and_saveexec_b64 s[2:3], s[0:1]
	s_cbranch_execz .LBB1787_12
; %bb.11:
	v_ashrrev_i32_e32 v13, 31, v12
	v_lshlrev_b64 v[1:2], 4, v[12:13]
	v_add_co_u32_e32 v1, vcc, v3, v1
	v_addc_co_u32_e32 v2, vcc, v4, v2, vcc
	v_cmp_ne_u32_e32 vcc, v22, v0
	v_cndmask_b32_e32 v9, 0, v17, vcc
	v_cndmask_b32_e32 v8, 0, v16, vcc
	flat_store_dwordx4 v[1:2], v[6:9]
.LBB1787_12:
	s_endpgm
	.section	.rodata,"a",@progbits
	.p2align	6, 0x0
	.amdhsa_kernel _ZL37rocblas_syrkx_herkx_restricted_kernelIl19rocblas_complex_numIdELi16ELi32ELi8ELi1ELi0ELb1ELc78ELc76EKPKS1_KPS1_EviT_PT9_S7_lS9_S7_lPT10_S7_li
		.amdhsa_group_segment_fixed_size 8192
		.amdhsa_private_segment_fixed_size 0
		.amdhsa_kernarg_size 92
		.amdhsa_user_sgpr_count 6
		.amdhsa_user_sgpr_private_segment_buffer 1
		.amdhsa_user_sgpr_dispatch_ptr 0
		.amdhsa_user_sgpr_queue_ptr 0
		.amdhsa_user_sgpr_kernarg_segment_ptr 1
		.amdhsa_user_sgpr_dispatch_id 0
		.amdhsa_user_sgpr_flat_scratch_init 0
		.amdhsa_user_sgpr_private_segment_size 0
		.amdhsa_uses_dynamic_stack 0
		.amdhsa_system_sgpr_private_segment_wavefront_offset 0
		.amdhsa_system_sgpr_workgroup_id_x 1
		.amdhsa_system_sgpr_workgroup_id_y 1
		.amdhsa_system_sgpr_workgroup_id_z 1
		.amdhsa_system_sgpr_workgroup_info 0
		.amdhsa_system_vgpr_workitem_id 1
		.amdhsa_next_free_vgpr 54
		.amdhsa_next_free_sgpr 61
		.amdhsa_reserve_vcc 1
		.amdhsa_reserve_flat_scratch 0
		.amdhsa_float_round_mode_32 0
		.amdhsa_float_round_mode_16_64 0
		.amdhsa_float_denorm_mode_32 3
		.amdhsa_float_denorm_mode_16_64 3
		.amdhsa_dx10_clamp 1
		.amdhsa_ieee_mode 1
		.amdhsa_fp16_overflow 0
		.amdhsa_exception_fp_ieee_invalid_op 0
		.amdhsa_exception_fp_denorm_src 0
		.amdhsa_exception_fp_ieee_div_zero 0
		.amdhsa_exception_fp_ieee_overflow 0
		.amdhsa_exception_fp_ieee_underflow 0
		.amdhsa_exception_fp_ieee_inexact 0
		.amdhsa_exception_int_div_zero 0
	.end_amdhsa_kernel
	.section	.text._ZL37rocblas_syrkx_herkx_restricted_kernelIl19rocblas_complex_numIdELi16ELi32ELi8ELi1ELi0ELb1ELc78ELc76EKPKS1_KPS1_EviT_PT9_S7_lS9_S7_lPT10_S7_li,"axG",@progbits,_ZL37rocblas_syrkx_herkx_restricted_kernelIl19rocblas_complex_numIdELi16ELi32ELi8ELi1ELi0ELb1ELc78ELc76EKPKS1_KPS1_EviT_PT9_S7_lS9_S7_lPT10_S7_li,comdat
.Lfunc_end1787:
	.size	_ZL37rocblas_syrkx_herkx_restricted_kernelIl19rocblas_complex_numIdELi16ELi32ELi8ELi1ELi0ELb1ELc78ELc76EKPKS1_KPS1_EviT_PT9_S7_lS9_S7_lPT10_S7_li, .Lfunc_end1787-_ZL37rocblas_syrkx_herkx_restricted_kernelIl19rocblas_complex_numIdELi16ELi32ELi8ELi1ELi0ELb1ELc78ELc76EKPKS1_KPS1_EviT_PT9_S7_lS9_S7_lPT10_S7_li
                                        ; -- End function
	.set _ZL37rocblas_syrkx_herkx_restricted_kernelIl19rocblas_complex_numIdELi16ELi32ELi8ELi1ELi0ELb1ELc78ELc76EKPKS1_KPS1_EviT_PT9_S7_lS9_S7_lPT10_S7_li.num_vgpr, 54
	.set _ZL37rocblas_syrkx_herkx_restricted_kernelIl19rocblas_complex_numIdELi16ELi32ELi8ELi1ELi0ELb1ELc78ELc76EKPKS1_KPS1_EviT_PT9_S7_lS9_S7_lPT10_S7_li.num_agpr, 0
	.set _ZL37rocblas_syrkx_herkx_restricted_kernelIl19rocblas_complex_numIdELi16ELi32ELi8ELi1ELi0ELb1ELc78ELc76EKPKS1_KPS1_EviT_PT9_S7_lS9_S7_lPT10_S7_li.numbered_sgpr, 22
	.set _ZL37rocblas_syrkx_herkx_restricted_kernelIl19rocblas_complex_numIdELi16ELi32ELi8ELi1ELi0ELb1ELc78ELc76EKPKS1_KPS1_EviT_PT9_S7_lS9_S7_lPT10_S7_li.num_named_barrier, 0
	.set _ZL37rocblas_syrkx_herkx_restricted_kernelIl19rocblas_complex_numIdELi16ELi32ELi8ELi1ELi0ELb1ELc78ELc76EKPKS1_KPS1_EviT_PT9_S7_lS9_S7_lPT10_S7_li.private_seg_size, 0
	.set _ZL37rocblas_syrkx_herkx_restricted_kernelIl19rocblas_complex_numIdELi16ELi32ELi8ELi1ELi0ELb1ELc78ELc76EKPKS1_KPS1_EviT_PT9_S7_lS9_S7_lPT10_S7_li.uses_vcc, 1
	.set _ZL37rocblas_syrkx_herkx_restricted_kernelIl19rocblas_complex_numIdELi16ELi32ELi8ELi1ELi0ELb1ELc78ELc76EKPKS1_KPS1_EviT_PT9_S7_lS9_S7_lPT10_S7_li.uses_flat_scratch, 0
	.set _ZL37rocblas_syrkx_herkx_restricted_kernelIl19rocblas_complex_numIdELi16ELi32ELi8ELi1ELi0ELb1ELc78ELc76EKPKS1_KPS1_EviT_PT9_S7_lS9_S7_lPT10_S7_li.has_dyn_sized_stack, 0
	.set _ZL37rocblas_syrkx_herkx_restricted_kernelIl19rocblas_complex_numIdELi16ELi32ELi8ELi1ELi0ELb1ELc78ELc76EKPKS1_KPS1_EviT_PT9_S7_lS9_S7_lPT10_S7_li.has_recursion, 0
	.set _ZL37rocblas_syrkx_herkx_restricted_kernelIl19rocblas_complex_numIdELi16ELi32ELi8ELi1ELi0ELb1ELc78ELc76EKPKS1_KPS1_EviT_PT9_S7_lS9_S7_lPT10_S7_li.has_indirect_call, 0
	.section	.AMDGPU.csdata,"",@progbits
; Kernel info:
; codeLenInByte = 2880
; TotalNumSgprs: 26
; NumVgprs: 54
; ScratchSize: 0
; MemoryBound: 0
; FloatMode: 240
; IeeeMode: 1
; LDSByteSize: 8192 bytes/workgroup (compile time only)
; SGPRBlocks: 8
; VGPRBlocks: 13
; NumSGPRsForWavesPerEU: 65
; NumVGPRsForWavesPerEU: 54
; Occupancy: 4
; WaveLimiterHint : 1
; COMPUTE_PGM_RSRC2:SCRATCH_EN: 0
; COMPUTE_PGM_RSRC2:USER_SGPR: 6
; COMPUTE_PGM_RSRC2:TRAP_HANDLER: 0
; COMPUTE_PGM_RSRC2:TGID_X_EN: 1
; COMPUTE_PGM_RSRC2:TGID_Y_EN: 1
; COMPUTE_PGM_RSRC2:TGID_Z_EN: 1
; COMPUTE_PGM_RSRC2:TIDIG_COMP_CNT: 1
	.section	.text._ZL37rocblas_syrkx_herkx_restricted_kernelIl19rocblas_complex_numIdELi16ELi32ELi8ELi1ELi0ELb1ELc84ELc85EKPKS1_KPS1_EviT_PT9_S7_lS9_S7_lPT10_S7_li,"axG",@progbits,_ZL37rocblas_syrkx_herkx_restricted_kernelIl19rocblas_complex_numIdELi16ELi32ELi8ELi1ELi0ELb1ELc84ELc85EKPKS1_KPS1_EviT_PT9_S7_lS9_S7_lPT10_S7_li,comdat
	.globl	_ZL37rocblas_syrkx_herkx_restricted_kernelIl19rocblas_complex_numIdELi16ELi32ELi8ELi1ELi0ELb1ELc84ELc85EKPKS1_KPS1_EviT_PT9_S7_lS9_S7_lPT10_S7_li ; -- Begin function _ZL37rocblas_syrkx_herkx_restricted_kernelIl19rocblas_complex_numIdELi16ELi32ELi8ELi1ELi0ELb1ELc84ELc85EKPKS1_KPS1_EviT_PT9_S7_lS9_S7_lPT10_S7_li
	.p2align	8
	.type	_ZL37rocblas_syrkx_herkx_restricted_kernelIl19rocblas_complex_numIdELi16ELi32ELi8ELi1ELi0ELb1ELc84ELc85EKPKS1_KPS1_EviT_PT9_S7_lS9_S7_lPT10_S7_li,@function
_ZL37rocblas_syrkx_herkx_restricted_kernelIl19rocblas_complex_numIdELi16ELi32ELi8ELi1ELi0ELb1ELc84ELc85EKPKS1_KPS1_EviT_PT9_S7_lS9_S7_lPT10_S7_li: ; @_ZL37rocblas_syrkx_herkx_restricted_kernelIl19rocblas_complex_numIdELi16ELi32ELi8ELi1ELi0ELb1ELc84ELc85EKPKS1_KPS1_EviT_PT9_S7_lS9_S7_lPT10_S7_li
; %bb.0:
	s_load_dwordx4 s[0:3], s[4:5], 0x40
	s_load_dwordx4 s[12:15], s[4:5], 0x8
	s_mov_b32 s9, 0
	s_lshl_b64 s[10:11], s[8:9], 3
	s_waitcnt lgkmcnt(0)
	s_add_u32 s0, s0, s10
	s_addc_u32 s1, s1, s11
	s_load_dwordx2 s[8:9], s[0:1], 0x0
	v_cmp_lt_i64_e64 s[0:1], s[12:13], 1
	s_lshl_b32 s6, s6, 5
	s_lshl_b32 s7, s7, 5
	s_and_b64 vcc, exec, s[0:1]
	s_cbranch_vccnz .LBB1788_3
; %bb.1:
	s_load_dwordx2 s[0:1], s[4:5], 0x18
	s_load_dwordx4 s[16:19], s[4:5], 0x28
	v_lshl_add_u32 v4, v1, 4, v0
	v_lshrrev_b32_e32 v8, 3, v4
	v_add_u32_e32 v5, s7, v8
	v_ashrrev_i32_e32 v6, 31, v5
	v_and_b32_e32 v2, 7, v0
	v_mov_b32_e32 v3, 0
	s_waitcnt lgkmcnt(0)
	v_mul_lo_u32 v9, s18, v6
	v_mul_lo_u32 v10, s19, v5
	v_mad_u64_u32 v[6:7], s[18:19], s18, v5, v[2:3]
	s_add_u32 s14, s14, s10
	v_lshlrev_b32_e32 v2, 4, v2
	v_add3_u32 v7, v10, v7, v9
	v_and_b32_e32 v9, 31, v4
	s_addc_u32 s15, s15, s11
	v_lshl_or_b32 v2, v8, 7, v2
	v_add_u32_e32 v8, s6, v9
	s_add_u32 s10, s16, s10
	v_lshrrev_b32_e32 v4, 5, v4
	v_mov_b32_e32 v5, v3
	v_lshlrev_b32_e32 v3, 4, v9
	v_add_u32_e32 v23, 0x1000, v2
	v_ashrrev_i32_e32 v2, 31, v8
	s_addc_u32 s11, s17, s11
	v_lshl_or_b32 v22, v4, 9, v3
	v_mul_lo_u32 v9, s0, v2
	v_mad_u64_u32 v[2:3], s[16:17], s0, v8, v[4:5]
	v_mul_lo_u32 v4, s1, v8
	s_load_dwordx2 s[14:15], s[14:15], 0x0
	v_mov_b32_e32 v5, 0x1000
	s_load_dwordx2 s[10:11], s[10:11], 0x0
	v_add3_u32 v3, v4, v3, v9
	v_lshlrev_b64 v[2:3], 4, v[2:3]
	v_lshl_add_u32 v25, v1, 7, v5
	s_waitcnt lgkmcnt(0)
	v_mov_b32_e32 v5, s15
	v_add_co_u32_e32 v4, vcc, s14, v2
	v_addc_co_u32_e32 v5, vcc, v5, v3, vcc
	v_lshlrev_b64 v[2:3], 4, v[6:7]
	v_mov_b32_e32 v6, s11
	v_add_co_u32_e32 v12, vcc, s10, v2
	v_addc_co_u32_e32 v13, vcc, v6, v3, vcc
	v_mov_b32_e32 v16, 0
	v_mov_b32_e32 v6, 0
	;; [unrolled: 1-line block ×8, first 2 shown]
	v_lshlrev_b32_e32 v24, 4, v0
	v_mov_b32_e32 v17, 0
	v_mov_b32_e32 v7, 0
	;; [unrolled: 1-line block ×8, first 2 shown]
	s_mov_b64 s[0:1], 0
.LBB1788_2:                             ; =>This Inner Loop Header: Depth=1
	flat_load_dwordx4 v[26:29], v[4:5]
	s_add_u32 s0, s0, 8
	v_add_co_u32_e32 v4, vcc, 0x80, v4
	s_addc_u32 s1, s1, 0
	v_addc_co_u32_e32 v5, vcc, 0, v5, vcc
	s_waitcnt vmcnt(0) lgkmcnt(0)
	ds_write_b128 v22, v[26:29]
	flat_load_dwordx4 v[26:29], v[12:13]
	v_add_co_u32_e32 v12, vcc, 0x80, v12
	v_addc_co_u32_e32 v13, vcc, 0, v13, vcc
	s_waitcnt vmcnt(0) lgkmcnt(0)
	ds_write_b128 v23, v[26:29]
	s_waitcnt lgkmcnt(0)
	s_barrier
	ds_read_b128 v[26:29], v25
	ds_read_b128 v[30:33], v25 offset:16
	ds_read_b128 v[34:37], v25 offset:32
	;; [unrolled: 1-line block ×3, first 2 shown]
	ds_read_b128 v[42:45], v24
	s_waitcnt lgkmcnt(0)
	v_mul_f64 v[46:47], v[28:29], v[44:45]
	v_mul_f64 v[48:49], v[26:27], v[44:45]
	v_fma_f64 v[46:47], v[26:27], v[42:43], -v[46:47]
	v_fma_f64 v[48:49], v[28:29], v[42:43], v[48:49]
	v_add_f64 v[10:11], v[10:11], v[46:47]
	v_add_f64 v[20:21], v[48:49], v[20:21]
	ds_read_b128 v[46:49], v24 offset:256
	s_waitcnt lgkmcnt(0)
	v_mul_f64 v[50:51], v[28:29], v[48:49]
	v_fma_f64 v[50:51], v[26:27], v[46:47], -v[50:51]
	v_mul_f64 v[26:27], v[26:27], v[48:49]
	v_add_f64 v[2:3], v[2:3], v[50:51]
	v_fma_f64 v[26:27], v[28:29], v[46:47], v[26:27]
	v_add_f64 v[50:51], v[26:27], v[14:15]
	ds_read_b128 v[26:29], v25 offset:2048
	s_waitcnt lgkmcnt(0)
	v_mul_f64 v[14:15], v[28:29], v[44:45]
	v_mul_f64 v[44:45], v[26:27], v[44:45]
	v_fma_f64 v[14:15], v[26:27], v[42:43], -v[14:15]
	v_fma_f64 v[42:43], v[28:29], v[42:43], v[44:45]
	v_add_f64 v[44:45], v[8:9], v[14:15]
	v_mul_f64 v[8:9], v[28:29], v[48:49]
	v_mul_f64 v[14:15], v[26:27], v[48:49]
	v_add_f64 v[42:43], v[42:43], v[18:19]
	v_fma_f64 v[8:9], v[26:27], v[46:47], -v[8:9]
	v_fma_f64 v[14:15], v[28:29], v[46:47], v[14:15]
	v_add_f64 v[26:27], v[6:7], v[8:9]
	ds_read_b128 v[6:9], v24 offset:512
	v_add_f64 v[28:29], v[14:15], v[16:17]
	s_waitcnt lgkmcnt(0)
	v_mul_f64 v[14:15], v[32:33], v[8:9]
	v_mul_f64 v[16:17], v[30:31], v[8:9]
	v_fma_f64 v[14:15], v[30:31], v[6:7], -v[14:15]
	v_fma_f64 v[16:17], v[32:33], v[6:7], v[16:17]
	v_add_f64 v[10:11], v[10:11], v[14:15]
	v_add_f64 v[46:47], v[16:17], v[20:21]
	ds_read_b128 v[14:17], v24 offset:768
	s_waitcnt lgkmcnt(0)
	v_mul_f64 v[18:19], v[32:33], v[16:17]
	v_mul_f64 v[20:21], v[30:31], v[16:17]
	v_fma_f64 v[18:19], v[30:31], v[14:15], -v[18:19]
	v_fma_f64 v[20:21], v[32:33], v[14:15], v[20:21]
	v_add_f64 v[2:3], v[2:3], v[18:19]
	v_add_f64 v[30:31], v[20:21], v[50:51]
	ds_read_b128 v[18:21], v25 offset:2064
	s_waitcnt lgkmcnt(0)
	v_mul_f64 v[32:33], v[20:21], v[8:9]
	v_mul_f64 v[8:9], v[18:19], v[8:9]
	v_fma_f64 v[32:33], v[18:19], v[6:7], -v[32:33]
	v_fma_f64 v[6:7], v[20:21], v[6:7], v[8:9]
	v_mul_f64 v[8:9], v[18:19], v[16:17]
	v_add_f64 v[32:33], v[44:45], v[32:33]
	v_add_f64 v[42:43], v[6:7], v[42:43]
	v_mul_f64 v[6:7], v[20:21], v[16:17]
	v_fma_f64 v[8:9], v[20:21], v[14:15], v[8:9]
	v_fma_f64 v[6:7], v[18:19], v[14:15], -v[6:7]
	v_add_f64 v[28:29], v[8:9], v[28:29]
	v_add_f64 v[26:27], v[26:27], v[6:7]
	ds_read_b128 v[6:9], v24 offset:1024
	s_waitcnt lgkmcnt(0)
	v_mul_f64 v[14:15], v[36:37], v[8:9]
	v_mul_f64 v[16:17], v[34:35], v[8:9]
	v_fma_f64 v[14:15], v[34:35], v[6:7], -v[14:15]
	v_fma_f64 v[16:17], v[36:37], v[6:7], v[16:17]
	v_add_f64 v[10:11], v[10:11], v[14:15]
	v_add_f64 v[44:45], v[16:17], v[46:47]
	ds_read_b128 v[14:17], v24 offset:1280
	s_waitcnt lgkmcnt(0)
	v_mul_f64 v[18:19], v[36:37], v[16:17]
	v_mul_f64 v[20:21], v[34:35], v[16:17]
	v_fma_f64 v[18:19], v[34:35], v[14:15], -v[18:19]
	v_fma_f64 v[20:21], v[36:37], v[14:15], v[20:21]
	v_add_f64 v[2:3], v[2:3], v[18:19]
	v_add_f64 v[30:31], v[20:21], v[30:31]
	ds_read_b128 v[18:21], v25 offset:2080
	s_waitcnt lgkmcnt(0)
	v_mul_f64 v[34:35], v[20:21], v[8:9]
	v_mul_f64 v[8:9], v[18:19], v[8:9]
	v_fma_f64 v[34:35], v[18:19], v[6:7], -v[34:35]
	v_fma_f64 v[6:7], v[20:21], v[6:7], v[8:9]
	v_mul_f64 v[8:9], v[18:19], v[16:17]
	v_add_f64 v[32:33], v[32:33], v[34:35]
	v_add_f64 v[34:35], v[6:7], v[42:43]
	v_mul_f64 v[6:7], v[20:21], v[16:17]
	v_fma_f64 v[8:9], v[20:21], v[14:15], v[8:9]
	v_fma_f64 v[6:7], v[18:19], v[14:15], -v[6:7]
	v_add_f64 v[28:29], v[8:9], v[28:29]
	v_add_f64 v[26:27], v[26:27], v[6:7]
	ds_read_b128 v[6:9], v24 offset:1536
	s_waitcnt lgkmcnt(0)
	v_mul_f64 v[14:15], v[40:41], v[8:9]
	v_mul_f64 v[16:17], v[38:39], v[8:9]
	v_fma_f64 v[14:15], v[38:39], v[6:7], -v[14:15]
	v_fma_f64 v[16:17], v[40:41], v[6:7], v[16:17]
	v_add_f64 v[10:11], v[10:11], v[14:15]
	v_add_f64 v[36:37], v[16:17], v[44:45]
	ds_read_b128 v[14:17], v24 offset:1792
	s_waitcnt lgkmcnt(0)
	v_mul_f64 v[18:19], v[40:41], v[16:17]
	v_mul_f64 v[20:21], v[38:39], v[16:17]
	v_fma_f64 v[18:19], v[38:39], v[14:15], -v[18:19]
	v_fma_f64 v[20:21], v[40:41], v[14:15], v[20:21]
	v_add_f64 v[2:3], v[2:3], v[18:19]
	v_add_f64 v[30:31], v[20:21], v[30:31]
	ds_read_b128 v[18:21], v25 offset:2096
	s_waitcnt lgkmcnt(0)
	v_mul_f64 v[38:39], v[20:21], v[8:9]
	v_mul_f64 v[8:9], v[18:19], v[8:9]
	v_fma_f64 v[38:39], v[18:19], v[6:7], -v[38:39]
	v_fma_f64 v[6:7], v[20:21], v[6:7], v[8:9]
	v_mul_f64 v[8:9], v[18:19], v[16:17]
	v_add_f64 v[32:33], v[32:33], v[38:39]
	v_add_f64 v[34:35], v[6:7], v[34:35]
	v_mul_f64 v[6:7], v[20:21], v[16:17]
	v_fma_f64 v[8:9], v[20:21], v[14:15], v[8:9]
	v_fma_f64 v[6:7], v[18:19], v[14:15], -v[6:7]
	v_add_f64 v[28:29], v[8:9], v[28:29]
	v_add_f64 v[26:27], v[26:27], v[6:7]
	ds_read_b128 v[6:9], v25 offset:64
	ds_read_b128 v[14:17], v24 offset:2048
	s_waitcnt lgkmcnt(0)
	v_mul_f64 v[18:19], v[8:9], v[16:17]
	v_mul_f64 v[20:21], v[6:7], v[16:17]
	v_fma_f64 v[18:19], v[6:7], v[14:15], -v[18:19]
	v_fma_f64 v[20:21], v[8:9], v[14:15], v[20:21]
	v_add_f64 v[10:11], v[10:11], v[18:19]
	v_add_f64 v[36:37], v[20:21], v[36:37]
	ds_read_b128 v[18:21], v24 offset:2304
	s_waitcnt lgkmcnt(0)
	v_mul_f64 v[38:39], v[8:9], v[20:21]
	v_fma_f64 v[38:39], v[6:7], v[18:19], -v[38:39]
	v_mul_f64 v[6:7], v[6:7], v[20:21]
	v_add_f64 v[2:3], v[2:3], v[38:39]
	v_fma_f64 v[6:7], v[8:9], v[18:19], v[6:7]
	v_add_f64 v[30:31], v[6:7], v[30:31]
	ds_read_b128 v[6:9], v25 offset:2112
	s_waitcnt lgkmcnt(0)
	v_mul_f64 v[38:39], v[8:9], v[16:17]
	v_mul_f64 v[16:17], v[6:7], v[16:17]
	v_fma_f64 v[38:39], v[6:7], v[14:15], -v[38:39]
	v_fma_f64 v[14:15], v[8:9], v[14:15], v[16:17]
	v_add_f64 v[32:33], v[32:33], v[38:39]
	v_add_f64 v[34:35], v[14:15], v[34:35]
	v_mul_f64 v[14:15], v[8:9], v[20:21]
	v_fma_f64 v[14:15], v[6:7], v[18:19], -v[14:15]
	v_mul_f64 v[6:7], v[6:7], v[20:21]
	v_add_f64 v[26:27], v[26:27], v[14:15]
	v_fma_f64 v[6:7], v[8:9], v[18:19], v[6:7]
	v_add_f64 v[28:29], v[6:7], v[28:29]
	ds_read_b128 v[6:9], v25 offset:80
	ds_read_b128 v[14:17], v24 offset:2560
	s_waitcnt lgkmcnt(0)
	v_mul_f64 v[18:19], v[8:9], v[16:17]
	v_mul_f64 v[20:21], v[6:7], v[16:17]
	v_fma_f64 v[18:19], v[6:7], v[14:15], -v[18:19]
	v_fma_f64 v[20:21], v[8:9], v[14:15], v[20:21]
	v_add_f64 v[10:11], v[10:11], v[18:19]
	v_add_f64 v[36:37], v[20:21], v[36:37]
	ds_read_b128 v[18:21], v24 offset:2816
	s_waitcnt lgkmcnt(0)
	v_mul_f64 v[38:39], v[8:9], v[20:21]
	v_fma_f64 v[38:39], v[6:7], v[18:19], -v[38:39]
	v_mul_f64 v[6:7], v[6:7], v[20:21]
	v_add_f64 v[2:3], v[2:3], v[38:39]
	v_fma_f64 v[6:7], v[8:9], v[18:19], v[6:7]
	v_add_f64 v[30:31], v[6:7], v[30:31]
	ds_read_b128 v[6:9], v25 offset:2128
	s_waitcnt lgkmcnt(0)
	v_mul_f64 v[38:39], v[8:9], v[16:17]
	v_mul_f64 v[16:17], v[6:7], v[16:17]
	v_fma_f64 v[38:39], v[6:7], v[14:15], -v[38:39]
	v_fma_f64 v[14:15], v[8:9], v[14:15], v[16:17]
	v_add_f64 v[32:33], v[32:33], v[38:39]
	v_add_f64 v[34:35], v[14:15], v[34:35]
	v_mul_f64 v[14:15], v[8:9], v[20:21]
	v_fma_f64 v[14:15], v[6:7], v[18:19], -v[14:15]
	v_mul_f64 v[6:7], v[6:7], v[20:21]
	v_add_f64 v[26:27], v[26:27], v[14:15]
	v_fma_f64 v[6:7], v[8:9], v[18:19], v[6:7]
	v_add_f64 v[28:29], v[6:7], v[28:29]
	ds_read_b128 v[6:9], v25 offset:96
	;; [unrolled: 31-line block ×3, first 2 shown]
	ds_read_b128 v[16:19], v24 offset:3584
	ds_read_b128 v[26:29], v24 offset:3840
	s_waitcnt lgkmcnt(1)
	v_mul_f64 v[14:15], v[8:9], v[18:19]
	v_mul_f64 v[20:21], v[6:7], v[18:19]
	v_fma_f64 v[14:15], v[6:7], v[16:17], -v[14:15]
	v_fma_f64 v[20:21], v[8:9], v[16:17], v[20:21]
	v_add_f64 v[10:11], v[10:11], v[14:15]
	s_waitcnt lgkmcnt(0)
	v_mul_f64 v[14:15], v[8:9], v[28:29]
	v_add_f64 v[20:21], v[20:21], v[36:37]
	v_fma_f64 v[14:15], v[6:7], v[26:27], -v[14:15]
	v_mul_f64 v[6:7], v[6:7], v[28:29]
	v_add_f64 v[2:3], v[2:3], v[14:15]
	v_fma_f64 v[6:7], v[8:9], v[26:27], v[6:7]
	v_add_f64 v[14:15], v[6:7], v[30:31]
	ds_read_b128 v[30:33], v25 offset:2160
	s_waitcnt lgkmcnt(0)
	s_barrier
	v_mul_f64 v[6:7], v[32:33], v[18:19]
	v_mul_f64 v[8:9], v[30:31], v[18:19]
	v_fma_f64 v[6:7], v[30:31], v[16:17], -v[6:7]
	v_fma_f64 v[16:17], v[32:33], v[16:17], v[8:9]
	v_add_f64 v[8:9], v[38:39], v[6:7]
	v_add_f64 v[18:19], v[16:17], v[34:35]
	v_mul_f64 v[6:7], v[32:33], v[28:29]
	v_mul_f64 v[16:17], v[30:31], v[28:29]
	v_fma_f64 v[6:7], v[30:31], v[26:27], -v[6:7]
	v_fma_f64 v[16:17], v[32:33], v[26:27], v[16:17]
	v_mov_b32_e32 v27, s1
	v_mov_b32_e32 v26, s0
	v_cmp_le_u64_e32 vcc, s[12:13], v[26:27]
	v_add_f64 v[6:7], v[40:41], v[6:7]
	v_add_f64 v[16:17], v[16:17], v[42:43]
	s_cbranch_vccz .LBB1788_2
	s_branch .LBB1788_4
.LBB1788_3:
	v_mov_b32_e32 v10, 0
	v_mov_b32_e32 v20, 0
	;; [unrolled: 1-line block ×16, first 2 shown]
.LBB1788_4:
	v_add_u32_e32 v22, s7, v1
	v_ashrrev_i32_e32 v1, 31, v22
	v_mul_lo_u32 v1, s2, v1
	v_mul_lo_u32 v12, s3, v22
	v_mad_u64_u32 v[4:5], s[0:1], s2, v22, 0
	s_load_dword s10, s[4:5], 0x0
	v_add_u32_e32 v0, s6, v0
	v_add3_u32 v5, v5, v1, v12
	v_lshlrev_b64 v[4:5], 4, v[4:5]
	s_waitcnt lgkmcnt(0)
	v_mov_b32_e32 v1, s9
	v_add_co_u32_e64 v4, s[0:1], s8, v4
	v_addc_co_u32_e64 v5, s[0:1], v1, v5, s[0:1]
	v_cmp_gt_i32_e32 vcc, s10, v22
	v_cmp_le_i32_e64 s[0:1], v0, v22
	s_and_b64 s[0:1], vcc, s[0:1]
	s_and_saveexec_b64 s[4:5], s[0:1]
	s_cbranch_execz .LBB1788_6
; %bb.5:
	v_ashrrev_i32_e32 v1, 31, v0
	v_lshlrev_b64 v[12:13], 4, v[0:1]
	v_add_co_u32_e64 v23, s[0:1], v4, v12
	v_addc_co_u32_e64 v24, s[0:1], v5, v13, s[0:1]
	v_cmp_ne_u32_e64 s[0:1], v22, v0
	v_cndmask_b32_e64 v13, 0, v21, s[0:1]
	v_cndmask_b32_e64 v12, 0, v20, s[0:1]
	flat_store_dwordx4 v[23:24], v[10:13]
.LBB1788_6:
	s_or_b64 exec, exec, s[4:5]
	v_add_u32_e32 v12, 16, v0
	v_cmp_le_i32_e64 s[0:1], v12, v22
	s_and_b64 s[4:5], vcc, s[0:1]
	s_and_saveexec_b64 s[0:1], s[4:5]
	s_cbranch_execz .LBB1788_8
; %bb.7:
	v_ashrrev_i32_e32 v13, 31, v12
	v_lshlrev_b64 v[10:11], 4, v[12:13]
	v_add_co_u32_e32 v10, vcc, v4, v10
	v_addc_co_u32_e32 v11, vcc, v5, v11, vcc
	v_cmp_ne_u32_e32 vcc, v22, v12
	v_cndmask_b32_e32 v5, 0, v15, vcc
	v_cndmask_b32_e32 v4, 0, v14, vcc
	flat_store_dwordx4 v[10:11], v[2:5]
.LBB1788_8:
	s_or_b64 exec, exec, s[0:1]
	v_add_u32_e32 v2, 16, v22
	v_ashrrev_i32_e32 v1, 31, v2
	v_mul_lo_u32 v1, s2, v1
	v_mul_lo_u32 v5, s3, v2
	v_mad_u64_u32 v[3:4], s[0:1], s2, v2, 0
	v_cmp_gt_i32_e32 vcc, s10, v2
	v_add3_u32 v4, v4, v1, v5
	v_lshlrev_b64 v[3:4], 4, v[3:4]
	v_mov_b32_e32 v1, s9
	v_add_co_u32_e64 v3, s[0:1], s8, v3
	v_addc_co_u32_e64 v4, s[0:1], v1, v4, s[0:1]
	v_cmp_le_i32_e64 s[0:1], v0, v2
	s_and_b64 s[0:1], vcc, s[0:1]
	s_and_saveexec_b64 s[2:3], s[0:1]
	s_cbranch_execz .LBB1788_10
; %bb.9:
	v_ashrrev_i32_e32 v1, 31, v0
	v_lshlrev_b64 v[10:11], 4, v[0:1]
	v_add_co_u32_e64 v13, s[0:1], v3, v10
	v_addc_co_u32_e64 v14, s[0:1], v4, v11, s[0:1]
	v_cmp_ne_u32_e64 s[0:1], v2, v0
	v_cndmask_b32_e64 v11, 0, v19, s[0:1]
	v_cndmask_b32_e64 v10, 0, v18, s[0:1]
	flat_store_dwordx4 v[13:14], v[8:11]
.LBB1788_10:
	s_or_b64 exec, exec, s[2:3]
	v_cmp_le_i32_e64 s[0:1], v12, v2
	s_and_b64 s[0:1], vcc, s[0:1]
	s_and_saveexec_b64 s[2:3], s[0:1]
	s_cbranch_execz .LBB1788_12
; %bb.11:
	v_ashrrev_i32_e32 v13, 31, v12
	v_lshlrev_b64 v[1:2], 4, v[12:13]
	v_add_co_u32_e32 v1, vcc, v3, v1
	v_addc_co_u32_e32 v2, vcc, v4, v2, vcc
	v_cmp_ne_u32_e32 vcc, v22, v0
	v_cndmask_b32_e32 v9, 0, v17, vcc
	v_cndmask_b32_e32 v8, 0, v16, vcc
	flat_store_dwordx4 v[1:2], v[6:9]
.LBB1788_12:
	s_endpgm
	.section	.rodata,"a",@progbits
	.p2align	6, 0x0
	.amdhsa_kernel _ZL37rocblas_syrkx_herkx_restricted_kernelIl19rocblas_complex_numIdELi16ELi32ELi8ELi1ELi0ELb1ELc84ELc85EKPKS1_KPS1_EviT_PT9_S7_lS9_S7_lPT10_S7_li
		.amdhsa_group_segment_fixed_size 8192
		.amdhsa_private_segment_fixed_size 0
		.amdhsa_kernarg_size 92
		.amdhsa_user_sgpr_count 6
		.amdhsa_user_sgpr_private_segment_buffer 1
		.amdhsa_user_sgpr_dispatch_ptr 0
		.amdhsa_user_sgpr_queue_ptr 0
		.amdhsa_user_sgpr_kernarg_segment_ptr 1
		.amdhsa_user_sgpr_dispatch_id 0
		.amdhsa_user_sgpr_flat_scratch_init 0
		.amdhsa_user_sgpr_private_segment_size 0
		.amdhsa_uses_dynamic_stack 0
		.amdhsa_system_sgpr_private_segment_wavefront_offset 0
		.amdhsa_system_sgpr_workgroup_id_x 1
		.amdhsa_system_sgpr_workgroup_id_y 1
		.amdhsa_system_sgpr_workgroup_id_z 1
		.amdhsa_system_sgpr_workgroup_info 0
		.amdhsa_system_vgpr_workitem_id 1
		.amdhsa_next_free_vgpr 52
		.amdhsa_next_free_sgpr 61
		.amdhsa_reserve_vcc 1
		.amdhsa_reserve_flat_scratch 0
		.amdhsa_float_round_mode_32 0
		.amdhsa_float_round_mode_16_64 0
		.amdhsa_float_denorm_mode_32 3
		.amdhsa_float_denorm_mode_16_64 3
		.amdhsa_dx10_clamp 1
		.amdhsa_ieee_mode 1
		.amdhsa_fp16_overflow 0
		.amdhsa_exception_fp_ieee_invalid_op 0
		.amdhsa_exception_fp_denorm_src 0
		.amdhsa_exception_fp_ieee_div_zero 0
		.amdhsa_exception_fp_ieee_overflow 0
		.amdhsa_exception_fp_ieee_underflow 0
		.amdhsa_exception_fp_ieee_inexact 0
		.amdhsa_exception_int_div_zero 0
	.end_amdhsa_kernel
	.section	.text._ZL37rocblas_syrkx_herkx_restricted_kernelIl19rocblas_complex_numIdELi16ELi32ELi8ELi1ELi0ELb1ELc84ELc85EKPKS1_KPS1_EviT_PT9_S7_lS9_S7_lPT10_S7_li,"axG",@progbits,_ZL37rocblas_syrkx_herkx_restricted_kernelIl19rocblas_complex_numIdELi16ELi32ELi8ELi1ELi0ELb1ELc84ELc85EKPKS1_KPS1_EviT_PT9_S7_lS9_S7_lPT10_S7_li,comdat
.Lfunc_end1788:
	.size	_ZL37rocblas_syrkx_herkx_restricted_kernelIl19rocblas_complex_numIdELi16ELi32ELi8ELi1ELi0ELb1ELc84ELc85EKPKS1_KPS1_EviT_PT9_S7_lS9_S7_lPT10_S7_li, .Lfunc_end1788-_ZL37rocblas_syrkx_herkx_restricted_kernelIl19rocblas_complex_numIdELi16ELi32ELi8ELi1ELi0ELb1ELc84ELc85EKPKS1_KPS1_EviT_PT9_S7_lS9_S7_lPT10_S7_li
                                        ; -- End function
	.set _ZL37rocblas_syrkx_herkx_restricted_kernelIl19rocblas_complex_numIdELi16ELi32ELi8ELi1ELi0ELb1ELc84ELc85EKPKS1_KPS1_EviT_PT9_S7_lS9_S7_lPT10_S7_li.num_vgpr, 52
	.set _ZL37rocblas_syrkx_herkx_restricted_kernelIl19rocblas_complex_numIdELi16ELi32ELi8ELi1ELi0ELb1ELc84ELc85EKPKS1_KPS1_EviT_PT9_S7_lS9_S7_lPT10_S7_li.num_agpr, 0
	.set _ZL37rocblas_syrkx_herkx_restricted_kernelIl19rocblas_complex_numIdELi16ELi32ELi8ELi1ELi0ELb1ELc84ELc85EKPKS1_KPS1_EviT_PT9_S7_lS9_S7_lPT10_S7_li.numbered_sgpr, 20
	.set _ZL37rocblas_syrkx_herkx_restricted_kernelIl19rocblas_complex_numIdELi16ELi32ELi8ELi1ELi0ELb1ELc84ELc85EKPKS1_KPS1_EviT_PT9_S7_lS9_S7_lPT10_S7_li.num_named_barrier, 0
	.set _ZL37rocblas_syrkx_herkx_restricted_kernelIl19rocblas_complex_numIdELi16ELi32ELi8ELi1ELi0ELb1ELc84ELc85EKPKS1_KPS1_EviT_PT9_S7_lS9_S7_lPT10_S7_li.private_seg_size, 0
	.set _ZL37rocblas_syrkx_herkx_restricted_kernelIl19rocblas_complex_numIdELi16ELi32ELi8ELi1ELi0ELb1ELc84ELc85EKPKS1_KPS1_EviT_PT9_S7_lS9_S7_lPT10_S7_li.uses_vcc, 1
	.set _ZL37rocblas_syrkx_herkx_restricted_kernelIl19rocblas_complex_numIdELi16ELi32ELi8ELi1ELi0ELb1ELc84ELc85EKPKS1_KPS1_EviT_PT9_S7_lS9_S7_lPT10_S7_li.uses_flat_scratch, 0
	.set _ZL37rocblas_syrkx_herkx_restricted_kernelIl19rocblas_complex_numIdELi16ELi32ELi8ELi1ELi0ELb1ELc84ELc85EKPKS1_KPS1_EviT_PT9_S7_lS9_S7_lPT10_S7_li.has_dyn_sized_stack, 0
	.set _ZL37rocblas_syrkx_herkx_restricted_kernelIl19rocblas_complex_numIdELi16ELi32ELi8ELi1ELi0ELb1ELc84ELc85EKPKS1_KPS1_EviT_PT9_S7_lS9_S7_lPT10_S7_li.has_recursion, 0
	.set _ZL37rocblas_syrkx_herkx_restricted_kernelIl19rocblas_complex_numIdELi16ELi32ELi8ELi1ELi0ELb1ELc84ELc85EKPKS1_KPS1_EviT_PT9_S7_lS9_S7_lPT10_S7_li.has_indirect_call, 0
	.section	.AMDGPU.csdata,"",@progbits
; Kernel info:
; codeLenInByte = 2912
; TotalNumSgprs: 24
; NumVgprs: 52
; ScratchSize: 0
; MemoryBound: 0
; FloatMode: 240
; IeeeMode: 1
; LDSByteSize: 8192 bytes/workgroup (compile time only)
; SGPRBlocks: 8
; VGPRBlocks: 12
; NumSGPRsForWavesPerEU: 65
; NumVGPRsForWavesPerEU: 52
; Occupancy: 4
; WaveLimiterHint : 1
; COMPUTE_PGM_RSRC2:SCRATCH_EN: 0
; COMPUTE_PGM_RSRC2:USER_SGPR: 6
; COMPUTE_PGM_RSRC2:TRAP_HANDLER: 0
; COMPUTE_PGM_RSRC2:TGID_X_EN: 1
; COMPUTE_PGM_RSRC2:TGID_Y_EN: 1
; COMPUTE_PGM_RSRC2:TGID_Z_EN: 1
; COMPUTE_PGM_RSRC2:TIDIG_COMP_CNT: 1
	.section	.text._ZL37rocblas_syrkx_herkx_restricted_kernelIl19rocblas_complex_numIdELi16ELi32ELi8ELi1ELi0ELb1ELc67ELc85EKPKS1_KPS1_EviT_PT9_S7_lS9_S7_lPT10_S7_li,"axG",@progbits,_ZL37rocblas_syrkx_herkx_restricted_kernelIl19rocblas_complex_numIdELi16ELi32ELi8ELi1ELi0ELb1ELc67ELc85EKPKS1_KPS1_EviT_PT9_S7_lS9_S7_lPT10_S7_li,comdat
	.globl	_ZL37rocblas_syrkx_herkx_restricted_kernelIl19rocblas_complex_numIdELi16ELi32ELi8ELi1ELi0ELb1ELc67ELc85EKPKS1_KPS1_EviT_PT9_S7_lS9_S7_lPT10_S7_li ; -- Begin function _ZL37rocblas_syrkx_herkx_restricted_kernelIl19rocblas_complex_numIdELi16ELi32ELi8ELi1ELi0ELb1ELc67ELc85EKPKS1_KPS1_EviT_PT9_S7_lS9_S7_lPT10_S7_li
	.p2align	8
	.type	_ZL37rocblas_syrkx_herkx_restricted_kernelIl19rocblas_complex_numIdELi16ELi32ELi8ELi1ELi0ELb1ELc67ELc85EKPKS1_KPS1_EviT_PT9_S7_lS9_S7_lPT10_S7_li,@function
_ZL37rocblas_syrkx_herkx_restricted_kernelIl19rocblas_complex_numIdELi16ELi32ELi8ELi1ELi0ELb1ELc67ELc85EKPKS1_KPS1_EviT_PT9_S7_lS9_S7_lPT10_S7_li: ; @_ZL37rocblas_syrkx_herkx_restricted_kernelIl19rocblas_complex_numIdELi16ELi32ELi8ELi1ELi0ELb1ELc67ELc85EKPKS1_KPS1_EviT_PT9_S7_lS9_S7_lPT10_S7_li
; %bb.0:
	s_load_dwordx4 s[0:3], s[4:5], 0x40
	s_load_dwordx4 s[12:15], s[4:5], 0x8
	s_mov_b32 s9, 0
	s_lshl_b64 s[10:11], s[8:9], 3
	s_waitcnt lgkmcnt(0)
	s_add_u32 s0, s0, s10
	s_addc_u32 s1, s1, s11
	s_load_dwordx2 s[8:9], s[0:1], 0x0
	v_cmp_lt_i64_e64 s[0:1], s[12:13], 1
	s_lshl_b32 s6, s6, 5
	s_lshl_b32 s7, s7, 5
	s_and_b64 vcc, exec, s[0:1]
	s_cbranch_vccnz .LBB1789_3
; %bb.1:
	s_load_dwordx2 s[0:1], s[4:5], 0x18
	s_load_dwordx4 s[16:19], s[4:5], 0x28
	v_lshl_add_u32 v4, v1, 4, v0
	v_lshrrev_b32_e32 v8, 3, v4
	v_add_u32_e32 v5, s7, v8
	v_ashrrev_i32_e32 v6, 31, v5
	v_and_b32_e32 v2, 7, v0
	v_mov_b32_e32 v3, 0
	s_waitcnt lgkmcnt(0)
	v_mul_lo_u32 v9, s18, v6
	v_mul_lo_u32 v10, s19, v5
	v_mad_u64_u32 v[6:7], s[18:19], s18, v5, v[2:3]
	s_add_u32 s14, s14, s10
	v_lshlrev_b32_e32 v2, 4, v2
	v_add3_u32 v7, v10, v7, v9
	v_and_b32_e32 v9, 31, v4
	s_addc_u32 s15, s15, s11
	v_lshl_or_b32 v2, v8, 7, v2
	v_add_u32_e32 v8, s6, v9
	s_add_u32 s10, s16, s10
	v_lshrrev_b32_e32 v4, 5, v4
	v_mov_b32_e32 v5, v3
	v_lshlrev_b32_e32 v3, 4, v9
	v_add_u32_e32 v23, 0x1000, v2
	v_ashrrev_i32_e32 v2, 31, v8
	s_addc_u32 s11, s17, s11
	v_lshl_or_b32 v22, v4, 9, v3
	v_mul_lo_u32 v9, s0, v2
	v_mad_u64_u32 v[2:3], s[16:17], s0, v8, v[4:5]
	v_mul_lo_u32 v4, s1, v8
	s_load_dwordx2 s[14:15], s[14:15], 0x0
	v_mov_b32_e32 v5, 0x1000
	s_load_dwordx2 s[10:11], s[10:11], 0x0
	v_add3_u32 v3, v4, v3, v9
	v_lshlrev_b64 v[2:3], 4, v[2:3]
	v_lshl_add_u32 v25, v1, 7, v5
	s_waitcnt lgkmcnt(0)
	v_mov_b32_e32 v5, s15
	v_add_co_u32_e32 v4, vcc, s14, v2
	v_addc_co_u32_e32 v5, vcc, v5, v3, vcc
	v_lshlrev_b64 v[2:3], 4, v[6:7]
	v_mov_b32_e32 v6, s11
	v_add_co_u32_e32 v12, vcc, s10, v2
	v_addc_co_u32_e32 v13, vcc, v6, v3, vcc
	v_mov_b32_e32 v16, 0
	v_mov_b32_e32 v6, 0
	;; [unrolled: 1-line block ×8, first 2 shown]
	v_lshlrev_b32_e32 v24, 4, v0
	v_mov_b32_e32 v17, 0
	v_mov_b32_e32 v7, 0
	;; [unrolled: 1-line block ×8, first 2 shown]
	s_mov_b64 s[0:1], 0
.LBB1789_2:                             ; =>This Inner Loop Header: Depth=1
	flat_load_dwordx4 v[26:29], v[4:5]
	s_add_u32 s0, s0, 8
	v_add_co_u32_e32 v4, vcc, 0x80, v4
	s_addc_u32 s1, s1, 0
	v_addc_co_u32_e32 v5, vcc, 0, v5, vcc
	s_waitcnt vmcnt(0) lgkmcnt(0)
	v_xor_b32_e32 v29, 0x80000000, v29
	ds_write_b128 v22, v[26:29]
	flat_load_dwordx4 v[26:29], v[12:13]
	v_add_co_u32_e32 v12, vcc, 0x80, v12
	v_addc_co_u32_e32 v13, vcc, 0, v13, vcc
	s_waitcnt vmcnt(0) lgkmcnt(0)
	ds_write_b128 v23, v[26:29]
	s_waitcnt lgkmcnt(0)
	s_barrier
	ds_read_b128 v[26:29], v25
	ds_read_b128 v[30:33], v25 offset:16
	ds_read_b128 v[34:37], v25 offset:32
	;; [unrolled: 1-line block ×3, first 2 shown]
	ds_read_b128 v[42:45], v24
	s_waitcnt lgkmcnt(0)
	v_mul_f64 v[46:47], v[28:29], v[44:45]
	v_mul_f64 v[48:49], v[26:27], v[44:45]
	v_fma_f64 v[46:47], v[26:27], v[42:43], -v[46:47]
	v_fma_f64 v[48:49], v[28:29], v[42:43], v[48:49]
	v_add_f64 v[10:11], v[10:11], v[46:47]
	v_add_f64 v[20:21], v[48:49], v[20:21]
	ds_read_b128 v[46:49], v24 offset:256
	s_waitcnt lgkmcnt(0)
	v_mul_f64 v[50:51], v[28:29], v[48:49]
	v_fma_f64 v[50:51], v[26:27], v[46:47], -v[50:51]
	v_mul_f64 v[26:27], v[26:27], v[48:49]
	v_add_f64 v[2:3], v[2:3], v[50:51]
	v_fma_f64 v[26:27], v[28:29], v[46:47], v[26:27]
	v_add_f64 v[50:51], v[26:27], v[14:15]
	ds_read_b128 v[26:29], v25 offset:2048
	s_waitcnt lgkmcnt(0)
	v_mul_f64 v[14:15], v[28:29], v[44:45]
	v_mul_f64 v[44:45], v[26:27], v[44:45]
	v_fma_f64 v[14:15], v[26:27], v[42:43], -v[14:15]
	v_fma_f64 v[42:43], v[28:29], v[42:43], v[44:45]
	v_add_f64 v[44:45], v[8:9], v[14:15]
	v_mul_f64 v[8:9], v[28:29], v[48:49]
	v_mul_f64 v[14:15], v[26:27], v[48:49]
	v_add_f64 v[42:43], v[42:43], v[18:19]
	v_fma_f64 v[8:9], v[26:27], v[46:47], -v[8:9]
	v_fma_f64 v[14:15], v[28:29], v[46:47], v[14:15]
	v_add_f64 v[26:27], v[6:7], v[8:9]
	ds_read_b128 v[6:9], v24 offset:512
	v_add_f64 v[28:29], v[14:15], v[16:17]
	s_waitcnt lgkmcnt(0)
	v_mul_f64 v[14:15], v[32:33], v[8:9]
	v_mul_f64 v[16:17], v[30:31], v[8:9]
	v_fma_f64 v[14:15], v[30:31], v[6:7], -v[14:15]
	v_fma_f64 v[16:17], v[32:33], v[6:7], v[16:17]
	v_add_f64 v[10:11], v[10:11], v[14:15]
	v_add_f64 v[46:47], v[16:17], v[20:21]
	ds_read_b128 v[14:17], v24 offset:768
	s_waitcnt lgkmcnt(0)
	v_mul_f64 v[18:19], v[32:33], v[16:17]
	v_mul_f64 v[20:21], v[30:31], v[16:17]
	v_fma_f64 v[18:19], v[30:31], v[14:15], -v[18:19]
	v_fma_f64 v[20:21], v[32:33], v[14:15], v[20:21]
	v_add_f64 v[2:3], v[2:3], v[18:19]
	v_add_f64 v[30:31], v[20:21], v[50:51]
	ds_read_b128 v[18:21], v25 offset:2064
	s_waitcnt lgkmcnt(0)
	v_mul_f64 v[32:33], v[20:21], v[8:9]
	v_mul_f64 v[8:9], v[18:19], v[8:9]
	v_fma_f64 v[32:33], v[18:19], v[6:7], -v[32:33]
	v_fma_f64 v[6:7], v[20:21], v[6:7], v[8:9]
	v_mul_f64 v[8:9], v[18:19], v[16:17]
	v_add_f64 v[32:33], v[44:45], v[32:33]
	v_add_f64 v[42:43], v[6:7], v[42:43]
	v_mul_f64 v[6:7], v[20:21], v[16:17]
	v_fma_f64 v[8:9], v[20:21], v[14:15], v[8:9]
	v_fma_f64 v[6:7], v[18:19], v[14:15], -v[6:7]
	v_add_f64 v[28:29], v[8:9], v[28:29]
	v_add_f64 v[26:27], v[26:27], v[6:7]
	ds_read_b128 v[6:9], v24 offset:1024
	s_waitcnt lgkmcnt(0)
	v_mul_f64 v[14:15], v[36:37], v[8:9]
	v_mul_f64 v[16:17], v[34:35], v[8:9]
	v_fma_f64 v[14:15], v[34:35], v[6:7], -v[14:15]
	v_fma_f64 v[16:17], v[36:37], v[6:7], v[16:17]
	v_add_f64 v[10:11], v[10:11], v[14:15]
	v_add_f64 v[44:45], v[16:17], v[46:47]
	ds_read_b128 v[14:17], v24 offset:1280
	s_waitcnt lgkmcnt(0)
	v_mul_f64 v[18:19], v[36:37], v[16:17]
	v_mul_f64 v[20:21], v[34:35], v[16:17]
	v_fma_f64 v[18:19], v[34:35], v[14:15], -v[18:19]
	v_fma_f64 v[20:21], v[36:37], v[14:15], v[20:21]
	v_add_f64 v[2:3], v[2:3], v[18:19]
	v_add_f64 v[30:31], v[20:21], v[30:31]
	ds_read_b128 v[18:21], v25 offset:2080
	s_waitcnt lgkmcnt(0)
	v_mul_f64 v[34:35], v[20:21], v[8:9]
	v_mul_f64 v[8:9], v[18:19], v[8:9]
	v_fma_f64 v[34:35], v[18:19], v[6:7], -v[34:35]
	v_fma_f64 v[6:7], v[20:21], v[6:7], v[8:9]
	v_mul_f64 v[8:9], v[18:19], v[16:17]
	v_add_f64 v[32:33], v[32:33], v[34:35]
	v_add_f64 v[34:35], v[6:7], v[42:43]
	v_mul_f64 v[6:7], v[20:21], v[16:17]
	v_fma_f64 v[8:9], v[20:21], v[14:15], v[8:9]
	v_fma_f64 v[6:7], v[18:19], v[14:15], -v[6:7]
	v_add_f64 v[28:29], v[8:9], v[28:29]
	v_add_f64 v[26:27], v[26:27], v[6:7]
	ds_read_b128 v[6:9], v24 offset:1536
	;; [unrolled: 30-line block ×3, first 2 shown]
	ds_read_b128 v[14:17], v24 offset:2048
	s_waitcnt lgkmcnt(0)
	v_mul_f64 v[18:19], v[8:9], v[16:17]
	v_mul_f64 v[20:21], v[6:7], v[16:17]
	v_fma_f64 v[18:19], v[6:7], v[14:15], -v[18:19]
	v_fma_f64 v[20:21], v[8:9], v[14:15], v[20:21]
	v_add_f64 v[10:11], v[10:11], v[18:19]
	v_add_f64 v[36:37], v[20:21], v[36:37]
	ds_read_b128 v[18:21], v24 offset:2304
	s_waitcnt lgkmcnt(0)
	v_mul_f64 v[38:39], v[8:9], v[20:21]
	v_fma_f64 v[38:39], v[6:7], v[18:19], -v[38:39]
	v_mul_f64 v[6:7], v[6:7], v[20:21]
	v_add_f64 v[2:3], v[2:3], v[38:39]
	v_fma_f64 v[6:7], v[8:9], v[18:19], v[6:7]
	v_add_f64 v[30:31], v[6:7], v[30:31]
	ds_read_b128 v[6:9], v25 offset:2112
	s_waitcnt lgkmcnt(0)
	v_mul_f64 v[38:39], v[8:9], v[16:17]
	v_mul_f64 v[16:17], v[6:7], v[16:17]
	v_fma_f64 v[38:39], v[6:7], v[14:15], -v[38:39]
	v_fma_f64 v[14:15], v[8:9], v[14:15], v[16:17]
	v_add_f64 v[32:33], v[32:33], v[38:39]
	v_add_f64 v[34:35], v[14:15], v[34:35]
	v_mul_f64 v[14:15], v[8:9], v[20:21]
	v_fma_f64 v[14:15], v[6:7], v[18:19], -v[14:15]
	v_mul_f64 v[6:7], v[6:7], v[20:21]
	v_add_f64 v[26:27], v[26:27], v[14:15]
	v_fma_f64 v[6:7], v[8:9], v[18:19], v[6:7]
	v_add_f64 v[28:29], v[6:7], v[28:29]
	ds_read_b128 v[6:9], v25 offset:80
	ds_read_b128 v[14:17], v24 offset:2560
	s_waitcnt lgkmcnt(0)
	v_mul_f64 v[18:19], v[8:9], v[16:17]
	v_mul_f64 v[20:21], v[6:7], v[16:17]
	v_fma_f64 v[18:19], v[6:7], v[14:15], -v[18:19]
	v_fma_f64 v[20:21], v[8:9], v[14:15], v[20:21]
	v_add_f64 v[10:11], v[10:11], v[18:19]
	v_add_f64 v[36:37], v[20:21], v[36:37]
	ds_read_b128 v[18:21], v24 offset:2816
	s_waitcnt lgkmcnt(0)
	v_mul_f64 v[38:39], v[8:9], v[20:21]
	v_fma_f64 v[38:39], v[6:7], v[18:19], -v[38:39]
	v_mul_f64 v[6:7], v[6:7], v[20:21]
	v_add_f64 v[2:3], v[2:3], v[38:39]
	v_fma_f64 v[6:7], v[8:9], v[18:19], v[6:7]
	v_add_f64 v[30:31], v[6:7], v[30:31]
	ds_read_b128 v[6:9], v25 offset:2128
	s_waitcnt lgkmcnt(0)
	v_mul_f64 v[38:39], v[8:9], v[16:17]
	v_mul_f64 v[16:17], v[6:7], v[16:17]
	v_fma_f64 v[38:39], v[6:7], v[14:15], -v[38:39]
	v_fma_f64 v[14:15], v[8:9], v[14:15], v[16:17]
	v_add_f64 v[32:33], v[32:33], v[38:39]
	v_add_f64 v[34:35], v[14:15], v[34:35]
	v_mul_f64 v[14:15], v[8:9], v[20:21]
	v_fma_f64 v[14:15], v[6:7], v[18:19], -v[14:15]
	v_mul_f64 v[6:7], v[6:7], v[20:21]
	v_add_f64 v[26:27], v[26:27], v[14:15]
	v_fma_f64 v[6:7], v[8:9], v[18:19], v[6:7]
	v_add_f64 v[28:29], v[6:7], v[28:29]
	ds_read_b128 v[6:9], v25 offset:96
	;; [unrolled: 31-line block ×3, first 2 shown]
	ds_read_b128 v[16:19], v24 offset:3584
	ds_read_b128 v[26:29], v24 offset:3840
	s_waitcnt lgkmcnt(1)
	v_mul_f64 v[14:15], v[8:9], v[18:19]
	v_mul_f64 v[20:21], v[6:7], v[18:19]
	v_fma_f64 v[14:15], v[6:7], v[16:17], -v[14:15]
	v_fma_f64 v[20:21], v[8:9], v[16:17], v[20:21]
	v_add_f64 v[10:11], v[10:11], v[14:15]
	s_waitcnt lgkmcnt(0)
	v_mul_f64 v[14:15], v[8:9], v[28:29]
	v_add_f64 v[20:21], v[20:21], v[36:37]
	v_fma_f64 v[14:15], v[6:7], v[26:27], -v[14:15]
	v_mul_f64 v[6:7], v[6:7], v[28:29]
	v_add_f64 v[2:3], v[2:3], v[14:15]
	v_fma_f64 v[6:7], v[8:9], v[26:27], v[6:7]
	v_add_f64 v[14:15], v[6:7], v[30:31]
	ds_read_b128 v[30:33], v25 offset:2160
	s_waitcnt lgkmcnt(0)
	s_barrier
	v_mul_f64 v[6:7], v[32:33], v[18:19]
	v_mul_f64 v[8:9], v[30:31], v[18:19]
	v_fma_f64 v[6:7], v[30:31], v[16:17], -v[6:7]
	v_fma_f64 v[16:17], v[32:33], v[16:17], v[8:9]
	v_add_f64 v[8:9], v[38:39], v[6:7]
	v_add_f64 v[18:19], v[16:17], v[34:35]
	v_mul_f64 v[6:7], v[32:33], v[28:29]
	v_mul_f64 v[16:17], v[30:31], v[28:29]
	v_fma_f64 v[6:7], v[30:31], v[26:27], -v[6:7]
	v_fma_f64 v[16:17], v[32:33], v[26:27], v[16:17]
	v_mov_b32_e32 v27, s1
	v_mov_b32_e32 v26, s0
	v_cmp_le_u64_e32 vcc, s[12:13], v[26:27]
	v_add_f64 v[6:7], v[40:41], v[6:7]
	v_add_f64 v[16:17], v[16:17], v[42:43]
	s_cbranch_vccz .LBB1789_2
	s_branch .LBB1789_4
.LBB1789_3:
	v_mov_b32_e32 v10, 0
	v_mov_b32_e32 v20, 0
	;; [unrolled: 1-line block ×16, first 2 shown]
.LBB1789_4:
	v_add_u32_e32 v22, s7, v1
	v_ashrrev_i32_e32 v1, 31, v22
	v_mul_lo_u32 v1, s2, v1
	v_mul_lo_u32 v12, s3, v22
	v_mad_u64_u32 v[4:5], s[0:1], s2, v22, 0
	s_load_dword s10, s[4:5], 0x0
	v_add_u32_e32 v0, s6, v0
	v_add3_u32 v5, v5, v1, v12
	v_lshlrev_b64 v[4:5], 4, v[4:5]
	s_waitcnt lgkmcnt(0)
	v_mov_b32_e32 v1, s9
	v_add_co_u32_e64 v4, s[0:1], s8, v4
	v_addc_co_u32_e64 v5, s[0:1], v1, v5, s[0:1]
	v_cmp_gt_i32_e32 vcc, s10, v22
	v_cmp_le_i32_e64 s[0:1], v0, v22
	s_and_b64 s[0:1], vcc, s[0:1]
	s_and_saveexec_b64 s[4:5], s[0:1]
	s_cbranch_execz .LBB1789_6
; %bb.5:
	v_ashrrev_i32_e32 v1, 31, v0
	v_lshlrev_b64 v[12:13], 4, v[0:1]
	v_add_co_u32_e64 v23, s[0:1], v4, v12
	v_addc_co_u32_e64 v24, s[0:1], v5, v13, s[0:1]
	v_cmp_ne_u32_e64 s[0:1], v22, v0
	v_cndmask_b32_e64 v13, 0, v21, s[0:1]
	v_cndmask_b32_e64 v12, 0, v20, s[0:1]
	flat_store_dwordx4 v[23:24], v[10:13]
.LBB1789_6:
	s_or_b64 exec, exec, s[4:5]
	v_add_u32_e32 v12, 16, v0
	v_cmp_le_i32_e64 s[0:1], v12, v22
	s_and_b64 s[4:5], vcc, s[0:1]
	s_and_saveexec_b64 s[0:1], s[4:5]
	s_cbranch_execz .LBB1789_8
; %bb.7:
	v_ashrrev_i32_e32 v13, 31, v12
	v_lshlrev_b64 v[10:11], 4, v[12:13]
	v_add_co_u32_e32 v10, vcc, v4, v10
	v_addc_co_u32_e32 v11, vcc, v5, v11, vcc
	v_cmp_ne_u32_e32 vcc, v22, v12
	v_cndmask_b32_e32 v5, 0, v15, vcc
	v_cndmask_b32_e32 v4, 0, v14, vcc
	flat_store_dwordx4 v[10:11], v[2:5]
.LBB1789_8:
	s_or_b64 exec, exec, s[0:1]
	v_add_u32_e32 v2, 16, v22
	v_ashrrev_i32_e32 v1, 31, v2
	v_mul_lo_u32 v1, s2, v1
	v_mul_lo_u32 v5, s3, v2
	v_mad_u64_u32 v[3:4], s[0:1], s2, v2, 0
	v_cmp_gt_i32_e32 vcc, s10, v2
	v_add3_u32 v4, v4, v1, v5
	v_lshlrev_b64 v[3:4], 4, v[3:4]
	v_mov_b32_e32 v1, s9
	v_add_co_u32_e64 v3, s[0:1], s8, v3
	v_addc_co_u32_e64 v4, s[0:1], v1, v4, s[0:1]
	v_cmp_le_i32_e64 s[0:1], v0, v2
	s_and_b64 s[0:1], vcc, s[0:1]
	s_and_saveexec_b64 s[2:3], s[0:1]
	s_cbranch_execz .LBB1789_10
; %bb.9:
	v_ashrrev_i32_e32 v1, 31, v0
	v_lshlrev_b64 v[10:11], 4, v[0:1]
	v_add_co_u32_e64 v13, s[0:1], v3, v10
	v_addc_co_u32_e64 v14, s[0:1], v4, v11, s[0:1]
	v_cmp_ne_u32_e64 s[0:1], v2, v0
	v_cndmask_b32_e64 v11, 0, v19, s[0:1]
	v_cndmask_b32_e64 v10, 0, v18, s[0:1]
	flat_store_dwordx4 v[13:14], v[8:11]
.LBB1789_10:
	s_or_b64 exec, exec, s[2:3]
	v_cmp_le_i32_e64 s[0:1], v12, v2
	s_and_b64 s[0:1], vcc, s[0:1]
	s_and_saveexec_b64 s[2:3], s[0:1]
	s_cbranch_execz .LBB1789_12
; %bb.11:
	v_ashrrev_i32_e32 v13, 31, v12
	v_lshlrev_b64 v[1:2], 4, v[12:13]
	v_add_co_u32_e32 v1, vcc, v3, v1
	v_addc_co_u32_e32 v2, vcc, v4, v2, vcc
	v_cmp_ne_u32_e32 vcc, v22, v0
	v_cndmask_b32_e32 v9, 0, v17, vcc
	v_cndmask_b32_e32 v8, 0, v16, vcc
	flat_store_dwordx4 v[1:2], v[6:9]
.LBB1789_12:
	s_endpgm
	.section	.rodata,"a",@progbits
	.p2align	6, 0x0
	.amdhsa_kernel _ZL37rocblas_syrkx_herkx_restricted_kernelIl19rocblas_complex_numIdELi16ELi32ELi8ELi1ELi0ELb1ELc67ELc85EKPKS1_KPS1_EviT_PT9_S7_lS9_S7_lPT10_S7_li
		.amdhsa_group_segment_fixed_size 8192
		.amdhsa_private_segment_fixed_size 0
		.amdhsa_kernarg_size 92
		.amdhsa_user_sgpr_count 6
		.amdhsa_user_sgpr_private_segment_buffer 1
		.amdhsa_user_sgpr_dispatch_ptr 0
		.amdhsa_user_sgpr_queue_ptr 0
		.amdhsa_user_sgpr_kernarg_segment_ptr 1
		.amdhsa_user_sgpr_dispatch_id 0
		.amdhsa_user_sgpr_flat_scratch_init 0
		.amdhsa_user_sgpr_private_segment_size 0
		.amdhsa_uses_dynamic_stack 0
		.amdhsa_system_sgpr_private_segment_wavefront_offset 0
		.amdhsa_system_sgpr_workgroup_id_x 1
		.amdhsa_system_sgpr_workgroup_id_y 1
		.amdhsa_system_sgpr_workgroup_id_z 1
		.amdhsa_system_sgpr_workgroup_info 0
		.amdhsa_system_vgpr_workitem_id 1
		.amdhsa_next_free_vgpr 52
		.amdhsa_next_free_sgpr 61
		.amdhsa_reserve_vcc 1
		.amdhsa_reserve_flat_scratch 0
		.amdhsa_float_round_mode_32 0
		.amdhsa_float_round_mode_16_64 0
		.amdhsa_float_denorm_mode_32 3
		.amdhsa_float_denorm_mode_16_64 3
		.amdhsa_dx10_clamp 1
		.amdhsa_ieee_mode 1
		.amdhsa_fp16_overflow 0
		.amdhsa_exception_fp_ieee_invalid_op 0
		.amdhsa_exception_fp_denorm_src 0
		.amdhsa_exception_fp_ieee_div_zero 0
		.amdhsa_exception_fp_ieee_overflow 0
		.amdhsa_exception_fp_ieee_underflow 0
		.amdhsa_exception_fp_ieee_inexact 0
		.amdhsa_exception_int_div_zero 0
	.end_amdhsa_kernel
	.section	.text._ZL37rocblas_syrkx_herkx_restricted_kernelIl19rocblas_complex_numIdELi16ELi32ELi8ELi1ELi0ELb1ELc67ELc85EKPKS1_KPS1_EviT_PT9_S7_lS9_S7_lPT10_S7_li,"axG",@progbits,_ZL37rocblas_syrkx_herkx_restricted_kernelIl19rocblas_complex_numIdELi16ELi32ELi8ELi1ELi0ELb1ELc67ELc85EKPKS1_KPS1_EviT_PT9_S7_lS9_S7_lPT10_S7_li,comdat
.Lfunc_end1789:
	.size	_ZL37rocblas_syrkx_herkx_restricted_kernelIl19rocblas_complex_numIdELi16ELi32ELi8ELi1ELi0ELb1ELc67ELc85EKPKS1_KPS1_EviT_PT9_S7_lS9_S7_lPT10_S7_li, .Lfunc_end1789-_ZL37rocblas_syrkx_herkx_restricted_kernelIl19rocblas_complex_numIdELi16ELi32ELi8ELi1ELi0ELb1ELc67ELc85EKPKS1_KPS1_EviT_PT9_S7_lS9_S7_lPT10_S7_li
                                        ; -- End function
	.set _ZL37rocblas_syrkx_herkx_restricted_kernelIl19rocblas_complex_numIdELi16ELi32ELi8ELi1ELi0ELb1ELc67ELc85EKPKS1_KPS1_EviT_PT9_S7_lS9_S7_lPT10_S7_li.num_vgpr, 52
	.set _ZL37rocblas_syrkx_herkx_restricted_kernelIl19rocblas_complex_numIdELi16ELi32ELi8ELi1ELi0ELb1ELc67ELc85EKPKS1_KPS1_EviT_PT9_S7_lS9_S7_lPT10_S7_li.num_agpr, 0
	.set _ZL37rocblas_syrkx_herkx_restricted_kernelIl19rocblas_complex_numIdELi16ELi32ELi8ELi1ELi0ELb1ELc67ELc85EKPKS1_KPS1_EviT_PT9_S7_lS9_S7_lPT10_S7_li.numbered_sgpr, 20
	.set _ZL37rocblas_syrkx_herkx_restricted_kernelIl19rocblas_complex_numIdELi16ELi32ELi8ELi1ELi0ELb1ELc67ELc85EKPKS1_KPS1_EviT_PT9_S7_lS9_S7_lPT10_S7_li.num_named_barrier, 0
	.set _ZL37rocblas_syrkx_herkx_restricted_kernelIl19rocblas_complex_numIdELi16ELi32ELi8ELi1ELi0ELb1ELc67ELc85EKPKS1_KPS1_EviT_PT9_S7_lS9_S7_lPT10_S7_li.private_seg_size, 0
	.set _ZL37rocblas_syrkx_herkx_restricted_kernelIl19rocblas_complex_numIdELi16ELi32ELi8ELi1ELi0ELb1ELc67ELc85EKPKS1_KPS1_EviT_PT9_S7_lS9_S7_lPT10_S7_li.uses_vcc, 1
	.set _ZL37rocblas_syrkx_herkx_restricted_kernelIl19rocblas_complex_numIdELi16ELi32ELi8ELi1ELi0ELb1ELc67ELc85EKPKS1_KPS1_EviT_PT9_S7_lS9_S7_lPT10_S7_li.uses_flat_scratch, 0
	.set _ZL37rocblas_syrkx_herkx_restricted_kernelIl19rocblas_complex_numIdELi16ELi32ELi8ELi1ELi0ELb1ELc67ELc85EKPKS1_KPS1_EviT_PT9_S7_lS9_S7_lPT10_S7_li.has_dyn_sized_stack, 0
	.set _ZL37rocblas_syrkx_herkx_restricted_kernelIl19rocblas_complex_numIdELi16ELi32ELi8ELi1ELi0ELb1ELc67ELc85EKPKS1_KPS1_EviT_PT9_S7_lS9_S7_lPT10_S7_li.has_recursion, 0
	.set _ZL37rocblas_syrkx_herkx_restricted_kernelIl19rocblas_complex_numIdELi16ELi32ELi8ELi1ELi0ELb1ELc67ELc85EKPKS1_KPS1_EviT_PT9_S7_lS9_S7_lPT10_S7_li.has_indirect_call, 0
	.section	.AMDGPU.csdata,"",@progbits
; Kernel info:
; codeLenInByte = 2920
; TotalNumSgprs: 24
; NumVgprs: 52
; ScratchSize: 0
; MemoryBound: 0
; FloatMode: 240
; IeeeMode: 1
; LDSByteSize: 8192 bytes/workgroup (compile time only)
; SGPRBlocks: 8
; VGPRBlocks: 12
; NumSGPRsForWavesPerEU: 65
; NumVGPRsForWavesPerEU: 52
; Occupancy: 4
; WaveLimiterHint : 1
; COMPUTE_PGM_RSRC2:SCRATCH_EN: 0
; COMPUTE_PGM_RSRC2:USER_SGPR: 6
; COMPUTE_PGM_RSRC2:TRAP_HANDLER: 0
; COMPUTE_PGM_RSRC2:TGID_X_EN: 1
; COMPUTE_PGM_RSRC2:TGID_Y_EN: 1
; COMPUTE_PGM_RSRC2:TGID_Z_EN: 1
; COMPUTE_PGM_RSRC2:TIDIG_COMP_CNT: 1
	.section	.text._ZL37rocblas_syrkx_herkx_restricted_kernelIl19rocblas_complex_numIdELi16ELi32ELi8ELi1ELi0ELb1ELc78ELc85EKPKS1_KPS1_EviT_PT9_S7_lS9_S7_lPT10_S7_li,"axG",@progbits,_ZL37rocblas_syrkx_herkx_restricted_kernelIl19rocblas_complex_numIdELi16ELi32ELi8ELi1ELi0ELb1ELc78ELc85EKPKS1_KPS1_EviT_PT9_S7_lS9_S7_lPT10_S7_li,comdat
	.globl	_ZL37rocblas_syrkx_herkx_restricted_kernelIl19rocblas_complex_numIdELi16ELi32ELi8ELi1ELi0ELb1ELc78ELc85EKPKS1_KPS1_EviT_PT9_S7_lS9_S7_lPT10_S7_li ; -- Begin function _ZL37rocblas_syrkx_herkx_restricted_kernelIl19rocblas_complex_numIdELi16ELi32ELi8ELi1ELi0ELb1ELc78ELc85EKPKS1_KPS1_EviT_PT9_S7_lS9_S7_lPT10_S7_li
	.p2align	8
	.type	_ZL37rocblas_syrkx_herkx_restricted_kernelIl19rocblas_complex_numIdELi16ELi32ELi8ELi1ELi0ELb1ELc78ELc85EKPKS1_KPS1_EviT_PT9_S7_lS9_S7_lPT10_S7_li,@function
_ZL37rocblas_syrkx_herkx_restricted_kernelIl19rocblas_complex_numIdELi16ELi32ELi8ELi1ELi0ELb1ELc78ELc85EKPKS1_KPS1_EviT_PT9_S7_lS9_S7_lPT10_S7_li: ; @_ZL37rocblas_syrkx_herkx_restricted_kernelIl19rocblas_complex_numIdELi16ELi32ELi8ELi1ELi0ELb1ELc78ELc85EKPKS1_KPS1_EviT_PT9_S7_lS9_S7_lPT10_S7_li
; %bb.0:
	s_load_dwordx4 s[0:3], s[4:5], 0x40
	s_load_dwordx4 s[12:15], s[4:5], 0x8
	s_mov_b32 s9, 0
	s_lshl_b64 s[18:19], s[8:9], 3
	s_waitcnt lgkmcnt(0)
	s_add_u32 s0, s0, s18
	s_addc_u32 s1, s1, s19
	s_load_dwordx2 s[16:17], s[0:1], 0x0
	v_cmp_lt_i64_e64 s[0:1], s[12:13], 1
	s_lshl_b32 s20, s6, 5
	s_lshl_b32 s21, s7, 5
	s_and_b64 vcc, exec, s[0:1]
	s_cbranch_vccnz .LBB1790_3
; %bb.1:
	s_load_dwordx2 s[0:1], s[4:5], 0x18
	s_load_dwordx4 s[8:11], s[4:5], 0x28
	v_lshl_add_u32 v5, v1, 4, v0
	v_lshrrev_b32_e32 v7, 3, v5
	v_add_u32_e32 v2, s21, v7
	v_and_b32_e32 v6, 7, v0
	v_ashrrev_i32_e32 v3, 31, v2
	s_waitcnt lgkmcnt(0)
	v_mad_u64_u32 v[2:3], s[6:7], s10, v6, v[2:3]
	s_add_u32 s6, s14, s18
	s_addc_u32 s7, s15, s19
	v_mad_u64_u32 v[3:4], s[14:15], s11, v6, v[3:4]
	v_and_b32_e32 v4, 31, v5
	v_lshrrev_b32_e32 v8, 5, v5
	v_lshlrev_b32_e32 v5, 4, v4
	v_add_u32_e32 v4, s20, v4
	v_lshl_or_b32 v22, v8, 9, v5
	v_ashrrev_i32_e32 v5, 31, v4
	v_mad_u64_u32 v[4:5], s[14:15], s0, v8, v[4:5]
	v_lshlrev_b32_e32 v6, 4, v6
	v_lshl_or_b32 v6, v7, 7, v6
	v_add_u32_e32 v23, 0x1000, v6
	v_mad_u64_u32 v[5:6], s[14:15], s1, v8, v[5:6]
	s_load_dwordx2 s[6:7], s[6:7], 0x0
	s_add_u32 s8, s8, s18
	s_addc_u32 s9, s9, s19
	s_load_dwordx2 s[8:9], s[8:9], 0x0
	v_lshlrev_b64 v[4:5], 4, v[4:5]
	v_mov_b32_e32 v6, 0x1000
	v_lshl_add_u32 v25, v1, 7, v6
	s_waitcnt lgkmcnt(0)
	v_mov_b32_e32 v6, s7
	v_add_co_u32_e32 v4, vcc, s6, v4
	v_lshlrev_b64 v[2:3], 4, v[2:3]
	v_addc_co_u32_e32 v5, vcc, v6, v5, vcc
	v_mov_b32_e32 v6, s9
	v_add_co_u32_e32 v12, vcc, s8, v2
	s_lshl_b64 s[0:1], s[0:1], 7
	v_addc_co_u32_e32 v13, vcc, v6, v3, vcc
	s_lshl_b64 s[6:7], s[10:11], 7
	v_mov_b32_e32 v16, 0
	v_mov_b32_e32 v6, 0
	;; [unrolled: 1-line block ×8, first 2 shown]
	v_lshlrev_b32_e32 v24, 4, v0
	v_mov_b32_e32 v17, 0
	s_mov_b64 s[8:9], 0
	v_mov_b32_e32 v26, s1
	v_mov_b32_e32 v7, 0
	;; [unrolled: 1-line block ×9, first 2 shown]
.LBB1790_2:                             ; =>This Inner Loop Header: Depth=1
	flat_load_dwordx4 v[28:31], v[4:5]
	s_add_u32 s8, s8, 8
	v_add_co_u32_e32 v4, vcc, s0, v4
	s_addc_u32 s9, s9, 0
	v_addc_co_u32_e32 v5, vcc, v5, v26, vcc
	s_waitcnt vmcnt(0) lgkmcnt(0)
	ds_write_b128 v22, v[28:31]
	flat_load_dwordx4 v[28:31], v[12:13]
	v_add_co_u32_e32 v12, vcc, s6, v12
	v_addc_co_u32_e32 v13, vcc, v13, v27, vcc
	s_waitcnt vmcnt(0) lgkmcnt(0)
	v_xor_b32_e32 v31, 0x80000000, v31
	ds_write_b128 v23, v[28:31]
	s_waitcnt lgkmcnt(0)
	s_barrier
	ds_read_b128 v[28:31], v25
	ds_read_b128 v[32:35], v25 offset:16
	ds_read_b128 v[36:39], v25 offset:32
	;; [unrolled: 1-line block ×3, first 2 shown]
	ds_read_b128 v[44:47], v24
	s_waitcnt lgkmcnt(0)
	v_mul_f64 v[48:49], v[30:31], v[46:47]
	v_mul_f64 v[50:51], v[28:29], v[46:47]
	v_fma_f64 v[48:49], v[28:29], v[44:45], -v[48:49]
	v_fma_f64 v[50:51], v[30:31], v[44:45], v[50:51]
	v_add_f64 v[10:11], v[10:11], v[48:49]
	v_add_f64 v[20:21], v[50:51], v[20:21]
	ds_read_b128 v[48:51], v24 offset:256
	s_waitcnt lgkmcnt(0)
	v_mul_f64 v[52:53], v[30:31], v[50:51]
	v_fma_f64 v[52:53], v[28:29], v[48:49], -v[52:53]
	v_mul_f64 v[28:29], v[28:29], v[50:51]
	v_add_f64 v[2:3], v[2:3], v[52:53]
	v_fma_f64 v[28:29], v[30:31], v[48:49], v[28:29]
	v_add_f64 v[52:53], v[28:29], v[14:15]
	ds_read_b128 v[28:31], v25 offset:2048
	s_waitcnt lgkmcnt(0)
	v_mul_f64 v[14:15], v[30:31], v[46:47]
	v_mul_f64 v[46:47], v[28:29], v[46:47]
	v_fma_f64 v[14:15], v[28:29], v[44:45], -v[14:15]
	v_fma_f64 v[44:45], v[30:31], v[44:45], v[46:47]
	v_add_f64 v[46:47], v[8:9], v[14:15]
	v_mul_f64 v[8:9], v[30:31], v[50:51]
	v_mul_f64 v[14:15], v[28:29], v[50:51]
	v_add_f64 v[44:45], v[44:45], v[18:19]
	v_fma_f64 v[8:9], v[28:29], v[48:49], -v[8:9]
	v_fma_f64 v[14:15], v[30:31], v[48:49], v[14:15]
	v_add_f64 v[28:29], v[6:7], v[8:9]
	ds_read_b128 v[6:9], v24 offset:512
	v_add_f64 v[30:31], v[14:15], v[16:17]
	s_waitcnt lgkmcnt(0)
	v_mul_f64 v[14:15], v[34:35], v[8:9]
	v_mul_f64 v[16:17], v[32:33], v[8:9]
	v_fma_f64 v[14:15], v[32:33], v[6:7], -v[14:15]
	v_fma_f64 v[16:17], v[34:35], v[6:7], v[16:17]
	v_add_f64 v[10:11], v[10:11], v[14:15]
	v_add_f64 v[48:49], v[16:17], v[20:21]
	ds_read_b128 v[14:17], v24 offset:768
	s_waitcnt lgkmcnt(0)
	v_mul_f64 v[18:19], v[34:35], v[16:17]
	v_mul_f64 v[20:21], v[32:33], v[16:17]
	v_fma_f64 v[18:19], v[32:33], v[14:15], -v[18:19]
	v_fma_f64 v[20:21], v[34:35], v[14:15], v[20:21]
	v_add_f64 v[2:3], v[2:3], v[18:19]
	v_add_f64 v[32:33], v[20:21], v[52:53]
	ds_read_b128 v[18:21], v25 offset:2064
	s_waitcnt lgkmcnt(0)
	v_mul_f64 v[34:35], v[20:21], v[8:9]
	v_mul_f64 v[8:9], v[18:19], v[8:9]
	v_fma_f64 v[34:35], v[18:19], v[6:7], -v[34:35]
	v_fma_f64 v[6:7], v[20:21], v[6:7], v[8:9]
	v_mul_f64 v[8:9], v[18:19], v[16:17]
	v_add_f64 v[34:35], v[46:47], v[34:35]
	v_add_f64 v[44:45], v[6:7], v[44:45]
	v_mul_f64 v[6:7], v[20:21], v[16:17]
	v_fma_f64 v[8:9], v[20:21], v[14:15], v[8:9]
	v_fma_f64 v[6:7], v[18:19], v[14:15], -v[6:7]
	v_add_f64 v[30:31], v[8:9], v[30:31]
	v_add_f64 v[28:29], v[28:29], v[6:7]
	ds_read_b128 v[6:9], v24 offset:1024
	s_waitcnt lgkmcnt(0)
	v_mul_f64 v[14:15], v[38:39], v[8:9]
	v_mul_f64 v[16:17], v[36:37], v[8:9]
	v_fma_f64 v[14:15], v[36:37], v[6:7], -v[14:15]
	v_fma_f64 v[16:17], v[38:39], v[6:7], v[16:17]
	v_add_f64 v[10:11], v[10:11], v[14:15]
	v_add_f64 v[46:47], v[16:17], v[48:49]
	ds_read_b128 v[14:17], v24 offset:1280
	s_waitcnt lgkmcnt(0)
	v_mul_f64 v[18:19], v[38:39], v[16:17]
	v_mul_f64 v[20:21], v[36:37], v[16:17]
	v_fma_f64 v[18:19], v[36:37], v[14:15], -v[18:19]
	v_fma_f64 v[20:21], v[38:39], v[14:15], v[20:21]
	v_add_f64 v[2:3], v[2:3], v[18:19]
	v_add_f64 v[32:33], v[20:21], v[32:33]
	ds_read_b128 v[18:21], v25 offset:2080
	s_waitcnt lgkmcnt(0)
	v_mul_f64 v[36:37], v[20:21], v[8:9]
	v_mul_f64 v[8:9], v[18:19], v[8:9]
	v_fma_f64 v[36:37], v[18:19], v[6:7], -v[36:37]
	v_fma_f64 v[6:7], v[20:21], v[6:7], v[8:9]
	v_mul_f64 v[8:9], v[18:19], v[16:17]
	v_add_f64 v[34:35], v[34:35], v[36:37]
	v_add_f64 v[36:37], v[6:7], v[44:45]
	v_mul_f64 v[6:7], v[20:21], v[16:17]
	v_fma_f64 v[8:9], v[20:21], v[14:15], v[8:9]
	v_fma_f64 v[6:7], v[18:19], v[14:15], -v[6:7]
	v_add_f64 v[30:31], v[8:9], v[30:31]
	v_add_f64 v[28:29], v[28:29], v[6:7]
	ds_read_b128 v[6:9], v24 offset:1536
	;; [unrolled: 30-line block ×3, first 2 shown]
	ds_read_b128 v[14:17], v24 offset:2048
	s_waitcnt lgkmcnt(0)
	v_mul_f64 v[18:19], v[8:9], v[16:17]
	v_mul_f64 v[20:21], v[6:7], v[16:17]
	v_fma_f64 v[18:19], v[6:7], v[14:15], -v[18:19]
	v_fma_f64 v[20:21], v[8:9], v[14:15], v[20:21]
	v_add_f64 v[10:11], v[10:11], v[18:19]
	v_add_f64 v[38:39], v[20:21], v[38:39]
	ds_read_b128 v[18:21], v24 offset:2304
	s_waitcnt lgkmcnt(0)
	v_mul_f64 v[40:41], v[8:9], v[20:21]
	v_fma_f64 v[40:41], v[6:7], v[18:19], -v[40:41]
	v_mul_f64 v[6:7], v[6:7], v[20:21]
	v_add_f64 v[2:3], v[2:3], v[40:41]
	v_fma_f64 v[6:7], v[8:9], v[18:19], v[6:7]
	v_add_f64 v[32:33], v[6:7], v[32:33]
	ds_read_b128 v[6:9], v25 offset:2112
	s_waitcnt lgkmcnt(0)
	v_mul_f64 v[40:41], v[8:9], v[16:17]
	v_mul_f64 v[16:17], v[6:7], v[16:17]
	v_fma_f64 v[40:41], v[6:7], v[14:15], -v[40:41]
	v_fma_f64 v[14:15], v[8:9], v[14:15], v[16:17]
	v_add_f64 v[34:35], v[34:35], v[40:41]
	v_add_f64 v[36:37], v[14:15], v[36:37]
	v_mul_f64 v[14:15], v[8:9], v[20:21]
	v_fma_f64 v[14:15], v[6:7], v[18:19], -v[14:15]
	v_mul_f64 v[6:7], v[6:7], v[20:21]
	v_add_f64 v[28:29], v[28:29], v[14:15]
	v_fma_f64 v[6:7], v[8:9], v[18:19], v[6:7]
	v_add_f64 v[30:31], v[6:7], v[30:31]
	ds_read_b128 v[6:9], v25 offset:80
	ds_read_b128 v[14:17], v24 offset:2560
	s_waitcnt lgkmcnt(0)
	v_mul_f64 v[18:19], v[8:9], v[16:17]
	v_mul_f64 v[20:21], v[6:7], v[16:17]
	v_fma_f64 v[18:19], v[6:7], v[14:15], -v[18:19]
	v_fma_f64 v[20:21], v[8:9], v[14:15], v[20:21]
	v_add_f64 v[10:11], v[10:11], v[18:19]
	v_add_f64 v[38:39], v[20:21], v[38:39]
	ds_read_b128 v[18:21], v24 offset:2816
	s_waitcnt lgkmcnt(0)
	v_mul_f64 v[40:41], v[8:9], v[20:21]
	v_fma_f64 v[40:41], v[6:7], v[18:19], -v[40:41]
	v_mul_f64 v[6:7], v[6:7], v[20:21]
	v_add_f64 v[2:3], v[2:3], v[40:41]
	v_fma_f64 v[6:7], v[8:9], v[18:19], v[6:7]
	v_add_f64 v[32:33], v[6:7], v[32:33]
	ds_read_b128 v[6:9], v25 offset:2128
	s_waitcnt lgkmcnt(0)
	v_mul_f64 v[40:41], v[8:9], v[16:17]
	v_mul_f64 v[16:17], v[6:7], v[16:17]
	v_fma_f64 v[40:41], v[6:7], v[14:15], -v[40:41]
	v_fma_f64 v[14:15], v[8:9], v[14:15], v[16:17]
	v_add_f64 v[34:35], v[34:35], v[40:41]
	v_add_f64 v[36:37], v[14:15], v[36:37]
	v_mul_f64 v[14:15], v[8:9], v[20:21]
	v_fma_f64 v[14:15], v[6:7], v[18:19], -v[14:15]
	v_mul_f64 v[6:7], v[6:7], v[20:21]
	v_add_f64 v[28:29], v[28:29], v[14:15]
	v_fma_f64 v[6:7], v[8:9], v[18:19], v[6:7]
	v_add_f64 v[30:31], v[6:7], v[30:31]
	ds_read_b128 v[6:9], v25 offset:96
	;; [unrolled: 31-line block ×3, first 2 shown]
	ds_read_b128 v[16:19], v24 offset:3584
	ds_read_b128 v[28:31], v24 offset:3840
	s_waitcnt lgkmcnt(1)
	v_mul_f64 v[14:15], v[8:9], v[18:19]
	v_mul_f64 v[20:21], v[6:7], v[18:19]
	v_fma_f64 v[14:15], v[6:7], v[16:17], -v[14:15]
	v_fma_f64 v[20:21], v[8:9], v[16:17], v[20:21]
	v_add_f64 v[10:11], v[10:11], v[14:15]
	s_waitcnt lgkmcnt(0)
	v_mul_f64 v[14:15], v[8:9], v[30:31]
	v_add_f64 v[20:21], v[20:21], v[38:39]
	v_fma_f64 v[14:15], v[6:7], v[28:29], -v[14:15]
	v_mul_f64 v[6:7], v[6:7], v[30:31]
	v_add_f64 v[2:3], v[2:3], v[14:15]
	v_fma_f64 v[6:7], v[8:9], v[28:29], v[6:7]
	v_add_f64 v[14:15], v[6:7], v[32:33]
	ds_read_b128 v[32:35], v25 offset:2160
	s_waitcnt lgkmcnt(0)
	s_barrier
	v_mul_f64 v[6:7], v[34:35], v[18:19]
	v_mul_f64 v[8:9], v[32:33], v[18:19]
	v_fma_f64 v[6:7], v[32:33], v[16:17], -v[6:7]
	v_fma_f64 v[16:17], v[34:35], v[16:17], v[8:9]
	v_add_f64 v[8:9], v[40:41], v[6:7]
	v_add_f64 v[18:19], v[16:17], v[36:37]
	v_mul_f64 v[6:7], v[34:35], v[30:31]
	v_mul_f64 v[16:17], v[32:33], v[30:31]
	v_fma_f64 v[6:7], v[32:33], v[28:29], -v[6:7]
	v_fma_f64 v[16:17], v[34:35], v[28:29], v[16:17]
	v_mov_b32_e32 v29, s9
	v_mov_b32_e32 v28, s8
	v_cmp_le_u64_e32 vcc, s[12:13], v[28:29]
	v_add_f64 v[6:7], v[42:43], v[6:7]
	v_add_f64 v[16:17], v[16:17], v[44:45]
	s_cbranch_vccz .LBB1790_2
	s_branch .LBB1790_4
.LBB1790_3:
	v_mov_b32_e32 v10, 0
	v_mov_b32_e32 v20, 0
	;; [unrolled: 1-line block ×16, first 2 shown]
.LBB1790_4:
	v_add_u32_e32 v22, s21, v1
	v_ashrrev_i32_e32 v1, 31, v22
	v_mul_lo_u32 v1, s2, v1
	v_mul_lo_u32 v12, s3, v22
	v_mad_u64_u32 v[4:5], s[0:1], s2, v22, 0
	s_load_dword s6, s[4:5], 0x0
	v_add_u32_e32 v0, s20, v0
	v_add3_u32 v5, v5, v1, v12
	v_lshlrev_b64 v[4:5], 4, v[4:5]
	s_waitcnt lgkmcnt(0)
	v_mov_b32_e32 v1, s17
	v_add_co_u32_e64 v4, s[0:1], s16, v4
	v_addc_co_u32_e64 v5, s[0:1], v1, v5, s[0:1]
	v_cmp_gt_i32_e32 vcc, s6, v22
	v_cmp_le_i32_e64 s[0:1], v0, v22
	s_and_b64 s[0:1], vcc, s[0:1]
	s_and_saveexec_b64 s[4:5], s[0:1]
	s_cbranch_execz .LBB1790_6
; %bb.5:
	v_ashrrev_i32_e32 v1, 31, v0
	v_lshlrev_b64 v[12:13], 4, v[0:1]
	v_add_co_u32_e64 v23, s[0:1], v4, v12
	v_addc_co_u32_e64 v24, s[0:1], v5, v13, s[0:1]
	v_cmp_ne_u32_e64 s[0:1], v22, v0
	v_cndmask_b32_e64 v13, 0, v21, s[0:1]
	v_cndmask_b32_e64 v12, 0, v20, s[0:1]
	flat_store_dwordx4 v[23:24], v[10:13]
.LBB1790_6:
	s_or_b64 exec, exec, s[4:5]
	v_add_u32_e32 v12, 16, v0
	v_cmp_le_i32_e64 s[0:1], v12, v22
	s_and_b64 s[4:5], vcc, s[0:1]
	s_and_saveexec_b64 s[0:1], s[4:5]
	s_cbranch_execz .LBB1790_8
; %bb.7:
	v_ashrrev_i32_e32 v13, 31, v12
	v_lshlrev_b64 v[10:11], 4, v[12:13]
	v_add_co_u32_e32 v10, vcc, v4, v10
	v_addc_co_u32_e32 v11, vcc, v5, v11, vcc
	v_cmp_ne_u32_e32 vcc, v22, v12
	v_cndmask_b32_e32 v5, 0, v15, vcc
	v_cndmask_b32_e32 v4, 0, v14, vcc
	flat_store_dwordx4 v[10:11], v[2:5]
.LBB1790_8:
	s_or_b64 exec, exec, s[0:1]
	v_add_u32_e32 v2, 16, v22
	v_ashrrev_i32_e32 v1, 31, v2
	v_mul_lo_u32 v1, s2, v1
	v_mul_lo_u32 v5, s3, v2
	v_mad_u64_u32 v[3:4], s[0:1], s2, v2, 0
	v_cmp_gt_i32_e32 vcc, s6, v2
	v_add3_u32 v4, v4, v1, v5
	v_lshlrev_b64 v[3:4], 4, v[3:4]
	v_mov_b32_e32 v1, s17
	v_add_co_u32_e64 v3, s[0:1], s16, v3
	v_addc_co_u32_e64 v4, s[0:1], v1, v4, s[0:1]
	v_cmp_le_i32_e64 s[0:1], v0, v2
	s_and_b64 s[0:1], vcc, s[0:1]
	s_and_saveexec_b64 s[2:3], s[0:1]
	s_cbranch_execz .LBB1790_10
; %bb.9:
	v_ashrrev_i32_e32 v1, 31, v0
	v_lshlrev_b64 v[10:11], 4, v[0:1]
	v_add_co_u32_e64 v13, s[0:1], v3, v10
	v_addc_co_u32_e64 v14, s[0:1], v4, v11, s[0:1]
	v_cmp_ne_u32_e64 s[0:1], v2, v0
	v_cndmask_b32_e64 v11, 0, v19, s[0:1]
	v_cndmask_b32_e64 v10, 0, v18, s[0:1]
	flat_store_dwordx4 v[13:14], v[8:11]
.LBB1790_10:
	s_or_b64 exec, exec, s[2:3]
	v_cmp_le_i32_e64 s[0:1], v12, v2
	s_and_b64 s[0:1], vcc, s[0:1]
	s_and_saveexec_b64 s[2:3], s[0:1]
	s_cbranch_execz .LBB1790_12
; %bb.11:
	v_ashrrev_i32_e32 v13, 31, v12
	v_lshlrev_b64 v[1:2], 4, v[12:13]
	v_add_co_u32_e32 v1, vcc, v3, v1
	v_addc_co_u32_e32 v2, vcc, v4, v2, vcc
	v_cmp_ne_u32_e32 vcc, v22, v0
	v_cndmask_b32_e32 v9, 0, v17, vcc
	v_cndmask_b32_e32 v8, 0, v16, vcc
	flat_store_dwordx4 v[1:2], v[6:9]
.LBB1790_12:
	s_endpgm
	.section	.rodata,"a",@progbits
	.p2align	6, 0x0
	.amdhsa_kernel _ZL37rocblas_syrkx_herkx_restricted_kernelIl19rocblas_complex_numIdELi16ELi32ELi8ELi1ELi0ELb1ELc78ELc85EKPKS1_KPS1_EviT_PT9_S7_lS9_S7_lPT10_S7_li
		.amdhsa_group_segment_fixed_size 8192
		.amdhsa_private_segment_fixed_size 0
		.amdhsa_kernarg_size 92
		.amdhsa_user_sgpr_count 6
		.amdhsa_user_sgpr_private_segment_buffer 1
		.amdhsa_user_sgpr_dispatch_ptr 0
		.amdhsa_user_sgpr_queue_ptr 0
		.amdhsa_user_sgpr_kernarg_segment_ptr 1
		.amdhsa_user_sgpr_dispatch_id 0
		.amdhsa_user_sgpr_flat_scratch_init 0
		.amdhsa_user_sgpr_private_segment_size 0
		.amdhsa_uses_dynamic_stack 0
		.amdhsa_system_sgpr_private_segment_wavefront_offset 0
		.amdhsa_system_sgpr_workgroup_id_x 1
		.amdhsa_system_sgpr_workgroup_id_y 1
		.amdhsa_system_sgpr_workgroup_id_z 1
		.amdhsa_system_sgpr_workgroup_info 0
		.amdhsa_system_vgpr_workitem_id 1
		.amdhsa_next_free_vgpr 54
		.amdhsa_next_free_sgpr 61
		.amdhsa_reserve_vcc 1
		.amdhsa_reserve_flat_scratch 0
		.amdhsa_float_round_mode_32 0
		.amdhsa_float_round_mode_16_64 0
		.amdhsa_float_denorm_mode_32 3
		.amdhsa_float_denorm_mode_16_64 3
		.amdhsa_dx10_clamp 1
		.amdhsa_ieee_mode 1
		.amdhsa_fp16_overflow 0
		.amdhsa_exception_fp_ieee_invalid_op 0
		.amdhsa_exception_fp_denorm_src 0
		.amdhsa_exception_fp_ieee_div_zero 0
		.amdhsa_exception_fp_ieee_overflow 0
		.amdhsa_exception_fp_ieee_underflow 0
		.amdhsa_exception_fp_ieee_inexact 0
		.amdhsa_exception_int_div_zero 0
	.end_amdhsa_kernel
	.section	.text._ZL37rocblas_syrkx_herkx_restricted_kernelIl19rocblas_complex_numIdELi16ELi32ELi8ELi1ELi0ELb1ELc78ELc85EKPKS1_KPS1_EviT_PT9_S7_lS9_S7_lPT10_S7_li,"axG",@progbits,_ZL37rocblas_syrkx_herkx_restricted_kernelIl19rocblas_complex_numIdELi16ELi32ELi8ELi1ELi0ELb1ELc78ELc85EKPKS1_KPS1_EviT_PT9_S7_lS9_S7_lPT10_S7_li,comdat
.Lfunc_end1790:
	.size	_ZL37rocblas_syrkx_herkx_restricted_kernelIl19rocblas_complex_numIdELi16ELi32ELi8ELi1ELi0ELb1ELc78ELc85EKPKS1_KPS1_EviT_PT9_S7_lS9_S7_lPT10_S7_li, .Lfunc_end1790-_ZL37rocblas_syrkx_herkx_restricted_kernelIl19rocblas_complex_numIdELi16ELi32ELi8ELi1ELi0ELb1ELc78ELc85EKPKS1_KPS1_EviT_PT9_S7_lS9_S7_lPT10_S7_li
                                        ; -- End function
	.set _ZL37rocblas_syrkx_herkx_restricted_kernelIl19rocblas_complex_numIdELi16ELi32ELi8ELi1ELi0ELb1ELc78ELc85EKPKS1_KPS1_EviT_PT9_S7_lS9_S7_lPT10_S7_li.num_vgpr, 54
	.set _ZL37rocblas_syrkx_herkx_restricted_kernelIl19rocblas_complex_numIdELi16ELi32ELi8ELi1ELi0ELb1ELc78ELc85EKPKS1_KPS1_EviT_PT9_S7_lS9_S7_lPT10_S7_li.num_agpr, 0
	.set _ZL37rocblas_syrkx_herkx_restricted_kernelIl19rocblas_complex_numIdELi16ELi32ELi8ELi1ELi0ELb1ELc78ELc85EKPKS1_KPS1_EviT_PT9_S7_lS9_S7_lPT10_S7_li.numbered_sgpr, 22
	.set _ZL37rocblas_syrkx_herkx_restricted_kernelIl19rocblas_complex_numIdELi16ELi32ELi8ELi1ELi0ELb1ELc78ELc85EKPKS1_KPS1_EviT_PT9_S7_lS9_S7_lPT10_S7_li.num_named_barrier, 0
	.set _ZL37rocblas_syrkx_herkx_restricted_kernelIl19rocblas_complex_numIdELi16ELi32ELi8ELi1ELi0ELb1ELc78ELc85EKPKS1_KPS1_EviT_PT9_S7_lS9_S7_lPT10_S7_li.private_seg_size, 0
	.set _ZL37rocblas_syrkx_herkx_restricted_kernelIl19rocblas_complex_numIdELi16ELi32ELi8ELi1ELi0ELb1ELc78ELc85EKPKS1_KPS1_EviT_PT9_S7_lS9_S7_lPT10_S7_li.uses_vcc, 1
	.set _ZL37rocblas_syrkx_herkx_restricted_kernelIl19rocblas_complex_numIdELi16ELi32ELi8ELi1ELi0ELb1ELc78ELc85EKPKS1_KPS1_EviT_PT9_S7_lS9_S7_lPT10_S7_li.uses_flat_scratch, 0
	.set _ZL37rocblas_syrkx_herkx_restricted_kernelIl19rocblas_complex_numIdELi16ELi32ELi8ELi1ELi0ELb1ELc78ELc85EKPKS1_KPS1_EviT_PT9_S7_lS9_S7_lPT10_S7_li.has_dyn_sized_stack, 0
	.set _ZL37rocblas_syrkx_herkx_restricted_kernelIl19rocblas_complex_numIdELi16ELi32ELi8ELi1ELi0ELb1ELc78ELc85EKPKS1_KPS1_EviT_PT9_S7_lS9_S7_lPT10_S7_li.has_recursion, 0
	.set _ZL37rocblas_syrkx_herkx_restricted_kernelIl19rocblas_complex_numIdELi16ELi32ELi8ELi1ELi0ELb1ELc78ELc85EKPKS1_KPS1_EviT_PT9_S7_lS9_S7_lPT10_S7_li.has_indirect_call, 0
	.section	.AMDGPU.csdata,"",@progbits
; Kernel info:
; codeLenInByte = 2888
; TotalNumSgprs: 26
; NumVgprs: 54
; ScratchSize: 0
; MemoryBound: 0
; FloatMode: 240
; IeeeMode: 1
; LDSByteSize: 8192 bytes/workgroup (compile time only)
; SGPRBlocks: 8
; VGPRBlocks: 13
; NumSGPRsForWavesPerEU: 65
; NumVGPRsForWavesPerEU: 54
; Occupancy: 4
; WaveLimiterHint : 1
; COMPUTE_PGM_RSRC2:SCRATCH_EN: 0
; COMPUTE_PGM_RSRC2:USER_SGPR: 6
; COMPUTE_PGM_RSRC2:TRAP_HANDLER: 0
; COMPUTE_PGM_RSRC2:TGID_X_EN: 1
; COMPUTE_PGM_RSRC2:TGID_Y_EN: 1
; COMPUTE_PGM_RSRC2:TGID_Z_EN: 1
; COMPUTE_PGM_RSRC2:TIDIG_COMP_CNT: 1
	.section	.text._ZL37rocblas_syrkx_herkx_restricted_kernelIl19rocblas_complex_numIdELi16ELi32ELi8ELin1ELi0ELb1ELc84ELc76EKPKS1_KPS1_EviT_PT9_S7_lS9_S7_lPT10_S7_li,"axG",@progbits,_ZL37rocblas_syrkx_herkx_restricted_kernelIl19rocblas_complex_numIdELi16ELi32ELi8ELin1ELi0ELb1ELc84ELc76EKPKS1_KPS1_EviT_PT9_S7_lS9_S7_lPT10_S7_li,comdat
	.globl	_ZL37rocblas_syrkx_herkx_restricted_kernelIl19rocblas_complex_numIdELi16ELi32ELi8ELin1ELi0ELb1ELc84ELc76EKPKS1_KPS1_EviT_PT9_S7_lS9_S7_lPT10_S7_li ; -- Begin function _ZL37rocblas_syrkx_herkx_restricted_kernelIl19rocblas_complex_numIdELi16ELi32ELi8ELin1ELi0ELb1ELc84ELc76EKPKS1_KPS1_EviT_PT9_S7_lS9_S7_lPT10_S7_li
	.p2align	8
	.type	_ZL37rocblas_syrkx_herkx_restricted_kernelIl19rocblas_complex_numIdELi16ELi32ELi8ELin1ELi0ELb1ELc84ELc76EKPKS1_KPS1_EviT_PT9_S7_lS9_S7_lPT10_S7_li,@function
_ZL37rocblas_syrkx_herkx_restricted_kernelIl19rocblas_complex_numIdELi16ELi32ELi8ELin1ELi0ELb1ELc84ELc76EKPKS1_KPS1_EviT_PT9_S7_lS9_S7_lPT10_S7_li: ; @_ZL37rocblas_syrkx_herkx_restricted_kernelIl19rocblas_complex_numIdELi16ELi32ELi8ELin1ELi0ELb1ELc84ELc76EKPKS1_KPS1_EviT_PT9_S7_lS9_S7_lPT10_S7_li
; %bb.0:
	s_load_dwordx4 s[12:15], s[4:5], 0x40
	s_load_dwordx4 s[0:3], s[4:5], 0x8
	s_mov_b32 s9, 0
	s_lshl_b64 s[10:11], s[8:9], 3
	s_waitcnt lgkmcnt(0)
	s_add_u32 s8, s12, s10
	s_addc_u32 s9, s13, s11
	s_load_dwordx2 s[8:9], s[8:9], 0x0
	v_cmp_lt_i64_e64 s[12:13], s[0:1], 1
	s_lshl_b32 s6, s6, 5
	s_lshl_b32 s7, s7, 5
	s_and_b64 vcc, exec, s[12:13]
	s_cbranch_vccnz .LBB1791_3
; %bb.1:
	s_load_dwordx2 s[12:13], s[4:5], 0x18
	s_load_dwordx4 s[16:19], s[4:5], 0x28
	v_lshl_add_u32 v4, v1, 4, v0
	v_lshrrev_b32_e32 v8, 3, v4
	v_add_u32_e32 v5, s7, v8
	v_ashrrev_i32_e32 v6, 31, v5
	v_and_b32_e32 v2, 7, v0
	v_mov_b32_e32 v3, 0
	s_waitcnt lgkmcnt(0)
	v_mul_lo_u32 v9, s18, v6
	v_mul_lo_u32 v10, s19, v5
	v_mad_u64_u32 v[6:7], s[18:19], s18, v5, v[2:3]
	s_add_u32 s2, s2, s10
	v_lshlrev_b32_e32 v2, 4, v2
	v_add3_u32 v7, v10, v7, v9
	v_and_b32_e32 v9, 31, v4
	s_addc_u32 s3, s3, s11
	v_lshl_or_b32 v2, v8, 7, v2
	v_add_u32_e32 v8, s6, v9
	s_add_u32 s10, s16, s10
	v_lshrrev_b32_e32 v4, 5, v4
	v_mov_b32_e32 v5, v3
	v_lshlrev_b32_e32 v3, 4, v9
	v_add_u32_e32 v23, 0x1000, v2
	v_ashrrev_i32_e32 v2, 31, v8
	s_addc_u32 s11, s17, s11
	v_lshl_or_b32 v22, v4, 9, v3
	v_mul_lo_u32 v9, s12, v2
	v_mad_u64_u32 v[2:3], s[16:17], s12, v8, v[4:5]
	v_mul_lo_u32 v4, s13, v8
	s_load_dwordx2 s[2:3], s[2:3], 0x0
	v_mov_b32_e32 v5, 0x1000
	s_load_dwordx2 s[10:11], s[10:11], 0x0
	v_add3_u32 v3, v4, v3, v9
	v_lshlrev_b64 v[2:3], 4, v[2:3]
	v_lshl_add_u32 v25, v1, 7, v5
	s_waitcnt lgkmcnt(0)
	v_mov_b32_e32 v5, s3
	v_add_co_u32_e32 v4, vcc, s2, v2
	v_addc_co_u32_e32 v5, vcc, v5, v3, vcc
	v_lshlrev_b64 v[2:3], 4, v[6:7]
	v_mov_b32_e32 v6, s11
	v_add_co_u32_e32 v12, vcc, s10, v2
	v_addc_co_u32_e32 v13, vcc, v6, v3, vcc
	v_mov_b32_e32 v16, 0
	v_mov_b32_e32 v6, 0
	;; [unrolled: 1-line block ×8, first 2 shown]
	v_lshlrev_b32_e32 v24, 4, v0
	v_mov_b32_e32 v17, 0
	v_mov_b32_e32 v7, 0
	;; [unrolled: 1-line block ×8, first 2 shown]
	s_mov_b64 s[2:3], 0
.LBB1791_2:                             ; =>This Inner Loop Header: Depth=1
	flat_load_dwordx4 v[26:29], v[4:5]
	s_add_u32 s2, s2, 8
	v_add_co_u32_e32 v4, vcc, 0x80, v4
	s_addc_u32 s3, s3, 0
	v_addc_co_u32_e32 v5, vcc, 0, v5, vcc
	s_waitcnt vmcnt(0) lgkmcnt(0)
	ds_write_b128 v22, v[26:29]
	flat_load_dwordx4 v[26:29], v[12:13]
	v_add_co_u32_e32 v12, vcc, 0x80, v12
	v_addc_co_u32_e32 v13, vcc, 0, v13, vcc
	s_waitcnt vmcnt(0) lgkmcnt(0)
	ds_write_b128 v23, v[26:29]
	s_waitcnt lgkmcnt(0)
	s_barrier
	ds_read_b128 v[26:29], v25
	ds_read_b128 v[30:33], v25 offset:16
	ds_read_b128 v[34:37], v25 offset:32
	;; [unrolled: 1-line block ×3, first 2 shown]
	ds_read_b128 v[42:45], v24
	s_waitcnt lgkmcnt(0)
	v_mul_f64 v[46:47], v[28:29], v[44:45]
	v_mul_f64 v[48:49], v[26:27], v[44:45]
	v_fma_f64 v[46:47], v[26:27], v[42:43], -v[46:47]
	v_fma_f64 v[48:49], v[28:29], v[42:43], v[48:49]
	v_add_f64 v[10:11], v[10:11], v[46:47]
	v_add_f64 v[20:21], v[48:49], v[20:21]
	ds_read_b128 v[46:49], v24 offset:256
	s_waitcnt lgkmcnt(0)
	v_mul_f64 v[50:51], v[28:29], v[48:49]
	v_fma_f64 v[50:51], v[26:27], v[46:47], -v[50:51]
	v_mul_f64 v[26:27], v[26:27], v[48:49]
	v_add_f64 v[2:3], v[2:3], v[50:51]
	v_fma_f64 v[26:27], v[28:29], v[46:47], v[26:27]
	v_add_f64 v[50:51], v[26:27], v[14:15]
	ds_read_b128 v[26:29], v25 offset:2048
	s_waitcnt lgkmcnt(0)
	v_mul_f64 v[14:15], v[28:29], v[44:45]
	v_mul_f64 v[44:45], v[26:27], v[44:45]
	v_fma_f64 v[14:15], v[26:27], v[42:43], -v[14:15]
	v_fma_f64 v[42:43], v[28:29], v[42:43], v[44:45]
	v_add_f64 v[44:45], v[8:9], v[14:15]
	v_mul_f64 v[8:9], v[28:29], v[48:49]
	v_mul_f64 v[14:15], v[26:27], v[48:49]
	v_add_f64 v[42:43], v[42:43], v[18:19]
	v_fma_f64 v[8:9], v[26:27], v[46:47], -v[8:9]
	v_fma_f64 v[14:15], v[28:29], v[46:47], v[14:15]
	v_add_f64 v[26:27], v[6:7], v[8:9]
	ds_read_b128 v[6:9], v24 offset:512
	v_add_f64 v[28:29], v[14:15], v[16:17]
	s_waitcnt lgkmcnt(0)
	v_mul_f64 v[14:15], v[32:33], v[8:9]
	v_mul_f64 v[16:17], v[30:31], v[8:9]
	v_fma_f64 v[14:15], v[30:31], v[6:7], -v[14:15]
	v_fma_f64 v[16:17], v[32:33], v[6:7], v[16:17]
	v_add_f64 v[10:11], v[10:11], v[14:15]
	v_add_f64 v[46:47], v[16:17], v[20:21]
	ds_read_b128 v[14:17], v24 offset:768
	s_waitcnt lgkmcnt(0)
	v_mul_f64 v[18:19], v[32:33], v[16:17]
	v_mul_f64 v[20:21], v[30:31], v[16:17]
	v_fma_f64 v[18:19], v[30:31], v[14:15], -v[18:19]
	v_fma_f64 v[20:21], v[32:33], v[14:15], v[20:21]
	v_add_f64 v[2:3], v[2:3], v[18:19]
	v_add_f64 v[30:31], v[20:21], v[50:51]
	ds_read_b128 v[18:21], v25 offset:2064
	s_waitcnt lgkmcnt(0)
	v_mul_f64 v[32:33], v[20:21], v[8:9]
	v_mul_f64 v[8:9], v[18:19], v[8:9]
	v_fma_f64 v[32:33], v[18:19], v[6:7], -v[32:33]
	v_fma_f64 v[6:7], v[20:21], v[6:7], v[8:9]
	v_mul_f64 v[8:9], v[18:19], v[16:17]
	v_add_f64 v[32:33], v[44:45], v[32:33]
	v_add_f64 v[42:43], v[6:7], v[42:43]
	v_mul_f64 v[6:7], v[20:21], v[16:17]
	v_fma_f64 v[8:9], v[20:21], v[14:15], v[8:9]
	v_fma_f64 v[6:7], v[18:19], v[14:15], -v[6:7]
	v_add_f64 v[28:29], v[8:9], v[28:29]
	v_add_f64 v[26:27], v[26:27], v[6:7]
	ds_read_b128 v[6:9], v24 offset:1024
	s_waitcnt lgkmcnt(0)
	v_mul_f64 v[14:15], v[36:37], v[8:9]
	v_mul_f64 v[16:17], v[34:35], v[8:9]
	v_fma_f64 v[14:15], v[34:35], v[6:7], -v[14:15]
	v_fma_f64 v[16:17], v[36:37], v[6:7], v[16:17]
	v_add_f64 v[10:11], v[10:11], v[14:15]
	v_add_f64 v[44:45], v[16:17], v[46:47]
	ds_read_b128 v[14:17], v24 offset:1280
	s_waitcnt lgkmcnt(0)
	v_mul_f64 v[18:19], v[36:37], v[16:17]
	v_mul_f64 v[20:21], v[34:35], v[16:17]
	v_fma_f64 v[18:19], v[34:35], v[14:15], -v[18:19]
	v_fma_f64 v[20:21], v[36:37], v[14:15], v[20:21]
	v_add_f64 v[2:3], v[2:3], v[18:19]
	v_add_f64 v[30:31], v[20:21], v[30:31]
	ds_read_b128 v[18:21], v25 offset:2080
	s_waitcnt lgkmcnt(0)
	v_mul_f64 v[34:35], v[20:21], v[8:9]
	v_mul_f64 v[8:9], v[18:19], v[8:9]
	v_fma_f64 v[34:35], v[18:19], v[6:7], -v[34:35]
	v_fma_f64 v[6:7], v[20:21], v[6:7], v[8:9]
	v_mul_f64 v[8:9], v[18:19], v[16:17]
	v_add_f64 v[32:33], v[32:33], v[34:35]
	v_add_f64 v[34:35], v[6:7], v[42:43]
	v_mul_f64 v[6:7], v[20:21], v[16:17]
	v_fma_f64 v[8:9], v[20:21], v[14:15], v[8:9]
	v_fma_f64 v[6:7], v[18:19], v[14:15], -v[6:7]
	v_add_f64 v[28:29], v[8:9], v[28:29]
	v_add_f64 v[26:27], v[26:27], v[6:7]
	ds_read_b128 v[6:9], v24 offset:1536
	;; [unrolled: 30-line block ×3, first 2 shown]
	ds_read_b128 v[14:17], v24 offset:2048
	s_waitcnt lgkmcnt(0)
	v_mul_f64 v[18:19], v[8:9], v[16:17]
	v_mul_f64 v[20:21], v[6:7], v[16:17]
	v_fma_f64 v[18:19], v[6:7], v[14:15], -v[18:19]
	v_fma_f64 v[20:21], v[8:9], v[14:15], v[20:21]
	v_add_f64 v[10:11], v[10:11], v[18:19]
	v_add_f64 v[36:37], v[20:21], v[36:37]
	ds_read_b128 v[18:21], v24 offset:2304
	s_waitcnt lgkmcnt(0)
	v_mul_f64 v[38:39], v[8:9], v[20:21]
	v_fma_f64 v[38:39], v[6:7], v[18:19], -v[38:39]
	v_mul_f64 v[6:7], v[6:7], v[20:21]
	v_add_f64 v[2:3], v[2:3], v[38:39]
	v_fma_f64 v[6:7], v[8:9], v[18:19], v[6:7]
	v_add_f64 v[30:31], v[6:7], v[30:31]
	ds_read_b128 v[6:9], v25 offset:2112
	s_waitcnt lgkmcnt(0)
	v_mul_f64 v[38:39], v[8:9], v[16:17]
	v_mul_f64 v[16:17], v[6:7], v[16:17]
	v_fma_f64 v[38:39], v[6:7], v[14:15], -v[38:39]
	v_fma_f64 v[14:15], v[8:9], v[14:15], v[16:17]
	v_add_f64 v[32:33], v[32:33], v[38:39]
	v_add_f64 v[34:35], v[14:15], v[34:35]
	v_mul_f64 v[14:15], v[8:9], v[20:21]
	v_fma_f64 v[14:15], v[6:7], v[18:19], -v[14:15]
	v_mul_f64 v[6:7], v[6:7], v[20:21]
	v_add_f64 v[26:27], v[26:27], v[14:15]
	v_fma_f64 v[6:7], v[8:9], v[18:19], v[6:7]
	v_add_f64 v[28:29], v[6:7], v[28:29]
	ds_read_b128 v[6:9], v25 offset:80
	ds_read_b128 v[14:17], v24 offset:2560
	s_waitcnt lgkmcnt(0)
	v_mul_f64 v[18:19], v[8:9], v[16:17]
	v_mul_f64 v[20:21], v[6:7], v[16:17]
	v_fma_f64 v[18:19], v[6:7], v[14:15], -v[18:19]
	v_fma_f64 v[20:21], v[8:9], v[14:15], v[20:21]
	v_add_f64 v[10:11], v[10:11], v[18:19]
	v_add_f64 v[36:37], v[20:21], v[36:37]
	ds_read_b128 v[18:21], v24 offset:2816
	s_waitcnt lgkmcnt(0)
	v_mul_f64 v[38:39], v[8:9], v[20:21]
	v_fma_f64 v[38:39], v[6:7], v[18:19], -v[38:39]
	v_mul_f64 v[6:7], v[6:7], v[20:21]
	v_add_f64 v[2:3], v[2:3], v[38:39]
	v_fma_f64 v[6:7], v[8:9], v[18:19], v[6:7]
	v_add_f64 v[30:31], v[6:7], v[30:31]
	ds_read_b128 v[6:9], v25 offset:2128
	s_waitcnt lgkmcnt(0)
	v_mul_f64 v[38:39], v[8:9], v[16:17]
	v_mul_f64 v[16:17], v[6:7], v[16:17]
	v_fma_f64 v[38:39], v[6:7], v[14:15], -v[38:39]
	v_fma_f64 v[14:15], v[8:9], v[14:15], v[16:17]
	v_add_f64 v[32:33], v[32:33], v[38:39]
	v_add_f64 v[34:35], v[14:15], v[34:35]
	v_mul_f64 v[14:15], v[8:9], v[20:21]
	v_fma_f64 v[14:15], v[6:7], v[18:19], -v[14:15]
	v_mul_f64 v[6:7], v[6:7], v[20:21]
	v_add_f64 v[26:27], v[26:27], v[14:15]
	v_fma_f64 v[6:7], v[8:9], v[18:19], v[6:7]
	v_add_f64 v[28:29], v[6:7], v[28:29]
	ds_read_b128 v[6:9], v25 offset:96
	ds_read_b128 v[14:17], v24 offset:3072
	s_waitcnt lgkmcnt(0)
	v_mul_f64 v[18:19], v[8:9], v[16:17]
	v_mul_f64 v[20:21], v[6:7], v[16:17]
	v_fma_f64 v[18:19], v[6:7], v[14:15], -v[18:19]
	v_fma_f64 v[20:21], v[8:9], v[14:15], v[20:21]
	v_add_f64 v[10:11], v[10:11], v[18:19]
	v_add_f64 v[36:37], v[20:21], v[36:37]
	ds_read_b128 v[18:21], v24 offset:3328
	s_waitcnt lgkmcnt(0)
	v_mul_f64 v[38:39], v[8:9], v[20:21]
	v_fma_f64 v[38:39], v[6:7], v[18:19], -v[38:39]
	v_mul_f64 v[6:7], v[6:7], v[20:21]
	v_add_f64 v[2:3], v[2:3], v[38:39]
	v_fma_f64 v[6:7], v[8:9], v[18:19], v[6:7]
	v_add_f64 v[30:31], v[6:7], v[30:31]
	ds_read_b128 v[6:9], v25 offset:2144
	s_waitcnt lgkmcnt(0)
	v_mul_f64 v[38:39], v[8:9], v[16:17]
	v_mul_f64 v[16:17], v[6:7], v[16:17]
	v_fma_f64 v[38:39], v[6:7], v[14:15], -v[38:39]
	v_fma_f64 v[14:15], v[8:9], v[14:15], v[16:17]
	v_add_f64 v[38:39], v[32:33], v[38:39]
	v_add_f64 v[34:35], v[14:15], v[34:35]
	v_mul_f64 v[14:15], v[8:9], v[20:21]
	v_fma_f64 v[14:15], v[6:7], v[18:19], -v[14:15]
	v_mul_f64 v[6:7], v[6:7], v[20:21]
	v_add_f64 v[40:41], v[26:27], v[14:15]
	v_fma_f64 v[6:7], v[8:9], v[18:19], v[6:7]
	v_add_f64 v[42:43], v[6:7], v[28:29]
	ds_read_b128 v[6:9], v25 offset:112
	ds_read_b128 v[16:19], v24 offset:3584
	ds_read_b128 v[26:29], v24 offset:3840
	s_waitcnt lgkmcnt(1)
	v_mul_f64 v[14:15], v[8:9], v[18:19]
	v_mul_f64 v[20:21], v[6:7], v[18:19]
	v_fma_f64 v[14:15], v[6:7], v[16:17], -v[14:15]
	v_fma_f64 v[20:21], v[8:9], v[16:17], v[20:21]
	v_add_f64 v[10:11], v[10:11], v[14:15]
	s_waitcnt lgkmcnt(0)
	v_mul_f64 v[14:15], v[8:9], v[28:29]
	v_add_f64 v[20:21], v[20:21], v[36:37]
	v_fma_f64 v[14:15], v[6:7], v[26:27], -v[14:15]
	v_mul_f64 v[6:7], v[6:7], v[28:29]
	v_add_f64 v[2:3], v[2:3], v[14:15]
	v_fma_f64 v[6:7], v[8:9], v[26:27], v[6:7]
	v_add_f64 v[14:15], v[6:7], v[30:31]
	ds_read_b128 v[30:33], v25 offset:2160
	s_waitcnt lgkmcnt(0)
	s_barrier
	v_mul_f64 v[6:7], v[32:33], v[18:19]
	v_mul_f64 v[8:9], v[30:31], v[18:19]
	v_fma_f64 v[6:7], v[30:31], v[16:17], -v[6:7]
	v_fma_f64 v[16:17], v[32:33], v[16:17], v[8:9]
	v_add_f64 v[8:9], v[38:39], v[6:7]
	v_add_f64 v[18:19], v[16:17], v[34:35]
	v_mul_f64 v[6:7], v[32:33], v[28:29]
	v_mul_f64 v[16:17], v[30:31], v[28:29]
	v_fma_f64 v[6:7], v[30:31], v[26:27], -v[6:7]
	v_fma_f64 v[16:17], v[32:33], v[26:27], v[16:17]
	v_mov_b32_e32 v27, s3
	v_mov_b32_e32 v26, s2
	v_cmp_le_u64_e32 vcc, s[0:1], v[26:27]
	v_add_f64 v[6:7], v[40:41], v[6:7]
	v_add_f64 v[16:17], v[16:17], v[42:43]
	s_cbranch_vccz .LBB1791_2
	s_branch .LBB1791_4
.LBB1791_3:
	v_mov_b32_e32 v10, 0
	v_mov_b32_e32 v20, 0
	;; [unrolled: 1-line block ×16, first 2 shown]
.LBB1791_4:
	v_add_u32_e32 v22, s7, v1
	v_ashrrev_i32_e32 v1, 31, v22
	v_mul_lo_u32 v1, s14, v1
	v_mul_lo_u32 v12, s15, v22
	v_mad_u64_u32 v[4:5], s[0:1], s14, v22, 0
	s_load_dword s4, s[4:5], 0x0
	v_add_u32_e32 v0, s6, v0
	v_add3_u32 v5, v5, v1, v12
	v_lshlrev_b64 v[4:5], 4, v[4:5]
	s_waitcnt lgkmcnt(0)
	v_mov_b32_e32 v1, s9
	v_add_co_u32_e32 v4, vcc, s8, v4
	v_addc_co_u32_e32 v5, vcc, v1, v5, vcc
	v_cmp_le_i32_e64 s[0:1], v22, v0
	v_cmp_gt_i32_e32 vcc, s4, v0
	s_and_b64 s[0:1], s[0:1], vcc
	s_and_saveexec_b64 s[2:3], s[0:1]
	s_cbranch_execz .LBB1791_6
; %bb.5:
	v_ashrrev_i32_e32 v1, 31, v0
	v_lshlrev_b64 v[12:13], 4, v[0:1]
	v_xor_b32_e32 v11, 0x80000000, v11
	v_add_co_u32_e64 v23, s[0:1], v4, v12
	v_addc_co_u32_e64 v24, s[0:1], v5, v13, s[0:1]
	v_cmp_ne_u32_e64 s[0:1], v22, v0
	v_cndmask_b32_e64 v13, 0, -v21, s[0:1]
	v_cndmask_b32_e64 v12, 0, v20, s[0:1]
	flat_store_dwordx4 v[23:24], v[10:13]
.LBB1791_6:
	s_or_b64 exec, exec, s[2:3]
	v_add_u32_e32 v12, 16, v0
	v_cmp_le_i32_e64 s[2:3], v22, v12
	v_cmp_gt_i32_e64 s[0:1], s4, v12
	s_and_b64 s[2:3], s[2:3], s[0:1]
	s_and_saveexec_b64 s[4:5], s[2:3]
	s_cbranch_execz .LBB1791_8
; %bb.7:
	v_ashrrev_i32_e32 v13, 31, v12
	v_lshlrev_b64 v[10:11], 4, v[12:13]
	v_xor_b32_e32 v3, 0x80000000, v3
	v_add_co_u32_e64 v10, s[2:3], v4, v10
	v_addc_co_u32_e64 v11, s[2:3], v5, v11, s[2:3]
	v_cmp_ne_u32_e64 s[2:3], v22, v12
	v_cndmask_b32_e64 v5, 0, -v15, s[2:3]
	v_cndmask_b32_e64 v4, 0, v14, s[2:3]
	flat_store_dwordx4 v[10:11], v[2:5]
.LBB1791_8:
	s_or_b64 exec, exec, s[4:5]
	v_add_u32_e32 v4, 16, v22
	v_ashrrev_i32_e32 v3, 31, v4
	v_mul_lo_u32 v5, s15, v4
	v_mad_u64_u32 v[1:2], s[2:3], s14, v4, 0
	v_mul_lo_u32 v3, s14, v3
	v_add3_u32 v2, v2, v3, v5
	v_lshlrev_b64 v[2:3], 4, v[1:2]
	v_mov_b32_e32 v1, s9
	v_add_co_u32_e64 v2, s[2:3], s8, v2
	v_addc_co_u32_e64 v3, s[2:3], v1, v3, s[2:3]
	v_cmp_le_i32_e64 s[2:3], v4, v0
	s_and_b64 s[4:5], s[2:3], vcc
	s_and_saveexec_b64 s[2:3], s[4:5]
	s_cbranch_execz .LBB1791_10
; %bb.9:
	v_ashrrev_i32_e32 v1, 31, v0
	v_lshlrev_b64 v[10:11], 4, v[0:1]
	v_xor_b32_e32 v9, 0x80000000, v9
	v_add_co_u32_e32 v13, vcc, v2, v10
	v_addc_co_u32_e32 v14, vcc, v3, v11, vcc
	v_cmp_ne_u32_e32 vcc, v4, v0
	v_cndmask_b32_e64 v11, 0, -v19, vcc
	v_cndmask_b32_e32 v10, 0, v18, vcc
	flat_store_dwordx4 v[13:14], v[8:11]
.LBB1791_10:
	s_or_b64 exec, exec, s[2:3]
	v_cmp_le_i32_e32 vcc, v4, v12
	s_and_b64 s[0:1], vcc, s[0:1]
	s_and_saveexec_b64 s[2:3], s[0:1]
	s_cbranch_execz .LBB1791_12
; %bb.11:
	v_ashrrev_i32_e32 v13, 31, v12
	v_lshlrev_b64 v[4:5], 4, v[12:13]
	v_xor_b32_e32 v7, 0x80000000, v7
	v_add_co_u32_e32 v1, vcc, v2, v4
	v_addc_co_u32_e32 v2, vcc, v3, v5, vcc
	v_cmp_ne_u32_e32 vcc, v22, v0
	v_cndmask_b32_e64 v9, 0, -v17, vcc
	v_cndmask_b32_e32 v8, 0, v16, vcc
	flat_store_dwordx4 v[1:2], v[6:9]
.LBB1791_12:
	s_endpgm
	.section	.rodata,"a",@progbits
	.p2align	6, 0x0
	.amdhsa_kernel _ZL37rocblas_syrkx_herkx_restricted_kernelIl19rocblas_complex_numIdELi16ELi32ELi8ELin1ELi0ELb1ELc84ELc76EKPKS1_KPS1_EviT_PT9_S7_lS9_S7_lPT10_S7_li
		.amdhsa_group_segment_fixed_size 8192
		.amdhsa_private_segment_fixed_size 0
		.amdhsa_kernarg_size 92
		.amdhsa_user_sgpr_count 6
		.amdhsa_user_sgpr_private_segment_buffer 1
		.amdhsa_user_sgpr_dispatch_ptr 0
		.amdhsa_user_sgpr_queue_ptr 0
		.amdhsa_user_sgpr_kernarg_segment_ptr 1
		.amdhsa_user_sgpr_dispatch_id 0
		.amdhsa_user_sgpr_flat_scratch_init 0
		.amdhsa_user_sgpr_private_segment_size 0
		.amdhsa_uses_dynamic_stack 0
		.amdhsa_system_sgpr_private_segment_wavefront_offset 0
		.amdhsa_system_sgpr_workgroup_id_x 1
		.amdhsa_system_sgpr_workgroup_id_y 1
		.amdhsa_system_sgpr_workgroup_id_z 1
		.amdhsa_system_sgpr_workgroup_info 0
		.amdhsa_system_vgpr_workitem_id 1
		.amdhsa_next_free_vgpr 52
		.amdhsa_next_free_sgpr 61
		.amdhsa_reserve_vcc 1
		.amdhsa_reserve_flat_scratch 0
		.amdhsa_float_round_mode_32 0
		.amdhsa_float_round_mode_16_64 0
		.amdhsa_float_denorm_mode_32 3
		.amdhsa_float_denorm_mode_16_64 3
		.amdhsa_dx10_clamp 1
		.amdhsa_ieee_mode 1
		.amdhsa_fp16_overflow 0
		.amdhsa_exception_fp_ieee_invalid_op 0
		.amdhsa_exception_fp_denorm_src 0
		.amdhsa_exception_fp_ieee_div_zero 0
		.amdhsa_exception_fp_ieee_overflow 0
		.amdhsa_exception_fp_ieee_underflow 0
		.amdhsa_exception_fp_ieee_inexact 0
		.amdhsa_exception_int_div_zero 0
	.end_amdhsa_kernel
	.section	.text._ZL37rocblas_syrkx_herkx_restricted_kernelIl19rocblas_complex_numIdELi16ELi32ELi8ELin1ELi0ELb1ELc84ELc76EKPKS1_KPS1_EviT_PT9_S7_lS9_S7_lPT10_S7_li,"axG",@progbits,_ZL37rocblas_syrkx_herkx_restricted_kernelIl19rocblas_complex_numIdELi16ELi32ELi8ELin1ELi0ELb1ELc84ELc76EKPKS1_KPS1_EviT_PT9_S7_lS9_S7_lPT10_S7_li,comdat
.Lfunc_end1791:
	.size	_ZL37rocblas_syrkx_herkx_restricted_kernelIl19rocblas_complex_numIdELi16ELi32ELi8ELin1ELi0ELb1ELc84ELc76EKPKS1_KPS1_EviT_PT9_S7_lS9_S7_lPT10_S7_li, .Lfunc_end1791-_ZL37rocblas_syrkx_herkx_restricted_kernelIl19rocblas_complex_numIdELi16ELi32ELi8ELin1ELi0ELb1ELc84ELc76EKPKS1_KPS1_EviT_PT9_S7_lS9_S7_lPT10_S7_li
                                        ; -- End function
	.set _ZL37rocblas_syrkx_herkx_restricted_kernelIl19rocblas_complex_numIdELi16ELi32ELi8ELin1ELi0ELb1ELc84ELc76EKPKS1_KPS1_EviT_PT9_S7_lS9_S7_lPT10_S7_li.num_vgpr, 52
	.set _ZL37rocblas_syrkx_herkx_restricted_kernelIl19rocblas_complex_numIdELi16ELi32ELi8ELin1ELi0ELb1ELc84ELc76EKPKS1_KPS1_EviT_PT9_S7_lS9_S7_lPT10_S7_li.num_agpr, 0
	.set _ZL37rocblas_syrkx_herkx_restricted_kernelIl19rocblas_complex_numIdELi16ELi32ELi8ELin1ELi0ELb1ELc84ELc76EKPKS1_KPS1_EviT_PT9_S7_lS9_S7_lPT10_S7_li.numbered_sgpr, 20
	.set _ZL37rocblas_syrkx_herkx_restricted_kernelIl19rocblas_complex_numIdELi16ELi32ELi8ELin1ELi0ELb1ELc84ELc76EKPKS1_KPS1_EviT_PT9_S7_lS9_S7_lPT10_S7_li.num_named_barrier, 0
	.set _ZL37rocblas_syrkx_herkx_restricted_kernelIl19rocblas_complex_numIdELi16ELi32ELi8ELin1ELi0ELb1ELc84ELc76EKPKS1_KPS1_EviT_PT9_S7_lS9_S7_lPT10_S7_li.private_seg_size, 0
	.set _ZL37rocblas_syrkx_herkx_restricted_kernelIl19rocblas_complex_numIdELi16ELi32ELi8ELin1ELi0ELb1ELc84ELc76EKPKS1_KPS1_EviT_PT9_S7_lS9_S7_lPT10_S7_li.uses_vcc, 1
	.set _ZL37rocblas_syrkx_herkx_restricted_kernelIl19rocblas_complex_numIdELi16ELi32ELi8ELin1ELi0ELb1ELc84ELc76EKPKS1_KPS1_EviT_PT9_S7_lS9_S7_lPT10_S7_li.uses_flat_scratch, 0
	.set _ZL37rocblas_syrkx_herkx_restricted_kernelIl19rocblas_complex_numIdELi16ELi32ELi8ELin1ELi0ELb1ELc84ELc76EKPKS1_KPS1_EviT_PT9_S7_lS9_S7_lPT10_S7_li.has_dyn_sized_stack, 0
	.set _ZL37rocblas_syrkx_herkx_restricted_kernelIl19rocblas_complex_numIdELi16ELi32ELi8ELin1ELi0ELb1ELc84ELc76EKPKS1_KPS1_EviT_PT9_S7_lS9_S7_lPT10_S7_li.has_recursion, 0
	.set _ZL37rocblas_syrkx_herkx_restricted_kernelIl19rocblas_complex_numIdELi16ELi32ELi8ELin1ELi0ELb1ELc84ELc76EKPKS1_KPS1_EviT_PT9_S7_lS9_S7_lPT10_S7_li.has_indirect_call, 0
	.section	.AMDGPU.csdata,"",@progbits
; Kernel info:
; codeLenInByte = 2944
; TotalNumSgprs: 24
; NumVgprs: 52
; ScratchSize: 0
; MemoryBound: 0
; FloatMode: 240
; IeeeMode: 1
; LDSByteSize: 8192 bytes/workgroup (compile time only)
; SGPRBlocks: 8
; VGPRBlocks: 12
; NumSGPRsForWavesPerEU: 65
; NumVGPRsForWavesPerEU: 52
; Occupancy: 4
; WaveLimiterHint : 1
; COMPUTE_PGM_RSRC2:SCRATCH_EN: 0
; COMPUTE_PGM_RSRC2:USER_SGPR: 6
; COMPUTE_PGM_RSRC2:TRAP_HANDLER: 0
; COMPUTE_PGM_RSRC2:TGID_X_EN: 1
; COMPUTE_PGM_RSRC2:TGID_Y_EN: 1
; COMPUTE_PGM_RSRC2:TGID_Z_EN: 1
; COMPUTE_PGM_RSRC2:TIDIG_COMP_CNT: 1
	.section	.text._ZL37rocblas_syrkx_herkx_restricted_kernelIl19rocblas_complex_numIdELi16ELi32ELi8ELin1ELi0ELb1ELc67ELc76EKPKS1_KPS1_EviT_PT9_S7_lS9_S7_lPT10_S7_li,"axG",@progbits,_ZL37rocblas_syrkx_herkx_restricted_kernelIl19rocblas_complex_numIdELi16ELi32ELi8ELin1ELi0ELb1ELc67ELc76EKPKS1_KPS1_EviT_PT9_S7_lS9_S7_lPT10_S7_li,comdat
	.globl	_ZL37rocblas_syrkx_herkx_restricted_kernelIl19rocblas_complex_numIdELi16ELi32ELi8ELin1ELi0ELb1ELc67ELc76EKPKS1_KPS1_EviT_PT9_S7_lS9_S7_lPT10_S7_li ; -- Begin function _ZL37rocblas_syrkx_herkx_restricted_kernelIl19rocblas_complex_numIdELi16ELi32ELi8ELin1ELi0ELb1ELc67ELc76EKPKS1_KPS1_EviT_PT9_S7_lS9_S7_lPT10_S7_li
	.p2align	8
	.type	_ZL37rocblas_syrkx_herkx_restricted_kernelIl19rocblas_complex_numIdELi16ELi32ELi8ELin1ELi0ELb1ELc67ELc76EKPKS1_KPS1_EviT_PT9_S7_lS9_S7_lPT10_S7_li,@function
_ZL37rocblas_syrkx_herkx_restricted_kernelIl19rocblas_complex_numIdELi16ELi32ELi8ELin1ELi0ELb1ELc67ELc76EKPKS1_KPS1_EviT_PT9_S7_lS9_S7_lPT10_S7_li: ; @_ZL37rocblas_syrkx_herkx_restricted_kernelIl19rocblas_complex_numIdELi16ELi32ELi8ELin1ELi0ELb1ELc67ELc76EKPKS1_KPS1_EviT_PT9_S7_lS9_S7_lPT10_S7_li
; %bb.0:
	s_load_dwordx4 s[12:15], s[4:5], 0x40
	s_load_dwordx4 s[0:3], s[4:5], 0x8
	s_mov_b32 s9, 0
	s_lshl_b64 s[10:11], s[8:9], 3
	s_waitcnt lgkmcnt(0)
	s_add_u32 s8, s12, s10
	s_addc_u32 s9, s13, s11
	s_load_dwordx2 s[8:9], s[8:9], 0x0
	v_cmp_lt_i64_e64 s[12:13], s[0:1], 1
	s_lshl_b32 s6, s6, 5
	s_lshl_b32 s7, s7, 5
	s_and_b64 vcc, exec, s[12:13]
	s_cbranch_vccnz .LBB1792_3
; %bb.1:
	s_load_dwordx2 s[12:13], s[4:5], 0x18
	s_load_dwordx4 s[16:19], s[4:5], 0x28
	v_lshl_add_u32 v4, v1, 4, v0
	v_lshrrev_b32_e32 v8, 3, v4
	v_add_u32_e32 v5, s7, v8
	v_ashrrev_i32_e32 v6, 31, v5
	v_and_b32_e32 v2, 7, v0
	v_mov_b32_e32 v3, 0
	s_waitcnt lgkmcnt(0)
	v_mul_lo_u32 v9, s18, v6
	v_mul_lo_u32 v10, s19, v5
	v_mad_u64_u32 v[6:7], s[18:19], s18, v5, v[2:3]
	s_add_u32 s2, s2, s10
	v_lshlrev_b32_e32 v2, 4, v2
	v_add3_u32 v7, v10, v7, v9
	v_and_b32_e32 v9, 31, v4
	s_addc_u32 s3, s3, s11
	v_lshl_or_b32 v2, v8, 7, v2
	v_add_u32_e32 v8, s6, v9
	s_add_u32 s10, s16, s10
	v_lshrrev_b32_e32 v4, 5, v4
	v_mov_b32_e32 v5, v3
	v_lshlrev_b32_e32 v3, 4, v9
	v_add_u32_e32 v23, 0x1000, v2
	v_ashrrev_i32_e32 v2, 31, v8
	s_addc_u32 s11, s17, s11
	v_lshl_or_b32 v22, v4, 9, v3
	v_mul_lo_u32 v9, s12, v2
	v_mad_u64_u32 v[2:3], s[16:17], s12, v8, v[4:5]
	v_mul_lo_u32 v4, s13, v8
	s_load_dwordx2 s[2:3], s[2:3], 0x0
	v_mov_b32_e32 v5, 0x1000
	s_load_dwordx2 s[10:11], s[10:11], 0x0
	v_add3_u32 v3, v4, v3, v9
	v_lshlrev_b64 v[2:3], 4, v[2:3]
	v_lshl_add_u32 v25, v1, 7, v5
	s_waitcnt lgkmcnt(0)
	v_mov_b32_e32 v5, s3
	v_add_co_u32_e32 v4, vcc, s2, v2
	v_addc_co_u32_e32 v5, vcc, v5, v3, vcc
	v_lshlrev_b64 v[2:3], 4, v[6:7]
	v_mov_b32_e32 v6, s11
	v_add_co_u32_e32 v12, vcc, s10, v2
	v_addc_co_u32_e32 v13, vcc, v6, v3, vcc
	v_mov_b32_e32 v16, 0
	v_mov_b32_e32 v6, 0
	;; [unrolled: 1-line block ×8, first 2 shown]
	v_lshlrev_b32_e32 v24, 4, v0
	v_mov_b32_e32 v17, 0
	v_mov_b32_e32 v7, 0
	;; [unrolled: 1-line block ×8, first 2 shown]
	s_mov_b64 s[2:3], 0
.LBB1792_2:                             ; =>This Inner Loop Header: Depth=1
	flat_load_dwordx4 v[26:29], v[4:5]
	s_add_u32 s2, s2, 8
	v_add_co_u32_e32 v4, vcc, 0x80, v4
	s_addc_u32 s3, s3, 0
	v_addc_co_u32_e32 v5, vcc, 0, v5, vcc
	s_waitcnt vmcnt(0) lgkmcnt(0)
	v_xor_b32_e32 v29, 0x80000000, v29
	ds_write_b128 v22, v[26:29]
	flat_load_dwordx4 v[26:29], v[12:13]
	v_add_co_u32_e32 v12, vcc, 0x80, v12
	v_addc_co_u32_e32 v13, vcc, 0, v13, vcc
	s_waitcnt vmcnt(0) lgkmcnt(0)
	ds_write_b128 v23, v[26:29]
	s_waitcnt lgkmcnt(0)
	s_barrier
	ds_read_b128 v[26:29], v25
	ds_read_b128 v[30:33], v25 offset:16
	ds_read_b128 v[34:37], v25 offset:32
	;; [unrolled: 1-line block ×3, first 2 shown]
	ds_read_b128 v[42:45], v24
	s_waitcnt lgkmcnt(0)
	v_mul_f64 v[46:47], v[28:29], v[44:45]
	v_mul_f64 v[48:49], v[26:27], v[44:45]
	v_fma_f64 v[46:47], v[26:27], v[42:43], -v[46:47]
	v_fma_f64 v[48:49], v[28:29], v[42:43], v[48:49]
	v_add_f64 v[10:11], v[10:11], v[46:47]
	v_add_f64 v[20:21], v[48:49], v[20:21]
	ds_read_b128 v[46:49], v24 offset:256
	s_waitcnt lgkmcnt(0)
	v_mul_f64 v[50:51], v[28:29], v[48:49]
	v_fma_f64 v[50:51], v[26:27], v[46:47], -v[50:51]
	v_mul_f64 v[26:27], v[26:27], v[48:49]
	v_add_f64 v[2:3], v[2:3], v[50:51]
	v_fma_f64 v[26:27], v[28:29], v[46:47], v[26:27]
	v_add_f64 v[50:51], v[26:27], v[14:15]
	ds_read_b128 v[26:29], v25 offset:2048
	s_waitcnt lgkmcnt(0)
	v_mul_f64 v[14:15], v[28:29], v[44:45]
	v_mul_f64 v[44:45], v[26:27], v[44:45]
	v_fma_f64 v[14:15], v[26:27], v[42:43], -v[14:15]
	v_fma_f64 v[42:43], v[28:29], v[42:43], v[44:45]
	v_add_f64 v[44:45], v[8:9], v[14:15]
	v_mul_f64 v[8:9], v[28:29], v[48:49]
	v_mul_f64 v[14:15], v[26:27], v[48:49]
	v_add_f64 v[42:43], v[42:43], v[18:19]
	v_fma_f64 v[8:9], v[26:27], v[46:47], -v[8:9]
	v_fma_f64 v[14:15], v[28:29], v[46:47], v[14:15]
	v_add_f64 v[26:27], v[6:7], v[8:9]
	ds_read_b128 v[6:9], v24 offset:512
	v_add_f64 v[28:29], v[14:15], v[16:17]
	s_waitcnt lgkmcnt(0)
	v_mul_f64 v[14:15], v[32:33], v[8:9]
	v_mul_f64 v[16:17], v[30:31], v[8:9]
	v_fma_f64 v[14:15], v[30:31], v[6:7], -v[14:15]
	v_fma_f64 v[16:17], v[32:33], v[6:7], v[16:17]
	v_add_f64 v[10:11], v[10:11], v[14:15]
	v_add_f64 v[46:47], v[16:17], v[20:21]
	ds_read_b128 v[14:17], v24 offset:768
	s_waitcnt lgkmcnt(0)
	v_mul_f64 v[18:19], v[32:33], v[16:17]
	v_mul_f64 v[20:21], v[30:31], v[16:17]
	v_fma_f64 v[18:19], v[30:31], v[14:15], -v[18:19]
	v_fma_f64 v[20:21], v[32:33], v[14:15], v[20:21]
	v_add_f64 v[2:3], v[2:3], v[18:19]
	v_add_f64 v[30:31], v[20:21], v[50:51]
	ds_read_b128 v[18:21], v25 offset:2064
	s_waitcnt lgkmcnt(0)
	v_mul_f64 v[32:33], v[20:21], v[8:9]
	v_mul_f64 v[8:9], v[18:19], v[8:9]
	v_fma_f64 v[32:33], v[18:19], v[6:7], -v[32:33]
	v_fma_f64 v[6:7], v[20:21], v[6:7], v[8:9]
	v_mul_f64 v[8:9], v[18:19], v[16:17]
	v_add_f64 v[32:33], v[44:45], v[32:33]
	v_add_f64 v[42:43], v[6:7], v[42:43]
	v_mul_f64 v[6:7], v[20:21], v[16:17]
	v_fma_f64 v[8:9], v[20:21], v[14:15], v[8:9]
	v_fma_f64 v[6:7], v[18:19], v[14:15], -v[6:7]
	v_add_f64 v[28:29], v[8:9], v[28:29]
	v_add_f64 v[26:27], v[26:27], v[6:7]
	ds_read_b128 v[6:9], v24 offset:1024
	s_waitcnt lgkmcnt(0)
	v_mul_f64 v[14:15], v[36:37], v[8:9]
	v_mul_f64 v[16:17], v[34:35], v[8:9]
	v_fma_f64 v[14:15], v[34:35], v[6:7], -v[14:15]
	v_fma_f64 v[16:17], v[36:37], v[6:7], v[16:17]
	v_add_f64 v[10:11], v[10:11], v[14:15]
	v_add_f64 v[44:45], v[16:17], v[46:47]
	ds_read_b128 v[14:17], v24 offset:1280
	s_waitcnt lgkmcnt(0)
	v_mul_f64 v[18:19], v[36:37], v[16:17]
	v_mul_f64 v[20:21], v[34:35], v[16:17]
	v_fma_f64 v[18:19], v[34:35], v[14:15], -v[18:19]
	v_fma_f64 v[20:21], v[36:37], v[14:15], v[20:21]
	v_add_f64 v[2:3], v[2:3], v[18:19]
	v_add_f64 v[30:31], v[20:21], v[30:31]
	ds_read_b128 v[18:21], v25 offset:2080
	s_waitcnt lgkmcnt(0)
	v_mul_f64 v[34:35], v[20:21], v[8:9]
	v_mul_f64 v[8:9], v[18:19], v[8:9]
	v_fma_f64 v[34:35], v[18:19], v[6:7], -v[34:35]
	v_fma_f64 v[6:7], v[20:21], v[6:7], v[8:9]
	v_mul_f64 v[8:9], v[18:19], v[16:17]
	v_add_f64 v[32:33], v[32:33], v[34:35]
	v_add_f64 v[34:35], v[6:7], v[42:43]
	v_mul_f64 v[6:7], v[20:21], v[16:17]
	v_fma_f64 v[8:9], v[20:21], v[14:15], v[8:9]
	v_fma_f64 v[6:7], v[18:19], v[14:15], -v[6:7]
	v_add_f64 v[28:29], v[8:9], v[28:29]
	v_add_f64 v[26:27], v[26:27], v[6:7]
	ds_read_b128 v[6:9], v24 offset:1536
	;; [unrolled: 30-line block ×3, first 2 shown]
	ds_read_b128 v[14:17], v24 offset:2048
	s_waitcnt lgkmcnt(0)
	v_mul_f64 v[18:19], v[8:9], v[16:17]
	v_mul_f64 v[20:21], v[6:7], v[16:17]
	v_fma_f64 v[18:19], v[6:7], v[14:15], -v[18:19]
	v_fma_f64 v[20:21], v[8:9], v[14:15], v[20:21]
	v_add_f64 v[10:11], v[10:11], v[18:19]
	v_add_f64 v[36:37], v[20:21], v[36:37]
	ds_read_b128 v[18:21], v24 offset:2304
	s_waitcnt lgkmcnt(0)
	v_mul_f64 v[38:39], v[8:9], v[20:21]
	v_fma_f64 v[38:39], v[6:7], v[18:19], -v[38:39]
	v_mul_f64 v[6:7], v[6:7], v[20:21]
	v_add_f64 v[2:3], v[2:3], v[38:39]
	v_fma_f64 v[6:7], v[8:9], v[18:19], v[6:7]
	v_add_f64 v[30:31], v[6:7], v[30:31]
	ds_read_b128 v[6:9], v25 offset:2112
	s_waitcnt lgkmcnt(0)
	v_mul_f64 v[38:39], v[8:9], v[16:17]
	v_mul_f64 v[16:17], v[6:7], v[16:17]
	v_fma_f64 v[38:39], v[6:7], v[14:15], -v[38:39]
	v_fma_f64 v[14:15], v[8:9], v[14:15], v[16:17]
	v_add_f64 v[32:33], v[32:33], v[38:39]
	v_add_f64 v[34:35], v[14:15], v[34:35]
	v_mul_f64 v[14:15], v[8:9], v[20:21]
	v_fma_f64 v[14:15], v[6:7], v[18:19], -v[14:15]
	v_mul_f64 v[6:7], v[6:7], v[20:21]
	v_add_f64 v[26:27], v[26:27], v[14:15]
	v_fma_f64 v[6:7], v[8:9], v[18:19], v[6:7]
	v_add_f64 v[28:29], v[6:7], v[28:29]
	ds_read_b128 v[6:9], v25 offset:80
	ds_read_b128 v[14:17], v24 offset:2560
	s_waitcnt lgkmcnt(0)
	v_mul_f64 v[18:19], v[8:9], v[16:17]
	v_mul_f64 v[20:21], v[6:7], v[16:17]
	v_fma_f64 v[18:19], v[6:7], v[14:15], -v[18:19]
	v_fma_f64 v[20:21], v[8:9], v[14:15], v[20:21]
	v_add_f64 v[10:11], v[10:11], v[18:19]
	v_add_f64 v[36:37], v[20:21], v[36:37]
	ds_read_b128 v[18:21], v24 offset:2816
	s_waitcnt lgkmcnt(0)
	v_mul_f64 v[38:39], v[8:9], v[20:21]
	v_fma_f64 v[38:39], v[6:7], v[18:19], -v[38:39]
	v_mul_f64 v[6:7], v[6:7], v[20:21]
	v_add_f64 v[2:3], v[2:3], v[38:39]
	v_fma_f64 v[6:7], v[8:9], v[18:19], v[6:7]
	v_add_f64 v[30:31], v[6:7], v[30:31]
	ds_read_b128 v[6:9], v25 offset:2128
	s_waitcnt lgkmcnt(0)
	v_mul_f64 v[38:39], v[8:9], v[16:17]
	v_mul_f64 v[16:17], v[6:7], v[16:17]
	v_fma_f64 v[38:39], v[6:7], v[14:15], -v[38:39]
	v_fma_f64 v[14:15], v[8:9], v[14:15], v[16:17]
	v_add_f64 v[32:33], v[32:33], v[38:39]
	v_add_f64 v[34:35], v[14:15], v[34:35]
	v_mul_f64 v[14:15], v[8:9], v[20:21]
	v_fma_f64 v[14:15], v[6:7], v[18:19], -v[14:15]
	v_mul_f64 v[6:7], v[6:7], v[20:21]
	v_add_f64 v[26:27], v[26:27], v[14:15]
	v_fma_f64 v[6:7], v[8:9], v[18:19], v[6:7]
	v_add_f64 v[28:29], v[6:7], v[28:29]
	ds_read_b128 v[6:9], v25 offset:96
	;; [unrolled: 31-line block ×3, first 2 shown]
	ds_read_b128 v[16:19], v24 offset:3584
	ds_read_b128 v[26:29], v24 offset:3840
	s_waitcnt lgkmcnt(1)
	v_mul_f64 v[14:15], v[8:9], v[18:19]
	v_mul_f64 v[20:21], v[6:7], v[18:19]
	v_fma_f64 v[14:15], v[6:7], v[16:17], -v[14:15]
	v_fma_f64 v[20:21], v[8:9], v[16:17], v[20:21]
	v_add_f64 v[10:11], v[10:11], v[14:15]
	s_waitcnt lgkmcnt(0)
	v_mul_f64 v[14:15], v[8:9], v[28:29]
	v_add_f64 v[20:21], v[20:21], v[36:37]
	v_fma_f64 v[14:15], v[6:7], v[26:27], -v[14:15]
	v_mul_f64 v[6:7], v[6:7], v[28:29]
	v_add_f64 v[2:3], v[2:3], v[14:15]
	v_fma_f64 v[6:7], v[8:9], v[26:27], v[6:7]
	v_add_f64 v[14:15], v[6:7], v[30:31]
	ds_read_b128 v[30:33], v25 offset:2160
	s_waitcnt lgkmcnt(0)
	s_barrier
	v_mul_f64 v[6:7], v[32:33], v[18:19]
	v_mul_f64 v[8:9], v[30:31], v[18:19]
	v_fma_f64 v[6:7], v[30:31], v[16:17], -v[6:7]
	v_fma_f64 v[16:17], v[32:33], v[16:17], v[8:9]
	v_add_f64 v[8:9], v[38:39], v[6:7]
	v_add_f64 v[18:19], v[16:17], v[34:35]
	v_mul_f64 v[6:7], v[32:33], v[28:29]
	v_mul_f64 v[16:17], v[30:31], v[28:29]
	v_fma_f64 v[6:7], v[30:31], v[26:27], -v[6:7]
	v_fma_f64 v[16:17], v[32:33], v[26:27], v[16:17]
	v_mov_b32_e32 v27, s3
	v_mov_b32_e32 v26, s2
	v_cmp_le_u64_e32 vcc, s[0:1], v[26:27]
	v_add_f64 v[6:7], v[40:41], v[6:7]
	v_add_f64 v[16:17], v[16:17], v[42:43]
	s_cbranch_vccz .LBB1792_2
	s_branch .LBB1792_4
.LBB1792_3:
	v_mov_b32_e32 v10, 0
	v_mov_b32_e32 v20, 0
	;; [unrolled: 1-line block ×16, first 2 shown]
.LBB1792_4:
	v_add_u32_e32 v22, s7, v1
	v_ashrrev_i32_e32 v1, 31, v22
	v_mul_lo_u32 v1, s14, v1
	v_mul_lo_u32 v12, s15, v22
	v_mad_u64_u32 v[4:5], s[0:1], s14, v22, 0
	s_load_dword s4, s[4:5], 0x0
	v_add_u32_e32 v0, s6, v0
	v_add3_u32 v5, v5, v1, v12
	v_lshlrev_b64 v[4:5], 4, v[4:5]
	s_waitcnt lgkmcnt(0)
	v_mov_b32_e32 v1, s9
	v_add_co_u32_e32 v4, vcc, s8, v4
	v_addc_co_u32_e32 v5, vcc, v1, v5, vcc
	v_cmp_le_i32_e64 s[0:1], v22, v0
	v_cmp_gt_i32_e32 vcc, s4, v0
	s_and_b64 s[0:1], s[0:1], vcc
	s_and_saveexec_b64 s[2:3], s[0:1]
	s_cbranch_execz .LBB1792_6
; %bb.5:
	v_ashrrev_i32_e32 v1, 31, v0
	v_lshlrev_b64 v[12:13], 4, v[0:1]
	v_xor_b32_e32 v11, 0x80000000, v11
	v_add_co_u32_e64 v23, s[0:1], v4, v12
	v_addc_co_u32_e64 v24, s[0:1], v5, v13, s[0:1]
	v_cmp_ne_u32_e64 s[0:1], v22, v0
	v_cndmask_b32_e64 v13, 0, -v21, s[0:1]
	v_cndmask_b32_e64 v12, 0, v20, s[0:1]
	flat_store_dwordx4 v[23:24], v[10:13]
.LBB1792_6:
	s_or_b64 exec, exec, s[2:3]
	v_add_u32_e32 v12, 16, v0
	v_cmp_le_i32_e64 s[2:3], v22, v12
	v_cmp_gt_i32_e64 s[0:1], s4, v12
	s_and_b64 s[2:3], s[2:3], s[0:1]
	s_and_saveexec_b64 s[4:5], s[2:3]
	s_cbranch_execz .LBB1792_8
; %bb.7:
	v_ashrrev_i32_e32 v13, 31, v12
	v_lshlrev_b64 v[10:11], 4, v[12:13]
	v_xor_b32_e32 v3, 0x80000000, v3
	v_add_co_u32_e64 v10, s[2:3], v4, v10
	v_addc_co_u32_e64 v11, s[2:3], v5, v11, s[2:3]
	v_cmp_ne_u32_e64 s[2:3], v22, v12
	v_cndmask_b32_e64 v5, 0, -v15, s[2:3]
	v_cndmask_b32_e64 v4, 0, v14, s[2:3]
	flat_store_dwordx4 v[10:11], v[2:5]
.LBB1792_8:
	s_or_b64 exec, exec, s[4:5]
	v_add_u32_e32 v4, 16, v22
	v_ashrrev_i32_e32 v3, 31, v4
	v_mul_lo_u32 v5, s15, v4
	v_mad_u64_u32 v[1:2], s[2:3], s14, v4, 0
	v_mul_lo_u32 v3, s14, v3
	v_add3_u32 v2, v2, v3, v5
	v_lshlrev_b64 v[2:3], 4, v[1:2]
	v_mov_b32_e32 v1, s9
	v_add_co_u32_e64 v2, s[2:3], s8, v2
	v_addc_co_u32_e64 v3, s[2:3], v1, v3, s[2:3]
	v_cmp_le_i32_e64 s[2:3], v4, v0
	s_and_b64 s[4:5], s[2:3], vcc
	s_and_saveexec_b64 s[2:3], s[4:5]
	s_cbranch_execz .LBB1792_10
; %bb.9:
	v_ashrrev_i32_e32 v1, 31, v0
	v_lshlrev_b64 v[10:11], 4, v[0:1]
	v_xor_b32_e32 v9, 0x80000000, v9
	v_add_co_u32_e32 v13, vcc, v2, v10
	v_addc_co_u32_e32 v14, vcc, v3, v11, vcc
	v_cmp_ne_u32_e32 vcc, v4, v0
	v_cndmask_b32_e64 v11, 0, -v19, vcc
	v_cndmask_b32_e32 v10, 0, v18, vcc
	flat_store_dwordx4 v[13:14], v[8:11]
.LBB1792_10:
	s_or_b64 exec, exec, s[2:3]
	v_cmp_le_i32_e32 vcc, v4, v12
	s_and_b64 s[0:1], vcc, s[0:1]
	s_and_saveexec_b64 s[2:3], s[0:1]
	s_cbranch_execz .LBB1792_12
; %bb.11:
	v_ashrrev_i32_e32 v13, 31, v12
	v_lshlrev_b64 v[4:5], 4, v[12:13]
	v_xor_b32_e32 v7, 0x80000000, v7
	v_add_co_u32_e32 v1, vcc, v2, v4
	v_addc_co_u32_e32 v2, vcc, v3, v5, vcc
	v_cmp_ne_u32_e32 vcc, v22, v0
	v_cndmask_b32_e64 v9, 0, -v17, vcc
	v_cndmask_b32_e32 v8, 0, v16, vcc
	flat_store_dwordx4 v[1:2], v[6:9]
.LBB1792_12:
	s_endpgm
	.section	.rodata,"a",@progbits
	.p2align	6, 0x0
	.amdhsa_kernel _ZL37rocblas_syrkx_herkx_restricted_kernelIl19rocblas_complex_numIdELi16ELi32ELi8ELin1ELi0ELb1ELc67ELc76EKPKS1_KPS1_EviT_PT9_S7_lS9_S7_lPT10_S7_li
		.amdhsa_group_segment_fixed_size 8192
		.amdhsa_private_segment_fixed_size 0
		.amdhsa_kernarg_size 92
		.amdhsa_user_sgpr_count 6
		.amdhsa_user_sgpr_private_segment_buffer 1
		.amdhsa_user_sgpr_dispatch_ptr 0
		.amdhsa_user_sgpr_queue_ptr 0
		.amdhsa_user_sgpr_kernarg_segment_ptr 1
		.amdhsa_user_sgpr_dispatch_id 0
		.amdhsa_user_sgpr_flat_scratch_init 0
		.amdhsa_user_sgpr_private_segment_size 0
		.amdhsa_uses_dynamic_stack 0
		.amdhsa_system_sgpr_private_segment_wavefront_offset 0
		.amdhsa_system_sgpr_workgroup_id_x 1
		.amdhsa_system_sgpr_workgroup_id_y 1
		.amdhsa_system_sgpr_workgroup_id_z 1
		.amdhsa_system_sgpr_workgroup_info 0
		.amdhsa_system_vgpr_workitem_id 1
		.amdhsa_next_free_vgpr 52
		.amdhsa_next_free_sgpr 61
		.amdhsa_reserve_vcc 1
		.amdhsa_reserve_flat_scratch 0
		.amdhsa_float_round_mode_32 0
		.amdhsa_float_round_mode_16_64 0
		.amdhsa_float_denorm_mode_32 3
		.amdhsa_float_denorm_mode_16_64 3
		.amdhsa_dx10_clamp 1
		.amdhsa_ieee_mode 1
		.amdhsa_fp16_overflow 0
		.amdhsa_exception_fp_ieee_invalid_op 0
		.amdhsa_exception_fp_denorm_src 0
		.amdhsa_exception_fp_ieee_div_zero 0
		.amdhsa_exception_fp_ieee_overflow 0
		.amdhsa_exception_fp_ieee_underflow 0
		.amdhsa_exception_fp_ieee_inexact 0
		.amdhsa_exception_int_div_zero 0
	.end_amdhsa_kernel
	.section	.text._ZL37rocblas_syrkx_herkx_restricted_kernelIl19rocblas_complex_numIdELi16ELi32ELi8ELin1ELi0ELb1ELc67ELc76EKPKS1_KPS1_EviT_PT9_S7_lS9_S7_lPT10_S7_li,"axG",@progbits,_ZL37rocblas_syrkx_herkx_restricted_kernelIl19rocblas_complex_numIdELi16ELi32ELi8ELin1ELi0ELb1ELc67ELc76EKPKS1_KPS1_EviT_PT9_S7_lS9_S7_lPT10_S7_li,comdat
.Lfunc_end1792:
	.size	_ZL37rocblas_syrkx_herkx_restricted_kernelIl19rocblas_complex_numIdELi16ELi32ELi8ELin1ELi0ELb1ELc67ELc76EKPKS1_KPS1_EviT_PT9_S7_lS9_S7_lPT10_S7_li, .Lfunc_end1792-_ZL37rocblas_syrkx_herkx_restricted_kernelIl19rocblas_complex_numIdELi16ELi32ELi8ELin1ELi0ELb1ELc67ELc76EKPKS1_KPS1_EviT_PT9_S7_lS9_S7_lPT10_S7_li
                                        ; -- End function
	.set _ZL37rocblas_syrkx_herkx_restricted_kernelIl19rocblas_complex_numIdELi16ELi32ELi8ELin1ELi0ELb1ELc67ELc76EKPKS1_KPS1_EviT_PT9_S7_lS9_S7_lPT10_S7_li.num_vgpr, 52
	.set _ZL37rocblas_syrkx_herkx_restricted_kernelIl19rocblas_complex_numIdELi16ELi32ELi8ELin1ELi0ELb1ELc67ELc76EKPKS1_KPS1_EviT_PT9_S7_lS9_S7_lPT10_S7_li.num_agpr, 0
	.set _ZL37rocblas_syrkx_herkx_restricted_kernelIl19rocblas_complex_numIdELi16ELi32ELi8ELin1ELi0ELb1ELc67ELc76EKPKS1_KPS1_EviT_PT9_S7_lS9_S7_lPT10_S7_li.numbered_sgpr, 20
	.set _ZL37rocblas_syrkx_herkx_restricted_kernelIl19rocblas_complex_numIdELi16ELi32ELi8ELin1ELi0ELb1ELc67ELc76EKPKS1_KPS1_EviT_PT9_S7_lS9_S7_lPT10_S7_li.num_named_barrier, 0
	.set _ZL37rocblas_syrkx_herkx_restricted_kernelIl19rocblas_complex_numIdELi16ELi32ELi8ELin1ELi0ELb1ELc67ELc76EKPKS1_KPS1_EviT_PT9_S7_lS9_S7_lPT10_S7_li.private_seg_size, 0
	.set _ZL37rocblas_syrkx_herkx_restricted_kernelIl19rocblas_complex_numIdELi16ELi32ELi8ELin1ELi0ELb1ELc67ELc76EKPKS1_KPS1_EviT_PT9_S7_lS9_S7_lPT10_S7_li.uses_vcc, 1
	.set _ZL37rocblas_syrkx_herkx_restricted_kernelIl19rocblas_complex_numIdELi16ELi32ELi8ELin1ELi0ELb1ELc67ELc76EKPKS1_KPS1_EviT_PT9_S7_lS9_S7_lPT10_S7_li.uses_flat_scratch, 0
	.set _ZL37rocblas_syrkx_herkx_restricted_kernelIl19rocblas_complex_numIdELi16ELi32ELi8ELin1ELi0ELb1ELc67ELc76EKPKS1_KPS1_EviT_PT9_S7_lS9_S7_lPT10_S7_li.has_dyn_sized_stack, 0
	.set _ZL37rocblas_syrkx_herkx_restricted_kernelIl19rocblas_complex_numIdELi16ELi32ELi8ELin1ELi0ELb1ELc67ELc76EKPKS1_KPS1_EviT_PT9_S7_lS9_S7_lPT10_S7_li.has_recursion, 0
	.set _ZL37rocblas_syrkx_herkx_restricted_kernelIl19rocblas_complex_numIdELi16ELi32ELi8ELin1ELi0ELb1ELc67ELc76EKPKS1_KPS1_EviT_PT9_S7_lS9_S7_lPT10_S7_li.has_indirect_call, 0
	.section	.AMDGPU.csdata,"",@progbits
; Kernel info:
; codeLenInByte = 2952
; TotalNumSgprs: 24
; NumVgprs: 52
; ScratchSize: 0
; MemoryBound: 0
; FloatMode: 240
; IeeeMode: 1
; LDSByteSize: 8192 bytes/workgroup (compile time only)
; SGPRBlocks: 8
; VGPRBlocks: 12
; NumSGPRsForWavesPerEU: 65
; NumVGPRsForWavesPerEU: 52
; Occupancy: 4
; WaveLimiterHint : 1
; COMPUTE_PGM_RSRC2:SCRATCH_EN: 0
; COMPUTE_PGM_RSRC2:USER_SGPR: 6
; COMPUTE_PGM_RSRC2:TRAP_HANDLER: 0
; COMPUTE_PGM_RSRC2:TGID_X_EN: 1
; COMPUTE_PGM_RSRC2:TGID_Y_EN: 1
; COMPUTE_PGM_RSRC2:TGID_Z_EN: 1
; COMPUTE_PGM_RSRC2:TIDIG_COMP_CNT: 1
	.section	.text._ZL37rocblas_syrkx_herkx_restricted_kernelIl19rocblas_complex_numIdELi16ELi32ELi8ELin1ELi0ELb1ELc78ELc76EKPKS1_KPS1_EviT_PT9_S7_lS9_S7_lPT10_S7_li,"axG",@progbits,_ZL37rocblas_syrkx_herkx_restricted_kernelIl19rocblas_complex_numIdELi16ELi32ELi8ELin1ELi0ELb1ELc78ELc76EKPKS1_KPS1_EviT_PT9_S7_lS9_S7_lPT10_S7_li,comdat
	.globl	_ZL37rocblas_syrkx_herkx_restricted_kernelIl19rocblas_complex_numIdELi16ELi32ELi8ELin1ELi0ELb1ELc78ELc76EKPKS1_KPS1_EviT_PT9_S7_lS9_S7_lPT10_S7_li ; -- Begin function _ZL37rocblas_syrkx_herkx_restricted_kernelIl19rocblas_complex_numIdELi16ELi32ELi8ELin1ELi0ELb1ELc78ELc76EKPKS1_KPS1_EviT_PT9_S7_lS9_S7_lPT10_S7_li
	.p2align	8
	.type	_ZL37rocblas_syrkx_herkx_restricted_kernelIl19rocblas_complex_numIdELi16ELi32ELi8ELin1ELi0ELb1ELc78ELc76EKPKS1_KPS1_EviT_PT9_S7_lS9_S7_lPT10_S7_li,@function
_ZL37rocblas_syrkx_herkx_restricted_kernelIl19rocblas_complex_numIdELi16ELi32ELi8ELin1ELi0ELb1ELc78ELc76EKPKS1_KPS1_EviT_PT9_S7_lS9_S7_lPT10_S7_li: ; @_ZL37rocblas_syrkx_herkx_restricted_kernelIl19rocblas_complex_numIdELi16ELi32ELi8ELin1ELi0ELb1ELc78ELc76EKPKS1_KPS1_EviT_PT9_S7_lS9_S7_lPT10_S7_li
; %bb.0:
	s_load_dwordx4 s[12:15], s[4:5], 0x40
	s_load_dwordx4 s[0:3], s[4:5], 0x8
	s_mov_b32 s9, 0
	s_lshl_b64 s[16:17], s[8:9], 3
	s_waitcnt lgkmcnt(0)
	s_add_u32 s8, s12, s16
	s_addc_u32 s9, s13, s17
	s_load_dwordx2 s[12:13], s[8:9], 0x0
	v_cmp_lt_i64_e64 s[8:9], s[0:1], 1
	s_lshl_b32 s18, s6, 5
	s_lshl_b32 s19, s7, 5
	s_and_b64 vcc, exec, s[8:9]
	s_cbranch_vccnz .LBB1793_3
; %bb.1:
	s_load_dwordx2 s[6:7], s[4:5], 0x18
	s_load_dwordx4 s[8:11], s[4:5], 0x28
	v_lshl_add_u32 v5, v1, 4, v0
	v_lshrrev_b32_e32 v7, 3, v5
	v_add_u32_e32 v2, s19, v7
	v_and_b32_e32 v6, 7, v0
	v_ashrrev_i32_e32 v3, 31, v2
	s_waitcnt lgkmcnt(0)
	v_mad_u64_u32 v[2:3], s[20:21], s10, v6, v[2:3]
	s_add_u32 s2, s2, s16
	s_addc_u32 s3, s3, s17
	v_mad_u64_u32 v[3:4], s[20:21], s11, v6, v[3:4]
	v_and_b32_e32 v4, 31, v5
	v_lshrrev_b32_e32 v8, 5, v5
	v_lshlrev_b32_e32 v5, 4, v4
	v_add_u32_e32 v4, s18, v4
	s_add_u32 s8, s8, s16
	v_lshl_or_b32 v22, v8, 9, v5
	v_ashrrev_i32_e32 v5, 31, v4
	s_addc_u32 s9, s9, s17
	v_mad_u64_u32 v[4:5], s[16:17], s6, v8, v[4:5]
	v_lshlrev_b32_e32 v6, 4, v6
	v_lshl_or_b32 v6, v7, 7, v6
	v_add_u32_e32 v23, 0x1000, v6
	v_mad_u64_u32 v[5:6], s[16:17], s7, v8, v[5:6]
	s_load_dwordx2 s[2:3], s[2:3], 0x0
	v_mov_b32_e32 v6, 0x1000
	s_load_dwordx2 s[8:9], s[8:9], 0x0
	v_lshlrev_b64 v[4:5], 4, v[4:5]
	v_lshl_add_u32 v25, v1, 7, v6
	s_waitcnt lgkmcnt(0)
	v_mov_b32_e32 v6, s3
	v_add_co_u32_e32 v4, vcc, s2, v4
	v_lshlrev_b64 v[2:3], 4, v[2:3]
	v_addc_co_u32_e32 v5, vcc, v6, v5, vcc
	v_mov_b32_e32 v6, s9
	v_add_co_u32_e32 v12, vcc, s8, v2
	s_lshl_b64 s[2:3], s[6:7], 7
	v_addc_co_u32_e32 v13, vcc, v6, v3, vcc
	s_lshl_b64 s[6:7], s[10:11], 7
	v_mov_b32_e32 v16, 0
	v_mov_b32_e32 v6, 0
	;; [unrolled: 1-line block ×8, first 2 shown]
	v_lshlrev_b32_e32 v24, 4, v0
	v_mov_b32_e32 v17, 0
	s_mov_b64 s[8:9], 0
	v_mov_b32_e32 v26, s3
	v_mov_b32_e32 v7, 0
	v_mov_b32_e32 v19, 0
	v_mov_b32_e32 v9, 0
	v_mov_b32_e32 v15, 0
	v_mov_b32_e32 v21, 0
	v_mov_b32_e32 v3, 0
	v_mov_b32_e32 v11, 0
	v_mov_b32_e32 v27, s7
.LBB1793_2:                             ; =>This Inner Loop Header: Depth=1
	flat_load_dwordx4 v[28:31], v[4:5]
	s_add_u32 s8, s8, 8
	v_add_co_u32_e32 v4, vcc, s2, v4
	s_addc_u32 s9, s9, 0
	v_addc_co_u32_e32 v5, vcc, v5, v26, vcc
	s_waitcnt vmcnt(0) lgkmcnt(0)
	ds_write_b128 v22, v[28:31]
	flat_load_dwordx4 v[28:31], v[12:13]
	v_add_co_u32_e32 v12, vcc, s6, v12
	v_addc_co_u32_e32 v13, vcc, v13, v27, vcc
	s_waitcnt vmcnt(0) lgkmcnt(0)
	v_xor_b32_e32 v31, 0x80000000, v31
	ds_write_b128 v23, v[28:31]
	s_waitcnt lgkmcnt(0)
	s_barrier
	ds_read_b128 v[28:31], v25
	ds_read_b128 v[32:35], v25 offset:16
	ds_read_b128 v[36:39], v25 offset:32
	;; [unrolled: 1-line block ×3, first 2 shown]
	ds_read_b128 v[44:47], v24
	s_waitcnt lgkmcnt(0)
	v_mul_f64 v[48:49], v[30:31], v[46:47]
	v_mul_f64 v[50:51], v[28:29], v[46:47]
	v_fma_f64 v[48:49], v[28:29], v[44:45], -v[48:49]
	v_fma_f64 v[50:51], v[30:31], v[44:45], v[50:51]
	v_add_f64 v[10:11], v[10:11], v[48:49]
	v_add_f64 v[20:21], v[50:51], v[20:21]
	ds_read_b128 v[48:51], v24 offset:256
	s_waitcnt lgkmcnt(0)
	v_mul_f64 v[52:53], v[30:31], v[50:51]
	v_fma_f64 v[52:53], v[28:29], v[48:49], -v[52:53]
	v_mul_f64 v[28:29], v[28:29], v[50:51]
	v_add_f64 v[2:3], v[2:3], v[52:53]
	v_fma_f64 v[28:29], v[30:31], v[48:49], v[28:29]
	v_add_f64 v[52:53], v[28:29], v[14:15]
	ds_read_b128 v[28:31], v25 offset:2048
	s_waitcnt lgkmcnt(0)
	v_mul_f64 v[14:15], v[30:31], v[46:47]
	v_mul_f64 v[46:47], v[28:29], v[46:47]
	v_fma_f64 v[14:15], v[28:29], v[44:45], -v[14:15]
	v_fma_f64 v[44:45], v[30:31], v[44:45], v[46:47]
	v_add_f64 v[46:47], v[8:9], v[14:15]
	v_mul_f64 v[8:9], v[30:31], v[50:51]
	v_mul_f64 v[14:15], v[28:29], v[50:51]
	v_add_f64 v[44:45], v[44:45], v[18:19]
	v_fma_f64 v[8:9], v[28:29], v[48:49], -v[8:9]
	v_fma_f64 v[14:15], v[30:31], v[48:49], v[14:15]
	v_add_f64 v[28:29], v[6:7], v[8:9]
	ds_read_b128 v[6:9], v24 offset:512
	v_add_f64 v[30:31], v[14:15], v[16:17]
	s_waitcnt lgkmcnt(0)
	v_mul_f64 v[14:15], v[34:35], v[8:9]
	v_mul_f64 v[16:17], v[32:33], v[8:9]
	v_fma_f64 v[14:15], v[32:33], v[6:7], -v[14:15]
	v_fma_f64 v[16:17], v[34:35], v[6:7], v[16:17]
	v_add_f64 v[10:11], v[10:11], v[14:15]
	v_add_f64 v[48:49], v[16:17], v[20:21]
	ds_read_b128 v[14:17], v24 offset:768
	s_waitcnt lgkmcnt(0)
	v_mul_f64 v[18:19], v[34:35], v[16:17]
	v_mul_f64 v[20:21], v[32:33], v[16:17]
	v_fma_f64 v[18:19], v[32:33], v[14:15], -v[18:19]
	v_fma_f64 v[20:21], v[34:35], v[14:15], v[20:21]
	v_add_f64 v[2:3], v[2:3], v[18:19]
	v_add_f64 v[32:33], v[20:21], v[52:53]
	ds_read_b128 v[18:21], v25 offset:2064
	s_waitcnt lgkmcnt(0)
	v_mul_f64 v[34:35], v[20:21], v[8:9]
	v_mul_f64 v[8:9], v[18:19], v[8:9]
	v_fma_f64 v[34:35], v[18:19], v[6:7], -v[34:35]
	v_fma_f64 v[6:7], v[20:21], v[6:7], v[8:9]
	v_mul_f64 v[8:9], v[18:19], v[16:17]
	v_add_f64 v[34:35], v[46:47], v[34:35]
	v_add_f64 v[44:45], v[6:7], v[44:45]
	v_mul_f64 v[6:7], v[20:21], v[16:17]
	v_fma_f64 v[8:9], v[20:21], v[14:15], v[8:9]
	v_fma_f64 v[6:7], v[18:19], v[14:15], -v[6:7]
	v_add_f64 v[30:31], v[8:9], v[30:31]
	v_add_f64 v[28:29], v[28:29], v[6:7]
	ds_read_b128 v[6:9], v24 offset:1024
	s_waitcnt lgkmcnt(0)
	v_mul_f64 v[14:15], v[38:39], v[8:9]
	v_mul_f64 v[16:17], v[36:37], v[8:9]
	v_fma_f64 v[14:15], v[36:37], v[6:7], -v[14:15]
	v_fma_f64 v[16:17], v[38:39], v[6:7], v[16:17]
	v_add_f64 v[10:11], v[10:11], v[14:15]
	v_add_f64 v[46:47], v[16:17], v[48:49]
	ds_read_b128 v[14:17], v24 offset:1280
	s_waitcnt lgkmcnt(0)
	v_mul_f64 v[18:19], v[38:39], v[16:17]
	v_mul_f64 v[20:21], v[36:37], v[16:17]
	v_fma_f64 v[18:19], v[36:37], v[14:15], -v[18:19]
	v_fma_f64 v[20:21], v[38:39], v[14:15], v[20:21]
	v_add_f64 v[2:3], v[2:3], v[18:19]
	v_add_f64 v[32:33], v[20:21], v[32:33]
	ds_read_b128 v[18:21], v25 offset:2080
	s_waitcnt lgkmcnt(0)
	v_mul_f64 v[36:37], v[20:21], v[8:9]
	v_mul_f64 v[8:9], v[18:19], v[8:9]
	v_fma_f64 v[36:37], v[18:19], v[6:7], -v[36:37]
	v_fma_f64 v[6:7], v[20:21], v[6:7], v[8:9]
	v_mul_f64 v[8:9], v[18:19], v[16:17]
	v_add_f64 v[34:35], v[34:35], v[36:37]
	v_add_f64 v[36:37], v[6:7], v[44:45]
	v_mul_f64 v[6:7], v[20:21], v[16:17]
	v_fma_f64 v[8:9], v[20:21], v[14:15], v[8:9]
	v_fma_f64 v[6:7], v[18:19], v[14:15], -v[6:7]
	v_add_f64 v[30:31], v[8:9], v[30:31]
	v_add_f64 v[28:29], v[28:29], v[6:7]
	ds_read_b128 v[6:9], v24 offset:1536
	;; [unrolled: 30-line block ×3, first 2 shown]
	ds_read_b128 v[14:17], v24 offset:2048
	s_waitcnt lgkmcnt(0)
	v_mul_f64 v[18:19], v[8:9], v[16:17]
	v_mul_f64 v[20:21], v[6:7], v[16:17]
	v_fma_f64 v[18:19], v[6:7], v[14:15], -v[18:19]
	v_fma_f64 v[20:21], v[8:9], v[14:15], v[20:21]
	v_add_f64 v[10:11], v[10:11], v[18:19]
	v_add_f64 v[38:39], v[20:21], v[38:39]
	ds_read_b128 v[18:21], v24 offset:2304
	s_waitcnt lgkmcnt(0)
	v_mul_f64 v[40:41], v[8:9], v[20:21]
	v_fma_f64 v[40:41], v[6:7], v[18:19], -v[40:41]
	v_mul_f64 v[6:7], v[6:7], v[20:21]
	v_add_f64 v[2:3], v[2:3], v[40:41]
	v_fma_f64 v[6:7], v[8:9], v[18:19], v[6:7]
	v_add_f64 v[32:33], v[6:7], v[32:33]
	ds_read_b128 v[6:9], v25 offset:2112
	s_waitcnt lgkmcnt(0)
	v_mul_f64 v[40:41], v[8:9], v[16:17]
	v_mul_f64 v[16:17], v[6:7], v[16:17]
	v_fma_f64 v[40:41], v[6:7], v[14:15], -v[40:41]
	v_fma_f64 v[14:15], v[8:9], v[14:15], v[16:17]
	v_add_f64 v[34:35], v[34:35], v[40:41]
	v_add_f64 v[36:37], v[14:15], v[36:37]
	v_mul_f64 v[14:15], v[8:9], v[20:21]
	v_fma_f64 v[14:15], v[6:7], v[18:19], -v[14:15]
	v_mul_f64 v[6:7], v[6:7], v[20:21]
	v_add_f64 v[28:29], v[28:29], v[14:15]
	v_fma_f64 v[6:7], v[8:9], v[18:19], v[6:7]
	v_add_f64 v[30:31], v[6:7], v[30:31]
	ds_read_b128 v[6:9], v25 offset:80
	ds_read_b128 v[14:17], v24 offset:2560
	s_waitcnt lgkmcnt(0)
	v_mul_f64 v[18:19], v[8:9], v[16:17]
	v_mul_f64 v[20:21], v[6:7], v[16:17]
	v_fma_f64 v[18:19], v[6:7], v[14:15], -v[18:19]
	v_fma_f64 v[20:21], v[8:9], v[14:15], v[20:21]
	v_add_f64 v[10:11], v[10:11], v[18:19]
	v_add_f64 v[38:39], v[20:21], v[38:39]
	ds_read_b128 v[18:21], v24 offset:2816
	s_waitcnt lgkmcnt(0)
	v_mul_f64 v[40:41], v[8:9], v[20:21]
	v_fma_f64 v[40:41], v[6:7], v[18:19], -v[40:41]
	v_mul_f64 v[6:7], v[6:7], v[20:21]
	v_add_f64 v[2:3], v[2:3], v[40:41]
	v_fma_f64 v[6:7], v[8:9], v[18:19], v[6:7]
	v_add_f64 v[32:33], v[6:7], v[32:33]
	ds_read_b128 v[6:9], v25 offset:2128
	s_waitcnt lgkmcnt(0)
	v_mul_f64 v[40:41], v[8:9], v[16:17]
	v_mul_f64 v[16:17], v[6:7], v[16:17]
	v_fma_f64 v[40:41], v[6:7], v[14:15], -v[40:41]
	v_fma_f64 v[14:15], v[8:9], v[14:15], v[16:17]
	v_add_f64 v[34:35], v[34:35], v[40:41]
	v_add_f64 v[36:37], v[14:15], v[36:37]
	v_mul_f64 v[14:15], v[8:9], v[20:21]
	v_fma_f64 v[14:15], v[6:7], v[18:19], -v[14:15]
	v_mul_f64 v[6:7], v[6:7], v[20:21]
	v_add_f64 v[28:29], v[28:29], v[14:15]
	v_fma_f64 v[6:7], v[8:9], v[18:19], v[6:7]
	v_add_f64 v[30:31], v[6:7], v[30:31]
	ds_read_b128 v[6:9], v25 offset:96
	;; [unrolled: 31-line block ×3, first 2 shown]
	ds_read_b128 v[16:19], v24 offset:3584
	ds_read_b128 v[28:31], v24 offset:3840
	s_waitcnt lgkmcnt(1)
	v_mul_f64 v[14:15], v[8:9], v[18:19]
	v_mul_f64 v[20:21], v[6:7], v[18:19]
	v_fma_f64 v[14:15], v[6:7], v[16:17], -v[14:15]
	v_fma_f64 v[20:21], v[8:9], v[16:17], v[20:21]
	v_add_f64 v[10:11], v[10:11], v[14:15]
	s_waitcnt lgkmcnt(0)
	v_mul_f64 v[14:15], v[8:9], v[30:31]
	v_add_f64 v[20:21], v[20:21], v[38:39]
	v_fma_f64 v[14:15], v[6:7], v[28:29], -v[14:15]
	v_mul_f64 v[6:7], v[6:7], v[30:31]
	v_add_f64 v[2:3], v[2:3], v[14:15]
	v_fma_f64 v[6:7], v[8:9], v[28:29], v[6:7]
	v_add_f64 v[14:15], v[6:7], v[32:33]
	ds_read_b128 v[32:35], v25 offset:2160
	s_waitcnt lgkmcnt(0)
	s_barrier
	v_mul_f64 v[6:7], v[34:35], v[18:19]
	v_mul_f64 v[8:9], v[32:33], v[18:19]
	v_fma_f64 v[6:7], v[32:33], v[16:17], -v[6:7]
	v_fma_f64 v[16:17], v[34:35], v[16:17], v[8:9]
	v_add_f64 v[8:9], v[40:41], v[6:7]
	v_add_f64 v[18:19], v[16:17], v[36:37]
	v_mul_f64 v[6:7], v[34:35], v[30:31]
	v_mul_f64 v[16:17], v[32:33], v[30:31]
	v_fma_f64 v[6:7], v[32:33], v[28:29], -v[6:7]
	v_fma_f64 v[16:17], v[34:35], v[28:29], v[16:17]
	v_mov_b32_e32 v29, s9
	v_mov_b32_e32 v28, s8
	v_cmp_le_u64_e32 vcc, s[0:1], v[28:29]
	v_add_f64 v[6:7], v[42:43], v[6:7]
	v_add_f64 v[16:17], v[16:17], v[44:45]
	s_cbranch_vccz .LBB1793_2
	s_branch .LBB1793_4
.LBB1793_3:
	v_mov_b32_e32 v10, 0
	v_mov_b32_e32 v20, 0
	;; [unrolled: 1-line block ×16, first 2 shown]
.LBB1793_4:
	v_add_u32_e32 v22, s19, v1
	v_ashrrev_i32_e32 v1, 31, v22
	v_mul_lo_u32 v1, s14, v1
	v_mul_lo_u32 v12, s15, v22
	v_mad_u64_u32 v[4:5], s[0:1], s14, v22, 0
	s_load_dword s4, s[4:5], 0x0
	v_add_u32_e32 v0, s18, v0
	v_add3_u32 v5, v5, v1, v12
	v_lshlrev_b64 v[4:5], 4, v[4:5]
	s_waitcnt lgkmcnt(0)
	v_mov_b32_e32 v1, s13
	v_add_co_u32_e32 v4, vcc, s12, v4
	v_addc_co_u32_e32 v5, vcc, v1, v5, vcc
	v_cmp_le_i32_e64 s[0:1], v22, v0
	v_cmp_gt_i32_e32 vcc, s4, v0
	s_and_b64 s[0:1], s[0:1], vcc
	s_and_saveexec_b64 s[2:3], s[0:1]
	s_cbranch_execz .LBB1793_6
; %bb.5:
	v_ashrrev_i32_e32 v1, 31, v0
	v_lshlrev_b64 v[12:13], 4, v[0:1]
	v_xor_b32_e32 v11, 0x80000000, v11
	v_add_co_u32_e64 v23, s[0:1], v4, v12
	v_addc_co_u32_e64 v24, s[0:1], v5, v13, s[0:1]
	v_cmp_ne_u32_e64 s[0:1], v22, v0
	v_cndmask_b32_e64 v13, 0, -v21, s[0:1]
	v_cndmask_b32_e64 v12, 0, v20, s[0:1]
	flat_store_dwordx4 v[23:24], v[10:13]
.LBB1793_6:
	s_or_b64 exec, exec, s[2:3]
	v_add_u32_e32 v12, 16, v0
	v_cmp_le_i32_e64 s[2:3], v22, v12
	v_cmp_gt_i32_e64 s[0:1], s4, v12
	s_and_b64 s[2:3], s[2:3], s[0:1]
	s_and_saveexec_b64 s[4:5], s[2:3]
	s_cbranch_execz .LBB1793_8
; %bb.7:
	v_ashrrev_i32_e32 v13, 31, v12
	v_lshlrev_b64 v[10:11], 4, v[12:13]
	v_xor_b32_e32 v3, 0x80000000, v3
	v_add_co_u32_e64 v10, s[2:3], v4, v10
	v_addc_co_u32_e64 v11, s[2:3], v5, v11, s[2:3]
	v_cmp_ne_u32_e64 s[2:3], v22, v12
	v_cndmask_b32_e64 v5, 0, -v15, s[2:3]
	v_cndmask_b32_e64 v4, 0, v14, s[2:3]
	flat_store_dwordx4 v[10:11], v[2:5]
.LBB1793_8:
	s_or_b64 exec, exec, s[4:5]
	v_add_u32_e32 v4, 16, v22
	v_ashrrev_i32_e32 v3, 31, v4
	v_mul_lo_u32 v5, s15, v4
	v_mad_u64_u32 v[1:2], s[2:3], s14, v4, 0
	v_mul_lo_u32 v3, s14, v3
	v_add3_u32 v2, v2, v3, v5
	v_lshlrev_b64 v[2:3], 4, v[1:2]
	v_mov_b32_e32 v1, s13
	v_add_co_u32_e64 v2, s[2:3], s12, v2
	v_addc_co_u32_e64 v3, s[2:3], v1, v3, s[2:3]
	v_cmp_le_i32_e64 s[2:3], v4, v0
	s_and_b64 s[4:5], s[2:3], vcc
	s_and_saveexec_b64 s[2:3], s[4:5]
	s_cbranch_execz .LBB1793_10
; %bb.9:
	v_ashrrev_i32_e32 v1, 31, v0
	v_lshlrev_b64 v[10:11], 4, v[0:1]
	v_xor_b32_e32 v9, 0x80000000, v9
	v_add_co_u32_e32 v13, vcc, v2, v10
	v_addc_co_u32_e32 v14, vcc, v3, v11, vcc
	v_cmp_ne_u32_e32 vcc, v4, v0
	v_cndmask_b32_e64 v11, 0, -v19, vcc
	v_cndmask_b32_e32 v10, 0, v18, vcc
	flat_store_dwordx4 v[13:14], v[8:11]
.LBB1793_10:
	s_or_b64 exec, exec, s[2:3]
	v_cmp_le_i32_e32 vcc, v4, v12
	s_and_b64 s[0:1], vcc, s[0:1]
	s_and_saveexec_b64 s[2:3], s[0:1]
	s_cbranch_execz .LBB1793_12
; %bb.11:
	v_ashrrev_i32_e32 v13, 31, v12
	v_lshlrev_b64 v[4:5], 4, v[12:13]
	v_xor_b32_e32 v7, 0x80000000, v7
	v_add_co_u32_e32 v1, vcc, v2, v4
	v_addc_co_u32_e32 v2, vcc, v3, v5, vcc
	v_cmp_ne_u32_e32 vcc, v22, v0
	v_cndmask_b32_e64 v9, 0, -v17, vcc
	v_cndmask_b32_e32 v8, 0, v16, vcc
	flat_store_dwordx4 v[1:2], v[6:9]
.LBB1793_12:
	s_endpgm
	.section	.rodata,"a",@progbits
	.p2align	6, 0x0
	.amdhsa_kernel _ZL37rocblas_syrkx_herkx_restricted_kernelIl19rocblas_complex_numIdELi16ELi32ELi8ELin1ELi0ELb1ELc78ELc76EKPKS1_KPS1_EviT_PT9_S7_lS9_S7_lPT10_S7_li
		.amdhsa_group_segment_fixed_size 8192
		.amdhsa_private_segment_fixed_size 0
		.amdhsa_kernarg_size 92
		.amdhsa_user_sgpr_count 6
		.amdhsa_user_sgpr_private_segment_buffer 1
		.amdhsa_user_sgpr_dispatch_ptr 0
		.amdhsa_user_sgpr_queue_ptr 0
		.amdhsa_user_sgpr_kernarg_segment_ptr 1
		.amdhsa_user_sgpr_dispatch_id 0
		.amdhsa_user_sgpr_flat_scratch_init 0
		.amdhsa_user_sgpr_private_segment_size 0
		.amdhsa_uses_dynamic_stack 0
		.amdhsa_system_sgpr_private_segment_wavefront_offset 0
		.amdhsa_system_sgpr_workgroup_id_x 1
		.amdhsa_system_sgpr_workgroup_id_y 1
		.amdhsa_system_sgpr_workgroup_id_z 1
		.amdhsa_system_sgpr_workgroup_info 0
		.amdhsa_system_vgpr_workitem_id 1
		.amdhsa_next_free_vgpr 54
		.amdhsa_next_free_sgpr 61
		.amdhsa_reserve_vcc 1
		.amdhsa_reserve_flat_scratch 0
		.amdhsa_float_round_mode_32 0
		.amdhsa_float_round_mode_16_64 0
		.amdhsa_float_denorm_mode_32 3
		.amdhsa_float_denorm_mode_16_64 3
		.amdhsa_dx10_clamp 1
		.amdhsa_ieee_mode 1
		.amdhsa_fp16_overflow 0
		.amdhsa_exception_fp_ieee_invalid_op 0
		.amdhsa_exception_fp_denorm_src 0
		.amdhsa_exception_fp_ieee_div_zero 0
		.amdhsa_exception_fp_ieee_overflow 0
		.amdhsa_exception_fp_ieee_underflow 0
		.amdhsa_exception_fp_ieee_inexact 0
		.amdhsa_exception_int_div_zero 0
	.end_amdhsa_kernel
	.section	.text._ZL37rocblas_syrkx_herkx_restricted_kernelIl19rocblas_complex_numIdELi16ELi32ELi8ELin1ELi0ELb1ELc78ELc76EKPKS1_KPS1_EviT_PT9_S7_lS9_S7_lPT10_S7_li,"axG",@progbits,_ZL37rocblas_syrkx_herkx_restricted_kernelIl19rocblas_complex_numIdELi16ELi32ELi8ELin1ELi0ELb1ELc78ELc76EKPKS1_KPS1_EviT_PT9_S7_lS9_S7_lPT10_S7_li,comdat
.Lfunc_end1793:
	.size	_ZL37rocblas_syrkx_herkx_restricted_kernelIl19rocblas_complex_numIdELi16ELi32ELi8ELin1ELi0ELb1ELc78ELc76EKPKS1_KPS1_EviT_PT9_S7_lS9_S7_lPT10_S7_li, .Lfunc_end1793-_ZL37rocblas_syrkx_herkx_restricted_kernelIl19rocblas_complex_numIdELi16ELi32ELi8ELin1ELi0ELb1ELc78ELc76EKPKS1_KPS1_EviT_PT9_S7_lS9_S7_lPT10_S7_li
                                        ; -- End function
	.set _ZL37rocblas_syrkx_herkx_restricted_kernelIl19rocblas_complex_numIdELi16ELi32ELi8ELin1ELi0ELb1ELc78ELc76EKPKS1_KPS1_EviT_PT9_S7_lS9_S7_lPT10_S7_li.num_vgpr, 54
	.set _ZL37rocblas_syrkx_herkx_restricted_kernelIl19rocblas_complex_numIdELi16ELi32ELi8ELin1ELi0ELb1ELc78ELc76EKPKS1_KPS1_EviT_PT9_S7_lS9_S7_lPT10_S7_li.num_agpr, 0
	.set _ZL37rocblas_syrkx_herkx_restricted_kernelIl19rocblas_complex_numIdELi16ELi32ELi8ELin1ELi0ELb1ELc78ELc76EKPKS1_KPS1_EviT_PT9_S7_lS9_S7_lPT10_S7_li.numbered_sgpr, 22
	.set _ZL37rocblas_syrkx_herkx_restricted_kernelIl19rocblas_complex_numIdELi16ELi32ELi8ELin1ELi0ELb1ELc78ELc76EKPKS1_KPS1_EviT_PT9_S7_lS9_S7_lPT10_S7_li.num_named_barrier, 0
	.set _ZL37rocblas_syrkx_herkx_restricted_kernelIl19rocblas_complex_numIdELi16ELi32ELi8ELin1ELi0ELb1ELc78ELc76EKPKS1_KPS1_EviT_PT9_S7_lS9_S7_lPT10_S7_li.private_seg_size, 0
	.set _ZL37rocblas_syrkx_herkx_restricted_kernelIl19rocblas_complex_numIdELi16ELi32ELi8ELin1ELi0ELb1ELc78ELc76EKPKS1_KPS1_EviT_PT9_S7_lS9_S7_lPT10_S7_li.uses_vcc, 1
	.set _ZL37rocblas_syrkx_herkx_restricted_kernelIl19rocblas_complex_numIdELi16ELi32ELi8ELin1ELi0ELb1ELc78ELc76EKPKS1_KPS1_EviT_PT9_S7_lS9_S7_lPT10_S7_li.uses_flat_scratch, 0
	.set _ZL37rocblas_syrkx_herkx_restricted_kernelIl19rocblas_complex_numIdELi16ELi32ELi8ELin1ELi0ELb1ELc78ELc76EKPKS1_KPS1_EviT_PT9_S7_lS9_S7_lPT10_S7_li.has_dyn_sized_stack, 0
	.set _ZL37rocblas_syrkx_herkx_restricted_kernelIl19rocblas_complex_numIdELi16ELi32ELi8ELin1ELi0ELb1ELc78ELc76EKPKS1_KPS1_EviT_PT9_S7_lS9_S7_lPT10_S7_li.has_recursion, 0
	.set _ZL37rocblas_syrkx_herkx_restricted_kernelIl19rocblas_complex_numIdELi16ELi32ELi8ELin1ELi0ELb1ELc78ELc76EKPKS1_KPS1_EviT_PT9_S7_lS9_S7_lPT10_S7_li.has_indirect_call, 0
	.section	.AMDGPU.csdata,"",@progbits
; Kernel info:
; codeLenInByte = 2920
; TotalNumSgprs: 26
; NumVgprs: 54
; ScratchSize: 0
; MemoryBound: 0
; FloatMode: 240
; IeeeMode: 1
; LDSByteSize: 8192 bytes/workgroup (compile time only)
; SGPRBlocks: 8
; VGPRBlocks: 13
; NumSGPRsForWavesPerEU: 65
; NumVGPRsForWavesPerEU: 54
; Occupancy: 4
; WaveLimiterHint : 1
; COMPUTE_PGM_RSRC2:SCRATCH_EN: 0
; COMPUTE_PGM_RSRC2:USER_SGPR: 6
; COMPUTE_PGM_RSRC2:TRAP_HANDLER: 0
; COMPUTE_PGM_RSRC2:TGID_X_EN: 1
; COMPUTE_PGM_RSRC2:TGID_Y_EN: 1
; COMPUTE_PGM_RSRC2:TGID_Z_EN: 1
; COMPUTE_PGM_RSRC2:TIDIG_COMP_CNT: 1
	.section	.text._ZL37rocblas_syrkx_herkx_restricted_kernelIl19rocblas_complex_numIdELi16ELi32ELi8ELin1ELi0ELb1ELc84ELc85EKPKS1_KPS1_EviT_PT9_S7_lS9_S7_lPT10_S7_li,"axG",@progbits,_ZL37rocblas_syrkx_herkx_restricted_kernelIl19rocblas_complex_numIdELi16ELi32ELi8ELin1ELi0ELb1ELc84ELc85EKPKS1_KPS1_EviT_PT9_S7_lS9_S7_lPT10_S7_li,comdat
	.globl	_ZL37rocblas_syrkx_herkx_restricted_kernelIl19rocblas_complex_numIdELi16ELi32ELi8ELin1ELi0ELb1ELc84ELc85EKPKS1_KPS1_EviT_PT9_S7_lS9_S7_lPT10_S7_li ; -- Begin function _ZL37rocblas_syrkx_herkx_restricted_kernelIl19rocblas_complex_numIdELi16ELi32ELi8ELin1ELi0ELb1ELc84ELc85EKPKS1_KPS1_EviT_PT9_S7_lS9_S7_lPT10_S7_li
	.p2align	8
	.type	_ZL37rocblas_syrkx_herkx_restricted_kernelIl19rocblas_complex_numIdELi16ELi32ELi8ELin1ELi0ELb1ELc84ELc85EKPKS1_KPS1_EviT_PT9_S7_lS9_S7_lPT10_S7_li,@function
_ZL37rocblas_syrkx_herkx_restricted_kernelIl19rocblas_complex_numIdELi16ELi32ELi8ELin1ELi0ELb1ELc84ELc85EKPKS1_KPS1_EviT_PT9_S7_lS9_S7_lPT10_S7_li: ; @_ZL37rocblas_syrkx_herkx_restricted_kernelIl19rocblas_complex_numIdELi16ELi32ELi8ELin1ELi0ELb1ELc84ELc85EKPKS1_KPS1_EviT_PT9_S7_lS9_S7_lPT10_S7_li
; %bb.0:
	s_load_dwordx4 s[0:3], s[4:5], 0x40
	s_load_dwordx4 s[12:15], s[4:5], 0x8
	s_mov_b32 s9, 0
	s_lshl_b64 s[10:11], s[8:9], 3
	s_waitcnt lgkmcnt(0)
	s_add_u32 s0, s0, s10
	s_addc_u32 s1, s1, s11
	s_load_dwordx2 s[8:9], s[0:1], 0x0
	v_cmp_lt_i64_e64 s[0:1], s[12:13], 1
	s_lshl_b32 s6, s6, 5
	s_lshl_b32 s7, s7, 5
	s_and_b64 vcc, exec, s[0:1]
	s_cbranch_vccnz .LBB1794_3
; %bb.1:
	s_load_dwordx2 s[0:1], s[4:5], 0x18
	s_load_dwordx4 s[16:19], s[4:5], 0x28
	v_lshl_add_u32 v4, v1, 4, v0
	v_lshrrev_b32_e32 v8, 3, v4
	v_add_u32_e32 v5, s7, v8
	v_ashrrev_i32_e32 v6, 31, v5
	v_and_b32_e32 v2, 7, v0
	v_mov_b32_e32 v3, 0
	s_waitcnt lgkmcnt(0)
	v_mul_lo_u32 v9, s18, v6
	v_mul_lo_u32 v10, s19, v5
	v_mad_u64_u32 v[6:7], s[18:19], s18, v5, v[2:3]
	s_add_u32 s14, s14, s10
	v_lshlrev_b32_e32 v2, 4, v2
	v_add3_u32 v7, v10, v7, v9
	v_and_b32_e32 v9, 31, v4
	s_addc_u32 s15, s15, s11
	v_lshl_or_b32 v2, v8, 7, v2
	v_add_u32_e32 v8, s6, v9
	s_add_u32 s10, s16, s10
	v_lshrrev_b32_e32 v4, 5, v4
	v_mov_b32_e32 v5, v3
	v_lshlrev_b32_e32 v3, 4, v9
	v_add_u32_e32 v23, 0x1000, v2
	v_ashrrev_i32_e32 v2, 31, v8
	s_addc_u32 s11, s17, s11
	v_lshl_or_b32 v22, v4, 9, v3
	v_mul_lo_u32 v9, s0, v2
	v_mad_u64_u32 v[2:3], s[16:17], s0, v8, v[4:5]
	v_mul_lo_u32 v4, s1, v8
	s_load_dwordx2 s[14:15], s[14:15], 0x0
	v_mov_b32_e32 v5, 0x1000
	s_load_dwordx2 s[10:11], s[10:11], 0x0
	v_add3_u32 v3, v4, v3, v9
	v_lshlrev_b64 v[2:3], 4, v[2:3]
	v_lshl_add_u32 v25, v1, 7, v5
	s_waitcnt lgkmcnt(0)
	v_mov_b32_e32 v5, s15
	v_add_co_u32_e32 v4, vcc, s14, v2
	v_addc_co_u32_e32 v5, vcc, v5, v3, vcc
	v_lshlrev_b64 v[2:3], 4, v[6:7]
	v_mov_b32_e32 v6, s11
	v_add_co_u32_e32 v12, vcc, s10, v2
	v_addc_co_u32_e32 v13, vcc, v6, v3, vcc
	v_mov_b32_e32 v16, 0
	v_mov_b32_e32 v6, 0
	;; [unrolled: 1-line block ×8, first 2 shown]
	v_lshlrev_b32_e32 v24, 4, v0
	v_mov_b32_e32 v17, 0
	v_mov_b32_e32 v7, 0
	;; [unrolled: 1-line block ×8, first 2 shown]
	s_mov_b64 s[0:1], 0
.LBB1794_2:                             ; =>This Inner Loop Header: Depth=1
	flat_load_dwordx4 v[26:29], v[4:5]
	s_add_u32 s0, s0, 8
	v_add_co_u32_e32 v4, vcc, 0x80, v4
	s_addc_u32 s1, s1, 0
	v_addc_co_u32_e32 v5, vcc, 0, v5, vcc
	s_waitcnt vmcnt(0) lgkmcnt(0)
	ds_write_b128 v22, v[26:29]
	flat_load_dwordx4 v[26:29], v[12:13]
	v_add_co_u32_e32 v12, vcc, 0x80, v12
	v_addc_co_u32_e32 v13, vcc, 0, v13, vcc
	s_waitcnt vmcnt(0) lgkmcnt(0)
	ds_write_b128 v23, v[26:29]
	s_waitcnt lgkmcnt(0)
	s_barrier
	ds_read_b128 v[26:29], v25
	ds_read_b128 v[30:33], v25 offset:16
	ds_read_b128 v[34:37], v25 offset:32
	;; [unrolled: 1-line block ×3, first 2 shown]
	ds_read_b128 v[42:45], v24
	s_waitcnt lgkmcnt(0)
	v_mul_f64 v[46:47], v[28:29], v[44:45]
	v_mul_f64 v[48:49], v[26:27], v[44:45]
	v_fma_f64 v[46:47], v[26:27], v[42:43], -v[46:47]
	v_fma_f64 v[48:49], v[28:29], v[42:43], v[48:49]
	v_add_f64 v[10:11], v[10:11], v[46:47]
	v_add_f64 v[20:21], v[48:49], v[20:21]
	ds_read_b128 v[46:49], v24 offset:256
	s_waitcnt lgkmcnt(0)
	v_mul_f64 v[50:51], v[28:29], v[48:49]
	v_fma_f64 v[50:51], v[26:27], v[46:47], -v[50:51]
	v_mul_f64 v[26:27], v[26:27], v[48:49]
	v_add_f64 v[2:3], v[2:3], v[50:51]
	v_fma_f64 v[26:27], v[28:29], v[46:47], v[26:27]
	v_add_f64 v[50:51], v[26:27], v[14:15]
	ds_read_b128 v[26:29], v25 offset:2048
	s_waitcnt lgkmcnt(0)
	v_mul_f64 v[14:15], v[28:29], v[44:45]
	v_mul_f64 v[44:45], v[26:27], v[44:45]
	v_fma_f64 v[14:15], v[26:27], v[42:43], -v[14:15]
	v_fma_f64 v[42:43], v[28:29], v[42:43], v[44:45]
	v_add_f64 v[44:45], v[8:9], v[14:15]
	v_mul_f64 v[8:9], v[28:29], v[48:49]
	v_mul_f64 v[14:15], v[26:27], v[48:49]
	v_add_f64 v[42:43], v[42:43], v[18:19]
	v_fma_f64 v[8:9], v[26:27], v[46:47], -v[8:9]
	v_fma_f64 v[14:15], v[28:29], v[46:47], v[14:15]
	v_add_f64 v[26:27], v[6:7], v[8:9]
	ds_read_b128 v[6:9], v24 offset:512
	v_add_f64 v[28:29], v[14:15], v[16:17]
	s_waitcnt lgkmcnt(0)
	v_mul_f64 v[14:15], v[32:33], v[8:9]
	v_mul_f64 v[16:17], v[30:31], v[8:9]
	v_fma_f64 v[14:15], v[30:31], v[6:7], -v[14:15]
	v_fma_f64 v[16:17], v[32:33], v[6:7], v[16:17]
	v_add_f64 v[10:11], v[10:11], v[14:15]
	v_add_f64 v[46:47], v[16:17], v[20:21]
	ds_read_b128 v[14:17], v24 offset:768
	s_waitcnt lgkmcnt(0)
	v_mul_f64 v[18:19], v[32:33], v[16:17]
	v_mul_f64 v[20:21], v[30:31], v[16:17]
	v_fma_f64 v[18:19], v[30:31], v[14:15], -v[18:19]
	v_fma_f64 v[20:21], v[32:33], v[14:15], v[20:21]
	v_add_f64 v[2:3], v[2:3], v[18:19]
	v_add_f64 v[30:31], v[20:21], v[50:51]
	ds_read_b128 v[18:21], v25 offset:2064
	s_waitcnt lgkmcnt(0)
	v_mul_f64 v[32:33], v[20:21], v[8:9]
	v_mul_f64 v[8:9], v[18:19], v[8:9]
	v_fma_f64 v[32:33], v[18:19], v[6:7], -v[32:33]
	v_fma_f64 v[6:7], v[20:21], v[6:7], v[8:9]
	v_mul_f64 v[8:9], v[18:19], v[16:17]
	v_add_f64 v[32:33], v[44:45], v[32:33]
	v_add_f64 v[42:43], v[6:7], v[42:43]
	v_mul_f64 v[6:7], v[20:21], v[16:17]
	v_fma_f64 v[8:9], v[20:21], v[14:15], v[8:9]
	v_fma_f64 v[6:7], v[18:19], v[14:15], -v[6:7]
	v_add_f64 v[28:29], v[8:9], v[28:29]
	v_add_f64 v[26:27], v[26:27], v[6:7]
	ds_read_b128 v[6:9], v24 offset:1024
	s_waitcnt lgkmcnt(0)
	v_mul_f64 v[14:15], v[36:37], v[8:9]
	v_mul_f64 v[16:17], v[34:35], v[8:9]
	v_fma_f64 v[14:15], v[34:35], v[6:7], -v[14:15]
	v_fma_f64 v[16:17], v[36:37], v[6:7], v[16:17]
	v_add_f64 v[10:11], v[10:11], v[14:15]
	v_add_f64 v[44:45], v[16:17], v[46:47]
	ds_read_b128 v[14:17], v24 offset:1280
	s_waitcnt lgkmcnt(0)
	v_mul_f64 v[18:19], v[36:37], v[16:17]
	v_mul_f64 v[20:21], v[34:35], v[16:17]
	v_fma_f64 v[18:19], v[34:35], v[14:15], -v[18:19]
	v_fma_f64 v[20:21], v[36:37], v[14:15], v[20:21]
	v_add_f64 v[2:3], v[2:3], v[18:19]
	v_add_f64 v[30:31], v[20:21], v[30:31]
	ds_read_b128 v[18:21], v25 offset:2080
	s_waitcnt lgkmcnt(0)
	v_mul_f64 v[34:35], v[20:21], v[8:9]
	v_mul_f64 v[8:9], v[18:19], v[8:9]
	v_fma_f64 v[34:35], v[18:19], v[6:7], -v[34:35]
	v_fma_f64 v[6:7], v[20:21], v[6:7], v[8:9]
	v_mul_f64 v[8:9], v[18:19], v[16:17]
	v_add_f64 v[32:33], v[32:33], v[34:35]
	v_add_f64 v[34:35], v[6:7], v[42:43]
	v_mul_f64 v[6:7], v[20:21], v[16:17]
	v_fma_f64 v[8:9], v[20:21], v[14:15], v[8:9]
	v_fma_f64 v[6:7], v[18:19], v[14:15], -v[6:7]
	v_add_f64 v[28:29], v[8:9], v[28:29]
	v_add_f64 v[26:27], v[26:27], v[6:7]
	ds_read_b128 v[6:9], v24 offset:1536
	;; [unrolled: 30-line block ×3, first 2 shown]
	ds_read_b128 v[14:17], v24 offset:2048
	s_waitcnt lgkmcnt(0)
	v_mul_f64 v[18:19], v[8:9], v[16:17]
	v_mul_f64 v[20:21], v[6:7], v[16:17]
	v_fma_f64 v[18:19], v[6:7], v[14:15], -v[18:19]
	v_fma_f64 v[20:21], v[8:9], v[14:15], v[20:21]
	v_add_f64 v[10:11], v[10:11], v[18:19]
	v_add_f64 v[36:37], v[20:21], v[36:37]
	ds_read_b128 v[18:21], v24 offset:2304
	s_waitcnt lgkmcnt(0)
	v_mul_f64 v[38:39], v[8:9], v[20:21]
	v_fma_f64 v[38:39], v[6:7], v[18:19], -v[38:39]
	v_mul_f64 v[6:7], v[6:7], v[20:21]
	v_add_f64 v[2:3], v[2:3], v[38:39]
	v_fma_f64 v[6:7], v[8:9], v[18:19], v[6:7]
	v_add_f64 v[30:31], v[6:7], v[30:31]
	ds_read_b128 v[6:9], v25 offset:2112
	s_waitcnt lgkmcnt(0)
	v_mul_f64 v[38:39], v[8:9], v[16:17]
	v_mul_f64 v[16:17], v[6:7], v[16:17]
	v_fma_f64 v[38:39], v[6:7], v[14:15], -v[38:39]
	v_fma_f64 v[14:15], v[8:9], v[14:15], v[16:17]
	v_add_f64 v[32:33], v[32:33], v[38:39]
	v_add_f64 v[34:35], v[14:15], v[34:35]
	v_mul_f64 v[14:15], v[8:9], v[20:21]
	v_fma_f64 v[14:15], v[6:7], v[18:19], -v[14:15]
	v_mul_f64 v[6:7], v[6:7], v[20:21]
	v_add_f64 v[26:27], v[26:27], v[14:15]
	v_fma_f64 v[6:7], v[8:9], v[18:19], v[6:7]
	v_add_f64 v[28:29], v[6:7], v[28:29]
	ds_read_b128 v[6:9], v25 offset:80
	ds_read_b128 v[14:17], v24 offset:2560
	s_waitcnt lgkmcnt(0)
	v_mul_f64 v[18:19], v[8:9], v[16:17]
	v_mul_f64 v[20:21], v[6:7], v[16:17]
	v_fma_f64 v[18:19], v[6:7], v[14:15], -v[18:19]
	v_fma_f64 v[20:21], v[8:9], v[14:15], v[20:21]
	v_add_f64 v[10:11], v[10:11], v[18:19]
	v_add_f64 v[36:37], v[20:21], v[36:37]
	ds_read_b128 v[18:21], v24 offset:2816
	s_waitcnt lgkmcnt(0)
	v_mul_f64 v[38:39], v[8:9], v[20:21]
	v_fma_f64 v[38:39], v[6:7], v[18:19], -v[38:39]
	v_mul_f64 v[6:7], v[6:7], v[20:21]
	v_add_f64 v[2:3], v[2:3], v[38:39]
	v_fma_f64 v[6:7], v[8:9], v[18:19], v[6:7]
	v_add_f64 v[30:31], v[6:7], v[30:31]
	ds_read_b128 v[6:9], v25 offset:2128
	s_waitcnt lgkmcnt(0)
	v_mul_f64 v[38:39], v[8:9], v[16:17]
	v_mul_f64 v[16:17], v[6:7], v[16:17]
	v_fma_f64 v[38:39], v[6:7], v[14:15], -v[38:39]
	v_fma_f64 v[14:15], v[8:9], v[14:15], v[16:17]
	v_add_f64 v[32:33], v[32:33], v[38:39]
	v_add_f64 v[34:35], v[14:15], v[34:35]
	v_mul_f64 v[14:15], v[8:9], v[20:21]
	v_fma_f64 v[14:15], v[6:7], v[18:19], -v[14:15]
	v_mul_f64 v[6:7], v[6:7], v[20:21]
	v_add_f64 v[26:27], v[26:27], v[14:15]
	v_fma_f64 v[6:7], v[8:9], v[18:19], v[6:7]
	v_add_f64 v[28:29], v[6:7], v[28:29]
	ds_read_b128 v[6:9], v25 offset:96
	;; [unrolled: 31-line block ×3, first 2 shown]
	ds_read_b128 v[16:19], v24 offset:3584
	ds_read_b128 v[26:29], v24 offset:3840
	s_waitcnt lgkmcnt(1)
	v_mul_f64 v[14:15], v[8:9], v[18:19]
	v_mul_f64 v[20:21], v[6:7], v[18:19]
	v_fma_f64 v[14:15], v[6:7], v[16:17], -v[14:15]
	v_fma_f64 v[20:21], v[8:9], v[16:17], v[20:21]
	v_add_f64 v[10:11], v[10:11], v[14:15]
	s_waitcnt lgkmcnt(0)
	v_mul_f64 v[14:15], v[8:9], v[28:29]
	v_add_f64 v[20:21], v[20:21], v[36:37]
	v_fma_f64 v[14:15], v[6:7], v[26:27], -v[14:15]
	v_mul_f64 v[6:7], v[6:7], v[28:29]
	v_add_f64 v[2:3], v[2:3], v[14:15]
	v_fma_f64 v[6:7], v[8:9], v[26:27], v[6:7]
	v_add_f64 v[14:15], v[6:7], v[30:31]
	ds_read_b128 v[30:33], v25 offset:2160
	s_waitcnt lgkmcnt(0)
	s_barrier
	v_mul_f64 v[6:7], v[32:33], v[18:19]
	v_mul_f64 v[8:9], v[30:31], v[18:19]
	v_fma_f64 v[6:7], v[30:31], v[16:17], -v[6:7]
	v_fma_f64 v[16:17], v[32:33], v[16:17], v[8:9]
	v_add_f64 v[8:9], v[38:39], v[6:7]
	v_add_f64 v[18:19], v[16:17], v[34:35]
	v_mul_f64 v[6:7], v[32:33], v[28:29]
	v_mul_f64 v[16:17], v[30:31], v[28:29]
	v_fma_f64 v[6:7], v[30:31], v[26:27], -v[6:7]
	v_fma_f64 v[16:17], v[32:33], v[26:27], v[16:17]
	v_mov_b32_e32 v27, s1
	v_mov_b32_e32 v26, s0
	v_cmp_le_u64_e32 vcc, s[12:13], v[26:27]
	v_add_f64 v[6:7], v[40:41], v[6:7]
	v_add_f64 v[16:17], v[16:17], v[42:43]
	s_cbranch_vccz .LBB1794_2
	s_branch .LBB1794_4
.LBB1794_3:
	v_mov_b32_e32 v10, 0
	v_mov_b32_e32 v20, 0
	;; [unrolled: 1-line block ×16, first 2 shown]
.LBB1794_4:
	v_add_u32_e32 v22, s7, v1
	v_ashrrev_i32_e32 v1, 31, v22
	v_mul_lo_u32 v1, s2, v1
	v_mul_lo_u32 v12, s3, v22
	v_mad_u64_u32 v[4:5], s[0:1], s2, v22, 0
	s_load_dword s10, s[4:5], 0x0
	v_add_u32_e32 v0, s6, v0
	v_add3_u32 v5, v5, v1, v12
	v_lshlrev_b64 v[4:5], 4, v[4:5]
	s_waitcnt lgkmcnt(0)
	v_mov_b32_e32 v1, s9
	v_add_co_u32_e64 v4, s[0:1], s8, v4
	v_addc_co_u32_e64 v5, s[0:1], v1, v5, s[0:1]
	v_cmp_gt_i32_e32 vcc, s10, v22
	v_cmp_le_i32_e64 s[0:1], v0, v22
	s_and_b64 s[0:1], vcc, s[0:1]
	s_and_saveexec_b64 s[4:5], s[0:1]
	s_cbranch_execz .LBB1794_6
; %bb.5:
	v_ashrrev_i32_e32 v1, 31, v0
	v_lshlrev_b64 v[12:13], 4, v[0:1]
	v_xor_b32_e32 v11, 0x80000000, v11
	v_add_co_u32_e64 v23, s[0:1], v4, v12
	v_addc_co_u32_e64 v24, s[0:1], v5, v13, s[0:1]
	v_cmp_ne_u32_e64 s[0:1], v22, v0
	v_cndmask_b32_e64 v13, 0, -v21, s[0:1]
	v_cndmask_b32_e64 v12, 0, v20, s[0:1]
	flat_store_dwordx4 v[23:24], v[10:13]
.LBB1794_6:
	s_or_b64 exec, exec, s[4:5]
	v_add_u32_e32 v12, 16, v0
	v_cmp_le_i32_e64 s[0:1], v12, v22
	s_and_b64 s[4:5], vcc, s[0:1]
	s_and_saveexec_b64 s[0:1], s[4:5]
	s_cbranch_execz .LBB1794_8
; %bb.7:
	v_ashrrev_i32_e32 v13, 31, v12
	v_lshlrev_b64 v[10:11], 4, v[12:13]
	v_xor_b32_e32 v3, 0x80000000, v3
	v_add_co_u32_e32 v10, vcc, v4, v10
	v_addc_co_u32_e32 v11, vcc, v5, v11, vcc
	v_cmp_ne_u32_e32 vcc, v22, v12
	v_cndmask_b32_e64 v5, 0, -v15, vcc
	v_cndmask_b32_e32 v4, 0, v14, vcc
	flat_store_dwordx4 v[10:11], v[2:5]
.LBB1794_8:
	s_or_b64 exec, exec, s[0:1]
	v_add_u32_e32 v2, 16, v22
	v_ashrrev_i32_e32 v1, 31, v2
	v_mul_lo_u32 v1, s2, v1
	v_mul_lo_u32 v5, s3, v2
	v_mad_u64_u32 v[3:4], s[0:1], s2, v2, 0
	v_cmp_gt_i32_e32 vcc, s10, v2
	v_add3_u32 v4, v4, v1, v5
	v_lshlrev_b64 v[3:4], 4, v[3:4]
	v_mov_b32_e32 v1, s9
	v_add_co_u32_e64 v3, s[0:1], s8, v3
	v_addc_co_u32_e64 v4, s[0:1], v1, v4, s[0:1]
	v_cmp_le_i32_e64 s[0:1], v0, v2
	s_and_b64 s[0:1], vcc, s[0:1]
	s_and_saveexec_b64 s[2:3], s[0:1]
	s_cbranch_execz .LBB1794_10
; %bb.9:
	v_ashrrev_i32_e32 v1, 31, v0
	v_lshlrev_b64 v[10:11], 4, v[0:1]
	v_xor_b32_e32 v9, 0x80000000, v9
	v_add_co_u32_e64 v13, s[0:1], v3, v10
	v_addc_co_u32_e64 v14, s[0:1], v4, v11, s[0:1]
	v_cmp_ne_u32_e64 s[0:1], v2, v0
	v_cndmask_b32_e64 v11, 0, -v19, s[0:1]
	v_cndmask_b32_e64 v10, 0, v18, s[0:1]
	flat_store_dwordx4 v[13:14], v[8:11]
.LBB1794_10:
	s_or_b64 exec, exec, s[2:3]
	v_cmp_le_i32_e64 s[0:1], v12, v2
	s_and_b64 s[0:1], vcc, s[0:1]
	s_and_saveexec_b64 s[2:3], s[0:1]
	s_cbranch_execz .LBB1794_12
; %bb.11:
	v_ashrrev_i32_e32 v13, 31, v12
	v_lshlrev_b64 v[1:2], 4, v[12:13]
	v_xor_b32_e32 v7, 0x80000000, v7
	v_add_co_u32_e32 v1, vcc, v3, v1
	v_addc_co_u32_e32 v2, vcc, v4, v2, vcc
	v_cmp_ne_u32_e32 vcc, v22, v0
	v_cndmask_b32_e64 v9, 0, -v17, vcc
	v_cndmask_b32_e32 v8, 0, v16, vcc
	flat_store_dwordx4 v[1:2], v[6:9]
.LBB1794_12:
	s_endpgm
	.section	.rodata,"a",@progbits
	.p2align	6, 0x0
	.amdhsa_kernel _ZL37rocblas_syrkx_herkx_restricted_kernelIl19rocblas_complex_numIdELi16ELi32ELi8ELin1ELi0ELb1ELc84ELc85EKPKS1_KPS1_EviT_PT9_S7_lS9_S7_lPT10_S7_li
		.amdhsa_group_segment_fixed_size 8192
		.amdhsa_private_segment_fixed_size 0
		.amdhsa_kernarg_size 92
		.amdhsa_user_sgpr_count 6
		.amdhsa_user_sgpr_private_segment_buffer 1
		.amdhsa_user_sgpr_dispatch_ptr 0
		.amdhsa_user_sgpr_queue_ptr 0
		.amdhsa_user_sgpr_kernarg_segment_ptr 1
		.amdhsa_user_sgpr_dispatch_id 0
		.amdhsa_user_sgpr_flat_scratch_init 0
		.amdhsa_user_sgpr_private_segment_size 0
		.amdhsa_uses_dynamic_stack 0
		.amdhsa_system_sgpr_private_segment_wavefront_offset 0
		.amdhsa_system_sgpr_workgroup_id_x 1
		.amdhsa_system_sgpr_workgroup_id_y 1
		.amdhsa_system_sgpr_workgroup_id_z 1
		.amdhsa_system_sgpr_workgroup_info 0
		.amdhsa_system_vgpr_workitem_id 1
		.amdhsa_next_free_vgpr 52
		.amdhsa_next_free_sgpr 61
		.amdhsa_reserve_vcc 1
		.amdhsa_reserve_flat_scratch 0
		.amdhsa_float_round_mode_32 0
		.amdhsa_float_round_mode_16_64 0
		.amdhsa_float_denorm_mode_32 3
		.amdhsa_float_denorm_mode_16_64 3
		.amdhsa_dx10_clamp 1
		.amdhsa_ieee_mode 1
		.amdhsa_fp16_overflow 0
		.amdhsa_exception_fp_ieee_invalid_op 0
		.amdhsa_exception_fp_denorm_src 0
		.amdhsa_exception_fp_ieee_div_zero 0
		.amdhsa_exception_fp_ieee_overflow 0
		.amdhsa_exception_fp_ieee_underflow 0
		.amdhsa_exception_fp_ieee_inexact 0
		.amdhsa_exception_int_div_zero 0
	.end_amdhsa_kernel
	.section	.text._ZL37rocblas_syrkx_herkx_restricted_kernelIl19rocblas_complex_numIdELi16ELi32ELi8ELin1ELi0ELb1ELc84ELc85EKPKS1_KPS1_EviT_PT9_S7_lS9_S7_lPT10_S7_li,"axG",@progbits,_ZL37rocblas_syrkx_herkx_restricted_kernelIl19rocblas_complex_numIdELi16ELi32ELi8ELin1ELi0ELb1ELc84ELc85EKPKS1_KPS1_EviT_PT9_S7_lS9_S7_lPT10_S7_li,comdat
.Lfunc_end1794:
	.size	_ZL37rocblas_syrkx_herkx_restricted_kernelIl19rocblas_complex_numIdELi16ELi32ELi8ELin1ELi0ELb1ELc84ELc85EKPKS1_KPS1_EviT_PT9_S7_lS9_S7_lPT10_S7_li, .Lfunc_end1794-_ZL37rocblas_syrkx_herkx_restricted_kernelIl19rocblas_complex_numIdELi16ELi32ELi8ELin1ELi0ELb1ELc84ELc85EKPKS1_KPS1_EviT_PT9_S7_lS9_S7_lPT10_S7_li
                                        ; -- End function
	.set _ZL37rocblas_syrkx_herkx_restricted_kernelIl19rocblas_complex_numIdELi16ELi32ELi8ELin1ELi0ELb1ELc84ELc85EKPKS1_KPS1_EviT_PT9_S7_lS9_S7_lPT10_S7_li.num_vgpr, 52
	.set _ZL37rocblas_syrkx_herkx_restricted_kernelIl19rocblas_complex_numIdELi16ELi32ELi8ELin1ELi0ELb1ELc84ELc85EKPKS1_KPS1_EviT_PT9_S7_lS9_S7_lPT10_S7_li.num_agpr, 0
	.set _ZL37rocblas_syrkx_herkx_restricted_kernelIl19rocblas_complex_numIdELi16ELi32ELi8ELin1ELi0ELb1ELc84ELc85EKPKS1_KPS1_EviT_PT9_S7_lS9_S7_lPT10_S7_li.numbered_sgpr, 20
	.set _ZL37rocblas_syrkx_herkx_restricted_kernelIl19rocblas_complex_numIdELi16ELi32ELi8ELin1ELi0ELb1ELc84ELc85EKPKS1_KPS1_EviT_PT9_S7_lS9_S7_lPT10_S7_li.num_named_barrier, 0
	.set _ZL37rocblas_syrkx_herkx_restricted_kernelIl19rocblas_complex_numIdELi16ELi32ELi8ELin1ELi0ELb1ELc84ELc85EKPKS1_KPS1_EviT_PT9_S7_lS9_S7_lPT10_S7_li.private_seg_size, 0
	.set _ZL37rocblas_syrkx_herkx_restricted_kernelIl19rocblas_complex_numIdELi16ELi32ELi8ELin1ELi0ELb1ELc84ELc85EKPKS1_KPS1_EviT_PT9_S7_lS9_S7_lPT10_S7_li.uses_vcc, 1
	.set _ZL37rocblas_syrkx_herkx_restricted_kernelIl19rocblas_complex_numIdELi16ELi32ELi8ELin1ELi0ELb1ELc84ELc85EKPKS1_KPS1_EviT_PT9_S7_lS9_S7_lPT10_S7_li.uses_flat_scratch, 0
	.set _ZL37rocblas_syrkx_herkx_restricted_kernelIl19rocblas_complex_numIdELi16ELi32ELi8ELin1ELi0ELb1ELc84ELc85EKPKS1_KPS1_EviT_PT9_S7_lS9_S7_lPT10_S7_li.has_dyn_sized_stack, 0
	.set _ZL37rocblas_syrkx_herkx_restricted_kernelIl19rocblas_complex_numIdELi16ELi32ELi8ELin1ELi0ELb1ELc84ELc85EKPKS1_KPS1_EviT_PT9_S7_lS9_S7_lPT10_S7_li.has_recursion, 0
	.set _ZL37rocblas_syrkx_herkx_restricted_kernelIl19rocblas_complex_numIdELi16ELi32ELi8ELin1ELi0ELb1ELc84ELc85EKPKS1_KPS1_EviT_PT9_S7_lS9_S7_lPT10_S7_li.has_indirect_call, 0
	.section	.AMDGPU.csdata,"",@progbits
; Kernel info:
; codeLenInByte = 2952
; TotalNumSgprs: 24
; NumVgprs: 52
; ScratchSize: 0
; MemoryBound: 0
; FloatMode: 240
; IeeeMode: 1
; LDSByteSize: 8192 bytes/workgroup (compile time only)
; SGPRBlocks: 8
; VGPRBlocks: 12
; NumSGPRsForWavesPerEU: 65
; NumVGPRsForWavesPerEU: 52
; Occupancy: 4
; WaveLimiterHint : 1
; COMPUTE_PGM_RSRC2:SCRATCH_EN: 0
; COMPUTE_PGM_RSRC2:USER_SGPR: 6
; COMPUTE_PGM_RSRC2:TRAP_HANDLER: 0
; COMPUTE_PGM_RSRC2:TGID_X_EN: 1
; COMPUTE_PGM_RSRC2:TGID_Y_EN: 1
; COMPUTE_PGM_RSRC2:TGID_Z_EN: 1
; COMPUTE_PGM_RSRC2:TIDIG_COMP_CNT: 1
	.section	.text._ZL37rocblas_syrkx_herkx_restricted_kernelIl19rocblas_complex_numIdELi16ELi32ELi8ELin1ELi0ELb1ELc67ELc85EKPKS1_KPS1_EviT_PT9_S7_lS9_S7_lPT10_S7_li,"axG",@progbits,_ZL37rocblas_syrkx_herkx_restricted_kernelIl19rocblas_complex_numIdELi16ELi32ELi8ELin1ELi0ELb1ELc67ELc85EKPKS1_KPS1_EviT_PT9_S7_lS9_S7_lPT10_S7_li,comdat
	.globl	_ZL37rocblas_syrkx_herkx_restricted_kernelIl19rocblas_complex_numIdELi16ELi32ELi8ELin1ELi0ELb1ELc67ELc85EKPKS1_KPS1_EviT_PT9_S7_lS9_S7_lPT10_S7_li ; -- Begin function _ZL37rocblas_syrkx_herkx_restricted_kernelIl19rocblas_complex_numIdELi16ELi32ELi8ELin1ELi0ELb1ELc67ELc85EKPKS1_KPS1_EviT_PT9_S7_lS9_S7_lPT10_S7_li
	.p2align	8
	.type	_ZL37rocblas_syrkx_herkx_restricted_kernelIl19rocblas_complex_numIdELi16ELi32ELi8ELin1ELi0ELb1ELc67ELc85EKPKS1_KPS1_EviT_PT9_S7_lS9_S7_lPT10_S7_li,@function
_ZL37rocblas_syrkx_herkx_restricted_kernelIl19rocblas_complex_numIdELi16ELi32ELi8ELin1ELi0ELb1ELc67ELc85EKPKS1_KPS1_EviT_PT9_S7_lS9_S7_lPT10_S7_li: ; @_ZL37rocblas_syrkx_herkx_restricted_kernelIl19rocblas_complex_numIdELi16ELi32ELi8ELin1ELi0ELb1ELc67ELc85EKPKS1_KPS1_EviT_PT9_S7_lS9_S7_lPT10_S7_li
; %bb.0:
	s_load_dwordx4 s[0:3], s[4:5], 0x40
	s_load_dwordx4 s[12:15], s[4:5], 0x8
	s_mov_b32 s9, 0
	s_lshl_b64 s[10:11], s[8:9], 3
	s_waitcnt lgkmcnt(0)
	s_add_u32 s0, s0, s10
	s_addc_u32 s1, s1, s11
	s_load_dwordx2 s[8:9], s[0:1], 0x0
	v_cmp_lt_i64_e64 s[0:1], s[12:13], 1
	s_lshl_b32 s6, s6, 5
	s_lshl_b32 s7, s7, 5
	s_and_b64 vcc, exec, s[0:1]
	s_cbranch_vccnz .LBB1795_3
; %bb.1:
	s_load_dwordx2 s[0:1], s[4:5], 0x18
	s_load_dwordx4 s[16:19], s[4:5], 0x28
	v_lshl_add_u32 v4, v1, 4, v0
	v_lshrrev_b32_e32 v8, 3, v4
	v_add_u32_e32 v5, s7, v8
	v_ashrrev_i32_e32 v6, 31, v5
	v_and_b32_e32 v2, 7, v0
	v_mov_b32_e32 v3, 0
	s_waitcnt lgkmcnt(0)
	v_mul_lo_u32 v9, s18, v6
	v_mul_lo_u32 v10, s19, v5
	v_mad_u64_u32 v[6:7], s[18:19], s18, v5, v[2:3]
	s_add_u32 s14, s14, s10
	v_lshlrev_b32_e32 v2, 4, v2
	v_add3_u32 v7, v10, v7, v9
	v_and_b32_e32 v9, 31, v4
	s_addc_u32 s15, s15, s11
	v_lshl_or_b32 v2, v8, 7, v2
	v_add_u32_e32 v8, s6, v9
	s_add_u32 s10, s16, s10
	v_lshrrev_b32_e32 v4, 5, v4
	v_mov_b32_e32 v5, v3
	v_lshlrev_b32_e32 v3, 4, v9
	v_add_u32_e32 v23, 0x1000, v2
	v_ashrrev_i32_e32 v2, 31, v8
	s_addc_u32 s11, s17, s11
	v_lshl_or_b32 v22, v4, 9, v3
	v_mul_lo_u32 v9, s0, v2
	v_mad_u64_u32 v[2:3], s[16:17], s0, v8, v[4:5]
	v_mul_lo_u32 v4, s1, v8
	s_load_dwordx2 s[14:15], s[14:15], 0x0
	v_mov_b32_e32 v5, 0x1000
	s_load_dwordx2 s[10:11], s[10:11], 0x0
	v_add3_u32 v3, v4, v3, v9
	v_lshlrev_b64 v[2:3], 4, v[2:3]
	v_lshl_add_u32 v25, v1, 7, v5
	s_waitcnt lgkmcnt(0)
	v_mov_b32_e32 v5, s15
	v_add_co_u32_e32 v4, vcc, s14, v2
	v_addc_co_u32_e32 v5, vcc, v5, v3, vcc
	v_lshlrev_b64 v[2:3], 4, v[6:7]
	v_mov_b32_e32 v6, s11
	v_add_co_u32_e32 v12, vcc, s10, v2
	v_addc_co_u32_e32 v13, vcc, v6, v3, vcc
	v_mov_b32_e32 v16, 0
	v_mov_b32_e32 v6, 0
	;; [unrolled: 1-line block ×8, first 2 shown]
	v_lshlrev_b32_e32 v24, 4, v0
	v_mov_b32_e32 v17, 0
	v_mov_b32_e32 v7, 0
	v_mov_b32_e32 v19, 0
	v_mov_b32_e32 v9, 0
	v_mov_b32_e32 v15, 0
	v_mov_b32_e32 v3, 0
	v_mov_b32_e32 v21, 0
	v_mov_b32_e32 v11, 0
	s_mov_b64 s[0:1], 0
.LBB1795_2:                             ; =>This Inner Loop Header: Depth=1
	flat_load_dwordx4 v[26:29], v[4:5]
	s_add_u32 s0, s0, 8
	v_add_co_u32_e32 v4, vcc, 0x80, v4
	s_addc_u32 s1, s1, 0
	v_addc_co_u32_e32 v5, vcc, 0, v5, vcc
	s_waitcnt vmcnt(0) lgkmcnt(0)
	v_xor_b32_e32 v29, 0x80000000, v29
	ds_write_b128 v22, v[26:29]
	flat_load_dwordx4 v[26:29], v[12:13]
	v_add_co_u32_e32 v12, vcc, 0x80, v12
	v_addc_co_u32_e32 v13, vcc, 0, v13, vcc
	s_waitcnt vmcnt(0) lgkmcnt(0)
	ds_write_b128 v23, v[26:29]
	s_waitcnt lgkmcnt(0)
	s_barrier
	ds_read_b128 v[26:29], v25
	ds_read_b128 v[30:33], v25 offset:16
	ds_read_b128 v[34:37], v25 offset:32
	;; [unrolled: 1-line block ×3, first 2 shown]
	ds_read_b128 v[42:45], v24
	s_waitcnt lgkmcnt(0)
	v_mul_f64 v[46:47], v[28:29], v[44:45]
	v_mul_f64 v[48:49], v[26:27], v[44:45]
	v_fma_f64 v[46:47], v[26:27], v[42:43], -v[46:47]
	v_fma_f64 v[48:49], v[28:29], v[42:43], v[48:49]
	v_add_f64 v[10:11], v[10:11], v[46:47]
	v_add_f64 v[20:21], v[48:49], v[20:21]
	ds_read_b128 v[46:49], v24 offset:256
	s_waitcnt lgkmcnt(0)
	v_mul_f64 v[50:51], v[28:29], v[48:49]
	v_fma_f64 v[50:51], v[26:27], v[46:47], -v[50:51]
	v_mul_f64 v[26:27], v[26:27], v[48:49]
	v_add_f64 v[2:3], v[2:3], v[50:51]
	v_fma_f64 v[26:27], v[28:29], v[46:47], v[26:27]
	v_add_f64 v[50:51], v[26:27], v[14:15]
	ds_read_b128 v[26:29], v25 offset:2048
	s_waitcnt lgkmcnt(0)
	v_mul_f64 v[14:15], v[28:29], v[44:45]
	v_mul_f64 v[44:45], v[26:27], v[44:45]
	v_fma_f64 v[14:15], v[26:27], v[42:43], -v[14:15]
	v_fma_f64 v[42:43], v[28:29], v[42:43], v[44:45]
	v_add_f64 v[44:45], v[8:9], v[14:15]
	v_mul_f64 v[8:9], v[28:29], v[48:49]
	v_mul_f64 v[14:15], v[26:27], v[48:49]
	v_add_f64 v[42:43], v[42:43], v[18:19]
	v_fma_f64 v[8:9], v[26:27], v[46:47], -v[8:9]
	v_fma_f64 v[14:15], v[28:29], v[46:47], v[14:15]
	v_add_f64 v[26:27], v[6:7], v[8:9]
	ds_read_b128 v[6:9], v24 offset:512
	v_add_f64 v[28:29], v[14:15], v[16:17]
	s_waitcnt lgkmcnt(0)
	v_mul_f64 v[14:15], v[32:33], v[8:9]
	v_mul_f64 v[16:17], v[30:31], v[8:9]
	v_fma_f64 v[14:15], v[30:31], v[6:7], -v[14:15]
	v_fma_f64 v[16:17], v[32:33], v[6:7], v[16:17]
	v_add_f64 v[10:11], v[10:11], v[14:15]
	v_add_f64 v[46:47], v[16:17], v[20:21]
	ds_read_b128 v[14:17], v24 offset:768
	s_waitcnt lgkmcnt(0)
	v_mul_f64 v[18:19], v[32:33], v[16:17]
	v_mul_f64 v[20:21], v[30:31], v[16:17]
	v_fma_f64 v[18:19], v[30:31], v[14:15], -v[18:19]
	v_fma_f64 v[20:21], v[32:33], v[14:15], v[20:21]
	v_add_f64 v[2:3], v[2:3], v[18:19]
	v_add_f64 v[30:31], v[20:21], v[50:51]
	ds_read_b128 v[18:21], v25 offset:2064
	s_waitcnt lgkmcnt(0)
	v_mul_f64 v[32:33], v[20:21], v[8:9]
	v_mul_f64 v[8:9], v[18:19], v[8:9]
	v_fma_f64 v[32:33], v[18:19], v[6:7], -v[32:33]
	v_fma_f64 v[6:7], v[20:21], v[6:7], v[8:9]
	v_mul_f64 v[8:9], v[18:19], v[16:17]
	v_add_f64 v[32:33], v[44:45], v[32:33]
	v_add_f64 v[42:43], v[6:7], v[42:43]
	v_mul_f64 v[6:7], v[20:21], v[16:17]
	v_fma_f64 v[8:9], v[20:21], v[14:15], v[8:9]
	v_fma_f64 v[6:7], v[18:19], v[14:15], -v[6:7]
	v_add_f64 v[28:29], v[8:9], v[28:29]
	v_add_f64 v[26:27], v[26:27], v[6:7]
	ds_read_b128 v[6:9], v24 offset:1024
	s_waitcnt lgkmcnt(0)
	v_mul_f64 v[14:15], v[36:37], v[8:9]
	v_mul_f64 v[16:17], v[34:35], v[8:9]
	v_fma_f64 v[14:15], v[34:35], v[6:7], -v[14:15]
	v_fma_f64 v[16:17], v[36:37], v[6:7], v[16:17]
	v_add_f64 v[10:11], v[10:11], v[14:15]
	v_add_f64 v[44:45], v[16:17], v[46:47]
	ds_read_b128 v[14:17], v24 offset:1280
	s_waitcnt lgkmcnt(0)
	v_mul_f64 v[18:19], v[36:37], v[16:17]
	v_mul_f64 v[20:21], v[34:35], v[16:17]
	v_fma_f64 v[18:19], v[34:35], v[14:15], -v[18:19]
	v_fma_f64 v[20:21], v[36:37], v[14:15], v[20:21]
	v_add_f64 v[2:3], v[2:3], v[18:19]
	v_add_f64 v[30:31], v[20:21], v[30:31]
	ds_read_b128 v[18:21], v25 offset:2080
	s_waitcnt lgkmcnt(0)
	v_mul_f64 v[34:35], v[20:21], v[8:9]
	v_mul_f64 v[8:9], v[18:19], v[8:9]
	v_fma_f64 v[34:35], v[18:19], v[6:7], -v[34:35]
	v_fma_f64 v[6:7], v[20:21], v[6:7], v[8:9]
	v_mul_f64 v[8:9], v[18:19], v[16:17]
	v_add_f64 v[32:33], v[32:33], v[34:35]
	v_add_f64 v[34:35], v[6:7], v[42:43]
	v_mul_f64 v[6:7], v[20:21], v[16:17]
	v_fma_f64 v[8:9], v[20:21], v[14:15], v[8:9]
	v_fma_f64 v[6:7], v[18:19], v[14:15], -v[6:7]
	v_add_f64 v[28:29], v[8:9], v[28:29]
	v_add_f64 v[26:27], v[26:27], v[6:7]
	ds_read_b128 v[6:9], v24 offset:1536
	;; [unrolled: 30-line block ×3, first 2 shown]
	ds_read_b128 v[14:17], v24 offset:2048
	s_waitcnt lgkmcnt(0)
	v_mul_f64 v[18:19], v[8:9], v[16:17]
	v_mul_f64 v[20:21], v[6:7], v[16:17]
	v_fma_f64 v[18:19], v[6:7], v[14:15], -v[18:19]
	v_fma_f64 v[20:21], v[8:9], v[14:15], v[20:21]
	v_add_f64 v[10:11], v[10:11], v[18:19]
	v_add_f64 v[36:37], v[20:21], v[36:37]
	ds_read_b128 v[18:21], v24 offset:2304
	s_waitcnt lgkmcnt(0)
	v_mul_f64 v[38:39], v[8:9], v[20:21]
	v_fma_f64 v[38:39], v[6:7], v[18:19], -v[38:39]
	v_mul_f64 v[6:7], v[6:7], v[20:21]
	v_add_f64 v[2:3], v[2:3], v[38:39]
	v_fma_f64 v[6:7], v[8:9], v[18:19], v[6:7]
	v_add_f64 v[30:31], v[6:7], v[30:31]
	ds_read_b128 v[6:9], v25 offset:2112
	s_waitcnt lgkmcnt(0)
	v_mul_f64 v[38:39], v[8:9], v[16:17]
	v_mul_f64 v[16:17], v[6:7], v[16:17]
	v_fma_f64 v[38:39], v[6:7], v[14:15], -v[38:39]
	v_fma_f64 v[14:15], v[8:9], v[14:15], v[16:17]
	v_add_f64 v[32:33], v[32:33], v[38:39]
	v_add_f64 v[34:35], v[14:15], v[34:35]
	v_mul_f64 v[14:15], v[8:9], v[20:21]
	v_fma_f64 v[14:15], v[6:7], v[18:19], -v[14:15]
	v_mul_f64 v[6:7], v[6:7], v[20:21]
	v_add_f64 v[26:27], v[26:27], v[14:15]
	v_fma_f64 v[6:7], v[8:9], v[18:19], v[6:7]
	v_add_f64 v[28:29], v[6:7], v[28:29]
	ds_read_b128 v[6:9], v25 offset:80
	ds_read_b128 v[14:17], v24 offset:2560
	s_waitcnt lgkmcnt(0)
	v_mul_f64 v[18:19], v[8:9], v[16:17]
	v_mul_f64 v[20:21], v[6:7], v[16:17]
	v_fma_f64 v[18:19], v[6:7], v[14:15], -v[18:19]
	v_fma_f64 v[20:21], v[8:9], v[14:15], v[20:21]
	v_add_f64 v[10:11], v[10:11], v[18:19]
	v_add_f64 v[36:37], v[20:21], v[36:37]
	ds_read_b128 v[18:21], v24 offset:2816
	s_waitcnt lgkmcnt(0)
	v_mul_f64 v[38:39], v[8:9], v[20:21]
	v_fma_f64 v[38:39], v[6:7], v[18:19], -v[38:39]
	v_mul_f64 v[6:7], v[6:7], v[20:21]
	v_add_f64 v[2:3], v[2:3], v[38:39]
	v_fma_f64 v[6:7], v[8:9], v[18:19], v[6:7]
	v_add_f64 v[30:31], v[6:7], v[30:31]
	ds_read_b128 v[6:9], v25 offset:2128
	s_waitcnt lgkmcnt(0)
	v_mul_f64 v[38:39], v[8:9], v[16:17]
	v_mul_f64 v[16:17], v[6:7], v[16:17]
	v_fma_f64 v[38:39], v[6:7], v[14:15], -v[38:39]
	v_fma_f64 v[14:15], v[8:9], v[14:15], v[16:17]
	v_add_f64 v[32:33], v[32:33], v[38:39]
	v_add_f64 v[34:35], v[14:15], v[34:35]
	v_mul_f64 v[14:15], v[8:9], v[20:21]
	v_fma_f64 v[14:15], v[6:7], v[18:19], -v[14:15]
	v_mul_f64 v[6:7], v[6:7], v[20:21]
	v_add_f64 v[26:27], v[26:27], v[14:15]
	v_fma_f64 v[6:7], v[8:9], v[18:19], v[6:7]
	v_add_f64 v[28:29], v[6:7], v[28:29]
	ds_read_b128 v[6:9], v25 offset:96
	;; [unrolled: 31-line block ×3, first 2 shown]
	ds_read_b128 v[16:19], v24 offset:3584
	ds_read_b128 v[26:29], v24 offset:3840
	s_waitcnt lgkmcnt(1)
	v_mul_f64 v[14:15], v[8:9], v[18:19]
	v_mul_f64 v[20:21], v[6:7], v[18:19]
	v_fma_f64 v[14:15], v[6:7], v[16:17], -v[14:15]
	v_fma_f64 v[20:21], v[8:9], v[16:17], v[20:21]
	v_add_f64 v[10:11], v[10:11], v[14:15]
	s_waitcnt lgkmcnt(0)
	v_mul_f64 v[14:15], v[8:9], v[28:29]
	v_add_f64 v[20:21], v[20:21], v[36:37]
	v_fma_f64 v[14:15], v[6:7], v[26:27], -v[14:15]
	v_mul_f64 v[6:7], v[6:7], v[28:29]
	v_add_f64 v[2:3], v[2:3], v[14:15]
	v_fma_f64 v[6:7], v[8:9], v[26:27], v[6:7]
	v_add_f64 v[14:15], v[6:7], v[30:31]
	ds_read_b128 v[30:33], v25 offset:2160
	s_waitcnt lgkmcnt(0)
	s_barrier
	v_mul_f64 v[6:7], v[32:33], v[18:19]
	v_mul_f64 v[8:9], v[30:31], v[18:19]
	v_fma_f64 v[6:7], v[30:31], v[16:17], -v[6:7]
	v_fma_f64 v[16:17], v[32:33], v[16:17], v[8:9]
	v_add_f64 v[8:9], v[38:39], v[6:7]
	v_add_f64 v[18:19], v[16:17], v[34:35]
	v_mul_f64 v[6:7], v[32:33], v[28:29]
	v_mul_f64 v[16:17], v[30:31], v[28:29]
	v_fma_f64 v[6:7], v[30:31], v[26:27], -v[6:7]
	v_fma_f64 v[16:17], v[32:33], v[26:27], v[16:17]
	v_mov_b32_e32 v27, s1
	v_mov_b32_e32 v26, s0
	v_cmp_le_u64_e32 vcc, s[12:13], v[26:27]
	v_add_f64 v[6:7], v[40:41], v[6:7]
	v_add_f64 v[16:17], v[16:17], v[42:43]
	s_cbranch_vccz .LBB1795_2
	s_branch .LBB1795_4
.LBB1795_3:
	v_mov_b32_e32 v10, 0
	v_mov_b32_e32 v20, 0
	;; [unrolled: 1-line block ×16, first 2 shown]
.LBB1795_4:
	v_add_u32_e32 v22, s7, v1
	v_ashrrev_i32_e32 v1, 31, v22
	v_mul_lo_u32 v1, s2, v1
	v_mul_lo_u32 v12, s3, v22
	v_mad_u64_u32 v[4:5], s[0:1], s2, v22, 0
	s_load_dword s10, s[4:5], 0x0
	v_add_u32_e32 v0, s6, v0
	v_add3_u32 v5, v5, v1, v12
	v_lshlrev_b64 v[4:5], 4, v[4:5]
	s_waitcnt lgkmcnt(0)
	v_mov_b32_e32 v1, s9
	v_add_co_u32_e64 v4, s[0:1], s8, v4
	v_addc_co_u32_e64 v5, s[0:1], v1, v5, s[0:1]
	v_cmp_gt_i32_e32 vcc, s10, v22
	v_cmp_le_i32_e64 s[0:1], v0, v22
	s_and_b64 s[0:1], vcc, s[0:1]
	s_and_saveexec_b64 s[4:5], s[0:1]
	s_cbranch_execz .LBB1795_6
; %bb.5:
	v_ashrrev_i32_e32 v1, 31, v0
	v_lshlrev_b64 v[12:13], 4, v[0:1]
	v_xor_b32_e32 v11, 0x80000000, v11
	v_add_co_u32_e64 v23, s[0:1], v4, v12
	v_addc_co_u32_e64 v24, s[0:1], v5, v13, s[0:1]
	v_cmp_ne_u32_e64 s[0:1], v22, v0
	v_cndmask_b32_e64 v13, 0, -v21, s[0:1]
	v_cndmask_b32_e64 v12, 0, v20, s[0:1]
	flat_store_dwordx4 v[23:24], v[10:13]
.LBB1795_6:
	s_or_b64 exec, exec, s[4:5]
	v_add_u32_e32 v12, 16, v0
	v_cmp_le_i32_e64 s[0:1], v12, v22
	s_and_b64 s[4:5], vcc, s[0:1]
	s_and_saveexec_b64 s[0:1], s[4:5]
	s_cbranch_execz .LBB1795_8
; %bb.7:
	v_ashrrev_i32_e32 v13, 31, v12
	v_lshlrev_b64 v[10:11], 4, v[12:13]
	v_xor_b32_e32 v3, 0x80000000, v3
	v_add_co_u32_e32 v10, vcc, v4, v10
	v_addc_co_u32_e32 v11, vcc, v5, v11, vcc
	v_cmp_ne_u32_e32 vcc, v22, v12
	v_cndmask_b32_e64 v5, 0, -v15, vcc
	v_cndmask_b32_e32 v4, 0, v14, vcc
	flat_store_dwordx4 v[10:11], v[2:5]
.LBB1795_8:
	s_or_b64 exec, exec, s[0:1]
	v_add_u32_e32 v2, 16, v22
	v_ashrrev_i32_e32 v1, 31, v2
	v_mul_lo_u32 v1, s2, v1
	v_mul_lo_u32 v5, s3, v2
	v_mad_u64_u32 v[3:4], s[0:1], s2, v2, 0
	v_cmp_gt_i32_e32 vcc, s10, v2
	v_add3_u32 v4, v4, v1, v5
	v_lshlrev_b64 v[3:4], 4, v[3:4]
	v_mov_b32_e32 v1, s9
	v_add_co_u32_e64 v3, s[0:1], s8, v3
	v_addc_co_u32_e64 v4, s[0:1], v1, v4, s[0:1]
	v_cmp_le_i32_e64 s[0:1], v0, v2
	s_and_b64 s[0:1], vcc, s[0:1]
	s_and_saveexec_b64 s[2:3], s[0:1]
	s_cbranch_execz .LBB1795_10
; %bb.9:
	v_ashrrev_i32_e32 v1, 31, v0
	v_lshlrev_b64 v[10:11], 4, v[0:1]
	v_xor_b32_e32 v9, 0x80000000, v9
	v_add_co_u32_e64 v13, s[0:1], v3, v10
	v_addc_co_u32_e64 v14, s[0:1], v4, v11, s[0:1]
	v_cmp_ne_u32_e64 s[0:1], v2, v0
	v_cndmask_b32_e64 v11, 0, -v19, s[0:1]
	v_cndmask_b32_e64 v10, 0, v18, s[0:1]
	flat_store_dwordx4 v[13:14], v[8:11]
.LBB1795_10:
	s_or_b64 exec, exec, s[2:3]
	v_cmp_le_i32_e64 s[0:1], v12, v2
	s_and_b64 s[0:1], vcc, s[0:1]
	s_and_saveexec_b64 s[2:3], s[0:1]
	s_cbranch_execz .LBB1795_12
; %bb.11:
	v_ashrrev_i32_e32 v13, 31, v12
	v_lshlrev_b64 v[1:2], 4, v[12:13]
	v_xor_b32_e32 v7, 0x80000000, v7
	v_add_co_u32_e32 v1, vcc, v3, v1
	v_addc_co_u32_e32 v2, vcc, v4, v2, vcc
	v_cmp_ne_u32_e32 vcc, v22, v0
	v_cndmask_b32_e64 v9, 0, -v17, vcc
	v_cndmask_b32_e32 v8, 0, v16, vcc
	flat_store_dwordx4 v[1:2], v[6:9]
.LBB1795_12:
	s_endpgm
	.section	.rodata,"a",@progbits
	.p2align	6, 0x0
	.amdhsa_kernel _ZL37rocblas_syrkx_herkx_restricted_kernelIl19rocblas_complex_numIdELi16ELi32ELi8ELin1ELi0ELb1ELc67ELc85EKPKS1_KPS1_EviT_PT9_S7_lS9_S7_lPT10_S7_li
		.amdhsa_group_segment_fixed_size 8192
		.amdhsa_private_segment_fixed_size 0
		.amdhsa_kernarg_size 92
		.amdhsa_user_sgpr_count 6
		.amdhsa_user_sgpr_private_segment_buffer 1
		.amdhsa_user_sgpr_dispatch_ptr 0
		.amdhsa_user_sgpr_queue_ptr 0
		.amdhsa_user_sgpr_kernarg_segment_ptr 1
		.amdhsa_user_sgpr_dispatch_id 0
		.amdhsa_user_sgpr_flat_scratch_init 0
		.amdhsa_user_sgpr_private_segment_size 0
		.amdhsa_uses_dynamic_stack 0
		.amdhsa_system_sgpr_private_segment_wavefront_offset 0
		.amdhsa_system_sgpr_workgroup_id_x 1
		.amdhsa_system_sgpr_workgroup_id_y 1
		.amdhsa_system_sgpr_workgroup_id_z 1
		.amdhsa_system_sgpr_workgroup_info 0
		.amdhsa_system_vgpr_workitem_id 1
		.amdhsa_next_free_vgpr 52
		.amdhsa_next_free_sgpr 61
		.amdhsa_reserve_vcc 1
		.amdhsa_reserve_flat_scratch 0
		.amdhsa_float_round_mode_32 0
		.amdhsa_float_round_mode_16_64 0
		.amdhsa_float_denorm_mode_32 3
		.amdhsa_float_denorm_mode_16_64 3
		.amdhsa_dx10_clamp 1
		.amdhsa_ieee_mode 1
		.amdhsa_fp16_overflow 0
		.amdhsa_exception_fp_ieee_invalid_op 0
		.amdhsa_exception_fp_denorm_src 0
		.amdhsa_exception_fp_ieee_div_zero 0
		.amdhsa_exception_fp_ieee_overflow 0
		.amdhsa_exception_fp_ieee_underflow 0
		.amdhsa_exception_fp_ieee_inexact 0
		.amdhsa_exception_int_div_zero 0
	.end_amdhsa_kernel
	.section	.text._ZL37rocblas_syrkx_herkx_restricted_kernelIl19rocblas_complex_numIdELi16ELi32ELi8ELin1ELi0ELb1ELc67ELc85EKPKS1_KPS1_EviT_PT9_S7_lS9_S7_lPT10_S7_li,"axG",@progbits,_ZL37rocblas_syrkx_herkx_restricted_kernelIl19rocblas_complex_numIdELi16ELi32ELi8ELin1ELi0ELb1ELc67ELc85EKPKS1_KPS1_EviT_PT9_S7_lS9_S7_lPT10_S7_li,comdat
.Lfunc_end1795:
	.size	_ZL37rocblas_syrkx_herkx_restricted_kernelIl19rocblas_complex_numIdELi16ELi32ELi8ELin1ELi0ELb1ELc67ELc85EKPKS1_KPS1_EviT_PT9_S7_lS9_S7_lPT10_S7_li, .Lfunc_end1795-_ZL37rocblas_syrkx_herkx_restricted_kernelIl19rocblas_complex_numIdELi16ELi32ELi8ELin1ELi0ELb1ELc67ELc85EKPKS1_KPS1_EviT_PT9_S7_lS9_S7_lPT10_S7_li
                                        ; -- End function
	.set _ZL37rocblas_syrkx_herkx_restricted_kernelIl19rocblas_complex_numIdELi16ELi32ELi8ELin1ELi0ELb1ELc67ELc85EKPKS1_KPS1_EviT_PT9_S7_lS9_S7_lPT10_S7_li.num_vgpr, 52
	.set _ZL37rocblas_syrkx_herkx_restricted_kernelIl19rocblas_complex_numIdELi16ELi32ELi8ELin1ELi0ELb1ELc67ELc85EKPKS1_KPS1_EviT_PT9_S7_lS9_S7_lPT10_S7_li.num_agpr, 0
	.set _ZL37rocblas_syrkx_herkx_restricted_kernelIl19rocblas_complex_numIdELi16ELi32ELi8ELin1ELi0ELb1ELc67ELc85EKPKS1_KPS1_EviT_PT9_S7_lS9_S7_lPT10_S7_li.numbered_sgpr, 20
	.set _ZL37rocblas_syrkx_herkx_restricted_kernelIl19rocblas_complex_numIdELi16ELi32ELi8ELin1ELi0ELb1ELc67ELc85EKPKS1_KPS1_EviT_PT9_S7_lS9_S7_lPT10_S7_li.num_named_barrier, 0
	.set _ZL37rocblas_syrkx_herkx_restricted_kernelIl19rocblas_complex_numIdELi16ELi32ELi8ELin1ELi0ELb1ELc67ELc85EKPKS1_KPS1_EviT_PT9_S7_lS9_S7_lPT10_S7_li.private_seg_size, 0
	.set _ZL37rocblas_syrkx_herkx_restricted_kernelIl19rocblas_complex_numIdELi16ELi32ELi8ELin1ELi0ELb1ELc67ELc85EKPKS1_KPS1_EviT_PT9_S7_lS9_S7_lPT10_S7_li.uses_vcc, 1
	.set _ZL37rocblas_syrkx_herkx_restricted_kernelIl19rocblas_complex_numIdELi16ELi32ELi8ELin1ELi0ELb1ELc67ELc85EKPKS1_KPS1_EviT_PT9_S7_lS9_S7_lPT10_S7_li.uses_flat_scratch, 0
	.set _ZL37rocblas_syrkx_herkx_restricted_kernelIl19rocblas_complex_numIdELi16ELi32ELi8ELin1ELi0ELb1ELc67ELc85EKPKS1_KPS1_EviT_PT9_S7_lS9_S7_lPT10_S7_li.has_dyn_sized_stack, 0
	.set _ZL37rocblas_syrkx_herkx_restricted_kernelIl19rocblas_complex_numIdELi16ELi32ELi8ELin1ELi0ELb1ELc67ELc85EKPKS1_KPS1_EviT_PT9_S7_lS9_S7_lPT10_S7_li.has_recursion, 0
	.set _ZL37rocblas_syrkx_herkx_restricted_kernelIl19rocblas_complex_numIdELi16ELi32ELi8ELin1ELi0ELb1ELc67ELc85EKPKS1_KPS1_EviT_PT9_S7_lS9_S7_lPT10_S7_li.has_indirect_call, 0
	.section	.AMDGPU.csdata,"",@progbits
; Kernel info:
; codeLenInByte = 2960
; TotalNumSgprs: 24
; NumVgprs: 52
; ScratchSize: 0
; MemoryBound: 0
; FloatMode: 240
; IeeeMode: 1
; LDSByteSize: 8192 bytes/workgroup (compile time only)
; SGPRBlocks: 8
; VGPRBlocks: 12
; NumSGPRsForWavesPerEU: 65
; NumVGPRsForWavesPerEU: 52
; Occupancy: 4
; WaveLimiterHint : 1
; COMPUTE_PGM_RSRC2:SCRATCH_EN: 0
; COMPUTE_PGM_RSRC2:USER_SGPR: 6
; COMPUTE_PGM_RSRC2:TRAP_HANDLER: 0
; COMPUTE_PGM_RSRC2:TGID_X_EN: 1
; COMPUTE_PGM_RSRC2:TGID_Y_EN: 1
; COMPUTE_PGM_RSRC2:TGID_Z_EN: 1
; COMPUTE_PGM_RSRC2:TIDIG_COMP_CNT: 1
	.section	.text._ZL37rocblas_syrkx_herkx_restricted_kernelIl19rocblas_complex_numIdELi16ELi32ELi8ELin1ELi0ELb1ELc78ELc85EKPKS1_KPS1_EviT_PT9_S7_lS9_S7_lPT10_S7_li,"axG",@progbits,_ZL37rocblas_syrkx_herkx_restricted_kernelIl19rocblas_complex_numIdELi16ELi32ELi8ELin1ELi0ELb1ELc78ELc85EKPKS1_KPS1_EviT_PT9_S7_lS9_S7_lPT10_S7_li,comdat
	.globl	_ZL37rocblas_syrkx_herkx_restricted_kernelIl19rocblas_complex_numIdELi16ELi32ELi8ELin1ELi0ELb1ELc78ELc85EKPKS1_KPS1_EviT_PT9_S7_lS9_S7_lPT10_S7_li ; -- Begin function _ZL37rocblas_syrkx_herkx_restricted_kernelIl19rocblas_complex_numIdELi16ELi32ELi8ELin1ELi0ELb1ELc78ELc85EKPKS1_KPS1_EviT_PT9_S7_lS9_S7_lPT10_S7_li
	.p2align	8
	.type	_ZL37rocblas_syrkx_herkx_restricted_kernelIl19rocblas_complex_numIdELi16ELi32ELi8ELin1ELi0ELb1ELc78ELc85EKPKS1_KPS1_EviT_PT9_S7_lS9_S7_lPT10_S7_li,@function
_ZL37rocblas_syrkx_herkx_restricted_kernelIl19rocblas_complex_numIdELi16ELi32ELi8ELin1ELi0ELb1ELc78ELc85EKPKS1_KPS1_EviT_PT9_S7_lS9_S7_lPT10_S7_li: ; @_ZL37rocblas_syrkx_herkx_restricted_kernelIl19rocblas_complex_numIdELi16ELi32ELi8ELin1ELi0ELb1ELc78ELc85EKPKS1_KPS1_EviT_PT9_S7_lS9_S7_lPT10_S7_li
; %bb.0:
	s_load_dwordx4 s[0:3], s[4:5], 0x40
	s_load_dwordx4 s[12:15], s[4:5], 0x8
	s_mov_b32 s9, 0
	s_lshl_b64 s[18:19], s[8:9], 3
	s_waitcnt lgkmcnt(0)
	s_add_u32 s0, s0, s18
	s_addc_u32 s1, s1, s19
	s_load_dwordx2 s[16:17], s[0:1], 0x0
	v_cmp_lt_i64_e64 s[0:1], s[12:13], 1
	s_lshl_b32 s20, s6, 5
	s_lshl_b32 s21, s7, 5
	s_and_b64 vcc, exec, s[0:1]
	s_cbranch_vccnz .LBB1796_3
; %bb.1:
	s_load_dwordx2 s[0:1], s[4:5], 0x18
	s_load_dwordx4 s[8:11], s[4:5], 0x28
	v_lshl_add_u32 v5, v1, 4, v0
	v_lshrrev_b32_e32 v7, 3, v5
	v_add_u32_e32 v2, s21, v7
	v_and_b32_e32 v6, 7, v0
	v_ashrrev_i32_e32 v3, 31, v2
	s_waitcnt lgkmcnt(0)
	v_mad_u64_u32 v[2:3], s[6:7], s10, v6, v[2:3]
	s_add_u32 s6, s14, s18
	s_addc_u32 s7, s15, s19
	v_mad_u64_u32 v[3:4], s[14:15], s11, v6, v[3:4]
	v_and_b32_e32 v4, 31, v5
	v_lshrrev_b32_e32 v8, 5, v5
	v_lshlrev_b32_e32 v5, 4, v4
	v_add_u32_e32 v4, s20, v4
	v_lshl_or_b32 v22, v8, 9, v5
	v_ashrrev_i32_e32 v5, 31, v4
	v_mad_u64_u32 v[4:5], s[14:15], s0, v8, v[4:5]
	v_lshlrev_b32_e32 v6, 4, v6
	v_lshl_or_b32 v6, v7, 7, v6
	v_add_u32_e32 v23, 0x1000, v6
	v_mad_u64_u32 v[5:6], s[14:15], s1, v8, v[5:6]
	s_load_dwordx2 s[6:7], s[6:7], 0x0
	s_add_u32 s8, s8, s18
	s_addc_u32 s9, s9, s19
	s_load_dwordx2 s[8:9], s[8:9], 0x0
	v_lshlrev_b64 v[4:5], 4, v[4:5]
	v_mov_b32_e32 v6, 0x1000
	v_lshl_add_u32 v25, v1, 7, v6
	s_waitcnt lgkmcnt(0)
	v_mov_b32_e32 v6, s7
	v_add_co_u32_e32 v4, vcc, s6, v4
	v_lshlrev_b64 v[2:3], 4, v[2:3]
	v_addc_co_u32_e32 v5, vcc, v6, v5, vcc
	v_mov_b32_e32 v6, s9
	v_add_co_u32_e32 v12, vcc, s8, v2
	s_lshl_b64 s[0:1], s[0:1], 7
	v_addc_co_u32_e32 v13, vcc, v6, v3, vcc
	s_lshl_b64 s[6:7], s[10:11], 7
	v_mov_b32_e32 v16, 0
	v_mov_b32_e32 v6, 0
	;; [unrolled: 1-line block ×8, first 2 shown]
	v_lshlrev_b32_e32 v24, 4, v0
	v_mov_b32_e32 v17, 0
	s_mov_b64 s[8:9], 0
	v_mov_b32_e32 v26, s1
	v_mov_b32_e32 v7, 0
	;; [unrolled: 1-line block ×9, first 2 shown]
.LBB1796_2:                             ; =>This Inner Loop Header: Depth=1
	flat_load_dwordx4 v[28:31], v[4:5]
	s_add_u32 s8, s8, 8
	v_add_co_u32_e32 v4, vcc, s0, v4
	s_addc_u32 s9, s9, 0
	v_addc_co_u32_e32 v5, vcc, v5, v26, vcc
	s_waitcnt vmcnt(0) lgkmcnt(0)
	ds_write_b128 v22, v[28:31]
	flat_load_dwordx4 v[28:31], v[12:13]
	v_add_co_u32_e32 v12, vcc, s6, v12
	v_addc_co_u32_e32 v13, vcc, v13, v27, vcc
	s_waitcnt vmcnt(0) lgkmcnt(0)
	v_xor_b32_e32 v31, 0x80000000, v31
	ds_write_b128 v23, v[28:31]
	s_waitcnt lgkmcnt(0)
	s_barrier
	ds_read_b128 v[28:31], v25
	ds_read_b128 v[32:35], v25 offset:16
	ds_read_b128 v[36:39], v25 offset:32
	;; [unrolled: 1-line block ×3, first 2 shown]
	ds_read_b128 v[44:47], v24
	s_waitcnt lgkmcnt(0)
	v_mul_f64 v[48:49], v[30:31], v[46:47]
	v_mul_f64 v[50:51], v[28:29], v[46:47]
	v_fma_f64 v[48:49], v[28:29], v[44:45], -v[48:49]
	v_fma_f64 v[50:51], v[30:31], v[44:45], v[50:51]
	v_add_f64 v[10:11], v[10:11], v[48:49]
	v_add_f64 v[20:21], v[50:51], v[20:21]
	ds_read_b128 v[48:51], v24 offset:256
	s_waitcnt lgkmcnt(0)
	v_mul_f64 v[52:53], v[30:31], v[50:51]
	v_fma_f64 v[52:53], v[28:29], v[48:49], -v[52:53]
	v_mul_f64 v[28:29], v[28:29], v[50:51]
	v_add_f64 v[2:3], v[2:3], v[52:53]
	v_fma_f64 v[28:29], v[30:31], v[48:49], v[28:29]
	v_add_f64 v[52:53], v[28:29], v[14:15]
	ds_read_b128 v[28:31], v25 offset:2048
	s_waitcnt lgkmcnt(0)
	v_mul_f64 v[14:15], v[30:31], v[46:47]
	v_mul_f64 v[46:47], v[28:29], v[46:47]
	v_fma_f64 v[14:15], v[28:29], v[44:45], -v[14:15]
	v_fma_f64 v[44:45], v[30:31], v[44:45], v[46:47]
	v_add_f64 v[46:47], v[8:9], v[14:15]
	v_mul_f64 v[8:9], v[30:31], v[50:51]
	v_mul_f64 v[14:15], v[28:29], v[50:51]
	v_add_f64 v[44:45], v[44:45], v[18:19]
	v_fma_f64 v[8:9], v[28:29], v[48:49], -v[8:9]
	v_fma_f64 v[14:15], v[30:31], v[48:49], v[14:15]
	v_add_f64 v[28:29], v[6:7], v[8:9]
	ds_read_b128 v[6:9], v24 offset:512
	v_add_f64 v[30:31], v[14:15], v[16:17]
	s_waitcnt lgkmcnt(0)
	v_mul_f64 v[14:15], v[34:35], v[8:9]
	v_mul_f64 v[16:17], v[32:33], v[8:9]
	v_fma_f64 v[14:15], v[32:33], v[6:7], -v[14:15]
	v_fma_f64 v[16:17], v[34:35], v[6:7], v[16:17]
	v_add_f64 v[10:11], v[10:11], v[14:15]
	v_add_f64 v[48:49], v[16:17], v[20:21]
	ds_read_b128 v[14:17], v24 offset:768
	s_waitcnt lgkmcnt(0)
	v_mul_f64 v[18:19], v[34:35], v[16:17]
	v_mul_f64 v[20:21], v[32:33], v[16:17]
	v_fma_f64 v[18:19], v[32:33], v[14:15], -v[18:19]
	v_fma_f64 v[20:21], v[34:35], v[14:15], v[20:21]
	v_add_f64 v[2:3], v[2:3], v[18:19]
	v_add_f64 v[32:33], v[20:21], v[52:53]
	ds_read_b128 v[18:21], v25 offset:2064
	s_waitcnt lgkmcnt(0)
	v_mul_f64 v[34:35], v[20:21], v[8:9]
	v_mul_f64 v[8:9], v[18:19], v[8:9]
	v_fma_f64 v[34:35], v[18:19], v[6:7], -v[34:35]
	v_fma_f64 v[6:7], v[20:21], v[6:7], v[8:9]
	v_mul_f64 v[8:9], v[18:19], v[16:17]
	v_add_f64 v[34:35], v[46:47], v[34:35]
	v_add_f64 v[44:45], v[6:7], v[44:45]
	v_mul_f64 v[6:7], v[20:21], v[16:17]
	v_fma_f64 v[8:9], v[20:21], v[14:15], v[8:9]
	v_fma_f64 v[6:7], v[18:19], v[14:15], -v[6:7]
	v_add_f64 v[30:31], v[8:9], v[30:31]
	v_add_f64 v[28:29], v[28:29], v[6:7]
	ds_read_b128 v[6:9], v24 offset:1024
	s_waitcnt lgkmcnt(0)
	v_mul_f64 v[14:15], v[38:39], v[8:9]
	v_mul_f64 v[16:17], v[36:37], v[8:9]
	v_fma_f64 v[14:15], v[36:37], v[6:7], -v[14:15]
	v_fma_f64 v[16:17], v[38:39], v[6:7], v[16:17]
	v_add_f64 v[10:11], v[10:11], v[14:15]
	v_add_f64 v[46:47], v[16:17], v[48:49]
	ds_read_b128 v[14:17], v24 offset:1280
	s_waitcnt lgkmcnt(0)
	v_mul_f64 v[18:19], v[38:39], v[16:17]
	v_mul_f64 v[20:21], v[36:37], v[16:17]
	v_fma_f64 v[18:19], v[36:37], v[14:15], -v[18:19]
	v_fma_f64 v[20:21], v[38:39], v[14:15], v[20:21]
	v_add_f64 v[2:3], v[2:3], v[18:19]
	v_add_f64 v[32:33], v[20:21], v[32:33]
	ds_read_b128 v[18:21], v25 offset:2080
	s_waitcnt lgkmcnt(0)
	v_mul_f64 v[36:37], v[20:21], v[8:9]
	v_mul_f64 v[8:9], v[18:19], v[8:9]
	v_fma_f64 v[36:37], v[18:19], v[6:7], -v[36:37]
	v_fma_f64 v[6:7], v[20:21], v[6:7], v[8:9]
	v_mul_f64 v[8:9], v[18:19], v[16:17]
	v_add_f64 v[34:35], v[34:35], v[36:37]
	v_add_f64 v[36:37], v[6:7], v[44:45]
	v_mul_f64 v[6:7], v[20:21], v[16:17]
	v_fma_f64 v[8:9], v[20:21], v[14:15], v[8:9]
	v_fma_f64 v[6:7], v[18:19], v[14:15], -v[6:7]
	v_add_f64 v[30:31], v[8:9], v[30:31]
	v_add_f64 v[28:29], v[28:29], v[6:7]
	ds_read_b128 v[6:9], v24 offset:1536
	;; [unrolled: 30-line block ×3, first 2 shown]
	ds_read_b128 v[14:17], v24 offset:2048
	s_waitcnt lgkmcnt(0)
	v_mul_f64 v[18:19], v[8:9], v[16:17]
	v_mul_f64 v[20:21], v[6:7], v[16:17]
	v_fma_f64 v[18:19], v[6:7], v[14:15], -v[18:19]
	v_fma_f64 v[20:21], v[8:9], v[14:15], v[20:21]
	v_add_f64 v[10:11], v[10:11], v[18:19]
	v_add_f64 v[38:39], v[20:21], v[38:39]
	ds_read_b128 v[18:21], v24 offset:2304
	s_waitcnt lgkmcnt(0)
	v_mul_f64 v[40:41], v[8:9], v[20:21]
	v_fma_f64 v[40:41], v[6:7], v[18:19], -v[40:41]
	v_mul_f64 v[6:7], v[6:7], v[20:21]
	v_add_f64 v[2:3], v[2:3], v[40:41]
	v_fma_f64 v[6:7], v[8:9], v[18:19], v[6:7]
	v_add_f64 v[32:33], v[6:7], v[32:33]
	ds_read_b128 v[6:9], v25 offset:2112
	s_waitcnt lgkmcnt(0)
	v_mul_f64 v[40:41], v[8:9], v[16:17]
	v_mul_f64 v[16:17], v[6:7], v[16:17]
	v_fma_f64 v[40:41], v[6:7], v[14:15], -v[40:41]
	v_fma_f64 v[14:15], v[8:9], v[14:15], v[16:17]
	v_add_f64 v[34:35], v[34:35], v[40:41]
	v_add_f64 v[36:37], v[14:15], v[36:37]
	v_mul_f64 v[14:15], v[8:9], v[20:21]
	v_fma_f64 v[14:15], v[6:7], v[18:19], -v[14:15]
	v_mul_f64 v[6:7], v[6:7], v[20:21]
	v_add_f64 v[28:29], v[28:29], v[14:15]
	v_fma_f64 v[6:7], v[8:9], v[18:19], v[6:7]
	v_add_f64 v[30:31], v[6:7], v[30:31]
	ds_read_b128 v[6:9], v25 offset:80
	ds_read_b128 v[14:17], v24 offset:2560
	s_waitcnt lgkmcnt(0)
	v_mul_f64 v[18:19], v[8:9], v[16:17]
	v_mul_f64 v[20:21], v[6:7], v[16:17]
	v_fma_f64 v[18:19], v[6:7], v[14:15], -v[18:19]
	v_fma_f64 v[20:21], v[8:9], v[14:15], v[20:21]
	v_add_f64 v[10:11], v[10:11], v[18:19]
	v_add_f64 v[38:39], v[20:21], v[38:39]
	ds_read_b128 v[18:21], v24 offset:2816
	s_waitcnt lgkmcnt(0)
	v_mul_f64 v[40:41], v[8:9], v[20:21]
	v_fma_f64 v[40:41], v[6:7], v[18:19], -v[40:41]
	v_mul_f64 v[6:7], v[6:7], v[20:21]
	v_add_f64 v[2:3], v[2:3], v[40:41]
	v_fma_f64 v[6:7], v[8:9], v[18:19], v[6:7]
	v_add_f64 v[32:33], v[6:7], v[32:33]
	ds_read_b128 v[6:9], v25 offset:2128
	s_waitcnt lgkmcnt(0)
	v_mul_f64 v[40:41], v[8:9], v[16:17]
	v_mul_f64 v[16:17], v[6:7], v[16:17]
	v_fma_f64 v[40:41], v[6:7], v[14:15], -v[40:41]
	v_fma_f64 v[14:15], v[8:9], v[14:15], v[16:17]
	v_add_f64 v[34:35], v[34:35], v[40:41]
	v_add_f64 v[36:37], v[14:15], v[36:37]
	v_mul_f64 v[14:15], v[8:9], v[20:21]
	v_fma_f64 v[14:15], v[6:7], v[18:19], -v[14:15]
	v_mul_f64 v[6:7], v[6:7], v[20:21]
	v_add_f64 v[28:29], v[28:29], v[14:15]
	v_fma_f64 v[6:7], v[8:9], v[18:19], v[6:7]
	v_add_f64 v[30:31], v[6:7], v[30:31]
	ds_read_b128 v[6:9], v25 offset:96
	;; [unrolled: 31-line block ×3, first 2 shown]
	ds_read_b128 v[16:19], v24 offset:3584
	ds_read_b128 v[28:31], v24 offset:3840
	s_waitcnt lgkmcnt(1)
	v_mul_f64 v[14:15], v[8:9], v[18:19]
	v_mul_f64 v[20:21], v[6:7], v[18:19]
	v_fma_f64 v[14:15], v[6:7], v[16:17], -v[14:15]
	v_fma_f64 v[20:21], v[8:9], v[16:17], v[20:21]
	v_add_f64 v[10:11], v[10:11], v[14:15]
	s_waitcnt lgkmcnt(0)
	v_mul_f64 v[14:15], v[8:9], v[30:31]
	v_add_f64 v[20:21], v[20:21], v[38:39]
	v_fma_f64 v[14:15], v[6:7], v[28:29], -v[14:15]
	v_mul_f64 v[6:7], v[6:7], v[30:31]
	v_add_f64 v[2:3], v[2:3], v[14:15]
	v_fma_f64 v[6:7], v[8:9], v[28:29], v[6:7]
	v_add_f64 v[14:15], v[6:7], v[32:33]
	ds_read_b128 v[32:35], v25 offset:2160
	s_waitcnt lgkmcnt(0)
	s_barrier
	v_mul_f64 v[6:7], v[34:35], v[18:19]
	v_mul_f64 v[8:9], v[32:33], v[18:19]
	v_fma_f64 v[6:7], v[32:33], v[16:17], -v[6:7]
	v_fma_f64 v[16:17], v[34:35], v[16:17], v[8:9]
	v_add_f64 v[8:9], v[40:41], v[6:7]
	v_add_f64 v[18:19], v[16:17], v[36:37]
	v_mul_f64 v[6:7], v[34:35], v[30:31]
	v_mul_f64 v[16:17], v[32:33], v[30:31]
	v_fma_f64 v[6:7], v[32:33], v[28:29], -v[6:7]
	v_fma_f64 v[16:17], v[34:35], v[28:29], v[16:17]
	v_mov_b32_e32 v29, s9
	v_mov_b32_e32 v28, s8
	v_cmp_le_u64_e32 vcc, s[12:13], v[28:29]
	v_add_f64 v[6:7], v[42:43], v[6:7]
	v_add_f64 v[16:17], v[16:17], v[44:45]
	s_cbranch_vccz .LBB1796_2
	s_branch .LBB1796_4
.LBB1796_3:
	v_mov_b32_e32 v10, 0
	v_mov_b32_e32 v20, 0
	v_mov_b32_e32 v2, 0
	v_mov_b32_e32 v14, 0
	v_mov_b32_e32 v8, 0
	v_mov_b32_e32 v18, 0
	v_mov_b32_e32 v6, 0
	v_mov_b32_e32 v16, 0
	v_mov_b32_e32 v11, 0
	v_mov_b32_e32 v21, 0
	v_mov_b32_e32 v3, 0
	v_mov_b32_e32 v15, 0
	v_mov_b32_e32 v9, 0
	v_mov_b32_e32 v19, 0
	v_mov_b32_e32 v7, 0
	v_mov_b32_e32 v17, 0
.LBB1796_4:
	v_add_u32_e32 v22, s21, v1
	v_ashrrev_i32_e32 v1, 31, v22
	v_mul_lo_u32 v1, s2, v1
	v_mul_lo_u32 v12, s3, v22
	v_mad_u64_u32 v[4:5], s[0:1], s2, v22, 0
	s_load_dword s6, s[4:5], 0x0
	v_add_u32_e32 v0, s20, v0
	v_add3_u32 v5, v5, v1, v12
	v_lshlrev_b64 v[4:5], 4, v[4:5]
	s_waitcnt lgkmcnt(0)
	v_mov_b32_e32 v1, s17
	v_add_co_u32_e64 v4, s[0:1], s16, v4
	v_addc_co_u32_e64 v5, s[0:1], v1, v5, s[0:1]
	v_cmp_gt_i32_e32 vcc, s6, v22
	v_cmp_le_i32_e64 s[0:1], v0, v22
	s_and_b64 s[0:1], vcc, s[0:1]
	s_and_saveexec_b64 s[4:5], s[0:1]
	s_cbranch_execz .LBB1796_6
; %bb.5:
	v_ashrrev_i32_e32 v1, 31, v0
	v_lshlrev_b64 v[12:13], 4, v[0:1]
	v_xor_b32_e32 v11, 0x80000000, v11
	v_add_co_u32_e64 v23, s[0:1], v4, v12
	v_addc_co_u32_e64 v24, s[0:1], v5, v13, s[0:1]
	v_cmp_ne_u32_e64 s[0:1], v22, v0
	v_cndmask_b32_e64 v13, 0, -v21, s[0:1]
	v_cndmask_b32_e64 v12, 0, v20, s[0:1]
	flat_store_dwordx4 v[23:24], v[10:13]
.LBB1796_6:
	s_or_b64 exec, exec, s[4:5]
	v_add_u32_e32 v12, 16, v0
	v_cmp_le_i32_e64 s[0:1], v12, v22
	s_and_b64 s[4:5], vcc, s[0:1]
	s_and_saveexec_b64 s[0:1], s[4:5]
	s_cbranch_execz .LBB1796_8
; %bb.7:
	v_ashrrev_i32_e32 v13, 31, v12
	v_lshlrev_b64 v[10:11], 4, v[12:13]
	v_xor_b32_e32 v3, 0x80000000, v3
	v_add_co_u32_e32 v10, vcc, v4, v10
	v_addc_co_u32_e32 v11, vcc, v5, v11, vcc
	v_cmp_ne_u32_e32 vcc, v22, v12
	v_cndmask_b32_e64 v5, 0, -v15, vcc
	v_cndmask_b32_e32 v4, 0, v14, vcc
	flat_store_dwordx4 v[10:11], v[2:5]
.LBB1796_8:
	s_or_b64 exec, exec, s[0:1]
	v_add_u32_e32 v2, 16, v22
	v_ashrrev_i32_e32 v1, 31, v2
	v_mul_lo_u32 v1, s2, v1
	v_mul_lo_u32 v5, s3, v2
	v_mad_u64_u32 v[3:4], s[0:1], s2, v2, 0
	v_cmp_gt_i32_e32 vcc, s6, v2
	v_add3_u32 v4, v4, v1, v5
	v_lshlrev_b64 v[3:4], 4, v[3:4]
	v_mov_b32_e32 v1, s17
	v_add_co_u32_e64 v3, s[0:1], s16, v3
	v_addc_co_u32_e64 v4, s[0:1], v1, v4, s[0:1]
	v_cmp_le_i32_e64 s[0:1], v0, v2
	s_and_b64 s[0:1], vcc, s[0:1]
	s_and_saveexec_b64 s[2:3], s[0:1]
	s_cbranch_execz .LBB1796_10
; %bb.9:
	v_ashrrev_i32_e32 v1, 31, v0
	v_lshlrev_b64 v[10:11], 4, v[0:1]
	v_xor_b32_e32 v9, 0x80000000, v9
	v_add_co_u32_e64 v13, s[0:1], v3, v10
	v_addc_co_u32_e64 v14, s[0:1], v4, v11, s[0:1]
	v_cmp_ne_u32_e64 s[0:1], v2, v0
	v_cndmask_b32_e64 v11, 0, -v19, s[0:1]
	v_cndmask_b32_e64 v10, 0, v18, s[0:1]
	flat_store_dwordx4 v[13:14], v[8:11]
.LBB1796_10:
	s_or_b64 exec, exec, s[2:3]
	v_cmp_le_i32_e64 s[0:1], v12, v2
	s_and_b64 s[0:1], vcc, s[0:1]
	s_and_saveexec_b64 s[2:3], s[0:1]
	s_cbranch_execz .LBB1796_12
; %bb.11:
	v_ashrrev_i32_e32 v13, 31, v12
	v_lshlrev_b64 v[1:2], 4, v[12:13]
	v_xor_b32_e32 v7, 0x80000000, v7
	v_add_co_u32_e32 v1, vcc, v3, v1
	v_addc_co_u32_e32 v2, vcc, v4, v2, vcc
	v_cmp_ne_u32_e32 vcc, v22, v0
	v_cndmask_b32_e64 v9, 0, -v17, vcc
	v_cndmask_b32_e32 v8, 0, v16, vcc
	flat_store_dwordx4 v[1:2], v[6:9]
.LBB1796_12:
	s_endpgm
	.section	.rodata,"a",@progbits
	.p2align	6, 0x0
	.amdhsa_kernel _ZL37rocblas_syrkx_herkx_restricted_kernelIl19rocblas_complex_numIdELi16ELi32ELi8ELin1ELi0ELb1ELc78ELc85EKPKS1_KPS1_EviT_PT9_S7_lS9_S7_lPT10_S7_li
		.amdhsa_group_segment_fixed_size 8192
		.amdhsa_private_segment_fixed_size 0
		.amdhsa_kernarg_size 92
		.amdhsa_user_sgpr_count 6
		.amdhsa_user_sgpr_private_segment_buffer 1
		.amdhsa_user_sgpr_dispatch_ptr 0
		.amdhsa_user_sgpr_queue_ptr 0
		.amdhsa_user_sgpr_kernarg_segment_ptr 1
		.amdhsa_user_sgpr_dispatch_id 0
		.amdhsa_user_sgpr_flat_scratch_init 0
		.amdhsa_user_sgpr_private_segment_size 0
		.amdhsa_uses_dynamic_stack 0
		.amdhsa_system_sgpr_private_segment_wavefront_offset 0
		.amdhsa_system_sgpr_workgroup_id_x 1
		.amdhsa_system_sgpr_workgroup_id_y 1
		.amdhsa_system_sgpr_workgroup_id_z 1
		.amdhsa_system_sgpr_workgroup_info 0
		.amdhsa_system_vgpr_workitem_id 1
		.amdhsa_next_free_vgpr 54
		.amdhsa_next_free_sgpr 61
		.amdhsa_reserve_vcc 1
		.amdhsa_reserve_flat_scratch 0
		.amdhsa_float_round_mode_32 0
		.amdhsa_float_round_mode_16_64 0
		.amdhsa_float_denorm_mode_32 3
		.amdhsa_float_denorm_mode_16_64 3
		.amdhsa_dx10_clamp 1
		.amdhsa_ieee_mode 1
		.amdhsa_fp16_overflow 0
		.amdhsa_exception_fp_ieee_invalid_op 0
		.amdhsa_exception_fp_denorm_src 0
		.amdhsa_exception_fp_ieee_div_zero 0
		.amdhsa_exception_fp_ieee_overflow 0
		.amdhsa_exception_fp_ieee_underflow 0
		.amdhsa_exception_fp_ieee_inexact 0
		.amdhsa_exception_int_div_zero 0
	.end_amdhsa_kernel
	.section	.text._ZL37rocblas_syrkx_herkx_restricted_kernelIl19rocblas_complex_numIdELi16ELi32ELi8ELin1ELi0ELb1ELc78ELc85EKPKS1_KPS1_EviT_PT9_S7_lS9_S7_lPT10_S7_li,"axG",@progbits,_ZL37rocblas_syrkx_herkx_restricted_kernelIl19rocblas_complex_numIdELi16ELi32ELi8ELin1ELi0ELb1ELc78ELc85EKPKS1_KPS1_EviT_PT9_S7_lS9_S7_lPT10_S7_li,comdat
.Lfunc_end1796:
	.size	_ZL37rocblas_syrkx_herkx_restricted_kernelIl19rocblas_complex_numIdELi16ELi32ELi8ELin1ELi0ELb1ELc78ELc85EKPKS1_KPS1_EviT_PT9_S7_lS9_S7_lPT10_S7_li, .Lfunc_end1796-_ZL37rocblas_syrkx_herkx_restricted_kernelIl19rocblas_complex_numIdELi16ELi32ELi8ELin1ELi0ELb1ELc78ELc85EKPKS1_KPS1_EviT_PT9_S7_lS9_S7_lPT10_S7_li
                                        ; -- End function
	.set _ZL37rocblas_syrkx_herkx_restricted_kernelIl19rocblas_complex_numIdELi16ELi32ELi8ELin1ELi0ELb1ELc78ELc85EKPKS1_KPS1_EviT_PT9_S7_lS9_S7_lPT10_S7_li.num_vgpr, 54
	.set _ZL37rocblas_syrkx_herkx_restricted_kernelIl19rocblas_complex_numIdELi16ELi32ELi8ELin1ELi0ELb1ELc78ELc85EKPKS1_KPS1_EviT_PT9_S7_lS9_S7_lPT10_S7_li.num_agpr, 0
	.set _ZL37rocblas_syrkx_herkx_restricted_kernelIl19rocblas_complex_numIdELi16ELi32ELi8ELin1ELi0ELb1ELc78ELc85EKPKS1_KPS1_EviT_PT9_S7_lS9_S7_lPT10_S7_li.numbered_sgpr, 22
	.set _ZL37rocblas_syrkx_herkx_restricted_kernelIl19rocblas_complex_numIdELi16ELi32ELi8ELin1ELi0ELb1ELc78ELc85EKPKS1_KPS1_EviT_PT9_S7_lS9_S7_lPT10_S7_li.num_named_barrier, 0
	.set _ZL37rocblas_syrkx_herkx_restricted_kernelIl19rocblas_complex_numIdELi16ELi32ELi8ELin1ELi0ELb1ELc78ELc85EKPKS1_KPS1_EviT_PT9_S7_lS9_S7_lPT10_S7_li.private_seg_size, 0
	.set _ZL37rocblas_syrkx_herkx_restricted_kernelIl19rocblas_complex_numIdELi16ELi32ELi8ELin1ELi0ELb1ELc78ELc85EKPKS1_KPS1_EviT_PT9_S7_lS9_S7_lPT10_S7_li.uses_vcc, 1
	.set _ZL37rocblas_syrkx_herkx_restricted_kernelIl19rocblas_complex_numIdELi16ELi32ELi8ELin1ELi0ELb1ELc78ELc85EKPKS1_KPS1_EviT_PT9_S7_lS9_S7_lPT10_S7_li.uses_flat_scratch, 0
	.set _ZL37rocblas_syrkx_herkx_restricted_kernelIl19rocblas_complex_numIdELi16ELi32ELi8ELin1ELi0ELb1ELc78ELc85EKPKS1_KPS1_EviT_PT9_S7_lS9_S7_lPT10_S7_li.has_dyn_sized_stack, 0
	.set _ZL37rocblas_syrkx_herkx_restricted_kernelIl19rocblas_complex_numIdELi16ELi32ELi8ELin1ELi0ELb1ELc78ELc85EKPKS1_KPS1_EviT_PT9_S7_lS9_S7_lPT10_S7_li.has_recursion, 0
	.set _ZL37rocblas_syrkx_herkx_restricted_kernelIl19rocblas_complex_numIdELi16ELi32ELi8ELin1ELi0ELb1ELc78ELc85EKPKS1_KPS1_EviT_PT9_S7_lS9_S7_lPT10_S7_li.has_indirect_call, 0
	.section	.AMDGPU.csdata,"",@progbits
; Kernel info:
; codeLenInByte = 2928
; TotalNumSgprs: 26
; NumVgprs: 54
; ScratchSize: 0
; MemoryBound: 0
; FloatMode: 240
; IeeeMode: 1
; LDSByteSize: 8192 bytes/workgroup (compile time only)
; SGPRBlocks: 8
; VGPRBlocks: 13
; NumSGPRsForWavesPerEU: 65
; NumVGPRsForWavesPerEU: 54
; Occupancy: 4
; WaveLimiterHint : 1
; COMPUTE_PGM_RSRC2:SCRATCH_EN: 0
; COMPUTE_PGM_RSRC2:USER_SGPR: 6
; COMPUTE_PGM_RSRC2:TRAP_HANDLER: 0
; COMPUTE_PGM_RSRC2:TGID_X_EN: 1
; COMPUTE_PGM_RSRC2:TGID_Y_EN: 1
; COMPUTE_PGM_RSRC2:TGID_Z_EN: 1
; COMPUTE_PGM_RSRC2:TIDIG_COMP_CNT: 1
	.section	.text._ZL37rocblas_syrkx_herkx_restricted_kernelIl19rocblas_complex_numIdELi16ELi32ELi8ELb1ELb1ELc84ELc76EKPKS1_KPS1_EviT_T0_PT8_S7_lSA_S7_lS8_PT9_S7_li,"axG",@progbits,_ZL37rocblas_syrkx_herkx_restricted_kernelIl19rocblas_complex_numIdELi16ELi32ELi8ELb1ELb1ELc84ELc76EKPKS1_KPS1_EviT_T0_PT8_S7_lSA_S7_lS8_PT9_S7_li,comdat
	.globl	_ZL37rocblas_syrkx_herkx_restricted_kernelIl19rocblas_complex_numIdELi16ELi32ELi8ELb1ELb1ELc84ELc76EKPKS1_KPS1_EviT_T0_PT8_S7_lSA_S7_lS8_PT9_S7_li ; -- Begin function _ZL37rocblas_syrkx_herkx_restricted_kernelIl19rocblas_complex_numIdELi16ELi32ELi8ELb1ELb1ELc84ELc76EKPKS1_KPS1_EviT_T0_PT8_S7_lSA_S7_lS8_PT9_S7_li
	.p2align	8
	.type	_ZL37rocblas_syrkx_herkx_restricted_kernelIl19rocblas_complex_numIdELi16ELi32ELi8ELb1ELb1ELc84ELc76EKPKS1_KPS1_EviT_T0_PT8_S7_lSA_S7_lS8_PT9_S7_li,@function
_ZL37rocblas_syrkx_herkx_restricted_kernelIl19rocblas_complex_numIdELi16ELi32ELi8ELb1ELb1ELc84ELc76EKPKS1_KPS1_EviT_T0_PT8_S7_lSA_S7_lS8_PT9_S7_li: ; @_ZL37rocblas_syrkx_herkx_restricted_kernelIl19rocblas_complex_numIdELi16ELi32ELi8ELb1ELb1ELc84ELc76EKPKS1_KPS1_EviT_T0_PT8_S7_lSA_S7_lS8_PT9_S7_li
; %bb.0:
	s_load_dwordx4 s[20:23], s[4:5], 0x60
	s_load_dwordx2 s[0:1], s[4:5], 0x28
	s_load_dwordx8 s[12:19], s[4:5], 0x8
	s_mov_b32 s9, 0
	s_lshl_b64 s[2:3], s[8:9], 3
	s_waitcnt lgkmcnt(0)
	s_add_u32 s8, s20, s2
	s_addc_u32 s9, s21, s3
	s_load_dwordx2 s[8:9], s[8:9], 0x0
	v_cmp_lt_i64_e64 s[10:11], s[12:13], 1
	s_lshl_b32 s6, s6, 5
	s_lshl_b32 s7, s7, 5
	s_and_b64 vcc, exec, s[10:11]
	s_cbranch_vccnz .LBB1797_3
; %bb.1:
	s_load_dwordx4 s[24:27], s[4:5], 0x38
	v_lshl_add_u32 v7, v1, 4, v0
	v_lshrrev_b32_e32 v8, 3, v7
	v_add_u32_e32 v4, s7, v8
	s_add_u32 s10, s18, s2
	v_and_b32_e32 v2, 7, v0
	v_ashrrev_i32_e32 v5, 31, v4
	v_mov_b32_e32 v3, 0
	s_addc_u32 s11, s19, s3
	s_waitcnt lgkmcnt(0)
	v_mul_lo_u32 v9, s26, v5
	v_mul_lo_u32 v10, s27, v4
	v_mad_u64_u32 v[4:5], s[18:19], s26, v4, v[2:3]
	v_and_b32_e32 v11, 31, v7
	v_lshlrev_b32_e32 v2, 4, v2
	v_lshl_or_b32 v2, v8, 7, v2
	v_add_u32_e32 v8, s6, v11
	v_lshrrev_b32_e32 v6, 5, v7
	v_mov_b32_e32 v7, v3
	v_lshlrev_b32_e32 v3, 4, v11
	v_add_u32_e32 v23, 0x1000, v2
	v_ashrrev_i32_e32 v2, 31, v8
	v_add3_u32 v5, v10, v5, v9
	v_lshl_or_b32 v22, v6, 9, v3
	v_mul_lo_u32 v9, s0, v2
	v_mad_u64_u32 v[2:3], s[18:19], s0, v8, v[6:7]
	v_mul_lo_u32 v6, s1, v8
	s_load_dwordx2 s[10:11], s[10:11], 0x0
	s_add_u32 s2, s24, s2
	s_addc_u32 s3, s25, s3
	s_load_dwordx2 s[2:3], s[2:3], 0x0
	v_add3_u32 v3, v6, v3, v9
	v_lshlrev_b64 v[2:3], 4, v[2:3]
	s_waitcnt lgkmcnt(0)
	v_mov_b32_e32 v6, s11
	v_add_co_u32_e32 v2, vcc, s10, v2
	v_lshlrev_b64 v[4:5], 4, v[4:5]
	v_addc_co_u32_e32 v3, vcc, v6, v3, vcc
	v_mov_b32_e32 v7, 0x1000
	v_mov_b32_e32 v6, s3
	v_add_co_u32_e32 v4, vcc, s2, v4
	v_lshl_add_u32 v25, v1, 7, v7
	v_addc_co_u32_e32 v5, vcc, v6, v5, vcc
	v_mov_b32_e32 v12, 0
	v_mov_b32_e32 v10, 0
	;; [unrolled: 1-line block ×8, first 2 shown]
	v_lshlrev_b32_e32 v24, 4, v0
	v_mov_b32_e32 v13, 0
	v_mov_b32_e32 v11, 0
	;; [unrolled: 1-line block ×8, first 2 shown]
	s_mov_b64 s[0:1], 0
.LBB1797_2:                             ; =>This Inner Loop Header: Depth=1
	flat_load_dwordx4 v[26:29], v[2:3]
	s_add_u32 s0, s0, 8
	v_add_co_u32_e32 v2, vcc, 0x80, v2
	s_addc_u32 s1, s1, 0
	v_addc_co_u32_e32 v3, vcc, 0, v3, vcc
	s_waitcnt vmcnt(0) lgkmcnt(0)
	ds_write_b128 v22, v[26:29]
	flat_load_dwordx4 v[26:29], v[4:5]
	v_add_co_u32_e32 v4, vcc, 0x80, v4
	v_addc_co_u32_e32 v5, vcc, 0, v5, vcc
	s_waitcnt vmcnt(0) lgkmcnt(0)
	ds_write_b128 v23, v[26:29]
	s_waitcnt lgkmcnt(0)
	s_barrier
	ds_read_b128 v[26:29], v25
	ds_read_b128 v[30:33], v25 offset:16
	ds_read_b128 v[34:37], v25 offset:32
	;; [unrolled: 1-line block ×3, first 2 shown]
	ds_read_b128 v[42:45], v24
	s_waitcnt lgkmcnt(0)
	v_mul_f64 v[46:47], v[28:29], v[44:45]
	v_mul_f64 v[48:49], v[26:27], v[44:45]
	v_fma_f64 v[46:47], v[26:27], v[42:43], -v[46:47]
	v_fma_f64 v[48:49], v[28:29], v[42:43], v[48:49]
	v_add_f64 v[16:17], v[16:17], v[46:47]
	v_add_f64 v[20:21], v[48:49], v[20:21]
	ds_read_b128 v[46:49], v24 offset:256
	s_waitcnt lgkmcnt(0)
	v_mul_f64 v[50:51], v[28:29], v[48:49]
	v_fma_f64 v[50:51], v[26:27], v[46:47], -v[50:51]
	v_mul_f64 v[26:27], v[26:27], v[48:49]
	v_fma_f64 v[26:27], v[28:29], v[46:47], v[26:27]
	v_add_f64 v[28:29], v[6:7], v[50:51]
	v_add_f64 v[26:27], v[26:27], v[8:9]
	ds_read_b128 v[6:9], v25 offset:2048
	s_waitcnt lgkmcnt(0)
	v_mul_f64 v[50:51], v[8:9], v[44:45]
	v_mul_f64 v[44:45], v[6:7], v[44:45]
	v_fma_f64 v[50:51], v[6:7], v[42:43], -v[50:51]
	v_fma_f64 v[42:43], v[8:9], v[42:43], v[44:45]
	v_add_f64 v[44:45], v[14:15], v[50:51]
	v_mul_f64 v[14:15], v[8:9], v[48:49]
	v_add_f64 v[18:19], v[42:43], v[18:19]
	v_fma_f64 v[14:15], v[6:7], v[46:47], -v[14:15]
	v_mul_f64 v[6:7], v[6:7], v[48:49]
	v_add_f64 v[42:43], v[10:11], v[14:15]
	v_fma_f64 v[6:7], v[8:9], v[46:47], v[6:7]
	v_add_f64 v[46:47], v[6:7], v[12:13]
	ds_read_b128 v[6:9], v24 offset:512
	s_waitcnt lgkmcnt(0)
	v_mul_f64 v[10:11], v[32:33], v[8:9]
	v_mul_f64 v[12:13], v[30:31], v[8:9]
	v_fma_f64 v[10:11], v[30:31], v[6:7], -v[10:11]
	v_fma_f64 v[12:13], v[32:33], v[6:7], v[12:13]
	v_add_f64 v[48:49], v[16:17], v[10:11]
	v_add_f64 v[20:21], v[12:13], v[20:21]
	ds_read_b128 v[10:13], v24 offset:768
	s_waitcnt lgkmcnt(0)
	v_mul_f64 v[14:15], v[32:33], v[12:13]
	v_mul_f64 v[16:17], v[30:31], v[12:13]
	v_fma_f64 v[14:15], v[30:31], v[10:11], -v[14:15]
	v_fma_f64 v[16:17], v[32:33], v[10:11], v[16:17]
	v_add_f64 v[28:29], v[28:29], v[14:15]
	v_add_f64 v[26:27], v[16:17], v[26:27]
	ds_read_b128 v[14:17], v25 offset:2064
	s_waitcnt lgkmcnt(0)
	v_mul_f64 v[30:31], v[16:17], v[8:9]
	v_mul_f64 v[8:9], v[14:15], v[8:9]
	v_fma_f64 v[30:31], v[14:15], v[6:7], -v[30:31]
	v_fma_f64 v[6:7], v[16:17], v[6:7], v[8:9]
	v_mul_f64 v[8:9], v[14:15], v[12:13]
	v_add_f64 v[30:31], v[44:45], v[30:31]
	v_add_f64 v[18:19], v[6:7], v[18:19]
	v_mul_f64 v[6:7], v[16:17], v[12:13]
	v_fma_f64 v[8:9], v[16:17], v[10:11], v[8:9]
	v_fma_f64 v[6:7], v[14:15], v[10:11], -v[6:7]
	v_add_f64 v[32:33], v[42:43], v[6:7]
	v_add_f64 v[42:43], v[8:9], v[46:47]
	ds_read_b128 v[6:9], v24 offset:1024
	s_waitcnt lgkmcnt(0)
	v_mul_f64 v[10:11], v[36:37], v[8:9]
	v_mul_f64 v[12:13], v[34:35], v[8:9]
	v_fma_f64 v[10:11], v[34:35], v[6:7], -v[10:11]
	v_fma_f64 v[12:13], v[36:37], v[6:7], v[12:13]
	v_add_f64 v[44:45], v[48:49], v[10:11]
	v_add_f64 v[20:21], v[12:13], v[20:21]
	ds_read_b128 v[10:13], v24 offset:1280
	s_waitcnt lgkmcnt(0)
	v_mul_f64 v[14:15], v[36:37], v[12:13]
	v_mul_f64 v[16:17], v[34:35], v[12:13]
	v_fma_f64 v[14:15], v[34:35], v[10:11], -v[14:15]
	v_fma_f64 v[16:17], v[36:37], v[10:11], v[16:17]
	v_add_f64 v[28:29], v[28:29], v[14:15]
	v_add_f64 v[26:27], v[16:17], v[26:27]
	ds_read_b128 v[14:17], v25 offset:2080
	s_waitcnt lgkmcnt(0)
	v_mul_f64 v[34:35], v[16:17], v[8:9]
	v_mul_f64 v[8:9], v[14:15], v[8:9]
	v_fma_f64 v[34:35], v[14:15], v[6:7], -v[34:35]
	v_fma_f64 v[6:7], v[16:17], v[6:7], v[8:9]
	v_mul_f64 v[8:9], v[14:15], v[12:13]
	v_add_f64 v[30:31], v[30:31], v[34:35]
	v_add_f64 v[18:19], v[6:7], v[18:19]
	v_mul_f64 v[6:7], v[16:17], v[12:13]
	v_fma_f64 v[8:9], v[16:17], v[10:11], v[8:9]
	v_fma_f64 v[6:7], v[14:15], v[10:11], -v[6:7]
	v_add_f64 v[34:35], v[8:9], v[42:43]
	;; [unrolled: 30-line block ×3, first 2 shown]
	v_add_f64 v[32:33], v[32:33], v[6:7]
	ds_read_b128 v[6:9], v25 offset:64
	ds_read_b128 v[10:13], v24 offset:2048
	s_waitcnt lgkmcnt(0)
	v_mul_f64 v[14:15], v[8:9], v[12:13]
	v_mul_f64 v[16:17], v[6:7], v[12:13]
	v_fma_f64 v[14:15], v[6:7], v[10:11], -v[14:15]
	v_fma_f64 v[16:17], v[8:9], v[10:11], v[16:17]
	v_add_f64 v[36:37], v[36:37], v[14:15]
	v_add_f64 v[20:21], v[16:17], v[20:21]
	ds_read_b128 v[14:17], v24 offset:2304
	s_waitcnt lgkmcnt(0)
	v_mul_f64 v[38:39], v[8:9], v[16:17]
	v_fma_f64 v[38:39], v[6:7], v[14:15], -v[38:39]
	v_mul_f64 v[6:7], v[6:7], v[16:17]
	v_add_f64 v[28:29], v[28:29], v[38:39]
	v_fma_f64 v[6:7], v[8:9], v[14:15], v[6:7]
	v_add_f64 v[26:27], v[6:7], v[26:27]
	ds_read_b128 v[6:9], v25 offset:2112
	s_waitcnt lgkmcnt(0)
	v_mul_f64 v[38:39], v[8:9], v[12:13]
	v_mul_f64 v[12:13], v[6:7], v[12:13]
	v_fma_f64 v[38:39], v[6:7], v[10:11], -v[38:39]
	v_fma_f64 v[10:11], v[8:9], v[10:11], v[12:13]
	v_add_f64 v[30:31], v[30:31], v[38:39]
	v_add_f64 v[18:19], v[10:11], v[18:19]
	v_mul_f64 v[10:11], v[8:9], v[16:17]
	v_fma_f64 v[10:11], v[6:7], v[14:15], -v[10:11]
	v_mul_f64 v[6:7], v[6:7], v[16:17]
	v_add_f64 v[32:33], v[32:33], v[10:11]
	v_fma_f64 v[6:7], v[8:9], v[14:15], v[6:7]
	v_add_f64 v[34:35], v[6:7], v[34:35]
	ds_read_b128 v[6:9], v25 offset:80
	ds_read_b128 v[10:13], v24 offset:2560
	s_waitcnt lgkmcnt(0)
	v_mul_f64 v[14:15], v[8:9], v[12:13]
	v_mul_f64 v[16:17], v[6:7], v[12:13]
	v_fma_f64 v[14:15], v[6:7], v[10:11], -v[14:15]
	v_fma_f64 v[16:17], v[8:9], v[10:11], v[16:17]
	v_add_f64 v[36:37], v[36:37], v[14:15]
	v_add_f64 v[20:21], v[16:17], v[20:21]
	ds_read_b128 v[14:17], v24 offset:2816
	s_waitcnt lgkmcnt(0)
	v_mul_f64 v[38:39], v[8:9], v[16:17]
	v_fma_f64 v[38:39], v[6:7], v[14:15], -v[38:39]
	v_mul_f64 v[6:7], v[6:7], v[16:17]
	v_add_f64 v[28:29], v[28:29], v[38:39]
	v_fma_f64 v[6:7], v[8:9], v[14:15], v[6:7]
	v_add_f64 v[26:27], v[6:7], v[26:27]
	ds_read_b128 v[6:9], v25 offset:2128
	s_waitcnt lgkmcnt(0)
	v_mul_f64 v[38:39], v[8:9], v[12:13]
	v_mul_f64 v[12:13], v[6:7], v[12:13]
	v_fma_f64 v[38:39], v[6:7], v[10:11], -v[38:39]
	v_fma_f64 v[10:11], v[8:9], v[10:11], v[12:13]
	v_add_f64 v[30:31], v[30:31], v[38:39]
	v_add_f64 v[18:19], v[10:11], v[18:19]
	v_mul_f64 v[10:11], v[8:9], v[16:17]
	v_fma_f64 v[10:11], v[6:7], v[14:15], -v[10:11]
	v_mul_f64 v[6:7], v[6:7], v[16:17]
	v_add_f64 v[32:33], v[32:33], v[10:11]
	v_fma_f64 v[6:7], v[8:9], v[14:15], v[6:7]
	;; [unrolled: 31-line block ×3, first 2 shown]
	v_add_f64 v[34:35], v[6:7], v[34:35]
	ds_read_b128 v[6:9], v25 offset:112
	ds_read_b128 v[10:13], v24 offset:3584
	;; [unrolled: 1-line block ×3, first 2 shown]
	s_waitcnt lgkmcnt(1)
	v_mul_f64 v[16:17], v[6:7], v[12:13]
	v_mul_f64 v[14:15], v[8:9], v[12:13]
	v_fma_f64 v[26:27], v[8:9], v[10:11], v[16:17]
	v_fma_f64 v[14:15], v[6:7], v[10:11], -v[14:15]
	v_add_f64 v[20:21], v[26:27], v[20:21]
	ds_read_b128 v[26:29], v24 offset:3840
	v_add_f64 v[16:17], v[36:37], v[14:15]
	s_waitcnt lgkmcnt(0)
	s_barrier
	v_mul_f64 v[14:15], v[8:9], v[28:29]
	v_fma_f64 v[14:15], v[6:7], v[26:27], -v[14:15]
	v_mul_f64 v[6:7], v[6:7], v[28:29]
	v_fma_f64 v[8:9], v[8:9], v[26:27], v[6:7]
	v_add_f64 v[6:7], v[38:39], v[14:15]
	v_mul_f64 v[14:15], v[32:33], v[12:13]
	v_mul_f64 v[12:13], v[30:31], v[12:13]
	v_add_f64 v[8:9], v[8:9], v[40:41]
	v_fma_f64 v[14:15], v[30:31], v[10:11], -v[14:15]
	v_fma_f64 v[10:11], v[32:33], v[10:11], v[12:13]
	v_mul_f64 v[12:13], v[30:31], v[28:29]
	v_add_f64 v[14:15], v[42:43], v[14:15]
	v_add_f64 v[18:19], v[10:11], v[18:19]
	v_mul_f64 v[10:11], v[32:33], v[28:29]
	v_fma_f64 v[12:13], v[32:33], v[26:27], v[12:13]
	v_fma_f64 v[10:11], v[30:31], v[26:27], -v[10:11]
	v_add_f64 v[12:13], v[12:13], v[34:35]
	v_mov_b32_e32 v27, s1
	v_mov_b32_e32 v26, s0
	v_cmp_le_u64_e32 vcc, s[12:13], v[26:27]
	v_add_f64 v[10:11], v[44:45], v[10:11]
	s_cbranch_vccz .LBB1797_2
	s_branch .LBB1797_4
.LBB1797_3:
	v_mov_b32_e32 v16, 0
	v_mov_b32_e32 v20, 0
	;; [unrolled: 1-line block ×16, first 2 shown]
.LBB1797_4:
	v_add_u32_e32 v4, s7, v1
	v_ashrrev_i32_e32 v1, 31, v4
	v_mul_lo_u32 v3, s22, v1
	v_mul_lo_u32 v5, s23, v4
	v_mad_u64_u32 v[1:2], s[0:1], s22, v4, 0
	s_load_dword s4, s[4:5], 0x0
	v_add_u32_e32 v0, s6, v0
	v_add3_u32 v2, v2, v3, v5
	v_lshlrev_b64 v[1:2], 4, v[1:2]
	s_waitcnt lgkmcnt(0)
	v_mov_b32_e32 v3, s9
	v_add_co_u32_e32 v5, vcc, s8, v1
	v_addc_co_u32_e32 v22, vcc, v3, v2, vcc
	v_cmp_le_i32_e64 s[0:1], v4, v0
	v_cmp_gt_i32_e32 vcc, s4, v0
	s_and_b64 s[0:1], s[0:1], vcc
	s_and_saveexec_b64 s[2:3], s[0:1]
	s_cbranch_execz .LBB1797_6
; %bb.5:
	v_mul_f64 v[2:3], s[14:15], v[20:21]
	v_mul_f64 v[20:21], s[16:17], v[20:21]
	v_ashrrev_i32_e32 v1, 31, v0
	v_lshlrev_b64 v[25:26], 4, v[0:1]
	v_fma_f64 v[2:3], s[16:17], v[16:17], v[2:3]
	v_fma_f64 v[23:24], s[14:15], v[16:17], -v[20:21]
	v_add_co_u32_e64 v16, s[0:1], v5, v25
	v_addc_co_u32_e64 v17, s[0:1], v22, v26, s[0:1]
	v_cmp_ne_u32_e64 s[0:1], v4, v0
	v_cndmask_b32_e64 v26, 0, v3, s[0:1]
	v_cndmask_b32_e64 v25, 0, v2, s[0:1]
	flat_store_dwordx4 v[16:17], v[23:26]
.LBB1797_6:
	s_or_b64 exec, exec, s[2:3]
	v_add_u32_e32 v2, 16, v0
	v_cmp_le_i32_e64 s[2:3], v4, v2
	v_cmp_gt_i32_e64 s[0:1], s4, v2
	s_and_b64 s[2:3], s[2:3], s[0:1]
	s_and_saveexec_b64 s[4:5], s[2:3]
	s_cbranch_execz .LBB1797_8
; %bb.7:
	v_mul_f64 v[16:17], s[14:15], v[8:9]
	v_mul_f64 v[8:9], s[16:17], v[8:9]
	v_ashrrev_i32_e32 v3, 31, v2
	v_lshlrev_b64 v[20:21], 4, v[2:3]
	v_add_co_u32_e64 v20, s[2:3], v5, v20
	v_addc_co_u32_e64 v21, s[2:3], v22, v21, s[2:3]
	v_fma_f64 v[16:17], s[16:17], v[6:7], v[16:17]
	v_fma_f64 v[6:7], s[14:15], v[6:7], -v[8:9]
	v_cmp_ne_u32_e64 s[2:3], v4, v2
	v_cndmask_b32_e64 v9, 0, v17, s[2:3]
	v_cndmask_b32_e64 v8, 0, v16, s[2:3]
	flat_store_dwordx4 v[20:21], v[6:9]
.LBB1797_8:
	s_or_b64 exec, exec, s[4:5]
	v_add_u32_e32 v3, 16, v4
	v_ashrrev_i32_e32 v1, 31, v3
	v_mul_lo_u32 v7, s23, v3
	v_mad_u64_u32 v[5:6], s[2:3], s22, v3, 0
	v_mul_lo_u32 v1, s22, v1
	v_add3_u32 v6, v6, v1, v7
	v_lshlrev_b64 v[5:6], 4, v[5:6]
	v_mov_b32_e32 v1, s9
	v_add_co_u32_e64 v5, s[2:3], s8, v5
	v_addc_co_u32_e64 v6, s[2:3], v1, v6, s[2:3]
	v_cmp_le_i32_e64 s[2:3], v3, v0
	s_and_b64 s[4:5], s[2:3], vcc
	s_and_saveexec_b64 s[2:3], s[4:5]
	s_cbranch_execz .LBB1797_10
; %bb.9:
	v_mul_f64 v[7:8], s[14:15], v[18:19]
	v_mul_f64 v[16:17], s[16:17], v[18:19]
	v_ashrrev_i32_e32 v1, 31, v0
	v_lshlrev_b64 v[18:19], 4, v[0:1]
	v_add_co_u32_e32 v18, vcc, v5, v18
	v_addc_co_u32_e32 v19, vcc, v6, v19, vcc
	v_fma_f64 v[7:8], s[16:17], v[14:15], v[7:8]
	v_fma_f64 v[14:15], s[14:15], v[14:15], -v[16:17]
	v_cmp_ne_u32_e32 vcc, v3, v0
	v_cndmask_b32_e32 v17, 0, v8, vcc
	v_cndmask_b32_e32 v16, 0, v7, vcc
	flat_store_dwordx4 v[18:19], v[14:17]
.LBB1797_10:
	s_or_b64 exec, exec, s[2:3]
	v_cmp_le_i32_e32 vcc, v3, v2
	s_and_b64 s[0:1], vcc, s[0:1]
	s_and_saveexec_b64 s[2:3], s[0:1]
	s_cbranch_execz .LBB1797_12
; %bb.11:
	v_mul_f64 v[7:8], s[14:15], v[12:13]
	v_mul_f64 v[12:13], s[16:17], v[12:13]
	v_ashrrev_i32_e32 v3, 31, v2
	v_lshlrev_b64 v[14:15], 4, v[2:3]
	v_add_co_u32_e32 v5, vcc, v5, v14
	v_addc_co_u32_e32 v6, vcc, v6, v15, vcc
	v_fma_f64 v[7:8], s[16:17], v[10:11], v[7:8]
	v_fma_f64 v[1:2], s[14:15], v[10:11], -v[12:13]
	v_cmp_ne_u32_e32 vcc, v4, v0
	v_cndmask_b32_e32 v4, 0, v8, vcc
	v_cndmask_b32_e32 v3, 0, v7, vcc
	flat_store_dwordx4 v[5:6], v[1:4]
.LBB1797_12:
	s_endpgm
	.section	.rodata,"a",@progbits
	.p2align	6, 0x0
	.amdhsa_kernel _ZL37rocblas_syrkx_herkx_restricted_kernelIl19rocblas_complex_numIdELi16ELi32ELi8ELb1ELb1ELc84ELc76EKPKS1_KPS1_EviT_T0_PT8_S7_lSA_S7_lS8_PT9_S7_li
		.amdhsa_group_segment_fixed_size 8192
		.amdhsa_private_segment_fixed_size 0
		.amdhsa_kernarg_size 124
		.amdhsa_user_sgpr_count 6
		.amdhsa_user_sgpr_private_segment_buffer 1
		.amdhsa_user_sgpr_dispatch_ptr 0
		.amdhsa_user_sgpr_queue_ptr 0
		.amdhsa_user_sgpr_kernarg_segment_ptr 1
		.amdhsa_user_sgpr_dispatch_id 0
		.amdhsa_user_sgpr_flat_scratch_init 0
		.amdhsa_user_sgpr_private_segment_size 0
		.amdhsa_uses_dynamic_stack 0
		.amdhsa_system_sgpr_private_segment_wavefront_offset 0
		.amdhsa_system_sgpr_workgroup_id_x 1
		.amdhsa_system_sgpr_workgroup_id_y 1
		.amdhsa_system_sgpr_workgroup_id_z 1
		.amdhsa_system_sgpr_workgroup_info 0
		.amdhsa_system_vgpr_workitem_id 1
		.amdhsa_next_free_vgpr 52
		.amdhsa_next_free_sgpr 61
		.amdhsa_reserve_vcc 1
		.amdhsa_reserve_flat_scratch 0
		.amdhsa_float_round_mode_32 0
		.amdhsa_float_round_mode_16_64 0
		.amdhsa_float_denorm_mode_32 3
		.amdhsa_float_denorm_mode_16_64 3
		.amdhsa_dx10_clamp 1
		.amdhsa_ieee_mode 1
		.amdhsa_fp16_overflow 0
		.amdhsa_exception_fp_ieee_invalid_op 0
		.amdhsa_exception_fp_denorm_src 0
		.amdhsa_exception_fp_ieee_div_zero 0
		.amdhsa_exception_fp_ieee_overflow 0
		.amdhsa_exception_fp_ieee_underflow 0
		.amdhsa_exception_fp_ieee_inexact 0
		.amdhsa_exception_int_div_zero 0
	.end_amdhsa_kernel
	.section	.text._ZL37rocblas_syrkx_herkx_restricted_kernelIl19rocblas_complex_numIdELi16ELi32ELi8ELb1ELb1ELc84ELc76EKPKS1_KPS1_EviT_T0_PT8_S7_lSA_S7_lS8_PT9_S7_li,"axG",@progbits,_ZL37rocblas_syrkx_herkx_restricted_kernelIl19rocblas_complex_numIdELi16ELi32ELi8ELb1ELb1ELc84ELc76EKPKS1_KPS1_EviT_T0_PT8_S7_lSA_S7_lS8_PT9_S7_li,comdat
.Lfunc_end1797:
	.size	_ZL37rocblas_syrkx_herkx_restricted_kernelIl19rocblas_complex_numIdELi16ELi32ELi8ELb1ELb1ELc84ELc76EKPKS1_KPS1_EviT_T0_PT8_S7_lSA_S7_lS8_PT9_S7_li, .Lfunc_end1797-_ZL37rocblas_syrkx_herkx_restricted_kernelIl19rocblas_complex_numIdELi16ELi32ELi8ELb1ELb1ELc84ELc76EKPKS1_KPS1_EviT_T0_PT8_S7_lSA_S7_lS8_PT9_S7_li
                                        ; -- End function
	.set _ZL37rocblas_syrkx_herkx_restricted_kernelIl19rocblas_complex_numIdELi16ELi32ELi8ELb1ELb1ELc84ELc76EKPKS1_KPS1_EviT_T0_PT8_S7_lSA_S7_lS8_PT9_S7_li.num_vgpr, 52
	.set _ZL37rocblas_syrkx_herkx_restricted_kernelIl19rocblas_complex_numIdELi16ELi32ELi8ELb1ELb1ELc84ELc76EKPKS1_KPS1_EviT_T0_PT8_S7_lSA_S7_lS8_PT9_S7_li.num_agpr, 0
	.set _ZL37rocblas_syrkx_herkx_restricted_kernelIl19rocblas_complex_numIdELi16ELi32ELi8ELb1ELb1ELc84ELc76EKPKS1_KPS1_EviT_T0_PT8_S7_lSA_S7_lS8_PT9_S7_li.numbered_sgpr, 28
	.set _ZL37rocblas_syrkx_herkx_restricted_kernelIl19rocblas_complex_numIdELi16ELi32ELi8ELb1ELb1ELc84ELc76EKPKS1_KPS1_EviT_T0_PT8_S7_lSA_S7_lS8_PT9_S7_li.num_named_barrier, 0
	.set _ZL37rocblas_syrkx_herkx_restricted_kernelIl19rocblas_complex_numIdELi16ELi32ELi8ELb1ELb1ELc84ELc76EKPKS1_KPS1_EviT_T0_PT8_S7_lSA_S7_lS8_PT9_S7_li.private_seg_size, 0
	.set _ZL37rocblas_syrkx_herkx_restricted_kernelIl19rocblas_complex_numIdELi16ELi32ELi8ELb1ELb1ELc84ELc76EKPKS1_KPS1_EviT_T0_PT8_S7_lSA_S7_lS8_PT9_S7_li.uses_vcc, 1
	.set _ZL37rocblas_syrkx_herkx_restricted_kernelIl19rocblas_complex_numIdELi16ELi32ELi8ELb1ELb1ELc84ELc76EKPKS1_KPS1_EviT_T0_PT8_S7_lSA_S7_lS8_PT9_S7_li.uses_flat_scratch, 0
	.set _ZL37rocblas_syrkx_herkx_restricted_kernelIl19rocblas_complex_numIdELi16ELi32ELi8ELb1ELb1ELc84ELc76EKPKS1_KPS1_EviT_T0_PT8_S7_lSA_S7_lS8_PT9_S7_li.has_dyn_sized_stack, 0
	.set _ZL37rocblas_syrkx_herkx_restricted_kernelIl19rocblas_complex_numIdELi16ELi32ELi8ELb1ELb1ELc84ELc76EKPKS1_KPS1_EviT_T0_PT8_S7_lSA_S7_lS8_PT9_S7_li.has_recursion, 0
	.set _ZL37rocblas_syrkx_herkx_restricted_kernelIl19rocblas_complex_numIdELi16ELi32ELi8ELb1ELb1ELc84ELc76EKPKS1_KPS1_EviT_T0_PT8_S7_lSA_S7_lS8_PT9_S7_li.has_indirect_call, 0
	.section	.AMDGPU.csdata,"",@progbits
; Kernel info:
; codeLenInByte = 3028
; TotalNumSgprs: 32
; NumVgprs: 52
; ScratchSize: 0
; MemoryBound: 0
; FloatMode: 240
; IeeeMode: 1
; LDSByteSize: 8192 bytes/workgroup (compile time only)
; SGPRBlocks: 8
; VGPRBlocks: 12
; NumSGPRsForWavesPerEU: 65
; NumVGPRsForWavesPerEU: 52
; Occupancy: 4
; WaveLimiterHint : 1
; COMPUTE_PGM_RSRC2:SCRATCH_EN: 0
; COMPUTE_PGM_RSRC2:USER_SGPR: 6
; COMPUTE_PGM_RSRC2:TRAP_HANDLER: 0
; COMPUTE_PGM_RSRC2:TGID_X_EN: 1
; COMPUTE_PGM_RSRC2:TGID_Y_EN: 1
; COMPUTE_PGM_RSRC2:TGID_Z_EN: 1
; COMPUTE_PGM_RSRC2:TIDIG_COMP_CNT: 1
	.section	.text._ZL37rocblas_syrkx_herkx_restricted_kernelIl19rocblas_complex_numIdELi16ELi32ELi8ELb1ELb1ELc67ELc76EKPKS1_KPS1_EviT_T0_PT8_S7_lSA_S7_lS8_PT9_S7_li,"axG",@progbits,_ZL37rocblas_syrkx_herkx_restricted_kernelIl19rocblas_complex_numIdELi16ELi32ELi8ELb1ELb1ELc67ELc76EKPKS1_KPS1_EviT_T0_PT8_S7_lSA_S7_lS8_PT9_S7_li,comdat
	.globl	_ZL37rocblas_syrkx_herkx_restricted_kernelIl19rocblas_complex_numIdELi16ELi32ELi8ELb1ELb1ELc67ELc76EKPKS1_KPS1_EviT_T0_PT8_S7_lSA_S7_lS8_PT9_S7_li ; -- Begin function _ZL37rocblas_syrkx_herkx_restricted_kernelIl19rocblas_complex_numIdELi16ELi32ELi8ELb1ELb1ELc67ELc76EKPKS1_KPS1_EviT_T0_PT8_S7_lSA_S7_lS8_PT9_S7_li
	.p2align	8
	.type	_ZL37rocblas_syrkx_herkx_restricted_kernelIl19rocblas_complex_numIdELi16ELi32ELi8ELb1ELb1ELc67ELc76EKPKS1_KPS1_EviT_T0_PT8_S7_lSA_S7_lS8_PT9_S7_li,@function
_ZL37rocblas_syrkx_herkx_restricted_kernelIl19rocblas_complex_numIdELi16ELi32ELi8ELb1ELb1ELc67ELc76EKPKS1_KPS1_EviT_T0_PT8_S7_lSA_S7_lS8_PT9_S7_li: ; @_ZL37rocblas_syrkx_herkx_restricted_kernelIl19rocblas_complex_numIdELi16ELi32ELi8ELb1ELb1ELc67ELc76EKPKS1_KPS1_EviT_T0_PT8_S7_lSA_S7_lS8_PT9_S7_li
; %bb.0:
	s_load_dwordx4 s[20:23], s[4:5], 0x60
	s_load_dwordx2 s[0:1], s[4:5], 0x28
	s_load_dwordx8 s[12:19], s[4:5], 0x8
	s_mov_b32 s9, 0
	s_lshl_b64 s[2:3], s[8:9], 3
	s_waitcnt lgkmcnt(0)
	s_add_u32 s8, s20, s2
	s_addc_u32 s9, s21, s3
	s_load_dwordx2 s[8:9], s[8:9], 0x0
	v_cmp_lt_i64_e64 s[10:11], s[12:13], 1
	s_lshl_b32 s6, s6, 5
	s_lshl_b32 s7, s7, 5
	s_and_b64 vcc, exec, s[10:11]
	s_cbranch_vccnz .LBB1798_3
; %bb.1:
	s_load_dwordx4 s[24:27], s[4:5], 0x38
	v_lshl_add_u32 v7, v1, 4, v0
	v_lshrrev_b32_e32 v8, 3, v7
	v_add_u32_e32 v4, s7, v8
	s_add_u32 s10, s18, s2
	v_and_b32_e32 v2, 7, v0
	v_ashrrev_i32_e32 v5, 31, v4
	v_mov_b32_e32 v3, 0
	s_addc_u32 s11, s19, s3
	s_waitcnt lgkmcnt(0)
	v_mul_lo_u32 v9, s26, v5
	v_mul_lo_u32 v10, s27, v4
	v_mad_u64_u32 v[4:5], s[18:19], s26, v4, v[2:3]
	v_and_b32_e32 v11, 31, v7
	v_lshlrev_b32_e32 v2, 4, v2
	v_lshl_or_b32 v2, v8, 7, v2
	v_add_u32_e32 v8, s6, v11
	v_lshrrev_b32_e32 v6, 5, v7
	v_mov_b32_e32 v7, v3
	v_lshlrev_b32_e32 v3, 4, v11
	v_add_u32_e32 v23, 0x1000, v2
	v_ashrrev_i32_e32 v2, 31, v8
	v_add3_u32 v5, v10, v5, v9
	v_lshl_or_b32 v22, v6, 9, v3
	v_mul_lo_u32 v9, s0, v2
	v_mad_u64_u32 v[2:3], s[18:19], s0, v8, v[6:7]
	v_mul_lo_u32 v6, s1, v8
	s_load_dwordx2 s[10:11], s[10:11], 0x0
	s_add_u32 s2, s24, s2
	s_addc_u32 s3, s25, s3
	s_load_dwordx2 s[2:3], s[2:3], 0x0
	v_add3_u32 v3, v6, v3, v9
	v_lshlrev_b64 v[2:3], 4, v[2:3]
	s_waitcnt lgkmcnt(0)
	v_mov_b32_e32 v6, s11
	v_add_co_u32_e32 v2, vcc, s10, v2
	v_lshlrev_b64 v[4:5], 4, v[4:5]
	v_addc_co_u32_e32 v3, vcc, v6, v3, vcc
	v_mov_b32_e32 v7, 0x1000
	v_mov_b32_e32 v6, s3
	v_add_co_u32_e32 v4, vcc, s2, v4
	v_lshl_add_u32 v25, v1, 7, v7
	v_addc_co_u32_e32 v5, vcc, v6, v5, vcc
	v_mov_b32_e32 v12, 0
	v_mov_b32_e32 v10, 0
	;; [unrolled: 1-line block ×8, first 2 shown]
	v_lshlrev_b32_e32 v24, 4, v0
	v_mov_b32_e32 v13, 0
	v_mov_b32_e32 v11, 0
	;; [unrolled: 1-line block ×8, first 2 shown]
	s_mov_b64 s[0:1], 0
.LBB1798_2:                             ; =>This Inner Loop Header: Depth=1
	flat_load_dwordx4 v[26:29], v[2:3]
	s_add_u32 s0, s0, 8
	v_add_co_u32_e32 v2, vcc, 0x80, v2
	s_addc_u32 s1, s1, 0
	v_addc_co_u32_e32 v3, vcc, 0, v3, vcc
	s_waitcnt vmcnt(0) lgkmcnt(0)
	v_xor_b32_e32 v29, 0x80000000, v29
	ds_write_b128 v22, v[26:29]
	flat_load_dwordx4 v[26:29], v[4:5]
	v_add_co_u32_e32 v4, vcc, 0x80, v4
	v_addc_co_u32_e32 v5, vcc, 0, v5, vcc
	s_waitcnt vmcnt(0) lgkmcnt(0)
	ds_write_b128 v23, v[26:29]
	s_waitcnt lgkmcnt(0)
	s_barrier
	ds_read_b128 v[26:29], v25
	ds_read_b128 v[30:33], v25 offset:16
	ds_read_b128 v[34:37], v25 offset:32
	;; [unrolled: 1-line block ×3, first 2 shown]
	ds_read_b128 v[42:45], v24
	s_waitcnt lgkmcnt(0)
	v_mul_f64 v[46:47], v[28:29], v[44:45]
	v_mul_f64 v[48:49], v[26:27], v[44:45]
	v_fma_f64 v[46:47], v[26:27], v[42:43], -v[46:47]
	v_fma_f64 v[48:49], v[28:29], v[42:43], v[48:49]
	v_add_f64 v[16:17], v[16:17], v[46:47]
	v_add_f64 v[20:21], v[48:49], v[20:21]
	ds_read_b128 v[46:49], v24 offset:256
	s_waitcnt lgkmcnt(0)
	v_mul_f64 v[50:51], v[28:29], v[48:49]
	v_fma_f64 v[50:51], v[26:27], v[46:47], -v[50:51]
	v_mul_f64 v[26:27], v[26:27], v[48:49]
	v_fma_f64 v[26:27], v[28:29], v[46:47], v[26:27]
	v_add_f64 v[28:29], v[6:7], v[50:51]
	v_add_f64 v[26:27], v[26:27], v[8:9]
	ds_read_b128 v[6:9], v25 offset:2048
	s_waitcnt lgkmcnt(0)
	v_mul_f64 v[50:51], v[8:9], v[44:45]
	v_mul_f64 v[44:45], v[6:7], v[44:45]
	v_fma_f64 v[50:51], v[6:7], v[42:43], -v[50:51]
	v_fma_f64 v[42:43], v[8:9], v[42:43], v[44:45]
	v_add_f64 v[44:45], v[14:15], v[50:51]
	v_mul_f64 v[14:15], v[8:9], v[48:49]
	v_add_f64 v[18:19], v[42:43], v[18:19]
	v_fma_f64 v[14:15], v[6:7], v[46:47], -v[14:15]
	v_mul_f64 v[6:7], v[6:7], v[48:49]
	v_add_f64 v[42:43], v[10:11], v[14:15]
	v_fma_f64 v[6:7], v[8:9], v[46:47], v[6:7]
	v_add_f64 v[46:47], v[6:7], v[12:13]
	ds_read_b128 v[6:9], v24 offset:512
	s_waitcnt lgkmcnt(0)
	v_mul_f64 v[10:11], v[32:33], v[8:9]
	v_mul_f64 v[12:13], v[30:31], v[8:9]
	v_fma_f64 v[10:11], v[30:31], v[6:7], -v[10:11]
	v_fma_f64 v[12:13], v[32:33], v[6:7], v[12:13]
	v_add_f64 v[48:49], v[16:17], v[10:11]
	v_add_f64 v[20:21], v[12:13], v[20:21]
	ds_read_b128 v[10:13], v24 offset:768
	s_waitcnt lgkmcnt(0)
	v_mul_f64 v[14:15], v[32:33], v[12:13]
	v_mul_f64 v[16:17], v[30:31], v[12:13]
	v_fma_f64 v[14:15], v[30:31], v[10:11], -v[14:15]
	v_fma_f64 v[16:17], v[32:33], v[10:11], v[16:17]
	v_add_f64 v[28:29], v[28:29], v[14:15]
	v_add_f64 v[26:27], v[16:17], v[26:27]
	ds_read_b128 v[14:17], v25 offset:2064
	s_waitcnt lgkmcnt(0)
	v_mul_f64 v[30:31], v[16:17], v[8:9]
	v_mul_f64 v[8:9], v[14:15], v[8:9]
	v_fma_f64 v[30:31], v[14:15], v[6:7], -v[30:31]
	v_fma_f64 v[6:7], v[16:17], v[6:7], v[8:9]
	v_mul_f64 v[8:9], v[14:15], v[12:13]
	v_add_f64 v[30:31], v[44:45], v[30:31]
	v_add_f64 v[18:19], v[6:7], v[18:19]
	v_mul_f64 v[6:7], v[16:17], v[12:13]
	v_fma_f64 v[8:9], v[16:17], v[10:11], v[8:9]
	v_fma_f64 v[6:7], v[14:15], v[10:11], -v[6:7]
	v_add_f64 v[32:33], v[42:43], v[6:7]
	v_add_f64 v[42:43], v[8:9], v[46:47]
	ds_read_b128 v[6:9], v24 offset:1024
	s_waitcnt lgkmcnt(0)
	v_mul_f64 v[10:11], v[36:37], v[8:9]
	v_mul_f64 v[12:13], v[34:35], v[8:9]
	v_fma_f64 v[10:11], v[34:35], v[6:7], -v[10:11]
	v_fma_f64 v[12:13], v[36:37], v[6:7], v[12:13]
	v_add_f64 v[44:45], v[48:49], v[10:11]
	v_add_f64 v[20:21], v[12:13], v[20:21]
	ds_read_b128 v[10:13], v24 offset:1280
	s_waitcnt lgkmcnt(0)
	v_mul_f64 v[14:15], v[36:37], v[12:13]
	v_mul_f64 v[16:17], v[34:35], v[12:13]
	v_fma_f64 v[14:15], v[34:35], v[10:11], -v[14:15]
	v_fma_f64 v[16:17], v[36:37], v[10:11], v[16:17]
	v_add_f64 v[28:29], v[28:29], v[14:15]
	v_add_f64 v[26:27], v[16:17], v[26:27]
	ds_read_b128 v[14:17], v25 offset:2080
	s_waitcnt lgkmcnt(0)
	v_mul_f64 v[34:35], v[16:17], v[8:9]
	v_mul_f64 v[8:9], v[14:15], v[8:9]
	v_fma_f64 v[34:35], v[14:15], v[6:7], -v[34:35]
	v_fma_f64 v[6:7], v[16:17], v[6:7], v[8:9]
	v_mul_f64 v[8:9], v[14:15], v[12:13]
	v_add_f64 v[30:31], v[30:31], v[34:35]
	v_add_f64 v[18:19], v[6:7], v[18:19]
	v_mul_f64 v[6:7], v[16:17], v[12:13]
	v_fma_f64 v[8:9], v[16:17], v[10:11], v[8:9]
	v_fma_f64 v[6:7], v[14:15], v[10:11], -v[6:7]
	v_add_f64 v[34:35], v[8:9], v[42:43]
	;; [unrolled: 30-line block ×3, first 2 shown]
	v_add_f64 v[32:33], v[32:33], v[6:7]
	ds_read_b128 v[6:9], v25 offset:64
	ds_read_b128 v[10:13], v24 offset:2048
	s_waitcnt lgkmcnt(0)
	v_mul_f64 v[14:15], v[8:9], v[12:13]
	v_mul_f64 v[16:17], v[6:7], v[12:13]
	v_fma_f64 v[14:15], v[6:7], v[10:11], -v[14:15]
	v_fma_f64 v[16:17], v[8:9], v[10:11], v[16:17]
	v_add_f64 v[36:37], v[36:37], v[14:15]
	v_add_f64 v[20:21], v[16:17], v[20:21]
	ds_read_b128 v[14:17], v24 offset:2304
	s_waitcnt lgkmcnt(0)
	v_mul_f64 v[38:39], v[8:9], v[16:17]
	v_fma_f64 v[38:39], v[6:7], v[14:15], -v[38:39]
	v_mul_f64 v[6:7], v[6:7], v[16:17]
	v_add_f64 v[28:29], v[28:29], v[38:39]
	v_fma_f64 v[6:7], v[8:9], v[14:15], v[6:7]
	v_add_f64 v[26:27], v[6:7], v[26:27]
	ds_read_b128 v[6:9], v25 offset:2112
	s_waitcnt lgkmcnt(0)
	v_mul_f64 v[38:39], v[8:9], v[12:13]
	v_mul_f64 v[12:13], v[6:7], v[12:13]
	v_fma_f64 v[38:39], v[6:7], v[10:11], -v[38:39]
	v_fma_f64 v[10:11], v[8:9], v[10:11], v[12:13]
	v_add_f64 v[30:31], v[30:31], v[38:39]
	v_add_f64 v[18:19], v[10:11], v[18:19]
	v_mul_f64 v[10:11], v[8:9], v[16:17]
	v_fma_f64 v[10:11], v[6:7], v[14:15], -v[10:11]
	v_mul_f64 v[6:7], v[6:7], v[16:17]
	v_add_f64 v[32:33], v[32:33], v[10:11]
	v_fma_f64 v[6:7], v[8:9], v[14:15], v[6:7]
	v_add_f64 v[34:35], v[6:7], v[34:35]
	ds_read_b128 v[6:9], v25 offset:80
	ds_read_b128 v[10:13], v24 offset:2560
	s_waitcnt lgkmcnt(0)
	v_mul_f64 v[14:15], v[8:9], v[12:13]
	v_mul_f64 v[16:17], v[6:7], v[12:13]
	v_fma_f64 v[14:15], v[6:7], v[10:11], -v[14:15]
	v_fma_f64 v[16:17], v[8:9], v[10:11], v[16:17]
	v_add_f64 v[36:37], v[36:37], v[14:15]
	v_add_f64 v[20:21], v[16:17], v[20:21]
	ds_read_b128 v[14:17], v24 offset:2816
	s_waitcnt lgkmcnt(0)
	v_mul_f64 v[38:39], v[8:9], v[16:17]
	v_fma_f64 v[38:39], v[6:7], v[14:15], -v[38:39]
	v_mul_f64 v[6:7], v[6:7], v[16:17]
	v_add_f64 v[28:29], v[28:29], v[38:39]
	v_fma_f64 v[6:7], v[8:9], v[14:15], v[6:7]
	v_add_f64 v[26:27], v[6:7], v[26:27]
	ds_read_b128 v[6:9], v25 offset:2128
	s_waitcnt lgkmcnt(0)
	v_mul_f64 v[38:39], v[8:9], v[12:13]
	v_mul_f64 v[12:13], v[6:7], v[12:13]
	v_fma_f64 v[38:39], v[6:7], v[10:11], -v[38:39]
	v_fma_f64 v[10:11], v[8:9], v[10:11], v[12:13]
	v_add_f64 v[30:31], v[30:31], v[38:39]
	v_add_f64 v[18:19], v[10:11], v[18:19]
	v_mul_f64 v[10:11], v[8:9], v[16:17]
	v_fma_f64 v[10:11], v[6:7], v[14:15], -v[10:11]
	v_mul_f64 v[6:7], v[6:7], v[16:17]
	v_add_f64 v[32:33], v[32:33], v[10:11]
	v_fma_f64 v[6:7], v[8:9], v[14:15], v[6:7]
	;; [unrolled: 31-line block ×3, first 2 shown]
	v_add_f64 v[34:35], v[6:7], v[34:35]
	ds_read_b128 v[6:9], v25 offset:112
	ds_read_b128 v[10:13], v24 offset:3584
	;; [unrolled: 1-line block ×3, first 2 shown]
	s_waitcnt lgkmcnt(1)
	v_mul_f64 v[16:17], v[6:7], v[12:13]
	v_mul_f64 v[14:15], v[8:9], v[12:13]
	v_fma_f64 v[26:27], v[8:9], v[10:11], v[16:17]
	v_fma_f64 v[14:15], v[6:7], v[10:11], -v[14:15]
	v_add_f64 v[20:21], v[26:27], v[20:21]
	ds_read_b128 v[26:29], v24 offset:3840
	v_add_f64 v[16:17], v[36:37], v[14:15]
	s_waitcnt lgkmcnt(0)
	s_barrier
	v_mul_f64 v[14:15], v[8:9], v[28:29]
	v_fma_f64 v[14:15], v[6:7], v[26:27], -v[14:15]
	v_mul_f64 v[6:7], v[6:7], v[28:29]
	v_fma_f64 v[8:9], v[8:9], v[26:27], v[6:7]
	v_add_f64 v[6:7], v[38:39], v[14:15]
	v_mul_f64 v[14:15], v[32:33], v[12:13]
	v_mul_f64 v[12:13], v[30:31], v[12:13]
	v_add_f64 v[8:9], v[8:9], v[40:41]
	v_fma_f64 v[14:15], v[30:31], v[10:11], -v[14:15]
	v_fma_f64 v[10:11], v[32:33], v[10:11], v[12:13]
	v_mul_f64 v[12:13], v[30:31], v[28:29]
	v_add_f64 v[14:15], v[42:43], v[14:15]
	v_add_f64 v[18:19], v[10:11], v[18:19]
	v_mul_f64 v[10:11], v[32:33], v[28:29]
	v_fma_f64 v[12:13], v[32:33], v[26:27], v[12:13]
	v_fma_f64 v[10:11], v[30:31], v[26:27], -v[10:11]
	v_add_f64 v[12:13], v[12:13], v[34:35]
	v_mov_b32_e32 v27, s1
	v_mov_b32_e32 v26, s0
	v_cmp_le_u64_e32 vcc, s[12:13], v[26:27]
	v_add_f64 v[10:11], v[44:45], v[10:11]
	s_cbranch_vccz .LBB1798_2
	s_branch .LBB1798_4
.LBB1798_3:
	v_mov_b32_e32 v16, 0
	v_mov_b32_e32 v20, 0
	;; [unrolled: 1-line block ×16, first 2 shown]
.LBB1798_4:
	v_add_u32_e32 v4, s7, v1
	v_ashrrev_i32_e32 v1, 31, v4
	v_mul_lo_u32 v3, s22, v1
	v_mul_lo_u32 v5, s23, v4
	v_mad_u64_u32 v[1:2], s[0:1], s22, v4, 0
	s_load_dword s4, s[4:5], 0x0
	v_add_u32_e32 v0, s6, v0
	v_add3_u32 v2, v2, v3, v5
	v_lshlrev_b64 v[1:2], 4, v[1:2]
	s_waitcnt lgkmcnt(0)
	v_mov_b32_e32 v3, s9
	v_add_co_u32_e32 v5, vcc, s8, v1
	v_addc_co_u32_e32 v22, vcc, v3, v2, vcc
	v_cmp_le_i32_e64 s[0:1], v4, v0
	v_cmp_gt_i32_e32 vcc, s4, v0
	s_and_b64 s[0:1], s[0:1], vcc
	s_and_saveexec_b64 s[2:3], s[0:1]
	s_cbranch_execz .LBB1798_6
; %bb.5:
	v_mul_f64 v[2:3], s[14:15], v[20:21]
	v_mul_f64 v[20:21], s[16:17], v[20:21]
	v_ashrrev_i32_e32 v1, 31, v0
	v_lshlrev_b64 v[25:26], 4, v[0:1]
	v_fma_f64 v[2:3], s[16:17], v[16:17], v[2:3]
	v_fma_f64 v[23:24], s[14:15], v[16:17], -v[20:21]
	v_add_co_u32_e64 v16, s[0:1], v5, v25
	v_addc_co_u32_e64 v17, s[0:1], v22, v26, s[0:1]
	v_cmp_ne_u32_e64 s[0:1], v4, v0
	v_cndmask_b32_e64 v26, 0, v3, s[0:1]
	v_cndmask_b32_e64 v25, 0, v2, s[0:1]
	flat_store_dwordx4 v[16:17], v[23:26]
.LBB1798_6:
	s_or_b64 exec, exec, s[2:3]
	v_add_u32_e32 v2, 16, v0
	v_cmp_le_i32_e64 s[2:3], v4, v2
	v_cmp_gt_i32_e64 s[0:1], s4, v2
	s_and_b64 s[2:3], s[2:3], s[0:1]
	s_and_saveexec_b64 s[4:5], s[2:3]
	s_cbranch_execz .LBB1798_8
; %bb.7:
	v_mul_f64 v[16:17], s[14:15], v[8:9]
	v_mul_f64 v[8:9], s[16:17], v[8:9]
	v_ashrrev_i32_e32 v3, 31, v2
	v_lshlrev_b64 v[20:21], 4, v[2:3]
	v_add_co_u32_e64 v20, s[2:3], v5, v20
	v_addc_co_u32_e64 v21, s[2:3], v22, v21, s[2:3]
	v_fma_f64 v[16:17], s[16:17], v[6:7], v[16:17]
	v_fma_f64 v[6:7], s[14:15], v[6:7], -v[8:9]
	v_cmp_ne_u32_e64 s[2:3], v4, v2
	v_cndmask_b32_e64 v9, 0, v17, s[2:3]
	v_cndmask_b32_e64 v8, 0, v16, s[2:3]
	flat_store_dwordx4 v[20:21], v[6:9]
.LBB1798_8:
	s_or_b64 exec, exec, s[4:5]
	v_add_u32_e32 v3, 16, v4
	v_ashrrev_i32_e32 v1, 31, v3
	v_mul_lo_u32 v7, s23, v3
	v_mad_u64_u32 v[5:6], s[2:3], s22, v3, 0
	v_mul_lo_u32 v1, s22, v1
	v_add3_u32 v6, v6, v1, v7
	v_lshlrev_b64 v[5:6], 4, v[5:6]
	v_mov_b32_e32 v1, s9
	v_add_co_u32_e64 v5, s[2:3], s8, v5
	v_addc_co_u32_e64 v6, s[2:3], v1, v6, s[2:3]
	v_cmp_le_i32_e64 s[2:3], v3, v0
	s_and_b64 s[4:5], s[2:3], vcc
	s_and_saveexec_b64 s[2:3], s[4:5]
	s_cbranch_execz .LBB1798_10
; %bb.9:
	v_mul_f64 v[7:8], s[14:15], v[18:19]
	v_mul_f64 v[16:17], s[16:17], v[18:19]
	v_ashrrev_i32_e32 v1, 31, v0
	v_lshlrev_b64 v[18:19], 4, v[0:1]
	v_add_co_u32_e32 v18, vcc, v5, v18
	v_addc_co_u32_e32 v19, vcc, v6, v19, vcc
	v_fma_f64 v[7:8], s[16:17], v[14:15], v[7:8]
	v_fma_f64 v[14:15], s[14:15], v[14:15], -v[16:17]
	v_cmp_ne_u32_e32 vcc, v3, v0
	v_cndmask_b32_e32 v17, 0, v8, vcc
	v_cndmask_b32_e32 v16, 0, v7, vcc
	flat_store_dwordx4 v[18:19], v[14:17]
.LBB1798_10:
	s_or_b64 exec, exec, s[2:3]
	v_cmp_le_i32_e32 vcc, v3, v2
	s_and_b64 s[0:1], vcc, s[0:1]
	s_and_saveexec_b64 s[2:3], s[0:1]
	s_cbranch_execz .LBB1798_12
; %bb.11:
	v_mul_f64 v[7:8], s[14:15], v[12:13]
	v_mul_f64 v[12:13], s[16:17], v[12:13]
	v_ashrrev_i32_e32 v3, 31, v2
	v_lshlrev_b64 v[14:15], 4, v[2:3]
	v_add_co_u32_e32 v5, vcc, v5, v14
	v_addc_co_u32_e32 v6, vcc, v6, v15, vcc
	v_fma_f64 v[7:8], s[16:17], v[10:11], v[7:8]
	v_fma_f64 v[1:2], s[14:15], v[10:11], -v[12:13]
	v_cmp_ne_u32_e32 vcc, v4, v0
	v_cndmask_b32_e32 v4, 0, v8, vcc
	v_cndmask_b32_e32 v3, 0, v7, vcc
	flat_store_dwordx4 v[5:6], v[1:4]
.LBB1798_12:
	s_endpgm
	.section	.rodata,"a",@progbits
	.p2align	6, 0x0
	.amdhsa_kernel _ZL37rocblas_syrkx_herkx_restricted_kernelIl19rocblas_complex_numIdELi16ELi32ELi8ELb1ELb1ELc67ELc76EKPKS1_KPS1_EviT_T0_PT8_S7_lSA_S7_lS8_PT9_S7_li
		.amdhsa_group_segment_fixed_size 8192
		.amdhsa_private_segment_fixed_size 0
		.amdhsa_kernarg_size 124
		.amdhsa_user_sgpr_count 6
		.amdhsa_user_sgpr_private_segment_buffer 1
		.amdhsa_user_sgpr_dispatch_ptr 0
		.amdhsa_user_sgpr_queue_ptr 0
		.amdhsa_user_sgpr_kernarg_segment_ptr 1
		.amdhsa_user_sgpr_dispatch_id 0
		.amdhsa_user_sgpr_flat_scratch_init 0
		.amdhsa_user_sgpr_private_segment_size 0
		.amdhsa_uses_dynamic_stack 0
		.amdhsa_system_sgpr_private_segment_wavefront_offset 0
		.amdhsa_system_sgpr_workgroup_id_x 1
		.amdhsa_system_sgpr_workgroup_id_y 1
		.amdhsa_system_sgpr_workgroup_id_z 1
		.amdhsa_system_sgpr_workgroup_info 0
		.amdhsa_system_vgpr_workitem_id 1
		.amdhsa_next_free_vgpr 52
		.amdhsa_next_free_sgpr 61
		.amdhsa_reserve_vcc 1
		.amdhsa_reserve_flat_scratch 0
		.amdhsa_float_round_mode_32 0
		.amdhsa_float_round_mode_16_64 0
		.amdhsa_float_denorm_mode_32 3
		.amdhsa_float_denorm_mode_16_64 3
		.amdhsa_dx10_clamp 1
		.amdhsa_ieee_mode 1
		.amdhsa_fp16_overflow 0
		.amdhsa_exception_fp_ieee_invalid_op 0
		.amdhsa_exception_fp_denorm_src 0
		.amdhsa_exception_fp_ieee_div_zero 0
		.amdhsa_exception_fp_ieee_overflow 0
		.amdhsa_exception_fp_ieee_underflow 0
		.amdhsa_exception_fp_ieee_inexact 0
		.amdhsa_exception_int_div_zero 0
	.end_amdhsa_kernel
	.section	.text._ZL37rocblas_syrkx_herkx_restricted_kernelIl19rocblas_complex_numIdELi16ELi32ELi8ELb1ELb1ELc67ELc76EKPKS1_KPS1_EviT_T0_PT8_S7_lSA_S7_lS8_PT9_S7_li,"axG",@progbits,_ZL37rocblas_syrkx_herkx_restricted_kernelIl19rocblas_complex_numIdELi16ELi32ELi8ELb1ELb1ELc67ELc76EKPKS1_KPS1_EviT_T0_PT8_S7_lSA_S7_lS8_PT9_S7_li,comdat
.Lfunc_end1798:
	.size	_ZL37rocblas_syrkx_herkx_restricted_kernelIl19rocblas_complex_numIdELi16ELi32ELi8ELb1ELb1ELc67ELc76EKPKS1_KPS1_EviT_T0_PT8_S7_lSA_S7_lS8_PT9_S7_li, .Lfunc_end1798-_ZL37rocblas_syrkx_herkx_restricted_kernelIl19rocblas_complex_numIdELi16ELi32ELi8ELb1ELb1ELc67ELc76EKPKS1_KPS1_EviT_T0_PT8_S7_lSA_S7_lS8_PT9_S7_li
                                        ; -- End function
	.set _ZL37rocblas_syrkx_herkx_restricted_kernelIl19rocblas_complex_numIdELi16ELi32ELi8ELb1ELb1ELc67ELc76EKPKS1_KPS1_EviT_T0_PT8_S7_lSA_S7_lS8_PT9_S7_li.num_vgpr, 52
	.set _ZL37rocblas_syrkx_herkx_restricted_kernelIl19rocblas_complex_numIdELi16ELi32ELi8ELb1ELb1ELc67ELc76EKPKS1_KPS1_EviT_T0_PT8_S7_lSA_S7_lS8_PT9_S7_li.num_agpr, 0
	.set _ZL37rocblas_syrkx_herkx_restricted_kernelIl19rocblas_complex_numIdELi16ELi32ELi8ELb1ELb1ELc67ELc76EKPKS1_KPS1_EviT_T0_PT8_S7_lSA_S7_lS8_PT9_S7_li.numbered_sgpr, 28
	.set _ZL37rocblas_syrkx_herkx_restricted_kernelIl19rocblas_complex_numIdELi16ELi32ELi8ELb1ELb1ELc67ELc76EKPKS1_KPS1_EviT_T0_PT8_S7_lSA_S7_lS8_PT9_S7_li.num_named_barrier, 0
	.set _ZL37rocblas_syrkx_herkx_restricted_kernelIl19rocblas_complex_numIdELi16ELi32ELi8ELb1ELb1ELc67ELc76EKPKS1_KPS1_EviT_T0_PT8_S7_lSA_S7_lS8_PT9_S7_li.private_seg_size, 0
	.set _ZL37rocblas_syrkx_herkx_restricted_kernelIl19rocblas_complex_numIdELi16ELi32ELi8ELb1ELb1ELc67ELc76EKPKS1_KPS1_EviT_T0_PT8_S7_lSA_S7_lS8_PT9_S7_li.uses_vcc, 1
	.set _ZL37rocblas_syrkx_herkx_restricted_kernelIl19rocblas_complex_numIdELi16ELi32ELi8ELb1ELb1ELc67ELc76EKPKS1_KPS1_EviT_T0_PT8_S7_lSA_S7_lS8_PT9_S7_li.uses_flat_scratch, 0
	.set _ZL37rocblas_syrkx_herkx_restricted_kernelIl19rocblas_complex_numIdELi16ELi32ELi8ELb1ELb1ELc67ELc76EKPKS1_KPS1_EviT_T0_PT8_S7_lSA_S7_lS8_PT9_S7_li.has_dyn_sized_stack, 0
	.set _ZL37rocblas_syrkx_herkx_restricted_kernelIl19rocblas_complex_numIdELi16ELi32ELi8ELb1ELb1ELc67ELc76EKPKS1_KPS1_EviT_T0_PT8_S7_lSA_S7_lS8_PT9_S7_li.has_recursion, 0
	.set _ZL37rocblas_syrkx_herkx_restricted_kernelIl19rocblas_complex_numIdELi16ELi32ELi8ELb1ELb1ELc67ELc76EKPKS1_KPS1_EviT_T0_PT8_S7_lSA_S7_lS8_PT9_S7_li.has_indirect_call, 0
	.section	.AMDGPU.csdata,"",@progbits
; Kernel info:
; codeLenInByte = 3036
; TotalNumSgprs: 32
; NumVgprs: 52
; ScratchSize: 0
; MemoryBound: 0
; FloatMode: 240
; IeeeMode: 1
; LDSByteSize: 8192 bytes/workgroup (compile time only)
; SGPRBlocks: 8
; VGPRBlocks: 12
; NumSGPRsForWavesPerEU: 65
; NumVGPRsForWavesPerEU: 52
; Occupancy: 4
; WaveLimiterHint : 1
; COMPUTE_PGM_RSRC2:SCRATCH_EN: 0
; COMPUTE_PGM_RSRC2:USER_SGPR: 6
; COMPUTE_PGM_RSRC2:TRAP_HANDLER: 0
; COMPUTE_PGM_RSRC2:TGID_X_EN: 1
; COMPUTE_PGM_RSRC2:TGID_Y_EN: 1
; COMPUTE_PGM_RSRC2:TGID_Z_EN: 1
; COMPUTE_PGM_RSRC2:TIDIG_COMP_CNT: 1
	.section	.text._ZL37rocblas_syrkx_herkx_restricted_kernelIl19rocblas_complex_numIdELi16ELi32ELi8ELb1ELb1ELc78ELc76EKPKS1_KPS1_EviT_T0_PT8_S7_lSA_S7_lS8_PT9_S7_li,"axG",@progbits,_ZL37rocblas_syrkx_herkx_restricted_kernelIl19rocblas_complex_numIdELi16ELi32ELi8ELb1ELb1ELc78ELc76EKPKS1_KPS1_EviT_T0_PT8_S7_lSA_S7_lS8_PT9_S7_li,comdat
	.globl	_ZL37rocblas_syrkx_herkx_restricted_kernelIl19rocblas_complex_numIdELi16ELi32ELi8ELb1ELb1ELc78ELc76EKPKS1_KPS1_EviT_T0_PT8_S7_lSA_S7_lS8_PT9_S7_li ; -- Begin function _ZL37rocblas_syrkx_herkx_restricted_kernelIl19rocblas_complex_numIdELi16ELi32ELi8ELb1ELb1ELc78ELc76EKPKS1_KPS1_EviT_T0_PT8_S7_lSA_S7_lS8_PT9_S7_li
	.p2align	8
	.type	_ZL37rocblas_syrkx_herkx_restricted_kernelIl19rocblas_complex_numIdELi16ELi32ELi8ELb1ELb1ELc78ELc76EKPKS1_KPS1_EviT_T0_PT8_S7_lSA_S7_lS8_PT9_S7_li,@function
_ZL37rocblas_syrkx_herkx_restricted_kernelIl19rocblas_complex_numIdELi16ELi32ELi8ELb1ELb1ELc78ELc76EKPKS1_KPS1_EviT_T0_PT8_S7_lSA_S7_lS8_PT9_S7_li: ; @_ZL37rocblas_syrkx_herkx_restricted_kernelIl19rocblas_complex_numIdELi16ELi32ELi8ELb1ELb1ELc78ELc76EKPKS1_KPS1_EviT_T0_PT8_S7_lSA_S7_lS8_PT9_S7_li
; %bb.0:
	s_load_dwordx4 s[20:23], s[4:5], 0x60
	s_load_dwordx2 s[10:11], s[4:5], 0x28
	s_load_dwordx8 s[12:19], s[4:5], 0x8
	s_mov_b32 s9, 0
	s_lshl_b64 s[24:25], s[8:9], 3
	s_waitcnt lgkmcnt(0)
	s_add_u32 s0, s20, s24
	s_addc_u32 s1, s21, s25
	s_load_dwordx2 s[8:9], s[0:1], 0x0
	v_cmp_lt_i64_e64 s[0:1], s[12:13], 1
	s_lshl_b32 s20, s6, 5
	s_lshl_b32 s21, s7, 5
	s_and_b64 vcc, exec, s[0:1]
	s_cbranch_vccnz .LBB1799_3
; %bb.1:
	s_load_dwordx4 s[0:3], s[4:5], 0x38
	v_lshl_add_u32 v6, v1, 4, v0
	v_lshrrev_b32_e32 v7, 3, v6
	v_add_u32_e32 v2, s21, v7
	s_add_u32 s6, s18, s24
	v_and_b32_e32 v8, 7, v0
	v_ashrrev_i32_e32 v3, 31, v2
	s_addc_u32 s7, s19, s25
	s_waitcnt lgkmcnt(0)
	v_mad_u64_u32 v[4:5], s[18:19], s2, v8, v[2:3]
	v_lshrrev_b32_e32 v9, 5, v6
	s_add_u32 s0, s0, s24
	v_mov_b32_e32 v2, v5
	v_mad_u64_u32 v[2:3], s[18:19], s3, v8, v[2:3]
	v_and_b32_e32 v3, 31, v6
	s_addc_u32 s1, s1, s25
	v_mov_b32_e32 v5, v2
	v_lshlrev_b32_e32 v2, 4, v3
	v_lshl_or_b32 v22, v9, 9, v2
	v_add_u32_e32 v2, s20, v3
	v_ashrrev_i32_e32 v3, 31, v2
	s_load_dwordx2 s[18:19], s[0:1], 0x0
	v_mad_u64_u32 v[2:3], s[0:1], s10, v9, v[2:3]
	v_lshlrev_b32_e32 v6, 4, v8
	v_lshl_or_b32 v6, v7, 7, v6
	v_add_u32_e32 v23, 0x1000, v6
	v_mad_u64_u32 v[6:7], s[0:1], s11, v9, v[3:4]
	s_load_dwordx2 s[6:7], s[6:7], 0x0
	v_mov_b32_e32 v3, 0x1000
	v_lshl_add_u32 v25, v1, 7, v3
	v_mov_b32_e32 v3, v6
	v_lshlrev_b64 v[2:3], 4, v[2:3]
	s_waitcnt lgkmcnt(0)
	v_mov_b32_e32 v6, s7
	v_add_co_u32_e32 v2, vcc, s6, v2
	v_lshlrev_b64 v[4:5], 4, v[4:5]
	v_addc_co_u32_e32 v3, vcc, v6, v3, vcc
	v_mov_b32_e32 v6, s19
	v_add_co_u32_e32 v4, vcc, s18, v4
	s_lshl_b64 s[0:1], s[10:11], 7
	v_addc_co_u32_e32 v5, vcc, v6, v5, vcc
	s_lshl_b64 s[2:3], s[2:3], 7
	v_mov_b32_e32 v12, 0
	v_mov_b32_e32 v10, 0
	;; [unrolled: 1-line block ×8, first 2 shown]
	v_lshlrev_b32_e32 v24, 4, v0
	v_mov_b32_e32 v13, 0
	s_mov_b64 s[6:7], 0
	v_mov_b32_e32 v26, s1
	v_mov_b32_e32 v11, 0
	;; [unrolled: 1-line block ×9, first 2 shown]
.LBB1799_2:                             ; =>This Inner Loop Header: Depth=1
	flat_load_dwordx4 v[28:31], v[2:3]
	s_add_u32 s6, s6, 8
	v_add_co_u32_e32 v2, vcc, s0, v2
	s_addc_u32 s7, s7, 0
	v_addc_co_u32_e32 v3, vcc, v3, v26, vcc
	s_waitcnt vmcnt(0) lgkmcnt(0)
	ds_write_b128 v22, v[28:31]
	flat_load_dwordx4 v[28:31], v[4:5]
	v_add_co_u32_e32 v4, vcc, s2, v4
	v_addc_co_u32_e32 v5, vcc, v5, v27, vcc
	s_waitcnt vmcnt(0) lgkmcnt(0)
	v_xor_b32_e32 v31, 0x80000000, v31
	ds_write_b128 v23, v[28:31]
	s_waitcnt lgkmcnt(0)
	s_barrier
	ds_read_b128 v[28:31], v25
	ds_read_b128 v[32:35], v25 offset:16
	ds_read_b128 v[36:39], v25 offset:32
	;; [unrolled: 1-line block ×3, first 2 shown]
	ds_read_b128 v[44:47], v24
	s_waitcnt lgkmcnt(0)
	v_mul_f64 v[48:49], v[30:31], v[46:47]
	v_mul_f64 v[50:51], v[28:29], v[46:47]
	v_fma_f64 v[48:49], v[28:29], v[44:45], -v[48:49]
	v_fma_f64 v[50:51], v[30:31], v[44:45], v[50:51]
	v_add_f64 v[48:49], v[18:19], v[48:49]
	v_add_f64 v[50:51], v[50:51], v[20:21]
	ds_read_b128 v[18:21], v24 offset:256
	s_waitcnt lgkmcnt(0)
	v_mul_f64 v[52:53], v[30:31], v[20:21]
	v_fma_f64 v[52:53], v[28:29], v[18:19], -v[52:53]
	v_mul_f64 v[28:29], v[28:29], v[20:21]
	v_fma_f64 v[28:29], v[30:31], v[18:19], v[28:29]
	v_add_f64 v[30:31], v[6:7], v[52:53]
	v_add_f64 v[28:29], v[28:29], v[8:9]
	ds_read_b128 v[6:9], v25 offset:2048
	s_waitcnt lgkmcnt(0)
	v_mul_f64 v[52:53], v[8:9], v[46:47]
	v_mul_f64 v[46:47], v[6:7], v[46:47]
	v_fma_f64 v[52:53], v[6:7], v[44:45], -v[52:53]
	v_fma_f64 v[44:45], v[8:9], v[44:45], v[46:47]
	v_add_f64 v[46:47], v[14:15], v[52:53]
	v_mul_f64 v[14:15], v[8:9], v[20:21]
	v_add_f64 v[44:45], v[44:45], v[16:17]
	v_fma_f64 v[14:15], v[6:7], v[18:19], -v[14:15]
	v_mul_f64 v[6:7], v[6:7], v[20:21]
	v_fma_f64 v[6:7], v[8:9], v[18:19], v[6:7]
	v_add_f64 v[18:19], v[10:11], v[14:15]
	v_add_f64 v[20:21], v[6:7], v[12:13]
	ds_read_b128 v[6:9], v24 offset:512
	s_waitcnt lgkmcnt(0)
	v_mul_f64 v[10:11], v[34:35], v[8:9]
	v_mul_f64 v[12:13], v[32:33], v[8:9]
	v_fma_f64 v[10:11], v[32:33], v[6:7], -v[10:11]
	v_fma_f64 v[12:13], v[34:35], v[6:7], v[12:13]
	v_add_f64 v[48:49], v[48:49], v[10:11]
	v_add_f64 v[50:51], v[12:13], v[50:51]
	ds_read_b128 v[10:13], v24 offset:768
	s_waitcnt lgkmcnt(0)
	v_mul_f64 v[14:15], v[34:35], v[12:13]
	v_mul_f64 v[16:17], v[32:33], v[12:13]
	v_fma_f64 v[14:15], v[32:33], v[10:11], -v[14:15]
	v_fma_f64 v[16:17], v[34:35], v[10:11], v[16:17]
	v_add_f64 v[30:31], v[30:31], v[14:15]
	v_add_f64 v[28:29], v[16:17], v[28:29]
	ds_read_b128 v[14:17], v25 offset:2064
	s_waitcnt lgkmcnt(0)
	v_mul_f64 v[32:33], v[16:17], v[8:9]
	v_mul_f64 v[8:9], v[14:15], v[8:9]
	v_fma_f64 v[32:33], v[14:15], v[6:7], -v[32:33]
	v_fma_f64 v[6:7], v[16:17], v[6:7], v[8:9]
	v_mul_f64 v[8:9], v[14:15], v[12:13]
	v_add_f64 v[32:33], v[46:47], v[32:33]
	v_add_f64 v[34:35], v[6:7], v[44:45]
	v_mul_f64 v[6:7], v[16:17], v[12:13]
	v_fma_f64 v[8:9], v[16:17], v[10:11], v[8:9]
	v_fma_f64 v[6:7], v[14:15], v[10:11], -v[6:7]
	v_add_f64 v[20:21], v[8:9], v[20:21]
	v_add_f64 v[18:19], v[18:19], v[6:7]
	ds_read_b128 v[6:9], v24 offset:1024
	s_waitcnt lgkmcnt(0)
	v_mul_f64 v[10:11], v[38:39], v[8:9]
	v_mul_f64 v[12:13], v[36:37], v[8:9]
	v_fma_f64 v[10:11], v[36:37], v[6:7], -v[10:11]
	v_fma_f64 v[12:13], v[38:39], v[6:7], v[12:13]
	v_add_f64 v[44:45], v[48:49], v[10:11]
	v_add_f64 v[46:47], v[12:13], v[50:51]
	ds_read_b128 v[10:13], v24 offset:1280
	s_waitcnt lgkmcnt(0)
	v_mul_f64 v[14:15], v[38:39], v[12:13]
	v_mul_f64 v[16:17], v[36:37], v[12:13]
	v_fma_f64 v[14:15], v[36:37], v[10:11], -v[14:15]
	v_fma_f64 v[16:17], v[38:39], v[10:11], v[16:17]
	v_add_f64 v[30:31], v[30:31], v[14:15]
	v_add_f64 v[28:29], v[16:17], v[28:29]
	ds_read_b128 v[14:17], v25 offset:2080
	s_waitcnt lgkmcnt(0)
	v_mul_f64 v[36:37], v[16:17], v[8:9]
	v_mul_f64 v[8:9], v[14:15], v[8:9]
	v_fma_f64 v[36:37], v[14:15], v[6:7], -v[36:37]
	v_fma_f64 v[6:7], v[16:17], v[6:7], v[8:9]
	v_mul_f64 v[8:9], v[14:15], v[12:13]
	v_add_f64 v[32:33], v[32:33], v[36:37]
	v_add_f64 v[34:35], v[6:7], v[34:35]
	v_mul_f64 v[6:7], v[16:17], v[12:13]
	v_fma_f64 v[8:9], v[16:17], v[10:11], v[8:9]
	v_fma_f64 v[6:7], v[14:15], v[10:11], -v[6:7]
	v_add_f64 v[20:21], v[8:9], v[20:21]
	v_add_f64 v[18:19], v[18:19], v[6:7]
	ds_read_b128 v[6:9], v24 offset:1536
	s_waitcnt lgkmcnt(0)
	v_mul_f64 v[10:11], v[42:43], v[8:9]
	v_mul_f64 v[12:13], v[40:41], v[8:9]
	v_fma_f64 v[10:11], v[40:41], v[6:7], -v[10:11]
	v_fma_f64 v[12:13], v[42:43], v[6:7], v[12:13]
	v_add_f64 v[36:37], v[44:45], v[10:11]
	v_add_f64 v[38:39], v[12:13], v[46:47]
	ds_read_b128 v[10:13], v24 offset:1792
	s_waitcnt lgkmcnt(0)
	v_mul_f64 v[14:15], v[42:43], v[12:13]
	v_mul_f64 v[16:17], v[40:41], v[12:13]
	v_fma_f64 v[14:15], v[40:41], v[10:11], -v[14:15]
	v_fma_f64 v[16:17], v[42:43], v[10:11], v[16:17]
	;; [unrolled: 8-line block ×3, first 2 shown]
	v_mul_f64 v[8:9], v[14:15], v[12:13]
	v_add_f64 v[32:33], v[32:33], v[40:41]
	v_add_f64 v[34:35], v[6:7], v[34:35]
	v_mul_f64 v[6:7], v[16:17], v[12:13]
	v_fma_f64 v[8:9], v[16:17], v[10:11], v[8:9]
	v_fma_f64 v[6:7], v[14:15], v[10:11], -v[6:7]
	v_add_f64 v[20:21], v[8:9], v[20:21]
	v_add_f64 v[18:19], v[18:19], v[6:7]
	ds_read_b128 v[6:9], v25 offset:64
	ds_read_b128 v[10:13], v24 offset:2048
	s_waitcnt lgkmcnt(0)
	v_mul_f64 v[14:15], v[8:9], v[12:13]
	v_mul_f64 v[16:17], v[6:7], v[12:13]
	v_fma_f64 v[14:15], v[6:7], v[10:11], -v[14:15]
	v_fma_f64 v[16:17], v[8:9], v[10:11], v[16:17]
	v_add_f64 v[36:37], v[36:37], v[14:15]
	v_add_f64 v[38:39], v[16:17], v[38:39]
	ds_read_b128 v[14:17], v24 offset:2304
	s_waitcnt lgkmcnt(0)
	v_mul_f64 v[40:41], v[8:9], v[16:17]
	v_fma_f64 v[40:41], v[6:7], v[14:15], -v[40:41]
	v_mul_f64 v[6:7], v[6:7], v[16:17]
	v_add_f64 v[30:31], v[30:31], v[40:41]
	v_fma_f64 v[6:7], v[8:9], v[14:15], v[6:7]
	v_add_f64 v[28:29], v[6:7], v[28:29]
	ds_read_b128 v[6:9], v25 offset:2112
	s_waitcnt lgkmcnt(0)
	v_mul_f64 v[40:41], v[8:9], v[12:13]
	v_mul_f64 v[12:13], v[6:7], v[12:13]
	v_fma_f64 v[40:41], v[6:7], v[10:11], -v[40:41]
	v_fma_f64 v[10:11], v[8:9], v[10:11], v[12:13]
	v_add_f64 v[32:33], v[32:33], v[40:41]
	v_add_f64 v[34:35], v[10:11], v[34:35]
	v_mul_f64 v[10:11], v[8:9], v[16:17]
	v_fma_f64 v[10:11], v[6:7], v[14:15], -v[10:11]
	v_mul_f64 v[6:7], v[6:7], v[16:17]
	v_add_f64 v[18:19], v[18:19], v[10:11]
	v_fma_f64 v[6:7], v[8:9], v[14:15], v[6:7]
	v_add_f64 v[20:21], v[6:7], v[20:21]
	ds_read_b128 v[6:9], v25 offset:80
	ds_read_b128 v[10:13], v24 offset:2560
	s_waitcnt lgkmcnt(0)
	v_mul_f64 v[14:15], v[8:9], v[12:13]
	v_mul_f64 v[16:17], v[6:7], v[12:13]
	v_fma_f64 v[14:15], v[6:7], v[10:11], -v[14:15]
	v_fma_f64 v[16:17], v[8:9], v[10:11], v[16:17]
	v_add_f64 v[36:37], v[36:37], v[14:15]
	v_add_f64 v[38:39], v[16:17], v[38:39]
	ds_read_b128 v[14:17], v24 offset:2816
	s_waitcnt lgkmcnt(0)
	v_mul_f64 v[40:41], v[8:9], v[16:17]
	v_fma_f64 v[40:41], v[6:7], v[14:15], -v[40:41]
	v_mul_f64 v[6:7], v[6:7], v[16:17]
	v_add_f64 v[30:31], v[30:31], v[40:41]
	v_fma_f64 v[6:7], v[8:9], v[14:15], v[6:7]
	v_add_f64 v[28:29], v[6:7], v[28:29]
	ds_read_b128 v[6:9], v25 offset:2128
	s_waitcnt lgkmcnt(0)
	v_mul_f64 v[40:41], v[8:9], v[12:13]
	v_mul_f64 v[12:13], v[6:7], v[12:13]
	v_fma_f64 v[40:41], v[6:7], v[10:11], -v[40:41]
	v_fma_f64 v[10:11], v[8:9], v[10:11], v[12:13]
	v_add_f64 v[32:33], v[32:33], v[40:41]
	v_add_f64 v[34:35], v[10:11], v[34:35]
	v_mul_f64 v[10:11], v[8:9], v[16:17]
	v_fma_f64 v[10:11], v[6:7], v[14:15], -v[10:11]
	v_mul_f64 v[6:7], v[6:7], v[16:17]
	v_add_f64 v[18:19], v[18:19], v[10:11]
	v_fma_f64 v[6:7], v[8:9], v[14:15], v[6:7]
	;; [unrolled: 31-line block ×3, first 2 shown]
	v_add_f64 v[50:51], v[6:7], v[20:21]
	ds_read_b128 v[6:9], v25 offset:112
	ds_read_b128 v[10:13], v24 offset:3584
	;; [unrolled: 1-line block ×4, first 2 shown]
	s_waitcnt lgkmcnt(0)
	s_barrier
	v_mul_f64 v[14:15], v[8:9], v[12:13]
	v_mul_f64 v[16:17], v[6:7], v[12:13]
	v_fma_f64 v[14:15], v[6:7], v[10:11], -v[14:15]
	v_fma_f64 v[16:17], v[8:9], v[10:11], v[16:17]
	v_add_f64 v[18:19], v[36:37], v[14:15]
	v_mul_f64 v[14:15], v[8:9], v[30:31]
	v_add_f64 v[20:21], v[16:17], v[38:39]
	v_fma_f64 v[14:15], v[6:7], v[28:29], -v[14:15]
	v_mul_f64 v[6:7], v[6:7], v[30:31]
	v_fma_f64 v[8:9], v[8:9], v[28:29], v[6:7]
	v_add_f64 v[6:7], v[40:41], v[14:15]
	v_mul_f64 v[14:15], v[34:35], v[12:13]
	v_mul_f64 v[12:13], v[32:33], v[12:13]
	v_add_f64 v[8:9], v[8:9], v[42:43]
	v_fma_f64 v[14:15], v[32:33], v[10:11], -v[14:15]
	v_fma_f64 v[10:11], v[34:35], v[10:11], v[12:13]
	v_mul_f64 v[12:13], v[32:33], v[30:31]
	v_add_f64 v[14:15], v[44:45], v[14:15]
	v_add_f64 v[16:17], v[10:11], v[46:47]
	v_mul_f64 v[10:11], v[34:35], v[30:31]
	v_fma_f64 v[12:13], v[34:35], v[28:29], v[12:13]
	v_fma_f64 v[10:11], v[32:33], v[28:29], -v[10:11]
	v_add_f64 v[12:13], v[12:13], v[50:51]
	v_mov_b32_e32 v29, s7
	v_mov_b32_e32 v28, s6
	v_cmp_le_u64_e32 vcc, s[12:13], v[28:29]
	v_add_f64 v[10:11], v[48:49], v[10:11]
	s_cbranch_vccz .LBB1799_2
	s_branch .LBB1799_4
.LBB1799_3:
	v_mov_b32_e32 v18, 0
	v_mov_b32_e32 v20, 0
	;; [unrolled: 1-line block ×16, first 2 shown]
.LBB1799_4:
	v_add_u32_e32 v4, s21, v1
	v_ashrrev_i32_e32 v1, 31, v4
	v_mul_lo_u32 v3, s22, v1
	v_mul_lo_u32 v5, s23, v4
	v_mad_u64_u32 v[1:2], s[0:1], s22, v4, 0
	s_load_dword s4, s[4:5], 0x0
	v_add_u32_e32 v0, s20, v0
	v_add3_u32 v2, v2, v3, v5
	v_lshlrev_b64 v[1:2], 4, v[1:2]
	s_waitcnt lgkmcnt(0)
	v_mov_b32_e32 v3, s9
	v_add_co_u32_e32 v5, vcc, s8, v1
	v_addc_co_u32_e32 v22, vcc, v3, v2, vcc
	v_cmp_le_i32_e64 s[0:1], v4, v0
	v_cmp_gt_i32_e32 vcc, s4, v0
	s_and_b64 s[0:1], s[0:1], vcc
	s_and_saveexec_b64 s[2:3], s[0:1]
	s_cbranch_execz .LBB1799_6
; %bb.5:
	v_mul_f64 v[2:3], s[14:15], v[20:21]
	v_mul_f64 v[20:21], s[16:17], v[20:21]
	v_ashrrev_i32_e32 v1, 31, v0
	v_lshlrev_b64 v[23:24], 4, v[0:1]
	v_add_co_u32_e64 v23, s[0:1], v5, v23
	v_addc_co_u32_e64 v24, s[0:1], v22, v24, s[0:1]
	v_fma_f64 v[2:3], s[16:17], v[18:19], v[2:3]
	v_fma_f64 v[18:19], s[14:15], v[18:19], -v[20:21]
	v_cmp_ne_u32_e64 s[0:1], v4, v0
	v_cndmask_b32_e64 v21, 0, v3, s[0:1]
	v_cndmask_b32_e64 v20, 0, v2, s[0:1]
	flat_store_dwordx4 v[23:24], v[18:21]
.LBB1799_6:
	s_or_b64 exec, exec, s[2:3]
	v_add_u32_e32 v2, 16, v0
	v_cmp_le_i32_e64 s[2:3], v4, v2
	v_cmp_gt_i32_e64 s[0:1], s4, v2
	s_and_b64 s[2:3], s[2:3], s[0:1]
	s_and_saveexec_b64 s[4:5], s[2:3]
	s_cbranch_execz .LBB1799_8
; %bb.7:
	v_mul_f64 v[18:19], s[14:15], v[8:9]
	v_mul_f64 v[8:9], s[16:17], v[8:9]
	v_ashrrev_i32_e32 v3, 31, v2
	v_lshlrev_b64 v[20:21], 4, v[2:3]
	v_add_co_u32_e64 v20, s[2:3], v5, v20
	v_addc_co_u32_e64 v21, s[2:3], v22, v21, s[2:3]
	v_fma_f64 v[18:19], s[16:17], v[6:7], v[18:19]
	v_fma_f64 v[6:7], s[14:15], v[6:7], -v[8:9]
	v_cmp_ne_u32_e64 s[2:3], v4, v2
	v_cndmask_b32_e64 v9, 0, v19, s[2:3]
	v_cndmask_b32_e64 v8, 0, v18, s[2:3]
	flat_store_dwordx4 v[20:21], v[6:9]
.LBB1799_8:
	s_or_b64 exec, exec, s[4:5]
	v_add_u32_e32 v3, 16, v4
	v_ashrrev_i32_e32 v1, 31, v3
	v_mul_lo_u32 v7, s23, v3
	v_mad_u64_u32 v[5:6], s[2:3], s22, v3, 0
	v_mul_lo_u32 v1, s22, v1
	v_add3_u32 v6, v6, v1, v7
	v_lshlrev_b64 v[5:6], 4, v[5:6]
	v_mov_b32_e32 v1, s9
	v_add_co_u32_e64 v5, s[2:3], s8, v5
	v_addc_co_u32_e64 v6, s[2:3], v1, v6, s[2:3]
	v_cmp_le_i32_e64 s[2:3], v3, v0
	s_and_b64 s[4:5], s[2:3], vcc
	s_and_saveexec_b64 s[2:3], s[4:5]
	s_cbranch_execz .LBB1799_10
; %bb.9:
	v_mul_f64 v[7:8], s[14:15], v[16:17]
	v_mul_f64 v[16:17], s[16:17], v[16:17]
	v_ashrrev_i32_e32 v1, 31, v0
	v_lshlrev_b64 v[18:19], 4, v[0:1]
	v_add_co_u32_e32 v18, vcc, v5, v18
	v_addc_co_u32_e32 v19, vcc, v6, v19, vcc
	v_fma_f64 v[7:8], s[16:17], v[14:15], v[7:8]
	v_fma_f64 v[14:15], s[14:15], v[14:15], -v[16:17]
	v_cmp_ne_u32_e32 vcc, v3, v0
	v_cndmask_b32_e32 v17, 0, v8, vcc
	v_cndmask_b32_e32 v16, 0, v7, vcc
	flat_store_dwordx4 v[18:19], v[14:17]
.LBB1799_10:
	s_or_b64 exec, exec, s[2:3]
	v_cmp_le_i32_e32 vcc, v3, v2
	s_and_b64 s[0:1], vcc, s[0:1]
	s_and_saveexec_b64 s[2:3], s[0:1]
	s_cbranch_execz .LBB1799_12
; %bb.11:
	v_mul_f64 v[7:8], s[14:15], v[12:13]
	v_mul_f64 v[12:13], s[16:17], v[12:13]
	v_ashrrev_i32_e32 v3, 31, v2
	v_lshlrev_b64 v[14:15], 4, v[2:3]
	v_add_co_u32_e32 v5, vcc, v5, v14
	v_addc_co_u32_e32 v6, vcc, v6, v15, vcc
	v_fma_f64 v[7:8], s[16:17], v[10:11], v[7:8]
	v_fma_f64 v[1:2], s[14:15], v[10:11], -v[12:13]
	v_cmp_ne_u32_e32 vcc, v4, v0
	v_cndmask_b32_e32 v4, 0, v8, vcc
	v_cndmask_b32_e32 v3, 0, v7, vcc
	flat_store_dwordx4 v[5:6], v[1:4]
.LBB1799_12:
	s_endpgm
	.section	.rodata,"a",@progbits
	.p2align	6, 0x0
	.amdhsa_kernel _ZL37rocblas_syrkx_herkx_restricted_kernelIl19rocblas_complex_numIdELi16ELi32ELi8ELb1ELb1ELc78ELc76EKPKS1_KPS1_EviT_T0_PT8_S7_lSA_S7_lS8_PT9_S7_li
		.amdhsa_group_segment_fixed_size 8192
		.amdhsa_private_segment_fixed_size 0
		.amdhsa_kernarg_size 124
		.amdhsa_user_sgpr_count 6
		.amdhsa_user_sgpr_private_segment_buffer 1
		.amdhsa_user_sgpr_dispatch_ptr 0
		.amdhsa_user_sgpr_queue_ptr 0
		.amdhsa_user_sgpr_kernarg_segment_ptr 1
		.amdhsa_user_sgpr_dispatch_id 0
		.amdhsa_user_sgpr_flat_scratch_init 0
		.amdhsa_user_sgpr_private_segment_size 0
		.amdhsa_uses_dynamic_stack 0
		.amdhsa_system_sgpr_private_segment_wavefront_offset 0
		.amdhsa_system_sgpr_workgroup_id_x 1
		.amdhsa_system_sgpr_workgroup_id_y 1
		.amdhsa_system_sgpr_workgroup_id_z 1
		.amdhsa_system_sgpr_workgroup_info 0
		.amdhsa_system_vgpr_workitem_id 1
		.amdhsa_next_free_vgpr 54
		.amdhsa_next_free_sgpr 61
		.amdhsa_reserve_vcc 1
		.amdhsa_reserve_flat_scratch 0
		.amdhsa_float_round_mode_32 0
		.amdhsa_float_round_mode_16_64 0
		.amdhsa_float_denorm_mode_32 3
		.amdhsa_float_denorm_mode_16_64 3
		.amdhsa_dx10_clamp 1
		.amdhsa_ieee_mode 1
		.amdhsa_fp16_overflow 0
		.amdhsa_exception_fp_ieee_invalid_op 0
		.amdhsa_exception_fp_denorm_src 0
		.amdhsa_exception_fp_ieee_div_zero 0
		.amdhsa_exception_fp_ieee_overflow 0
		.amdhsa_exception_fp_ieee_underflow 0
		.amdhsa_exception_fp_ieee_inexact 0
		.amdhsa_exception_int_div_zero 0
	.end_amdhsa_kernel
	.section	.text._ZL37rocblas_syrkx_herkx_restricted_kernelIl19rocblas_complex_numIdELi16ELi32ELi8ELb1ELb1ELc78ELc76EKPKS1_KPS1_EviT_T0_PT8_S7_lSA_S7_lS8_PT9_S7_li,"axG",@progbits,_ZL37rocblas_syrkx_herkx_restricted_kernelIl19rocblas_complex_numIdELi16ELi32ELi8ELb1ELb1ELc78ELc76EKPKS1_KPS1_EviT_T0_PT8_S7_lSA_S7_lS8_PT9_S7_li,comdat
.Lfunc_end1799:
	.size	_ZL37rocblas_syrkx_herkx_restricted_kernelIl19rocblas_complex_numIdELi16ELi32ELi8ELb1ELb1ELc78ELc76EKPKS1_KPS1_EviT_T0_PT8_S7_lSA_S7_lS8_PT9_S7_li, .Lfunc_end1799-_ZL37rocblas_syrkx_herkx_restricted_kernelIl19rocblas_complex_numIdELi16ELi32ELi8ELb1ELb1ELc78ELc76EKPKS1_KPS1_EviT_T0_PT8_S7_lSA_S7_lS8_PT9_S7_li
                                        ; -- End function
	.set _ZL37rocblas_syrkx_herkx_restricted_kernelIl19rocblas_complex_numIdELi16ELi32ELi8ELb1ELb1ELc78ELc76EKPKS1_KPS1_EviT_T0_PT8_S7_lSA_S7_lS8_PT9_S7_li.num_vgpr, 54
	.set _ZL37rocblas_syrkx_herkx_restricted_kernelIl19rocblas_complex_numIdELi16ELi32ELi8ELb1ELb1ELc78ELc76EKPKS1_KPS1_EviT_T0_PT8_S7_lSA_S7_lS8_PT9_S7_li.num_agpr, 0
	.set _ZL37rocblas_syrkx_herkx_restricted_kernelIl19rocblas_complex_numIdELi16ELi32ELi8ELb1ELb1ELc78ELc76EKPKS1_KPS1_EviT_T0_PT8_S7_lSA_S7_lS8_PT9_S7_li.numbered_sgpr, 26
	.set _ZL37rocblas_syrkx_herkx_restricted_kernelIl19rocblas_complex_numIdELi16ELi32ELi8ELb1ELb1ELc78ELc76EKPKS1_KPS1_EviT_T0_PT8_S7_lSA_S7_lS8_PT9_S7_li.num_named_barrier, 0
	.set _ZL37rocblas_syrkx_herkx_restricted_kernelIl19rocblas_complex_numIdELi16ELi32ELi8ELb1ELb1ELc78ELc76EKPKS1_KPS1_EviT_T0_PT8_S7_lSA_S7_lS8_PT9_S7_li.private_seg_size, 0
	.set _ZL37rocblas_syrkx_herkx_restricted_kernelIl19rocblas_complex_numIdELi16ELi32ELi8ELb1ELb1ELc78ELc76EKPKS1_KPS1_EviT_T0_PT8_S7_lSA_S7_lS8_PT9_S7_li.uses_vcc, 1
	.set _ZL37rocblas_syrkx_herkx_restricted_kernelIl19rocblas_complex_numIdELi16ELi32ELi8ELb1ELb1ELc78ELc76EKPKS1_KPS1_EviT_T0_PT8_S7_lSA_S7_lS8_PT9_S7_li.uses_flat_scratch, 0
	.set _ZL37rocblas_syrkx_herkx_restricted_kernelIl19rocblas_complex_numIdELi16ELi32ELi8ELb1ELb1ELc78ELc76EKPKS1_KPS1_EviT_T0_PT8_S7_lSA_S7_lS8_PT9_S7_li.has_dyn_sized_stack, 0
	.set _ZL37rocblas_syrkx_herkx_restricted_kernelIl19rocblas_complex_numIdELi16ELi32ELi8ELb1ELb1ELc78ELc76EKPKS1_KPS1_EviT_T0_PT8_S7_lSA_S7_lS8_PT9_S7_li.has_recursion, 0
	.set _ZL37rocblas_syrkx_herkx_restricted_kernelIl19rocblas_complex_numIdELi16ELi32ELi8ELb1ELb1ELc78ELc76EKPKS1_KPS1_EviT_T0_PT8_S7_lSA_S7_lS8_PT9_S7_li.has_indirect_call, 0
	.section	.AMDGPU.csdata,"",@progbits
; Kernel info:
; codeLenInByte = 3012
; TotalNumSgprs: 30
; NumVgprs: 54
; ScratchSize: 0
; MemoryBound: 0
; FloatMode: 240
; IeeeMode: 1
; LDSByteSize: 8192 bytes/workgroup (compile time only)
; SGPRBlocks: 8
; VGPRBlocks: 13
; NumSGPRsForWavesPerEU: 65
; NumVGPRsForWavesPerEU: 54
; Occupancy: 4
; WaveLimiterHint : 1
; COMPUTE_PGM_RSRC2:SCRATCH_EN: 0
; COMPUTE_PGM_RSRC2:USER_SGPR: 6
; COMPUTE_PGM_RSRC2:TRAP_HANDLER: 0
; COMPUTE_PGM_RSRC2:TGID_X_EN: 1
; COMPUTE_PGM_RSRC2:TGID_Y_EN: 1
; COMPUTE_PGM_RSRC2:TGID_Z_EN: 1
; COMPUTE_PGM_RSRC2:TIDIG_COMP_CNT: 1
	.section	.text._ZL37rocblas_syrkx_herkx_restricted_kernelIl19rocblas_complex_numIdELi16ELi32ELi8ELb1ELb1ELc84ELc85EKPKS1_KPS1_EviT_T0_PT8_S7_lSA_S7_lS8_PT9_S7_li,"axG",@progbits,_ZL37rocblas_syrkx_herkx_restricted_kernelIl19rocblas_complex_numIdELi16ELi32ELi8ELb1ELb1ELc84ELc85EKPKS1_KPS1_EviT_T0_PT8_S7_lSA_S7_lS8_PT9_S7_li,comdat
	.globl	_ZL37rocblas_syrkx_herkx_restricted_kernelIl19rocblas_complex_numIdELi16ELi32ELi8ELb1ELb1ELc84ELc85EKPKS1_KPS1_EviT_T0_PT8_S7_lSA_S7_lS8_PT9_S7_li ; -- Begin function _ZL37rocblas_syrkx_herkx_restricted_kernelIl19rocblas_complex_numIdELi16ELi32ELi8ELb1ELb1ELc84ELc85EKPKS1_KPS1_EviT_T0_PT8_S7_lSA_S7_lS8_PT9_S7_li
	.p2align	8
	.type	_ZL37rocblas_syrkx_herkx_restricted_kernelIl19rocblas_complex_numIdELi16ELi32ELi8ELb1ELb1ELc84ELc85EKPKS1_KPS1_EviT_T0_PT8_S7_lSA_S7_lS8_PT9_S7_li,@function
_ZL37rocblas_syrkx_herkx_restricted_kernelIl19rocblas_complex_numIdELi16ELi32ELi8ELb1ELb1ELc84ELc85EKPKS1_KPS1_EviT_T0_PT8_S7_lSA_S7_lS8_PT9_S7_li: ; @_ZL37rocblas_syrkx_herkx_restricted_kernelIl19rocblas_complex_numIdELi16ELi32ELi8ELb1ELb1ELc84ELc85EKPKS1_KPS1_EviT_T0_PT8_S7_lSA_S7_lS8_PT9_S7_li
; %bb.0:
	s_load_dwordx4 s[0:3], s[4:5], 0x60
	s_load_dwordx2 s[10:11], s[4:5], 0x28
	s_load_dwordx8 s[12:19], s[4:5], 0x8
	s_mov_b32 s9, 0
	s_lshl_b64 s[20:21], s[8:9], 3
	s_waitcnt lgkmcnt(0)
	s_add_u32 s0, s0, s20
	s_addc_u32 s1, s1, s21
	s_load_dwordx2 s[8:9], s[0:1], 0x0
	v_cmp_lt_i64_e64 s[0:1], s[12:13], 1
	s_lshl_b32 s6, s6, 5
	s_lshl_b32 s7, s7, 5
	s_and_b64 vcc, exec, s[0:1]
	s_cbranch_vccnz .LBB1800_3
; %bb.1:
	s_load_dwordx4 s[24:27], s[4:5], 0x38
	v_lshl_add_u32 v7, v1, 4, v0
	s_add_u32 s0, s18, s20
	v_lshrrev_b32_e32 v8, 3, v7
	s_addc_u32 s1, s19, s21
	v_add_u32_e32 v4, s7, v8
	s_waitcnt lgkmcnt(0)
	s_add_u32 s18, s24, s20
	v_and_b32_e32 v2, 7, v0
	v_ashrrev_i32_e32 v5, 31, v4
	v_mov_b32_e32 v3, 0
	s_addc_u32 s19, s25, s21
	v_mul_lo_u32 v9, s26, v5
	v_mul_lo_u32 v10, s27, v4
	v_mad_u64_u32 v[4:5], s[20:21], s26, v4, v[2:3]
	v_and_b32_e32 v11, 31, v7
	v_lshlrev_b32_e32 v2, 4, v2
	v_lshl_or_b32 v2, v8, 7, v2
	v_add_u32_e32 v8, s6, v11
	v_lshrrev_b32_e32 v6, 5, v7
	v_mov_b32_e32 v7, v3
	v_lshlrev_b32_e32 v3, 4, v11
	v_add_u32_e32 v23, 0x1000, v2
	v_ashrrev_i32_e32 v2, 31, v8
	v_add3_u32 v5, v10, v5, v9
	v_lshl_or_b32 v22, v6, 9, v3
	v_mul_lo_u32 v9, s10, v2
	v_mad_u64_u32 v[2:3], s[20:21], s10, v8, v[6:7]
	v_mul_lo_u32 v6, s11, v8
	s_load_dwordx2 s[0:1], s[0:1], 0x0
	v_lshlrev_b64 v[4:5], 4, v[4:5]
	s_load_dwordx2 s[18:19], s[18:19], 0x0
	v_add3_u32 v3, v6, v3, v9
	v_lshlrev_b64 v[2:3], 4, v[2:3]
	s_waitcnt lgkmcnt(0)
	v_mov_b32_e32 v6, s1
	v_add_co_u32_e32 v2, vcc, s0, v2
	v_addc_co_u32_e32 v3, vcc, v6, v3, vcc
	v_mov_b32_e32 v7, 0x1000
	v_mov_b32_e32 v6, s19
	v_add_co_u32_e32 v4, vcc, s18, v4
	v_lshl_add_u32 v25, v1, 7, v7
	v_addc_co_u32_e32 v5, vcc, v6, v5, vcc
	v_mov_b32_e32 v12, 0
	v_mov_b32_e32 v10, 0
	;; [unrolled: 1-line block ×8, first 2 shown]
	v_lshlrev_b32_e32 v24, 4, v0
	v_mov_b32_e32 v13, 0
	v_mov_b32_e32 v11, 0
	;; [unrolled: 1-line block ×8, first 2 shown]
	s_mov_b64 s[0:1], 0
.LBB1800_2:                             ; =>This Inner Loop Header: Depth=1
	flat_load_dwordx4 v[26:29], v[2:3]
	s_add_u32 s0, s0, 8
	v_add_co_u32_e32 v2, vcc, 0x80, v2
	s_addc_u32 s1, s1, 0
	v_addc_co_u32_e32 v3, vcc, 0, v3, vcc
	s_waitcnt vmcnt(0) lgkmcnt(0)
	ds_write_b128 v22, v[26:29]
	flat_load_dwordx4 v[26:29], v[4:5]
	v_add_co_u32_e32 v4, vcc, 0x80, v4
	v_addc_co_u32_e32 v5, vcc, 0, v5, vcc
	s_waitcnt vmcnt(0) lgkmcnt(0)
	ds_write_b128 v23, v[26:29]
	s_waitcnt lgkmcnt(0)
	s_barrier
	ds_read_b128 v[26:29], v25
	ds_read_b128 v[30:33], v25 offset:16
	ds_read_b128 v[34:37], v25 offset:32
	;; [unrolled: 1-line block ×3, first 2 shown]
	ds_read_b128 v[42:45], v24
	s_waitcnt lgkmcnt(0)
	v_mul_f64 v[46:47], v[28:29], v[44:45]
	v_mul_f64 v[48:49], v[26:27], v[44:45]
	v_fma_f64 v[46:47], v[26:27], v[42:43], -v[46:47]
	v_fma_f64 v[48:49], v[28:29], v[42:43], v[48:49]
	v_add_f64 v[16:17], v[16:17], v[46:47]
	v_add_f64 v[20:21], v[48:49], v[20:21]
	ds_read_b128 v[46:49], v24 offset:256
	s_waitcnt lgkmcnt(0)
	v_mul_f64 v[50:51], v[28:29], v[48:49]
	v_fma_f64 v[50:51], v[26:27], v[46:47], -v[50:51]
	v_mul_f64 v[26:27], v[26:27], v[48:49]
	v_fma_f64 v[26:27], v[28:29], v[46:47], v[26:27]
	v_add_f64 v[28:29], v[6:7], v[50:51]
	v_add_f64 v[26:27], v[26:27], v[8:9]
	ds_read_b128 v[6:9], v25 offset:2048
	s_waitcnt lgkmcnt(0)
	v_mul_f64 v[50:51], v[8:9], v[44:45]
	v_mul_f64 v[44:45], v[6:7], v[44:45]
	v_fma_f64 v[50:51], v[6:7], v[42:43], -v[50:51]
	v_fma_f64 v[42:43], v[8:9], v[42:43], v[44:45]
	v_add_f64 v[44:45], v[14:15], v[50:51]
	v_mul_f64 v[14:15], v[8:9], v[48:49]
	v_add_f64 v[18:19], v[42:43], v[18:19]
	v_fma_f64 v[14:15], v[6:7], v[46:47], -v[14:15]
	v_mul_f64 v[6:7], v[6:7], v[48:49]
	v_add_f64 v[42:43], v[10:11], v[14:15]
	v_fma_f64 v[6:7], v[8:9], v[46:47], v[6:7]
	v_add_f64 v[46:47], v[6:7], v[12:13]
	ds_read_b128 v[6:9], v24 offset:512
	s_waitcnt lgkmcnt(0)
	v_mul_f64 v[10:11], v[32:33], v[8:9]
	v_mul_f64 v[12:13], v[30:31], v[8:9]
	v_fma_f64 v[10:11], v[30:31], v[6:7], -v[10:11]
	v_fma_f64 v[12:13], v[32:33], v[6:7], v[12:13]
	v_add_f64 v[48:49], v[16:17], v[10:11]
	v_add_f64 v[20:21], v[12:13], v[20:21]
	ds_read_b128 v[10:13], v24 offset:768
	s_waitcnt lgkmcnt(0)
	v_mul_f64 v[14:15], v[32:33], v[12:13]
	v_mul_f64 v[16:17], v[30:31], v[12:13]
	v_fma_f64 v[14:15], v[30:31], v[10:11], -v[14:15]
	v_fma_f64 v[16:17], v[32:33], v[10:11], v[16:17]
	v_add_f64 v[28:29], v[28:29], v[14:15]
	v_add_f64 v[26:27], v[16:17], v[26:27]
	ds_read_b128 v[14:17], v25 offset:2064
	s_waitcnt lgkmcnt(0)
	v_mul_f64 v[30:31], v[16:17], v[8:9]
	v_mul_f64 v[8:9], v[14:15], v[8:9]
	v_fma_f64 v[30:31], v[14:15], v[6:7], -v[30:31]
	v_fma_f64 v[6:7], v[16:17], v[6:7], v[8:9]
	v_mul_f64 v[8:9], v[14:15], v[12:13]
	v_add_f64 v[30:31], v[44:45], v[30:31]
	v_add_f64 v[18:19], v[6:7], v[18:19]
	v_mul_f64 v[6:7], v[16:17], v[12:13]
	v_fma_f64 v[8:9], v[16:17], v[10:11], v[8:9]
	v_fma_f64 v[6:7], v[14:15], v[10:11], -v[6:7]
	v_add_f64 v[32:33], v[42:43], v[6:7]
	v_add_f64 v[42:43], v[8:9], v[46:47]
	ds_read_b128 v[6:9], v24 offset:1024
	s_waitcnt lgkmcnt(0)
	v_mul_f64 v[10:11], v[36:37], v[8:9]
	v_mul_f64 v[12:13], v[34:35], v[8:9]
	v_fma_f64 v[10:11], v[34:35], v[6:7], -v[10:11]
	v_fma_f64 v[12:13], v[36:37], v[6:7], v[12:13]
	v_add_f64 v[44:45], v[48:49], v[10:11]
	v_add_f64 v[20:21], v[12:13], v[20:21]
	ds_read_b128 v[10:13], v24 offset:1280
	s_waitcnt lgkmcnt(0)
	v_mul_f64 v[14:15], v[36:37], v[12:13]
	v_mul_f64 v[16:17], v[34:35], v[12:13]
	v_fma_f64 v[14:15], v[34:35], v[10:11], -v[14:15]
	v_fma_f64 v[16:17], v[36:37], v[10:11], v[16:17]
	v_add_f64 v[28:29], v[28:29], v[14:15]
	v_add_f64 v[26:27], v[16:17], v[26:27]
	ds_read_b128 v[14:17], v25 offset:2080
	s_waitcnt lgkmcnt(0)
	v_mul_f64 v[34:35], v[16:17], v[8:9]
	v_mul_f64 v[8:9], v[14:15], v[8:9]
	v_fma_f64 v[34:35], v[14:15], v[6:7], -v[34:35]
	v_fma_f64 v[6:7], v[16:17], v[6:7], v[8:9]
	v_mul_f64 v[8:9], v[14:15], v[12:13]
	v_add_f64 v[30:31], v[30:31], v[34:35]
	v_add_f64 v[18:19], v[6:7], v[18:19]
	v_mul_f64 v[6:7], v[16:17], v[12:13]
	v_fma_f64 v[8:9], v[16:17], v[10:11], v[8:9]
	v_fma_f64 v[6:7], v[14:15], v[10:11], -v[6:7]
	v_add_f64 v[34:35], v[8:9], v[42:43]
	;; [unrolled: 30-line block ×3, first 2 shown]
	v_add_f64 v[32:33], v[32:33], v[6:7]
	ds_read_b128 v[6:9], v25 offset:64
	ds_read_b128 v[10:13], v24 offset:2048
	s_waitcnt lgkmcnt(0)
	v_mul_f64 v[14:15], v[8:9], v[12:13]
	v_mul_f64 v[16:17], v[6:7], v[12:13]
	v_fma_f64 v[14:15], v[6:7], v[10:11], -v[14:15]
	v_fma_f64 v[16:17], v[8:9], v[10:11], v[16:17]
	v_add_f64 v[36:37], v[36:37], v[14:15]
	v_add_f64 v[20:21], v[16:17], v[20:21]
	ds_read_b128 v[14:17], v24 offset:2304
	s_waitcnt lgkmcnt(0)
	v_mul_f64 v[38:39], v[8:9], v[16:17]
	v_fma_f64 v[38:39], v[6:7], v[14:15], -v[38:39]
	v_mul_f64 v[6:7], v[6:7], v[16:17]
	v_add_f64 v[28:29], v[28:29], v[38:39]
	v_fma_f64 v[6:7], v[8:9], v[14:15], v[6:7]
	v_add_f64 v[26:27], v[6:7], v[26:27]
	ds_read_b128 v[6:9], v25 offset:2112
	s_waitcnt lgkmcnt(0)
	v_mul_f64 v[38:39], v[8:9], v[12:13]
	v_mul_f64 v[12:13], v[6:7], v[12:13]
	v_fma_f64 v[38:39], v[6:7], v[10:11], -v[38:39]
	v_fma_f64 v[10:11], v[8:9], v[10:11], v[12:13]
	v_add_f64 v[30:31], v[30:31], v[38:39]
	v_add_f64 v[18:19], v[10:11], v[18:19]
	v_mul_f64 v[10:11], v[8:9], v[16:17]
	v_fma_f64 v[10:11], v[6:7], v[14:15], -v[10:11]
	v_mul_f64 v[6:7], v[6:7], v[16:17]
	v_add_f64 v[32:33], v[32:33], v[10:11]
	v_fma_f64 v[6:7], v[8:9], v[14:15], v[6:7]
	v_add_f64 v[34:35], v[6:7], v[34:35]
	ds_read_b128 v[6:9], v25 offset:80
	ds_read_b128 v[10:13], v24 offset:2560
	s_waitcnt lgkmcnt(0)
	v_mul_f64 v[14:15], v[8:9], v[12:13]
	v_mul_f64 v[16:17], v[6:7], v[12:13]
	v_fma_f64 v[14:15], v[6:7], v[10:11], -v[14:15]
	v_fma_f64 v[16:17], v[8:9], v[10:11], v[16:17]
	v_add_f64 v[36:37], v[36:37], v[14:15]
	v_add_f64 v[20:21], v[16:17], v[20:21]
	ds_read_b128 v[14:17], v24 offset:2816
	s_waitcnt lgkmcnt(0)
	v_mul_f64 v[38:39], v[8:9], v[16:17]
	v_fma_f64 v[38:39], v[6:7], v[14:15], -v[38:39]
	v_mul_f64 v[6:7], v[6:7], v[16:17]
	v_add_f64 v[28:29], v[28:29], v[38:39]
	v_fma_f64 v[6:7], v[8:9], v[14:15], v[6:7]
	v_add_f64 v[26:27], v[6:7], v[26:27]
	ds_read_b128 v[6:9], v25 offset:2128
	s_waitcnt lgkmcnt(0)
	v_mul_f64 v[38:39], v[8:9], v[12:13]
	v_mul_f64 v[12:13], v[6:7], v[12:13]
	v_fma_f64 v[38:39], v[6:7], v[10:11], -v[38:39]
	v_fma_f64 v[10:11], v[8:9], v[10:11], v[12:13]
	v_add_f64 v[30:31], v[30:31], v[38:39]
	v_add_f64 v[18:19], v[10:11], v[18:19]
	v_mul_f64 v[10:11], v[8:9], v[16:17]
	v_fma_f64 v[10:11], v[6:7], v[14:15], -v[10:11]
	v_mul_f64 v[6:7], v[6:7], v[16:17]
	v_add_f64 v[32:33], v[32:33], v[10:11]
	v_fma_f64 v[6:7], v[8:9], v[14:15], v[6:7]
	;; [unrolled: 31-line block ×3, first 2 shown]
	v_add_f64 v[34:35], v[6:7], v[34:35]
	ds_read_b128 v[6:9], v25 offset:112
	ds_read_b128 v[10:13], v24 offset:3584
	;; [unrolled: 1-line block ×3, first 2 shown]
	s_waitcnt lgkmcnt(1)
	v_mul_f64 v[16:17], v[6:7], v[12:13]
	v_mul_f64 v[14:15], v[8:9], v[12:13]
	v_fma_f64 v[26:27], v[8:9], v[10:11], v[16:17]
	v_fma_f64 v[14:15], v[6:7], v[10:11], -v[14:15]
	v_add_f64 v[20:21], v[26:27], v[20:21]
	ds_read_b128 v[26:29], v24 offset:3840
	v_add_f64 v[16:17], v[36:37], v[14:15]
	s_waitcnt lgkmcnt(0)
	s_barrier
	v_mul_f64 v[14:15], v[8:9], v[28:29]
	v_fma_f64 v[14:15], v[6:7], v[26:27], -v[14:15]
	v_mul_f64 v[6:7], v[6:7], v[28:29]
	v_fma_f64 v[8:9], v[8:9], v[26:27], v[6:7]
	v_add_f64 v[6:7], v[38:39], v[14:15]
	v_mul_f64 v[14:15], v[32:33], v[12:13]
	v_mul_f64 v[12:13], v[30:31], v[12:13]
	v_add_f64 v[8:9], v[8:9], v[40:41]
	v_fma_f64 v[14:15], v[30:31], v[10:11], -v[14:15]
	v_fma_f64 v[10:11], v[32:33], v[10:11], v[12:13]
	v_mul_f64 v[12:13], v[30:31], v[28:29]
	v_add_f64 v[14:15], v[42:43], v[14:15]
	v_add_f64 v[18:19], v[10:11], v[18:19]
	v_mul_f64 v[10:11], v[32:33], v[28:29]
	v_fma_f64 v[12:13], v[32:33], v[26:27], v[12:13]
	v_fma_f64 v[10:11], v[30:31], v[26:27], -v[10:11]
	v_add_f64 v[12:13], v[12:13], v[34:35]
	v_mov_b32_e32 v27, s1
	v_mov_b32_e32 v26, s0
	v_cmp_le_u64_e32 vcc, s[12:13], v[26:27]
	v_add_f64 v[10:11], v[44:45], v[10:11]
	s_cbranch_vccz .LBB1800_2
	s_branch .LBB1800_4
.LBB1800_3:
	v_mov_b32_e32 v16, 0
	v_mov_b32_e32 v20, 0
	;; [unrolled: 1-line block ×16, first 2 shown]
.LBB1800_4:
	v_add_u32_e32 v4, s7, v1
	v_ashrrev_i32_e32 v1, 31, v4
	v_mul_lo_u32 v3, s2, v1
	v_mul_lo_u32 v5, s3, v4
	v_mad_u64_u32 v[1:2], s[0:1], s2, v4, 0
	s_load_dword s10, s[4:5], 0x0
	v_add_u32_e32 v0, s6, v0
	v_add3_u32 v2, v2, v3, v5
	v_lshlrev_b64 v[1:2], 4, v[1:2]
	s_waitcnt lgkmcnt(0)
	v_mov_b32_e32 v3, s9
	v_add_co_u32_e64 v5, s[0:1], s8, v1
	v_addc_co_u32_e64 v22, s[0:1], v3, v2, s[0:1]
	v_cmp_gt_i32_e32 vcc, s10, v4
	v_cmp_le_i32_e64 s[0:1], v0, v4
	s_and_b64 s[0:1], vcc, s[0:1]
	s_and_saveexec_b64 s[4:5], s[0:1]
	s_cbranch_execz .LBB1800_6
; %bb.5:
	v_mul_f64 v[2:3], s[14:15], v[20:21]
	v_mul_f64 v[20:21], s[16:17], v[20:21]
	v_ashrrev_i32_e32 v1, 31, v0
	v_lshlrev_b64 v[25:26], 4, v[0:1]
	v_fma_f64 v[2:3], s[16:17], v[16:17], v[2:3]
	v_fma_f64 v[23:24], s[14:15], v[16:17], -v[20:21]
	v_add_co_u32_e64 v16, s[0:1], v5, v25
	v_addc_co_u32_e64 v17, s[0:1], v22, v26, s[0:1]
	v_cmp_ne_u32_e64 s[0:1], v4, v0
	v_cndmask_b32_e64 v26, 0, v3, s[0:1]
	v_cndmask_b32_e64 v25, 0, v2, s[0:1]
	flat_store_dwordx4 v[16:17], v[23:26]
.LBB1800_6:
	s_or_b64 exec, exec, s[4:5]
	v_add_u32_e32 v2, 16, v0
	v_cmp_le_i32_e64 s[0:1], v2, v4
	s_and_b64 s[4:5], vcc, s[0:1]
	s_and_saveexec_b64 s[0:1], s[4:5]
	s_cbranch_execz .LBB1800_8
; %bb.7:
	v_mul_f64 v[16:17], s[14:15], v[8:9]
	v_mul_f64 v[8:9], s[16:17], v[8:9]
	v_ashrrev_i32_e32 v3, 31, v2
	v_lshlrev_b64 v[20:21], 4, v[2:3]
	v_add_co_u32_e32 v20, vcc, v5, v20
	v_addc_co_u32_e32 v21, vcc, v22, v21, vcc
	v_fma_f64 v[16:17], s[16:17], v[6:7], v[16:17]
	v_fma_f64 v[6:7], s[14:15], v[6:7], -v[8:9]
	v_cmp_ne_u32_e32 vcc, v4, v2
	v_cndmask_b32_e32 v9, 0, v17, vcc
	v_cndmask_b32_e32 v8, 0, v16, vcc
	flat_store_dwordx4 v[20:21], v[6:9]
.LBB1800_8:
	s_or_b64 exec, exec, s[0:1]
	v_add_u32_e32 v3, 16, v4
	v_ashrrev_i32_e32 v1, 31, v3
	v_mul_lo_u32 v1, s2, v1
	v_mul_lo_u32 v7, s3, v3
	v_mad_u64_u32 v[5:6], s[0:1], s2, v3, 0
	v_cmp_gt_i32_e32 vcc, s10, v3
	v_add3_u32 v6, v6, v1, v7
	v_lshlrev_b64 v[5:6], 4, v[5:6]
	v_mov_b32_e32 v1, s9
	v_add_co_u32_e64 v5, s[0:1], s8, v5
	v_addc_co_u32_e64 v6, s[0:1], v1, v6, s[0:1]
	v_cmp_le_i32_e64 s[0:1], v0, v3
	s_and_b64 s[0:1], vcc, s[0:1]
	s_and_saveexec_b64 s[2:3], s[0:1]
	s_cbranch_execz .LBB1800_10
; %bb.9:
	v_mul_f64 v[7:8], s[14:15], v[18:19]
	v_mul_f64 v[16:17], s[16:17], v[18:19]
	v_ashrrev_i32_e32 v1, 31, v0
	v_lshlrev_b64 v[18:19], 4, v[0:1]
	v_add_co_u32_e64 v18, s[0:1], v5, v18
	v_addc_co_u32_e64 v19, s[0:1], v6, v19, s[0:1]
	v_fma_f64 v[7:8], s[16:17], v[14:15], v[7:8]
	v_fma_f64 v[14:15], s[14:15], v[14:15], -v[16:17]
	v_cmp_ne_u32_e64 s[0:1], v3, v0
	v_cndmask_b32_e64 v17, 0, v8, s[0:1]
	v_cndmask_b32_e64 v16, 0, v7, s[0:1]
	flat_store_dwordx4 v[18:19], v[14:17]
.LBB1800_10:
	s_or_b64 exec, exec, s[2:3]
	v_cmp_le_i32_e64 s[0:1], v2, v3
	s_and_b64 s[0:1], vcc, s[0:1]
	s_and_saveexec_b64 s[2:3], s[0:1]
	s_cbranch_execz .LBB1800_12
; %bb.11:
	v_mul_f64 v[7:8], s[14:15], v[12:13]
	v_mul_f64 v[12:13], s[16:17], v[12:13]
	v_ashrrev_i32_e32 v3, 31, v2
	v_lshlrev_b64 v[14:15], 4, v[2:3]
	v_add_co_u32_e32 v5, vcc, v5, v14
	v_addc_co_u32_e32 v6, vcc, v6, v15, vcc
	v_fma_f64 v[7:8], s[16:17], v[10:11], v[7:8]
	v_fma_f64 v[1:2], s[14:15], v[10:11], -v[12:13]
	v_cmp_ne_u32_e32 vcc, v4, v0
	v_cndmask_b32_e32 v4, 0, v8, vcc
	v_cndmask_b32_e32 v3, 0, v7, vcc
	flat_store_dwordx4 v[5:6], v[1:4]
.LBB1800_12:
	s_endpgm
	.section	.rodata,"a",@progbits
	.p2align	6, 0x0
	.amdhsa_kernel _ZL37rocblas_syrkx_herkx_restricted_kernelIl19rocblas_complex_numIdELi16ELi32ELi8ELb1ELb1ELc84ELc85EKPKS1_KPS1_EviT_T0_PT8_S7_lSA_S7_lS8_PT9_S7_li
		.amdhsa_group_segment_fixed_size 8192
		.amdhsa_private_segment_fixed_size 0
		.amdhsa_kernarg_size 124
		.amdhsa_user_sgpr_count 6
		.amdhsa_user_sgpr_private_segment_buffer 1
		.amdhsa_user_sgpr_dispatch_ptr 0
		.amdhsa_user_sgpr_queue_ptr 0
		.amdhsa_user_sgpr_kernarg_segment_ptr 1
		.amdhsa_user_sgpr_dispatch_id 0
		.amdhsa_user_sgpr_flat_scratch_init 0
		.amdhsa_user_sgpr_private_segment_size 0
		.amdhsa_uses_dynamic_stack 0
		.amdhsa_system_sgpr_private_segment_wavefront_offset 0
		.amdhsa_system_sgpr_workgroup_id_x 1
		.amdhsa_system_sgpr_workgroup_id_y 1
		.amdhsa_system_sgpr_workgroup_id_z 1
		.amdhsa_system_sgpr_workgroup_info 0
		.amdhsa_system_vgpr_workitem_id 1
		.amdhsa_next_free_vgpr 52
		.amdhsa_next_free_sgpr 61
		.amdhsa_reserve_vcc 1
		.amdhsa_reserve_flat_scratch 0
		.amdhsa_float_round_mode_32 0
		.amdhsa_float_round_mode_16_64 0
		.amdhsa_float_denorm_mode_32 3
		.amdhsa_float_denorm_mode_16_64 3
		.amdhsa_dx10_clamp 1
		.amdhsa_ieee_mode 1
		.amdhsa_fp16_overflow 0
		.amdhsa_exception_fp_ieee_invalid_op 0
		.amdhsa_exception_fp_denorm_src 0
		.amdhsa_exception_fp_ieee_div_zero 0
		.amdhsa_exception_fp_ieee_overflow 0
		.amdhsa_exception_fp_ieee_underflow 0
		.amdhsa_exception_fp_ieee_inexact 0
		.amdhsa_exception_int_div_zero 0
	.end_amdhsa_kernel
	.section	.text._ZL37rocblas_syrkx_herkx_restricted_kernelIl19rocblas_complex_numIdELi16ELi32ELi8ELb1ELb1ELc84ELc85EKPKS1_KPS1_EviT_T0_PT8_S7_lSA_S7_lS8_PT9_S7_li,"axG",@progbits,_ZL37rocblas_syrkx_herkx_restricted_kernelIl19rocblas_complex_numIdELi16ELi32ELi8ELb1ELb1ELc84ELc85EKPKS1_KPS1_EviT_T0_PT8_S7_lSA_S7_lS8_PT9_S7_li,comdat
.Lfunc_end1800:
	.size	_ZL37rocblas_syrkx_herkx_restricted_kernelIl19rocblas_complex_numIdELi16ELi32ELi8ELb1ELb1ELc84ELc85EKPKS1_KPS1_EviT_T0_PT8_S7_lSA_S7_lS8_PT9_S7_li, .Lfunc_end1800-_ZL37rocblas_syrkx_herkx_restricted_kernelIl19rocblas_complex_numIdELi16ELi32ELi8ELb1ELb1ELc84ELc85EKPKS1_KPS1_EviT_T0_PT8_S7_lSA_S7_lS8_PT9_S7_li
                                        ; -- End function
	.set _ZL37rocblas_syrkx_herkx_restricted_kernelIl19rocblas_complex_numIdELi16ELi32ELi8ELb1ELb1ELc84ELc85EKPKS1_KPS1_EviT_T0_PT8_S7_lSA_S7_lS8_PT9_S7_li.num_vgpr, 52
	.set _ZL37rocblas_syrkx_herkx_restricted_kernelIl19rocblas_complex_numIdELi16ELi32ELi8ELb1ELb1ELc84ELc85EKPKS1_KPS1_EviT_T0_PT8_S7_lSA_S7_lS8_PT9_S7_li.num_agpr, 0
	.set _ZL37rocblas_syrkx_herkx_restricted_kernelIl19rocblas_complex_numIdELi16ELi32ELi8ELb1ELb1ELc84ELc85EKPKS1_KPS1_EviT_T0_PT8_S7_lSA_S7_lS8_PT9_S7_li.numbered_sgpr, 28
	.set _ZL37rocblas_syrkx_herkx_restricted_kernelIl19rocblas_complex_numIdELi16ELi32ELi8ELb1ELb1ELc84ELc85EKPKS1_KPS1_EviT_T0_PT8_S7_lSA_S7_lS8_PT9_S7_li.num_named_barrier, 0
	.set _ZL37rocblas_syrkx_herkx_restricted_kernelIl19rocblas_complex_numIdELi16ELi32ELi8ELb1ELb1ELc84ELc85EKPKS1_KPS1_EviT_T0_PT8_S7_lSA_S7_lS8_PT9_S7_li.private_seg_size, 0
	.set _ZL37rocblas_syrkx_herkx_restricted_kernelIl19rocblas_complex_numIdELi16ELi32ELi8ELb1ELb1ELc84ELc85EKPKS1_KPS1_EviT_T0_PT8_S7_lSA_S7_lS8_PT9_S7_li.uses_vcc, 1
	.set _ZL37rocblas_syrkx_herkx_restricted_kernelIl19rocblas_complex_numIdELi16ELi32ELi8ELb1ELb1ELc84ELc85EKPKS1_KPS1_EviT_T0_PT8_S7_lSA_S7_lS8_PT9_S7_li.uses_flat_scratch, 0
	.set _ZL37rocblas_syrkx_herkx_restricted_kernelIl19rocblas_complex_numIdELi16ELi32ELi8ELb1ELb1ELc84ELc85EKPKS1_KPS1_EviT_T0_PT8_S7_lSA_S7_lS8_PT9_S7_li.has_dyn_sized_stack, 0
	.set _ZL37rocblas_syrkx_herkx_restricted_kernelIl19rocblas_complex_numIdELi16ELi32ELi8ELb1ELb1ELc84ELc85EKPKS1_KPS1_EviT_T0_PT8_S7_lSA_S7_lS8_PT9_S7_li.has_recursion, 0
	.set _ZL37rocblas_syrkx_herkx_restricted_kernelIl19rocblas_complex_numIdELi16ELi32ELi8ELb1ELb1ELc84ELc85EKPKS1_KPS1_EviT_T0_PT8_S7_lSA_S7_lS8_PT9_S7_li.has_indirect_call, 0
	.section	.AMDGPU.csdata,"",@progbits
; Kernel info:
; codeLenInByte = 3036
; TotalNumSgprs: 32
; NumVgprs: 52
; ScratchSize: 0
; MemoryBound: 0
; FloatMode: 240
; IeeeMode: 1
; LDSByteSize: 8192 bytes/workgroup (compile time only)
; SGPRBlocks: 8
; VGPRBlocks: 12
; NumSGPRsForWavesPerEU: 65
; NumVGPRsForWavesPerEU: 52
; Occupancy: 4
; WaveLimiterHint : 1
; COMPUTE_PGM_RSRC2:SCRATCH_EN: 0
; COMPUTE_PGM_RSRC2:USER_SGPR: 6
; COMPUTE_PGM_RSRC2:TRAP_HANDLER: 0
; COMPUTE_PGM_RSRC2:TGID_X_EN: 1
; COMPUTE_PGM_RSRC2:TGID_Y_EN: 1
; COMPUTE_PGM_RSRC2:TGID_Z_EN: 1
; COMPUTE_PGM_RSRC2:TIDIG_COMP_CNT: 1
	.section	.text._ZL37rocblas_syrkx_herkx_restricted_kernelIl19rocblas_complex_numIdELi16ELi32ELi8ELb1ELb1ELc67ELc85EKPKS1_KPS1_EviT_T0_PT8_S7_lSA_S7_lS8_PT9_S7_li,"axG",@progbits,_ZL37rocblas_syrkx_herkx_restricted_kernelIl19rocblas_complex_numIdELi16ELi32ELi8ELb1ELb1ELc67ELc85EKPKS1_KPS1_EviT_T0_PT8_S7_lSA_S7_lS8_PT9_S7_li,comdat
	.globl	_ZL37rocblas_syrkx_herkx_restricted_kernelIl19rocblas_complex_numIdELi16ELi32ELi8ELb1ELb1ELc67ELc85EKPKS1_KPS1_EviT_T0_PT8_S7_lSA_S7_lS8_PT9_S7_li ; -- Begin function _ZL37rocblas_syrkx_herkx_restricted_kernelIl19rocblas_complex_numIdELi16ELi32ELi8ELb1ELb1ELc67ELc85EKPKS1_KPS1_EviT_T0_PT8_S7_lSA_S7_lS8_PT9_S7_li
	.p2align	8
	.type	_ZL37rocblas_syrkx_herkx_restricted_kernelIl19rocblas_complex_numIdELi16ELi32ELi8ELb1ELb1ELc67ELc85EKPKS1_KPS1_EviT_T0_PT8_S7_lSA_S7_lS8_PT9_S7_li,@function
_ZL37rocblas_syrkx_herkx_restricted_kernelIl19rocblas_complex_numIdELi16ELi32ELi8ELb1ELb1ELc67ELc85EKPKS1_KPS1_EviT_T0_PT8_S7_lSA_S7_lS8_PT9_S7_li: ; @_ZL37rocblas_syrkx_herkx_restricted_kernelIl19rocblas_complex_numIdELi16ELi32ELi8ELb1ELb1ELc67ELc85EKPKS1_KPS1_EviT_T0_PT8_S7_lSA_S7_lS8_PT9_S7_li
; %bb.0:
	s_load_dwordx4 s[0:3], s[4:5], 0x60
	s_load_dwordx2 s[10:11], s[4:5], 0x28
	s_load_dwordx8 s[12:19], s[4:5], 0x8
	s_mov_b32 s9, 0
	s_lshl_b64 s[20:21], s[8:9], 3
	s_waitcnt lgkmcnt(0)
	s_add_u32 s0, s0, s20
	s_addc_u32 s1, s1, s21
	s_load_dwordx2 s[8:9], s[0:1], 0x0
	v_cmp_lt_i64_e64 s[0:1], s[12:13], 1
	s_lshl_b32 s6, s6, 5
	s_lshl_b32 s7, s7, 5
	s_and_b64 vcc, exec, s[0:1]
	s_cbranch_vccnz .LBB1801_3
; %bb.1:
	s_load_dwordx4 s[24:27], s[4:5], 0x38
	v_lshl_add_u32 v7, v1, 4, v0
	s_add_u32 s0, s18, s20
	v_lshrrev_b32_e32 v8, 3, v7
	s_addc_u32 s1, s19, s21
	v_add_u32_e32 v4, s7, v8
	s_waitcnt lgkmcnt(0)
	s_add_u32 s18, s24, s20
	v_and_b32_e32 v2, 7, v0
	v_ashrrev_i32_e32 v5, 31, v4
	v_mov_b32_e32 v3, 0
	s_addc_u32 s19, s25, s21
	v_mul_lo_u32 v9, s26, v5
	v_mul_lo_u32 v10, s27, v4
	v_mad_u64_u32 v[4:5], s[20:21], s26, v4, v[2:3]
	v_and_b32_e32 v11, 31, v7
	v_lshlrev_b32_e32 v2, 4, v2
	v_lshl_or_b32 v2, v8, 7, v2
	v_add_u32_e32 v8, s6, v11
	v_lshrrev_b32_e32 v6, 5, v7
	v_mov_b32_e32 v7, v3
	v_lshlrev_b32_e32 v3, 4, v11
	v_add_u32_e32 v23, 0x1000, v2
	v_ashrrev_i32_e32 v2, 31, v8
	v_add3_u32 v5, v10, v5, v9
	v_lshl_or_b32 v22, v6, 9, v3
	v_mul_lo_u32 v9, s10, v2
	v_mad_u64_u32 v[2:3], s[20:21], s10, v8, v[6:7]
	v_mul_lo_u32 v6, s11, v8
	s_load_dwordx2 s[0:1], s[0:1], 0x0
	v_lshlrev_b64 v[4:5], 4, v[4:5]
	s_load_dwordx2 s[18:19], s[18:19], 0x0
	v_add3_u32 v3, v6, v3, v9
	v_lshlrev_b64 v[2:3], 4, v[2:3]
	s_waitcnt lgkmcnt(0)
	v_mov_b32_e32 v6, s1
	v_add_co_u32_e32 v2, vcc, s0, v2
	v_addc_co_u32_e32 v3, vcc, v6, v3, vcc
	v_mov_b32_e32 v7, 0x1000
	v_mov_b32_e32 v6, s19
	v_add_co_u32_e32 v4, vcc, s18, v4
	v_lshl_add_u32 v25, v1, 7, v7
	v_addc_co_u32_e32 v5, vcc, v6, v5, vcc
	v_mov_b32_e32 v12, 0
	v_mov_b32_e32 v10, 0
	;; [unrolled: 1-line block ×8, first 2 shown]
	v_lshlrev_b32_e32 v24, 4, v0
	v_mov_b32_e32 v13, 0
	v_mov_b32_e32 v11, 0
	;; [unrolled: 1-line block ×8, first 2 shown]
	s_mov_b64 s[0:1], 0
.LBB1801_2:                             ; =>This Inner Loop Header: Depth=1
	flat_load_dwordx4 v[26:29], v[2:3]
	s_add_u32 s0, s0, 8
	v_add_co_u32_e32 v2, vcc, 0x80, v2
	s_addc_u32 s1, s1, 0
	v_addc_co_u32_e32 v3, vcc, 0, v3, vcc
	s_waitcnt vmcnt(0) lgkmcnt(0)
	v_xor_b32_e32 v29, 0x80000000, v29
	ds_write_b128 v22, v[26:29]
	flat_load_dwordx4 v[26:29], v[4:5]
	v_add_co_u32_e32 v4, vcc, 0x80, v4
	v_addc_co_u32_e32 v5, vcc, 0, v5, vcc
	s_waitcnt vmcnt(0) lgkmcnt(0)
	ds_write_b128 v23, v[26:29]
	s_waitcnt lgkmcnt(0)
	s_barrier
	ds_read_b128 v[26:29], v25
	ds_read_b128 v[30:33], v25 offset:16
	ds_read_b128 v[34:37], v25 offset:32
	;; [unrolled: 1-line block ×3, first 2 shown]
	ds_read_b128 v[42:45], v24
	s_waitcnt lgkmcnt(0)
	v_mul_f64 v[46:47], v[28:29], v[44:45]
	v_mul_f64 v[48:49], v[26:27], v[44:45]
	v_fma_f64 v[46:47], v[26:27], v[42:43], -v[46:47]
	v_fma_f64 v[48:49], v[28:29], v[42:43], v[48:49]
	v_add_f64 v[16:17], v[16:17], v[46:47]
	v_add_f64 v[20:21], v[48:49], v[20:21]
	ds_read_b128 v[46:49], v24 offset:256
	s_waitcnt lgkmcnt(0)
	v_mul_f64 v[50:51], v[28:29], v[48:49]
	v_fma_f64 v[50:51], v[26:27], v[46:47], -v[50:51]
	v_mul_f64 v[26:27], v[26:27], v[48:49]
	v_fma_f64 v[26:27], v[28:29], v[46:47], v[26:27]
	v_add_f64 v[28:29], v[6:7], v[50:51]
	v_add_f64 v[26:27], v[26:27], v[8:9]
	ds_read_b128 v[6:9], v25 offset:2048
	s_waitcnt lgkmcnt(0)
	v_mul_f64 v[50:51], v[8:9], v[44:45]
	v_mul_f64 v[44:45], v[6:7], v[44:45]
	v_fma_f64 v[50:51], v[6:7], v[42:43], -v[50:51]
	v_fma_f64 v[42:43], v[8:9], v[42:43], v[44:45]
	v_add_f64 v[44:45], v[14:15], v[50:51]
	v_mul_f64 v[14:15], v[8:9], v[48:49]
	v_add_f64 v[18:19], v[42:43], v[18:19]
	v_fma_f64 v[14:15], v[6:7], v[46:47], -v[14:15]
	v_mul_f64 v[6:7], v[6:7], v[48:49]
	v_add_f64 v[42:43], v[10:11], v[14:15]
	v_fma_f64 v[6:7], v[8:9], v[46:47], v[6:7]
	v_add_f64 v[46:47], v[6:7], v[12:13]
	ds_read_b128 v[6:9], v24 offset:512
	s_waitcnt lgkmcnt(0)
	v_mul_f64 v[10:11], v[32:33], v[8:9]
	v_mul_f64 v[12:13], v[30:31], v[8:9]
	v_fma_f64 v[10:11], v[30:31], v[6:7], -v[10:11]
	v_fma_f64 v[12:13], v[32:33], v[6:7], v[12:13]
	v_add_f64 v[48:49], v[16:17], v[10:11]
	v_add_f64 v[20:21], v[12:13], v[20:21]
	ds_read_b128 v[10:13], v24 offset:768
	s_waitcnt lgkmcnt(0)
	v_mul_f64 v[14:15], v[32:33], v[12:13]
	v_mul_f64 v[16:17], v[30:31], v[12:13]
	v_fma_f64 v[14:15], v[30:31], v[10:11], -v[14:15]
	v_fma_f64 v[16:17], v[32:33], v[10:11], v[16:17]
	v_add_f64 v[28:29], v[28:29], v[14:15]
	v_add_f64 v[26:27], v[16:17], v[26:27]
	ds_read_b128 v[14:17], v25 offset:2064
	s_waitcnt lgkmcnt(0)
	v_mul_f64 v[30:31], v[16:17], v[8:9]
	v_mul_f64 v[8:9], v[14:15], v[8:9]
	v_fma_f64 v[30:31], v[14:15], v[6:7], -v[30:31]
	v_fma_f64 v[6:7], v[16:17], v[6:7], v[8:9]
	v_mul_f64 v[8:9], v[14:15], v[12:13]
	v_add_f64 v[30:31], v[44:45], v[30:31]
	v_add_f64 v[18:19], v[6:7], v[18:19]
	v_mul_f64 v[6:7], v[16:17], v[12:13]
	v_fma_f64 v[8:9], v[16:17], v[10:11], v[8:9]
	v_fma_f64 v[6:7], v[14:15], v[10:11], -v[6:7]
	v_add_f64 v[32:33], v[42:43], v[6:7]
	v_add_f64 v[42:43], v[8:9], v[46:47]
	ds_read_b128 v[6:9], v24 offset:1024
	s_waitcnt lgkmcnt(0)
	v_mul_f64 v[10:11], v[36:37], v[8:9]
	v_mul_f64 v[12:13], v[34:35], v[8:9]
	v_fma_f64 v[10:11], v[34:35], v[6:7], -v[10:11]
	v_fma_f64 v[12:13], v[36:37], v[6:7], v[12:13]
	v_add_f64 v[44:45], v[48:49], v[10:11]
	v_add_f64 v[20:21], v[12:13], v[20:21]
	ds_read_b128 v[10:13], v24 offset:1280
	s_waitcnt lgkmcnt(0)
	v_mul_f64 v[14:15], v[36:37], v[12:13]
	v_mul_f64 v[16:17], v[34:35], v[12:13]
	v_fma_f64 v[14:15], v[34:35], v[10:11], -v[14:15]
	v_fma_f64 v[16:17], v[36:37], v[10:11], v[16:17]
	v_add_f64 v[28:29], v[28:29], v[14:15]
	v_add_f64 v[26:27], v[16:17], v[26:27]
	ds_read_b128 v[14:17], v25 offset:2080
	s_waitcnt lgkmcnt(0)
	v_mul_f64 v[34:35], v[16:17], v[8:9]
	v_mul_f64 v[8:9], v[14:15], v[8:9]
	v_fma_f64 v[34:35], v[14:15], v[6:7], -v[34:35]
	v_fma_f64 v[6:7], v[16:17], v[6:7], v[8:9]
	v_mul_f64 v[8:9], v[14:15], v[12:13]
	v_add_f64 v[30:31], v[30:31], v[34:35]
	v_add_f64 v[18:19], v[6:7], v[18:19]
	v_mul_f64 v[6:7], v[16:17], v[12:13]
	v_fma_f64 v[8:9], v[16:17], v[10:11], v[8:9]
	v_fma_f64 v[6:7], v[14:15], v[10:11], -v[6:7]
	v_add_f64 v[34:35], v[8:9], v[42:43]
	;; [unrolled: 30-line block ×3, first 2 shown]
	v_add_f64 v[32:33], v[32:33], v[6:7]
	ds_read_b128 v[6:9], v25 offset:64
	ds_read_b128 v[10:13], v24 offset:2048
	s_waitcnt lgkmcnt(0)
	v_mul_f64 v[14:15], v[8:9], v[12:13]
	v_mul_f64 v[16:17], v[6:7], v[12:13]
	v_fma_f64 v[14:15], v[6:7], v[10:11], -v[14:15]
	v_fma_f64 v[16:17], v[8:9], v[10:11], v[16:17]
	v_add_f64 v[36:37], v[36:37], v[14:15]
	v_add_f64 v[20:21], v[16:17], v[20:21]
	ds_read_b128 v[14:17], v24 offset:2304
	s_waitcnt lgkmcnt(0)
	v_mul_f64 v[38:39], v[8:9], v[16:17]
	v_fma_f64 v[38:39], v[6:7], v[14:15], -v[38:39]
	v_mul_f64 v[6:7], v[6:7], v[16:17]
	v_add_f64 v[28:29], v[28:29], v[38:39]
	v_fma_f64 v[6:7], v[8:9], v[14:15], v[6:7]
	v_add_f64 v[26:27], v[6:7], v[26:27]
	ds_read_b128 v[6:9], v25 offset:2112
	s_waitcnt lgkmcnt(0)
	v_mul_f64 v[38:39], v[8:9], v[12:13]
	v_mul_f64 v[12:13], v[6:7], v[12:13]
	v_fma_f64 v[38:39], v[6:7], v[10:11], -v[38:39]
	v_fma_f64 v[10:11], v[8:9], v[10:11], v[12:13]
	v_add_f64 v[30:31], v[30:31], v[38:39]
	v_add_f64 v[18:19], v[10:11], v[18:19]
	v_mul_f64 v[10:11], v[8:9], v[16:17]
	v_fma_f64 v[10:11], v[6:7], v[14:15], -v[10:11]
	v_mul_f64 v[6:7], v[6:7], v[16:17]
	v_add_f64 v[32:33], v[32:33], v[10:11]
	v_fma_f64 v[6:7], v[8:9], v[14:15], v[6:7]
	v_add_f64 v[34:35], v[6:7], v[34:35]
	ds_read_b128 v[6:9], v25 offset:80
	ds_read_b128 v[10:13], v24 offset:2560
	s_waitcnt lgkmcnt(0)
	v_mul_f64 v[14:15], v[8:9], v[12:13]
	v_mul_f64 v[16:17], v[6:7], v[12:13]
	v_fma_f64 v[14:15], v[6:7], v[10:11], -v[14:15]
	v_fma_f64 v[16:17], v[8:9], v[10:11], v[16:17]
	v_add_f64 v[36:37], v[36:37], v[14:15]
	v_add_f64 v[20:21], v[16:17], v[20:21]
	ds_read_b128 v[14:17], v24 offset:2816
	s_waitcnt lgkmcnt(0)
	v_mul_f64 v[38:39], v[8:9], v[16:17]
	v_fma_f64 v[38:39], v[6:7], v[14:15], -v[38:39]
	v_mul_f64 v[6:7], v[6:7], v[16:17]
	v_add_f64 v[28:29], v[28:29], v[38:39]
	v_fma_f64 v[6:7], v[8:9], v[14:15], v[6:7]
	v_add_f64 v[26:27], v[6:7], v[26:27]
	ds_read_b128 v[6:9], v25 offset:2128
	s_waitcnt lgkmcnt(0)
	v_mul_f64 v[38:39], v[8:9], v[12:13]
	v_mul_f64 v[12:13], v[6:7], v[12:13]
	v_fma_f64 v[38:39], v[6:7], v[10:11], -v[38:39]
	v_fma_f64 v[10:11], v[8:9], v[10:11], v[12:13]
	v_add_f64 v[30:31], v[30:31], v[38:39]
	v_add_f64 v[18:19], v[10:11], v[18:19]
	v_mul_f64 v[10:11], v[8:9], v[16:17]
	v_fma_f64 v[10:11], v[6:7], v[14:15], -v[10:11]
	v_mul_f64 v[6:7], v[6:7], v[16:17]
	v_add_f64 v[32:33], v[32:33], v[10:11]
	v_fma_f64 v[6:7], v[8:9], v[14:15], v[6:7]
	;; [unrolled: 31-line block ×3, first 2 shown]
	v_add_f64 v[34:35], v[6:7], v[34:35]
	ds_read_b128 v[6:9], v25 offset:112
	ds_read_b128 v[10:13], v24 offset:3584
	;; [unrolled: 1-line block ×3, first 2 shown]
	s_waitcnt lgkmcnt(1)
	v_mul_f64 v[16:17], v[6:7], v[12:13]
	v_mul_f64 v[14:15], v[8:9], v[12:13]
	v_fma_f64 v[26:27], v[8:9], v[10:11], v[16:17]
	v_fma_f64 v[14:15], v[6:7], v[10:11], -v[14:15]
	v_add_f64 v[20:21], v[26:27], v[20:21]
	ds_read_b128 v[26:29], v24 offset:3840
	v_add_f64 v[16:17], v[36:37], v[14:15]
	s_waitcnt lgkmcnt(0)
	s_barrier
	v_mul_f64 v[14:15], v[8:9], v[28:29]
	v_fma_f64 v[14:15], v[6:7], v[26:27], -v[14:15]
	v_mul_f64 v[6:7], v[6:7], v[28:29]
	v_fma_f64 v[8:9], v[8:9], v[26:27], v[6:7]
	v_add_f64 v[6:7], v[38:39], v[14:15]
	v_mul_f64 v[14:15], v[32:33], v[12:13]
	v_mul_f64 v[12:13], v[30:31], v[12:13]
	v_add_f64 v[8:9], v[8:9], v[40:41]
	v_fma_f64 v[14:15], v[30:31], v[10:11], -v[14:15]
	v_fma_f64 v[10:11], v[32:33], v[10:11], v[12:13]
	v_mul_f64 v[12:13], v[30:31], v[28:29]
	v_add_f64 v[14:15], v[42:43], v[14:15]
	v_add_f64 v[18:19], v[10:11], v[18:19]
	v_mul_f64 v[10:11], v[32:33], v[28:29]
	v_fma_f64 v[12:13], v[32:33], v[26:27], v[12:13]
	v_fma_f64 v[10:11], v[30:31], v[26:27], -v[10:11]
	v_add_f64 v[12:13], v[12:13], v[34:35]
	v_mov_b32_e32 v27, s1
	v_mov_b32_e32 v26, s0
	v_cmp_le_u64_e32 vcc, s[12:13], v[26:27]
	v_add_f64 v[10:11], v[44:45], v[10:11]
	s_cbranch_vccz .LBB1801_2
	s_branch .LBB1801_4
.LBB1801_3:
	v_mov_b32_e32 v16, 0
	v_mov_b32_e32 v20, 0
	;; [unrolled: 1-line block ×16, first 2 shown]
.LBB1801_4:
	v_add_u32_e32 v4, s7, v1
	v_ashrrev_i32_e32 v1, 31, v4
	v_mul_lo_u32 v3, s2, v1
	v_mul_lo_u32 v5, s3, v4
	v_mad_u64_u32 v[1:2], s[0:1], s2, v4, 0
	s_load_dword s10, s[4:5], 0x0
	v_add_u32_e32 v0, s6, v0
	v_add3_u32 v2, v2, v3, v5
	v_lshlrev_b64 v[1:2], 4, v[1:2]
	s_waitcnt lgkmcnt(0)
	v_mov_b32_e32 v3, s9
	v_add_co_u32_e64 v5, s[0:1], s8, v1
	v_addc_co_u32_e64 v22, s[0:1], v3, v2, s[0:1]
	v_cmp_gt_i32_e32 vcc, s10, v4
	v_cmp_le_i32_e64 s[0:1], v0, v4
	s_and_b64 s[0:1], vcc, s[0:1]
	s_and_saveexec_b64 s[4:5], s[0:1]
	s_cbranch_execz .LBB1801_6
; %bb.5:
	v_mul_f64 v[2:3], s[14:15], v[20:21]
	v_mul_f64 v[20:21], s[16:17], v[20:21]
	v_ashrrev_i32_e32 v1, 31, v0
	v_lshlrev_b64 v[25:26], 4, v[0:1]
	v_fma_f64 v[2:3], s[16:17], v[16:17], v[2:3]
	v_fma_f64 v[23:24], s[14:15], v[16:17], -v[20:21]
	v_add_co_u32_e64 v16, s[0:1], v5, v25
	v_addc_co_u32_e64 v17, s[0:1], v22, v26, s[0:1]
	v_cmp_ne_u32_e64 s[0:1], v4, v0
	v_cndmask_b32_e64 v26, 0, v3, s[0:1]
	v_cndmask_b32_e64 v25, 0, v2, s[0:1]
	flat_store_dwordx4 v[16:17], v[23:26]
.LBB1801_6:
	s_or_b64 exec, exec, s[4:5]
	v_add_u32_e32 v2, 16, v0
	v_cmp_le_i32_e64 s[0:1], v2, v4
	s_and_b64 s[4:5], vcc, s[0:1]
	s_and_saveexec_b64 s[0:1], s[4:5]
	s_cbranch_execz .LBB1801_8
; %bb.7:
	v_mul_f64 v[16:17], s[14:15], v[8:9]
	v_mul_f64 v[8:9], s[16:17], v[8:9]
	v_ashrrev_i32_e32 v3, 31, v2
	v_lshlrev_b64 v[20:21], 4, v[2:3]
	v_add_co_u32_e32 v20, vcc, v5, v20
	v_addc_co_u32_e32 v21, vcc, v22, v21, vcc
	v_fma_f64 v[16:17], s[16:17], v[6:7], v[16:17]
	v_fma_f64 v[6:7], s[14:15], v[6:7], -v[8:9]
	v_cmp_ne_u32_e32 vcc, v4, v2
	v_cndmask_b32_e32 v9, 0, v17, vcc
	v_cndmask_b32_e32 v8, 0, v16, vcc
	flat_store_dwordx4 v[20:21], v[6:9]
.LBB1801_8:
	s_or_b64 exec, exec, s[0:1]
	v_add_u32_e32 v3, 16, v4
	v_ashrrev_i32_e32 v1, 31, v3
	v_mul_lo_u32 v1, s2, v1
	v_mul_lo_u32 v7, s3, v3
	v_mad_u64_u32 v[5:6], s[0:1], s2, v3, 0
	v_cmp_gt_i32_e32 vcc, s10, v3
	v_add3_u32 v6, v6, v1, v7
	v_lshlrev_b64 v[5:6], 4, v[5:6]
	v_mov_b32_e32 v1, s9
	v_add_co_u32_e64 v5, s[0:1], s8, v5
	v_addc_co_u32_e64 v6, s[0:1], v1, v6, s[0:1]
	v_cmp_le_i32_e64 s[0:1], v0, v3
	s_and_b64 s[0:1], vcc, s[0:1]
	s_and_saveexec_b64 s[2:3], s[0:1]
	s_cbranch_execz .LBB1801_10
; %bb.9:
	v_mul_f64 v[7:8], s[14:15], v[18:19]
	v_mul_f64 v[16:17], s[16:17], v[18:19]
	v_ashrrev_i32_e32 v1, 31, v0
	v_lshlrev_b64 v[18:19], 4, v[0:1]
	v_add_co_u32_e64 v18, s[0:1], v5, v18
	v_addc_co_u32_e64 v19, s[0:1], v6, v19, s[0:1]
	v_fma_f64 v[7:8], s[16:17], v[14:15], v[7:8]
	v_fma_f64 v[14:15], s[14:15], v[14:15], -v[16:17]
	v_cmp_ne_u32_e64 s[0:1], v3, v0
	v_cndmask_b32_e64 v17, 0, v8, s[0:1]
	v_cndmask_b32_e64 v16, 0, v7, s[0:1]
	flat_store_dwordx4 v[18:19], v[14:17]
.LBB1801_10:
	s_or_b64 exec, exec, s[2:3]
	v_cmp_le_i32_e64 s[0:1], v2, v3
	s_and_b64 s[0:1], vcc, s[0:1]
	s_and_saveexec_b64 s[2:3], s[0:1]
	s_cbranch_execz .LBB1801_12
; %bb.11:
	v_mul_f64 v[7:8], s[14:15], v[12:13]
	v_mul_f64 v[12:13], s[16:17], v[12:13]
	v_ashrrev_i32_e32 v3, 31, v2
	v_lshlrev_b64 v[14:15], 4, v[2:3]
	v_add_co_u32_e32 v5, vcc, v5, v14
	v_addc_co_u32_e32 v6, vcc, v6, v15, vcc
	v_fma_f64 v[7:8], s[16:17], v[10:11], v[7:8]
	v_fma_f64 v[1:2], s[14:15], v[10:11], -v[12:13]
	v_cmp_ne_u32_e32 vcc, v4, v0
	v_cndmask_b32_e32 v4, 0, v8, vcc
	v_cndmask_b32_e32 v3, 0, v7, vcc
	flat_store_dwordx4 v[5:6], v[1:4]
.LBB1801_12:
	s_endpgm
	.section	.rodata,"a",@progbits
	.p2align	6, 0x0
	.amdhsa_kernel _ZL37rocblas_syrkx_herkx_restricted_kernelIl19rocblas_complex_numIdELi16ELi32ELi8ELb1ELb1ELc67ELc85EKPKS1_KPS1_EviT_T0_PT8_S7_lSA_S7_lS8_PT9_S7_li
		.amdhsa_group_segment_fixed_size 8192
		.amdhsa_private_segment_fixed_size 0
		.amdhsa_kernarg_size 124
		.amdhsa_user_sgpr_count 6
		.amdhsa_user_sgpr_private_segment_buffer 1
		.amdhsa_user_sgpr_dispatch_ptr 0
		.amdhsa_user_sgpr_queue_ptr 0
		.amdhsa_user_sgpr_kernarg_segment_ptr 1
		.amdhsa_user_sgpr_dispatch_id 0
		.amdhsa_user_sgpr_flat_scratch_init 0
		.amdhsa_user_sgpr_private_segment_size 0
		.amdhsa_uses_dynamic_stack 0
		.amdhsa_system_sgpr_private_segment_wavefront_offset 0
		.amdhsa_system_sgpr_workgroup_id_x 1
		.amdhsa_system_sgpr_workgroup_id_y 1
		.amdhsa_system_sgpr_workgroup_id_z 1
		.amdhsa_system_sgpr_workgroup_info 0
		.amdhsa_system_vgpr_workitem_id 1
		.amdhsa_next_free_vgpr 52
		.amdhsa_next_free_sgpr 61
		.amdhsa_reserve_vcc 1
		.amdhsa_reserve_flat_scratch 0
		.amdhsa_float_round_mode_32 0
		.amdhsa_float_round_mode_16_64 0
		.amdhsa_float_denorm_mode_32 3
		.amdhsa_float_denorm_mode_16_64 3
		.amdhsa_dx10_clamp 1
		.amdhsa_ieee_mode 1
		.amdhsa_fp16_overflow 0
		.amdhsa_exception_fp_ieee_invalid_op 0
		.amdhsa_exception_fp_denorm_src 0
		.amdhsa_exception_fp_ieee_div_zero 0
		.amdhsa_exception_fp_ieee_overflow 0
		.amdhsa_exception_fp_ieee_underflow 0
		.amdhsa_exception_fp_ieee_inexact 0
		.amdhsa_exception_int_div_zero 0
	.end_amdhsa_kernel
	.section	.text._ZL37rocblas_syrkx_herkx_restricted_kernelIl19rocblas_complex_numIdELi16ELi32ELi8ELb1ELb1ELc67ELc85EKPKS1_KPS1_EviT_T0_PT8_S7_lSA_S7_lS8_PT9_S7_li,"axG",@progbits,_ZL37rocblas_syrkx_herkx_restricted_kernelIl19rocblas_complex_numIdELi16ELi32ELi8ELb1ELb1ELc67ELc85EKPKS1_KPS1_EviT_T0_PT8_S7_lSA_S7_lS8_PT9_S7_li,comdat
.Lfunc_end1801:
	.size	_ZL37rocblas_syrkx_herkx_restricted_kernelIl19rocblas_complex_numIdELi16ELi32ELi8ELb1ELb1ELc67ELc85EKPKS1_KPS1_EviT_T0_PT8_S7_lSA_S7_lS8_PT9_S7_li, .Lfunc_end1801-_ZL37rocblas_syrkx_herkx_restricted_kernelIl19rocblas_complex_numIdELi16ELi32ELi8ELb1ELb1ELc67ELc85EKPKS1_KPS1_EviT_T0_PT8_S7_lSA_S7_lS8_PT9_S7_li
                                        ; -- End function
	.set _ZL37rocblas_syrkx_herkx_restricted_kernelIl19rocblas_complex_numIdELi16ELi32ELi8ELb1ELb1ELc67ELc85EKPKS1_KPS1_EviT_T0_PT8_S7_lSA_S7_lS8_PT9_S7_li.num_vgpr, 52
	.set _ZL37rocblas_syrkx_herkx_restricted_kernelIl19rocblas_complex_numIdELi16ELi32ELi8ELb1ELb1ELc67ELc85EKPKS1_KPS1_EviT_T0_PT8_S7_lSA_S7_lS8_PT9_S7_li.num_agpr, 0
	.set _ZL37rocblas_syrkx_herkx_restricted_kernelIl19rocblas_complex_numIdELi16ELi32ELi8ELb1ELb1ELc67ELc85EKPKS1_KPS1_EviT_T0_PT8_S7_lSA_S7_lS8_PT9_S7_li.numbered_sgpr, 28
	.set _ZL37rocblas_syrkx_herkx_restricted_kernelIl19rocblas_complex_numIdELi16ELi32ELi8ELb1ELb1ELc67ELc85EKPKS1_KPS1_EviT_T0_PT8_S7_lSA_S7_lS8_PT9_S7_li.num_named_barrier, 0
	.set _ZL37rocblas_syrkx_herkx_restricted_kernelIl19rocblas_complex_numIdELi16ELi32ELi8ELb1ELb1ELc67ELc85EKPKS1_KPS1_EviT_T0_PT8_S7_lSA_S7_lS8_PT9_S7_li.private_seg_size, 0
	.set _ZL37rocblas_syrkx_herkx_restricted_kernelIl19rocblas_complex_numIdELi16ELi32ELi8ELb1ELb1ELc67ELc85EKPKS1_KPS1_EviT_T0_PT8_S7_lSA_S7_lS8_PT9_S7_li.uses_vcc, 1
	.set _ZL37rocblas_syrkx_herkx_restricted_kernelIl19rocblas_complex_numIdELi16ELi32ELi8ELb1ELb1ELc67ELc85EKPKS1_KPS1_EviT_T0_PT8_S7_lSA_S7_lS8_PT9_S7_li.uses_flat_scratch, 0
	.set _ZL37rocblas_syrkx_herkx_restricted_kernelIl19rocblas_complex_numIdELi16ELi32ELi8ELb1ELb1ELc67ELc85EKPKS1_KPS1_EviT_T0_PT8_S7_lSA_S7_lS8_PT9_S7_li.has_dyn_sized_stack, 0
	.set _ZL37rocblas_syrkx_herkx_restricted_kernelIl19rocblas_complex_numIdELi16ELi32ELi8ELb1ELb1ELc67ELc85EKPKS1_KPS1_EviT_T0_PT8_S7_lSA_S7_lS8_PT9_S7_li.has_recursion, 0
	.set _ZL37rocblas_syrkx_herkx_restricted_kernelIl19rocblas_complex_numIdELi16ELi32ELi8ELb1ELb1ELc67ELc85EKPKS1_KPS1_EviT_T0_PT8_S7_lSA_S7_lS8_PT9_S7_li.has_indirect_call, 0
	.section	.AMDGPU.csdata,"",@progbits
; Kernel info:
; codeLenInByte = 3044
; TotalNumSgprs: 32
; NumVgprs: 52
; ScratchSize: 0
; MemoryBound: 0
; FloatMode: 240
; IeeeMode: 1
; LDSByteSize: 8192 bytes/workgroup (compile time only)
; SGPRBlocks: 8
; VGPRBlocks: 12
; NumSGPRsForWavesPerEU: 65
; NumVGPRsForWavesPerEU: 52
; Occupancy: 4
; WaveLimiterHint : 1
; COMPUTE_PGM_RSRC2:SCRATCH_EN: 0
; COMPUTE_PGM_RSRC2:USER_SGPR: 6
; COMPUTE_PGM_RSRC2:TRAP_HANDLER: 0
; COMPUTE_PGM_RSRC2:TGID_X_EN: 1
; COMPUTE_PGM_RSRC2:TGID_Y_EN: 1
; COMPUTE_PGM_RSRC2:TGID_Z_EN: 1
; COMPUTE_PGM_RSRC2:TIDIG_COMP_CNT: 1
	.section	.text._ZL37rocblas_syrkx_herkx_restricted_kernelIl19rocblas_complex_numIdELi16ELi32ELi8ELb1ELb1ELc78ELc85EKPKS1_KPS1_EviT_T0_PT8_S7_lSA_S7_lS8_PT9_S7_li,"axG",@progbits,_ZL37rocblas_syrkx_herkx_restricted_kernelIl19rocblas_complex_numIdELi16ELi32ELi8ELb1ELb1ELc78ELc85EKPKS1_KPS1_EviT_T0_PT8_S7_lSA_S7_lS8_PT9_S7_li,comdat
	.globl	_ZL37rocblas_syrkx_herkx_restricted_kernelIl19rocblas_complex_numIdELi16ELi32ELi8ELb1ELb1ELc78ELc85EKPKS1_KPS1_EviT_T0_PT8_S7_lSA_S7_lS8_PT9_S7_li ; -- Begin function _ZL37rocblas_syrkx_herkx_restricted_kernelIl19rocblas_complex_numIdELi16ELi32ELi8ELb1ELb1ELc78ELc85EKPKS1_KPS1_EviT_T0_PT8_S7_lSA_S7_lS8_PT9_S7_li
	.p2align	8
	.type	_ZL37rocblas_syrkx_herkx_restricted_kernelIl19rocblas_complex_numIdELi16ELi32ELi8ELb1ELb1ELc78ELc85EKPKS1_KPS1_EviT_T0_PT8_S7_lSA_S7_lS8_PT9_S7_li,@function
_ZL37rocblas_syrkx_herkx_restricted_kernelIl19rocblas_complex_numIdELi16ELi32ELi8ELb1ELb1ELc78ELc85EKPKS1_KPS1_EviT_T0_PT8_S7_lSA_S7_lS8_PT9_S7_li: ; @_ZL37rocblas_syrkx_herkx_restricted_kernelIl19rocblas_complex_numIdELi16ELi32ELi8ELb1ELb1ELc78ELc85EKPKS1_KPS1_EviT_T0_PT8_S7_lSA_S7_lS8_PT9_S7_li
; %bb.0:
	s_load_dwordx4 s[0:3], s[4:5], 0x60
	s_load_dwordx2 s[22:23], s[4:5], 0x28
	s_load_dwordx8 s[12:19], s[4:5], 0x8
	s_mov_b32 s9, 0
	s_lshl_b64 s[24:25], s[8:9], 3
	s_waitcnt lgkmcnt(0)
	s_add_u32 s0, s0, s24
	s_addc_u32 s1, s1, s25
	s_load_dwordx2 s[20:21], s[0:1], 0x0
	v_cmp_lt_i64_e64 s[0:1], s[12:13], 1
	s_lshl_b32 s26, s6, 5
	s_lshl_b32 s27, s7, 5
	s_and_b64 vcc, exec, s[0:1]
	s_cbranch_vccnz .LBB1802_3
; %bb.1:
	s_load_dwordx4 s[8:11], s[4:5], 0x38
	v_lshl_add_u32 v6, v1, 4, v0
	v_lshrrev_b32_e32 v7, 3, v6
	v_add_u32_e32 v2, s27, v7
	v_and_b32_e32 v8, 7, v0
	v_ashrrev_i32_e32 v3, 31, v2
	s_waitcnt lgkmcnt(0)
	v_mad_u64_u32 v[4:5], s[6:7], s10, v8, v[2:3]
	s_add_u32 s0, s18, s24
	s_addc_u32 s1, s19, s25
	s_add_u32 s6, s8, s24
	v_mov_b32_e32 v2, v5
	s_addc_u32 s7, s9, s25
	v_mad_u64_u32 v[2:3], s[8:9], s11, v8, v[2:3]
	v_and_b32_e32 v3, 31, v6
	v_lshrrev_b32_e32 v9, 5, v6
	v_mov_b32_e32 v5, v2
	v_lshlrev_b32_e32 v2, 4, v3
	v_lshl_or_b32 v22, v9, 9, v2
	v_add_u32_e32 v2, s26, v3
	v_ashrrev_i32_e32 v3, 31, v2
	v_mad_u64_u32 v[2:3], s[8:9], s22, v9, v[2:3]
	v_lshlrev_b32_e32 v6, 4, v8
	v_lshl_or_b32 v6, v7, 7, v6
	v_add_u32_e32 v23, 0x1000, v6
	v_mad_u64_u32 v[6:7], s[8:9], s23, v9, v[3:4]
	s_load_dwordx2 s[0:1], s[0:1], 0x0
	v_mov_b32_e32 v3, 0x1000
	s_load_dwordx2 s[6:7], s[6:7], 0x0
	v_lshl_add_u32 v25, v1, 7, v3
	v_mov_b32_e32 v3, v6
	v_lshlrev_b64 v[2:3], 4, v[2:3]
	s_waitcnt lgkmcnt(0)
	v_mov_b32_e32 v6, s1
	v_add_co_u32_e32 v2, vcc, s0, v2
	v_lshlrev_b64 v[4:5], 4, v[4:5]
	v_addc_co_u32_e32 v3, vcc, v6, v3, vcc
	v_mov_b32_e32 v6, s7
	v_add_co_u32_e32 v4, vcc, s6, v4
	s_lshl_b64 s[0:1], s[22:23], 7
	v_addc_co_u32_e32 v5, vcc, v6, v5, vcc
	s_lshl_b64 s[6:7], s[10:11], 7
	v_mov_b32_e32 v12, 0
	v_mov_b32_e32 v10, 0
	;; [unrolled: 1-line block ×8, first 2 shown]
	v_lshlrev_b32_e32 v24, 4, v0
	v_mov_b32_e32 v13, 0
	s_mov_b64 s[8:9], 0
	v_mov_b32_e32 v26, s1
	v_mov_b32_e32 v11, 0
	;; [unrolled: 1-line block ×9, first 2 shown]
.LBB1802_2:                             ; =>This Inner Loop Header: Depth=1
	flat_load_dwordx4 v[28:31], v[2:3]
	s_add_u32 s8, s8, 8
	v_add_co_u32_e32 v2, vcc, s0, v2
	s_addc_u32 s9, s9, 0
	v_addc_co_u32_e32 v3, vcc, v3, v26, vcc
	s_waitcnt vmcnt(0) lgkmcnt(0)
	ds_write_b128 v22, v[28:31]
	flat_load_dwordx4 v[28:31], v[4:5]
	v_add_co_u32_e32 v4, vcc, s6, v4
	v_addc_co_u32_e32 v5, vcc, v5, v27, vcc
	s_waitcnt vmcnt(0) lgkmcnt(0)
	v_xor_b32_e32 v31, 0x80000000, v31
	ds_write_b128 v23, v[28:31]
	s_waitcnt lgkmcnt(0)
	s_barrier
	ds_read_b128 v[28:31], v25
	ds_read_b128 v[32:35], v25 offset:16
	ds_read_b128 v[36:39], v25 offset:32
	;; [unrolled: 1-line block ×3, first 2 shown]
	ds_read_b128 v[44:47], v24
	s_waitcnt lgkmcnt(0)
	v_mul_f64 v[48:49], v[30:31], v[46:47]
	v_mul_f64 v[50:51], v[28:29], v[46:47]
	v_fma_f64 v[48:49], v[28:29], v[44:45], -v[48:49]
	v_fma_f64 v[50:51], v[30:31], v[44:45], v[50:51]
	v_add_f64 v[48:49], v[18:19], v[48:49]
	v_add_f64 v[50:51], v[50:51], v[20:21]
	ds_read_b128 v[18:21], v24 offset:256
	s_waitcnt lgkmcnt(0)
	v_mul_f64 v[52:53], v[30:31], v[20:21]
	v_fma_f64 v[52:53], v[28:29], v[18:19], -v[52:53]
	v_mul_f64 v[28:29], v[28:29], v[20:21]
	v_fma_f64 v[28:29], v[30:31], v[18:19], v[28:29]
	v_add_f64 v[30:31], v[6:7], v[52:53]
	v_add_f64 v[28:29], v[28:29], v[8:9]
	ds_read_b128 v[6:9], v25 offset:2048
	s_waitcnt lgkmcnt(0)
	v_mul_f64 v[52:53], v[8:9], v[46:47]
	v_mul_f64 v[46:47], v[6:7], v[46:47]
	v_fma_f64 v[52:53], v[6:7], v[44:45], -v[52:53]
	v_fma_f64 v[44:45], v[8:9], v[44:45], v[46:47]
	v_add_f64 v[46:47], v[14:15], v[52:53]
	v_mul_f64 v[14:15], v[8:9], v[20:21]
	v_add_f64 v[44:45], v[44:45], v[16:17]
	v_fma_f64 v[14:15], v[6:7], v[18:19], -v[14:15]
	v_mul_f64 v[6:7], v[6:7], v[20:21]
	v_fma_f64 v[6:7], v[8:9], v[18:19], v[6:7]
	v_add_f64 v[18:19], v[10:11], v[14:15]
	v_add_f64 v[20:21], v[6:7], v[12:13]
	ds_read_b128 v[6:9], v24 offset:512
	s_waitcnt lgkmcnt(0)
	v_mul_f64 v[10:11], v[34:35], v[8:9]
	v_mul_f64 v[12:13], v[32:33], v[8:9]
	v_fma_f64 v[10:11], v[32:33], v[6:7], -v[10:11]
	v_fma_f64 v[12:13], v[34:35], v[6:7], v[12:13]
	v_add_f64 v[48:49], v[48:49], v[10:11]
	v_add_f64 v[50:51], v[12:13], v[50:51]
	ds_read_b128 v[10:13], v24 offset:768
	s_waitcnt lgkmcnt(0)
	v_mul_f64 v[14:15], v[34:35], v[12:13]
	v_mul_f64 v[16:17], v[32:33], v[12:13]
	v_fma_f64 v[14:15], v[32:33], v[10:11], -v[14:15]
	;; [unrolled: 8-line block ×3, first 2 shown]
	v_fma_f64 v[6:7], v[16:17], v[6:7], v[8:9]
	v_mul_f64 v[8:9], v[14:15], v[12:13]
	v_add_f64 v[32:33], v[46:47], v[32:33]
	v_add_f64 v[34:35], v[6:7], v[44:45]
	v_mul_f64 v[6:7], v[16:17], v[12:13]
	v_fma_f64 v[8:9], v[16:17], v[10:11], v[8:9]
	v_fma_f64 v[6:7], v[14:15], v[10:11], -v[6:7]
	v_add_f64 v[20:21], v[8:9], v[20:21]
	v_add_f64 v[18:19], v[18:19], v[6:7]
	ds_read_b128 v[6:9], v24 offset:1024
	s_waitcnt lgkmcnt(0)
	v_mul_f64 v[10:11], v[38:39], v[8:9]
	v_mul_f64 v[12:13], v[36:37], v[8:9]
	v_fma_f64 v[10:11], v[36:37], v[6:7], -v[10:11]
	v_fma_f64 v[12:13], v[38:39], v[6:7], v[12:13]
	v_add_f64 v[44:45], v[48:49], v[10:11]
	v_add_f64 v[46:47], v[12:13], v[50:51]
	ds_read_b128 v[10:13], v24 offset:1280
	s_waitcnt lgkmcnt(0)
	v_mul_f64 v[14:15], v[38:39], v[12:13]
	v_mul_f64 v[16:17], v[36:37], v[12:13]
	v_fma_f64 v[14:15], v[36:37], v[10:11], -v[14:15]
	v_fma_f64 v[16:17], v[38:39], v[10:11], v[16:17]
	;; [unrolled: 8-line block ×3, first 2 shown]
	v_mul_f64 v[8:9], v[14:15], v[12:13]
	v_add_f64 v[32:33], v[32:33], v[36:37]
	v_add_f64 v[34:35], v[6:7], v[34:35]
	v_mul_f64 v[6:7], v[16:17], v[12:13]
	v_fma_f64 v[8:9], v[16:17], v[10:11], v[8:9]
	v_fma_f64 v[6:7], v[14:15], v[10:11], -v[6:7]
	v_add_f64 v[20:21], v[8:9], v[20:21]
	v_add_f64 v[18:19], v[18:19], v[6:7]
	ds_read_b128 v[6:9], v24 offset:1536
	s_waitcnt lgkmcnt(0)
	v_mul_f64 v[10:11], v[42:43], v[8:9]
	v_mul_f64 v[12:13], v[40:41], v[8:9]
	v_fma_f64 v[10:11], v[40:41], v[6:7], -v[10:11]
	v_fma_f64 v[12:13], v[42:43], v[6:7], v[12:13]
	v_add_f64 v[36:37], v[44:45], v[10:11]
	v_add_f64 v[38:39], v[12:13], v[46:47]
	ds_read_b128 v[10:13], v24 offset:1792
	s_waitcnt lgkmcnt(0)
	v_mul_f64 v[14:15], v[42:43], v[12:13]
	v_mul_f64 v[16:17], v[40:41], v[12:13]
	v_fma_f64 v[14:15], v[40:41], v[10:11], -v[14:15]
	v_fma_f64 v[16:17], v[42:43], v[10:11], v[16:17]
	;; [unrolled: 8-line block ×3, first 2 shown]
	v_mul_f64 v[8:9], v[14:15], v[12:13]
	v_add_f64 v[32:33], v[32:33], v[40:41]
	v_add_f64 v[34:35], v[6:7], v[34:35]
	v_mul_f64 v[6:7], v[16:17], v[12:13]
	v_fma_f64 v[8:9], v[16:17], v[10:11], v[8:9]
	v_fma_f64 v[6:7], v[14:15], v[10:11], -v[6:7]
	v_add_f64 v[20:21], v[8:9], v[20:21]
	v_add_f64 v[18:19], v[18:19], v[6:7]
	ds_read_b128 v[6:9], v25 offset:64
	ds_read_b128 v[10:13], v24 offset:2048
	s_waitcnt lgkmcnt(0)
	v_mul_f64 v[14:15], v[8:9], v[12:13]
	v_mul_f64 v[16:17], v[6:7], v[12:13]
	v_fma_f64 v[14:15], v[6:7], v[10:11], -v[14:15]
	v_fma_f64 v[16:17], v[8:9], v[10:11], v[16:17]
	v_add_f64 v[36:37], v[36:37], v[14:15]
	v_add_f64 v[38:39], v[16:17], v[38:39]
	ds_read_b128 v[14:17], v24 offset:2304
	s_waitcnt lgkmcnt(0)
	v_mul_f64 v[40:41], v[8:9], v[16:17]
	v_fma_f64 v[40:41], v[6:7], v[14:15], -v[40:41]
	v_mul_f64 v[6:7], v[6:7], v[16:17]
	v_add_f64 v[30:31], v[30:31], v[40:41]
	v_fma_f64 v[6:7], v[8:9], v[14:15], v[6:7]
	v_add_f64 v[28:29], v[6:7], v[28:29]
	ds_read_b128 v[6:9], v25 offset:2112
	s_waitcnt lgkmcnt(0)
	v_mul_f64 v[40:41], v[8:9], v[12:13]
	v_mul_f64 v[12:13], v[6:7], v[12:13]
	v_fma_f64 v[40:41], v[6:7], v[10:11], -v[40:41]
	v_fma_f64 v[10:11], v[8:9], v[10:11], v[12:13]
	v_add_f64 v[32:33], v[32:33], v[40:41]
	v_add_f64 v[34:35], v[10:11], v[34:35]
	v_mul_f64 v[10:11], v[8:9], v[16:17]
	v_fma_f64 v[10:11], v[6:7], v[14:15], -v[10:11]
	v_mul_f64 v[6:7], v[6:7], v[16:17]
	v_add_f64 v[18:19], v[18:19], v[10:11]
	v_fma_f64 v[6:7], v[8:9], v[14:15], v[6:7]
	v_add_f64 v[20:21], v[6:7], v[20:21]
	ds_read_b128 v[6:9], v25 offset:80
	ds_read_b128 v[10:13], v24 offset:2560
	s_waitcnt lgkmcnt(0)
	v_mul_f64 v[14:15], v[8:9], v[12:13]
	v_mul_f64 v[16:17], v[6:7], v[12:13]
	v_fma_f64 v[14:15], v[6:7], v[10:11], -v[14:15]
	v_fma_f64 v[16:17], v[8:9], v[10:11], v[16:17]
	v_add_f64 v[36:37], v[36:37], v[14:15]
	v_add_f64 v[38:39], v[16:17], v[38:39]
	ds_read_b128 v[14:17], v24 offset:2816
	s_waitcnt lgkmcnt(0)
	v_mul_f64 v[40:41], v[8:9], v[16:17]
	v_fma_f64 v[40:41], v[6:7], v[14:15], -v[40:41]
	v_mul_f64 v[6:7], v[6:7], v[16:17]
	v_add_f64 v[30:31], v[30:31], v[40:41]
	v_fma_f64 v[6:7], v[8:9], v[14:15], v[6:7]
	v_add_f64 v[28:29], v[6:7], v[28:29]
	ds_read_b128 v[6:9], v25 offset:2128
	s_waitcnt lgkmcnt(0)
	v_mul_f64 v[40:41], v[8:9], v[12:13]
	v_mul_f64 v[12:13], v[6:7], v[12:13]
	v_fma_f64 v[40:41], v[6:7], v[10:11], -v[40:41]
	v_fma_f64 v[10:11], v[8:9], v[10:11], v[12:13]
	v_add_f64 v[32:33], v[32:33], v[40:41]
	v_add_f64 v[34:35], v[10:11], v[34:35]
	v_mul_f64 v[10:11], v[8:9], v[16:17]
	v_fma_f64 v[10:11], v[6:7], v[14:15], -v[10:11]
	v_mul_f64 v[6:7], v[6:7], v[16:17]
	v_add_f64 v[18:19], v[18:19], v[10:11]
	v_fma_f64 v[6:7], v[8:9], v[14:15], v[6:7]
	;; [unrolled: 31-line block ×3, first 2 shown]
	v_add_f64 v[50:51], v[6:7], v[20:21]
	ds_read_b128 v[6:9], v25 offset:112
	ds_read_b128 v[10:13], v24 offset:3584
	ds_read_b128 v[28:31], v24 offset:3840
	ds_read_b128 v[32:35], v25 offset:2160
	s_waitcnt lgkmcnt(0)
	s_barrier
	v_mul_f64 v[14:15], v[8:9], v[12:13]
	v_mul_f64 v[16:17], v[6:7], v[12:13]
	v_fma_f64 v[14:15], v[6:7], v[10:11], -v[14:15]
	v_fma_f64 v[16:17], v[8:9], v[10:11], v[16:17]
	v_add_f64 v[18:19], v[36:37], v[14:15]
	v_mul_f64 v[14:15], v[8:9], v[30:31]
	v_add_f64 v[20:21], v[16:17], v[38:39]
	v_fma_f64 v[14:15], v[6:7], v[28:29], -v[14:15]
	v_mul_f64 v[6:7], v[6:7], v[30:31]
	v_fma_f64 v[8:9], v[8:9], v[28:29], v[6:7]
	v_add_f64 v[6:7], v[40:41], v[14:15]
	v_mul_f64 v[14:15], v[34:35], v[12:13]
	v_mul_f64 v[12:13], v[32:33], v[12:13]
	v_add_f64 v[8:9], v[8:9], v[42:43]
	v_fma_f64 v[14:15], v[32:33], v[10:11], -v[14:15]
	v_fma_f64 v[10:11], v[34:35], v[10:11], v[12:13]
	v_mul_f64 v[12:13], v[32:33], v[30:31]
	v_add_f64 v[14:15], v[44:45], v[14:15]
	v_add_f64 v[16:17], v[10:11], v[46:47]
	v_mul_f64 v[10:11], v[34:35], v[30:31]
	v_fma_f64 v[12:13], v[34:35], v[28:29], v[12:13]
	v_fma_f64 v[10:11], v[32:33], v[28:29], -v[10:11]
	v_add_f64 v[12:13], v[12:13], v[50:51]
	v_mov_b32_e32 v29, s9
	v_mov_b32_e32 v28, s8
	v_cmp_le_u64_e32 vcc, s[12:13], v[28:29]
	v_add_f64 v[10:11], v[48:49], v[10:11]
	s_cbranch_vccz .LBB1802_2
	s_branch .LBB1802_4
.LBB1802_3:
	v_mov_b32_e32 v18, 0
	v_mov_b32_e32 v20, 0
	;; [unrolled: 1-line block ×16, first 2 shown]
.LBB1802_4:
	v_add_u32_e32 v4, s27, v1
	v_ashrrev_i32_e32 v1, 31, v4
	v_mul_lo_u32 v3, s2, v1
	v_mul_lo_u32 v5, s3, v4
	v_mad_u64_u32 v[1:2], s[0:1], s2, v4, 0
	s_load_dword s6, s[4:5], 0x0
	v_add_u32_e32 v0, s26, v0
	v_add3_u32 v2, v2, v3, v5
	v_lshlrev_b64 v[1:2], 4, v[1:2]
	s_waitcnt lgkmcnt(0)
	v_mov_b32_e32 v3, s21
	v_add_co_u32_e64 v5, s[0:1], s20, v1
	v_addc_co_u32_e64 v22, s[0:1], v3, v2, s[0:1]
	v_cmp_gt_i32_e32 vcc, s6, v4
	v_cmp_le_i32_e64 s[0:1], v0, v4
	s_and_b64 s[0:1], vcc, s[0:1]
	s_and_saveexec_b64 s[4:5], s[0:1]
	s_cbranch_execz .LBB1802_6
; %bb.5:
	v_mul_f64 v[2:3], s[14:15], v[20:21]
	v_mul_f64 v[20:21], s[16:17], v[20:21]
	v_ashrrev_i32_e32 v1, 31, v0
	v_lshlrev_b64 v[23:24], 4, v[0:1]
	v_add_co_u32_e64 v23, s[0:1], v5, v23
	v_addc_co_u32_e64 v24, s[0:1], v22, v24, s[0:1]
	v_fma_f64 v[2:3], s[16:17], v[18:19], v[2:3]
	v_fma_f64 v[18:19], s[14:15], v[18:19], -v[20:21]
	v_cmp_ne_u32_e64 s[0:1], v4, v0
	v_cndmask_b32_e64 v21, 0, v3, s[0:1]
	v_cndmask_b32_e64 v20, 0, v2, s[0:1]
	flat_store_dwordx4 v[23:24], v[18:21]
.LBB1802_6:
	s_or_b64 exec, exec, s[4:5]
	v_add_u32_e32 v2, 16, v0
	v_cmp_le_i32_e64 s[0:1], v2, v4
	s_and_b64 s[4:5], vcc, s[0:1]
	s_and_saveexec_b64 s[0:1], s[4:5]
	s_cbranch_execz .LBB1802_8
; %bb.7:
	v_mul_f64 v[18:19], s[14:15], v[8:9]
	v_mul_f64 v[8:9], s[16:17], v[8:9]
	v_ashrrev_i32_e32 v3, 31, v2
	v_lshlrev_b64 v[20:21], 4, v[2:3]
	v_add_co_u32_e32 v20, vcc, v5, v20
	v_addc_co_u32_e32 v21, vcc, v22, v21, vcc
	v_fma_f64 v[18:19], s[16:17], v[6:7], v[18:19]
	v_fma_f64 v[6:7], s[14:15], v[6:7], -v[8:9]
	v_cmp_ne_u32_e32 vcc, v4, v2
	v_cndmask_b32_e32 v9, 0, v19, vcc
	v_cndmask_b32_e32 v8, 0, v18, vcc
	flat_store_dwordx4 v[20:21], v[6:9]
.LBB1802_8:
	s_or_b64 exec, exec, s[0:1]
	v_add_u32_e32 v3, 16, v4
	v_ashrrev_i32_e32 v1, 31, v3
	v_mul_lo_u32 v1, s2, v1
	v_mul_lo_u32 v7, s3, v3
	v_mad_u64_u32 v[5:6], s[0:1], s2, v3, 0
	v_cmp_gt_i32_e32 vcc, s6, v3
	v_add3_u32 v6, v6, v1, v7
	v_lshlrev_b64 v[5:6], 4, v[5:6]
	v_mov_b32_e32 v1, s21
	v_add_co_u32_e64 v5, s[0:1], s20, v5
	v_addc_co_u32_e64 v6, s[0:1], v1, v6, s[0:1]
	v_cmp_le_i32_e64 s[0:1], v0, v3
	s_and_b64 s[0:1], vcc, s[0:1]
	s_and_saveexec_b64 s[2:3], s[0:1]
	s_cbranch_execz .LBB1802_10
; %bb.9:
	v_mul_f64 v[7:8], s[14:15], v[16:17]
	v_mul_f64 v[16:17], s[16:17], v[16:17]
	v_ashrrev_i32_e32 v1, 31, v0
	v_lshlrev_b64 v[18:19], 4, v[0:1]
	v_add_co_u32_e64 v18, s[0:1], v5, v18
	v_addc_co_u32_e64 v19, s[0:1], v6, v19, s[0:1]
	v_fma_f64 v[7:8], s[16:17], v[14:15], v[7:8]
	v_fma_f64 v[14:15], s[14:15], v[14:15], -v[16:17]
	v_cmp_ne_u32_e64 s[0:1], v3, v0
	v_cndmask_b32_e64 v17, 0, v8, s[0:1]
	v_cndmask_b32_e64 v16, 0, v7, s[0:1]
	flat_store_dwordx4 v[18:19], v[14:17]
.LBB1802_10:
	s_or_b64 exec, exec, s[2:3]
	v_cmp_le_i32_e64 s[0:1], v2, v3
	s_and_b64 s[0:1], vcc, s[0:1]
	s_and_saveexec_b64 s[2:3], s[0:1]
	s_cbranch_execz .LBB1802_12
; %bb.11:
	v_mul_f64 v[7:8], s[14:15], v[12:13]
	v_mul_f64 v[12:13], s[16:17], v[12:13]
	v_ashrrev_i32_e32 v3, 31, v2
	v_lshlrev_b64 v[14:15], 4, v[2:3]
	v_add_co_u32_e32 v5, vcc, v5, v14
	v_addc_co_u32_e32 v6, vcc, v6, v15, vcc
	v_fma_f64 v[7:8], s[16:17], v[10:11], v[7:8]
	v_fma_f64 v[1:2], s[14:15], v[10:11], -v[12:13]
	v_cmp_ne_u32_e32 vcc, v4, v0
	v_cndmask_b32_e32 v4, 0, v8, vcc
	v_cndmask_b32_e32 v3, 0, v7, vcc
	flat_store_dwordx4 v[5:6], v[1:4]
.LBB1802_12:
	s_endpgm
	.section	.rodata,"a",@progbits
	.p2align	6, 0x0
	.amdhsa_kernel _ZL37rocblas_syrkx_herkx_restricted_kernelIl19rocblas_complex_numIdELi16ELi32ELi8ELb1ELb1ELc78ELc85EKPKS1_KPS1_EviT_T0_PT8_S7_lSA_S7_lS8_PT9_S7_li
		.amdhsa_group_segment_fixed_size 8192
		.amdhsa_private_segment_fixed_size 0
		.amdhsa_kernarg_size 124
		.amdhsa_user_sgpr_count 6
		.amdhsa_user_sgpr_private_segment_buffer 1
		.amdhsa_user_sgpr_dispatch_ptr 0
		.amdhsa_user_sgpr_queue_ptr 0
		.amdhsa_user_sgpr_kernarg_segment_ptr 1
		.amdhsa_user_sgpr_dispatch_id 0
		.amdhsa_user_sgpr_flat_scratch_init 0
		.amdhsa_user_sgpr_private_segment_size 0
		.amdhsa_uses_dynamic_stack 0
		.amdhsa_system_sgpr_private_segment_wavefront_offset 0
		.amdhsa_system_sgpr_workgroup_id_x 1
		.amdhsa_system_sgpr_workgroup_id_y 1
		.amdhsa_system_sgpr_workgroup_id_z 1
		.amdhsa_system_sgpr_workgroup_info 0
		.amdhsa_system_vgpr_workitem_id 1
		.amdhsa_next_free_vgpr 54
		.amdhsa_next_free_sgpr 61
		.amdhsa_reserve_vcc 1
		.amdhsa_reserve_flat_scratch 0
		.amdhsa_float_round_mode_32 0
		.amdhsa_float_round_mode_16_64 0
		.amdhsa_float_denorm_mode_32 3
		.amdhsa_float_denorm_mode_16_64 3
		.amdhsa_dx10_clamp 1
		.amdhsa_ieee_mode 1
		.amdhsa_fp16_overflow 0
		.amdhsa_exception_fp_ieee_invalid_op 0
		.amdhsa_exception_fp_denorm_src 0
		.amdhsa_exception_fp_ieee_div_zero 0
		.amdhsa_exception_fp_ieee_overflow 0
		.amdhsa_exception_fp_ieee_underflow 0
		.amdhsa_exception_fp_ieee_inexact 0
		.amdhsa_exception_int_div_zero 0
	.end_amdhsa_kernel
	.section	.text._ZL37rocblas_syrkx_herkx_restricted_kernelIl19rocblas_complex_numIdELi16ELi32ELi8ELb1ELb1ELc78ELc85EKPKS1_KPS1_EviT_T0_PT8_S7_lSA_S7_lS8_PT9_S7_li,"axG",@progbits,_ZL37rocblas_syrkx_herkx_restricted_kernelIl19rocblas_complex_numIdELi16ELi32ELi8ELb1ELb1ELc78ELc85EKPKS1_KPS1_EviT_T0_PT8_S7_lSA_S7_lS8_PT9_S7_li,comdat
.Lfunc_end1802:
	.size	_ZL37rocblas_syrkx_herkx_restricted_kernelIl19rocblas_complex_numIdELi16ELi32ELi8ELb1ELb1ELc78ELc85EKPKS1_KPS1_EviT_T0_PT8_S7_lSA_S7_lS8_PT9_S7_li, .Lfunc_end1802-_ZL37rocblas_syrkx_herkx_restricted_kernelIl19rocblas_complex_numIdELi16ELi32ELi8ELb1ELb1ELc78ELc85EKPKS1_KPS1_EviT_T0_PT8_S7_lSA_S7_lS8_PT9_S7_li
                                        ; -- End function
	.set _ZL37rocblas_syrkx_herkx_restricted_kernelIl19rocblas_complex_numIdELi16ELi32ELi8ELb1ELb1ELc78ELc85EKPKS1_KPS1_EviT_T0_PT8_S7_lSA_S7_lS8_PT9_S7_li.num_vgpr, 54
	.set _ZL37rocblas_syrkx_herkx_restricted_kernelIl19rocblas_complex_numIdELi16ELi32ELi8ELb1ELb1ELc78ELc85EKPKS1_KPS1_EviT_T0_PT8_S7_lSA_S7_lS8_PT9_S7_li.num_agpr, 0
	.set _ZL37rocblas_syrkx_herkx_restricted_kernelIl19rocblas_complex_numIdELi16ELi32ELi8ELb1ELb1ELc78ELc85EKPKS1_KPS1_EviT_T0_PT8_S7_lSA_S7_lS8_PT9_S7_li.numbered_sgpr, 28
	.set _ZL37rocblas_syrkx_herkx_restricted_kernelIl19rocblas_complex_numIdELi16ELi32ELi8ELb1ELb1ELc78ELc85EKPKS1_KPS1_EviT_T0_PT8_S7_lSA_S7_lS8_PT9_S7_li.num_named_barrier, 0
	.set _ZL37rocblas_syrkx_herkx_restricted_kernelIl19rocblas_complex_numIdELi16ELi32ELi8ELb1ELb1ELc78ELc85EKPKS1_KPS1_EviT_T0_PT8_S7_lSA_S7_lS8_PT9_S7_li.private_seg_size, 0
	.set _ZL37rocblas_syrkx_herkx_restricted_kernelIl19rocblas_complex_numIdELi16ELi32ELi8ELb1ELb1ELc78ELc85EKPKS1_KPS1_EviT_T0_PT8_S7_lSA_S7_lS8_PT9_S7_li.uses_vcc, 1
	.set _ZL37rocblas_syrkx_herkx_restricted_kernelIl19rocblas_complex_numIdELi16ELi32ELi8ELb1ELb1ELc78ELc85EKPKS1_KPS1_EviT_T0_PT8_S7_lSA_S7_lS8_PT9_S7_li.uses_flat_scratch, 0
	.set _ZL37rocblas_syrkx_herkx_restricted_kernelIl19rocblas_complex_numIdELi16ELi32ELi8ELb1ELb1ELc78ELc85EKPKS1_KPS1_EviT_T0_PT8_S7_lSA_S7_lS8_PT9_S7_li.has_dyn_sized_stack, 0
	.set _ZL37rocblas_syrkx_herkx_restricted_kernelIl19rocblas_complex_numIdELi16ELi32ELi8ELb1ELb1ELc78ELc85EKPKS1_KPS1_EviT_T0_PT8_S7_lSA_S7_lS8_PT9_S7_li.has_recursion, 0
	.set _ZL37rocblas_syrkx_herkx_restricted_kernelIl19rocblas_complex_numIdELi16ELi32ELi8ELb1ELb1ELc78ELc85EKPKS1_KPS1_EviT_T0_PT8_S7_lSA_S7_lS8_PT9_S7_li.has_indirect_call, 0
	.section	.AMDGPU.csdata,"",@progbits
; Kernel info:
; codeLenInByte = 3020
; TotalNumSgprs: 32
; NumVgprs: 54
; ScratchSize: 0
; MemoryBound: 0
; FloatMode: 240
; IeeeMode: 1
; LDSByteSize: 8192 bytes/workgroup (compile time only)
; SGPRBlocks: 8
; VGPRBlocks: 13
; NumSGPRsForWavesPerEU: 65
; NumVGPRsForWavesPerEU: 54
; Occupancy: 4
; WaveLimiterHint : 1
; COMPUTE_PGM_RSRC2:SCRATCH_EN: 0
; COMPUTE_PGM_RSRC2:USER_SGPR: 6
; COMPUTE_PGM_RSRC2:TRAP_HANDLER: 0
; COMPUTE_PGM_RSRC2:TGID_X_EN: 1
; COMPUTE_PGM_RSRC2:TGID_Y_EN: 1
; COMPUTE_PGM_RSRC2:TGID_Z_EN: 1
; COMPUTE_PGM_RSRC2:TIDIG_COMP_CNT: 1
	.section	.text._ZL37rocblas_syrkx_herkx_restricted_kernelIl19rocblas_complex_numIdELi16ELi32ELi8ELb0ELb1ELc84ELc76EKPKS1_KPS1_EviT_T0_PT8_S7_lSA_S7_lS8_PT9_S7_li,"axG",@progbits,_ZL37rocblas_syrkx_herkx_restricted_kernelIl19rocblas_complex_numIdELi16ELi32ELi8ELb0ELb1ELc84ELc76EKPKS1_KPS1_EviT_T0_PT8_S7_lSA_S7_lS8_PT9_S7_li,comdat
	.globl	_ZL37rocblas_syrkx_herkx_restricted_kernelIl19rocblas_complex_numIdELi16ELi32ELi8ELb0ELb1ELc84ELc76EKPKS1_KPS1_EviT_T0_PT8_S7_lSA_S7_lS8_PT9_S7_li ; -- Begin function _ZL37rocblas_syrkx_herkx_restricted_kernelIl19rocblas_complex_numIdELi16ELi32ELi8ELb0ELb1ELc84ELc76EKPKS1_KPS1_EviT_T0_PT8_S7_lSA_S7_lS8_PT9_S7_li
	.p2align	8
	.type	_ZL37rocblas_syrkx_herkx_restricted_kernelIl19rocblas_complex_numIdELi16ELi32ELi8ELb0ELb1ELc84ELc76EKPKS1_KPS1_EviT_T0_PT8_S7_lSA_S7_lS8_PT9_S7_li,@function
_ZL37rocblas_syrkx_herkx_restricted_kernelIl19rocblas_complex_numIdELi16ELi32ELi8ELb0ELb1ELc84ELc76EKPKS1_KPS1_EviT_T0_PT8_S7_lSA_S7_lS8_PT9_S7_li: ; @_ZL37rocblas_syrkx_herkx_restricted_kernelIl19rocblas_complex_numIdELi16ELi32ELi8ELb0ELb1ELc84ELc76EKPKS1_KPS1_EviT_T0_PT8_S7_lSA_S7_lS8_PT9_S7_li
; %bb.0:
	s_load_dwordx8 s[12:19], s[4:5], 0x50
	s_load_dwordx8 s[20:27], s[4:5], 0x8
	s_load_dwordx2 s[0:1], s[4:5], 0x28
	s_mov_b32 s9, 0
	s_lshl_b64 s[2:3], s[8:9], 3
	s_waitcnt lgkmcnt(0)
	s_add_u32 s8, s16, s2
	s_addc_u32 s9, s17, s3
	s_load_dwordx2 s[8:9], s[8:9], 0x0
	v_cmp_lt_i64_e64 s[10:11], s[20:21], 1
	s_lshl_b32 s6, s6, 5
	s_lshl_b32 s7, s7, 5
	s_and_b64 vcc, exec, s[10:11]
	s_cbranch_vccnz .LBB1803_3
; %bb.1:
	s_load_dwordx4 s[28:31], s[4:5], 0x38
	v_lshl_add_u32 v7, v1, 4, v0
	v_lshrrev_b32_e32 v8, 3, v7
	v_add_u32_e32 v4, s7, v8
	v_and_b32_e32 v2, 7, v0
	v_ashrrev_i32_e32 v5, 31, v4
	v_mov_b32_e32 v3, 0
	s_waitcnt lgkmcnt(0)
	v_mul_lo_u32 v9, s30, v5
	v_mul_lo_u32 v10, s31, v4
	v_mad_u64_u32 v[4:5], s[16:17], s30, v4, v[2:3]
	v_and_b32_e32 v11, 31, v7
	v_lshlrev_b32_e32 v2, 4, v2
	v_lshl_or_b32 v2, v8, 7, v2
	v_add_u32_e32 v8, s6, v11
	v_lshrrev_b32_e32 v6, 5, v7
	v_mov_b32_e32 v7, v3
	v_lshlrev_b32_e32 v3, 4, v11
	v_add_u32_e32 v23, 0x1000, v2
	v_ashrrev_i32_e32 v2, 31, v8
	s_add_u32 s10, s26, s2
	v_add3_u32 v5, v10, v5, v9
	v_lshl_or_b32 v22, v6, 9, v3
	v_mul_lo_u32 v9, s0, v2
	v_mad_u64_u32 v[2:3], s[16:17], s0, v8, v[6:7]
	v_mul_lo_u32 v6, s1, v8
	s_addc_u32 s11, s27, s3
	s_load_dwordx2 s[10:11], s[10:11], 0x0
	s_add_u32 s2, s28, s2
	s_addc_u32 s3, s29, s3
	s_load_dwordx2 s[2:3], s[2:3], 0x0
	v_add3_u32 v3, v6, v3, v9
	v_lshlrev_b64 v[2:3], 4, v[2:3]
	s_waitcnt lgkmcnt(0)
	v_mov_b32_e32 v6, s11
	v_add_co_u32_e32 v2, vcc, s10, v2
	v_lshlrev_b64 v[4:5], 4, v[4:5]
	v_addc_co_u32_e32 v3, vcc, v6, v3, vcc
	v_mov_b32_e32 v7, 0x1000
	v_mov_b32_e32 v6, s3
	v_add_co_u32_e32 v4, vcc, s2, v4
	v_lshl_add_u32 v25, v1, 7, v7
	v_addc_co_u32_e32 v5, vcc, v6, v5, vcc
	v_mov_b32_e32 v6, 0
	v_mov_b32_e32 v8, 0
	;; [unrolled: 1-line block ×8, first 2 shown]
	v_lshlrev_b32_e32 v24, 4, v0
	v_mov_b32_e32 v7, 0
	v_mov_b32_e32 v9, 0
	;; [unrolled: 1-line block ×8, first 2 shown]
	s_mov_b64 s[0:1], 0
.LBB1803_2:                             ; =>This Inner Loop Header: Depth=1
	flat_load_dwordx4 v[26:29], v[2:3]
	s_add_u32 s0, s0, 8
	v_add_co_u32_e32 v2, vcc, 0x80, v2
	s_addc_u32 s1, s1, 0
	v_addc_co_u32_e32 v3, vcc, 0, v3, vcc
	s_waitcnt vmcnt(0) lgkmcnt(0)
	ds_write_b128 v22, v[26:29]
	flat_load_dwordx4 v[26:29], v[4:5]
	v_add_co_u32_e32 v4, vcc, 0x80, v4
	v_addc_co_u32_e32 v5, vcc, 0, v5, vcc
	s_waitcnt vmcnt(0) lgkmcnt(0)
	ds_write_b128 v23, v[26:29]
	s_waitcnt lgkmcnt(0)
	s_barrier
	ds_read_b128 v[26:29], v25
	ds_read_b128 v[30:33], v25 offset:16
	ds_read_b128 v[34:37], v25 offset:32
	;; [unrolled: 1-line block ×3, first 2 shown]
	ds_read_b128 v[42:45], v24
	s_waitcnt lgkmcnt(0)
	v_mul_f64 v[46:47], v[28:29], v[44:45]
	v_mul_f64 v[48:49], v[26:27], v[44:45]
	v_fma_f64 v[46:47], v[26:27], v[42:43], -v[46:47]
	v_fma_f64 v[48:49], v[28:29], v[42:43], v[48:49]
	v_add_f64 v[46:47], v[18:19], v[46:47]
	v_add_f64 v[48:49], v[48:49], v[20:21]
	ds_read_b128 v[18:21], v24 offset:256
	s_waitcnt lgkmcnt(0)
	v_mul_f64 v[50:51], v[28:29], v[20:21]
	v_fma_f64 v[50:51], v[26:27], v[18:19], -v[50:51]
	v_mul_f64 v[26:27], v[26:27], v[20:21]
	v_fma_f64 v[26:27], v[28:29], v[18:19], v[26:27]
	v_add_f64 v[28:29], v[10:11], v[50:51]
	v_add_f64 v[26:27], v[26:27], v[12:13]
	ds_read_b128 v[10:13], v25 offset:2048
	s_waitcnt lgkmcnt(0)
	v_mul_f64 v[50:51], v[12:13], v[44:45]
	v_mul_f64 v[44:45], v[10:11], v[44:45]
	v_fma_f64 v[50:51], v[10:11], v[42:43], -v[50:51]
	v_fma_f64 v[42:43], v[12:13], v[42:43], v[44:45]
	v_add_f64 v[44:45], v[14:15], v[50:51]
	v_mul_f64 v[14:15], v[12:13], v[20:21]
	v_add_f64 v[42:43], v[42:43], v[16:17]
	v_fma_f64 v[14:15], v[10:11], v[18:19], -v[14:15]
	v_mul_f64 v[10:11], v[10:11], v[20:21]
	v_fma_f64 v[10:11], v[12:13], v[18:19], v[10:11]
	v_add_f64 v[18:19], v[8:9], v[14:15]
	v_add_f64 v[20:21], v[10:11], v[6:7]
	ds_read_b128 v[6:9], v24 offset:512
	s_waitcnt lgkmcnt(0)
	v_mul_f64 v[10:11], v[32:33], v[8:9]
	v_mul_f64 v[12:13], v[30:31], v[8:9]
	v_fma_f64 v[10:11], v[30:31], v[6:7], -v[10:11]
	v_fma_f64 v[12:13], v[32:33], v[6:7], v[12:13]
	v_add_f64 v[46:47], v[46:47], v[10:11]
	v_add_f64 v[48:49], v[12:13], v[48:49]
	ds_read_b128 v[10:13], v24 offset:768
	s_waitcnt lgkmcnt(0)
	v_mul_f64 v[14:15], v[32:33], v[12:13]
	v_mul_f64 v[16:17], v[30:31], v[12:13]
	v_fma_f64 v[14:15], v[30:31], v[10:11], -v[14:15]
	;; [unrolled: 8-line block ×3, first 2 shown]
	v_fma_f64 v[6:7], v[16:17], v[6:7], v[8:9]
	v_mul_f64 v[8:9], v[14:15], v[12:13]
	v_add_f64 v[30:31], v[44:45], v[30:31]
	v_add_f64 v[32:33], v[6:7], v[42:43]
	v_mul_f64 v[6:7], v[16:17], v[12:13]
	v_fma_f64 v[8:9], v[16:17], v[10:11], v[8:9]
	v_fma_f64 v[6:7], v[14:15], v[10:11], -v[6:7]
	v_add_f64 v[20:21], v[8:9], v[20:21]
	v_add_f64 v[18:19], v[18:19], v[6:7]
	ds_read_b128 v[6:9], v24 offset:1024
	s_waitcnt lgkmcnt(0)
	v_mul_f64 v[10:11], v[36:37], v[8:9]
	v_mul_f64 v[12:13], v[34:35], v[8:9]
	v_fma_f64 v[10:11], v[34:35], v[6:7], -v[10:11]
	v_fma_f64 v[12:13], v[36:37], v[6:7], v[12:13]
	v_add_f64 v[42:43], v[46:47], v[10:11]
	v_add_f64 v[44:45], v[12:13], v[48:49]
	ds_read_b128 v[10:13], v24 offset:1280
	s_waitcnt lgkmcnt(0)
	v_mul_f64 v[14:15], v[36:37], v[12:13]
	v_mul_f64 v[16:17], v[34:35], v[12:13]
	v_fma_f64 v[14:15], v[34:35], v[10:11], -v[14:15]
	v_fma_f64 v[16:17], v[36:37], v[10:11], v[16:17]
	v_add_f64 v[28:29], v[28:29], v[14:15]
	v_add_f64 v[26:27], v[16:17], v[26:27]
	ds_read_b128 v[14:17], v25 offset:2080
	s_waitcnt lgkmcnt(0)
	v_mul_f64 v[34:35], v[16:17], v[8:9]
	v_mul_f64 v[8:9], v[14:15], v[8:9]
	v_fma_f64 v[34:35], v[14:15], v[6:7], -v[34:35]
	v_fma_f64 v[6:7], v[16:17], v[6:7], v[8:9]
	v_mul_f64 v[8:9], v[14:15], v[12:13]
	v_add_f64 v[30:31], v[30:31], v[34:35]
	v_add_f64 v[32:33], v[6:7], v[32:33]
	v_mul_f64 v[6:7], v[16:17], v[12:13]
	v_fma_f64 v[8:9], v[16:17], v[10:11], v[8:9]
	v_fma_f64 v[6:7], v[14:15], v[10:11], -v[6:7]
	v_add_f64 v[20:21], v[8:9], v[20:21]
	v_add_f64 v[18:19], v[18:19], v[6:7]
	ds_read_b128 v[6:9], v24 offset:1536
	s_waitcnt lgkmcnt(0)
	v_mul_f64 v[10:11], v[40:41], v[8:9]
	v_mul_f64 v[12:13], v[38:39], v[8:9]
	v_fma_f64 v[10:11], v[38:39], v[6:7], -v[10:11]
	v_fma_f64 v[12:13], v[40:41], v[6:7], v[12:13]
	v_add_f64 v[34:35], v[42:43], v[10:11]
	v_add_f64 v[36:37], v[12:13], v[44:45]
	ds_read_b128 v[10:13], v24 offset:1792
	s_waitcnt lgkmcnt(0)
	v_mul_f64 v[14:15], v[40:41], v[12:13]
	v_mul_f64 v[16:17], v[38:39], v[12:13]
	v_fma_f64 v[14:15], v[38:39], v[10:11], -v[14:15]
	v_fma_f64 v[16:17], v[40:41], v[10:11], v[16:17]
	;; [unrolled: 8-line block ×3, first 2 shown]
	v_mul_f64 v[8:9], v[14:15], v[12:13]
	v_add_f64 v[30:31], v[30:31], v[38:39]
	v_add_f64 v[32:33], v[6:7], v[32:33]
	v_mul_f64 v[6:7], v[16:17], v[12:13]
	v_fma_f64 v[8:9], v[16:17], v[10:11], v[8:9]
	v_fma_f64 v[6:7], v[14:15], v[10:11], -v[6:7]
	v_add_f64 v[20:21], v[8:9], v[20:21]
	v_add_f64 v[18:19], v[18:19], v[6:7]
	ds_read_b128 v[6:9], v25 offset:64
	ds_read_b128 v[10:13], v24 offset:2048
	s_waitcnt lgkmcnt(0)
	v_mul_f64 v[14:15], v[8:9], v[12:13]
	v_mul_f64 v[16:17], v[6:7], v[12:13]
	v_fma_f64 v[14:15], v[6:7], v[10:11], -v[14:15]
	v_fma_f64 v[16:17], v[8:9], v[10:11], v[16:17]
	v_add_f64 v[34:35], v[34:35], v[14:15]
	v_add_f64 v[36:37], v[16:17], v[36:37]
	ds_read_b128 v[14:17], v24 offset:2304
	s_waitcnt lgkmcnt(0)
	v_mul_f64 v[38:39], v[8:9], v[16:17]
	v_fma_f64 v[38:39], v[6:7], v[14:15], -v[38:39]
	v_mul_f64 v[6:7], v[6:7], v[16:17]
	v_add_f64 v[28:29], v[28:29], v[38:39]
	v_fma_f64 v[6:7], v[8:9], v[14:15], v[6:7]
	v_add_f64 v[26:27], v[6:7], v[26:27]
	ds_read_b128 v[6:9], v25 offset:2112
	s_waitcnt lgkmcnt(0)
	v_mul_f64 v[38:39], v[8:9], v[12:13]
	v_mul_f64 v[12:13], v[6:7], v[12:13]
	v_fma_f64 v[38:39], v[6:7], v[10:11], -v[38:39]
	v_fma_f64 v[10:11], v[8:9], v[10:11], v[12:13]
	v_add_f64 v[30:31], v[30:31], v[38:39]
	v_add_f64 v[32:33], v[10:11], v[32:33]
	v_mul_f64 v[10:11], v[8:9], v[16:17]
	v_fma_f64 v[10:11], v[6:7], v[14:15], -v[10:11]
	v_mul_f64 v[6:7], v[6:7], v[16:17]
	v_add_f64 v[18:19], v[18:19], v[10:11]
	v_fma_f64 v[6:7], v[8:9], v[14:15], v[6:7]
	v_add_f64 v[20:21], v[6:7], v[20:21]
	ds_read_b128 v[6:9], v25 offset:80
	ds_read_b128 v[10:13], v24 offset:2560
	s_waitcnt lgkmcnt(0)
	v_mul_f64 v[14:15], v[8:9], v[12:13]
	v_mul_f64 v[16:17], v[6:7], v[12:13]
	v_fma_f64 v[14:15], v[6:7], v[10:11], -v[14:15]
	v_fma_f64 v[16:17], v[8:9], v[10:11], v[16:17]
	v_add_f64 v[34:35], v[34:35], v[14:15]
	v_add_f64 v[36:37], v[16:17], v[36:37]
	ds_read_b128 v[14:17], v24 offset:2816
	s_waitcnt lgkmcnt(0)
	v_mul_f64 v[38:39], v[8:9], v[16:17]
	v_fma_f64 v[38:39], v[6:7], v[14:15], -v[38:39]
	v_mul_f64 v[6:7], v[6:7], v[16:17]
	v_add_f64 v[28:29], v[28:29], v[38:39]
	v_fma_f64 v[6:7], v[8:9], v[14:15], v[6:7]
	v_add_f64 v[26:27], v[6:7], v[26:27]
	ds_read_b128 v[6:9], v25 offset:2128
	s_waitcnt lgkmcnt(0)
	v_mul_f64 v[38:39], v[8:9], v[12:13]
	v_mul_f64 v[12:13], v[6:7], v[12:13]
	v_fma_f64 v[38:39], v[6:7], v[10:11], -v[38:39]
	v_fma_f64 v[10:11], v[8:9], v[10:11], v[12:13]
	v_add_f64 v[30:31], v[30:31], v[38:39]
	v_add_f64 v[32:33], v[10:11], v[32:33]
	v_mul_f64 v[10:11], v[8:9], v[16:17]
	v_fma_f64 v[10:11], v[6:7], v[14:15], -v[10:11]
	v_mul_f64 v[6:7], v[6:7], v[16:17]
	v_add_f64 v[18:19], v[18:19], v[10:11]
	v_fma_f64 v[6:7], v[8:9], v[14:15], v[6:7]
	;; [unrolled: 31-line block ×3, first 2 shown]
	v_add_f64 v[44:45], v[6:7], v[20:21]
	ds_read_b128 v[6:9], v25 offset:112
	ds_read_b128 v[14:17], v24 offset:3584
	;; [unrolled: 1-line block ×3, first 2 shown]
	s_waitcnt lgkmcnt(1)
	v_mul_f64 v[10:11], v[8:9], v[16:17]
	v_mul_f64 v[12:13], v[6:7], v[16:17]
	v_fma_f64 v[10:11], v[6:7], v[14:15], -v[10:11]
	v_fma_f64 v[12:13], v[8:9], v[14:15], v[12:13]
	v_add_f64 v[18:19], v[34:35], v[10:11]
	s_waitcnt lgkmcnt(0)
	v_mul_f64 v[10:11], v[8:9], v[28:29]
	v_add_f64 v[20:21], v[12:13], v[36:37]
	v_fma_f64 v[10:11], v[6:7], v[26:27], -v[10:11]
	v_mul_f64 v[6:7], v[6:7], v[28:29]
	v_add_f64 v[10:11], v[38:39], v[10:11]
	v_fma_f64 v[6:7], v[8:9], v[26:27], v[6:7]
	v_add_f64 v[12:13], v[6:7], v[40:41]
	ds_read_b128 v[6:9], v25 offset:2160
	s_waitcnt lgkmcnt(0)
	s_barrier
	v_mul_f64 v[34:35], v[8:9], v[16:17]
	v_mul_f64 v[16:17], v[6:7], v[16:17]
	v_fma_f64 v[34:35], v[6:7], v[14:15], -v[34:35]
	v_fma_f64 v[16:17], v[8:9], v[14:15], v[16:17]
	v_add_f64 v[14:15], v[30:31], v[34:35]
	v_mul_f64 v[30:31], v[8:9], v[28:29]
	v_add_f64 v[16:17], v[16:17], v[32:33]
	v_fma_f64 v[30:31], v[6:7], v[26:27], -v[30:31]
	v_mul_f64 v[6:7], v[6:7], v[28:29]
	v_fma_f64 v[6:7], v[8:9], v[26:27], v[6:7]
	v_add_f64 v[8:9], v[42:43], v[30:31]
	v_mov_b32_e32 v27, s1
	v_mov_b32_e32 v26, s0
	v_cmp_le_u64_e32 vcc, s[20:21], v[26:27]
	v_add_f64 v[6:7], v[6:7], v[44:45]
	s_cbranch_vccz .LBB1803_2
	s_branch .LBB1803_4
.LBB1803_3:
	v_mov_b32_e32 v18, 0
	v_mov_b32_e32 v20, 0
	;; [unrolled: 1-line block ×16, first 2 shown]
.LBB1803_4:
	v_add_u32_e32 v4, s7, v1
	v_ashrrev_i32_e32 v1, 31, v4
	v_mul_lo_u32 v3, s18, v1
	v_mul_lo_u32 v5, s19, v4
	v_mad_u64_u32 v[1:2], s[0:1], s18, v4, 0
	s_load_dword s4, s[4:5], 0x0
	v_add_u32_e32 v0, s6, v0
	v_add3_u32 v2, v2, v3, v5
	v_lshlrev_b64 v[1:2], 4, v[1:2]
	s_waitcnt lgkmcnt(0)
	v_mov_b32_e32 v3, s9
	v_add_co_u32_e32 v5, vcc, s8, v1
	v_addc_co_u32_e32 v22, vcc, v3, v2, vcc
	v_cmp_le_i32_e64 s[0:1], v4, v0
	v_cmp_gt_i32_e32 vcc, s4, v0
	s_and_b64 s[0:1], s[0:1], vcc
	s_and_saveexec_b64 s[2:3], s[0:1]
	s_cbranch_execz .LBB1803_6
; %bb.5:
	v_ashrrev_i32_e32 v1, 31, v0
	v_lshlrev_b64 v[1:2], 4, v[0:1]
	v_mul_f64 v[27:28], s[22:23], v[20:21]
	v_add_co_u32_e64 v1, s[0:1], v5, v1
	v_addc_co_u32_e64 v2, s[0:1], v22, v2, s[0:1]
	flat_load_dwordx4 v[23:26], v[1:2]
	v_mul_f64 v[20:21], s[24:25], v[20:21]
	v_cmp_ne_u32_e64 s[0:1], v4, v0
	v_fma_f64 v[27:28], s[24:25], v[18:19], v[27:28]
	v_fma_f64 v[18:19], s[22:23], v[18:19], -v[20:21]
	s_waitcnt vmcnt(0) lgkmcnt(0)
	v_mul_f64 v[29:30], s[12:13], v[25:26]
	v_mul_f64 v[25:26], s[14:15], v[25:26]
	v_fma_f64 v[29:30], s[14:15], v[23:24], v[29:30]
	v_fma_f64 v[20:21], s[12:13], v[23:24], -v[25:26]
	v_add_f64 v[23:24], v[27:28], v[29:30]
	v_add_f64 v[18:19], v[18:19], v[20:21]
	v_cndmask_b32_e64 v21, 0, v24, s[0:1]
	v_cndmask_b32_e64 v20, 0, v23, s[0:1]
	flat_store_dwordx4 v[1:2], v[18:21]
.LBB1803_6:
	s_or_b64 exec, exec, s[2:3]
	v_add_u32_e32 v2, 16, v0
	v_cmp_le_i32_e64 s[2:3], v4, v2
	v_cmp_gt_i32_e64 s[0:1], s4, v2
	s_and_b64 s[2:3], s[2:3], s[0:1]
	s_and_saveexec_b64 s[4:5], s[2:3]
	s_cbranch_execz .LBB1803_8
; %bb.7:
	v_ashrrev_i32_e32 v3, 31, v2
	v_lshlrev_b64 v[18:19], 4, v[2:3]
	v_mul_f64 v[25:26], s[22:23], v[12:13]
	v_add_co_u32_e64 v23, s[2:3], v5, v18
	v_addc_co_u32_e64 v24, s[2:3], v22, v19, s[2:3]
	flat_load_dwordx4 v[18:21], v[23:24]
	v_mul_f64 v[12:13], s[24:25], v[12:13]
	v_cmp_ne_u32_e64 s[2:3], v4, v2
	v_fma_f64 v[25:26], s[24:25], v[10:11], v[25:26]
	v_fma_f64 v[10:11], s[22:23], v[10:11], -v[12:13]
	s_waitcnt vmcnt(0) lgkmcnt(0)
	v_mul_f64 v[27:28], s[12:13], v[20:21]
	v_mul_f64 v[20:21], s[14:15], v[20:21]
	v_fma_f64 v[27:28], s[14:15], v[18:19], v[27:28]
	v_fma_f64 v[12:13], s[12:13], v[18:19], -v[20:21]
	v_add_f64 v[18:19], v[25:26], v[27:28]
	v_add_f64 v[10:11], v[10:11], v[12:13]
	v_cndmask_b32_e64 v13, 0, v19, s[2:3]
	v_cndmask_b32_e64 v12, 0, v18, s[2:3]
	flat_store_dwordx4 v[23:24], v[10:13]
.LBB1803_8:
	s_or_b64 exec, exec, s[4:5]
	v_add_u32_e32 v3, 16, v4
	v_ashrrev_i32_e32 v1, 31, v3
	v_mul_lo_u32 v5, s19, v3
	v_mad_u64_u32 v[10:11], s[2:3], s18, v3, 0
	v_mul_lo_u32 v1, s18, v1
	v_add3_u32 v11, v11, v1, v5
	v_lshlrev_b64 v[10:11], 4, v[10:11]
	v_mov_b32_e32 v1, s9
	v_add_co_u32_e64 v5, s[2:3], s8, v10
	v_addc_co_u32_e64 v10, s[2:3], v1, v11, s[2:3]
	v_cmp_le_i32_e64 s[2:3], v3, v0
	s_and_b64 s[4:5], s[2:3], vcc
	s_and_saveexec_b64 s[2:3], s[4:5]
	s_cbranch_execz .LBB1803_10
; %bb.9:
	v_ashrrev_i32_e32 v1, 31, v0
	v_lshlrev_b64 v[11:12], 4, v[0:1]
	v_add_co_u32_e32 v22, vcc, v5, v11
	v_addc_co_u32_e32 v23, vcc, v10, v12, vcc
	flat_load_dwordx4 v[18:21], v[22:23]
	v_mul_f64 v[11:12], s[22:23], v[16:17]
	v_mul_f64 v[16:17], s[24:25], v[16:17]
	v_cmp_ne_u32_e32 vcc, v3, v0
	v_fma_f64 v[11:12], s[24:25], v[14:15], v[11:12]
	v_fma_f64 v[13:14], s[22:23], v[14:15], -v[16:17]
	s_waitcnt vmcnt(0) lgkmcnt(0)
	v_mul_f64 v[24:25], s[12:13], v[20:21]
	v_mul_f64 v[20:21], s[14:15], v[20:21]
	v_fma_f64 v[24:25], s[14:15], v[18:19], v[24:25]
	v_fma_f64 v[15:16], s[12:13], v[18:19], -v[20:21]
	v_add_f64 v[17:18], v[11:12], v[24:25]
	v_add_f64 v[11:12], v[13:14], v[15:16]
	v_cndmask_b32_e32 v14, 0, v18, vcc
	v_cndmask_b32_e32 v13, 0, v17, vcc
	flat_store_dwordx4 v[22:23], v[11:14]
.LBB1803_10:
	s_or_b64 exec, exec, s[2:3]
	v_cmp_le_i32_e32 vcc, v3, v2
	s_and_b64 s[0:1], vcc, s[0:1]
	s_and_saveexec_b64 s[2:3], s[0:1]
	s_cbranch_execz .LBB1803_12
; %bb.11:
	v_ashrrev_i32_e32 v3, 31, v2
	v_lshlrev_b64 v[1:2], 4, v[2:3]
	v_add_co_u32_e32 v14, vcc, v5, v1
	v_addc_co_u32_e32 v15, vcc, v10, v2, vcc
	flat_load_dwordx4 v[10:13], v[14:15]
	v_mul_f64 v[1:2], s[22:23], v[6:7]
	v_mul_f64 v[5:6], s[24:25], v[6:7]
	v_cmp_ne_u32_e32 vcc, v4, v0
	v_fma_f64 v[1:2], s[24:25], v[8:9], v[1:2]
	v_fma_f64 v[5:6], s[22:23], v[8:9], -v[5:6]
	s_waitcnt vmcnt(0) lgkmcnt(0)
	v_mul_f64 v[16:17], s[12:13], v[12:13]
	v_mul_f64 v[12:13], s[14:15], v[12:13]
	v_fma_f64 v[16:17], s[14:15], v[10:11], v[16:17]
	v_fma_f64 v[7:8], s[12:13], v[10:11], -v[12:13]
	v_add_f64 v[9:10], v[1:2], v[16:17]
	v_add_f64 v[1:2], v[5:6], v[7:8]
	v_cndmask_b32_e32 v4, 0, v10, vcc
	v_cndmask_b32_e32 v3, 0, v9, vcc
	flat_store_dwordx4 v[14:15], v[1:4]
.LBB1803_12:
	s_endpgm
	.section	.rodata,"a",@progbits
	.p2align	6, 0x0
	.amdhsa_kernel _ZL37rocblas_syrkx_herkx_restricted_kernelIl19rocblas_complex_numIdELi16ELi32ELi8ELb0ELb1ELc84ELc76EKPKS1_KPS1_EviT_T0_PT8_S7_lSA_S7_lS8_PT9_S7_li
		.amdhsa_group_segment_fixed_size 8192
		.amdhsa_private_segment_fixed_size 0
		.amdhsa_kernarg_size 124
		.amdhsa_user_sgpr_count 6
		.amdhsa_user_sgpr_private_segment_buffer 1
		.amdhsa_user_sgpr_dispatch_ptr 0
		.amdhsa_user_sgpr_queue_ptr 0
		.amdhsa_user_sgpr_kernarg_segment_ptr 1
		.amdhsa_user_sgpr_dispatch_id 0
		.amdhsa_user_sgpr_flat_scratch_init 0
		.amdhsa_user_sgpr_private_segment_size 0
		.amdhsa_uses_dynamic_stack 0
		.amdhsa_system_sgpr_private_segment_wavefront_offset 0
		.amdhsa_system_sgpr_workgroup_id_x 1
		.amdhsa_system_sgpr_workgroup_id_y 1
		.amdhsa_system_sgpr_workgroup_id_z 1
		.amdhsa_system_sgpr_workgroup_info 0
		.amdhsa_system_vgpr_workitem_id 1
		.amdhsa_next_free_vgpr 52
		.amdhsa_next_free_sgpr 61
		.amdhsa_reserve_vcc 1
		.amdhsa_reserve_flat_scratch 0
		.amdhsa_float_round_mode_32 0
		.amdhsa_float_round_mode_16_64 0
		.amdhsa_float_denorm_mode_32 3
		.amdhsa_float_denorm_mode_16_64 3
		.amdhsa_dx10_clamp 1
		.amdhsa_ieee_mode 1
		.amdhsa_fp16_overflow 0
		.amdhsa_exception_fp_ieee_invalid_op 0
		.amdhsa_exception_fp_denorm_src 0
		.amdhsa_exception_fp_ieee_div_zero 0
		.amdhsa_exception_fp_ieee_overflow 0
		.amdhsa_exception_fp_ieee_underflow 0
		.amdhsa_exception_fp_ieee_inexact 0
		.amdhsa_exception_int_div_zero 0
	.end_amdhsa_kernel
	.section	.text._ZL37rocblas_syrkx_herkx_restricted_kernelIl19rocblas_complex_numIdELi16ELi32ELi8ELb0ELb1ELc84ELc76EKPKS1_KPS1_EviT_T0_PT8_S7_lSA_S7_lS8_PT9_S7_li,"axG",@progbits,_ZL37rocblas_syrkx_herkx_restricted_kernelIl19rocblas_complex_numIdELi16ELi32ELi8ELb0ELb1ELc84ELc76EKPKS1_KPS1_EviT_T0_PT8_S7_lSA_S7_lS8_PT9_S7_li,comdat
.Lfunc_end1803:
	.size	_ZL37rocblas_syrkx_herkx_restricted_kernelIl19rocblas_complex_numIdELi16ELi32ELi8ELb0ELb1ELc84ELc76EKPKS1_KPS1_EviT_T0_PT8_S7_lSA_S7_lS8_PT9_S7_li, .Lfunc_end1803-_ZL37rocblas_syrkx_herkx_restricted_kernelIl19rocblas_complex_numIdELi16ELi32ELi8ELb0ELb1ELc84ELc76EKPKS1_KPS1_EviT_T0_PT8_S7_lSA_S7_lS8_PT9_S7_li
                                        ; -- End function
	.set _ZL37rocblas_syrkx_herkx_restricted_kernelIl19rocblas_complex_numIdELi16ELi32ELi8ELb0ELb1ELc84ELc76EKPKS1_KPS1_EviT_T0_PT8_S7_lSA_S7_lS8_PT9_S7_li.num_vgpr, 52
	.set _ZL37rocblas_syrkx_herkx_restricted_kernelIl19rocblas_complex_numIdELi16ELi32ELi8ELb0ELb1ELc84ELc76EKPKS1_KPS1_EviT_T0_PT8_S7_lSA_S7_lS8_PT9_S7_li.num_agpr, 0
	.set _ZL37rocblas_syrkx_herkx_restricted_kernelIl19rocblas_complex_numIdELi16ELi32ELi8ELb0ELb1ELc84ELc76EKPKS1_KPS1_EviT_T0_PT8_S7_lSA_S7_lS8_PT9_S7_li.numbered_sgpr, 32
	.set _ZL37rocblas_syrkx_herkx_restricted_kernelIl19rocblas_complex_numIdELi16ELi32ELi8ELb0ELb1ELc84ELc76EKPKS1_KPS1_EviT_T0_PT8_S7_lSA_S7_lS8_PT9_S7_li.num_named_barrier, 0
	.set _ZL37rocblas_syrkx_herkx_restricted_kernelIl19rocblas_complex_numIdELi16ELi32ELi8ELb0ELb1ELc84ELc76EKPKS1_KPS1_EviT_T0_PT8_S7_lSA_S7_lS8_PT9_S7_li.private_seg_size, 0
	.set _ZL37rocblas_syrkx_herkx_restricted_kernelIl19rocblas_complex_numIdELi16ELi32ELi8ELb0ELb1ELc84ELc76EKPKS1_KPS1_EviT_T0_PT8_S7_lSA_S7_lS8_PT9_S7_li.uses_vcc, 1
	.set _ZL37rocblas_syrkx_herkx_restricted_kernelIl19rocblas_complex_numIdELi16ELi32ELi8ELb0ELb1ELc84ELc76EKPKS1_KPS1_EviT_T0_PT8_S7_lSA_S7_lS8_PT9_S7_li.uses_flat_scratch, 0
	.set _ZL37rocblas_syrkx_herkx_restricted_kernelIl19rocblas_complex_numIdELi16ELi32ELi8ELb0ELb1ELc84ELc76EKPKS1_KPS1_EviT_T0_PT8_S7_lSA_S7_lS8_PT9_S7_li.has_dyn_sized_stack, 0
	.set _ZL37rocblas_syrkx_herkx_restricted_kernelIl19rocblas_complex_numIdELi16ELi32ELi8ELb0ELb1ELc84ELc76EKPKS1_KPS1_EviT_T0_PT8_S7_lSA_S7_lS8_PT9_S7_li.has_recursion, 0
	.set _ZL37rocblas_syrkx_herkx_restricted_kernelIl19rocblas_complex_numIdELi16ELi32ELi8ELb0ELb1ELc84ELc76EKPKS1_KPS1_EviT_T0_PT8_S7_lSA_S7_lS8_PT9_S7_li.has_indirect_call, 0
	.section	.AMDGPU.csdata,"",@progbits
; Kernel info:
; codeLenInByte = 3272
; TotalNumSgprs: 36
; NumVgprs: 52
; ScratchSize: 0
; MemoryBound: 0
; FloatMode: 240
; IeeeMode: 1
; LDSByteSize: 8192 bytes/workgroup (compile time only)
; SGPRBlocks: 8
; VGPRBlocks: 12
; NumSGPRsForWavesPerEU: 65
; NumVGPRsForWavesPerEU: 52
; Occupancy: 4
; WaveLimiterHint : 1
; COMPUTE_PGM_RSRC2:SCRATCH_EN: 0
; COMPUTE_PGM_RSRC2:USER_SGPR: 6
; COMPUTE_PGM_RSRC2:TRAP_HANDLER: 0
; COMPUTE_PGM_RSRC2:TGID_X_EN: 1
; COMPUTE_PGM_RSRC2:TGID_Y_EN: 1
; COMPUTE_PGM_RSRC2:TGID_Z_EN: 1
; COMPUTE_PGM_RSRC2:TIDIG_COMP_CNT: 1
	.section	.text._ZL37rocblas_syrkx_herkx_restricted_kernelIl19rocblas_complex_numIdELi16ELi32ELi8ELb0ELb1ELc67ELc76EKPKS1_KPS1_EviT_T0_PT8_S7_lSA_S7_lS8_PT9_S7_li,"axG",@progbits,_ZL37rocblas_syrkx_herkx_restricted_kernelIl19rocblas_complex_numIdELi16ELi32ELi8ELb0ELb1ELc67ELc76EKPKS1_KPS1_EviT_T0_PT8_S7_lSA_S7_lS8_PT9_S7_li,comdat
	.globl	_ZL37rocblas_syrkx_herkx_restricted_kernelIl19rocblas_complex_numIdELi16ELi32ELi8ELb0ELb1ELc67ELc76EKPKS1_KPS1_EviT_T0_PT8_S7_lSA_S7_lS8_PT9_S7_li ; -- Begin function _ZL37rocblas_syrkx_herkx_restricted_kernelIl19rocblas_complex_numIdELi16ELi32ELi8ELb0ELb1ELc67ELc76EKPKS1_KPS1_EviT_T0_PT8_S7_lSA_S7_lS8_PT9_S7_li
	.p2align	8
	.type	_ZL37rocblas_syrkx_herkx_restricted_kernelIl19rocblas_complex_numIdELi16ELi32ELi8ELb0ELb1ELc67ELc76EKPKS1_KPS1_EviT_T0_PT8_S7_lSA_S7_lS8_PT9_S7_li,@function
_ZL37rocblas_syrkx_herkx_restricted_kernelIl19rocblas_complex_numIdELi16ELi32ELi8ELb0ELb1ELc67ELc76EKPKS1_KPS1_EviT_T0_PT8_S7_lSA_S7_lS8_PT9_S7_li: ; @_ZL37rocblas_syrkx_herkx_restricted_kernelIl19rocblas_complex_numIdELi16ELi32ELi8ELb0ELb1ELc67ELc76EKPKS1_KPS1_EviT_T0_PT8_S7_lSA_S7_lS8_PT9_S7_li
; %bb.0:
	s_load_dwordx8 s[12:19], s[4:5], 0x50
	s_load_dwordx8 s[20:27], s[4:5], 0x8
	s_load_dwordx2 s[0:1], s[4:5], 0x28
	s_mov_b32 s9, 0
	s_lshl_b64 s[2:3], s[8:9], 3
	s_waitcnt lgkmcnt(0)
	s_add_u32 s8, s16, s2
	s_addc_u32 s9, s17, s3
	s_load_dwordx2 s[8:9], s[8:9], 0x0
	v_cmp_lt_i64_e64 s[10:11], s[20:21], 1
	s_lshl_b32 s6, s6, 5
	s_lshl_b32 s7, s7, 5
	s_and_b64 vcc, exec, s[10:11]
	s_cbranch_vccnz .LBB1804_3
; %bb.1:
	s_load_dwordx4 s[28:31], s[4:5], 0x38
	v_lshl_add_u32 v7, v1, 4, v0
	v_lshrrev_b32_e32 v8, 3, v7
	v_add_u32_e32 v4, s7, v8
	v_and_b32_e32 v2, 7, v0
	v_ashrrev_i32_e32 v5, 31, v4
	v_mov_b32_e32 v3, 0
	s_waitcnt lgkmcnt(0)
	v_mul_lo_u32 v9, s30, v5
	v_mul_lo_u32 v10, s31, v4
	v_mad_u64_u32 v[4:5], s[16:17], s30, v4, v[2:3]
	v_and_b32_e32 v11, 31, v7
	v_lshlrev_b32_e32 v2, 4, v2
	v_lshl_or_b32 v2, v8, 7, v2
	v_add_u32_e32 v8, s6, v11
	v_lshrrev_b32_e32 v6, 5, v7
	v_mov_b32_e32 v7, v3
	v_lshlrev_b32_e32 v3, 4, v11
	v_add_u32_e32 v23, 0x1000, v2
	v_ashrrev_i32_e32 v2, 31, v8
	s_add_u32 s10, s26, s2
	v_add3_u32 v5, v10, v5, v9
	v_lshl_or_b32 v22, v6, 9, v3
	v_mul_lo_u32 v9, s0, v2
	v_mad_u64_u32 v[2:3], s[16:17], s0, v8, v[6:7]
	v_mul_lo_u32 v6, s1, v8
	s_addc_u32 s11, s27, s3
	s_load_dwordx2 s[10:11], s[10:11], 0x0
	s_add_u32 s2, s28, s2
	s_addc_u32 s3, s29, s3
	s_load_dwordx2 s[2:3], s[2:3], 0x0
	v_add3_u32 v3, v6, v3, v9
	v_lshlrev_b64 v[2:3], 4, v[2:3]
	s_waitcnt lgkmcnt(0)
	v_mov_b32_e32 v6, s11
	v_add_co_u32_e32 v2, vcc, s10, v2
	v_lshlrev_b64 v[4:5], 4, v[4:5]
	v_addc_co_u32_e32 v3, vcc, v6, v3, vcc
	v_mov_b32_e32 v7, 0x1000
	v_mov_b32_e32 v6, s3
	v_add_co_u32_e32 v4, vcc, s2, v4
	v_lshl_add_u32 v25, v1, 7, v7
	v_addc_co_u32_e32 v5, vcc, v6, v5, vcc
	v_mov_b32_e32 v6, 0
	v_mov_b32_e32 v8, 0
	;; [unrolled: 1-line block ×8, first 2 shown]
	v_lshlrev_b32_e32 v24, 4, v0
	v_mov_b32_e32 v7, 0
	v_mov_b32_e32 v9, 0
	;; [unrolled: 1-line block ×8, first 2 shown]
	s_mov_b64 s[0:1], 0
.LBB1804_2:                             ; =>This Inner Loop Header: Depth=1
	flat_load_dwordx4 v[26:29], v[2:3]
	s_add_u32 s0, s0, 8
	v_add_co_u32_e32 v2, vcc, 0x80, v2
	s_addc_u32 s1, s1, 0
	v_addc_co_u32_e32 v3, vcc, 0, v3, vcc
	s_waitcnt vmcnt(0) lgkmcnt(0)
	v_xor_b32_e32 v29, 0x80000000, v29
	ds_write_b128 v22, v[26:29]
	flat_load_dwordx4 v[26:29], v[4:5]
	v_add_co_u32_e32 v4, vcc, 0x80, v4
	v_addc_co_u32_e32 v5, vcc, 0, v5, vcc
	s_waitcnt vmcnt(0) lgkmcnt(0)
	ds_write_b128 v23, v[26:29]
	s_waitcnt lgkmcnt(0)
	s_barrier
	ds_read_b128 v[26:29], v25
	ds_read_b128 v[30:33], v25 offset:16
	ds_read_b128 v[34:37], v25 offset:32
	;; [unrolled: 1-line block ×3, first 2 shown]
	ds_read_b128 v[42:45], v24
	s_waitcnt lgkmcnt(0)
	v_mul_f64 v[46:47], v[28:29], v[44:45]
	v_mul_f64 v[48:49], v[26:27], v[44:45]
	v_fma_f64 v[46:47], v[26:27], v[42:43], -v[46:47]
	v_fma_f64 v[48:49], v[28:29], v[42:43], v[48:49]
	v_add_f64 v[46:47], v[18:19], v[46:47]
	v_add_f64 v[48:49], v[48:49], v[20:21]
	ds_read_b128 v[18:21], v24 offset:256
	s_waitcnt lgkmcnt(0)
	v_mul_f64 v[50:51], v[28:29], v[20:21]
	v_fma_f64 v[50:51], v[26:27], v[18:19], -v[50:51]
	v_mul_f64 v[26:27], v[26:27], v[20:21]
	v_fma_f64 v[26:27], v[28:29], v[18:19], v[26:27]
	v_add_f64 v[28:29], v[10:11], v[50:51]
	v_add_f64 v[26:27], v[26:27], v[12:13]
	ds_read_b128 v[10:13], v25 offset:2048
	s_waitcnt lgkmcnt(0)
	v_mul_f64 v[50:51], v[12:13], v[44:45]
	v_mul_f64 v[44:45], v[10:11], v[44:45]
	v_fma_f64 v[50:51], v[10:11], v[42:43], -v[50:51]
	v_fma_f64 v[42:43], v[12:13], v[42:43], v[44:45]
	v_add_f64 v[44:45], v[14:15], v[50:51]
	v_mul_f64 v[14:15], v[12:13], v[20:21]
	v_add_f64 v[42:43], v[42:43], v[16:17]
	v_fma_f64 v[14:15], v[10:11], v[18:19], -v[14:15]
	v_mul_f64 v[10:11], v[10:11], v[20:21]
	v_fma_f64 v[10:11], v[12:13], v[18:19], v[10:11]
	v_add_f64 v[18:19], v[8:9], v[14:15]
	v_add_f64 v[20:21], v[10:11], v[6:7]
	ds_read_b128 v[6:9], v24 offset:512
	s_waitcnt lgkmcnt(0)
	v_mul_f64 v[10:11], v[32:33], v[8:9]
	v_mul_f64 v[12:13], v[30:31], v[8:9]
	v_fma_f64 v[10:11], v[30:31], v[6:7], -v[10:11]
	v_fma_f64 v[12:13], v[32:33], v[6:7], v[12:13]
	v_add_f64 v[46:47], v[46:47], v[10:11]
	v_add_f64 v[48:49], v[12:13], v[48:49]
	ds_read_b128 v[10:13], v24 offset:768
	s_waitcnt lgkmcnt(0)
	v_mul_f64 v[14:15], v[32:33], v[12:13]
	v_mul_f64 v[16:17], v[30:31], v[12:13]
	v_fma_f64 v[14:15], v[30:31], v[10:11], -v[14:15]
	;; [unrolled: 8-line block ×3, first 2 shown]
	v_fma_f64 v[6:7], v[16:17], v[6:7], v[8:9]
	v_mul_f64 v[8:9], v[14:15], v[12:13]
	v_add_f64 v[30:31], v[44:45], v[30:31]
	v_add_f64 v[32:33], v[6:7], v[42:43]
	v_mul_f64 v[6:7], v[16:17], v[12:13]
	v_fma_f64 v[8:9], v[16:17], v[10:11], v[8:9]
	v_fma_f64 v[6:7], v[14:15], v[10:11], -v[6:7]
	v_add_f64 v[20:21], v[8:9], v[20:21]
	v_add_f64 v[18:19], v[18:19], v[6:7]
	ds_read_b128 v[6:9], v24 offset:1024
	s_waitcnt lgkmcnt(0)
	v_mul_f64 v[10:11], v[36:37], v[8:9]
	v_mul_f64 v[12:13], v[34:35], v[8:9]
	v_fma_f64 v[10:11], v[34:35], v[6:7], -v[10:11]
	v_fma_f64 v[12:13], v[36:37], v[6:7], v[12:13]
	v_add_f64 v[42:43], v[46:47], v[10:11]
	v_add_f64 v[44:45], v[12:13], v[48:49]
	ds_read_b128 v[10:13], v24 offset:1280
	s_waitcnt lgkmcnt(0)
	v_mul_f64 v[14:15], v[36:37], v[12:13]
	v_mul_f64 v[16:17], v[34:35], v[12:13]
	v_fma_f64 v[14:15], v[34:35], v[10:11], -v[14:15]
	v_fma_f64 v[16:17], v[36:37], v[10:11], v[16:17]
	;; [unrolled: 8-line block ×3, first 2 shown]
	v_mul_f64 v[8:9], v[14:15], v[12:13]
	v_add_f64 v[30:31], v[30:31], v[34:35]
	v_add_f64 v[32:33], v[6:7], v[32:33]
	v_mul_f64 v[6:7], v[16:17], v[12:13]
	v_fma_f64 v[8:9], v[16:17], v[10:11], v[8:9]
	v_fma_f64 v[6:7], v[14:15], v[10:11], -v[6:7]
	v_add_f64 v[20:21], v[8:9], v[20:21]
	v_add_f64 v[18:19], v[18:19], v[6:7]
	ds_read_b128 v[6:9], v24 offset:1536
	s_waitcnt lgkmcnt(0)
	v_mul_f64 v[10:11], v[40:41], v[8:9]
	v_mul_f64 v[12:13], v[38:39], v[8:9]
	v_fma_f64 v[10:11], v[38:39], v[6:7], -v[10:11]
	v_fma_f64 v[12:13], v[40:41], v[6:7], v[12:13]
	v_add_f64 v[34:35], v[42:43], v[10:11]
	v_add_f64 v[36:37], v[12:13], v[44:45]
	ds_read_b128 v[10:13], v24 offset:1792
	s_waitcnt lgkmcnt(0)
	v_mul_f64 v[14:15], v[40:41], v[12:13]
	v_mul_f64 v[16:17], v[38:39], v[12:13]
	v_fma_f64 v[14:15], v[38:39], v[10:11], -v[14:15]
	v_fma_f64 v[16:17], v[40:41], v[10:11], v[16:17]
	;; [unrolled: 8-line block ×3, first 2 shown]
	v_mul_f64 v[8:9], v[14:15], v[12:13]
	v_add_f64 v[30:31], v[30:31], v[38:39]
	v_add_f64 v[32:33], v[6:7], v[32:33]
	v_mul_f64 v[6:7], v[16:17], v[12:13]
	v_fma_f64 v[8:9], v[16:17], v[10:11], v[8:9]
	v_fma_f64 v[6:7], v[14:15], v[10:11], -v[6:7]
	v_add_f64 v[20:21], v[8:9], v[20:21]
	v_add_f64 v[18:19], v[18:19], v[6:7]
	ds_read_b128 v[6:9], v25 offset:64
	ds_read_b128 v[10:13], v24 offset:2048
	s_waitcnt lgkmcnt(0)
	v_mul_f64 v[14:15], v[8:9], v[12:13]
	v_mul_f64 v[16:17], v[6:7], v[12:13]
	v_fma_f64 v[14:15], v[6:7], v[10:11], -v[14:15]
	v_fma_f64 v[16:17], v[8:9], v[10:11], v[16:17]
	v_add_f64 v[34:35], v[34:35], v[14:15]
	v_add_f64 v[36:37], v[16:17], v[36:37]
	ds_read_b128 v[14:17], v24 offset:2304
	s_waitcnt lgkmcnt(0)
	v_mul_f64 v[38:39], v[8:9], v[16:17]
	v_fma_f64 v[38:39], v[6:7], v[14:15], -v[38:39]
	v_mul_f64 v[6:7], v[6:7], v[16:17]
	v_add_f64 v[28:29], v[28:29], v[38:39]
	v_fma_f64 v[6:7], v[8:9], v[14:15], v[6:7]
	v_add_f64 v[26:27], v[6:7], v[26:27]
	ds_read_b128 v[6:9], v25 offset:2112
	s_waitcnt lgkmcnt(0)
	v_mul_f64 v[38:39], v[8:9], v[12:13]
	v_mul_f64 v[12:13], v[6:7], v[12:13]
	v_fma_f64 v[38:39], v[6:7], v[10:11], -v[38:39]
	v_fma_f64 v[10:11], v[8:9], v[10:11], v[12:13]
	v_add_f64 v[30:31], v[30:31], v[38:39]
	v_add_f64 v[32:33], v[10:11], v[32:33]
	v_mul_f64 v[10:11], v[8:9], v[16:17]
	v_fma_f64 v[10:11], v[6:7], v[14:15], -v[10:11]
	v_mul_f64 v[6:7], v[6:7], v[16:17]
	v_add_f64 v[18:19], v[18:19], v[10:11]
	v_fma_f64 v[6:7], v[8:9], v[14:15], v[6:7]
	v_add_f64 v[20:21], v[6:7], v[20:21]
	ds_read_b128 v[6:9], v25 offset:80
	ds_read_b128 v[10:13], v24 offset:2560
	s_waitcnt lgkmcnt(0)
	v_mul_f64 v[14:15], v[8:9], v[12:13]
	v_mul_f64 v[16:17], v[6:7], v[12:13]
	v_fma_f64 v[14:15], v[6:7], v[10:11], -v[14:15]
	v_fma_f64 v[16:17], v[8:9], v[10:11], v[16:17]
	v_add_f64 v[34:35], v[34:35], v[14:15]
	v_add_f64 v[36:37], v[16:17], v[36:37]
	ds_read_b128 v[14:17], v24 offset:2816
	s_waitcnt lgkmcnt(0)
	v_mul_f64 v[38:39], v[8:9], v[16:17]
	v_fma_f64 v[38:39], v[6:7], v[14:15], -v[38:39]
	v_mul_f64 v[6:7], v[6:7], v[16:17]
	v_add_f64 v[28:29], v[28:29], v[38:39]
	v_fma_f64 v[6:7], v[8:9], v[14:15], v[6:7]
	v_add_f64 v[26:27], v[6:7], v[26:27]
	ds_read_b128 v[6:9], v25 offset:2128
	s_waitcnt lgkmcnt(0)
	v_mul_f64 v[38:39], v[8:9], v[12:13]
	v_mul_f64 v[12:13], v[6:7], v[12:13]
	v_fma_f64 v[38:39], v[6:7], v[10:11], -v[38:39]
	v_fma_f64 v[10:11], v[8:9], v[10:11], v[12:13]
	v_add_f64 v[30:31], v[30:31], v[38:39]
	v_add_f64 v[32:33], v[10:11], v[32:33]
	v_mul_f64 v[10:11], v[8:9], v[16:17]
	v_fma_f64 v[10:11], v[6:7], v[14:15], -v[10:11]
	v_mul_f64 v[6:7], v[6:7], v[16:17]
	v_add_f64 v[18:19], v[18:19], v[10:11]
	v_fma_f64 v[6:7], v[8:9], v[14:15], v[6:7]
	;; [unrolled: 31-line block ×3, first 2 shown]
	v_add_f64 v[44:45], v[6:7], v[20:21]
	ds_read_b128 v[6:9], v25 offset:112
	ds_read_b128 v[14:17], v24 offset:3584
	;; [unrolled: 1-line block ×3, first 2 shown]
	s_waitcnt lgkmcnt(1)
	v_mul_f64 v[10:11], v[8:9], v[16:17]
	v_mul_f64 v[12:13], v[6:7], v[16:17]
	v_fma_f64 v[10:11], v[6:7], v[14:15], -v[10:11]
	v_fma_f64 v[12:13], v[8:9], v[14:15], v[12:13]
	v_add_f64 v[18:19], v[34:35], v[10:11]
	s_waitcnt lgkmcnt(0)
	v_mul_f64 v[10:11], v[8:9], v[28:29]
	v_add_f64 v[20:21], v[12:13], v[36:37]
	v_fma_f64 v[10:11], v[6:7], v[26:27], -v[10:11]
	v_mul_f64 v[6:7], v[6:7], v[28:29]
	v_add_f64 v[10:11], v[38:39], v[10:11]
	v_fma_f64 v[6:7], v[8:9], v[26:27], v[6:7]
	v_add_f64 v[12:13], v[6:7], v[40:41]
	ds_read_b128 v[6:9], v25 offset:2160
	s_waitcnt lgkmcnt(0)
	s_barrier
	v_mul_f64 v[34:35], v[8:9], v[16:17]
	v_mul_f64 v[16:17], v[6:7], v[16:17]
	v_fma_f64 v[34:35], v[6:7], v[14:15], -v[34:35]
	v_fma_f64 v[16:17], v[8:9], v[14:15], v[16:17]
	v_add_f64 v[14:15], v[30:31], v[34:35]
	v_mul_f64 v[30:31], v[8:9], v[28:29]
	v_add_f64 v[16:17], v[16:17], v[32:33]
	v_fma_f64 v[30:31], v[6:7], v[26:27], -v[30:31]
	v_mul_f64 v[6:7], v[6:7], v[28:29]
	v_fma_f64 v[6:7], v[8:9], v[26:27], v[6:7]
	v_add_f64 v[8:9], v[42:43], v[30:31]
	v_mov_b32_e32 v27, s1
	v_mov_b32_e32 v26, s0
	v_cmp_le_u64_e32 vcc, s[20:21], v[26:27]
	v_add_f64 v[6:7], v[6:7], v[44:45]
	s_cbranch_vccz .LBB1804_2
	s_branch .LBB1804_4
.LBB1804_3:
	v_mov_b32_e32 v18, 0
	v_mov_b32_e32 v20, 0
	;; [unrolled: 1-line block ×16, first 2 shown]
.LBB1804_4:
	v_add_u32_e32 v4, s7, v1
	v_ashrrev_i32_e32 v1, 31, v4
	v_mul_lo_u32 v3, s18, v1
	v_mul_lo_u32 v5, s19, v4
	v_mad_u64_u32 v[1:2], s[0:1], s18, v4, 0
	s_load_dword s4, s[4:5], 0x0
	v_add_u32_e32 v0, s6, v0
	v_add3_u32 v2, v2, v3, v5
	v_lshlrev_b64 v[1:2], 4, v[1:2]
	s_waitcnt lgkmcnt(0)
	v_mov_b32_e32 v3, s9
	v_add_co_u32_e32 v5, vcc, s8, v1
	v_addc_co_u32_e32 v22, vcc, v3, v2, vcc
	v_cmp_le_i32_e64 s[0:1], v4, v0
	v_cmp_gt_i32_e32 vcc, s4, v0
	s_and_b64 s[0:1], s[0:1], vcc
	s_and_saveexec_b64 s[2:3], s[0:1]
	s_cbranch_execz .LBB1804_6
; %bb.5:
	v_ashrrev_i32_e32 v1, 31, v0
	v_lshlrev_b64 v[1:2], 4, v[0:1]
	v_mul_f64 v[27:28], s[22:23], v[20:21]
	v_add_co_u32_e64 v1, s[0:1], v5, v1
	v_addc_co_u32_e64 v2, s[0:1], v22, v2, s[0:1]
	flat_load_dwordx4 v[23:26], v[1:2]
	v_mul_f64 v[20:21], s[24:25], v[20:21]
	v_cmp_ne_u32_e64 s[0:1], v4, v0
	v_fma_f64 v[27:28], s[24:25], v[18:19], v[27:28]
	v_fma_f64 v[18:19], s[22:23], v[18:19], -v[20:21]
	s_waitcnt vmcnt(0) lgkmcnt(0)
	v_mul_f64 v[29:30], s[12:13], v[25:26]
	v_mul_f64 v[25:26], s[14:15], v[25:26]
	v_fma_f64 v[29:30], s[14:15], v[23:24], v[29:30]
	v_fma_f64 v[20:21], s[12:13], v[23:24], -v[25:26]
	v_add_f64 v[23:24], v[27:28], v[29:30]
	v_add_f64 v[18:19], v[18:19], v[20:21]
	v_cndmask_b32_e64 v21, 0, v24, s[0:1]
	v_cndmask_b32_e64 v20, 0, v23, s[0:1]
	flat_store_dwordx4 v[1:2], v[18:21]
.LBB1804_6:
	s_or_b64 exec, exec, s[2:3]
	v_add_u32_e32 v2, 16, v0
	v_cmp_le_i32_e64 s[2:3], v4, v2
	v_cmp_gt_i32_e64 s[0:1], s4, v2
	s_and_b64 s[2:3], s[2:3], s[0:1]
	s_and_saveexec_b64 s[4:5], s[2:3]
	s_cbranch_execz .LBB1804_8
; %bb.7:
	v_ashrrev_i32_e32 v3, 31, v2
	v_lshlrev_b64 v[18:19], 4, v[2:3]
	v_mul_f64 v[25:26], s[22:23], v[12:13]
	v_add_co_u32_e64 v23, s[2:3], v5, v18
	v_addc_co_u32_e64 v24, s[2:3], v22, v19, s[2:3]
	flat_load_dwordx4 v[18:21], v[23:24]
	v_mul_f64 v[12:13], s[24:25], v[12:13]
	v_cmp_ne_u32_e64 s[2:3], v4, v2
	v_fma_f64 v[25:26], s[24:25], v[10:11], v[25:26]
	v_fma_f64 v[10:11], s[22:23], v[10:11], -v[12:13]
	s_waitcnt vmcnt(0) lgkmcnt(0)
	v_mul_f64 v[27:28], s[12:13], v[20:21]
	v_mul_f64 v[20:21], s[14:15], v[20:21]
	v_fma_f64 v[27:28], s[14:15], v[18:19], v[27:28]
	v_fma_f64 v[12:13], s[12:13], v[18:19], -v[20:21]
	v_add_f64 v[18:19], v[25:26], v[27:28]
	v_add_f64 v[10:11], v[10:11], v[12:13]
	v_cndmask_b32_e64 v13, 0, v19, s[2:3]
	v_cndmask_b32_e64 v12, 0, v18, s[2:3]
	flat_store_dwordx4 v[23:24], v[10:13]
.LBB1804_8:
	s_or_b64 exec, exec, s[4:5]
	v_add_u32_e32 v3, 16, v4
	v_ashrrev_i32_e32 v1, 31, v3
	v_mul_lo_u32 v5, s19, v3
	v_mad_u64_u32 v[10:11], s[2:3], s18, v3, 0
	v_mul_lo_u32 v1, s18, v1
	v_add3_u32 v11, v11, v1, v5
	v_lshlrev_b64 v[10:11], 4, v[10:11]
	v_mov_b32_e32 v1, s9
	v_add_co_u32_e64 v5, s[2:3], s8, v10
	v_addc_co_u32_e64 v10, s[2:3], v1, v11, s[2:3]
	v_cmp_le_i32_e64 s[2:3], v3, v0
	s_and_b64 s[4:5], s[2:3], vcc
	s_and_saveexec_b64 s[2:3], s[4:5]
	s_cbranch_execz .LBB1804_10
; %bb.9:
	v_ashrrev_i32_e32 v1, 31, v0
	v_lshlrev_b64 v[11:12], 4, v[0:1]
	v_add_co_u32_e32 v22, vcc, v5, v11
	v_addc_co_u32_e32 v23, vcc, v10, v12, vcc
	flat_load_dwordx4 v[18:21], v[22:23]
	v_mul_f64 v[11:12], s[22:23], v[16:17]
	v_mul_f64 v[16:17], s[24:25], v[16:17]
	v_cmp_ne_u32_e32 vcc, v3, v0
	v_fma_f64 v[11:12], s[24:25], v[14:15], v[11:12]
	v_fma_f64 v[13:14], s[22:23], v[14:15], -v[16:17]
	s_waitcnt vmcnt(0) lgkmcnt(0)
	v_mul_f64 v[24:25], s[12:13], v[20:21]
	v_mul_f64 v[20:21], s[14:15], v[20:21]
	v_fma_f64 v[24:25], s[14:15], v[18:19], v[24:25]
	v_fma_f64 v[15:16], s[12:13], v[18:19], -v[20:21]
	v_add_f64 v[17:18], v[11:12], v[24:25]
	v_add_f64 v[11:12], v[13:14], v[15:16]
	v_cndmask_b32_e32 v14, 0, v18, vcc
	v_cndmask_b32_e32 v13, 0, v17, vcc
	flat_store_dwordx4 v[22:23], v[11:14]
.LBB1804_10:
	s_or_b64 exec, exec, s[2:3]
	v_cmp_le_i32_e32 vcc, v3, v2
	s_and_b64 s[0:1], vcc, s[0:1]
	s_and_saveexec_b64 s[2:3], s[0:1]
	s_cbranch_execz .LBB1804_12
; %bb.11:
	v_ashrrev_i32_e32 v3, 31, v2
	v_lshlrev_b64 v[1:2], 4, v[2:3]
	v_add_co_u32_e32 v14, vcc, v5, v1
	v_addc_co_u32_e32 v15, vcc, v10, v2, vcc
	flat_load_dwordx4 v[10:13], v[14:15]
	v_mul_f64 v[1:2], s[22:23], v[6:7]
	v_mul_f64 v[5:6], s[24:25], v[6:7]
	v_cmp_ne_u32_e32 vcc, v4, v0
	v_fma_f64 v[1:2], s[24:25], v[8:9], v[1:2]
	v_fma_f64 v[5:6], s[22:23], v[8:9], -v[5:6]
	s_waitcnt vmcnt(0) lgkmcnt(0)
	v_mul_f64 v[16:17], s[12:13], v[12:13]
	v_mul_f64 v[12:13], s[14:15], v[12:13]
	v_fma_f64 v[16:17], s[14:15], v[10:11], v[16:17]
	v_fma_f64 v[7:8], s[12:13], v[10:11], -v[12:13]
	v_add_f64 v[9:10], v[1:2], v[16:17]
	v_add_f64 v[1:2], v[5:6], v[7:8]
	v_cndmask_b32_e32 v4, 0, v10, vcc
	v_cndmask_b32_e32 v3, 0, v9, vcc
	flat_store_dwordx4 v[14:15], v[1:4]
.LBB1804_12:
	s_endpgm
	.section	.rodata,"a",@progbits
	.p2align	6, 0x0
	.amdhsa_kernel _ZL37rocblas_syrkx_herkx_restricted_kernelIl19rocblas_complex_numIdELi16ELi32ELi8ELb0ELb1ELc67ELc76EKPKS1_KPS1_EviT_T0_PT8_S7_lSA_S7_lS8_PT9_S7_li
		.amdhsa_group_segment_fixed_size 8192
		.amdhsa_private_segment_fixed_size 0
		.amdhsa_kernarg_size 124
		.amdhsa_user_sgpr_count 6
		.amdhsa_user_sgpr_private_segment_buffer 1
		.amdhsa_user_sgpr_dispatch_ptr 0
		.amdhsa_user_sgpr_queue_ptr 0
		.amdhsa_user_sgpr_kernarg_segment_ptr 1
		.amdhsa_user_sgpr_dispatch_id 0
		.amdhsa_user_sgpr_flat_scratch_init 0
		.amdhsa_user_sgpr_private_segment_size 0
		.amdhsa_uses_dynamic_stack 0
		.amdhsa_system_sgpr_private_segment_wavefront_offset 0
		.amdhsa_system_sgpr_workgroup_id_x 1
		.amdhsa_system_sgpr_workgroup_id_y 1
		.amdhsa_system_sgpr_workgroup_id_z 1
		.amdhsa_system_sgpr_workgroup_info 0
		.amdhsa_system_vgpr_workitem_id 1
		.amdhsa_next_free_vgpr 52
		.amdhsa_next_free_sgpr 61
		.amdhsa_reserve_vcc 1
		.amdhsa_reserve_flat_scratch 0
		.amdhsa_float_round_mode_32 0
		.amdhsa_float_round_mode_16_64 0
		.amdhsa_float_denorm_mode_32 3
		.amdhsa_float_denorm_mode_16_64 3
		.amdhsa_dx10_clamp 1
		.amdhsa_ieee_mode 1
		.amdhsa_fp16_overflow 0
		.amdhsa_exception_fp_ieee_invalid_op 0
		.amdhsa_exception_fp_denorm_src 0
		.amdhsa_exception_fp_ieee_div_zero 0
		.amdhsa_exception_fp_ieee_overflow 0
		.amdhsa_exception_fp_ieee_underflow 0
		.amdhsa_exception_fp_ieee_inexact 0
		.amdhsa_exception_int_div_zero 0
	.end_amdhsa_kernel
	.section	.text._ZL37rocblas_syrkx_herkx_restricted_kernelIl19rocblas_complex_numIdELi16ELi32ELi8ELb0ELb1ELc67ELc76EKPKS1_KPS1_EviT_T0_PT8_S7_lSA_S7_lS8_PT9_S7_li,"axG",@progbits,_ZL37rocblas_syrkx_herkx_restricted_kernelIl19rocblas_complex_numIdELi16ELi32ELi8ELb0ELb1ELc67ELc76EKPKS1_KPS1_EviT_T0_PT8_S7_lSA_S7_lS8_PT9_S7_li,comdat
.Lfunc_end1804:
	.size	_ZL37rocblas_syrkx_herkx_restricted_kernelIl19rocblas_complex_numIdELi16ELi32ELi8ELb0ELb1ELc67ELc76EKPKS1_KPS1_EviT_T0_PT8_S7_lSA_S7_lS8_PT9_S7_li, .Lfunc_end1804-_ZL37rocblas_syrkx_herkx_restricted_kernelIl19rocblas_complex_numIdELi16ELi32ELi8ELb0ELb1ELc67ELc76EKPKS1_KPS1_EviT_T0_PT8_S7_lSA_S7_lS8_PT9_S7_li
                                        ; -- End function
	.set _ZL37rocblas_syrkx_herkx_restricted_kernelIl19rocblas_complex_numIdELi16ELi32ELi8ELb0ELb1ELc67ELc76EKPKS1_KPS1_EviT_T0_PT8_S7_lSA_S7_lS8_PT9_S7_li.num_vgpr, 52
	.set _ZL37rocblas_syrkx_herkx_restricted_kernelIl19rocblas_complex_numIdELi16ELi32ELi8ELb0ELb1ELc67ELc76EKPKS1_KPS1_EviT_T0_PT8_S7_lSA_S7_lS8_PT9_S7_li.num_agpr, 0
	.set _ZL37rocblas_syrkx_herkx_restricted_kernelIl19rocblas_complex_numIdELi16ELi32ELi8ELb0ELb1ELc67ELc76EKPKS1_KPS1_EviT_T0_PT8_S7_lSA_S7_lS8_PT9_S7_li.numbered_sgpr, 32
	.set _ZL37rocblas_syrkx_herkx_restricted_kernelIl19rocblas_complex_numIdELi16ELi32ELi8ELb0ELb1ELc67ELc76EKPKS1_KPS1_EviT_T0_PT8_S7_lSA_S7_lS8_PT9_S7_li.num_named_barrier, 0
	.set _ZL37rocblas_syrkx_herkx_restricted_kernelIl19rocblas_complex_numIdELi16ELi32ELi8ELb0ELb1ELc67ELc76EKPKS1_KPS1_EviT_T0_PT8_S7_lSA_S7_lS8_PT9_S7_li.private_seg_size, 0
	.set _ZL37rocblas_syrkx_herkx_restricted_kernelIl19rocblas_complex_numIdELi16ELi32ELi8ELb0ELb1ELc67ELc76EKPKS1_KPS1_EviT_T0_PT8_S7_lSA_S7_lS8_PT9_S7_li.uses_vcc, 1
	.set _ZL37rocblas_syrkx_herkx_restricted_kernelIl19rocblas_complex_numIdELi16ELi32ELi8ELb0ELb1ELc67ELc76EKPKS1_KPS1_EviT_T0_PT8_S7_lSA_S7_lS8_PT9_S7_li.uses_flat_scratch, 0
	.set _ZL37rocblas_syrkx_herkx_restricted_kernelIl19rocblas_complex_numIdELi16ELi32ELi8ELb0ELb1ELc67ELc76EKPKS1_KPS1_EviT_T0_PT8_S7_lSA_S7_lS8_PT9_S7_li.has_dyn_sized_stack, 0
	.set _ZL37rocblas_syrkx_herkx_restricted_kernelIl19rocblas_complex_numIdELi16ELi32ELi8ELb0ELb1ELc67ELc76EKPKS1_KPS1_EviT_T0_PT8_S7_lSA_S7_lS8_PT9_S7_li.has_recursion, 0
	.set _ZL37rocblas_syrkx_herkx_restricted_kernelIl19rocblas_complex_numIdELi16ELi32ELi8ELb0ELb1ELc67ELc76EKPKS1_KPS1_EviT_T0_PT8_S7_lSA_S7_lS8_PT9_S7_li.has_indirect_call, 0
	.section	.AMDGPU.csdata,"",@progbits
; Kernel info:
; codeLenInByte = 3280
; TotalNumSgprs: 36
; NumVgprs: 52
; ScratchSize: 0
; MemoryBound: 0
; FloatMode: 240
; IeeeMode: 1
; LDSByteSize: 8192 bytes/workgroup (compile time only)
; SGPRBlocks: 8
; VGPRBlocks: 12
; NumSGPRsForWavesPerEU: 65
; NumVGPRsForWavesPerEU: 52
; Occupancy: 4
; WaveLimiterHint : 1
; COMPUTE_PGM_RSRC2:SCRATCH_EN: 0
; COMPUTE_PGM_RSRC2:USER_SGPR: 6
; COMPUTE_PGM_RSRC2:TRAP_HANDLER: 0
; COMPUTE_PGM_RSRC2:TGID_X_EN: 1
; COMPUTE_PGM_RSRC2:TGID_Y_EN: 1
; COMPUTE_PGM_RSRC2:TGID_Z_EN: 1
; COMPUTE_PGM_RSRC2:TIDIG_COMP_CNT: 1
	.section	.text._ZL37rocblas_syrkx_herkx_restricted_kernelIl19rocblas_complex_numIdELi16ELi32ELi8ELb0ELb1ELc78ELc76EKPKS1_KPS1_EviT_T0_PT8_S7_lSA_S7_lS8_PT9_S7_li,"axG",@progbits,_ZL37rocblas_syrkx_herkx_restricted_kernelIl19rocblas_complex_numIdELi16ELi32ELi8ELb0ELb1ELc78ELc76EKPKS1_KPS1_EviT_T0_PT8_S7_lSA_S7_lS8_PT9_S7_li,comdat
	.globl	_ZL37rocblas_syrkx_herkx_restricted_kernelIl19rocblas_complex_numIdELi16ELi32ELi8ELb0ELb1ELc78ELc76EKPKS1_KPS1_EviT_T0_PT8_S7_lSA_S7_lS8_PT9_S7_li ; -- Begin function _ZL37rocblas_syrkx_herkx_restricted_kernelIl19rocblas_complex_numIdELi16ELi32ELi8ELb0ELb1ELc78ELc76EKPKS1_KPS1_EviT_T0_PT8_S7_lSA_S7_lS8_PT9_S7_li
	.p2align	8
	.type	_ZL37rocblas_syrkx_herkx_restricted_kernelIl19rocblas_complex_numIdELi16ELi32ELi8ELb0ELb1ELc78ELc76EKPKS1_KPS1_EviT_T0_PT8_S7_lSA_S7_lS8_PT9_S7_li,@function
_ZL37rocblas_syrkx_herkx_restricted_kernelIl19rocblas_complex_numIdELi16ELi32ELi8ELb0ELb1ELc78ELc76EKPKS1_KPS1_EviT_T0_PT8_S7_lSA_S7_lS8_PT9_S7_li: ; @_ZL37rocblas_syrkx_herkx_restricted_kernelIl19rocblas_complex_numIdELi16ELi32ELi8ELb0ELb1ELc78ELc76EKPKS1_KPS1_EviT_T0_PT8_S7_lSA_S7_lS8_PT9_S7_li
; %bb.0:
	s_load_dwordx8 s[12:19], s[4:5], 0x50
	s_load_dwordx8 s[20:27], s[4:5], 0x8
	s_load_dwordx2 s[10:11], s[4:5], 0x28
	s_mov_b32 s9, 0
	s_lshl_b64 s[28:29], s[8:9], 3
	s_waitcnt lgkmcnt(0)
	s_add_u32 s0, s16, s28
	s_addc_u32 s1, s17, s29
	s_load_dwordx2 s[8:9], s[0:1], 0x0
	v_cmp_lt_i64_e64 s[0:1], s[20:21], 1
	s_lshl_b32 s16, s6, 5
	s_lshl_b32 s17, s7, 5
	s_and_b64 vcc, exec, s[0:1]
	s_cbranch_vccnz .LBB1805_3
; %bb.1:
	s_load_dwordx4 s[0:3], s[4:5], 0x38
	v_lshl_add_u32 v6, v1, 4, v0
	v_lshrrev_b32_e32 v7, 3, v6
	v_add_u32_e32 v2, s17, v7
	s_add_u32 s6, s26, s28
	v_and_b32_e32 v8, 7, v0
	v_ashrrev_i32_e32 v3, 31, v2
	s_addc_u32 s7, s27, s29
	s_waitcnt lgkmcnt(0)
	v_mad_u64_u32 v[4:5], s[26:27], s2, v8, v[2:3]
	v_lshrrev_b32_e32 v9, 5, v6
	s_add_u32 s0, s0, s28
	v_mov_b32_e32 v2, v5
	v_mad_u64_u32 v[2:3], s[26:27], s3, v8, v[2:3]
	v_and_b32_e32 v3, 31, v6
	s_addc_u32 s1, s1, s29
	v_mov_b32_e32 v5, v2
	v_lshlrev_b32_e32 v2, 4, v3
	v_lshl_or_b32 v22, v9, 9, v2
	v_add_u32_e32 v2, s16, v3
	v_ashrrev_i32_e32 v3, 31, v2
	s_load_dwordx2 s[26:27], s[0:1], 0x0
	v_mad_u64_u32 v[2:3], s[0:1], s10, v9, v[2:3]
	v_lshlrev_b32_e32 v6, 4, v8
	v_lshl_or_b32 v6, v7, 7, v6
	v_add_u32_e32 v23, 0x1000, v6
	v_mad_u64_u32 v[6:7], s[0:1], s11, v9, v[3:4]
	s_load_dwordx2 s[6:7], s[6:7], 0x0
	v_mov_b32_e32 v3, 0x1000
	v_lshl_add_u32 v25, v1, 7, v3
	v_mov_b32_e32 v3, v6
	v_lshlrev_b64 v[2:3], 4, v[2:3]
	s_waitcnt lgkmcnt(0)
	v_mov_b32_e32 v6, s7
	v_add_co_u32_e32 v2, vcc, s6, v2
	v_lshlrev_b64 v[4:5], 4, v[4:5]
	v_addc_co_u32_e32 v3, vcc, v6, v3, vcc
	v_mov_b32_e32 v6, s27
	v_add_co_u32_e32 v4, vcc, s26, v4
	s_lshl_b64 s[0:1], s[10:11], 7
	v_addc_co_u32_e32 v5, vcc, v6, v5, vcc
	s_lshl_b64 s[2:3], s[2:3], 7
	v_mov_b32_e32 v6, 0
	v_mov_b32_e32 v8, 0
	;; [unrolled: 1-line block ×8, first 2 shown]
	v_lshlrev_b32_e32 v24, 4, v0
	v_mov_b32_e32 v7, 0
	s_mov_b64 s[6:7], 0
	v_mov_b32_e32 v26, s1
	v_mov_b32_e32 v9, 0
	;; [unrolled: 1-line block ×9, first 2 shown]
.LBB1805_2:                             ; =>This Inner Loop Header: Depth=1
	flat_load_dwordx4 v[28:31], v[2:3]
	s_add_u32 s6, s6, 8
	v_add_co_u32_e32 v2, vcc, s0, v2
	s_addc_u32 s7, s7, 0
	v_addc_co_u32_e32 v3, vcc, v3, v26, vcc
	s_waitcnt vmcnt(0) lgkmcnt(0)
	ds_write_b128 v22, v[28:31]
	flat_load_dwordx4 v[28:31], v[4:5]
	v_add_co_u32_e32 v4, vcc, s2, v4
	v_addc_co_u32_e32 v5, vcc, v5, v27, vcc
	s_waitcnt vmcnt(0) lgkmcnt(0)
	v_xor_b32_e32 v31, 0x80000000, v31
	ds_write_b128 v23, v[28:31]
	s_waitcnt lgkmcnt(0)
	s_barrier
	ds_read_b128 v[28:31], v25
	ds_read_b128 v[32:35], v25 offset:16
	ds_read_b128 v[36:39], v25 offset:32
	;; [unrolled: 1-line block ×3, first 2 shown]
	ds_read_b128 v[44:47], v24
	s_waitcnt lgkmcnt(0)
	v_mul_f64 v[48:49], v[30:31], v[46:47]
	v_mul_f64 v[50:51], v[28:29], v[46:47]
	v_fma_f64 v[48:49], v[28:29], v[44:45], -v[48:49]
	v_fma_f64 v[50:51], v[30:31], v[44:45], v[50:51]
	v_add_f64 v[48:49], v[18:19], v[48:49]
	v_add_f64 v[50:51], v[50:51], v[20:21]
	ds_read_b128 v[18:21], v24 offset:256
	s_waitcnt lgkmcnt(0)
	v_mul_f64 v[52:53], v[30:31], v[20:21]
	v_fma_f64 v[52:53], v[28:29], v[18:19], -v[52:53]
	v_mul_f64 v[28:29], v[28:29], v[20:21]
	v_fma_f64 v[28:29], v[30:31], v[18:19], v[28:29]
	v_add_f64 v[30:31], v[10:11], v[52:53]
	v_add_f64 v[28:29], v[28:29], v[12:13]
	ds_read_b128 v[10:13], v25 offset:2048
	s_waitcnt lgkmcnt(0)
	v_mul_f64 v[52:53], v[12:13], v[46:47]
	v_mul_f64 v[46:47], v[10:11], v[46:47]
	v_fma_f64 v[52:53], v[10:11], v[44:45], -v[52:53]
	v_fma_f64 v[44:45], v[12:13], v[44:45], v[46:47]
	v_add_f64 v[46:47], v[14:15], v[52:53]
	v_mul_f64 v[14:15], v[12:13], v[20:21]
	v_add_f64 v[44:45], v[44:45], v[16:17]
	v_fma_f64 v[14:15], v[10:11], v[18:19], -v[14:15]
	v_mul_f64 v[10:11], v[10:11], v[20:21]
	v_fma_f64 v[10:11], v[12:13], v[18:19], v[10:11]
	v_add_f64 v[18:19], v[8:9], v[14:15]
	v_add_f64 v[20:21], v[10:11], v[6:7]
	ds_read_b128 v[6:9], v24 offset:512
	s_waitcnt lgkmcnt(0)
	v_mul_f64 v[10:11], v[34:35], v[8:9]
	v_mul_f64 v[12:13], v[32:33], v[8:9]
	v_fma_f64 v[10:11], v[32:33], v[6:7], -v[10:11]
	v_fma_f64 v[12:13], v[34:35], v[6:7], v[12:13]
	v_add_f64 v[48:49], v[48:49], v[10:11]
	v_add_f64 v[50:51], v[12:13], v[50:51]
	ds_read_b128 v[10:13], v24 offset:768
	s_waitcnt lgkmcnt(0)
	v_mul_f64 v[14:15], v[34:35], v[12:13]
	v_mul_f64 v[16:17], v[32:33], v[12:13]
	v_fma_f64 v[14:15], v[32:33], v[10:11], -v[14:15]
	;; [unrolled: 8-line block ×3, first 2 shown]
	v_fma_f64 v[6:7], v[16:17], v[6:7], v[8:9]
	v_mul_f64 v[8:9], v[14:15], v[12:13]
	v_add_f64 v[32:33], v[46:47], v[32:33]
	v_add_f64 v[34:35], v[6:7], v[44:45]
	v_mul_f64 v[6:7], v[16:17], v[12:13]
	v_fma_f64 v[8:9], v[16:17], v[10:11], v[8:9]
	v_fma_f64 v[6:7], v[14:15], v[10:11], -v[6:7]
	v_add_f64 v[20:21], v[8:9], v[20:21]
	v_add_f64 v[18:19], v[18:19], v[6:7]
	ds_read_b128 v[6:9], v24 offset:1024
	s_waitcnt lgkmcnt(0)
	v_mul_f64 v[10:11], v[38:39], v[8:9]
	v_mul_f64 v[12:13], v[36:37], v[8:9]
	v_fma_f64 v[10:11], v[36:37], v[6:7], -v[10:11]
	v_fma_f64 v[12:13], v[38:39], v[6:7], v[12:13]
	v_add_f64 v[44:45], v[48:49], v[10:11]
	v_add_f64 v[46:47], v[12:13], v[50:51]
	ds_read_b128 v[10:13], v24 offset:1280
	s_waitcnt lgkmcnt(0)
	v_mul_f64 v[14:15], v[38:39], v[12:13]
	v_mul_f64 v[16:17], v[36:37], v[12:13]
	v_fma_f64 v[14:15], v[36:37], v[10:11], -v[14:15]
	v_fma_f64 v[16:17], v[38:39], v[10:11], v[16:17]
	;; [unrolled: 8-line block ×3, first 2 shown]
	v_mul_f64 v[8:9], v[14:15], v[12:13]
	v_add_f64 v[32:33], v[32:33], v[36:37]
	v_add_f64 v[34:35], v[6:7], v[34:35]
	v_mul_f64 v[6:7], v[16:17], v[12:13]
	v_fma_f64 v[8:9], v[16:17], v[10:11], v[8:9]
	v_fma_f64 v[6:7], v[14:15], v[10:11], -v[6:7]
	v_add_f64 v[20:21], v[8:9], v[20:21]
	v_add_f64 v[18:19], v[18:19], v[6:7]
	ds_read_b128 v[6:9], v24 offset:1536
	s_waitcnt lgkmcnt(0)
	v_mul_f64 v[10:11], v[42:43], v[8:9]
	v_mul_f64 v[12:13], v[40:41], v[8:9]
	v_fma_f64 v[10:11], v[40:41], v[6:7], -v[10:11]
	v_fma_f64 v[12:13], v[42:43], v[6:7], v[12:13]
	v_add_f64 v[36:37], v[44:45], v[10:11]
	v_add_f64 v[38:39], v[12:13], v[46:47]
	ds_read_b128 v[10:13], v24 offset:1792
	s_waitcnt lgkmcnt(0)
	v_mul_f64 v[14:15], v[42:43], v[12:13]
	v_mul_f64 v[16:17], v[40:41], v[12:13]
	v_fma_f64 v[14:15], v[40:41], v[10:11], -v[14:15]
	v_fma_f64 v[16:17], v[42:43], v[10:11], v[16:17]
	;; [unrolled: 8-line block ×3, first 2 shown]
	v_mul_f64 v[8:9], v[14:15], v[12:13]
	v_add_f64 v[32:33], v[32:33], v[40:41]
	v_add_f64 v[34:35], v[6:7], v[34:35]
	v_mul_f64 v[6:7], v[16:17], v[12:13]
	v_fma_f64 v[8:9], v[16:17], v[10:11], v[8:9]
	v_fma_f64 v[6:7], v[14:15], v[10:11], -v[6:7]
	v_add_f64 v[20:21], v[8:9], v[20:21]
	v_add_f64 v[18:19], v[18:19], v[6:7]
	ds_read_b128 v[6:9], v25 offset:64
	ds_read_b128 v[10:13], v24 offset:2048
	s_waitcnt lgkmcnt(0)
	v_mul_f64 v[14:15], v[8:9], v[12:13]
	v_mul_f64 v[16:17], v[6:7], v[12:13]
	v_fma_f64 v[14:15], v[6:7], v[10:11], -v[14:15]
	v_fma_f64 v[16:17], v[8:9], v[10:11], v[16:17]
	v_add_f64 v[36:37], v[36:37], v[14:15]
	v_add_f64 v[38:39], v[16:17], v[38:39]
	ds_read_b128 v[14:17], v24 offset:2304
	s_waitcnt lgkmcnt(0)
	v_mul_f64 v[40:41], v[8:9], v[16:17]
	v_fma_f64 v[40:41], v[6:7], v[14:15], -v[40:41]
	v_mul_f64 v[6:7], v[6:7], v[16:17]
	v_add_f64 v[30:31], v[30:31], v[40:41]
	v_fma_f64 v[6:7], v[8:9], v[14:15], v[6:7]
	v_add_f64 v[28:29], v[6:7], v[28:29]
	ds_read_b128 v[6:9], v25 offset:2112
	s_waitcnt lgkmcnt(0)
	v_mul_f64 v[40:41], v[8:9], v[12:13]
	v_mul_f64 v[12:13], v[6:7], v[12:13]
	v_fma_f64 v[40:41], v[6:7], v[10:11], -v[40:41]
	v_fma_f64 v[10:11], v[8:9], v[10:11], v[12:13]
	v_add_f64 v[32:33], v[32:33], v[40:41]
	v_add_f64 v[34:35], v[10:11], v[34:35]
	v_mul_f64 v[10:11], v[8:9], v[16:17]
	v_fma_f64 v[10:11], v[6:7], v[14:15], -v[10:11]
	v_mul_f64 v[6:7], v[6:7], v[16:17]
	v_add_f64 v[18:19], v[18:19], v[10:11]
	v_fma_f64 v[6:7], v[8:9], v[14:15], v[6:7]
	v_add_f64 v[20:21], v[6:7], v[20:21]
	ds_read_b128 v[6:9], v25 offset:80
	ds_read_b128 v[10:13], v24 offset:2560
	s_waitcnt lgkmcnt(0)
	v_mul_f64 v[14:15], v[8:9], v[12:13]
	v_mul_f64 v[16:17], v[6:7], v[12:13]
	v_fma_f64 v[14:15], v[6:7], v[10:11], -v[14:15]
	v_fma_f64 v[16:17], v[8:9], v[10:11], v[16:17]
	v_add_f64 v[36:37], v[36:37], v[14:15]
	v_add_f64 v[38:39], v[16:17], v[38:39]
	ds_read_b128 v[14:17], v24 offset:2816
	s_waitcnt lgkmcnt(0)
	v_mul_f64 v[40:41], v[8:9], v[16:17]
	v_fma_f64 v[40:41], v[6:7], v[14:15], -v[40:41]
	v_mul_f64 v[6:7], v[6:7], v[16:17]
	v_add_f64 v[30:31], v[30:31], v[40:41]
	v_fma_f64 v[6:7], v[8:9], v[14:15], v[6:7]
	v_add_f64 v[28:29], v[6:7], v[28:29]
	ds_read_b128 v[6:9], v25 offset:2128
	s_waitcnt lgkmcnt(0)
	v_mul_f64 v[40:41], v[8:9], v[12:13]
	v_mul_f64 v[12:13], v[6:7], v[12:13]
	v_fma_f64 v[40:41], v[6:7], v[10:11], -v[40:41]
	v_fma_f64 v[10:11], v[8:9], v[10:11], v[12:13]
	v_add_f64 v[32:33], v[32:33], v[40:41]
	v_add_f64 v[34:35], v[10:11], v[34:35]
	v_mul_f64 v[10:11], v[8:9], v[16:17]
	v_fma_f64 v[10:11], v[6:7], v[14:15], -v[10:11]
	v_mul_f64 v[6:7], v[6:7], v[16:17]
	v_add_f64 v[18:19], v[18:19], v[10:11]
	v_fma_f64 v[6:7], v[8:9], v[14:15], v[6:7]
	;; [unrolled: 31-line block ×3, first 2 shown]
	v_add_f64 v[46:47], v[6:7], v[20:21]
	ds_read_b128 v[6:9], v25 offset:112
	ds_read_b128 v[14:17], v24 offset:3584
	;; [unrolled: 1-line block ×3, first 2 shown]
	s_waitcnt lgkmcnt(1)
	v_mul_f64 v[10:11], v[8:9], v[16:17]
	v_mul_f64 v[12:13], v[6:7], v[16:17]
	v_fma_f64 v[10:11], v[6:7], v[14:15], -v[10:11]
	v_fma_f64 v[12:13], v[8:9], v[14:15], v[12:13]
	v_add_f64 v[18:19], v[36:37], v[10:11]
	s_waitcnt lgkmcnt(0)
	v_mul_f64 v[10:11], v[8:9], v[30:31]
	v_add_f64 v[20:21], v[12:13], v[38:39]
	v_fma_f64 v[10:11], v[6:7], v[28:29], -v[10:11]
	v_mul_f64 v[6:7], v[6:7], v[30:31]
	v_add_f64 v[10:11], v[40:41], v[10:11]
	v_fma_f64 v[6:7], v[8:9], v[28:29], v[6:7]
	v_add_f64 v[12:13], v[6:7], v[42:43]
	ds_read_b128 v[6:9], v25 offset:2160
	s_waitcnt lgkmcnt(0)
	s_barrier
	v_mul_f64 v[36:37], v[8:9], v[16:17]
	v_mul_f64 v[16:17], v[6:7], v[16:17]
	v_fma_f64 v[36:37], v[6:7], v[14:15], -v[36:37]
	v_fma_f64 v[16:17], v[8:9], v[14:15], v[16:17]
	v_add_f64 v[14:15], v[32:33], v[36:37]
	v_mul_f64 v[32:33], v[8:9], v[30:31]
	v_add_f64 v[16:17], v[16:17], v[34:35]
	v_fma_f64 v[32:33], v[6:7], v[28:29], -v[32:33]
	v_mul_f64 v[6:7], v[6:7], v[30:31]
	v_fma_f64 v[6:7], v[8:9], v[28:29], v[6:7]
	v_add_f64 v[8:9], v[44:45], v[32:33]
	v_mov_b32_e32 v29, s7
	v_mov_b32_e32 v28, s6
	v_cmp_le_u64_e32 vcc, s[20:21], v[28:29]
	v_add_f64 v[6:7], v[6:7], v[46:47]
	s_cbranch_vccz .LBB1805_2
	s_branch .LBB1805_4
.LBB1805_3:
	v_mov_b32_e32 v18, 0
	v_mov_b32_e32 v20, 0
	;; [unrolled: 1-line block ×16, first 2 shown]
.LBB1805_4:
	v_add_u32_e32 v4, s17, v1
	v_ashrrev_i32_e32 v1, 31, v4
	v_mul_lo_u32 v3, s18, v1
	v_mul_lo_u32 v5, s19, v4
	v_mad_u64_u32 v[1:2], s[0:1], s18, v4, 0
	s_load_dword s4, s[4:5], 0x0
	v_add_u32_e32 v0, s16, v0
	v_add3_u32 v2, v2, v3, v5
	v_lshlrev_b64 v[1:2], 4, v[1:2]
	s_waitcnt lgkmcnt(0)
	v_mov_b32_e32 v3, s9
	v_add_co_u32_e32 v5, vcc, s8, v1
	v_addc_co_u32_e32 v22, vcc, v3, v2, vcc
	v_cmp_le_i32_e64 s[0:1], v4, v0
	v_cmp_gt_i32_e32 vcc, s4, v0
	s_and_b64 s[0:1], s[0:1], vcc
	s_and_saveexec_b64 s[2:3], s[0:1]
	s_cbranch_execz .LBB1805_6
; %bb.5:
	v_ashrrev_i32_e32 v1, 31, v0
	v_lshlrev_b64 v[1:2], 4, v[0:1]
	v_mul_f64 v[27:28], s[22:23], v[20:21]
	v_add_co_u32_e64 v1, s[0:1], v5, v1
	v_addc_co_u32_e64 v2, s[0:1], v22, v2, s[0:1]
	flat_load_dwordx4 v[23:26], v[1:2]
	v_mul_f64 v[20:21], s[24:25], v[20:21]
	v_cmp_ne_u32_e64 s[0:1], v4, v0
	v_fma_f64 v[27:28], s[24:25], v[18:19], v[27:28]
	v_fma_f64 v[18:19], s[22:23], v[18:19], -v[20:21]
	s_waitcnt vmcnt(0) lgkmcnt(0)
	v_mul_f64 v[29:30], s[12:13], v[25:26]
	v_mul_f64 v[25:26], s[14:15], v[25:26]
	v_fma_f64 v[29:30], s[14:15], v[23:24], v[29:30]
	v_fma_f64 v[20:21], s[12:13], v[23:24], -v[25:26]
	v_add_f64 v[23:24], v[27:28], v[29:30]
	v_add_f64 v[18:19], v[18:19], v[20:21]
	v_cndmask_b32_e64 v21, 0, v24, s[0:1]
	v_cndmask_b32_e64 v20, 0, v23, s[0:1]
	flat_store_dwordx4 v[1:2], v[18:21]
.LBB1805_6:
	s_or_b64 exec, exec, s[2:3]
	v_add_u32_e32 v2, 16, v0
	v_cmp_le_i32_e64 s[2:3], v4, v2
	v_cmp_gt_i32_e64 s[0:1], s4, v2
	s_and_b64 s[2:3], s[2:3], s[0:1]
	s_and_saveexec_b64 s[4:5], s[2:3]
	s_cbranch_execz .LBB1805_8
; %bb.7:
	v_ashrrev_i32_e32 v3, 31, v2
	v_lshlrev_b64 v[18:19], 4, v[2:3]
	v_mul_f64 v[25:26], s[22:23], v[12:13]
	v_add_co_u32_e64 v23, s[2:3], v5, v18
	v_addc_co_u32_e64 v24, s[2:3], v22, v19, s[2:3]
	flat_load_dwordx4 v[18:21], v[23:24]
	v_mul_f64 v[12:13], s[24:25], v[12:13]
	v_cmp_ne_u32_e64 s[2:3], v4, v2
	v_fma_f64 v[25:26], s[24:25], v[10:11], v[25:26]
	v_fma_f64 v[10:11], s[22:23], v[10:11], -v[12:13]
	s_waitcnt vmcnt(0) lgkmcnt(0)
	v_mul_f64 v[27:28], s[12:13], v[20:21]
	v_mul_f64 v[20:21], s[14:15], v[20:21]
	v_fma_f64 v[27:28], s[14:15], v[18:19], v[27:28]
	v_fma_f64 v[12:13], s[12:13], v[18:19], -v[20:21]
	v_add_f64 v[18:19], v[25:26], v[27:28]
	v_add_f64 v[10:11], v[10:11], v[12:13]
	v_cndmask_b32_e64 v13, 0, v19, s[2:3]
	v_cndmask_b32_e64 v12, 0, v18, s[2:3]
	flat_store_dwordx4 v[23:24], v[10:13]
.LBB1805_8:
	s_or_b64 exec, exec, s[4:5]
	v_add_u32_e32 v3, 16, v4
	v_ashrrev_i32_e32 v1, 31, v3
	v_mul_lo_u32 v5, s19, v3
	v_mad_u64_u32 v[10:11], s[2:3], s18, v3, 0
	v_mul_lo_u32 v1, s18, v1
	v_add3_u32 v11, v11, v1, v5
	v_lshlrev_b64 v[10:11], 4, v[10:11]
	v_mov_b32_e32 v1, s9
	v_add_co_u32_e64 v5, s[2:3], s8, v10
	v_addc_co_u32_e64 v10, s[2:3], v1, v11, s[2:3]
	v_cmp_le_i32_e64 s[2:3], v3, v0
	s_and_b64 s[4:5], s[2:3], vcc
	s_and_saveexec_b64 s[2:3], s[4:5]
	s_cbranch_execz .LBB1805_10
; %bb.9:
	v_ashrrev_i32_e32 v1, 31, v0
	v_lshlrev_b64 v[11:12], 4, v[0:1]
	v_add_co_u32_e32 v22, vcc, v5, v11
	v_addc_co_u32_e32 v23, vcc, v10, v12, vcc
	flat_load_dwordx4 v[18:21], v[22:23]
	v_mul_f64 v[11:12], s[22:23], v[16:17]
	v_mul_f64 v[16:17], s[24:25], v[16:17]
	v_cmp_ne_u32_e32 vcc, v3, v0
	v_fma_f64 v[11:12], s[24:25], v[14:15], v[11:12]
	v_fma_f64 v[13:14], s[22:23], v[14:15], -v[16:17]
	s_waitcnt vmcnt(0) lgkmcnt(0)
	v_mul_f64 v[24:25], s[12:13], v[20:21]
	v_mul_f64 v[20:21], s[14:15], v[20:21]
	v_fma_f64 v[24:25], s[14:15], v[18:19], v[24:25]
	v_fma_f64 v[15:16], s[12:13], v[18:19], -v[20:21]
	v_add_f64 v[17:18], v[11:12], v[24:25]
	v_add_f64 v[11:12], v[13:14], v[15:16]
	v_cndmask_b32_e32 v14, 0, v18, vcc
	v_cndmask_b32_e32 v13, 0, v17, vcc
	flat_store_dwordx4 v[22:23], v[11:14]
.LBB1805_10:
	s_or_b64 exec, exec, s[2:3]
	v_cmp_le_i32_e32 vcc, v3, v2
	s_and_b64 s[0:1], vcc, s[0:1]
	s_and_saveexec_b64 s[2:3], s[0:1]
	s_cbranch_execz .LBB1805_12
; %bb.11:
	v_ashrrev_i32_e32 v3, 31, v2
	v_lshlrev_b64 v[1:2], 4, v[2:3]
	v_add_co_u32_e32 v14, vcc, v5, v1
	v_addc_co_u32_e32 v15, vcc, v10, v2, vcc
	flat_load_dwordx4 v[10:13], v[14:15]
	v_mul_f64 v[1:2], s[22:23], v[6:7]
	v_mul_f64 v[5:6], s[24:25], v[6:7]
	v_cmp_ne_u32_e32 vcc, v4, v0
	v_fma_f64 v[1:2], s[24:25], v[8:9], v[1:2]
	v_fma_f64 v[5:6], s[22:23], v[8:9], -v[5:6]
	s_waitcnt vmcnt(0) lgkmcnt(0)
	v_mul_f64 v[16:17], s[12:13], v[12:13]
	v_mul_f64 v[12:13], s[14:15], v[12:13]
	v_fma_f64 v[16:17], s[14:15], v[10:11], v[16:17]
	v_fma_f64 v[7:8], s[12:13], v[10:11], -v[12:13]
	v_add_f64 v[9:10], v[1:2], v[16:17]
	v_add_f64 v[1:2], v[5:6], v[7:8]
	v_cndmask_b32_e32 v4, 0, v10, vcc
	v_cndmask_b32_e32 v3, 0, v9, vcc
	flat_store_dwordx4 v[14:15], v[1:4]
.LBB1805_12:
	s_endpgm
	.section	.rodata,"a",@progbits
	.p2align	6, 0x0
	.amdhsa_kernel _ZL37rocblas_syrkx_herkx_restricted_kernelIl19rocblas_complex_numIdELi16ELi32ELi8ELb0ELb1ELc78ELc76EKPKS1_KPS1_EviT_T0_PT8_S7_lSA_S7_lS8_PT9_S7_li
		.amdhsa_group_segment_fixed_size 8192
		.amdhsa_private_segment_fixed_size 0
		.amdhsa_kernarg_size 124
		.amdhsa_user_sgpr_count 6
		.amdhsa_user_sgpr_private_segment_buffer 1
		.amdhsa_user_sgpr_dispatch_ptr 0
		.amdhsa_user_sgpr_queue_ptr 0
		.amdhsa_user_sgpr_kernarg_segment_ptr 1
		.amdhsa_user_sgpr_dispatch_id 0
		.amdhsa_user_sgpr_flat_scratch_init 0
		.amdhsa_user_sgpr_private_segment_size 0
		.amdhsa_uses_dynamic_stack 0
		.amdhsa_system_sgpr_private_segment_wavefront_offset 0
		.amdhsa_system_sgpr_workgroup_id_x 1
		.amdhsa_system_sgpr_workgroup_id_y 1
		.amdhsa_system_sgpr_workgroup_id_z 1
		.amdhsa_system_sgpr_workgroup_info 0
		.amdhsa_system_vgpr_workitem_id 1
		.amdhsa_next_free_vgpr 54
		.amdhsa_next_free_sgpr 61
		.amdhsa_reserve_vcc 1
		.amdhsa_reserve_flat_scratch 0
		.amdhsa_float_round_mode_32 0
		.amdhsa_float_round_mode_16_64 0
		.amdhsa_float_denorm_mode_32 3
		.amdhsa_float_denorm_mode_16_64 3
		.amdhsa_dx10_clamp 1
		.amdhsa_ieee_mode 1
		.amdhsa_fp16_overflow 0
		.amdhsa_exception_fp_ieee_invalid_op 0
		.amdhsa_exception_fp_denorm_src 0
		.amdhsa_exception_fp_ieee_div_zero 0
		.amdhsa_exception_fp_ieee_overflow 0
		.amdhsa_exception_fp_ieee_underflow 0
		.amdhsa_exception_fp_ieee_inexact 0
		.amdhsa_exception_int_div_zero 0
	.end_amdhsa_kernel
	.section	.text._ZL37rocblas_syrkx_herkx_restricted_kernelIl19rocblas_complex_numIdELi16ELi32ELi8ELb0ELb1ELc78ELc76EKPKS1_KPS1_EviT_T0_PT8_S7_lSA_S7_lS8_PT9_S7_li,"axG",@progbits,_ZL37rocblas_syrkx_herkx_restricted_kernelIl19rocblas_complex_numIdELi16ELi32ELi8ELb0ELb1ELc78ELc76EKPKS1_KPS1_EviT_T0_PT8_S7_lSA_S7_lS8_PT9_S7_li,comdat
.Lfunc_end1805:
	.size	_ZL37rocblas_syrkx_herkx_restricted_kernelIl19rocblas_complex_numIdELi16ELi32ELi8ELb0ELb1ELc78ELc76EKPKS1_KPS1_EviT_T0_PT8_S7_lSA_S7_lS8_PT9_S7_li, .Lfunc_end1805-_ZL37rocblas_syrkx_herkx_restricted_kernelIl19rocblas_complex_numIdELi16ELi32ELi8ELb0ELb1ELc78ELc76EKPKS1_KPS1_EviT_T0_PT8_S7_lSA_S7_lS8_PT9_S7_li
                                        ; -- End function
	.set _ZL37rocblas_syrkx_herkx_restricted_kernelIl19rocblas_complex_numIdELi16ELi32ELi8ELb0ELb1ELc78ELc76EKPKS1_KPS1_EviT_T0_PT8_S7_lSA_S7_lS8_PT9_S7_li.num_vgpr, 54
	.set _ZL37rocblas_syrkx_herkx_restricted_kernelIl19rocblas_complex_numIdELi16ELi32ELi8ELb0ELb1ELc78ELc76EKPKS1_KPS1_EviT_T0_PT8_S7_lSA_S7_lS8_PT9_S7_li.num_agpr, 0
	.set _ZL37rocblas_syrkx_herkx_restricted_kernelIl19rocblas_complex_numIdELi16ELi32ELi8ELb0ELb1ELc78ELc76EKPKS1_KPS1_EviT_T0_PT8_S7_lSA_S7_lS8_PT9_S7_li.numbered_sgpr, 30
	.set _ZL37rocblas_syrkx_herkx_restricted_kernelIl19rocblas_complex_numIdELi16ELi32ELi8ELb0ELb1ELc78ELc76EKPKS1_KPS1_EviT_T0_PT8_S7_lSA_S7_lS8_PT9_S7_li.num_named_barrier, 0
	.set _ZL37rocblas_syrkx_herkx_restricted_kernelIl19rocblas_complex_numIdELi16ELi32ELi8ELb0ELb1ELc78ELc76EKPKS1_KPS1_EviT_T0_PT8_S7_lSA_S7_lS8_PT9_S7_li.private_seg_size, 0
	.set _ZL37rocblas_syrkx_herkx_restricted_kernelIl19rocblas_complex_numIdELi16ELi32ELi8ELb0ELb1ELc78ELc76EKPKS1_KPS1_EviT_T0_PT8_S7_lSA_S7_lS8_PT9_S7_li.uses_vcc, 1
	.set _ZL37rocblas_syrkx_herkx_restricted_kernelIl19rocblas_complex_numIdELi16ELi32ELi8ELb0ELb1ELc78ELc76EKPKS1_KPS1_EviT_T0_PT8_S7_lSA_S7_lS8_PT9_S7_li.uses_flat_scratch, 0
	.set _ZL37rocblas_syrkx_herkx_restricted_kernelIl19rocblas_complex_numIdELi16ELi32ELi8ELb0ELb1ELc78ELc76EKPKS1_KPS1_EviT_T0_PT8_S7_lSA_S7_lS8_PT9_S7_li.has_dyn_sized_stack, 0
	.set _ZL37rocblas_syrkx_herkx_restricted_kernelIl19rocblas_complex_numIdELi16ELi32ELi8ELb0ELb1ELc78ELc76EKPKS1_KPS1_EviT_T0_PT8_S7_lSA_S7_lS8_PT9_S7_li.has_recursion, 0
	.set _ZL37rocblas_syrkx_herkx_restricted_kernelIl19rocblas_complex_numIdELi16ELi32ELi8ELb0ELb1ELc78ELc76EKPKS1_KPS1_EviT_T0_PT8_S7_lSA_S7_lS8_PT9_S7_li.has_indirect_call, 0
	.section	.AMDGPU.csdata,"",@progbits
; Kernel info:
; codeLenInByte = 3260
; TotalNumSgprs: 34
; NumVgprs: 54
; ScratchSize: 0
; MemoryBound: 0
; FloatMode: 240
; IeeeMode: 1
; LDSByteSize: 8192 bytes/workgroup (compile time only)
; SGPRBlocks: 8
; VGPRBlocks: 13
; NumSGPRsForWavesPerEU: 65
; NumVGPRsForWavesPerEU: 54
; Occupancy: 4
; WaveLimiterHint : 1
; COMPUTE_PGM_RSRC2:SCRATCH_EN: 0
; COMPUTE_PGM_RSRC2:USER_SGPR: 6
; COMPUTE_PGM_RSRC2:TRAP_HANDLER: 0
; COMPUTE_PGM_RSRC2:TGID_X_EN: 1
; COMPUTE_PGM_RSRC2:TGID_Y_EN: 1
; COMPUTE_PGM_RSRC2:TGID_Z_EN: 1
; COMPUTE_PGM_RSRC2:TIDIG_COMP_CNT: 1
	.section	.text._ZL37rocblas_syrkx_herkx_restricted_kernelIl19rocblas_complex_numIdELi16ELi32ELi8ELb0ELb1ELc84ELc85EKPKS1_KPS1_EviT_T0_PT8_S7_lSA_S7_lS8_PT9_S7_li,"axG",@progbits,_ZL37rocblas_syrkx_herkx_restricted_kernelIl19rocblas_complex_numIdELi16ELi32ELi8ELb0ELb1ELc84ELc85EKPKS1_KPS1_EviT_T0_PT8_S7_lSA_S7_lS8_PT9_S7_li,comdat
	.globl	_ZL37rocblas_syrkx_herkx_restricted_kernelIl19rocblas_complex_numIdELi16ELi32ELi8ELb0ELb1ELc84ELc85EKPKS1_KPS1_EviT_T0_PT8_S7_lSA_S7_lS8_PT9_S7_li ; -- Begin function _ZL37rocblas_syrkx_herkx_restricted_kernelIl19rocblas_complex_numIdELi16ELi32ELi8ELb0ELb1ELc84ELc85EKPKS1_KPS1_EviT_T0_PT8_S7_lSA_S7_lS8_PT9_S7_li
	.p2align	8
	.type	_ZL37rocblas_syrkx_herkx_restricted_kernelIl19rocblas_complex_numIdELi16ELi32ELi8ELb0ELb1ELc84ELc85EKPKS1_KPS1_EviT_T0_PT8_S7_lSA_S7_lS8_PT9_S7_li,@function
_ZL37rocblas_syrkx_herkx_restricted_kernelIl19rocblas_complex_numIdELi16ELi32ELi8ELb0ELb1ELc84ELc85EKPKS1_KPS1_EviT_T0_PT8_S7_lSA_S7_lS8_PT9_S7_li: ; @_ZL37rocblas_syrkx_herkx_restricted_kernelIl19rocblas_complex_numIdELi16ELi32ELi8ELb0ELb1ELc84ELc85EKPKS1_KPS1_EviT_T0_PT8_S7_lSA_S7_lS8_PT9_S7_li
; %bb.0:
	s_load_dwordx8 s[12:19], s[4:5], 0x50
	s_load_dwordx8 s[20:27], s[4:5], 0x8
	s_load_dwordx2 s[0:1], s[4:5], 0x28
	s_mov_b32 s9, 0
	s_lshl_b64 s[8:9], s[8:9], 3
	s_waitcnt lgkmcnt(0)
	s_add_u32 s2, s16, s8
	s_addc_u32 s3, s17, s9
	s_load_dwordx2 s[2:3], s[2:3], 0x0
	v_cmp_lt_i64_e64 s[10:11], s[20:21], 1
	s_lshl_b32 s6, s6, 5
	s_lshl_b32 s7, s7, 5
	s_and_b64 vcc, exec, s[10:11]
	s_cbranch_vccnz .LBB1806_3
; %bb.1:
	s_load_dwordx4 s[28:31], s[4:5], 0x38
	v_lshl_add_u32 v7, v1, 4, v0
	v_lshrrev_b32_e32 v8, 3, v7
	v_add_u32_e32 v4, s7, v8
	v_and_b32_e32 v2, 7, v0
	v_ashrrev_i32_e32 v5, 31, v4
	v_mov_b32_e32 v3, 0
	s_waitcnt lgkmcnt(0)
	v_mul_lo_u32 v9, s30, v5
	v_mul_lo_u32 v10, s31, v4
	v_mad_u64_u32 v[4:5], s[16:17], s30, v4, v[2:3]
	v_and_b32_e32 v11, 31, v7
	v_lshlrev_b32_e32 v2, 4, v2
	v_lshl_or_b32 v2, v8, 7, v2
	v_add_u32_e32 v8, s6, v11
	v_lshrrev_b32_e32 v6, 5, v7
	v_mov_b32_e32 v7, v3
	v_lshlrev_b32_e32 v3, 4, v11
	v_add_u32_e32 v23, 0x1000, v2
	v_ashrrev_i32_e32 v2, 31, v8
	s_add_u32 s10, s26, s8
	v_add3_u32 v5, v10, v5, v9
	v_lshl_or_b32 v22, v6, 9, v3
	v_mul_lo_u32 v9, s0, v2
	v_mad_u64_u32 v[2:3], s[16:17], s0, v8, v[6:7]
	v_mul_lo_u32 v6, s1, v8
	s_addc_u32 s11, s27, s9
	s_load_dwordx2 s[10:11], s[10:11], 0x0
	s_add_u32 s8, s28, s8
	s_addc_u32 s9, s29, s9
	s_load_dwordx2 s[8:9], s[8:9], 0x0
	v_add3_u32 v3, v6, v3, v9
	v_lshlrev_b64 v[2:3], 4, v[2:3]
	s_waitcnt lgkmcnt(0)
	v_mov_b32_e32 v6, s11
	v_add_co_u32_e32 v2, vcc, s10, v2
	v_lshlrev_b64 v[4:5], 4, v[4:5]
	v_addc_co_u32_e32 v3, vcc, v6, v3, vcc
	v_mov_b32_e32 v7, 0x1000
	v_mov_b32_e32 v6, s9
	v_add_co_u32_e32 v4, vcc, s8, v4
	v_lshl_add_u32 v25, v1, 7, v7
	v_addc_co_u32_e32 v5, vcc, v6, v5, vcc
	v_mov_b32_e32 v6, 0
	v_mov_b32_e32 v8, 0
	;; [unrolled: 1-line block ×8, first 2 shown]
	v_lshlrev_b32_e32 v24, 4, v0
	v_mov_b32_e32 v7, 0
	v_mov_b32_e32 v9, 0
	;; [unrolled: 1-line block ×8, first 2 shown]
	s_mov_b64 s[0:1], 0
.LBB1806_2:                             ; =>This Inner Loop Header: Depth=1
	flat_load_dwordx4 v[26:29], v[2:3]
	s_add_u32 s0, s0, 8
	v_add_co_u32_e32 v2, vcc, 0x80, v2
	s_addc_u32 s1, s1, 0
	v_addc_co_u32_e32 v3, vcc, 0, v3, vcc
	s_waitcnt vmcnt(0) lgkmcnt(0)
	ds_write_b128 v22, v[26:29]
	flat_load_dwordx4 v[26:29], v[4:5]
	v_add_co_u32_e32 v4, vcc, 0x80, v4
	v_addc_co_u32_e32 v5, vcc, 0, v5, vcc
	s_waitcnt vmcnt(0) lgkmcnt(0)
	ds_write_b128 v23, v[26:29]
	s_waitcnt lgkmcnt(0)
	s_barrier
	ds_read_b128 v[26:29], v25
	ds_read_b128 v[30:33], v25 offset:16
	ds_read_b128 v[34:37], v25 offset:32
	;; [unrolled: 1-line block ×3, first 2 shown]
	ds_read_b128 v[42:45], v24
	s_waitcnt lgkmcnt(0)
	v_mul_f64 v[46:47], v[28:29], v[44:45]
	v_mul_f64 v[48:49], v[26:27], v[44:45]
	v_fma_f64 v[46:47], v[26:27], v[42:43], -v[46:47]
	v_fma_f64 v[48:49], v[28:29], v[42:43], v[48:49]
	v_add_f64 v[46:47], v[18:19], v[46:47]
	v_add_f64 v[48:49], v[48:49], v[20:21]
	ds_read_b128 v[18:21], v24 offset:256
	s_waitcnt lgkmcnt(0)
	v_mul_f64 v[50:51], v[28:29], v[20:21]
	v_fma_f64 v[50:51], v[26:27], v[18:19], -v[50:51]
	v_mul_f64 v[26:27], v[26:27], v[20:21]
	v_fma_f64 v[26:27], v[28:29], v[18:19], v[26:27]
	v_add_f64 v[28:29], v[10:11], v[50:51]
	v_add_f64 v[26:27], v[26:27], v[12:13]
	ds_read_b128 v[10:13], v25 offset:2048
	s_waitcnt lgkmcnt(0)
	v_mul_f64 v[50:51], v[12:13], v[44:45]
	v_mul_f64 v[44:45], v[10:11], v[44:45]
	v_fma_f64 v[50:51], v[10:11], v[42:43], -v[50:51]
	v_fma_f64 v[42:43], v[12:13], v[42:43], v[44:45]
	v_add_f64 v[44:45], v[14:15], v[50:51]
	v_mul_f64 v[14:15], v[12:13], v[20:21]
	v_add_f64 v[42:43], v[42:43], v[16:17]
	v_fma_f64 v[14:15], v[10:11], v[18:19], -v[14:15]
	v_mul_f64 v[10:11], v[10:11], v[20:21]
	v_fma_f64 v[10:11], v[12:13], v[18:19], v[10:11]
	v_add_f64 v[18:19], v[8:9], v[14:15]
	v_add_f64 v[20:21], v[10:11], v[6:7]
	ds_read_b128 v[6:9], v24 offset:512
	s_waitcnt lgkmcnt(0)
	v_mul_f64 v[10:11], v[32:33], v[8:9]
	v_mul_f64 v[12:13], v[30:31], v[8:9]
	v_fma_f64 v[10:11], v[30:31], v[6:7], -v[10:11]
	v_fma_f64 v[12:13], v[32:33], v[6:7], v[12:13]
	v_add_f64 v[46:47], v[46:47], v[10:11]
	v_add_f64 v[48:49], v[12:13], v[48:49]
	ds_read_b128 v[10:13], v24 offset:768
	s_waitcnt lgkmcnt(0)
	v_mul_f64 v[14:15], v[32:33], v[12:13]
	v_mul_f64 v[16:17], v[30:31], v[12:13]
	v_fma_f64 v[14:15], v[30:31], v[10:11], -v[14:15]
	;; [unrolled: 8-line block ×3, first 2 shown]
	v_fma_f64 v[6:7], v[16:17], v[6:7], v[8:9]
	v_mul_f64 v[8:9], v[14:15], v[12:13]
	v_add_f64 v[30:31], v[44:45], v[30:31]
	v_add_f64 v[32:33], v[6:7], v[42:43]
	v_mul_f64 v[6:7], v[16:17], v[12:13]
	v_fma_f64 v[8:9], v[16:17], v[10:11], v[8:9]
	v_fma_f64 v[6:7], v[14:15], v[10:11], -v[6:7]
	v_add_f64 v[20:21], v[8:9], v[20:21]
	v_add_f64 v[18:19], v[18:19], v[6:7]
	ds_read_b128 v[6:9], v24 offset:1024
	s_waitcnt lgkmcnt(0)
	v_mul_f64 v[10:11], v[36:37], v[8:9]
	v_mul_f64 v[12:13], v[34:35], v[8:9]
	v_fma_f64 v[10:11], v[34:35], v[6:7], -v[10:11]
	v_fma_f64 v[12:13], v[36:37], v[6:7], v[12:13]
	v_add_f64 v[42:43], v[46:47], v[10:11]
	v_add_f64 v[44:45], v[12:13], v[48:49]
	ds_read_b128 v[10:13], v24 offset:1280
	s_waitcnt lgkmcnt(0)
	v_mul_f64 v[14:15], v[36:37], v[12:13]
	v_mul_f64 v[16:17], v[34:35], v[12:13]
	v_fma_f64 v[14:15], v[34:35], v[10:11], -v[14:15]
	v_fma_f64 v[16:17], v[36:37], v[10:11], v[16:17]
	;; [unrolled: 8-line block ×3, first 2 shown]
	v_mul_f64 v[8:9], v[14:15], v[12:13]
	v_add_f64 v[30:31], v[30:31], v[34:35]
	v_add_f64 v[32:33], v[6:7], v[32:33]
	v_mul_f64 v[6:7], v[16:17], v[12:13]
	v_fma_f64 v[8:9], v[16:17], v[10:11], v[8:9]
	v_fma_f64 v[6:7], v[14:15], v[10:11], -v[6:7]
	v_add_f64 v[20:21], v[8:9], v[20:21]
	v_add_f64 v[18:19], v[18:19], v[6:7]
	ds_read_b128 v[6:9], v24 offset:1536
	s_waitcnt lgkmcnt(0)
	v_mul_f64 v[10:11], v[40:41], v[8:9]
	v_mul_f64 v[12:13], v[38:39], v[8:9]
	v_fma_f64 v[10:11], v[38:39], v[6:7], -v[10:11]
	v_fma_f64 v[12:13], v[40:41], v[6:7], v[12:13]
	v_add_f64 v[34:35], v[42:43], v[10:11]
	v_add_f64 v[36:37], v[12:13], v[44:45]
	ds_read_b128 v[10:13], v24 offset:1792
	s_waitcnt lgkmcnt(0)
	v_mul_f64 v[14:15], v[40:41], v[12:13]
	v_mul_f64 v[16:17], v[38:39], v[12:13]
	v_fma_f64 v[14:15], v[38:39], v[10:11], -v[14:15]
	v_fma_f64 v[16:17], v[40:41], v[10:11], v[16:17]
	;; [unrolled: 8-line block ×3, first 2 shown]
	v_mul_f64 v[8:9], v[14:15], v[12:13]
	v_add_f64 v[30:31], v[30:31], v[38:39]
	v_add_f64 v[32:33], v[6:7], v[32:33]
	v_mul_f64 v[6:7], v[16:17], v[12:13]
	v_fma_f64 v[8:9], v[16:17], v[10:11], v[8:9]
	v_fma_f64 v[6:7], v[14:15], v[10:11], -v[6:7]
	v_add_f64 v[20:21], v[8:9], v[20:21]
	v_add_f64 v[18:19], v[18:19], v[6:7]
	ds_read_b128 v[6:9], v25 offset:64
	ds_read_b128 v[10:13], v24 offset:2048
	s_waitcnt lgkmcnt(0)
	v_mul_f64 v[14:15], v[8:9], v[12:13]
	v_mul_f64 v[16:17], v[6:7], v[12:13]
	v_fma_f64 v[14:15], v[6:7], v[10:11], -v[14:15]
	v_fma_f64 v[16:17], v[8:9], v[10:11], v[16:17]
	v_add_f64 v[34:35], v[34:35], v[14:15]
	v_add_f64 v[36:37], v[16:17], v[36:37]
	ds_read_b128 v[14:17], v24 offset:2304
	s_waitcnt lgkmcnt(0)
	v_mul_f64 v[38:39], v[8:9], v[16:17]
	v_fma_f64 v[38:39], v[6:7], v[14:15], -v[38:39]
	v_mul_f64 v[6:7], v[6:7], v[16:17]
	v_add_f64 v[28:29], v[28:29], v[38:39]
	v_fma_f64 v[6:7], v[8:9], v[14:15], v[6:7]
	v_add_f64 v[26:27], v[6:7], v[26:27]
	ds_read_b128 v[6:9], v25 offset:2112
	s_waitcnt lgkmcnt(0)
	v_mul_f64 v[38:39], v[8:9], v[12:13]
	v_mul_f64 v[12:13], v[6:7], v[12:13]
	v_fma_f64 v[38:39], v[6:7], v[10:11], -v[38:39]
	v_fma_f64 v[10:11], v[8:9], v[10:11], v[12:13]
	v_add_f64 v[30:31], v[30:31], v[38:39]
	v_add_f64 v[32:33], v[10:11], v[32:33]
	v_mul_f64 v[10:11], v[8:9], v[16:17]
	v_fma_f64 v[10:11], v[6:7], v[14:15], -v[10:11]
	v_mul_f64 v[6:7], v[6:7], v[16:17]
	v_add_f64 v[18:19], v[18:19], v[10:11]
	v_fma_f64 v[6:7], v[8:9], v[14:15], v[6:7]
	v_add_f64 v[20:21], v[6:7], v[20:21]
	ds_read_b128 v[6:9], v25 offset:80
	ds_read_b128 v[10:13], v24 offset:2560
	s_waitcnt lgkmcnt(0)
	v_mul_f64 v[14:15], v[8:9], v[12:13]
	v_mul_f64 v[16:17], v[6:7], v[12:13]
	v_fma_f64 v[14:15], v[6:7], v[10:11], -v[14:15]
	v_fma_f64 v[16:17], v[8:9], v[10:11], v[16:17]
	v_add_f64 v[34:35], v[34:35], v[14:15]
	v_add_f64 v[36:37], v[16:17], v[36:37]
	ds_read_b128 v[14:17], v24 offset:2816
	s_waitcnt lgkmcnt(0)
	v_mul_f64 v[38:39], v[8:9], v[16:17]
	v_fma_f64 v[38:39], v[6:7], v[14:15], -v[38:39]
	v_mul_f64 v[6:7], v[6:7], v[16:17]
	v_add_f64 v[28:29], v[28:29], v[38:39]
	v_fma_f64 v[6:7], v[8:9], v[14:15], v[6:7]
	v_add_f64 v[26:27], v[6:7], v[26:27]
	ds_read_b128 v[6:9], v25 offset:2128
	s_waitcnt lgkmcnt(0)
	v_mul_f64 v[38:39], v[8:9], v[12:13]
	v_mul_f64 v[12:13], v[6:7], v[12:13]
	v_fma_f64 v[38:39], v[6:7], v[10:11], -v[38:39]
	v_fma_f64 v[10:11], v[8:9], v[10:11], v[12:13]
	v_add_f64 v[30:31], v[30:31], v[38:39]
	v_add_f64 v[32:33], v[10:11], v[32:33]
	v_mul_f64 v[10:11], v[8:9], v[16:17]
	v_fma_f64 v[10:11], v[6:7], v[14:15], -v[10:11]
	v_mul_f64 v[6:7], v[6:7], v[16:17]
	v_add_f64 v[18:19], v[18:19], v[10:11]
	v_fma_f64 v[6:7], v[8:9], v[14:15], v[6:7]
	;; [unrolled: 31-line block ×3, first 2 shown]
	v_add_f64 v[44:45], v[6:7], v[20:21]
	ds_read_b128 v[6:9], v25 offset:112
	ds_read_b128 v[14:17], v24 offset:3584
	;; [unrolled: 1-line block ×3, first 2 shown]
	s_waitcnt lgkmcnt(1)
	v_mul_f64 v[10:11], v[8:9], v[16:17]
	v_mul_f64 v[12:13], v[6:7], v[16:17]
	v_fma_f64 v[10:11], v[6:7], v[14:15], -v[10:11]
	v_fma_f64 v[12:13], v[8:9], v[14:15], v[12:13]
	v_add_f64 v[18:19], v[34:35], v[10:11]
	s_waitcnt lgkmcnt(0)
	v_mul_f64 v[10:11], v[8:9], v[28:29]
	v_add_f64 v[20:21], v[12:13], v[36:37]
	v_fma_f64 v[10:11], v[6:7], v[26:27], -v[10:11]
	v_mul_f64 v[6:7], v[6:7], v[28:29]
	v_add_f64 v[10:11], v[38:39], v[10:11]
	v_fma_f64 v[6:7], v[8:9], v[26:27], v[6:7]
	v_add_f64 v[12:13], v[6:7], v[40:41]
	ds_read_b128 v[6:9], v25 offset:2160
	s_waitcnt lgkmcnt(0)
	s_barrier
	v_mul_f64 v[34:35], v[8:9], v[16:17]
	v_mul_f64 v[16:17], v[6:7], v[16:17]
	v_fma_f64 v[34:35], v[6:7], v[14:15], -v[34:35]
	v_fma_f64 v[16:17], v[8:9], v[14:15], v[16:17]
	v_add_f64 v[14:15], v[30:31], v[34:35]
	v_mul_f64 v[30:31], v[8:9], v[28:29]
	v_add_f64 v[16:17], v[16:17], v[32:33]
	v_fma_f64 v[30:31], v[6:7], v[26:27], -v[30:31]
	v_mul_f64 v[6:7], v[6:7], v[28:29]
	v_fma_f64 v[6:7], v[8:9], v[26:27], v[6:7]
	v_add_f64 v[8:9], v[42:43], v[30:31]
	v_mov_b32_e32 v27, s1
	v_mov_b32_e32 v26, s0
	v_cmp_le_u64_e32 vcc, s[20:21], v[26:27]
	v_add_f64 v[6:7], v[6:7], v[44:45]
	s_cbranch_vccz .LBB1806_2
	s_branch .LBB1806_4
.LBB1806_3:
	v_mov_b32_e32 v18, 0
	v_mov_b32_e32 v20, 0
	;; [unrolled: 1-line block ×16, first 2 shown]
.LBB1806_4:
	v_add_u32_e32 v4, s7, v1
	v_ashrrev_i32_e32 v1, 31, v4
	v_mul_lo_u32 v3, s18, v1
	v_mul_lo_u32 v5, s19, v4
	v_mad_u64_u32 v[1:2], s[0:1], s18, v4, 0
	s_load_dword s8, s[4:5], 0x0
	v_add_u32_e32 v0, s6, v0
	v_add3_u32 v2, v2, v3, v5
	v_lshlrev_b64 v[1:2], 4, v[1:2]
	s_waitcnt lgkmcnt(0)
	v_mov_b32_e32 v3, s3
	v_add_co_u32_e64 v5, s[0:1], s2, v1
	v_addc_co_u32_e64 v22, s[0:1], v3, v2, s[0:1]
	v_cmp_gt_i32_e32 vcc, s8, v4
	v_cmp_le_i32_e64 s[0:1], v0, v4
	s_and_b64 s[0:1], vcc, s[0:1]
	s_and_saveexec_b64 s[4:5], s[0:1]
	s_cbranch_execz .LBB1806_6
; %bb.5:
	v_ashrrev_i32_e32 v1, 31, v0
	v_lshlrev_b64 v[1:2], 4, v[0:1]
	v_mul_f64 v[27:28], s[22:23], v[20:21]
	v_add_co_u32_e64 v1, s[0:1], v5, v1
	v_addc_co_u32_e64 v2, s[0:1], v22, v2, s[0:1]
	flat_load_dwordx4 v[23:26], v[1:2]
	v_mul_f64 v[20:21], s[24:25], v[20:21]
	v_cmp_ne_u32_e64 s[0:1], v4, v0
	v_fma_f64 v[27:28], s[24:25], v[18:19], v[27:28]
	v_fma_f64 v[18:19], s[22:23], v[18:19], -v[20:21]
	s_waitcnt vmcnt(0) lgkmcnt(0)
	v_mul_f64 v[29:30], s[12:13], v[25:26]
	v_mul_f64 v[25:26], s[14:15], v[25:26]
	v_fma_f64 v[29:30], s[14:15], v[23:24], v[29:30]
	v_fma_f64 v[20:21], s[12:13], v[23:24], -v[25:26]
	v_add_f64 v[23:24], v[27:28], v[29:30]
	v_add_f64 v[18:19], v[18:19], v[20:21]
	v_cndmask_b32_e64 v21, 0, v24, s[0:1]
	v_cndmask_b32_e64 v20, 0, v23, s[0:1]
	flat_store_dwordx4 v[1:2], v[18:21]
.LBB1806_6:
	s_or_b64 exec, exec, s[4:5]
	v_add_u32_e32 v2, 16, v0
	v_cmp_le_i32_e64 s[0:1], v2, v4
	s_and_b64 s[4:5], vcc, s[0:1]
	s_and_saveexec_b64 s[0:1], s[4:5]
	s_cbranch_execz .LBB1806_8
; %bb.7:
	v_ashrrev_i32_e32 v3, 31, v2
	v_lshlrev_b64 v[18:19], 4, v[2:3]
	v_mul_f64 v[25:26], s[22:23], v[12:13]
	v_add_co_u32_e32 v23, vcc, v5, v18
	v_addc_co_u32_e32 v24, vcc, v22, v19, vcc
	flat_load_dwordx4 v[18:21], v[23:24]
	v_mul_f64 v[12:13], s[24:25], v[12:13]
	v_cmp_ne_u32_e32 vcc, v4, v2
	v_fma_f64 v[25:26], s[24:25], v[10:11], v[25:26]
	v_fma_f64 v[10:11], s[22:23], v[10:11], -v[12:13]
	s_waitcnt vmcnt(0) lgkmcnt(0)
	v_mul_f64 v[27:28], s[12:13], v[20:21]
	v_mul_f64 v[20:21], s[14:15], v[20:21]
	v_fma_f64 v[27:28], s[14:15], v[18:19], v[27:28]
	v_fma_f64 v[12:13], s[12:13], v[18:19], -v[20:21]
	v_add_f64 v[18:19], v[25:26], v[27:28]
	v_add_f64 v[10:11], v[10:11], v[12:13]
	v_cndmask_b32_e32 v13, 0, v19, vcc
	v_cndmask_b32_e32 v12, 0, v18, vcc
	flat_store_dwordx4 v[23:24], v[10:13]
.LBB1806_8:
	s_or_b64 exec, exec, s[0:1]
	v_add_u32_e32 v3, 16, v4
	v_ashrrev_i32_e32 v1, 31, v3
	v_mul_lo_u32 v1, s18, v1
	v_mul_lo_u32 v5, s19, v3
	v_mad_u64_u32 v[10:11], s[0:1], s18, v3, 0
	v_cmp_gt_i32_e32 vcc, s8, v3
	v_add3_u32 v11, v11, v1, v5
	v_lshlrev_b64 v[10:11], 4, v[10:11]
	v_mov_b32_e32 v1, s3
	v_add_co_u32_e64 v5, s[0:1], s2, v10
	v_addc_co_u32_e64 v10, s[0:1], v1, v11, s[0:1]
	v_cmp_le_i32_e64 s[0:1], v0, v3
	s_and_b64 s[0:1], vcc, s[0:1]
	s_and_saveexec_b64 s[2:3], s[0:1]
	s_cbranch_execz .LBB1806_10
; %bb.9:
	v_ashrrev_i32_e32 v1, 31, v0
	v_lshlrev_b64 v[11:12], 4, v[0:1]
	v_add_co_u32_e64 v22, s[0:1], v5, v11
	v_addc_co_u32_e64 v23, s[0:1], v10, v12, s[0:1]
	flat_load_dwordx4 v[18:21], v[22:23]
	v_mul_f64 v[11:12], s[22:23], v[16:17]
	v_mul_f64 v[16:17], s[24:25], v[16:17]
	v_cmp_ne_u32_e64 s[0:1], v3, v0
	v_fma_f64 v[11:12], s[24:25], v[14:15], v[11:12]
	v_fma_f64 v[13:14], s[22:23], v[14:15], -v[16:17]
	s_waitcnt vmcnt(0) lgkmcnt(0)
	v_mul_f64 v[24:25], s[12:13], v[20:21]
	v_mul_f64 v[20:21], s[14:15], v[20:21]
	v_fma_f64 v[24:25], s[14:15], v[18:19], v[24:25]
	v_fma_f64 v[15:16], s[12:13], v[18:19], -v[20:21]
	v_add_f64 v[17:18], v[11:12], v[24:25]
	v_add_f64 v[11:12], v[13:14], v[15:16]
	v_cndmask_b32_e64 v14, 0, v18, s[0:1]
	v_cndmask_b32_e64 v13, 0, v17, s[0:1]
	flat_store_dwordx4 v[22:23], v[11:14]
.LBB1806_10:
	s_or_b64 exec, exec, s[2:3]
	v_cmp_le_i32_e64 s[0:1], v2, v3
	s_and_b64 s[0:1], vcc, s[0:1]
	s_and_saveexec_b64 s[2:3], s[0:1]
	s_cbranch_execz .LBB1806_12
; %bb.11:
	v_ashrrev_i32_e32 v3, 31, v2
	v_lshlrev_b64 v[1:2], 4, v[2:3]
	v_add_co_u32_e32 v14, vcc, v5, v1
	v_addc_co_u32_e32 v15, vcc, v10, v2, vcc
	flat_load_dwordx4 v[10:13], v[14:15]
	v_mul_f64 v[1:2], s[22:23], v[6:7]
	v_mul_f64 v[5:6], s[24:25], v[6:7]
	v_cmp_ne_u32_e32 vcc, v4, v0
	v_fma_f64 v[1:2], s[24:25], v[8:9], v[1:2]
	v_fma_f64 v[5:6], s[22:23], v[8:9], -v[5:6]
	s_waitcnt vmcnt(0) lgkmcnt(0)
	v_mul_f64 v[16:17], s[12:13], v[12:13]
	v_mul_f64 v[12:13], s[14:15], v[12:13]
	v_fma_f64 v[16:17], s[14:15], v[10:11], v[16:17]
	v_fma_f64 v[7:8], s[12:13], v[10:11], -v[12:13]
	v_add_f64 v[9:10], v[1:2], v[16:17]
	v_add_f64 v[1:2], v[5:6], v[7:8]
	v_cndmask_b32_e32 v4, 0, v10, vcc
	v_cndmask_b32_e32 v3, 0, v9, vcc
	flat_store_dwordx4 v[14:15], v[1:4]
.LBB1806_12:
	s_endpgm
	.section	.rodata,"a",@progbits
	.p2align	6, 0x0
	.amdhsa_kernel _ZL37rocblas_syrkx_herkx_restricted_kernelIl19rocblas_complex_numIdELi16ELi32ELi8ELb0ELb1ELc84ELc85EKPKS1_KPS1_EviT_T0_PT8_S7_lSA_S7_lS8_PT9_S7_li
		.amdhsa_group_segment_fixed_size 8192
		.amdhsa_private_segment_fixed_size 0
		.amdhsa_kernarg_size 124
		.amdhsa_user_sgpr_count 6
		.amdhsa_user_sgpr_private_segment_buffer 1
		.amdhsa_user_sgpr_dispatch_ptr 0
		.amdhsa_user_sgpr_queue_ptr 0
		.amdhsa_user_sgpr_kernarg_segment_ptr 1
		.amdhsa_user_sgpr_dispatch_id 0
		.amdhsa_user_sgpr_flat_scratch_init 0
		.amdhsa_user_sgpr_private_segment_size 0
		.amdhsa_uses_dynamic_stack 0
		.amdhsa_system_sgpr_private_segment_wavefront_offset 0
		.amdhsa_system_sgpr_workgroup_id_x 1
		.amdhsa_system_sgpr_workgroup_id_y 1
		.amdhsa_system_sgpr_workgroup_id_z 1
		.amdhsa_system_sgpr_workgroup_info 0
		.amdhsa_system_vgpr_workitem_id 1
		.amdhsa_next_free_vgpr 52
		.amdhsa_next_free_sgpr 61
		.amdhsa_reserve_vcc 1
		.amdhsa_reserve_flat_scratch 0
		.amdhsa_float_round_mode_32 0
		.amdhsa_float_round_mode_16_64 0
		.amdhsa_float_denorm_mode_32 3
		.amdhsa_float_denorm_mode_16_64 3
		.amdhsa_dx10_clamp 1
		.amdhsa_ieee_mode 1
		.amdhsa_fp16_overflow 0
		.amdhsa_exception_fp_ieee_invalid_op 0
		.amdhsa_exception_fp_denorm_src 0
		.amdhsa_exception_fp_ieee_div_zero 0
		.amdhsa_exception_fp_ieee_overflow 0
		.amdhsa_exception_fp_ieee_underflow 0
		.amdhsa_exception_fp_ieee_inexact 0
		.amdhsa_exception_int_div_zero 0
	.end_amdhsa_kernel
	.section	.text._ZL37rocblas_syrkx_herkx_restricted_kernelIl19rocblas_complex_numIdELi16ELi32ELi8ELb0ELb1ELc84ELc85EKPKS1_KPS1_EviT_T0_PT8_S7_lSA_S7_lS8_PT9_S7_li,"axG",@progbits,_ZL37rocblas_syrkx_herkx_restricted_kernelIl19rocblas_complex_numIdELi16ELi32ELi8ELb0ELb1ELc84ELc85EKPKS1_KPS1_EviT_T0_PT8_S7_lSA_S7_lS8_PT9_S7_li,comdat
.Lfunc_end1806:
	.size	_ZL37rocblas_syrkx_herkx_restricted_kernelIl19rocblas_complex_numIdELi16ELi32ELi8ELb0ELb1ELc84ELc85EKPKS1_KPS1_EviT_T0_PT8_S7_lSA_S7_lS8_PT9_S7_li, .Lfunc_end1806-_ZL37rocblas_syrkx_herkx_restricted_kernelIl19rocblas_complex_numIdELi16ELi32ELi8ELb0ELb1ELc84ELc85EKPKS1_KPS1_EviT_T0_PT8_S7_lSA_S7_lS8_PT9_S7_li
                                        ; -- End function
	.set _ZL37rocblas_syrkx_herkx_restricted_kernelIl19rocblas_complex_numIdELi16ELi32ELi8ELb0ELb1ELc84ELc85EKPKS1_KPS1_EviT_T0_PT8_S7_lSA_S7_lS8_PT9_S7_li.num_vgpr, 52
	.set _ZL37rocblas_syrkx_herkx_restricted_kernelIl19rocblas_complex_numIdELi16ELi32ELi8ELb0ELb1ELc84ELc85EKPKS1_KPS1_EviT_T0_PT8_S7_lSA_S7_lS8_PT9_S7_li.num_agpr, 0
	.set _ZL37rocblas_syrkx_herkx_restricted_kernelIl19rocblas_complex_numIdELi16ELi32ELi8ELb0ELb1ELc84ELc85EKPKS1_KPS1_EviT_T0_PT8_S7_lSA_S7_lS8_PT9_S7_li.numbered_sgpr, 32
	.set _ZL37rocblas_syrkx_herkx_restricted_kernelIl19rocblas_complex_numIdELi16ELi32ELi8ELb0ELb1ELc84ELc85EKPKS1_KPS1_EviT_T0_PT8_S7_lSA_S7_lS8_PT9_S7_li.num_named_barrier, 0
	.set _ZL37rocblas_syrkx_herkx_restricted_kernelIl19rocblas_complex_numIdELi16ELi32ELi8ELb0ELb1ELc84ELc85EKPKS1_KPS1_EviT_T0_PT8_S7_lSA_S7_lS8_PT9_S7_li.private_seg_size, 0
	.set _ZL37rocblas_syrkx_herkx_restricted_kernelIl19rocblas_complex_numIdELi16ELi32ELi8ELb0ELb1ELc84ELc85EKPKS1_KPS1_EviT_T0_PT8_S7_lSA_S7_lS8_PT9_S7_li.uses_vcc, 1
	.set _ZL37rocblas_syrkx_herkx_restricted_kernelIl19rocblas_complex_numIdELi16ELi32ELi8ELb0ELb1ELc84ELc85EKPKS1_KPS1_EviT_T0_PT8_S7_lSA_S7_lS8_PT9_S7_li.uses_flat_scratch, 0
	.set _ZL37rocblas_syrkx_herkx_restricted_kernelIl19rocblas_complex_numIdELi16ELi32ELi8ELb0ELb1ELc84ELc85EKPKS1_KPS1_EviT_T0_PT8_S7_lSA_S7_lS8_PT9_S7_li.has_dyn_sized_stack, 0
	.set _ZL37rocblas_syrkx_herkx_restricted_kernelIl19rocblas_complex_numIdELi16ELi32ELi8ELb0ELb1ELc84ELc85EKPKS1_KPS1_EviT_T0_PT8_S7_lSA_S7_lS8_PT9_S7_li.has_recursion, 0
	.set _ZL37rocblas_syrkx_herkx_restricted_kernelIl19rocblas_complex_numIdELi16ELi32ELi8ELb0ELb1ELc84ELc85EKPKS1_KPS1_EviT_T0_PT8_S7_lSA_S7_lS8_PT9_S7_li.has_indirect_call, 0
	.section	.AMDGPU.csdata,"",@progbits
; Kernel info:
; codeLenInByte = 3280
; TotalNumSgprs: 36
; NumVgprs: 52
; ScratchSize: 0
; MemoryBound: 0
; FloatMode: 240
; IeeeMode: 1
; LDSByteSize: 8192 bytes/workgroup (compile time only)
; SGPRBlocks: 8
; VGPRBlocks: 12
; NumSGPRsForWavesPerEU: 65
; NumVGPRsForWavesPerEU: 52
; Occupancy: 4
; WaveLimiterHint : 1
; COMPUTE_PGM_RSRC2:SCRATCH_EN: 0
; COMPUTE_PGM_RSRC2:USER_SGPR: 6
; COMPUTE_PGM_RSRC2:TRAP_HANDLER: 0
; COMPUTE_PGM_RSRC2:TGID_X_EN: 1
; COMPUTE_PGM_RSRC2:TGID_Y_EN: 1
; COMPUTE_PGM_RSRC2:TGID_Z_EN: 1
; COMPUTE_PGM_RSRC2:TIDIG_COMP_CNT: 1
	.section	.text._ZL37rocblas_syrkx_herkx_restricted_kernelIl19rocblas_complex_numIdELi16ELi32ELi8ELb0ELb1ELc67ELc85EKPKS1_KPS1_EviT_T0_PT8_S7_lSA_S7_lS8_PT9_S7_li,"axG",@progbits,_ZL37rocblas_syrkx_herkx_restricted_kernelIl19rocblas_complex_numIdELi16ELi32ELi8ELb0ELb1ELc67ELc85EKPKS1_KPS1_EviT_T0_PT8_S7_lSA_S7_lS8_PT9_S7_li,comdat
	.globl	_ZL37rocblas_syrkx_herkx_restricted_kernelIl19rocblas_complex_numIdELi16ELi32ELi8ELb0ELb1ELc67ELc85EKPKS1_KPS1_EviT_T0_PT8_S7_lSA_S7_lS8_PT9_S7_li ; -- Begin function _ZL37rocblas_syrkx_herkx_restricted_kernelIl19rocblas_complex_numIdELi16ELi32ELi8ELb0ELb1ELc67ELc85EKPKS1_KPS1_EviT_T0_PT8_S7_lSA_S7_lS8_PT9_S7_li
	.p2align	8
	.type	_ZL37rocblas_syrkx_herkx_restricted_kernelIl19rocblas_complex_numIdELi16ELi32ELi8ELb0ELb1ELc67ELc85EKPKS1_KPS1_EviT_T0_PT8_S7_lSA_S7_lS8_PT9_S7_li,@function
_ZL37rocblas_syrkx_herkx_restricted_kernelIl19rocblas_complex_numIdELi16ELi32ELi8ELb0ELb1ELc67ELc85EKPKS1_KPS1_EviT_T0_PT8_S7_lSA_S7_lS8_PT9_S7_li: ; @_ZL37rocblas_syrkx_herkx_restricted_kernelIl19rocblas_complex_numIdELi16ELi32ELi8ELb0ELb1ELc67ELc85EKPKS1_KPS1_EviT_T0_PT8_S7_lSA_S7_lS8_PT9_S7_li
; %bb.0:
	s_load_dwordx8 s[12:19], s[4:5], 0x50
	s_load_dwordx8 s[20:27], s[4:5], 0x8
	s_load_dwordx2 s[0:1], s[4:5], 0x28
	s_mov_b32 s9, 0
	s_lshl_b64 s[8:9], s[8:9], 3
	s_waitcnt lgkmcnt(0)
	s_add_u32 s2, s16, s8
	s_addc_u32 s3, s17, s9
	s_load_dwordx2 s[2:3], s[2:3], 0x0
	v_cmp_lt_i64_e64 s[10:11], s[20:21], 1
	s_lshl_b32 s6, s6, 5
	s_lshl_b32 s7, s7, 5
	s_and_b64 vcc, exec, s[10:11]
	s_cbranch_vccnz .LBB1807_3
; %bb.1:
	s_load_dwordx4 s[28:31], s[4:5], 0x38
	v_lshl_add_u32 v7, v1, 4, v0
	v_lshrrev_b32_e32 v8, 3, v7
	v_add_u32_e32 v4, s7, v8
	v_and_b32_e32 v2, 7, v0
	v_ashrrev_i32_e32 v5, 31, v4
	v_mov_b32_e32 v3, 0
	s_waitcnt lgkmcnt(0)
	v_mul_lo_u32 v9, s30, v5
	v_mul_lo_u32 v10, s31, v4
	v_mad_u64_u32 v[4:5], s[16:17], s30, v4, v[2:3]
	v_and_b32_e32 v11, 31, v7
	v_lshlrev_b32_e32 v2, 4, v2
	v_lshl_or_b32 v2, v8, 7, v2
	v_add_u32_e32 v8, s6, v11
	v_lshrrev_b32_e32 v6, 5, v7
	v_mov_b32_e32 v7, v3
	v_lshlrev_b32_e32 v3, 4, v11
	v_add_u32_e32 v23, 0x1000, v2
	v_ashrrev_i32_e32 v2, 31, v8
	s_add_u32 s10, s26, s8
	v_add3_u32 v5, v10, v5, v9
	v_lshl_or_b32 v22, v6, 9, v3
	v_mul_lo_u32 v9, s0, v2
	v_mad_u64_u32 v[2:3], s[16:17], s0, v8, v[6:7]
	v_mul_lo_u32 v6, s1, v8
	s_addc_u32 s11, s27, s9
	s_load_dwordx2 s[10:11], s[10:11], 0x0
	s_add_u32 s8, s28, s8
	s_addc_u32 s9, s29, s9
	s_load_dwordx2 s[8:9], s[8:9], 0x0
	v_add3_u32 v3, v6, v3, v9
	v_lshlrev_b64 v[2:3], 4, v[2:3]
	s_waitcnt lgkmcnt(0)
	v_mov_b32_e32 v6, s11
	v_add_co_u32_e32 v2, vcc, s10, v2
	v_lshlrev_b64 v[4:5], 4, v[4:5]
	v_addc_co_u32_e32 v3, vcc, v6, v3, vcc
	v_mov_b32_e32 v7, 0x1000
	v_mov_b32_e32 v6, s9
	v_add_co_u32_e32 v4, vcc, s8, v4
	v_lshl_add_u32 v25, v1, 7, v7
	v_addc_co_u32_e32 v5, vcc, v6, v5, vcc
	v_mov_b32_e32 v6, 0
	v_mov_b32_e32 v8, 0
	;; [unrolled: 1-line block ×8, first 2 shown]
	v_lshlrev_b32_e32 v24, 4, v0
	v_mov_b32_e32 v7, 0
	v_mov_b32_e32 v9, 0
	;; [unrolled: 1-line block ×8, first 2 shown]
	s_mov_b64 s[0:1], 0
.LBB1807_2:                             ; =>This Inner Loop Header: Depth=1
	flat_load_dwordx4 v[26:29], v[2:3]
	s_add_u32 s0, s0, 8
	v_add_co_u32_e32 v2, vcc, 0x80, v2
	s_addc_u32 s1, s1, 0
	v_addc_co_u32_e32 v3, vcc, 0, v3, vcc
	s_waitcnt vmcnt(0) lgkmcnt(0)
	v_xor_b32_e32 v29, 0x80000000, v29
	ds_write_b128 v22, v[26:29]
	flat_load_dwordx4 v[26:29], v[4:5]
	v_add_co_u32_e32 v4, vcc, 0x80, v4
	v_addc_co_u32_e32 v5, vcc, 0, v5, vcc
	s_waitcnt vmcnt(0) lgkmcnt(0)
	ds_write_b128 v23, v[26:29]
	s_waitcnt lgkmcnt(0)
	s_barrier
	ds_read_b128 v[26:29], v25
	ds_read_b128 v[30:33], v25 offset:16
	ds_read_b128 v[34:37], v25 offset:32
	;; [unrolled: 1-line block ×3, first 2 shown]
	ds_read_b128 v[42:45], v24
	s_waitcnt lgkmcnt(0)
	v_mul_f64 v[46:47], v[28:29], v[44:45]
	v_mul_f64 v[48:49], v[26:27], v[44:45]
	v_fma_f64 v[46:47], v[26:27], v[42:43], -v[46:47]
	v_fma_f64 v[48:49], v[28:29], v[42:43], v[48:49]
	v_add_f64 v[46:47], v[18:19], v[46:47]
	v_add_f64 v[48:49], v[48:49], v[20:21]
	ds_read_b128 v[18:21], v24 offset:256
	s_waitcnt lgkmcnt(0)
	v_mul_f64 v[50:51], v[28:29], v[20:21]
	v_fma_f64 v[50:51], v[26:27], v[18:19], -v[50:51]
	v_mul_f64 v[26:27], v[26:27], v[20:21]
	v_fma_f64 v[26:27], v[28:29], v[18:19], v[26:27]
	v_add_f64 v[28:29], v[10:11], v[50:51]
	v_add_f64 v[26:27], v[26:27], v[12:13]
	ds_read_b128 v[10:13], v25 offset:2048
	s_waitcnt lgkmcnt(0)
	v_mul_f64 v[50:51], v[12:13], v[44:45]
	v_mul_f64 v[44:45], v[10:11], v[44:45]
	v_fma_f64 v[50:51], v[10:11], v[42:43], -v[50:51]
	v_fma_f64 v[42:43], v[12:13], v[42:43], v[44:45]
	v_add_f64 v[44:45], v[14:15], v[50:51]
	v_mul_f64 v[14:15], v[12:13], v[20:21]
	v_add_f64 v[42:43], v[42:43], v[16:17]
	v_fma_f64 v[14:15], v[10:11], v[18:19], -v[14:15]
	v_mul_f64 v[10:11], v[10:11], v[20:21]
	v_fma_f64 v[10:11], v[12:13], v[18:19], v[10:11]
	v_add_f64 v[18:19], v[8:9], v[14:15]
	v_add_f64 v[20:21], v[10:11], v[6:7]
	ds_read_b128 v[6:9], v24 offset:512
	s_waitcnt lgkmcnt(0)
	v_mul_f64 v[10:11], v[32:33], v[8:9]
	v_mul_f64 v[12:13], v[30:31], v[8:9]
	v_fma_f64 v[10:11], v[30:31], v[6:7], -v[10:11]
	v_fma_f64 v[12:13], v[32:33], v[6:7], v[12:13]
	v_add_f64 v[46:47], v[46:47], v[10:11]
	v_add_f64 v[48:49], v[12:13], v[48:49]
	ds_read_b128 v[10:13], v24 offset:768
	s_waitcnt lgkmcnt(0)
	v_mul_f64 v[14:15], v[32:33], v[12:13]
	v_mul_f64 v[16:17], v[30:31], v[12:13]
	v_fma_f64 v[14:15], v[30:31], v[10:11], -v[14:15]
	;; [unrolled: 8-line block ×3, first 2 shown]
	v_fma_f64 v[6:7], v[16:17], v[6:7], v[8:9]
	v_mul_f64 v[8:9], v[14:15], v[12:13]
	v_add_f64 v[30:31], v[44:45], v[30:31]
	v_add_f64 v[32:33], v[6:7], v[42:43]
	v_mul_f64 v[6:7], v[16:17], v[12:13]
	v_fma_f64 v[8:9], v[16:17], v[10:11], v[8:9]
	v_fma_f64 v[6:7], v[14:15], v[10:11], -v[6:7]
	v_add_f64 v[20:21], v[8:9], v[20:21]
	v_add_f64 v[18:19], v[18:19], v[6:7]
	ds_read_b128 v[6:9], v24 offset:1024
	s_waitcnt lgkmcnt(0)
	v_mul_f64 v[10:11], v[36:37], v[8:9]
	v_mul_f64 v[12:13], v[34:35], v[8:9]
	v_fma_f64 v[10:11], v[34:35], v[6:7], -v[10:11]
	v_fma_f64 v[12:13], v[36:37], v[6:7], v[12:13]
	v_add_f64 v[42:43], v[46:47], v[10:11]
	v_add_f64 v[44:45], v[12:13], v[48:49]
	ds_read_b128 v[10:13], v24 offset:1280
	s_waitcnt lgkmcnt(0)
	v_mul_f64 v[14:15], v[36:37], v[12:13]
	v_mul_f64 v[16:17], v[34:35], v[12:13]
	v_fma_f64 v[14:15], v[34:35], v[10:11], -v[14:15]
	v_fma_f64 v[16:17], v[36:37], v[10:11], v[16:17]
	;; [unrolled: 8-line block ×3, first 2 shown]
	v_mul_f64 v[8:9], v[14:15], v[12:13]
	v_add_f64 v[30:31], v[30:31], v[34:35]
	v_add_f64 v[32:33], v[6:7], v[32:33]
	v_mul_f64 v[6:7], v[16:17], v[12:13]
	v_fma_f64 v[8:9], v[16:17], v[10:11], v[8:9]
	v_fma_f64 v[6:7], v[14:15], v[10:11], -v[6:7]
	v_add_f64 v[20:21], v[8:9], v[20:21]
	v_add_f64 v[18:19], v[18:19], v[6:7]
	ds_read_b128 v[6:9], v24 offset:1536
	s_waitcnt lgkmcnt(0)
	v_mul_f64 v[10:11], v[40:41], v[8:9]
	v_mul_f64 v[12:13], v[38:39], v[8:9]
	v_fma_f64 v[10:11], v[38:39], v[6:7], -v[10:11]
	v_fma_f64 v[12:13], v[40:41], v[6:7], v[12:13]
	v_add_f64 v[34:35], v[42:43], v[10:11]
	v_add_f64 v[36:37], v[12:13], v[44:45]
	ds_read_b128 v[10:13], v24 offset:1792
	s_waitcnt lgkmcnt(0)
	v_mul_f64 v[14:15], v[40:41], v[12:13]
	v_mul_f64 v[16:17], v[38:39], v[12:13]
	v_fma_f64 v[14:15], v[38:39], v[10:11], -v[14:15]
	v_fma_f64 v[16:17], v[40:41], v[10:11], v[16:17]
	;; [unrolled: 8-line block ×3, first 2 shown]
	v_mul_f64 v[8:9], v[14:15], v[12:13]
	v_add_f64 v[30:31], v[30:31], v[38:39]
	v_add_f64 v[32:33], v[6:7], v[32:33]
	v_mul_f64 v[6:7], v[16:17], v[12:13]
	v_fma_f64 v[8:9], v[16:17], v[10:11], v[8:9]
	v_fma_f64 v[6:7], v[14:15], v[10:11], -v[6:7]
	v_add_f64 v[20:21], v[8:9], v[20:21]
	v_add_f64 v[18:19], v[18:19], v[6:7]
	ds_read_b128 v[6:9], v25 offset:64
	ds_read_b128 v[10:13], v24 offset:2048
	s_waitcnt lgkmcnt(0)
	v_mul_f64 v[14:15], v[8:9], v[12:13]
	v_mul_f64 v[16:17], v[6:7], v[12:13]
	v_fma_f64 v[14:15], v[6:7], v[10:11], -v[14:15]
	v_fma_f64 v[16:17], v[8:9], v[10:11], v[16:17]
	v_add_f64 v[34:35], v[34:35], v[14:15]
	v_add_f64 v[36:37], v[16:17], v[36:37]
	ds_read_b128 v[14:17], v24 offset:2304
	s_waitcnt lgkmcnt(0)
	v_mul_f64 v[38:39], v[8:9], v[16:17]
	v_fma_f64 v[38:39], v[6:7], v[14:15], -v[38:39]
	v_mul_f64 v[6:7], v[6:7], v[16:17]
	v_add_f64 v[28:29], v[28:29], v[38:39]
	v_fma_f64 v[6:7], v[8:9], v[14:15], v[6:7]
	v_add_f64 v[26:27], v[6:7], v[26:27]
	ds_read_b128 v[6:9], v25 offset:2112
	s_waitcnt lgkmcnt(0)
	v_mul_f64 v[38:39], v[8:9], v[12:13]
	v_mul_f64 v[12:13], v[6:7], v[12:13]
	v_fma_f64 v[38:39], v[6:7], v[10:11], -v[38:39]
	v_fma_f64 v[10:11], v[8:9], v[10:11], v[12:13]
	v_add_f64 v[30:31], v[30:31], v[38:39]
	v_add_f64 v[32:33], v[10:11], v[32:33]
	v_mul_f64 v[10:11], v[8:9], v[16:17]
	v_fma_f64 v[10:11], v[6:7], v[14:15], -v[10:11]
	v_mul_f64 v[6:7], v[6:7], v[16:17]
	v_add_f64 v[18:19], v[18:19], v[10:11]
	v_fma_f64 v[6:7], v[8:9], v[14:15], v[6:7]
	v_add_f64 v[20:21], v[6:7], v[20:21]
	ds_read_b128 v[6:9], v25 offset:80
	ds_read_b128 v[10:13], v24 offset:2560
	s_waitcnt lgkmcnt(0)
	v_mul_f64 v[14:15], v[8:9], v[12:13]
	v_mul_f64 v[16:17], v[6:7], v[12:13]
	v_fma_f64 v[14:15], v[6:7], v[10:11], -v[14:15]
	v_fma_f64 v[16:17], v[8:9], v[10:11], v[16:17]
	v_add_f64 v[34:35], v[34:35], v[14:15]
	v_add_f64 v[36:37], v[16:17], v[36:37]
	ds_read_b128 v[14:17], v24 offset:2816
	s_waitcnt lgkmcnt(0)
	v_mul_f64 v[38:39], v[8:9], v[16:17]
	v_fma_f64 v[38:39], v[6:7], v[14:15], -v[38:39]
	v_mul_f64 v[6:7], v[6:7], v[16:17]
	v_add_f64 v[28:29], v[28:29], v[38:39]
	v_fma_f64 v[6:7], v[8:9], v[14:15], v[6:7]
	v_add_f64 v[26:27], v[6:7], v[26:27]
	ds_read_b128 v[6:9], v25 offset:2128
	s_waitcnt lgkmcnt(0)
	v_mul_f64 v[38:39], v[8:9], v[12:13]
	v_mul_f64 v[12:13], v[6:7], v[12:13]
	v_fma_f64 v[38:39], v[6:7], v[10:11], -v[38:39]
	v_fma_f64 v[10:11], v[8:9], v[10:11], v[12:13]
	v_add_f64 v[30:31], v[30:31], v[38:39]
	v_add_f64 v[32:33], v[10:11], v[32:33]
	v_mul_f64 v[10:11], v[8:9], v[16:17]
	v_fma_f64 v[10:11], v[6:7], v[14:15], -v[10:11]
	v_mul_f64 v[6:7], v[6:7], v[16:17]
	v_add_f64 v[18:19], v[18:19], v[10:11]
	v_fma_f64 v[6:7], v[8:9], v[14:15], v[6:7]
	;; [unrolled: 31-line block ×3, first 2 shown]
	v_add_f64 v[44:45], v[6:7], v[20:21]
	ds_read_b128 v[6:9], v25 offset:112
	ds_read_b128 v[14:17], v24 offset:3584
	;; [unrolled: 1-line block ×3, first 2 shown]
	s_waitcnt lgkmcnt(1)
	v_mul_f64 v[10:11], v[8:9], v[16:17]
	v_mul_f64 v[12:13], v[6:7], v[16:17]
	v_fma_f64 v[10:11], v[6:7], v[14:15], -v[10:11]
	v_fma_f64 v[12:13], v[8:9], v[14:15], v[12:13]
	v_add_f64 v[18:19], v[34:35], v[10:11]
	s_waitcnt lgkmcnt(0)
	v_mul_f64 v[10:11], v[8:9], v[28:29]
	v_add_f64 v[20:21], v[12:13], v[36:37]
	v_fma_f64 v[10:11], v[6:7], v[26:27], -v[10:11]
	v_mul_f64 v[6:7], v[6:7], v[28:29]
	v_add_f64 v[10:11], v[38:39], v[10:11]
	v_fma_f64 v[6:7], v[8:9], v[26:27], v[6:7]
	v_add_f64 v[12:13], v[6:7], v[40:41]
	ds_read_b128 v[6:9], v25 offset:2160
	s_waitcnt lgkmcnt(0)
	s_barrier
	v_mul_f64 v[34:35], v[8:9], v[16:17]
	v_mul_f64 v[16:17], v[6:7], v[16:17]
	v_fma_f64 v[34:35], v[6:7], v[14:15], -v[34:35]
	v_fma_f64 v[16:17], v[8:9], v[14:15], v[16:17]
	v_add_f64 v[14:15], v[30:31], v[34:35]
	v_mul_f64 v[30:31], v[8:9], v[28:29]
	v_add_f64 v[16:17], v[16:17], v[32:33]
	v_fma_f64 v[30:31], v[6:7], v[26:27], -v[30:31]
	v_mul_f64 v[6:7], v[6:7], v[28:29]
	v_fma_f64 v[6:7], v[8:9], v[26:27], v[6:7]
	v_add_f64 v[8:9], v[42:43], v[30:31]
	v_mov_b32_e32 v27, s1
	v_mov_b32_e32 v26, s0
	v_cmp_le_u64_e32 vcc, s[20:21], v[26:27]
	v_add_f64 v[6:7], v[6:7], v[44:45]
	s_cbranch_vccz .LBB1807_2
	s_branch .LBB1807_4
.LBB1807_3:
	v_mov_b32_e32 v18, 0
	v_mov_b32_e32 v20, 0
	;; [unrolled: 1-line block ×16, first 2 shown]
.LBB1807_4:
	v_add_u32_e32 v4, s7, v1
	v_ashrrev_i32_e32 v1, 31, v4
	v_mul_lo_u32 v3, s18, v1
	v_mul_lo_u32 v5, s19, v4
	v_mad_u64_u32 v[1:2], s[0:1], s18, v4, 0
	s_load_dword s8, s[4:5], 0x0
	v_add_u32_e32 v0, s6, v0
	v_add3_u32 v2, v2, v3, v5
	v_lshlrev_b64 v[1:2], 4, v[1:2]
	s_waitcnt lgkmcnt(0)
	v_mov_b32_e32 v3, s3
	v_add_co_u32_e64 v5, s[0:1], s2, v1
	v_addc_co_u32_e64 v22, s[0:1], v3, v2, s[0:1]
	v_cmp_gt_i32_e32 vcc, s8, v4
	v_cmp_le_i32_e64 s[0:1], v0, v4
	s_and_b64 s[0:1], vcc, s[0:1]
	s_and_saveexec_b64 s[4:5], s[0:1]
	s_cbranch_execz .LBB1807_6
; %bb.5:
	v_ashrrev_i32_e32 v1, 31, v0
	v_lshlrev_b64 v[1:2], 4, v[0:1]
	v_mul_f64 v[27:28], s[22:23], v[20:21]
	v_add_co_u32_e64 v1, s[0:1], v5, v1
	v_addc_co_u32_e64 v2, s[0:1], v22, v2, s[0:1]
	flat_load_dwordx4 v[23:26], v[1:2]
	v_mul_f64 v[20:21], s[24:25], v[20:21]
	v_cmp_ne_u32_e64 s[0:1], v4, v0
	v_fma_f64 v[27:28], s[24:25], v[18:19], v[27:28]
	v_fma_f64 v[18:19], s[22:23], v[18:19], -v[20:21]
	s_waitcnt vmcnt(0) lgkmcnt(0)
	v_mul_f64 v[29:30], s[12:13], v[25:26]
	v_mul_f64 v[25:26], s[14:15], v[25:26]
	v_fma_f64 v[29:30], s[14:15], v[23:24], v[29:30]
	v_fma_f64 v[20:21], s[12:13], v[23:24], -v[25:26]
	v_add_f64 v[23:24], v[27:28], v[29:30]
	v_add_f64 v[18:19], v[18:19], v[20:21]
	v_cndmask_b32_e64 v21, 0, v24, s[0:1]
	v_cndmask_b32_e64 v20, 0, v23, s[0:1]
	flat_store_dwordx4 v[1:2], v[18:21]
.LBB1807_6:
	s_or_b64 exec, exec, s[4:5]
	v_add_u32_e32 v2, 16, v0
	v_cmp_le_i32_e64 s[0:1], v2, v4
	s_and_b64 s[4:5], vcc, s[0:1]
	s_and_saveexec_b64 s[0:1], s[4:5]
	s_cbranch_execz .LBB1807_8
; %bb.7:
	v_ashrrev_i32_e32 v3, 31, v2
	v_lshlrev_b64 v[18:19], 4, v[2:3]
	v_mul_f64 v[25:26], s[22:23], v[12:13]
	v_add_co_u32_e32 v23, vcc, v5, v18
	v_addc_co_u32_e32 v24, vcc, v22, v19, vcc
	flat_load_dwordx4 v[18:21], v[23:24]
	v_mul_f64 v[12:13], s[24:25], v[12:13]
	v_cmp_ne_u32_e32 vcc, v4, v2
	v_fma_f64 v[25:26], s[24:25], v[10:11], v[25:26]
	v_fma_f64 v[10:11], s[22:23], v[10:11], -v[12:13]
	s_waitcnt vmcnt(0) lgkmcnt(0)
	v_mul_f64 v[27:28], s[12:13], v[20:21]
	v_mul_f64 v[20:21], s[14:15], v[20:21]
	v_fma_f64 v[27:28], s[14:15], v[18:19], v[27:28]
	v_fma_f64 v[12:13], s[12:13], v[18:19], -v[20:21]
	v_add_f64 v[18:19], v[25:26], v[27:28]
	v_add_f64 v[10:11], v[10:11], v[12:13]
	v_cndmask_b32_e32 v13, 0, v19, vcc
	v_cndmask_b32_e32 v12, 0, v18, vcc
	flat_store_dwordx4 v[23:24], v[10:13]
.LBB1807_8:
	s_or_b64 exec, exec, s[0:1]
	v_add_u32_e32 v3, 16, v4
	v_ashrrev_i32_e32 v1, 31, v3
	v_mul_lo_u32 v1, s18, v1
	v_mul_lo_u32 v5, s19, v3
	v_mad_u64_u32 v[10:11], s[0:1], s18, v3, 0
	v_cmp_gt_i32_e32 vcc, s8, v3
	v_add3_u32 v11, v11, v1, v5
	v_lshlrev_b64 v[10:11], 4, v[10:11]
	v_mov_b32_e32 v1, s3
	v_add_co_u32_e64 v5, s[0:1], s2, v10
	v_addc_co_u32_e64 v10, s[0:1], v1, v11, s[0:1]
	v_cmp_le_i32_e64 s[0:1], v0, v3
	s_and_b64 s[0:1], vcc, s[0:1]
	s_and_saveexec_b64 s[2:3], s[0:1]
	s_cbranch_execz .LBB1807_10
; %bb.9:
	v_ashrrev_i32_e32 v1, 31, v0
	v_lshlrev_b64 v[11:12], 4, v[0:1]
	v_add_co_u32_e64 v22, s[0:1], v5, v11
	v_addc_co_u32_e64 v23, s[0:1], v10, v12, s[0:1]
	flat_load_dwordx4 v[18:21], v[22:23]
	v_mul_f64 v[11:12], s[22:23], v[16:17]
	v_mul_f64 v[16:17], s[24:25], v[16:17]
	v_cmp_ne_u32_e64 s[0:1], v3, v0
	v_fma_f64 v[11:12], s[24:25], v[14:15], v[11:12]
	v_fma_f64 v[13:14], s[22:23], v[14:15], -v[16:17]
	s_waitcnt vmcnt(0) lgkmcnt(0)
	v_mul_f64 v[24:25], s[12:13], v[20:21]
	v_mul_f64 v[20:21], s[14:15], v[20:21]
	v_fma_f64 v[24:25], s[14:15], v[18:19], v[24:25]
	v_fma_f64 v[15:16], s[12:13], v[18:19], -v[20:21]
	v_add_f64 v[17:18], v[11:12], v[24:25]
	v_add_f64 v[11:12], v[13:14], v[15:16]
	v_cndmask_b32_e64 v14, 0, v18, s[0:1]
	v_cndmask_b32_e64 v13, 0, v17, s[0:1]
	flat_store_dwordx4 v[22:23], v[11:14]
.LBB1807_10:
	s_or_b64 exec, exec, s[2:3]
	v_cmp_le_i32_e64 s[0:1], v2, v3
	s_and_b64 s[0:1], vcc, s[0:1]
	s_and_saveexec_b64 s[2:3], s[0:1]
	s_cbranch_execz .LBB1807_12
; %bb.11:
	v_ashrrev_i32_e32 v3, 31, v2
	v_lshlrev_b64 v[1:2], 4, v[2:3]
	v_add_co_u32_e32 v14, vcc, v5, v1
	v_addc_co_u32_e32 v15, vcc, v10, v2, vcc
	flat_load_dwordx4 v[10:13], v[14:15]
	v_mul_f64 v[1:2], s[22:23], v[6:7]
	v_mul_f64 v[5:6], s[24:25], v[6:7]
	v_cmp_ne_u32_e32 vcc, v4, v0
	v_fma_f64 v[1:2], s[24:25], v[8:9], v[1:2]
	v_fma_f64 v[5:6], s[22:23], v[8:9], -v[5:6]
	s_waitcnt vmcnt(0) lgkmcnt(0)
	v_mul_f64 v[16:17], s[12:13], v[12:13]
	v_mul_f64 v[12:13], s[14:15], v[12:13]
	v_fma_f64 v[16:17], s[14:15], v[10:11], v[16:17]
	v_fma_f64 v[7:8], s[12:13], v[10:11], -v[12:13]
	v_add_f64 v[9:10], v[1:2], v[16:17]
	v_add_f64 v[1:2], v[5:6], v[7:8]
	v_cndmask_b32_e32 v4, 0, v10, vcc
	v_cndmask_b32_e32 v3, 0, v9, vcc
	flat_store_dwordx4 v[14:15], v[1:4]
.LBB1807_12:
	s_endpgm
	.section	.rodata,"a",@progbits
	.p2align	6, 0x0
	.amdhsa_kernel _ZL37rocblas_syrkx_herkx_restricted_kernelIl19rocblas_complex_numIdELi16ELi32ELi8ELb0ELb1ELc67ELc85EKPKS1_KPS1_EviT_T0_PT8_S7_lSA_S7_lS8_PT9_S7_li
		.amdhsa_group_segment_fixed_size 8192
		.amdhsa_private_segment_fixed_size 0
		.amdhsa_kernarg_size 124
		.amdhsa_user_sgpr_count 6
		.amdhsa_user_sgpr_private_segment_buffer 1
		.amdhsa_user_sgpr_dispatch_ptr 0
		.amdhsa_user_sgpr_queue_ptr 0
		.amdhsa_user_sgpr_kernarg_segment_ptr 1
		.amdhsa_user_sgpr_dispatch_id 0
		.amdhsa_user_sgpr_flat_scratch_init 0
		.amdhsa_user_sgpr_private_segment_size 0
		.amdhsa_uses_dynamic_stack 0
		.amdhsa_system_sgpr_private_segment_wavefront_offset 0
		.amdhsa_system_sgpr_workgroup_id_x 1
		.amdhsa_system_sgpr_workgroup_id_y 1
		.amdhsa_system_sgpr_workgroup_id_z 1
		.amdhsa_system_sgpr_workgroup_info 0
		.amdhsa_system_vgpr_workitem_id 1
		.amdhsa_next_free_vgpr 52
		.amdhsa_next_free_sgpr 61
		.amdhsa_reserve_vcc 1
		.amdhsa_reserve_flat_scratch 0
		.amdhsa_float_round_mode_32 0
		.amdhsa_float_round_mode_16_64 0
		.amdhsa_float_denorm_mode_32 3
		.amdhsa_float_denorm_mode_16_64 3
		.amdhsa_dx10_clamp 1
		.amdhsa_ieee_mode 1
		.amdhsa_fp16_overflow 0
		.amdhsa_exception_fp_ieee_invalid_op 0
		.amdhsa_exception_fp_denorm_src 0
		.amdhsa_exception_fp_ieee_div_zero 0
		.amdhsa_exception_fp_ieee_overflow 0
		.amdhsa_exception_fp_ieee_underflow 0
		.amdhsa_exception_fp_ieee_inexact 0
		.amdhsa_exception_int_div_zero 0
	.end_amdhsa_kernel
	.section	.text._ZL37rocblas_syrkx_herkx_restricted_kernelIl19rocblas_complex_numIdELi16ELi32ELi8ELb0ELb1ELc67ELc85EKPKS1_KPS1_EviT_T0_PT8_S7_lSA_S7_lS8_PT9_S7_li,"axG",@progbits,_ZL37rocblas_syrkx_herkx_restricted_kernelIl19rocblas_complex_numIdELi16ELi32ELi8ELb0ELb1ELc67ELc85EKPKS1_KPS1_EviT_T0_PT8_S7_lSA_S7_lS8_PT9_S7_li,comdat
.Lfunc_end1807:
	.size	_ZL37rocblas_syrkx_herkx_restricted_kernelIl19rocblas_complex_numIdELi16ELi32ELi8ELb0ELb1ELc67ELc85EKPKS1_KPS1_EviT_T0_PT8_S7_lSA_S7_lS8_PT9_S7_li, .Lfunc_end1807-_ZL37rocblas_syrkx_herkx_restricted_kernelIl19rocblas_complex_numIdELi16ELi32ELi8ELb0ELb1ELc67ELc85EKPKS1_KPS1_EviT_T0_PT8_S7_lSA_S7_lS8_PT9_S7_li
                                        ; -- End function
	.set _ZL37rocblas_syrkx_herkx_restricted_kernelIl19rocblas_complex_numIdELi16ELi32ELi8ELb0ELb1ELc67ELc85EKPKS1_KPS1_EviT_T0_PT8_S7_lSA_S7_lS8_PT9_S7_li.num_vgpr, 52
	.set _ZL37rocblas_syrkx_herkx_restricted_kernelIl19rocblas_complex_numIdELi16ELi32ELi8ELb0ELb1ELc67ELc85EKPKS1_KPS1_EviT_T0_PT8_S7_lSA_S7_lS8_PT9_S7_li.num_agpr, 0
	.set _ZL37rocblas_syrkx_herkx_restricted_kernelIl19rocblas_complex_numIdELi16ELi32ELi8ELb0ELb1ELc67ELc85EKPKS1_KPS1_EviT_T0_PT8_S7_lSA_S7_lS8_PT9_S7_li.numbered_sgpr, 32
	.set _ZL37rocblas_syrkx_herkx_restricted_kernelIl19rocblas_complex_numIdELi16ELi32ELi8ELb0ELb1ELc67ELc85EKPKS1_KPS1_EviT_T0_PT8_S7_lSA_S7_lS8_PT9_S7_li.num_named_barrier, 0
	.set _ZL37rocblas_syrkx_herkx_restricted_kernelIl19rocblas_complex_numIdELi16ELi32ELi8ELb0ELb1ELc67ELc85EKPKS1_KPS1_EviT_T0_PT8_S7_lSA_S7_lS8_PT9_S7_li.private_seg_size, 0
	.set _ZL37rocblas_syrkx_herkx_restricted_kernelIl19rocblas_complex_numIdELi16ELi32ELi8ELb0ELb1ELc67ELc85EKPKS1_KPS1_EviT_T0_PT8_S7_lSA_S7_lS8_PT9_S7_li.uses_vcc, 1
	.set _ZL37rocblas_syrkx_herkx_restricted_kernelIl19rocblas_complex_numIdELi16ELi32ELi8ELb0ELb1ELc67ELc85EKPKS1_KPS1_EviT_T0_PT8_S7_lSA_S7_lS8_PT9_S7_li.uses_flat_scratch, 0
	.set _ZL37rocblas_syrkx_herkx_restricted_kernelIl19rocblas_complex_numIdELi16ELi32ELi8ELb0ELb1ELc67ELc85EKPKS1_KPS1_EviT_T0_PT8_S7_lSA_S7_lS8_PT9_S7_li.has_dyn_sized_stack, 0
	.set _ZL37rocblas_syrkx_herkx_restricted_kernelIl19rocblas_complex_numIdELi16ELi32ELi8ELb0ELb1ELc67ELc85EKPKS1_KPS1_EviT_T0_PT8_S7_lSA_S7_lS8_PT9_S7_li.has_recursion, 0
	.set _ZL37rocblas_syrkx_herkx_restricted_kernelIl19rocblas_complex_numIdELi16ELi32ELi8ELb0ELb1ELc67ELc85EKPKS1_KPS1_EviT_T0_PT8_S7_lSA_S7_lS8_PT9_S7_li.has_indirect_call, 0
	.section	.AMDGPU.csdata,"",@progbits
; Kernel info:
; codeLenInByte = 3288
; TotalNumSgprs: 36
; NumVgprs: 52
; ScratchSize: 0
; MemoryBound: 0
; FloatMode: 240
; IeeeMode: 1
; LDSByteSize: 8192 bytes/workgroup (compile time only)
; SGPRBlocks: 8
; VGPRBlocks: 12
; NumSGPRsForWavesPerEU: 65
; NumVGPRsForWavesPerEU: 52
; Occupancy: 4
; WaveLimiterHint : 1
; COMPUTE_PGM_RSRC2:SCRATCH_EN: 0
; COMPUTE_PGM_RSRC2:USER_SGPR: 6
; COMPUTE_PGM_RSRC2:TRAP_HANDLER: 0
; COMPUTE_PGM_RSRC2:TGID_X_EN: 1
; COMPUTE_PGM_RSRC2:TGID_Y_EN: 1
; COMPUTE_PGM_RSRC2:TGID_Z_EN: 1
; COMPUTE_PGM_RSRC2:TIDIG_COMP_CNT: 1
	.section	.text._ZL37rocblas_syrkx_herkx_restricted_kernelIl19rocblas_complex_numIdELi16ELi32ELi8ELb0ELb1ELc78ELc85EKPKS1_KPS1_EviT_T0_PT8_S7_lSA_S7_lS8_PT9_S7_li,"axG",@progbits,_ZL37rocblas_syrkx_herkx_restricted_kernelIl19rocblas_complex_numIdELi16ELi32ELi8ELb0ELb1ELc78ELc85EKPKS1_KPS1_EviT_T0_PT8_S7_lSA_S7_lS8_PT9_S7_li,comdat
	.globl	_ZL37rocblas_syrkx_herkx_restricted_kernelIl19rocblas_complex_numIdELi16ELi32ELi8ELb0ELb1ELc78ELc85EKPKS1_KPS1_EviT_T0_PT8_S7_lSA_S7_lS8_PT9_S7_li ; -- Begin function _ZL37rocblas_syrkx_herkx_restricted_kernelIl19rocblas_complex_numIdELi16ELi32ELi8ELb0ELb1ELc78ELc85EKPKS1_KPS1_EviT_T0_PT8_S7_lSA_S7_lS8_PT9_S7_li
	.p2align	8
	.type	_ZL37rocblas_syrkx_herkx_restricted_kernelIl19rocblas_complex_numIdELi16ELi32ELi8ELb0ELb1ELc78ELc85EKPKS1_KPS1_EviT_T0_PT8_S7_lSA_S7_lS8_PT9_S7_li,@function
_ZL37rocblas_syrkx_herkx_restricted_kernelIl19rocblas_complex_numIdELi16ELi32ELi8ELb0ELb1ELc78ELc85EKPKS1_KPS1_EviT_T0_PT8_S7_lSA_S7_lS8_PT9_S7_li: ; @_ZL37rocblas_syrkx_herkx_restricted_kernelIl19rocblas_complex_numIdELi16ELi32ELi8ELb0ELb1ELc78ELc85EKPKS1_KPS1_EviT_T0_PT8_S7_lSA_S7_lS8_PT9_S7_li
; %bb.0:
	s_load_dwordx8 s[12:19], s[4:5], 0x50
	s_load_dwordx8 s[20:27], s[4:5], 0x8
	s_load_dwordx2 s[10:11], s[4:5], 0x28
	s_mov_b32 s9, 0
	s_lshl_b64 s[28:29], s[8:9], 3
	s_waitcnt lgkmcnt(0)
	s_add_u32 s0, s16, s28
	s_addc_u32 s1, s17, s29
	s_load_dwordx2 s[8:9], s[0:1], 0x0
	v_cmp_lt_i64_e64 s[0:1], s[20:21], 1
	s_lshl_b32 s16, s6, 5
	s_lshl_b32 s17, s7, 5
	s_and_b64 vcc, exec, s[0:1]
	s_cbranch_vccnz .LBB1808_3
; %bb.1:
	s_load_dwordx4 s[0:3], s[4:5], 0x38
	v_lshl_add_u32 v6, v1, 4, v0
	v_lshrrev_b32_e32 v7, 3, v6
	v_add_u32_e32 v2, s17, v7
	s_add_u32 s6, s26, s28
	v_and_b32_e32 v8, 7, v0
	v_ashrrev_i32_e32 v3, 31, v2
	s_addc_u32 s7, s27, s29
	s_waitcnt lgkmcnt(0)
	v_mad_u64_u32 v[4:5], s[26:27], s2, v8, v[2:3]
	v_lshrrev_b32_e32 v9, 5, v6
	s_add_u32 s0, s0, s28
	v_mov_b32_e32 v2, v5
	v_mad_u64_u32 v[2:3], s[26:27], s3, v8, v[2:3]
	v_and_b32_e32 v3, 31, v6
	s_addc_u32 s1, s1, s29
	v_mov_b32_e32 v5, v2
	v_lshlrev_b32_e32 v2, 4, v3
	v_lshl_or_b32 v22, v9, 9, v2
	v_add_u32_e32 v2, s16, v3
	v_ashrrev_i32_e32 v3, 31, v2
	s_load_dwordx2 s[26:27], s[0:1], 0x0
	v_mad_u64_u32 v[2:3], s[0:1], s10, v9, v[2:3]
	v_lshlrev_b32_e32 v6, 4, v8
	v_lshl_or_b32 v6, v7, 7, v6
	v_add_u32_e32 v23, 0x1000, v6
	v_mad_u64_u32 v[6:7], s[0:1], s11, v9, v[3:4]
	s_load_dwordx2 s[6:7], s[6:7], 0x0
	v_mov_b32_e32 v3, 0x1000
	v_lshl_add_u32 v25, v1, 7, v3
	v_mov_b32_e32 v3, v6
	v_lshlrev_b64 v[2:3], 4, v[2:3]
	s_waitcnt lgkmcnt(0)
	v_mov_b32_e32 v6, s7
	v_add_co_u32_e32 v2, vcc, s6, v2
	v_lshlrev_b64 v[4:5], 4, v[4:5]
	v_addc_co_u32_e32 v3, vcc, v6, v3, vcc
	v_mov_b32_e32 v6, s27
	v_add_co_u32_e32 v4, vcc, s26, v4
	s_lshl_b64 s[0:1], s[10:11], 7
	v_addc_co_u32_e32 v5, vcc, v6, v5, vcc
	s_lshl_b64 s[2:3], s[2:3], 7
	v_mov_b32_e32 v6, 0
	v_mov_b32_e32 v8, 0
	;; [unrolled: 1-line block ×8, first 2 shown]
	v_lshlrev_b32_e32 v24, 4, v0
	v_mov_b32_e32 v7, 0
	s_mov_b64 s[6:7], 0
	v_mov_b32_e32 v26, s1
	v_mov_b32_e32 v9, 0
	;; [unrolled: 1-line block ×9, first 2 shown]
.LBB1808_2:                             ; =>This Inner Loop Header: Depth=1
	flat_load_dwordx4 v[28:31], v[2:3]
	s_add_u32 s6, s6, 8
	v_add_co_u32_e32 v2, vcc, s0, v2
	s_addc_u32 s7, s7, 0
	v_addc_co_u32_e32 v3, vcc, v3, v26, vcc
	s_waitcnt vmcnt(0) lgkmcnt(0)
	ds_write_b128 v22, v[28:31]
	flat_load_dwordx4 v[28:31], v[4:5]
	v_add_co_u32_e32 v4, vcc, s2, v4
	v_addc_co_u32_e32 v5, vcc, v5, v27, vcc
	s_waitcnt vmcnt(0) lgkmcnt(0)
	v_xor_b32_e32 v31, 0x80000000, v31
	ds_write_b128 v23, v[28:31]
	s_waitcnt lgkmcnt(0)
	s_barrier
	ds_read_b128 v[28:31], v25
	ds_read_b128 v[32:35], v25 offset:16
	ds_read_b128 v[36:39], v25 offset:32
	;; [unrolled: 1-line block ×3, first 2 shown]
	ds_read_b128 v[44:47], v24
	s_waitcnt lgkmcnt(0)
	v_mul_f64 v[48:49], v[30:31], v[46:47]
	v_mul_f64 v[50:51], v[28:29], v[46:47]
	v_fma_f64 v[48:49], v[28:29], v[44:45], -v[48:49]
	v_fma_f64 v[50:51], v[30:31], v[44:45], v[50:51]
	v_add_f64 v[48:49], v[18:19], v[48:49]
	v_add_f64 v[50:51], v[50:51], v[20:21]
	ds_read_b128 v[18:21], v24 offset:256
	s_waitcnt lgkmcnt(0)
	v_mul_f64 v[52:53], v[30:31], v[20:21]
	v_fma_f64 v[52:53], v[28:29], v[18:19], -v[52:53]
	v_mul_f64 v[28:29], v[28:29], v[20:21]
	v_fma_f64 v[28:29], v[30:31], v[18:19], v[28:29]
	v_add_f64 v[30:31], v[10:11], v[52:53]
	v_add_f64 v[28:29], v[28:29], v[12:13]
	ds_read_b128 v[10:13], v25 offset:2048
	s_waitcnt lgkmcnt(0)
	v_mul_f64 v[52:53], v[12:13], v[46:47]
	v_mul_f64 v[46:47], v[10:11], v[46:47]
	v_fma_f64 v[52:53], v[10:11], v[44:45], -v[52:53]
	v_fma_f64 v[44:45], v[12:13], v[44:45], v[46:47]
	v_add_f64 v[46:47], v[14:15], v[52:53]
	v_mul_f64 v[14:15], v[12:13], v[20:21]
	v_add_f64 v[44:45], v[44:45], v[16:17]
	v_fma_f64 v[14:15], v[10:11], v[18:19], -v[14:15]
	v_mul_f64 v[10:11], v[10:11], v[20:21]
	v_fma_f64 v[10:11], v[12:13], v[18:19], v[10:11]
	v_add_f64 v[18:19], v[8:9], v[14:15]
	v_add_f64 v[20:21], v[10:11], v[6:7]
	ds_read_b128 v[6:9], v24 offset:512
	s_waitcnt lgkmcnt(0)
	v_mul_f64 v[10:11], v[34:35], v[8:9]
	v_mul_f64 v[12:13], v[32:33], v[8:9]
	v_fma_f64 v[10:11], v[32:33], v[6:7], -v[10:11]
	v_fma_f64 v[12:13], v[34:35], v[6:7], v[12:13]
	v_add_f64 v[48:49], v[48:49], v[10:11]
	v_add_f64 v[50:51], v[12:13], v[50:51]
	ds_read_b128 v[10:13], v24 offset:768
	s_waitcnt lgkmcnt(0)
	v_mul_f64 v[14:15], v[34:35], v[12:13]
	v_mul_f64 v[16:17], v[32:33], v[12:13]
	v_fma_f64 v[14:15], v[32:33], v[10:11], -v[14:15]
	;; [unrolled: 8-line block ×3, first 2 shown]
	v_fma_f64 v[6:7], v[16:17], v[6:7], v[8:9]
	v_mul_f64 v[8:9], v[14:15], v[12:13]
	v_add_f64 v[32:33], v[46:47], v[32:33]
	v_add_f64 v[34:35], v[6:7], v[44:45]
	v_mul_f64 v[6:7], v[16:17], v[12:13]
	v_fma_f64 v[8:9], v[16:17], v[10:11], v[8:9]
	v_fma_f64 v[6:7], v[14:15], v[10:11], -v[6:7]
	v_add_f64 v[20:21], v[8:9], v[20:21]
	v_add_f64 v[18:19], v[18:19], v[6:7]
	ds_read_b128 v[6:9], v24 offset:1024
	s_waitcnt lgkmcnt(0)
	v_mul_f64 v[10:11], v[38:39], v[8:9]
	v_mul_f64 v[12:13], v[36:37], v[8:9]
	v_fma_f64 v[10:11], v[36:37], v[6:7], -v[10:11]
	v_fma_f64 v[12:13], v[38:39], v[6:7], v[12:13]
	v_add_f64 v[44:45], v[48:49], v[10:11]
	v_add_f64 v[46:47], v[12:13], v[50:51]
	ds_read_b128 v[10:13], v24 offset:1280
	s_waitcnt lgkmcnt(0)
	v_mul_f64 v[14:15], v[38:39], v[12:13]
	v_mul_f64 v[16:17], v[36:37], v[12:13]
	v_fma_f64 v[14:15], v[36:37], v[10:11], -v[14:15]
	v_fma_f64 v[16:17], v[38:39], v[10:11], v[16:17]
	;; [unrolled: 8-line block ×3, first 2 shown]
	v_mul_f64 v[8:9], v[14:15], v[12:13]
	v_add_f64 v[32:33], v[32:33], v[36:37]
	v_add_f64 v[34:35], v[6:7], v[34:35]
	v_mul_f64 v[6:7], v[16:17], v[12:13]
	v_fma_f64 v[8:9], v[16:17], v[10:11], v[8:9]
	v_fma_f64 v[6:7], v[14:15], v[10:11], -v[6:7]
	v_add_f64 v[20:21], v[8:9], v[20:21]
	v_add_f64 v[18:19], v[18:19], v[6:7]
	ds_read_b128 v[6:9], v24 offset:1536
	s_waitcnt lgkmcnt(0)
	v_mul_f64 v[10:11], v[42:43], v[8:9]
	v_mul_f64 v[12:13], v[40:41], v[8:9]
	v_fma_f64 v[10:11], v[40:41], v[6:7], -v[10:11]
	v_fma_f64 v[12:13], v[42:43], v[6:7], v[12:13]
	v_add_f64 v[36:37], v[44:45], v[10:11]
	v_add_f64 v[38:39], v[12:13], v[46:47]
	ds_read_b128 v[10:13], v24 offset:1792
	s_waitcnt lgkmcnt(0)
	v_mul_f64 v[14:15], v[42:43], v[12:13]
	v_mul_f64 v[16:17], v[40:41], v[12:13]
	v_fma_f64 v[14:15], v[40:41], v[10:11], -v[14:15]
	v_fma_f64 v[16:17], v[42:43], v[10:11], v[16:17]
	v_add_f64 v[30:31], v[30:31], v[14:15]
	v_add_f64 v[28:29], v[16:17], v[28:29]
	ds_read_b128 v[14:17], v25 offset:2096
	s_waitcnt lgkmcnt(0)
	v_mul_f64 v[40:41], v[16:17], v[8:9]
	v_mul_f64 v[8:9], v[14:15], v[8:9]
	v_fma_f64 v[40:41], v[14:15], v[6:7], -v[40:41]
	v_fma_f64 v[6:7], v[16:17], v[6:7], v[8:9]
	v_mul_f64 v[8:9], v[14:15], v[12:13]
	v_add_f64 v[32:33], v[32:33], v[40:41]
	v_add_f64 v[34:35], v[6:7], v[34:35]
	v_mul_f64 v[6:7], v[16:17], v[12:13]
	v_fma_f64 v[8:9], v[16:17], v[10:11], v[8:9]
	v_fma_f64 v[6:7], v[14:15], v[10:11], -v[6:7]
	v_add_f64 v[20:21], v[8:9], v[20:21]
	v_add_f64 v[18:19], v[18:19], v[6:7]
	ds_read_b128 v[6:9], v25 offset:64
	ds_read_b128 v[10:13], v24 offset:2048
	s_waitcnt lgkmcnt(0)
	v_mul_f64 v[14:15], v[8:9], v[12:13]
	v_mul_f64 v[16:17], v[6:7], v[12:13]
	v_fma_f64 v[14:15], v[6:7], v[10:11], -v[14:15]
	v_fma_f64 v[16:17], v[8:9], v[10:11], v[16:17]
	v_add_f64 v[36:37], v[36:37], v[14:15]
	v_add_f64 v[38:39], v[16:17], v[38:39]
	ds_read_b128 v[14:17], v24 offset:2304
	s_waitcnt lgkmcnt(0)
	v_mul_f64 v[40:41], v[8:9], v[16:17]
	v_fma_f64 v[40:41], v[6:7], v[14:15], -v[40:41]
	v_mul_f64 v[6:7], v[6:7], v[16:17]
	v_add_f64 v[30:31], v[30:31], v[40:41]
	v_fma_f64 v[6:7], v[8:9], v[14:15], v[6:7]
	v_add_f64 v[28:29], v[6:7], v[28:29]
	ds_read_b128 v[6:9], v25 offset:2112
	s_waitcnt lgkmcnt(0)
	v_mul_f64 v[40:41], v[8:9], v[12:13]
	v_mul_f64 v[12:13], v[6:7], v[12:13]
	v_fma_f64 v[40:41], v[6:7], v[10:11], -v[40:41]
	v_fma_f64 v[10:11], v[8:9], v[10:11], v[12:13]
	v_add_f64 v[32:33], v[32:33], v[40:41]
	v_add_f64 v[34:35], v[10:11], v[34:35]
	v_mul_f64 v[10:11], v[8:9], v[16:17]
	v_fma_f64 v[10:11], v[6:7], v[14:15], -v[10:11]
	v_mul_f64 v[6:7], v[6:7], v[16:17]
	v_add_f64 v[18:19], v[18:19], v[10:11]
	v_fma_f64 v[6:7], v[8:9], v[14:15], v[6:7]
	v_add_f64 v[20:21], v[6:7], v[20:21]
	ds_read_b128 v[6:9], v25 offset:80
	ds_read_b128 v[10:13], v24 offset:2560
	s_waitcnt lgkmcnt(0)
	v_mul_f64 v[14:15], v[8:9], v[12:13]
	v_mul_f64 v[16:17], v[6:7], v[12:13]
	v_fma_f64 v[14:15], v[6:7], v[10:11], -v[14:15]
	v_fma_f64 v[16:17], v[8:9], v[10:11], v[16:17]
	v_add_f64 v[36:37], v[36:37], v[14:15]
	v_add_f64 v[38:39], v[16:17], v[38:39]
	ds_read_b128 v[14:17], v24 offset:2816
	s_waitcnt lgkmcnt(0)
	v_mul_f64 v[40:41], v[8:9], v[16:17]
	v_fma_f64 v[40:41], v[6:7], v[14:15], -v[40:41]
	v_mul_f64 v[6:7], v[6:7], v[16:17]
	v_add_f64 v[30:31], v[30:31], v[40:41]
	v_fma_f64 v[6:7], v[8:9], v[14:15], v[6:7]
	v_add_f64 v[28:29], v[6:7], v[28:29]
	ds_read_b128 v[6:9], v25 offset:2128
	s_waitcnt lgkmcnt(0)
	v_mul_f64 v[40:41], v[8:9], v[12:13]
	v_mul_f64 v[12:13], v[6:7], v[12:13]
	v_fma_f64 v[40:41], v[6:7], v[10:11], -v[40:41]
	v_fma_f64 v[10:11], v[8:9], v[10:11], v[12:13]
	v_add_f64 v[32:33], v[32:33], v[40:41]
	v_add_f64 v[34:35], v[10:11], v[34:35]
	v_mul_f64 v[10:11], v[8:9], v[16:17]
	v_fma_f64 v[10:11], v[6:7], v[14:15], -v[10:11]
	v_mul_f64 v[6:7], v[6:7], v[16:17]
	v_add_f64 v[18:19], v[18:19], v[10:11]
	v_fma_f64 v[6:7], v[8:9], v[14:15], v[6:7]
	;; [unrolled: 31-line block ×3, first 2 shown]
	v_add_f64 v[46:47], v[6:7], v[20:21]
	ds_read_b128 v[6:9], v25 offset:112
	ds_read_b128 v[14:17], v24 offset:3584
	;; [unrolled: 1-line block ×3, first 2 shown]
	s_waitcnt lgkmcnt(1)
	v_mul_f64 v[10:11], v[8:9], v[16:17]
	v_mul_f64 v[12:13], v[6:7], v[16:17]
	v_fma_f64 v[10:11], v[6:7], v[14:15], -v[10:11]
	v_fma_f64 v[12:13], v[8:9], v[14:15], v[12:13]
	v_add_f64 v[18:19], v[36:37], v[10:11]
	s_waitcnt lgkmcnt(0)
	v_mul_f64 v[10:11], v[8:9], v[30:31]
	v_add_f64 v[20:21], v[12:13], v[38:39]
	v_fma_f64 v[10:11], v[6:7], v[28:29], -v[10:11]
	v_mul_f64 v[6:7], v[6:7], v[30:31]
	v_add_f64 v[10:11], v[40:41], v[10:11]
	v_fma_f64 v[6:7], v[8:9], v[28:29], v[6:7]
	v_add_f64 v[12:13], v[6:7], v[42:43]
	ds_read_b128 v[6:9], v25 offset:2160
	s_waitcnt lgkmcnt(0)
	s_barrier
	v_mul_f64 v[36:37], v[8:9], v[16:17]
	v_mul_f64 v[16:17], v[6:7], v[16:17]
	v_fma_f64 v[36:37], v[6:7], v[14:15], -v[36:37]
	v_fma_f64 v[16:17], v[8:9], v[14:15], v[16:17]
	v_add_f64 v[14:15], v[32:33], v[36:37]
	v_mul_f64 v[32:33], v[8:9], v[30:31]
	v_add_f64 v[16:17], v[16:17], v[34:35]
	v_fma_f64 v[32:33], v[6:7], v[28:29], -v[32:33]
	v_mul_f64 v[6:7], v[6:7], v[30:31]
	v_fma_f64 v[6:7], v[8:9], v[28:29], v[6:7]
	v_add_f64 v[8:9], v[44:45], v[32:33]
	v_mov_b32_e32 v29, s7
	v_mov_b32_e32 v28, s6
	v_cmp_le_u64_e32 vcc, s[20:21], v[28:29]
	v_add_f64 v[6:7], v[6:7], v[46:47]
	s_cbranch_vccz .LBB1808_2
	s_branch .LBB1808_4
.LBB1808_3:
	v_mov_b32_e32 v18, 0
	v_mov_b32_e32 v20, 0
	;; [unrolled: 1-line block ×16, first 2 shown]
.LBB1808_4:
	v_add_u32_e32 v4, s17, v1
	v_ashrrev_i32_e32 v1, 31, v4
	v_mul_lo_u32 v3, s18, v1
	v_mul_lo_u32 v5, s19, v4
	v_mad_u64_u32 v[1:2], s[0:1], s18, v4, 0
	s_load_dword s4, s[4:5], 0x0
	v_add_u32_e32 v0, s16, v0
	v_add3_u32 v2, v2, v3, v5
	v_lshlrev_b64 v[1:2], 4, v[1:2]
	s_waitcnt lgkmcnt(0)
	v_mov_b32_e32 v3, s9
	v_add_co_u32_e64 v5, s[0:1], s8, v1
	v_addc_co_u32_e64 v22, s[0:1], v3, v2, s[0:1]
	v_cmp_gt_i32_e32 vcc, s4, v4
	v_cmp_le_i32_e64 s[0:1], v0, v4
	s_and_b64 s[0:1], vcc, s[0:1]
	s_and_saveexec_b64 s[2:3], s[0:1]
	s_cbranch_execz .LBB1808_6
; %bb.5:
	v_ashrrev_i32_e32 v1, 31, v0
	v_lshlrev_b64 v[1:2], 4, v[0:1]
	v_mul_f64 v[27:28], s[22:23], v[20:21]
	v_add_co_u32_e64 v1, s[0:1], v5, v1
	v_addc_co_u32_e64 v2, s[0:1], v22, v2, s[0:1]
	flat_load_dwordx4 v[23:26], v[1:2]
	v_mul_f64 v[20:21], s[24:25], v[20:21]
	v_cmp_ne_u32_e64 s[0:1], v4, v0
	v_fma_f64 v[27:28], s[24:25], v[18:19], v[27:28]
	v_fma_f64 v[18:19], s[22:23], v[18:19], -v[20:21]
	s_waitcnt vmcnt(0) lgkmcnt(0)
	v_mul_f64 v[29:30], s[12:13], v[25:26]
	v_mul_f64 v[25:26], s[14:15], v[25:26]
	v_fma_f64 v[29:30], s[14:15], v[23:24], v[29:30]
	v_fma_f64 v[20:21], s[12:13], v[23:24], -v[25:26]
	v_add_f64 v[23:24], v[27:28], v[29:30]
	v_add_f64 v[18:19], v[18:19], v[20:21]
	v_cndmask_b32_e64 v21, 0, v24, s[0:1]
	v_cndmask_b32_e64 v20, 0, v23, s[0:1]
	flat_store_dwordx4 v[1:2], v[18:21]
.LBB1808_6:
	s_or_b64 exec, exec, s[2:3]
	v_add_u32_e32 v2, 16, v0
	v_cmp_le_i32_e64 s[0:1], v2, v4
	s_and_b64 s[2:3], vcc, s[0:1]
	s_and_saveexec_b64 s[0:1], s[2:3]
	s_cbranch_execz .LBB1808_8
; %bb.7:
	v_ashrrev_i32_e32 v3, 31, v2
	v_lshlrev_b64 v[18:19], 4, v[2:3]
	v_mul_f64 v[25:26], s[22:23], v[12:13]
	v_add_co_u32_e32 v23, vcc, v5, v18
	v_addc_co_u32_e32 v24, vcc, v22, v19, vcc
	flat_load_dwordx4 v[18:21], v[23:24]
	v_mul_f64 v[12:13], s[24:25], v[12:13]
	v_cmp_ne_u32_e32 vcc, v4, v2
	v_fma_f64 v[25:26], s[24:25], v[10:11], v[25:26]
	v_fma_f64 v[10:11], s[22:23], v[10:11], -v[12:13]
	s_waitcnt vmcnt(0) lgkmcnt(0)
	v_mul_f64 v[27:28], s[12:13], v[20:21]
	v_mul_f64 v[20:21], s[14:15], v[20:21]
	v_fma_f64 v[27:28], s[14:15], v[18:19], v[27:28]
	v_fma_f64 v[12:13], s[12:13], v[18:19], -v[20:21]
	v_add_f64 v[18:19], v[25:26], v[27:28]
	v_add_f64 v[10:11], v[10:11], v[12:13]
	v_cndmask_b32_e32 v13, 0, v19, vcc
	v_cndmask_b32_e32 v12, 0, v18, vcc
	flat_store_dwordx4 v[23:24], v[10:13]
.LBB1808_8:
	s_or_b64 exec, exec, s[0:1]
	v_add_u32_e32 v3, 16, v4
	v_ashrrev_i32_e32 v1, 31, v3
	v_mul_lo_u32 v1, s18, v1
	v_mul_lo_u32 v5, s19, v3
	v_mad_u64_u32 v[10:11], s[0:1], s18, v3, 0
	v_cmp_gt_i32_e32 vcc, s4, v3
	v_add3_u32 v11, v11, v1, v5
	v_lshlrev_b64 v[10:11], 4, v[10:11]
	v_mov_b32_e32 v1, s9
	v_add_co_u32_e64 v5, s[0:1], s8, v10
	v_addc_co_u32_e64 v10, s[0:1], v1, v11, s[0:1]
	v_cmp_le_i32_e64 s[0:1], v0, v3
	s_and_b64 s[0:1], vcc, s[0:1]
	s_and_saveexec_b64 s[2:3], s[0:1]
	s_cbranch_execz .LBB1808_10
; %bb.9:
	v_ashrrev_i32_e32 v1, 31, v0
	v_lshlrev_b64 v[11:12], 4, v[0:1]
	v_add_co_u32_e64 v22, s[0:1], v5, v11
	v_addc_co_u32_e64 v23, s[0:1], v10, v12, s[0:1]
	flat_load_dwordx4 v[18:21], v[22:23]
	v_mul_f64 v[11:12], s[22:23], v[16:17]
	v_mul_f64 v[16:17], s[24:25], v[16:17]
	v_cmp_ne_u32_e64 s[0:1], v3, v0
	v_fma_f64 v[11:12], s[24:25], v[14:15], v[11:12]
	v_fma_f64 v[13:14], s[22:23], v[14:15], -v[16:17]
	s_waitcnt vmcnt(0) lgkmcnt(0)
	v_mul_f64 v[24:25], s[12:13], v[20:21]
	v_mul_f64 v[20:21], s[14:15], v[20:21]
	v_fma_f64 v[24:25], s[14:15], v[18:19], v[24:25]
	v_fma_f64 v[15:16], s[12:13], v[18:19], -v[20:21]
	v_add_f64 v[17:18], v[11:12], v[24:25]
	v_add_f64 v[11:12], v[13:14], v[15:16]
	v_cndmask_b32_e64 v14, 0, v18, s[0:1]
	v_cndmask_b32_e64 v13, 0, v17, s[0:1]
	flat_store_dwordx4 v[22:23], v[11:14]
.LBB1808_10:
	s_or_b64 exec, exec, s[2:3]
	v_cmp_le_i32_e64 s[0:1], v2, v3
	s_and_b64 s[0:1], vcc, s[0:1]
	s_and_saveexec_b64 s[2:3], s[0:1]
	s_cbranch_execz .LBB1808_12
; %bb.11:
	v_ashrrev_i32_e32 v3, 31, v2
	v_lshlrev_b64 v[1:2], 4, v[2:3]
	v_add_co_u32_e32 v14, vcc, v5, v1
	v_addc_co_u32_e32 v15, vcc, v10, v2, vcc
	flat_load_dwordx4 v[10:13], v[14:15]
	v_mul_f64 v[1:2], s[22:23], v[6:7]
	v_mul_f64 v[5:6], s[24:25], v[6:7]
	v_cmp_ne_u32_e32 vcc, v4, v0
	v_fma_f64 v[1:2], s[24:25], v[8:9], v[1:2]
	v_fma_f64 v[5:6], s[22:23], v[8:9], -v[5:6]
	s_waitcnt vmcnt(0) lgkmcnt(0)
	v_mul_f64 v[16:17], s[12:13], v[12:13]
	v_mul_f64 v[12:13], s[14:15], v[12:13]
	v_fma_f64 v[16:17], s[14:15], v[10:11], v[16:17]
	v_fma_f64 v[7:8], s[12:13], v[10:11], -v[12:13]
	v_add_f64 v[9:10], v[1:2], v[16:17]
	v_add_f64 v[1:2], v[5:6], v[7:8]
	v_cndmask_b32_e32 v4, 0, v10, vcc
	v_cndmask_b32_e32 v3, 0, v9, vcc
	flat_store_dwordx4 v[14:15], v[1:4]
.LBB1808_12:
	s_endpgm
	.section	.rodata,"a",@progbits
	.p2align	6, 0x0
	.amdhsa_kernel _ZL37rocblas_syrkx_herkx_restricted_kernelIl19rocblas_complex_numIdELi16ELi32ELi8ELb0ELb1ELc78ELc85EKPKS1_KPS1_EviT_T0_PT8_S7_lSA_S7_lS8_PT9_S7_li
		.amdhsa_group_segment_fixed_size 8192
		.amdhsa_private_segment_fixed_size 0
		.amdhsa_kernarg_size 124
		.amdhsa_user_sgpr_count 6
		.amdhsa_user_sgpr_private_segment_buffer 1
		.amdhsa_user_sgpr_dispatch_ptr 0
		.amdhsa_user_sgpr_queue_ptr 0
		.amdhsa_user_sgpr_kernarg_segment_ptr 1
		.amdhsa_user_sgpr_dispatch_id 0
		.amdhsa_user_sgpr_flat_scratch_init 0
		.amdhsa_user_sgpr_private_segment_size 0
		.amdhsa_uses_dynamic_stack 0
		.amdhsa_system_sgpr_private_segment_wavefront_offset 0
		.amdhsa_system_sgpr_workgroup_id_x 1
		.amdhsa_system_sgpr_workgroup_id_y 1
		.amdhsa_system_sgpr_workgroup_id_z 1
		.amdhsa_system_sgpr_workgroup_info 0
		.amdhsa_system_vgpr_workitem_id 1
		.amdhsa_next_free_vgpr 54
		.amdhsa_next_free_sgpr 61
		.amdhsa_reserve_vcc 1
		.amdhsa_reserve_flat_scratch 0
		.amdhsa_float_round_mode_32 0
		.amdhsa_float_round_mode_16_64 0
		.amdhsa_float_denorm_mode_32 3
		.amdhsa_float_denorm_mode_16_64 3
		.amdhsa_dx10_clamp 1
		.amdhsa_ieee_mode 1
		.amdhsa_fp16_overflow 0
		.amdhsa_exception_fp_ieee_invalid_op 0
		.amdhsa_exception_fp_denorm_src 0
		.amdhsa_exception_fp_ieee_div_zero 0
		.amdhsa_exception_fp_ieee_overflow 0
		.amdhsa_exception_fp_ieee_underflow 0
		.amdhsa_exception_fp_ieee_inexact 0
		.amdhsa_exception_int_div_zero 0
	.end_amdhsa_kernel
	.section	.text._ZL37rocblas_syrkx_herkx_restricted_kernelIl19rocblas_complex_numIdELi16ELi32ELi8ELb0ELb1ELc78ELc85EKPKS1_KPS1_EviT_T0_PT8_S7_lSA_S7_lS8_PT9_S7_li,"axG",@progbits,_ZL37rocblas_syrkx_herkx_restricted_kernelIl19rocblas_complex_numIdELi16ELi32ELi8ELb0ELb1ELc78ELc85EKPKS1_KPS1_EviT_T0_PT8_S7_lSA_S7_lS8_PT9_S7_li,comdat
.Lfunc_end1808:
	.size	_ZL37rocblas_syrkx_herkx_restricted_kernelIl19rocblas_complex_numIdELi16ELi32ELi8ELb0ELb1ELc78ELc85EKPKS1_KPS1_EviT_T0_PT8_S7_lSA_S7_lS8_PT9_S7_li, .Lfunc_end1808-_ZL37rocblas_syrkx_herkx_restricted_kernelIl19rocblas_complex_numIdELi16ELi32ELi8ELb0ELb1ELc78ELc85EKPKS1_KPS1_EviT_T0_PT8_S7_lSA_S7_lS8_PT9_S7_li
                                        ; -- End function
	.set _ZL37rocblas_syrkx_herkx_restricted_kernelIl19rocblas_complex_numIdELi16ELi32ELi8ELb0ELb1ELc78ELc85EKPKS1_KPS1_EviT_T0_PT8_S7_lSA_S7_lS8_PT9_S7_li.num_vgpr, 54
	.set _ZL37rocblas_syrkx_herkx_restricted_kernelIl19rocblas_complex_numIdELi16ELi32ELi8ELb0ELb1ELc78ELc85EKPKS1_KPS1_EviT_T0_PT8_S7_lSA_S7_lS8_PT9_S7_li.num_agpr, 0
	.set _ZL37rocblas_syrkx_herkx_restricted_kernelIl19rocblas_complex_numIdELi16ELi32ELi8ELb0ELb1ELc78ELc85EKPKS1_KPS1_EviT_T0_PT8_S7_lSA_S7_lS8_PT9_S7_li.numbered_sgpr, 30
	.set _ZL37rocblas_syrkx_herkx_restricted_kernelIl19rocblas_complex_numIdELi16ELi32ELi8ELb0ELb1ELc78ELc85EKPKS1_KPS1_EviT_T0_PT8_S7_lSA_S7_lS8_PT9_S7_li.num_named_barrier, 0
	.set _ZL37rocblas_syrkx_herkx_restricted_kernelIl19rocblas_complex_numIdELi16ELi32ELi8ELb0ELb1ELc78ELc85EKPKS1_KPS1_EviT_T0_PT8_S7_lSA_S7_lS8_PT9_S7_li.private_seg_size, 0
	.set _ZL37rocblas_syrkx_herkx_restricted_kernelIl19rocblas_complex_numIdELi16ELi32ELi8ELb0ELb1ELc78ELc85EKPKS1_KPS1_EviT_T0_PT8_S7_lSA_S7_lS8_PT9_S7_li.uses_vcc, 1
	.set _ZL37rocblas_syrkx_herkx_restricted_kernelIl19rocblas_complex_numIdELi16ELi32ELi8ELb0ELb1ELc78ELc85EKPKS1_KPS1_EviT_T0_PT8_S7_lSA_S7_lS8_PT9_S7_li.uses_flat_scratch, 0
	.set _ZL37rocblas_syrkx_herkx_restricted_kernelIl19rocblas_complex_numIdELi16ELi32ELi8ELb0ELb1ELc78ELc85EKPKS1_KPS1_EviT_T0_PT8_S7_lSA_S7_lS8_PT9_S7_li.has_dyn_sized_stack, 0
	.set _ZL37rocblas_syrkx_herkx_restricted_kernelIl19rocblas_complex_numIdELi16ELi32ELi8ELb0ELb1ELc78ELc85EKPKS1_KPS1_EviT_T0_PT8_S7_lSA_S7_lS8_PT9_S7_li.has_recursion, 0
	.set _ZL37rocblas_syrkx_herkx_restricted_kernelIl19rocblas_complex_numIdELi16ELi32ELi8ELb0ELb1ELc78ELc85EKPKS1_KPS1_EviT_T0_PT8_S7_lSA_S7_lS8_PT9_S7_li.has_indirect_call, 0
	.section	.AMDGPU.csdata,"",@progbits
; Kernel info:
; codeLenInByte = 3268
; TotalNumSgprs: 34
; NumVgprs: 54
; ScratchSize: 0
; MemoryBound: 0
; FloatMode: 240
; IeeeMode: 1
; LDSByteSize: 8192 bytes/workgroup (compile time only)
; SGPRBlocks: 8
; VGPRBlocks: 13
; NumSGPRsForWavesPerEU: 65
; NumVGPRsForWavesPerEU: 54
; Occupancy: 4
; WaveLimiterHint : 1
; COMPUTE_PGM_RSRC2:SCRATCH_EN: 0
; COMPUTE_PGM_RSRC2:USER_SGPR: 6
; COMPUTE_PGM_RSRC2:TRAP_HANDLER: 0
; COMPUTE_PGM_RSRC2:TGID_X_EN: 1
; COMPUTE_PGM_RSRC2:TGID_Y_EN: 1
; COMPUTE_PGM_RSRC2:TGID_Z_EN: 1
; COMPUTE_PGM_RSRC2:TIDIG_COMP_CNT: 1
	.section	.text._ZL41rocblas_syrkx_herkx_small_restrict_kernelIl19rocblas_complex_numIdELi16ELb1ELb1ELc84ELc76EKPKS1_KPS1_EviT_T0_PT6_S7_lSA_S7_lS8_PT7_S7_li,"axG",@progbits,_ZL41rocblas_syrkx_herkx_small_restrict_kernelIl19rocblas_complex_numIdELi16ELb1ELb1ELc84ELc76EKPKS1_KPS1_EviT_T0_PT6_S7_lSA_S7_lS8_PT7_S7_li,comdat
	.globl	_ZL41rocblas_syrkx_herkx_small_restrict_kernelIl19rocblas_complex_numIdELi16ELb1ELb1ELc84ELc76EKPKS1_KPS1_EviT_T0_PT6_S7_lSA_S7_lS8_PT7_S7_li ; -- Begin function _ZL41rocblas_syrkx_herkx_small_restrict_kernelIl19rocblas_complex_numIdELi16ELb1ELb1ELc84ELc76EKPKS1_KPS1_EviT_T0_PT6_S7_lSA_S7_lS8_PT7_S7_li
	.p2align	8
	.type	_ZL41rocblas_syrkx_herkx_small_restrict_kernelIl19rocblas_complex_numIdELi16ELb1ELb1ELc84ELc76EKPKS1_KPS1_EviT_T0_PT6_S7_lSA_S7_lS8_PT7_S7_li,@function
_ZL41rocblas_syrkx_herkx_small_restrict_kernelIl19rocblas_complex_numIdELi16ELb1ELb1ELc84ELc76EKPKS1_KPS1_EviT_T0_PT6_S7_lSA_S7_lS8_PT7_S7_li: ; @_ZL41rocblas_syrkx_herkx_small_restrict_kernelIl19rocblas_complex_numIdELi16ELb1ELb1ELc84ELc76EKPKS1_KPS1_EviT_T0_PT6_S7_lSA_S7_lS8_PT7_S7_li
; %bb.0:
	s_load_dwordx4 s[0:3], s[4:5], 0x60
	s_load_dwordx2 s[10:11], s[4:5], 0x28
	s_load_dwordx8 s[12:19], s[4:5], 0x8
	s_mov_b32 s9, 0
	s_lshl_b64 s[8:9], s[8:9], 3
	s_waitcnt lgkmcnt(0)
	s_add_u32 s0, s0, s8
	s_addc_u32 s1, s1, s9
	s_load_dwordx2 s[0:1], s[0:1], 0x0
	v_cmp_lt_i64_e64 s[20:21], s[12:13], 1
	v_lshl_add_u32 v2, s6, 4, v0
	v_lshl_add_u32 v12, s7, 4, v1
	s_and_b64 vcc, exec, s[20:21]
	v_ashrrev_i32_e32 v3, 31, v2
	v_ashrrev_i32_e32 v13, 31, v12
	s_cbranch_vccnz .LBB1809_6
; %bb.1:
	s_load_dwordx4 s[20:23], s[4:5], 0x38
	v_mad_u64_u32 v[4:5], s[4:5], s10, v2, 0
	v_mul_lo_u32 v6, s11, v2
	v_mul_lo_u32 v7, s10, v3
	s_waitcnt lgkmcnt(0)
	s_add_u32 s4, s20, s8
	s_addc_u32 s5, s21, s9
	s_add_u32 s6, s18, s8
	s_addc_u32 s7, s19, s9
	s_load_dwordx2 s[6:7], s[6:7], 0x0
	v_lshlrev_b32_e32 v8, 4, v1
	v_add3_u32 v5, v5, v7, v6
	v_lshlrev_b64 v[4:5], 4, v[4:5]
	s_load_dwordx2 s[4:5], s[4:5], 0x0
	s_waitcnt lgkmcnt(0)
	v_mov_b32_e32 v6, s7
	v_add_co_u32_e32 v7, vcc, s6, v8
	v_addc_co_u32_e32 v6, vcc, 0, v6, vcc
	v_add_co_u32_e32 v4, vcc, v7, v4
	v_addc_co_u32_e32 v5, vcc, v6, v5, vcc
	v_mul_lo_u32 v8, s23, v12
	v_mul_lo_u32 v9, s22, v13
	v_mad_u64_u32 v[6:7], s[6:7], s22, v12, 0
	v_lshlrev_b32_e32 v14, 4, v0
	v_mov_b32_e32 v0, s5
	v_add3_u32 v7, v7, v9, v8
	v_add_co_u32_e32 v8, vcc, s4, v14
	v_lshlrev_b32_e32 v10, 8, v1
	v_addc_co_u32_e32 v9, vcc, 0, v0, vcc
	v_lshlrev_b64 v[0:1], 4, v[6:7]
	v_add_u32_e32 v15, v14, v10
	v_add_co_u32_e32 v0, vcc, v8, v0
	v_addc_co_u32_e32 v1, vcc, v9, v1, vcc
	v_add_u32_e32 v16, 0x1000, v10
	v_mov_b32_e32 v8, 0
	v_mov_b32_e32 v10, 0
	;; [unrolled: 1-line block ×3, first 2 shown]
	v_add_u32_e32 v17, v16, v14
	v_mov_b32_e32 v9, 0
	s_mov_b64 s[4:5], 0
	v_mov_b32_e32 v11, 0
	v_mov_b32_e32 v7, s13
.LBB1809_2:                             ; =>This Inner Loop Header: Depth=1
	flat_load_dwordx4 v[18:21], v[4:5]
	s_add_u32 s4, s4, 16
	s_addc_u32 s5, s5, 0
	s_waitcnt vmcnt(0) lgkmcnt(0)
	ds_write2_b64 v15, v[18:19], v[20:21] offset1:1
	flat_load_dwordx4 v[18:21], v[0:1]
	v_add_co_u32_e32 v0, vcc, 0x100, v0
	v_addc_co_u32_e32 v1, vcc, 0, v1, vcc
	v_add_co_u32_e32 v4, vcc, 0x100, v4
	v_addc_co_u32_e32 v5, vcc, 0, v5, vcc
	v_cmp_lt_i64_e32 vcc, s[4:5], v[6:7]
	s_and_b64 vcc, exec, vcc
	s_waitcnt vmcnt(0) lgkmcnt(0)
	ds_write2_b64 v17, v[18:19], v[20:21] offset1:1
	s_waitcnt lgkmcnt(0)
	s_barrier
	ds_read_b128 v[18:21], v16
	ds_read_b128 v[22:25], v16 offset:16
	ds_read_b128 v[26:29], v16 offset:32
	;; [unrolled: 1-line block ×3, first 2 shown]
	ds_read_b128 v[34:37], v14
	s_waitcnt lgkmcnt(0)
	v_mul_f64 v[38:39], v[20:21], v[36:37]
	v_fma_f64 v[38:39], v[18:19], v[34:35], -v[38:39]
	v_mul_f64 v[18:19], v[18:19], v[36:37]
	v_fma_f64 v[18:19], v[20:21], v[34:35], v[18:19]
	v_add_f64 v[20:21], v[10:11], v[38:39]
	v_add_f64 v[18:19], v[8:9], v[18:19]
	ds_read_b128 v[8:11], v14 offset:256
	s_waitcnt lgkmcnt(0)
	v_mul_f64 v[34:35], v[24:25], v[10:11]
	v_mul_f64 v[10:11], v[22:23], v[10:11]
	v_fma_f64 v[34:35], v[22:23], v[8:9], -v[34:35]
	v_fma_f64 v[8:9], v[24:25], v[8:9], v[10:11]
	v_add_f64 v[20:21], v[20:21], v[34:35]
	v_add_f64 v[18:19], v[18:19], v[8:9]
	ds_read_b128 v[8:11], v14 offset:512
	s_waitcnt lgkmcnt(0)
	v_mul_f64 v[22:23], v[28:29], v[10:11]
	v_mul_f64 v[10:11], v[26:27], v[10:11]
	v_fma_f64 v[22:23], v[26:27], v[8:9], -v[22:23]
	v_fma_f64 v[8:9], v[28:29], v[8:9], v[10:11]
	v_add_f64 v[20:21], v[20:21], v[22:23]
	v_add_f64 v[18:19], v[18:19], v[8:9]
	ds_read_b128 v[8:11], v14 offset:768
	s_waitcnt lgkmcnt(0)
	v_mul_f64 v[22:23], v[32:33], v[10:11]
	v_mul_f64 v[10:11], v[30:31], v[10:11]
	v_fma_f64 v[22:23], v[30:31], v[8:9], -v[22:23]
	v_fma_f64 v[8:9], v[32:33], v[8:9], v[10:11]
	v_add_f64 v[22:23], v[20:21], v[22:23]
	v_add_f64 v[24:25], v[18:19], v[8:9]
	ds_read_b128 v[8:11], v16 offset:64
	ds_read_b128 v[18:21], v14 offset:1024
	s_waitcnt lgkmcnt(0)
	v_mul_f64 v[26:27], v[10:11], v[20:21]
	v_fma_f64 v[26:27], v[8:9], v[18:19], -v[26:27]
	v_mul_f64 v[8:9], v[8:9], v[20:21]
	v_add_f64 v[22:23], v[22:23], v[26:27]
	v_fma_f64 v[8:9], v[10:11], v[18:19], v[8:9]
	v_add_f64 v[24:25], v[24:25], v[8:9]
	ds_read_b128 v[8:11], v16 offset:80
	ds_read_b128 v[18:21], v14 offset:1280
	s_waitcnt lgkmcnt(0)
	v_mul_f64 v[26:27], v[10:11], v[20:21]
	v_fma_f64 v[26:27], v[8:9], v[18:19], -v[26:27]
	v_mul_f64 v[8:9], v[8:9], v[20:21]
	v_add_f64 v[22:23], v[22:23], v[26:27]
	v_fma_f64 v[8:9], v[10:11], v[18:19], v[8:9]
	;; [unrolled: 9-line block ×11, first 2 shown]
	v_add_f64 v[24:25], v[24:25], v[8:9]
	ds_read_b128 v[8:11], v16 offset:240
	ds_read_b128 v[18:21], v14 offset:3840
	s_waitcnt lgkmcnt(0)
	s_barrier
	v_mul_f64 v[26:27], v[10:11], v[20:21]
	v_fma_f64 v[26:27], v[8:9], v[18:19], -v[26:27]
	v_mul_f64 v[8:9], v[8:9], v[20:21]
	v_fma_f64 v[8:9], v[10:11], v[18:19], v[8:9]
	v_add_f64 v[10:11], v[22:23], v[26:27]
	v_add_f64 v[8:9], v[24:25], v[8:9]
	s_cbranch_vccnz .LBB1809_2
; %bb.3:
	v_cmp_le_i32_e32 vcc, v12, v2
	s_and_saveexec_b64 s[4:5], vcc
	s_cbranch_execz .LBB1809_5
.LBB1809_4:
	v_mul_f64 v[4:5], s[14:15], v[8:9]
	v_mul_f64 v[0:1], s[16:17], v[8:9]
	v_mul_lo_u32 v8, s3, v12
	v_mul_lo_u32 v9, s2, v13
	v_mad_u64_u32 v[6:7], s[2:3], s2, v12, 0
	v_add3_u32 v7, v7, v9, v8
	v_fma_f64 v[4:5], s[16:17], v[10:11], v[4:5]
	v_lshlrev_b64 v[6:7], 4, v[6:7]
	v_fma_f64 v[0:1], s[14:15], v[10:11], -v[0:1]
	s_waitcnt lgkmcnt(0)
	v_mov_b32_e32 v8, s1
	v_add_co_u32_e32 v9, vcc, s0, v6
	v_addc_co_u32_e32 v8, vcc, v8, v7, vcc
	v_lshlrev_b64 v[6:7], 4, v[2:3]
	v_add_co_u32_e32 v6, vcc, v9, v6
	v_addc_co_u32_e32 v7, vcc, v8, v7, vcc
	v_cmp_ne_u32_e32 vcc, v2, v12
	v_cndmask_b32_e32 v3, 0, v5, vcc
	v_cndmask_b32_e32 v2, 0, v4, vcc
	flat_store_dwordx4 v[6:7], v[0:3]
.LBB1809_5:
	s_endpgm
.LBB1809_6:
	v_mov_b32_e32 v8, 0
	v_mov_b32_e32 v10, 0
	;; [unrolled: 1-line block ×4, first 2 shown]
	v_cmp_le_i32_e32 vcc, v12, v2
	s_and_saveexec_b64 s[4:5], vcc
	s_cbranch_execnz .LBB1809_4
	s_branch .LBB1809_5
	.section	.rodata,"a",@progbits
	.p2align	6, 0x0
	.amdhsa_kernel _ZL41rocblas_syrkx_herkx_small_restrict_kernelIl19rocblas_complex_numIdELi16ELb1ELb1ELc84ELc76EKPKS1_KPS1_EviT_T0_PT6_S7_lSA_S7_lS8_PT7_S7_li
		.amdhsa_group_segment_fixed_size 8192
		.amdhsa_private_segment_fixed_size 0
		.amdhsa_kernarg_size 124
		.amdhsa_user_sgpr_count 6
		.amdhsa_user_sgpr_private_segment_buffer 1
		.amdhsa_user_sgpr_dispatch_ptr 0
		.amdhsa_user_sgpr_queue_ptr 0
		.amdhsa_user_sgpr_kernarg_segment_ptr 1
		.amdhsa_user_sgpr_dispatch_id 0
		.amdhsa_user_sgpr_flat_scratch_init 0
		.amdhsa_user_sgpr_private_segment_size 0
		.amdhsa_uses_dynamic_stack 0
		.amdhsa_system_sgpr_private_segment_wavefront_offset 0
		.amdhsa_system_sgpr_workgroup_id_x 1
		.amdhsa_system_sgpr_workgroup_id_y 1
		.amdhsa_system_sgpr_workgroup_id_z 1
		.amdhsa_system_sgpr_workgroup_info 0
		.amdhsa_system_vgpr_workitem_id 1
		.amdhsa_next_free_vgpr 40
		.amdhsa_next_free_sgpr 61
		.amdhsa_reserve_vcc 1
		.amdhsa_reserve_flat_scratch 0
		.amdhsa_float_round_mode_32 0
		.amdhsa_float_round_mode_16_64 0
		.amdhsa_float_denorm_mode_32 3
		.amdhsa_float_denorm_mode_16_64 3
		.amdhsa_dx10_clamp 1
		.amdhsa_ieee_mode 1
		.amdhsa_fp16_overflow 0
		.amdhsa_exception_fp_ieee_invalid_op 0
		.amdhsa_exception_fp_denorm_src 0
		.amdhsa_exception_fp_ieee_div_zero 0
		.amdhsa_exception_fp_ieee_overflow 0
		.amdhsa_exception_fp_ieee_underflow 0
		.amdhsa_exception_fp_ieee_inexact 0
		.amdhsa_exception_int_div_zero 0
	.end_amdhsa_kernel
	.section	.text._ZL41rocblas_syrkx_herkx_small_restrict_kernelIl19rocblas_complex_numIdELi16ELb1ELb1ELc84ELc76EKPKS1_KPS1_EviT_T0_PT6_S7_lSA_S7_lS8_PT7_S7_li,"axG",@progbits,_ZL41rocblas_syrkx_herkx_small_restrict_kernelIl19rocblas_complex_numIdELi16ELb1ELb1ELc84ELc76EKPKS1_KPS1_EviT_T0_PT6_S7_lSA_S7_lS8_PT7_S7_li,comdat
.Lfunc_end1809:
	.size	_ZL41rocblas_syrkx_herkx_small_restrict_kernelIl19rocblas_complex_numIdELi16ELb1ELb1ELc84ELc76EKPKS1_KPS1_EviT_T0_PT6_S7_lSA_S7_lS8_PT7_S7_li, .Lfunc_end1809-_ZL41rocblas_syrkx_herkx_small_restrict_kernelIl19rocblas_complex_numIdELi16ELb1ELb1ELc84ELc76EKPKS1_KPS1_EviT_T0_PT6_S7_lSA_S7_lS8_PT7_S7_li
                                        ; -- End function
	.set _ZL41rocblas_syrkx_herkx_small_restrict_kernelIl19rocblas_complex_numIdELi16ELb1ELb1ELc84ELc76EKPKS1_KPS1_EviT_T0_PT6_S7_lSA_S7_lS8_PT7_S7_li.num_vgpr, 40
	.set _ZL41rocblas_syrkx_herkx_small_restrict_kernelIl19rocblas_complex_numIdELi16ELb1ELb1ELc84ELc76EKPKS1_KPS1_EviT_T0_PT6_S7_lSA_S7_lS8_PT7_S7_li.num_agpr, 0
	.set _ZL41rocblas_syrkx_herkx_small_restrict_kernelIl19rocblas_complex_numIdELi16ELb1ELb1ELc84ELc76EKPKS1_KPS1_EviT_T0_PT6_S7_lSA_S7_lS8_PT7_S7_li.numbered_sgpr, 24
	.set _ZL41rocblas_syrkx_herkx_small_restrict_kernelIl19rocblas_complex_numIdELi16ELb1ELb1ELc84ELc76EKPKS1_KPS1_EviT_T0_PT6_S7_lSA_S7_lS8_PT7_S7_li.num_named_barrier, 0
	.set _ZL41rocblas_syrkx_herkx_small_restrict_kernelIl19rocblas_complex_numIdELi16ELb1ELb1ELc84ELc76EKPKS1_KPS1_EviT_T0_PT6_S7_lSA_S7_lS8_PT7_S7_li.private_seg_size, 0
	.set _ZL41rocblas_syrkx_herkx_small_restrict_kernelIl19rocblas_complex_numIdELi16ELb1ELb1ELc84ELc76EKPKS1_KPS1_EviT_T0_PT6_S7_lSA_S7_lS8_PT7_S7_li.uses_vcc, 1
	.set _ZL41rocblas_syrkx_herkx_small_restrict_kernelIl19rocblas_complex_numIdELi16ELb1ELb1ELc84ELc76EKPKS1_KPS1_EviT_T0_PT6_S7_lSA_S7_lS8_PT7_S7_li.uses_flat_scratch, 0
	.set _ZL41rocblas_syrkx_herkx_small_restrict_kernelIl19rocblas_complex_numIdELi16ELb1ELb1ELc84ELc76EKPKS1_KPS1_EviT_T0_PT6_S7_lSA_S7_lS8_PT7_S7_li.has_dyn_sized_stack, 0
	.set _ZL41rocblas_syrkx_herkx_small_restrict_kernelIl19rocblas_complex_numIdELi16ELb1ELb1ELc84ELc76EKPKS1_KPS1_EviT_T0_PT6_S7_lSA_S7_lS8_PT7_S7_li.has_recursion, 0
	.set _ZL41rocblas_syrkx_herkx_small_restrict_kernelIl19rocblas_complex_numIdELi16ELb1ELb1ELc84ELc76EKPKS1_KPS1_EviT_T0_PT6_S7_lSA_S7_lS8_PT7_S7_li.has_indirect_call, 0
	.section	.AMDGPU.csdata,"",@progbits
; Kernel info:
; codeLenInByte = 1672
; TotalNumSgprs: 28
; NumVgprs: 40
; ScratchSize: 0
; MemoryBound: 0
; FloatMode: 240
; IeeeMode: 1
; LDSByteSize: 8192 bytes/workgroup (compile time only)
; SGPRBlocks: 8
; VGPRBlocks: 9
; NumSGPRsForWavesPerEU: 65
; NumVGPRsForWavesPerEU: 40
; Occupancy: 6
; WaveLimiterHint : 1
; COMPUTE_PGM_RSRC2:SCRATCH_EN: 0
; COMPUTE_PGM_RSRC2:USER_SGPR: 6
; COMPUTE_PGM_RSRC2:TRAP_HANDLER: 0
; COMPUTE_PGM_RSRC2:TGID_X_EN: 1
; COMPUTE_PGM_RSRC2:TGID_Y_EN: 1
; COMPUTE_PGM_RSRC2:TGID_Z_EN: 1
; COMPUTE_PGM_RSRC2:TIDIG_COMP_CNT: 1
	.section	.text._ZL41rocblas_syrkx_herkx_small_restrict_kernelIl19rocblas_complex_numIdELi16ELb1ELb1ELc67ELc76EKPKS1_KPS1_EviT_T0_PT6_S7_lSA_S7_lS8_PT7_S7_li,"axG",@progbits,_ZL41rocblas_syrkx_herkx_small_restrict_kernelIl19rocblas_complex_numIdELi16ELb1ELb1ELc67ELc76EKPKS1_KPS1_EviT_T0_PT6_S7_lSA_S7_lS8_PT7_S7_li,comdat
	.globl	_ZL41rocblas_syrkx_herkx_small_restrict_kernelIl19rocblas_complex_numIdELi16ELb1ELb1ELc67ELc76EKPKS1_KPS1_EviT_T0_PT6_S7_lSA_S7_lS8_PT7_S7_li ; -- Begin function _ZL41rocblas_syrkx_herkx_small_restrict_kernelIl19rocblas_complex_numIdELi16ELb1ELb1ELc67ELc76EKPKS1_KPS1_EviT_T0_PT6_S7_lSA_S7_lS8_PT7_S7_li
	.p2align	8
	.type	_ZL41rocblas_syrkx_herkx_small_restrict_kernelIl19rocblas_complex_numIdELi16ELb1ELb1ELc67ELc76EKPKS1_KPS1_EviT_T0_PT6_S7_lSA_S7_lS8_PT7_S7_li,@function
_ZL41rocblas_syrkx_herkx_small_restrict_kernelIl19rocblas_complex_numIdELi16ELb1ELb1ELc67ELc76EKPKS1_KPS1_EviT_T0_PT6_S7_lSA_S7_lS8_PT7_S7_li: ; @_ZL41rocblas_syrkx_herkx_small_restrict_kernelIl19rocblas_complex_numIdELi16ELb1ELb1ELc67ELc76EKPKS1_KPS1_EviT_T0_PT6_S7_lSA_S7_lS8_PT7_S7_li
; %bb.0:
	s_load_dwordx4 s[0:3], s[4:5], 0x60
	s_load_dwordx2 s[10:11], s[4:5], 0x28
	s_load_dwordx8 s[12:19], s[4:5], 0x8
	s_mov_b32 s9, 0
	s_lshl_b64 s[8:9], s[8:9], 3
	s_waitcnt lgkmcnt(0)
	s_add_u32 s0, s0, s8
	s_addc_u32 s1, s1, s9
	s_load_dwordx2 s[0:1], s[0:1], 0x0
	v_cmp_lt_i64_e64 s[20:21], s[12:13], 1
	v_lshl_add_u32 v2, s6, 4, v0
	v_lshl_add_u32 v12, s7, 4, v1
	s_and_b64 vcc, exec, s[20:21]
	v_ashrrev_i32_e32 v3, 31, v2
	v_ashrrev_i32_e32 v13, 31, v12
	s_cbranch_vccnz .LBB1810_6
; %bb.1:
	s_load_dwordx4 s[20:23], s[4:5], 0x38
	v_mad_u64_u32 v[4:5], s[4:5], s10, v2, 0
	v_mul_lo_u32 v6, s11, v2
	v_mul_lo_u32 v7, s10, v3
	s_waitcnt lgkmcnt(0)
	s_add_u32 s4, s20, s8
	s_addc_u32 s5, s21, s9
	s_add_u32 s6, s18, s8
	s_addc_u32 s7, s19, s9
	s_load_dwordx2 s[6:7], s[6:7], 0x0
	v_lshlrev_b32_e32 v8, 4, v1
	v_add3_u32 v5, v5, v7, v6
	v_lshlrev_b64 v[4:5], 4, v[4:5]
	s_load_dwordx2 s[4:5], s[4:5], 0x0
	s_waitcnt lgkmcnt(0)
	v_mov_b32_e32 v6, s7
	v_add_co_u32_e32 v7, vcc, s6, v8
	v_addc_co_u32_e32 v6, vcc, 0, v6, vcc
	v_add_co_u32_e32 v4, vcc, v7, v4
	v_addc_co_u32_e32 v5, vcc, v6, v5, vcc
	v_mul_lo_u32 v8, s23, v12
	v_mul_lo_u32 v9, s22, v13
	v_mad_u64_u32 v[6:7], s[6:7], s22, v12, 0
	v_lshlrev_b32_e32 v14, 4, v0
	v_mov_b32_e32 v0, s5
	v_add3_u32 v7, v7, v9, v8
	v_add_co_u32_e32 v8, vcc, s4, v14
	v_lshlrev_b32_e32 v10, 8, v1
	v_addc_co_u32_e32 v9, vcc, 0, v0, vcc
	v_lshlrev_b64 v[0:1], 4, v[6:7]
	v_add_u32_e32 v15, v14, v10
	v_add_co_u32_e32 v0, vcc, v8, v0
	v_addc_co_u32_e32 v1, vcc, v9, v1, vcc
	v_add_u32_e32 v16, 0x1000, v10
	v_mov_b32_e32 v8, 0
	v_mov_b32_e32 v10, 0
	v_mov_b32_e32 v6, s12
	v_add_u32_e32 v17, v16, v14
	v_mov_b32_e32 v9, 0
	s_mov_b64 s[4:5], 0
	v_mov_b32_e32 v11, 0
	v_mov_b32_e32 v7, s13
.LBB1810_2:                             ; =>This Inner Loop Header: Depth=1
	flat_load_dwordx4 v[18:21], v[4:5]
	s_add_u32 s4, s4, 16
	s_addc_u32 s5, s5, 0
	s_waitcnt vmcnt(0) lgkmcnt(0)
	v_xor_b32_e32 v21, 0x80000000, v21
	ds_write_b128 v15, v[18:21]
	flat_load_dwordx4 v[18:21], v[0:1]
	v_add_co_u32_e32 v0, vcc, 0x100, v0
	v_addc_co_u32_e32 v1, vcc, 0, v1, vcc
	v_add_co_u32_e32 v4, vcc, 0x100, v4
	v_addc_co_u32_e32 v5, vcc, 0, v5, vcc
	v_cmp_lt_i64_e32 vcc, s[4:5], v[6:7]
	s_and_b64 vcc, exec, vcc
	s_waitcnt vmcnt(0) lgkmcnt(0)
	ds_write2_b64 v17, v[18:19], v[20:21] offset1:1
	s_waitcnt lgkmcnt(0)
	s_barrier
	ds_read_b128 v[18:21], v16
	ds_read_b128 v[22:25], v16 offset:16
	ds_read_b128 v[26:29], v16 offset:32
	ds_read_b128 v[30:33], v16 offset:48
	ds_read_b128 v[34:37], v14
	s_waitcnt lgkmcnt(0)
	v_mul_f64 v[38:39], v[20:21], v[36:37]
	v_fma_f64 v[38:39], v[18:19], v[34:35], -v[38:39]
	v_mul_f64 v[18:19], v[18:19], v[36:37]
	v_fma_f64 v[18:19], v[20:21], v[34:35], v[18:19]
	v_add_f64 v[20:21], v[10:11], v[38:39]
	v_add_f64 v[18:19], v[8:9], v[18:19]
	ds_read_b128 v[8:11], v14 offset:256
	s_waitcnt lgkmcnt(0)
	v_mul_f64 v[34:35], v[24:25], v[10:11]
	v_mul_f64 v[10:11], v[22:23], v[10:11]
	v_fma_f64 v[34:35], v[22:23], v[8:9], -v[34:35]
	v_fma_f64 v[8:9], v[24:25], v[8:9], v[10:11]
	v_add_f64 v[20:21], v[20:21], v[34:35]
	v_add_f64 v[18:19], v[18:19], v[8:9]
	ds_read_b128 v[8:11], v14 offset:512
	s_waitcnt lgkmcnt(0)
	v_mul_f64 v[22:23], v[28:29], v[10:11]
	v_mul_f64 v[10:11], v[26:27], v[10:11]
	v_fma_f64 v[22:23], v[26:27], v[8:9], -v[22:23]
	;; [unrolled: 8-line block ×3, first 2 shown]
	v_fma_f64 v[8:9], v[32:33], v[8:9], v[10:11]
	v_add_f64 v[22:23], v[20:21], v[22:23]
	v_add_f64 v[24:25], v[18:19], v[8:9]
	ds_read_b128 v[8:11], v16 offset:64
	ds_read_b128 v[18:21], v14 offset:1024
	s_waitcnt lgkmcnt(0)
	v_mul_f64 v[26:27], v[10:11], v[20:21]
	v_fma_f64 v[26:27], v[8:9], v[18:19], -v[26:27]
	v_mul_f64 v[8:9], v[8:9], v[20:21]
	v_add_f64 v[22:23], v[22:23], v[26:27]
	v_fma_f64 v[8:9], v[10:11], v[18:19], v[8:9]
	v_add_f64 v[24:25], v[24:25], v[8:9]
	ds_read_b128 v[8:11], v16 offset:80
	ds_read_b128 v[18:21], v14 offset:1280
	s_waitcnt lgkmcnt(0)
	v_mul_f64 v[26:27], v[10:11], v[20:21]
	v_fma_f64 v[26:27], v[8:9], v[18:19], -v[26:27]
	v_mul_f64 v[8:9], v[8:9], v[20:21]
	v_add_f64 v[22:23], v[22:23], v[26:27]
	v_fma_f64 v[8:9], v[10:11], v[18:19], v[8:9]
	;; [unrolled: 9-line block ×11, first 2 shown]
	v_add_f64 v[24:25], v[24:25], v[8:9]
	ds_read_b128 v[8:11], v16 offset:240
	ds_read_b128 v[18:21], v14 offset:3840
	s_waitcnt lgkmcnt(0)
	s_barrier
	v_mul_f64 v[26:27], v[10:11], v[20:21]
	v_fma_f64 v[26:27], v[8:9], v[18:19], -v[26:27]
	v_mul_f64 v[8:9], v[8:9], v[20:21]
	v_fma_f64 v[8:9], v[10:11], v[18:19], v[8:9]
	v_add_f64 v[10:11], v[22:23], v[26:27]
	v_add_f64 v[8:9], v[24:25], v[8:9]
	s_cbranch_vccnz .LBB1810_2
; %bb.3:
	v_cmp_le_i32_e32 vcc, v12, v2
	s_and_saveexec_b64 s[4:5], vcc
	s_cbranch_execz .LBB1810_5
.LBB1810_4:
	v_mul_f64 v[4:5], s[14:15], v[8:9]
	v_mul_f64 v[0:1], s[16:17], v[8:9]
	v_mul_lo_u32 v8, s3, v12
	v_mul_lo_u32 v9, s2, v13
	v_mad_u64_u32 v[6:7], s[2:3], s2, v12, 0
	v_add3_u32 v7, v7, v9, v8
	v_fma_f64 v[4:5], s[16:17], v[10:11], v[4:5]
	v_lshlrev_b64 v[6:7], 4, v[6:7]
	v_fma_f64 v[0:1], s[14:15], v[10:11], -v[0:1]
	s_waitcnt lgkmcnt(0)
	v_mov_b32_e32 v8, s1
	v_add_co_u32_e32 v9, vcc, s0, v6
	v_addc_co_u32_e32 v8, vcc, v8, v7, vcc
	v_lshlrev_b64 v[6:7], 4, v[2:3]
	v_add_co_u32_e32 v6, vcc, v9, v6
	v_addc_co_u32_e32 v7, vcc, v8, v7, vcc
	v_cmp_ne_u32_e32 vcc, v2, v12
	v_cndmask_b32_e32 v3, 0, v5, vcc
	v_cndmask_b32_e32 v2, 0, v4, vcc
	flat_store_dwordx4 v[6:7], v[0:3]
.LBB1810_5:
	s_endpgm
.LBB1810_6:
	v_mov_b32_e32 v8, 0
	v_mov_b32_e32 v10, 0
	;; [unrolled: 1-line block ×4, first 2 shown]
	v_cmp_le_i32_e32 vcc, v12, v2
	s_and_saveexec_b64 s[4:5], vcc
	s_cbranch_execnz .LBB1810_4
	s_branch .LBB1810_5
	.section	.rodata,"a",@progbits
	.p2align	6, 0x0
	.amdhsa_kernel _ZL41rocblas_syrkx_herkx_small_restrict_kernelIl19rocblas_complex_numIdELi16ELb1ELb1ELc67ELc76EKPKS1_KPS1_EviT_T0_PT6_S7_lSA_S7_lS8_PT7_S7_li
		.amdhsa_group_segment_fixed_size 8192
		.amdhsa_private_segment_fixed_size 0
		.amdhsa_kernarg_size 124
		.amdhsa_user_sgpr_count 6
		.amdhsa_user_sgpr_private_segment_buffer 1
		.amdhsa_user_sgpr_dispatch_ptr 0
		.amdhsa_user_sgpr_queue_ptr 0
		.amdhsa_user_sgpr_kernarg_segment_ptr 1
		.amdhsa_user_sgpr_dispatch_id 0
		.amdhsa_user_sgpr_flat_scratch_init 0
		.amdhsa_user_sgpr_private_segment_size 0
		.amdhsa_uses_dynamic_stack 0
		.amdhsa_system_sgpr_private_segment_wavefront_offset 0
		.amdhsa_system_sgpr_workgroup_id_x 1
		.amdhsa_system_sgpr_workgroup_id_y 1
		.amdhsa_system_sgpr_workgroup_id_z 1
		.amdhsa_system_sgpr_workgroup_info 0
		.amdhsa_system_vgpr_workitem_id 1
		.amdhsa_next_free_vgpr 40
		.amdhsa_next_free_sgpr 61
		.amdhsa_reserve_vcc 1
		.amdhsa_reserve_flat_scratch 0
		.amdhsa_float_round_mode_32 0
		.amdhsa_float_round_mode_16_64 0
		.amdhsa_float_denorm_mode_32 3
		.amdhsa_float_denorm_mode_16_64 3
		.amdhsa_dx10_clamp 1
		.amdhsa_ieee_mode 1
		.amdhsa_fp16_overflow 0
		.amdhsa_exception_fp_ieee_invalid_op 0
		.amdhsa_exception_fp_denorm_src 0
		.amdhsa_exception_fp_ieee_div_zero 0
		.amdhsa_exception_fp_ieee_overflow 0
		.amdhsa_exception_fp_ieee_underflow 0
		.amdhsa_exception_fp_ieee_inexact 0
		.amdhsa_exception_int_div_zero 0
	.end_amdhsa_kernel
	.section	.text._ZL41rocblas_syrkx_herkx_small_restrict_kernelIl19rocblas_complex_numIdELi16ELb1ELb1ELc67ELc76EKPKS1_KPS1_EviT_T0_PT6_S7_lSA_S7_lS8_PT7_S7_li,"axG",@progbits,_ZL41rocblas_syrkx_herkx_small_restrict_kernelIl19rocblas_complex_numIdELi16ELb1ELb1ELc67ELc76EKPKS1_KPS1_EviT_T0_PT6_S7_lSA_S7_lS8_PT7_S7_li,comdat
.Lfunc_end1810:
	.size	_ZL41rocblas_syrkx_herkx_small_restrict_kernelIl19rocblas_complex_numIdELi16ELb1ELb1ELc67ELc76EKPKS1_KPS1_EviT_T0_PT6_S7_lSA_S7_lS8_PT7_S7_li, .Lfunc_end1810-_ZL41rocblas_syrkx_herkx_small_restrict_kernelIl19rocblas_complex_numIdELi16ELb1ELb1ELc67ELc76EKPKS1_KPS1_EviT_T0_PT6_S7_lSA_S7_lS8_PT7_S7_li
                                        ; -- End function
	.set _ZL41rocblas_syrkx_herkx_small_restrict_kernelIl19rocblas_complex_numIdELi16ELb1ELb1ELc67ELc76EKPKS1_KPS1_EviT_T0_PT6_S7_lSA_S7_lS8_PT7_S7_li.num_vgpr, 40
	.set _ZL41rocblas_syrkx_herkx_small_restrict_kernelIl19rocblas_complex_numIdELi16ELb1ELb1ELc67ELc76EKPKS1_KPS1_EviT_T0_PT6_S7_lSA_S7_lS8_PT7_S7_li.num_agpr, 0
	.set _ZL41rocblas_syrkx_herkx_small_restrict_kernelIl19rocblas_complex_numIdELi16ELb1ELb1ELc67ELc76EKPKS1_KPS1_EviT_T0_PT6_S7_lSA_S7_lS8_PT7_S7_li.numbered_sgpr, 24
	.set _ZL41rocblas_syrkx_herkx_small_restrict_kernelIl19rocblas_complex_numIdELi16ELb1ELb1ELc67ELc76EKPKS1_KPS1_EviT_T0_PT6_S7_lSA_S7_lS8_PT7_S7_li.num_named_barrier, 0
	.set _ZL41rocblas_syrkx_herkx_small_restrict_kernelIl19rocblas_complex_numIdELi16ELb1ELb1ELc67ELc76EKPKS1_KPS1_EviT_T0_PT6_S7_lSA_S7_lS8_PT7_S7_li.private_seg_size, 0
	.set _ZL41rocblas_syrkx_herkx_small_restrict_kernelIl19rocblas_complex_numIdELi16ELb1ELb1ELc67ELc76EKPKS1_KPS1_EviT_T0_PT6_S7_lSA_S7_lS8_PT7_S7_li.uses_vcc, 1
	.set _ZL41rocblas_syrkx_herkx_small_restrict_kernelIl19rocblas_complex_numIdELi16ELb1ELb1ELc67ELc76EKPKS1_KPS1_EviT_T0_PT6_S7_lSA_S7_lS8_PT7_S7_li.uses_flat_scratch, 0
	.set _ZL41rocblas_syrkx_herkx_small_restrict_kernelIl19rocblas_complex_numIdELi16ELb1ELb1ELc67ELc76EKPKS1_KPS1_EviT_T0_PT6_S7_lSA_S7_lS8_PT7_S7_li.has_dyn_sized_stack, 0
	.set _ZL41rocblas_syrkx_herkx_small_restrict_kernelIl19rocblas_complex_numIdELi16ELb1ELb1ELc67ELc76EKPKS1_KPS1_EviT_T0_PT6_S7_lSA_S7_lS8_PT7_S7_li.has_recursion, 0
	.set _ZL41rocblas_syrkx_herkx_small_restrict_kernelIl19rocblas_complex_numIdELi16ELb1ELb1ELc67ELc76EKPKS1_KPS1_EviT_T0_PT6_S7_lSA_S7_lS8_PT7_S7_li.has_indirect_call, 0
	.section	.AMDGPU.csdata,"",@progbits
; Kernel info:
; codeLenInByte = 1680
; TotalNumSgprs: 28
; NumVgprs: 40
; ScratchSize: 0
; MemoryBound: 0
; FloatMode: 240
; IeeeMode: 1
; LDSByteSize: 8192 bytes/workgroup (compile time only)
; SGPRBlocks: 8
; VGPRBlocks: 9
; NumSGPRsForWavesPerEU: 65
; NumVGPRsForWavesPerEU: 40
; Occupancy: 6
; WaveLimiterHint : 1
; COMPUTE_PGM_RSRC2:SCRATCH_EN: 0
; COMPUTE_PGM_RSRC2:USER_SGPR: 6
; COMPUTE_PGM_RSRC2:TRAP_HANDLER: 0
; COMPUTE_PGM_RSRC2:TGID_X_EN: 1
; COMPUTE_PGM_RSRC2:TGID_Y_EN: 1
; COMPUTE_PGM_RSRC2:TGID_Z_EN: 1
; COMPUTE_PGM_RSRC2:TIDIG_COMP_CNT: 1
	.section	.text._ZL41rocblas_syrkx_herkx_small_restrict_kernelIl19rocblas_complex_numIdELi16ELb1ELb1ELc78ELc76EKPKS1_KPS1_EviT_T0_PT6_S7_lSA_S7_lS8_PT7_S7_li,"axG",@progbits,_ZL41rocblas_syrkx_herkx_small_restrict_kernelIl19rocblas_complex_numIdELi16ELb1ELb1ELc78ELc76EKPKS1_KPS1_EviT_T0_PT6_S7_lSA_S7_lS8_PT7_S7_li,comdat
	.globl	_ZL41rocblas_syrkx_herkx_small_restrict_kernelIl19rocblas_complex_numIdELi16ELb1ELb1ELc78ELc76EKPKS1_KPS1_EviT_T0_PT6_S7_lSA_S7_lS8_PT7_S7_li ; -- Begin function _ZL41rocblas_syrkx_herkx_small_restrict_kernelIl19rocblas_complex_numIdELi16ELb1ELb1ELc78ELc76EKPKS1_KPS1_EviT_T0_PT6_S7_lSA_S7_lS8_PT7_S7_li
	.p2align	8
	.type	_ZL41rocblas_syrkx_herkx_small_restrict_kernelIl19rocblas_complex_numIdELi16ELb1ELb1ELc78ELc76EKPKS1_KPS1_EviT_T0_PT6_S7_lSA_S7_lS8_PT7_S7_li,@function
_ZL41rocblas_syrkx_herkx_small_restrict_kernelIl19rocblas_complex_numIdELi16ELb1ELb1ELc78ELc76EKPKS1_KPS1_EviT_T0_PT6_S7_lSA_S7_lS8_PT7_S7_li: ; @_ZL41rocblas_syrkx_herkx_small_restrict_kernelIl19rocblas_complex_numIdELi16ELb1ELb1ELc78ELc76EKPKS1_KPS1_EviT_T0_PT6_S7_lSA_S7_lS8_PT7_S7_li
; %bb.0:
	s_load_dwordx4 s[0:3], s[4:5], 0x60
	s_load_dwordx2 s[20:21], s[4:5], 0x28
	s_load_dwordx8 s[12:19], s[4:5], 0x8
	s_mov_b32 s9, 0
	s_lshl_b64 s[22:23], s[8:9], 3
	s_waitcnt lgkmcnt(0)
	s_add_u32 s0, s0, s22
	s_addc_u32 s1, s1, s23
	s_load_dwordx2 s[0:1], s[0:1], 0x0
	v_cmp_lt_i64_e64 s[8:9], s[12:13], 1
	v_lshl_add_u32 v2, s6, 4, v0
	v_lshl_add_u32 v4, s7, 4, v1
	s_and_b64 vcc, exec, s[8:9]
	v_ashrrev_i32_e32 v3, 31, v2
	v_ashrrev_i32_e32 v5, 31, v4
	s_cbranch_vccnz .LBB1811_6
; %bb.1:
	s_load_dwordx4 s[8:11], s[4:5], 0x38
	v_lshlrev_b32_e32 v9, 8, v1
	v_lshlrev_b32_e32 v14, 4, v0
	v_add_u32_e32 v15, v14, v9
	v_add_u32_e32 v16, 0x1000, v9
	s_waitcnt lgkmcnt(0)
	v_mad_u64_u32 v[6:7], s[6:7], s10, v0, 0
	s_add_u32 s4, s8, s22
	s_addc_u32 s5, s9, s23
	v_mad_u64_u32 v[7:8], s[8:9], s11, v0, v[7:8]
	v_mad_u64_u32 v[10:11], s[8:9], s20, v1, 0
	v_lshlrev_b64 v[6:7], 4, v[6:7]
	v_lshlrev_b64 v[8:9], 4, v[4:5]
	s_load_dwordx2 s[4:5], s[4:5], 0x0
	v_add_co_u32_e32 v8, vcc, v6, v8
	v_mov_b32_e32 v0, v11
	v_addc_co_u32_e32 v9, vcc, v7, v9, vcc
	v_mad_u64_u32 v[6:7], s[8:9], s21, v1, v[0:1]
	s_add_u32 s6, s18, s22
	s_addc_u32 s7, s19, s23
	s_load_dwordx2 s[6:7], s[6:7], 0x0
	s_waitcnt lgkmcnt(0)
	v_mov_b32_e32 v12, s5
	v_add_co_u32_e32 v0, vcc, s4, v8
	v_mov_b32_e32 v11, v6
	v_addc_co_u32_e32 v1, vcc, v12, v9, vcc
	v_lshlrev_b64 v[6:7], 4, v[10:11]
	v_lshlrev_b64 v[8:9], 4, v[2:3]
	s_lshl_b64 s[4:5], s[10:11], 8
	v_add_co_u32_e32 v6, vcc, v6, v8
	v_addc_co_u32_e32 v7, vcc, v7, v9, vcc
	v_mov_b32_e32 v8, s7
	v_add_co_u32_e32 v6, vcc, s6, v6
	v_addc_co_u32_e32 v7, vcc, v8, v7, vcc
	s_lshl_b64 s[6:7], s[20:21], 8
	v_mov_b32_e32 v10, 0
	v_mov_b32_e32 v12, 0
	;; [unrolled: 1-line block ×3, first 2 shown]
	v_add_u32_e32 v17, v16, v14
	v_mov_b32_e32 v11, 0
	s_mov_b64 s[8:9], 0
	v_mov_b32_e32 v18, s5
	v_mov_b32_e32 v19, s7
	;; [unrolled: 1-line block ×4, first 2 shown]
.LBB1811_2:                             ; =>This Inner Loop Header: Depth=1
	flat_load_dwordx4 v[20:23], v[6:7]
	s_add_u32 s8, s8, 16
	s_addc_u32 s9, s9, 0
	s_waitcnt vmcnt(0) lgkmcnt(0)
	ds_write2_b64 v15, v[20:21], v[22:23] offset1:1
	flat_load_dwordx4 v[20:23], v[0:1]
	v_add_co_u32_e32 v0, vcc, s4, v0
	v_addc_co_u32_e32 v1, vcc, v1, v18, vcc
	v_add_co_u32_e32 v6, vcc, s6, v6
	v_addc_co_u32_e32 v7, vcc, v7, v19, vcc
	v_cmp_lt_i64_e32 vcc, s[8:9], v[8:9]
	s_and_b64 vcc, exec, vcc
	s_waitcnt vmcnt(0) lgkmcnt(0)
	v_xor_b32_e32 v23, 0x80000000, v23
	ds_write_b128 v17, v[20:23]
	s_waitcnt lgkmcnt(0)
	s_barrier
	ds_read_b128 v[20:23], v16
	ds_read_b128 v[24:27], v16 offset:16
	ds_read_b128 v[28:31], v16 offset:32
	;; [unrolled: 1-line block ×3, first 2 shown]
	ds_read_b128 v[36:39], v14
	s_waitcnt lgkmcnt(0)
	v_mul_f64 v[40:41], v[22:23], v[38:39]
	v_fma_f64 v[40:41], v[20:21], v[36:37], -v[40:41]
	v_mul_f64 v[20:21], v[20:21], v[38:39]
	v_fma_f64 v[20:21], v[22:23], v[36:37], v[20:21]
	v_add_f64 v[22:23], v[12:13], v[40:41]
	v_add_f64 v[20:21], v[10:11], v[20:21]
	ds_read_b128 v[10:13], v14 offset:256
	s_waitcnt lgkmcnt(0)
	v_mul_f64 v[36:37], v[26:27], v[12:13]
	v_mul_f64 v[12:13], v[24:25], v[12:13]
	v_fma_f64 v[36:37], v[24:25], v[10:11], -v[36:37]
	v_fma_f64 v[10:11], v[26:27], v[10:11], v[12:13]
	v_add_f64 v[22:23], v[22:23], v[36:37]
	v_add_f64 v[20:21], v[20:21], v[10:11]
	ds_read_b128 v[10:13], v14 offset:512
	s_waitcnt lgkmcnt(0)
	v_mul_f64 v[24:25], v[30:31], v[12:13]
	v_mul_f64 v[12:13], v[28:29], v[12:13]
	v_fma_f64 v[24:25], v[28:29], v[10:11], -v[24:25]
	;; [unrolled: 8-line block ×3, first 2 shown]
	v_fma_f64 v[10:11], v[34:35], v[10:11], v[12:13]
	v_add_f64 v[24:25], v[22:23], v[24:25]
	v_add_f64 v[26:27], v[20:21], v[10:11]
	ds_read_b128 v[10:13], v16 offset:64
	ds_read_b128 v[20:23], v14 offset:1024
	s_waitcnt lgkmcnt(0)
	v_mul_f64 v[28:29], v[12:13], v[22:23]
	v_fma_f64 v[28:29], v[10:11], v[20:21], -v[28:29]
	v_mul_f64 v[10:11], v[10:11], v[22:23]
	v_add_f64 v[24:25], v[24:25], v[28:29]
	v_fma_f64 v[10:11], v[12:13], v[20:21], v[10:11]
	v_add_f64 v[26:27], v[26:27], v[10:11]
	ds_read_b128 v[10:13], v16 offset:80
	ds_read_b128 v[20:23], v14 offset:1280
	s_waitcnt lgkmcnt(0)
	v_mul_f64 v[28:29], v[12:13], v[22:23]
	v_fma_f64 v[28:29], v[10:11], v[20:21], -v[28:29]
	v_mul_f64 v[10:11], v[10:11], v[22:23]
	v_add_f64 v[24:25], v[24:25], v[28:29]
	v_fma_f64 v[10:11], v[12:13], v[20:21], v[10:11]
	;; [unrolled: 9-line block ×11, first 2 shown]
	v_add_f64 v[26:27], v[26:27], v[10:11]
	ds_read_b128 v[10:13], v16 offset:240
	ds_read_b128 v[20:23], v14 offset:3840
	s_waitcnt lgkmcnt(0)
	s_barrier
	v_mul_f64 v[28:29], v[12:13], v[22:23]
	v_fma_f64 v[28:29], v[10:11], v[20:21], -v[28:29]
	v_mul_f64 v[10:11], v[10:11], v[22:23]
	v_fma_f64 v[10:11], v[12:13], v[20:21], v[10:11]
	v_add_f64 v[12:13], v[24:25], v[28:29]
	v_add_f64 v[10:11], v[26:27], v[10:11]
	s_cbranch_vccnz .LBB1811_2
; %bb.3:
	v_cmp_le_i32_e32 vcc, v4, v2
	s_and_saveexec_b64 s[4:5], vcc
	s_cbranch_execz .LBB1811_5
.LBB1811_4:
	v_mul_f64 v[6:7], s[14:15], v[10:11]
	v_mul_f64 v[0:1], s[16:17], v[10:11]
	v_mul_lo_u32 v10, s3, v4
	v_mul_lo_u32 v5, s2, v5
	v_mad_u64_u32 v[8:9], s[2:3], s2, v4, 0
	v_add3_u32 v9, v9, v5, v10
	v_fma_f64 v[5:6], s[16:17], v[12:13], v[6:7]
	v_lshlrev_b64 v[7:8], 4, v[8:9]
	v_fma_f64 v[0:1], s[14:15], v[12:13], -v[0:1]
	s_waitcnt lgkmcnt(0)
	v_mov_b32_e32 v9, s1
	v_add_co_u32_e32 v10, vcc, s0, v7
	v_addc_co_u32_e32 v9, vcc, v9, v8, vcc
	v_lshlrev_b64 v[7:8], 4, v[2:3]
	v_add_co_u32_e32 v7, vcc, v10, v7
	v_addc_co_u32_e32 v8, vcc, v9, v8, vcc
	v_cmp_ne_u32_e32 vcc, v2, v4
	v_cndmask_b32_e32 v3, 0, v6, vcc
	v_cndmask_b32_e32 v2, 0, v5, vcc
	flat_store_dwordx4 v[7:8], v[0:3]
.LBB1811_5:
	s_endpgm
.LBB1811_6:
	v_mov_b32_e32 v10, 0
	v_mov_b32_e32 v12, 0
	v_mov_b32_e32 v11, 0
	v_mov_b32_e32 v13, 0
	v_cmp_le_i32_e32 vcc, v4, v2
	s_and_saveexec_b64 s[4:5], vcc
	s_cbranch_execnz .LBB1811_4
	s_branch .LBB1811_5
	.section	.rodata,"a",@progbits
	.p2align	6, 0x0
	.amdhsa_kernel _ZL41rocblas_syrkx_herkx_small_restrict_kernelIl19rocblas_complex_numIdELi16ELb1ELb1ELc78ELc76EKPKS1_KPS1_EviT_T0_PT6_S7_lSA_S7_lS8_PT7_S7_li
		.amdhsa_group_segment_fixed_size 8192
		.amdhsa_private_segment_fixed_size 0
		.amdhsa_kernarg_size 124
		.amdhsa_user_sgpr_count 6
		.amdhsa_user_sgpr_private_segment_buffer 1
		.amdhsa_user_sgpr_dispatch_ptr 0
		.amdhsa_user_sgpr_queue_ptr 0
		.amdhsa_user_sgpr_kernarg_segment_ptr 1
		.amdhsa_user_sgpr_dispatch_id 0
		.amdhsa_user_sgpr_flat_scratch_init 0
		.amdhsa_user_sgpr_private_segment_size 0
		.amdhsa_uses_dynamic_stack 0
		.amdhsa_system_sgpr_private_segment_wavefront_offset 0
		.amdhsa_system_sgpr_workgroup_id_x 1
		.amdhsa_system_sgpr_workgroup_id_y 1
		.amdhsa_system_sgpr_workgroup_id_z 1
		.amdhsa_system_sgpr_workgroup_info 0
		.amdhsa_system_vgpr_workitem_id 1
		.amdhsa_next_free_vgpr 42
		.amdhsa_next_free_sgpr 61
		.amdhsa_reserve_vcc 1
		.amdhsa_reserve_flat_scratch 0
		.amdhsa_float_round_mode_32 0
		.amdhsa_float_round_mode_16_64 0
		.amdhsa_float_denorm_mode_32 3
		.amdhsa_float_denorm_mode_16_64 3
		.amdhsa_dx10_clamp 1
		.amdhsa_ieee_mode 1
		.amdhsa_fp16_overflow 0
		.amdhsa_exception_fp_ieee_invalid_op 0
		.amdhsa_exception_fp_denorm_src 0
		.amdhsa_exception_fp_ieee_div_zero 0
		.amdhsa_exception_fp_ieee_overflow 0
		.amdhsa_exception_fp_ieee_underflow 0
		.amdhsa_exception_fp_ieee_inexact 0
		.amdhsa_exception_int_div_zero 0
	.end_amdhsa_kernel
	.section	.text._ZL41rocblas_syrkx_herkx_small_restrict_kernelIl19rocblas_complex_numIdELi16ELb1ELb1ELc78ELc76EKPKS1_KPS1_EviT_T0_PT6_S7_lSA_S7_lS8_PT7_S7_li,"axG",@progbits,_ZL41rocblas_syrkx_herkx_small_restrict_kernelIl19rocblas_complex_numIdELi16ELb1ELb1ELc78ELc76EKPKS1_KPS1_EviT_T0_PT6_S7_lSA_S7_lS8_PT7_S7_li,comdat
.Lfunc_end1811:
	.size	_ZL41rocblas_syrkx_herkx_small_restrict_kernelIl19rocblas_complex_numIdELi16ELb1ELb1ELc78ELc76EKPKS1_KPS1_EviT_T0_PT6_S7_lSA_S7_lS8_PT7_S7_li, .Lfunc_end1811-_ZL41rocblas_syrkx_herkx_small_restrict_kernelIl19rocblas_complex_numIdELi16ELb1ELb1ELc78ELc76EKPKS1_KPS1_EviT_T0_PT6_S7_lSA_S7_lS8_PT7_S7_li
                                        ; -- End function
	.set _ZL41rocblas_syrkx_herkx_small_restrict_kernelIl19rocblas_complex_numIdELi16ELb1ELb1ELc78ELc76EKPKS1_KPS1_EviT_T0_PT6_S7_lSA_S7_lS8_PT7_S7_li.num_vgpr, 42
	.set _ZL41rocblas_syrkx_herkx_small_restrict_kernelIl19rocblas_complex_numIdELi16ELb1ELb1ELc78ELc76EKPKS1_KPS1_EviT_T0_PT6_S7_lSA_S7_lS8_PT7_S7_li.num_agpr, 0
	.set _ZL41rocblas_syrkx_herkx_small_restrict_kernelIl19rocblas_complex_numIdELi16ELb1ELb1ELc78ELc76EKPKS1_KPS1_EviT_T0_PT6_S7_lSA_S7_lS8_PT7_S7_li.numbered_sgpr, 24
	.set _ZL41rocblas_syrkx_herkx_small_restrict_kernelIl19rocblas_complex_numIdELi16ELb1ELb1ELc78ELc76EKPKS1_KPS1_EviT_T0_PT6_S7_lSA_S7_lS8_PT7_S7_li.num_named_barrier, 0
	.set _ZL41rocblas_syrkx_herkx_small_restrict_kernelIl19rocblas_complex_numIdELi16ELb1ELb1ELc78ELc76EKPKS1_KPS1_EviT_T0_PT6_S7_lSA_S7_lS8_PT7_S7_li.private_seg_size, 0
	.set _ZL41rocblas_syrkx_herkx_small_restrict_kernelIl19rocblas_complex_numIdELi16ELb1ELb1ELc78ELc76EKPKS1_KPS1_EviT_T0_PT6_S7_lSA_S7_lS8_PT7_S7_li.uses_vcc, 1
	.set _ZL41rocblas_syrkx_herkx_small_restrict_kernelIl19rocblas_complex_numIdELi16ELb1ELb1ELc78ELc76EKPKS1_KPS1_EviT_T0_PT6_S7_lSA_S7_lS8_PT7_S7_li.uses_flat_scratch, 0
	.set _ZL41rocblas_syrkx_herkx_small_restrict_kernelIl19rocblas_complex_numIdELi16ELb1ELb1ELc78ELc76EKPKS1_KPS1_EviT_T0_PT6_S7_lSA_S7_lS8_PT7_S7_li.has_dyn_sized_stack, 0
	.set _ZL41rocblas_syrkx_herkx_small_restrict_kernelIl19rocblas_complex_numIdELi16ELb1ELb1ELc78ELc76EKPKS1_KPS1_EviT_T0_PT6_S7_lSA_S7_lS8_PT7_S7_li.has_recursion, 0
	.set _ZL41rocblas_syrkx_herkx_small_restrict_kernelIl19rocblas_complex_numIdELi16ELb1ELb1ELc78ELc76EKPKS1_KPS1_EviT_T0_PT6_S7_lSA_S7_lS8_PT7_S7_li.has_indirect_call, 0
	.section	.AMDGPU.csdata,"",@progbits
; Kernel info:
; codeLenInByte = 1676
; TotalNumSgprs: 28
; NumVgprs: 42
; ScratchSize: 0
; MemoryBound: 0
; FloatMode: 240
; IeeeMode: 1
; LDSByteSize: 8192 bytes/workgroup (compile time only)
; SGPRBlocks: 8
; VGPRBlocks: 10
; NumSGPRsForWavesPerEU: 65
; NumVGPRsForWavesPerEU: 42
; Occupancy: 5
; WaveLimiterHint : 1
; COMPUTE_PGM_RSRC2:SCRATCH_EN: 0
; COMPUTE_PGM_RSRC2:USER_SGPR: 6
; COMPUTE_PGM_RSRC2:TRAP_HANDLER: 0
; COMPUTE_PGM_RSRC2:TGID_X_EN: 1
; COMPUTE_PGM_RSRC2:TGID_Y_EN: 1
; COMPUTE_PGM_RSRC2:TGID_Z_EN: 1
; COMPUTE_PGM_RSRC2:TIDIG_COMP_CNT: 1
	.section	.text._ZL41rocblas_syrkx_herkx_small_restrict_kernelIl19rocblas_complex_numIdELi16ELb1ELb1ELc84ELc85EKPKS1_KPS1_EviT_T0_PT6_S7_lSA_S7_lS8_PT7_S7_li,"axG",@progbits,_ZL41rocblas_syrkx_herkx_small_restrict_kernelIl19rocblas_complex_numIdELi16ELb1ELb1ELc84ELc85EKPKS1_KPS1_EviT_T0_PT6_S7_lSA_S7_lS8_PT7_S7_li,comdat
	.globl	_ZL41rocblas_syrkx_herkx_small_restrict_kernelIl19rocblas_complex_numIdELi16ELb1ELb1ELc84ELc85EKPKS1_KPS1_EviT_T0_PT6_S7_lSA_S7_lS8_PT7_S7_li ; -- Begin function _ZL41rocblas_syrkx_herkx_small_restrict_kernelIl19rocblas_complex_numIdELi16ELb1ELb1ELc84ELc85EKPKS1_KPS1_EviT_T0_PT6_S7_lSA_S7_lS8_PT7_S7_li
	.p2align	8
	.type	_ZL41rocblas_syrkx_herkx_small_restrict_kernelIl19rocblas_complex_numIdELi16ELb1ELb1ELc84ELc85EKPKS1_KPS1_EviT_T0_PT6_S7_lSA_S7_lS8_PT7_S7_li,@function
_ZL41rocblas_syrkx_herkx_small_restrict_kernelIl19rocblas_complex_numIdELi16ELb1ELb1ELc84ELc85EKPKS1_KPS1_EviT_T0_PT6_S7_lSA_S7_lS8_PT7_S7_li: ; @_ZL41rocblas_syrkx_herkx_small_restrict_kernelIl19rocblas_complex_numIdELi16ELb1ELb1ELc84ELc85EKPKS1_KPS1_EviT_T0_PT6_S7_lSA_S7_lS8_PT7_S7_li
; %bb.0:
	s_load_dwordx4 s[0:3], s[4:5], 0x60
	s_load_dwordx2 s[10:11], s[4:5], 0x28
	s_load_dwordx8 s[12:19], s[4:5], 0x8
	s_mov_b32 s9, 0
	s_lshl_b64 s[8:9], s[8:9], 3
	s_waitcnt lgkmcnt(0)
	s_add_u32 s0, s0, s8
	s_addc_u32 s1, s1, s9
	s_load_dwordx2 s[0:1], s[0:1], 0x0
	v_cmp_lt_i64_e64 s[20:21], s[12:13], 1
	v_lshl_add_u32 v2, s6, 4, v0
	v_lshl_add_u32 v12, s7, 4, v1
	s_and_b64 vcc, exec, s[20:21]
	v_ashrrev_i32_e32 v3, 31, v2
	v_ashrrev_i32_e32 v13, 31, v12
	s_cbranch_vccnz .LBB1812_6
; %bb.1:
	s_load_dwordx4 s[20:23], s[4:5], 0x38
	v_mad_u64_u32 v[4:5], s[4:5], s10, v2, 0
	v_mul_lo_u32 v6, s11, v2
	v_mul_lo_u32 v7, s10, v3
	s_waitcnt lgkmcnt(0)
	s_add_u32 s4, s20, s8
	s_addc_u32 s5, s21, s9
	s_add_u32 s6, s18, s8
	s_addc_u32 s7, s19, s9
	s_load_dwordx2 s[6:7], s[6:7], 0x0
	v_lshlrev_b32_e32 v8, 4, v1
	v_add3_u32 v5, v5, v7, v6
	v_lshlrev_b64 v[4:5], 4, v[4:5]
	s_load_dwordx2 s[4:5], s[4:5], 0x0
	s_waitcnt lgkmcnt(0)
	v_mov_b32_e32 v6, s7
	v_add_co_u32_e32 v7, vcc, s6, v8
	v_addc_co_u32_e32 v6, vcc, 0, v6, vcc
	v_add_co_u32_e32 v4, vcc, v7, v4
	v_addc_co_u32_e32 v5, vcc, v6, v5, vcc
	v_mul_lo_u32 v8, s23, v12
	v_mul_lo_u32 v9, s22, v13
	v_mad_u64_u32 v[6:7], s[6:7], s22, v12, 0
	v_lshlrev_b32_e32 v14, 4, v0
	v_mov_b32_e32 v0, s5
	v_add3_u32 v7, v7, v9, v8
	v_add_co_u32_e32 v8, vcc, s4, v14
	v_lshlrev_b32_e32 v10, 8, v1
	v_addc_co_u32_e32 v9, vcc, 0, v0, vcc
	v_lshlrev_b64 v[0:1], 4, v[6:7]
	v_add_u32_e32 v15, v14, v10
	v_add_co_u32_e32 v0, vcc, v8, v0
	v_addc_co_u32_e32 v1, vcc, v9, v1, vcc
	v_add_u32_e32 v16, 0x1000, v10
	v_mov_b32_e32 v8, 0
	v_mov_b32_e32 v10, 0
	v_mov_b32_e32 v6, s12
	v_add_u32_e32 v17, v16, v14
	v_mov_b32_e32 v9, 0
	s_mov_b64 s[4:5], 0
	v_mov_b32_e32 v11, 0
	v_mov_b32_e32 v7, s13
.LBB1812_2:                             ; =>This Inner Loop Header: Depth=1
	flat_load_dwordx4 v[18:21], v[4:5]
	s_add_u32 s4, s4, 16
	s_addc_u32 s5, s5, 0
	s_waitcnt vmcnt(0) lgkmcnt(0)
	ds_write2_b64 v15, v[18:19], v[20:21] offset1:1
	flat_load_dwordx4 v[18:21], v[0:1]
	v_add_co_u32_e32 v0, vcc, 0x100, v0
	v_addc_co_u32_e32 v1, vcc, 0, v1, vcc
	v_add_co_u32_e32 v4, vcc, 0x100, v4
	v_addc_co_u32_e32 v5, vcc, 0, v5, vcc
	v_cmp_lt_i64_e32 vcc, s[4:5], v[6:7]
	s_and_b64 vcc, exec, vcc
	s_waitcnt vmcnt(0) lgkmcnt(0)
	ds_write2_b64 v17, v[18:19], v[20:21] offset1:1
	s_waitcnt lgkmcnt(0)
	s_barrier
	ds_read_b128 v[18:21], v16
	ds_read_b128 v[22:25], v16 offset:16
	ds_read_b128 v[26:29], v16 offset:32
	;; [unrolled: 1-line block ×3, first 2 shown]
	ds_read_b128 v[34:37], v14
	s_waitcnt lgkmcnt(0)
	v_mul_f64 v[38:39], v[20:21], v[36:37]
	v_fma_f64 v[38:39], v[18:19], v[34:35], -v[38:39]
	v_mul_f64 v[18:19], v[18:19], v[36:37]
	v_fma_f64 v[18:19], v[20:21], v[34:35], v[18:19]
	v_add_f64 v[20:21], v[10:11], v[38:39]
	v_add_f64 v[18:19], v[8:9], v[18:19]
	ds_read_b128 v[8:11], v14 offset:256
	s_waitcnt lgkmcnt(0)
	v_mul_f64 v[34:35], v[24:25], v[10:11]
	v_mul_f64 v[10:11], v[22:23], v[10:11]
	v_fma_f64 v[34:35], v[22:23], v[8:9], -v[34:35]
	v_fma_f64 v[8:9], v[24:25], v[8:9], v[10:11]
	v_add_f64 v[20:21], v[20:21], v[34:35]
	v_add_f64 v[18:19], v[18:19], v[8:9]
	ds_read_b128 v[8:11], v14 offset:512
	s_waitcnt lgkmcnt(0)
	v_mul_f64 v[22:23], v[28:29], v[10:11]
	v_mul_f64 v[10:11], v[26:27], v[10:11]
	v_fma_f64 v[22:23], v[26:27], v[8:9], -v[22:23]
	;; [unrolled: 8-line block ×3, first 2 shown]
	v_fma_f64 v[8:9], v[32:33], v[8:9], v[10:11]
	v_add_f64 v[22:23], v[20:21], v[22:23]
	v_add_f64 v[24:25], v[18:19], v[8:9]
	ds_read_b128 v[8:11], v16 offset:64
	ds_read_b128 v[18:21], v14 offset:1024
	s_waitcnt lgkmcnt(0)
	v_mul_f64 v[26:27], v[10:11], v[20:21]
	v_fma_f64 v[26:27], v[8:9], v[18:19], -v[26:27]
	v_mul_f64 v[8:9], v[8:9], v[20:21]
	v_add_f64 v[22:23], v[22:23], v[26:27]
	v_fma_f64 v[8:9], v[10:11], v[18:19], v[8:9]
	v_add_f64 v[24:25], v[24:25], v[8:9]
	ds_read_b128 v[8:11], v16 offset:80
	ds_read_b128 v[18:21], v14 offset:1280
	s_waitcnt lgkmcnt(0)
	v_mul_f64 v[26:27], v[10:11], v[20:21]
	v_fma_f64 v[26:27], v[8:9], v[18:19], -v[26:27]
	v_mul_f64 v[8:9], v[8:9], v[20:21]
	v_add_f64 v[22:23], v[22:23], v[26:27]
	v_fma_f64 v[8:9], v[10:11], v[18:19], v[8:9]
	;; [unrolled: 9-line block ×11, first 2 shown]
	v_add_f64 v[24:25], v[24:25], v[8:9]
	ds_read_b128 v[8:11], v16 offset:240
	ds_read_b128 v[18:21], v14 offset:3840
	s_waitcnt lgkmcnt(0)
	s_barrier
	v_mul_f64 v[26:27], v[10:11], v[20:21]
	v_fma_f64 v[26:27], v[8:9], v[18:19], -v[26:27]
	v_mul_f64 v[8:9], v[8:9], v[20:21]
	v_fma_f64 v[8:9], v[10:11], v[18:19], v[8:9]
	v_add_f64 v[10:11], v[22:23], v[26:27]
	v_add_f64 v[8:9], v[24:25], v[8:9]
	s_cbranch_vccnz .LBB1812_2
; %bb.3:
	v_cmp_le_i32_e32 vcc, v2, v12
	s_and_saveexec_b64 s[4:5], vcc
	s_cbranch_execz .LBB1812_5
.LBB1812_4:
	v_mul_f64 v[4:5], s[14:15], v[8:9]
	v_mul_f64 v[0:1], s[16:17], v[8:9]
	v_mul_lo_u32 v8, s3, v12
	v_mul_lo_u32 v9, s2, v13
	v_mad_u64_u32 v[6:7], s[2:3], s2, v12, 0
	v_add3_u32 v7, v7, v9, v8
	v_fma_f64 v[4:5], s[16:17], v[10:11], v[4:5]
	v_lshlrev_b64 v[6:7], 4, v[6:7]
	v_fma_f64 v[0:1], s[14:15], v[10:11], -v[0:1]
	s_waitcnt lgkmcnt(0)
	v_mov_b32_e32 v8, s1
	v_add_co_u32_e32 v9, vcc, s0, v6
	v_addc_co_u32_e32 v8, vcc, v8, v7, vcc
	v_lshlrev_b64 v[6:7], 4, v[2:3]
	v_add_co_u32_e32 v6, vcc, v9, v6
	v_addc_co_u32_e32 v7, vcc, v8, v7, vcc
	v_cmp_ne_u32_e32 vcc, v2, v12
	v_cndmask_b32_e32 v3, 0, v5, vcc
	v_cndmask_b32_e32 v2, 0, v4, vcc
	flat_store_dwordx4 v[6:7], v[0:3]
.LBB1812_5:
	s_endpgm
.LBB1812_6:
	v_mov_b32_e32 v8, 0
	v_mov_b32_e32 v10, 0
	;; [unrolled: 1-line block ×4, first 2 shown]
	v_cmp_le_i32_e32 vcc, v2, v12
	s_and_saveexec_b64 s[4:5], vcc
	s_cbranch_execnz .LBB1812_4
	s_branch .LBB1812_5
	.section	.rodata,"a",@progbits
	.p2align	6, 0x0
	.amdhsa_kernel _ZL41rocblas_syrkx_herkx_small_restrict_kernelIl19rocblas_complex_numIdELi16ELb1ELb1ELc84ELc85EKPKS1_KPS1_EviT_T0_PT6_S7_lSA_S7_lS8_PT7_S7_li
		.amdhsa_group_segment_fixed_size 8192
		.amdhsa_private_segment_fixed_size 0
		.amdhsa_kernarg_size 124
		.amdhsa_user_sgpr_count 6
		.amdhsa_user_sgpr_private_segment_buffer 1
		.amdhsa_user_sgpr_dispatch_ptr 0
		.amdhsa_user_sgpr_queue_ptr 0
		.amdhsa_user_sgpr_kernarg_segment_ptr 1
		.amdhsa_user_sgpr_dispatch_id 0
		.amdhsa_user_sgpr_flat_scratch_init 0
		.amdhsa_user_sgpr_private_segment_size 0
		.amdhsa_uses_dynamic_stack 0
		.amdhsa_system_sgpr_private_segment_wavefront_offset 0
		.amdhsa_system_sgpr_workgroup_id_x 1
		.amdhsa_system_sgpr_workgroup_id_y 1
		.amdhsa_system_sgpr_workgroup_id_z 1
		.amdhsa_system_sgpr_workgroup_info 0
		.amdhsa_system_vgpr_workitem_id 1
		.amdhsa_next_free_vgpr 40
		.amdhsa_next_free_sgpr 61
		.amdhsa_reserve_vcc 1
		.amdhsa_reserve_flat_scratch 0
		.amdhsa_float_round_mode_32 0
		.amdhsa_float_round_mode_16_64 0
		.amdhsa_float_denorm_mode_32 3
		.amdhsa_float_denorm_mode_16_64 3
		.amdhsa_dx10_clamp 1
		.amdhsa_ieee_mode 1
		.amdhsa_fp16_overflow 0
		.amdhsa_exception_fp_ieee_invalid_op 0
		.amdhsa_exception_fp_denorm_src 0
		.amdhsa_exception_fp_ieee_div_zero 0
		.amdhsa_exception_fp_ieee_overflow 0
		.amdhsa_exception_fp_ieee_underflow 0
		.amdhsa_exception_fp_ieee_inexact 0
		.amdhsa_exception_int_div_zero 0
	.end_amdhsa_kernel
	.section	.text._ZL41rocblas_syrkx_herkx_small_restrict_kernelIl19rocblas_complex_numIdELi16ELb1ELb1ELc84ELc85EKPKS1_KPS1_EviT_T0_PT6_S7_lSA_S7_lS8_PT7_S7_li,"axG",@progbits,_ZL41rocblas_syrkx_herkx_small_restrict_kernelIl19rocblas_complex_numIdELi16ELb1ELb1ELc84ELc85EKPKS1_KPS1_EviT_T0_PT6_S7_lSA_S7_lS8_PT7_S7_li,comdat
.Lfunc_end1812:
	.size	_ZL41rocblas_syrkx_herkx_small_restrict_kernelIl19rocblas_complex_numIdELi16ELb1ELb1ELc84ELc85EKPKS1_KPS1_EviT_T0_PT6_S7_lSA_S7_lS8_PT7_S7_li, .Lfunc_end1812-_ZL41rocblas_syrkx_herkx_small_restrict_kernelIl19rocblas_complex_numIdELi16ELb1ELb1ELc84ELc85EKPKS1_KPS1_EviT_T0_PT6_S7_lSA_S7_lS8_PT7_S7_li
                                        ; -- End function
	.set _ZL41rocblas_syrkx_herkx_small_restrict_kernelIl19rocblas_complex_numIdELi16ELb1ELb1ELc84ELc85EKPKS1_KPS1_EviT_T0_PT6_S7_lSA_S7_lS8_PT7_S7_li.num_vgpr, 40
	.set _ZL41rocblas_syrkx_herkx_small_restrict_kernelIl19rocblas_complex_numIdELi16ELb1ELb1ELc84ELc85EKPKS1_KPS1_EviT_T0_PT6_S7_lSA_S7_lS8_PT7_S7_li.num_agpr, 0
	.set _ZL41rocblas_syrkx_herkx_small_restrict_kernelIl19rocblas_complex_numIdELi16ELb1ELb1ELc84ELc85EKPKS1_KPS1_EviT_T0_PT6_S7_lSA_S7_lS8_PT7_S7_li.numbered_sgpr, 24
	.set _ZL41rocblas_syrkx_herkx_small_restrict_kernelIl19rocblas_complex_numIdELi16ELb1ELb1ELc84ELc85EKPKS1_KPS1_EviT_T0_PT6_S7_lSA_S7_lS8_PT7_S7_li.num_named_barrier, 0
	.set _ZL41rocblas_syrkx_herkx_small_restrict_kernelIl19rocblas_complex_numIdELi16ELb1ELb1ELc84ELc85EKPKS1_KPS1_EviT_T0_PT6_S7_lSA_S7_lS8_PT7_S7_li.private_seg_size, 0
	.set _ZL41rocblas_syrkx_herkx_small_restrict_kernelIl19rocblas_complex_numIdELi16ELb1ELb1ELc84ELc85EKPKS1_KPS1_EviT_T0_PT6_S7_lSA_S7_lS8_PT7_S7_li.uses_vcc, 1
	.set _ZL41rocblas_syrkx_herkx_small_restrict_kernelIl19rocblas_complex_numIdELi16ELb1ELb1ELc84ELc85EKPKS1_KPS1_EviT_T0_PT6_S7_lSA_S7_lS8_PT7_S7_li.uses_flat_scratch, 0
	.set _ZL41rocblas_syrkx_herkx_small_restrict_kernelIl19rocblas_complex_numIdELi16ELb1ELb1ELc84ELc85EKPKS1_KPS1_EviT_T0_PT6_S7_lSA_S7_lS8_PT7_S7_li.has_dyn_sized_stack, 0
	.set _ZL41rocblas_syrkx_herkx_small_restrict_kernelIl19rocblas_complex_numIdELi16ELb1ELb1ELc84ELc85EKPKS1_KPS1_EviT_T0_PT6_S7_lSA_S7_lS8_PT7_S7_li.has_recursion, 0
	.set _ZL41rocblas_syrkx_herkx_small_restrict_kernelIl19rocblas_complex_numIdELi16ELb1ELb1ELc84ELc85EKPKS1_KPS1_EviT_T0_PT6_S7_lSA_S7_lS8_PT7_S7_li.has_indirect_call, 0
	.section	.AMDGPU.csdata,"",@progbits
; Kernel info:
; codeLenInByte = 1672
; TotalNumSgprs: 28
; NumVgprs: 40
; ScratchSize: 0
; MemoryBound: 0
; FloatMode: 240
; IeeeMode: 1
; LDSByteSize: 8192 bytes/workgroup (compile time only)
; SGPRBlocks: 8
; VGPRBlocks: 9
; NumSGPRsForWavesPerEU: 65
; NumVGPRsForWavesPerEU: 40
; Occupancy: 6
; WaveLimiterHint : 1
; COMPUTE_PGM_RSRC2:SCRATCH_EN: 0
; COMPUTE_PGM_RSRC2:USER_SGPR: 6
; COMPUTE_PGM_RSRC2:TRAP_HANDLER: 0
; COMPUTE_PGM_RSRC2:TGID_X_EN: 1
; COMPUTE_PGM_RSRC2:TGID_Y_EN: 1
; COMPUTE_PGM_RSRC2:TGID_Z_EN: 1
; COMPUTE_PGM_RSRC2:TIDIG_COMP_CNT: 1
	.section	.text._ZL41rocblas_syrkx_herkx_small_restrict_kernelIl19rocblas_complex_numIdELi16ELb1ELb1ELc67ELc85EKPKS1_KPS1_EviT_T0_PT6_S7_lSA_S7_lS8_PT7_S7_li,"axG",@progbits,_ZL41rocblas_syrkx_herkx_small_restrict_kernelIl19rocblas_complex_numIdELi16ELb1ELb1ELc67ELc85EKPKS1_KPS1_EviT_T0_PT6_S7_lSA_S7_lS8_PT7_S7_li,comdat
	.globl	_ZL41rocblas_syrkx_herkx_small_restrict_kernelIl19rocblas_complex_numIdELi16ELb1ELb1ELc67ELc85EKPKS1_KPS1_EviT_T0_PT6_S7_lSA_S7_lS8_PT7_S7_li ; -- Begin function _ZL41rocblas_syrkx_herkx_small_restrict_kernelIl19rocblas_complex_numIdELi16ELb1ELb1ELc67ELc85EKPKS1_KPS1_EviT_T0_PT6_S7_lSA_S7_lS8_PT7_S7_li
	.p2align	8
	.type	_ZL41rocblas_syrkx_herkx_small_restrict_kernelIl19rocblas_complex_numIdELi16ELb1ELb1ELc67ELc85EKPKS1_KPS1_EviT_T0_PT6_S7_lSA_S7_lS8_PT7_S7_li,@function
_ZL41rocblas_syrkx_herkx_small_restrict_kernelIl19rocblas_complex_numIdELi16ELb1ELb1ELc67ELc85EKPKS1_KPS1_EviT_T0_PT6_S7_lSA_S7_lS8_PT7_S7_li: ; @_ZL41rocblas_syrkx_herkx_small_restrict_kernelIl19rocblas_complex_numIdELi16ELb1ELb1ELc67ELc85EKPKS1_KPS1_EviT_T0_PT6_S7_lSA_S7_lS8_PT7_S7_li
; %bb.0:
	s_load_dwordx4 s[0:3], s[4:5], 0x60
	s_load_dwordx2 s[10:11], s[4:5], 0x28
	s_load_dwordx8 s[12:19], s[4:5], 0x8
	s_mov_b32 s9, 0
	s_lshl_b64 s[8:9], s[8:9], 3
	s_waitcnt lgkmcnt(0)
	s_add_u32 s0, s0, s8
	s_addc_u32 s1, s1, s9
	s_load_dwordx2 s[0:1], s[0:1], 0x0
	v_cmp_lt_i64_e64 s[20:21], s[12:13], 1
	v_lshl_add_u32 v2, s6, 4, v0
	v_lshl_add_u32 v12, s7, 4, v1
	s_and_b64 vcc, exec, s[20:21]
	v_ashrrev_i32_e32 v3, 31, v2
	v_ashrrev_i32_e32 v13, 31, v12
	s_cbranch_vccnz .LBB1813_6
; %bb.1:
	s_load_dwordx4 s[20:23], s[4:5], 0x38
	v_mad_u64_u32 v[4:5], s[4:5], s10, v2, 0
	v_mul_lo_u32 v6, s11, v2
	v_mul_lo_u32 v7, s10, v3
	s_waitcnt lgkmcnt(0)
	s_add_u32 s4, s20, s8
	s_addc_u32 s5, s21, s9
	s_add_u32 s6, s18, s8
	s_addc_u32 s7, s19, s9
	s_load_dwordx2 s[6:7], s[6:7], 0x0
	v_lshlrev_b32_e32 v8, 4, v1
	v_add3_u32 v5, v5, v7, v6
	v_lshlrev_b64 v[4:5], 4, v[4:5]
	s_load_dwordx2 s[4:5], s[4:5], 0x0
	s_waitcnt lgkmcnt(0)
	v_mov_b32_e32 v6, s7
	v_add_co_u32_e32 v7, vcc, s6, v8
	v_addc_co_u32_e32 v6, vcc, 0, v6, vcc
	v_add_co_u32_e32 v4, vcc, v7, v4
	v_addc_co_u32_e32 v5, vcc, v6, v5, vcc
	v_mul_lo_u32 v8, s23, v12
	v_mul_lo_u32 v9, s22, v13
	v_mad_u64_u32 v[6:7], s[6:7], s22, v12, 0
	v_lshlrev_b32_e32 v14, 4, v0
	v_mov_b32_e32 v0, s5
	v_add3_u32 v7, v7, v9, v8
	v_add_co_u32_e32 v8, vcc, s4, v14
	v_lshlrev_b32_e32 v10, 8, v1
	v_addc_co_u32_e32 v9, vcc, 0, v0, vcc
	v_lshlrev_b64 v[0:1], 4, v[6:7]
	v_add_u32_e32 v15, v14, v10
	v_add_co_u32_e32 v0, vcc, v8, v0
	v_addc_co_u32_e32 v1, vcc, v9, v1, vcc
	v_add_u32_e32 v16, 0x1000, v10
	v_mov_b32_e32 v8, 0
	v_mov_b32_e32 v10, 0
	;; [unrolled: 1-line block ×3, first 2 shown]
	v_add_u32_e32 v17, v16, v14
	v_mov_b32_e32 v9, 0
	s_mov_b64 s[4:5], 0
	v_mov_b32_e32 v11, 0
	v_mov_b32_e32 v7, s13
.LBB1813_2:                             ; =>This Inner Loop Header: Depth=1
	flat_load_dwordx4 v[18:21], v[4:5]
	s_add_u32 s4, s4, 16
	s_addc_u32 s5, s5, 0
	s_waitcnt vmcnt(0) lgkmcnt(0)
	v_xor_b32_e32 v21, 0x80000000, v21
	ds_write_b128 v15, v[18:21]
	flat_load_dwordx4 v[18:21], v[0:1]
	v_add_co_u32_e32 v0, vcc, 0x100, v0
	v_addc_co_u32_e32 v1, vcc, 0, v1, vcc
	v_add_co_u32_e32 v4, vcc, 0x100, v4
	v_addc_co_u32_e32 v5, vcc, 0, v5, vcc
	v_cmp_lt_i64_e32 vcc, s[4:5], v[6:7]
	s_and_b64 vcc, exec, vcc
	s_waitcnt vmcnt(0) lgkmcnt(0)
	ds_write2_b64 v17, v[18:19], v[20:21] offset1:1
	s_waitcnt lgkmcnt(0)
	s_barrier
	ds_read_b128 v[18:21], v16
	ds_read_b128 v[22:25], v16 offset:16
	ds_read_b128 v[26:29], v16 offset:32
	;; [unrolled: 1-line block ×3, first 2 shown]
	ds_read_b128 v[34:37], v14
	s_waitcnt lgkmcnt(0)
	v_mul_f64 v[38:39], v[20:21], v[36:37]
	v_fma_f64 v[38:39], v[18:19], v[34:35], -v[38:39]
	v_mul_f64 v[18:19], v[18:19], v[36:37]
	v_fma_f64 v[18:19], v[20:21], v[34:35], v[18:19]
	v_add_f64 v[20:21], v[10:11], v[38:39]
	v_add_f64 v[18:19], v[8:9], v[18:19]
	ds_read_b128 v[8:11], v14 offset:256
	s_waitcnt lgkmcnt(0)
	v_mul_f64 v[34:35], v[24:25], v[10:11]
	v_mul_f64 v[10:11], v[22:23], v[10:11]
	v_fma_f64 v[34:35], v[22:23], v[8:9], -v[34:35]
	v_fma_f64 v[8:9], v[24:25], v[8:9], v[10:11]
	v_add_f64 v[20:21], v[20:21], v[34:35]
	v_add_f64 v[18:19], v[18:19], v[8:9]
	ds_read_b128 v[8:11], v14 offset:512
	s_waitcnt lgkmcnt(0)
	v_mul_f64 v[22:23], v[28:29], v[10:11]
	v_mul_f64 v[10:11], v[26:27], v[10:11]
	v_fma_f64 v[22:23], v[26:27], v[8:9], -v[22:23]
	;; [unrolled: 8-line block ×3, first 2 shown]
	v_fma_f64 v[8:9], v[32:33], v[8:9], v[10:11]
	v_add_f64 v[22:23], v[20:21], v[22:23]
	v_add_f64 v[24:25], v[18:19], v[8:9]
	ds_read_b128 v[8:11], v16 offset:64
	ds_read_b128 v[18:21], v14 offset:1024
	s_waitcnt lgkmcnt(0)
	v_mul_f64 v[26:27], v[10:11], v[20:21]
	v_fma_f64 v[26:27], v[8:9], v[18:19], -v[26:27]
	v_mul_f64 v[8:9], v[8:9], v[20:21]
	v_add_f64 v[22:23], v[22:23], v[26:27]
	v_fma_f64 v[8:9], v[10:11], v[18:19], v[8:9]
	v_add_f64 v[24:25], v[24:25], v[8:9]
	ds_read_b128 v[8:11], v16 offset:80
	ds_read_b128 v[18:21], v14 offset:1280
	s_waitcnt lgkmcnt(0)
	v_mul_f64 v[26:27], v[10:11], v[20:21]
	v_fma_f64 v[26:27], v[8:9], v[18:19], -v[26:27]
	v_mul_f64 v[8:9], v[8:9], v[20:21]
	v_add_f64 v[22:23], v[22:23], v[26:27]
	v_fma_f64 v[8:9], v[10:11], v[18:19], v[8:9]
	;; [unrolled: 9-line block ×11, first 2 shown]
	v_add_f64 v[24:25], v[24:25], v[8:9]
	ds_read_b128 v[8:11], v16 offset:240
	ds_read_b128 v[18:21], v14 offset:3840
	s_waitcnt lgkmcnt(0)
	s_barrier
	v_mul_f64 v[26:27], v[10:11], v[20:21]
	v_fma_f64 v[26:27], v[8:9], v[18:19], -v[26:27]
	v_mul_f64 v[8:9], v[8:9], v[20:21]
	v_fma_f64 v[8:9], v[10:11], v[18:19], v[8:9]
	v_add_f64 v[10:11], v[22:23], v[26:27]
	v_add_f64 v[8:9], v[24:25], v[8:9]
	s_cbranch_vccnz .LBB1813_2
; %bb.3:
	v_cmp_le_i32_e32 vcc, v2, v12
	s_and_saveexec_b64 s[4:5], vcc
	s_cbranch_execz .LBB1813_5
.LBB1813_4:
	v_mul_f64 v[4:5], s[14:15], v[8:9]
	v_mul_f64 v[0:1], s[16:17], v[8:9]
	v_mul_lo_u32 v8, s3, v12
	v_mul_lo_u32 v9, s2, v13
	v_mad_u64_u32 v[6:7], s[2:3], s2, v12, 0
	v_add3_u32 v7, v7, v9, v8
	v_fma_f64 v[4:5], s[16:17], v[10:11], v[4:5]
	v_lshlrev_b64 v[6:7], 4, v[6:7]
	v_fma_f64 v[0:1], s[14:15], v[10:11], -v[0:1]
	s_waitcnt lgkmcnt(0)
	v_mov_b32_e32 v8, s1
	v_add_co_u32_e32 v9, vcc, s0, v6
	v_addc_co_u32_e32 v8, vcc, v8, v7, vcc
	v_lshlrev_b64 v[6:7], 4, v[2:3]
	v_add_co_u32_e32 v6, vcc, v9, v6
	v_addc_co_u32_e32 v7, vcc, v8, v7, vcc
	v_cmp_ne_u32_e32 vcc, v2, v12
	v_cndmask_b32_e32 v3, 0, v5, vcc
	v_cndmask_b32_e32 v2, 0, v4, vcc
	flat_store_dwordx4 v[6:7], v[0:3]
.LBB1813_5:
	s_endpgm
.LBB1813_6:
	v_mov_b32_e32 v8, 0
	v_mov_b32_e32 v10, 0
	;; [unrolled: 1-line block ×4, first 2 shown]
	v_cmp_le_i32_e32 vcc, v2, v12
	s_and_saveexec_b64 s[4:5], vcc
	s_cbranch_execnz .LBB1813_4
	s_branch .LBB1813_5
	.section	.rodata,"a",@progbits
	.p2align	6, 0x0
	.amdhsa_kernel _ZL41rocblas_syrkx_herkx_small_restrict_kernelIl19rocblas_complex_numIdELi16ELb1ELb1ELc67ELc85EKPKS1_KPS1_EviT_T0_PT6_S7_lSA_S7_lS8_PT7_S7_li
		.amdhsa_group_segment_fixed_size 8192
		.amdhsa_private_segment_fixed_size 0
		.amdhsa_kernarg_size 124
		.amdhsa_user_sgpr_count 6
		.amdhsa_user_sgpr_private_segment_buffer 1
		.amdhsa_user_sgpr_dispatch_ptr 0
		.amdhsa_user_sgpr_queue_ptr 0
		.amdhsa_user_sgpr_kernarg_segment_ptr 1
		.amdhsa_user_sgpr_dispatch_id 0
		.amdhsa_user_sgpr_flat_scratch_init 0
		.amdhsa_user_sgpr_private_segment_size 0
		.amdhsa_uses_dynamic_stack 0
		.amdhsa_system_sgpr_private_segment_wavefront_offset 0
		.amdhsa_system_sgpr_workgroup_id_x 1
		.amdhsa_system_sgpr_workgroup_id_y 1
		.amdhsa_system_sgpr_workgroup_id_z 1
		.amdhsa_system_sgpr_workgroup_info 0
		.amdhsa_system_vgpr_workitem_id 1
		.amdhsa_next_free_vgpr 40
		.amdhsa_next_free_sgpr 61
		.amdhsa_reserve_vcc 1
		.amdhsa_reserve_flat_scratch 0
		.amdhsa_float_round_mode_32 0
		.amdhsa_float_round_mode_16_64 0
		.amdhsa_float_denorm_mode_32 3
		.amdhsa_float_denorm_mode_16_64 3
		.amdhsa_dx10_clamp 1
		.amdhsa_ieee_mode 1
		.amdhsa_fp16_overflow 0
		.amdhsa_exception_fp_ieee_invalid_op 0
		.amdhsa_exception_fp_denorm_src 0
		.amdhsa_exception_fp_ieee_div_zero 0
		.amdhsa_exception_fp_ieee_overflow 0
		.amdhsa_exception_fp_ieee_underflow 0
		.amdhsa_exception_fp_ieee_inexact 0
		.amdhsa_exception_int_div_zero 0
	.end_amdhsa_kernel
	.section	.text._ZL41rocblas_syrkx_herkx_small_restrict_kernelIl19rocblas_complex_numIdELi16ELb1ELb1ELc67ELc85EKPKS1_KPS1_EviT_T0_PT6_S7_lSA_S7_lS8_PT7_S7_li,"axG",@progbits,_ZL41rocblas_syrkx_herkx_small_restrict_kernelIl19rocblas_complex_numIdELi16ELb1ELb1ELc67ELc85EKPKS1_KPS1_EviT_T0_PT6_S7_lSA_S7_lS8_PT7_S7_li,comdat
.Lfunc_end1813:
	.size	_ZL41rocblas_syrkx_herkx_small_restrict_kernelIl19rocblas_complex_numIdELi16ELb1ELb1ELc67ELc85EKPKS1_KPS1_EviT_T0_PT6_S7_lSA_S7_lS8_PT7_S7_li, .Lfunc_end1813-_ZL41rocblas_syrkx_herkx_small_restrict_kernelIl19rocblas_complex_numIdELi16ELb1ELb1ELc67ELc85EKPKS1_KPS1_EviT_T0_PT6_S7_lSA_S7_lS8_PT7_S7_li
                                        ; -- End function
	.set _ZL41rocblas_syrkx_herkx_small_restrict_kernelIl19rocblas_complex_numIdELi16ELb1ELb1ELc67ELc85EKPKS1_KPS1_EviT_T0_PT6_S7_lSA_S7_lS8_PT7_S7_li.num_vgpr, 40
	.set _ZL41rocblas_syrkx_herkx_small_restrict_kernelIl19rocblas_complex_numIdELi16ELb1ELb1ELc67ELc85EKPKS1_KPS1_EviT_T0_PT6_S7_lSA_S7_lS8_PT7_S7_li.num_agpr, 0
	.set _ZL41rocblas_syrkx_herkx_small_restrict_kernelIl19rocblas_complex_numIdELi16ELb1ELb1ELc67ELc85EKPKS1_KPS1_EviT_T0_PT6_S7_lSA_S7_lS8_PT7_S7_li.numbered_sgpr, 24
	.set _ZL41rocblas_syrkx_herkx_small_restrict_kernelIl19rocblas_complex_numIdELi16ELb1ELb1ELc67ELc85EKPKS1_KPS1_EviT_T0_PT6_S7_lSA_S7_lS8_PT7_S7_li.num_named_barrier, 0
	.set _ZL41rocblas_syrkx_herkx_small_restrict_kernelIl19rocblas_complex_numIdELi16ELb1ELb1ELc67ELc85EKPKS1_KPS1_EviT_T0_PT6_S7_lSA_S7_lS8_PT7_S7_li.private_seg_size, 0
	.set _ZL41rocblas_syrkx_herkx_small_restrict_kernelIl19rocblas_complex_numIdELi16ELb1ELb1ELc67ELc85EKPKS1_KPS1_EviT_T0_PT6_S7_lSA_S7_lS8_PT7_S7_li.uses_vcc, 1
	.set _ZL41rocblas_syrkx_herkx_small_restrict_kernelIl19rocblas_complex_numIdELi16ELb1ELb1ELc67ELc85EKPKS1_KPS1_EviT_T0_PT6_S7_lSA_S7_lS8_PT7_S7_li.uses_flat_scratch, 0
	.set _ZL41rocblas_syrkx_herkx_small_restrict_kernelIl19rocblas_complex_numIdELi16ELb1ELb1ELc67ELc85EKPKS1_KPS1_EviT_T0_PT6_S7_lSA_S7_lS8_PT7_S7_li.has_dyn_sized_stack, 0
	.set _ZL41rocblas_syrkx_herkx_small_restrict_kernelIl19rocblas_complex_numIdELi16ELb1ELb1ELc67ELc85EKPKS1_KPS1_EviT_T0_PT6_S7_lSA_S7_lS8_PT7_S7_li.has_recursion, 0
	.set _ZL41rocblas_syrkx_herkx_small_restrict_kernelIl19rocblas_complex_numIdELi16ELb1ELb1ELc67ELc85EKPKS1_KPS1_EviT_T0_PT6_S7_lSA_S7_lS8_PT7_S7_li.has_indirect_call, 0
	.section	.AMDGPU.csdata,"",@progbits
; Kernel info:
; codeLenInByte = 1680
; TotalNumSgprs: 28
; NumVgprs: 40
; ScratchSize: 0
; MemoryBound: 0
; FloatMode: 240
; IeeeMode: 1
; LDSByteSize: 8192 bytes/workgroup (compile time only)
; SGPRBlocks: 8
; VGPRBlocks: 9
; NumSGPRsForWavesPerEU: 65
; NumVGPRsForWavesPerEU: 40
; Occupancy: 6
; WaveLimiterHint : 1
; COMPUTE_PGM_RSRC2:SCRATCH_EN: 0
; COMPUTE_PGM_RSRC2:USER_SGPR: 6
; COMPUTE_PGM_RSRC2:TRAP_HANDLER: 0
; COMPUTE_PGM_RSRC2:TGID_X_EN: 1
; COMPUTE_PGM_RSRC2:TGID_Y_EN: 1
; COMPUTE_PGM_RSRC2:TGID_Z_EN: 1
; COMPUTE_PGM_RSRC2:TIDIG_COMP_CNT: 1
	.section	.text._ZL41rocblas_syrkx_herkx_small_restrict_kernelIl19rocblas_complex_numIdELi16ELb1ELb1ELc78ELc85EKPKS1_KPS1_EviT_T0_PT6_S7_lSA_S7_lS8_PT7_S7_li,"axG",@progbits,_ZL41rocblas_syrkx_herkx_small_restrict_kernelIl19rocblas_complex_numIdELi16ELb1ELb1ELc78ELc85EKPKS1_KPS1_EviT_T0_PT6_S7_lSA_S7_lS8_PT7_S7_li,comdat
	.globl	_ZL41rocblas_syrkx_herkx_small_restrict_kernelIl19rocblas_complex_numIdELi16ELb1ELb1ELc78ELc85EKPKS1_KPS1_EviT_T0_PT6_S7_lSA_S7_lS8_PT7_S7_li ; -- Begin function _ZL41rocblas_syrkx_herkx_small_restrict_kernelIl19rocblas_complex_numIdELi16ELb1ELb1ELc78ELc85EKPKS1_KPS1_EviT_T0_PT6_S7_lSA_S7_lS8_PT7_S7_li
	.p2align	8
	.type	_ZL41rocblas_syrkx_herkx_small_restrict_kernelIl19rocblas_complex_numIdELi16ELb1ELb1ELc78ELc85EKPKS1_KPS1_EviT_T0_PT6_S7_lSA_S7_lS8_PT7_S7_li,@function
_ZL41rocblas_syrkx_herkx_small_restrict_kernelIl19rocblas_complex_numIdELi16ELb1ELb1ELc78ELc85EKPKS1_KPS1_EviT_T0_PT6_S7_lSA_S7_lS8_PT7_S7_li: ; @_ZL41rocblas_syrkx_herkx_small_restrict_kernelIl19rocblas_complex_numIdELi16ELb1ELb1ELc78ELc85EKPKS1_KPS1_EviT_T0_PT6_S7_lSA_S7_lS8_PT7_S7_li
; %bb.0:
	s_load_dwordx4 s[0:3], s[4:5], 0x60
	s_load_dwordx2 s[20:21], s[4:5], 0x28
	s_load_dwordx8 s[12:19], s[4:5], 0x8
	s_mov_b32 s9, 0
	s_lshl_b64 s[22:23], s[8:9], 3
	s_waitcnt lgkmcnt(0)
	s_add_u32 s0, s0, s22
	s_addc_u32 s1, s1, s23
	s_load_dwordx2 s[0:1], s[0:1], 0x0
	v_cmp_lt_i64_e64 s[8:9], s[12:13], 1
	v_lshl_add_u32 v2, s6, 4, v0
	v_lshl_add_u32 v4, s7, 4, v1
	s_and_b64 vcc, exec, s[8:9]
	v_ashrrev_i32_e32 v3, 31, v2
	v_ashrrev_i32_e32 v5, 31, v4
	s_cbranch_vccnz .LBB1814_6
; %bb.1:
	s_load_dwordx4 s[8:11], s[4:5], 0x38
	v_lshlrev_b32_e32 v9, 8, v1
	v_lshlrev_b32_e32 v14, 4, v0
	v_add_u32_e32 v15, v14, v9
	v_add_u32_e32 v16, 0x1000, v9
	s_waitcnt lgkmcnt(0)
	v_mad_u64_u32 v[6:7], s[6:7], s10, v0, 0
	s_add_u32 s4, s8, s22
	s_addc_u32 s5, s9, s23
	v_mad_u64_u32 v[7:8], s[8:9], s11, v0, v[7:8]
	v_mad_u64_u32 v[10:11], s[8:9], s20, v1, 0
	v_lshlrev_b64 v[6:7], 4, v[6:7]
	v_lshlrev_b64 v[8:9], 4, v[4:5]
	s_load_dwordx2 s[4:5], s[4:5], 0x0
	v_add_co_u32_e32 v8, vcc, v6, v8
	v_mov_b32_e32 v0, v11
	v_addc_co_u32_e32 v9, vcc, v7, v9, vcc
	v_mad_u64_u32 v[6:7], s[8:9], s21, v1, v[0:1]
	s_add_u32 s6, s18, s22
	s_addc_u32 s7, s19, s23
	s_load_dwordx2 s[6:7], s[6:7], 0x0
	s_waitcnt lgkmcnt(0)
	v_mov_b32_e32 v12, s5
	v_add_co_u32_e32 v0, vcc, s4, v8
	v_mov_b32_e32 v11, v6
	v_addc_co_u32_e32 v1, vcc, v12, v9, vcc
	v_lshlrev_b64 v[6:7], 4, v[10:11]
	v_lshlrev_b64 v[8:9], 4, v[2:3]
	s_lshl_b64 s[4:5], s[10:11], 8
	v_add_co_u32_e32 v6, vcc, v6, v8
	v_addc_co_u32_e32 v7, vcc, v7, v9, vcc
	v_mov_b32_e32 v8, s7
	v_add_co_u32_e32 v6, vcc, s6, v6
	v_addc_co_u32_e32 v7, vcc, v8, v7, vcc
	s_lshl_b64 s[6:7], s[20:21], 8
	v_mov_b32_e32 v10, 0
	v_mov_b32_e32 v12, 0
	;; [unrolled: 1-line block ×3, first 2 shown]
	v_add_u32_e32 v17, v16, v14
	v_mov_b32_e32 v11, 0
	s_mov_b64 s[8:9], 0
	v_mov_b32_e32 v18, s5
	v_mov_b32_e32 v19, s7
	;; [unrolled: 1-line block ×4, first 2 shown]
.LBB1814_2:                             ; =>This Inner Loop Header: Depth=1
	flat_load_dwordx4 v[20:23], v[6:7]
	s_add_u32 s8, s8, 16
	s_addc_u32 s9, s9, 0
	s_waitcnt vmcnt(0) lgkmcnt(0)
	ds_write2_b64 v15, v[20:21], v[22:23] offset1:1
	flat_load_dwordx4 v[20:23], v[0:1]
	v_add_co_u32_e32 v0, vcc, s4, v0
	v_addc_co_u32_e32 v1, vcc, v1, v18, vcc
	v_add_co_u32_e32 v6, vcc, s6, v6
	v_addc_co_u32_e32 v7, vcc, v7, v19, vcc
	v_cmp_lt_i64_e32 vcc, s[8:9], v[8:9]
	s_and_b64 vcc, exec, vcc
	s_waitcnt vmcnt(0) lgkmcnt(0)
	v_xor_b32_e32 v23, 0x80000000, v23
	ds_write_b128 v17, v[20:23]
	s_waitcnt lgkmcnt(0)
	s_barrier
	ds_read_b128 v[20:23], v16
	ds_read_b128 v[24:27], v16 offset:16
	ds_read_b128 v[28:31], v16 offset:32
	;; [unrolled: 1-line block ×3, first 2 shown]
	ds_read_b128 v[36:39], v14
	s_waitcnt lgkmcnt(0)
	v_mul_f64 v[40:41], v[22:23], v[38:39]
	v_fma_f64 v[40:41], v[20:21], v[36:37], -v[40:41]
	v_mul_f64 v[20:21], v[20:21], v[38:39]
	v_fma_f64 v[20:21], v[22:23], v[36:37], v[20:21]
	v_add_f64 v[22:23], v[12:13], v[40:41]
	v_add_f64 v[20:21], v[10:11], v[20:21]
	ds_read_b128 v[10:13], v14 offset:256
	s_waitcnt lgkmcnt(0)
	v_mul_f64 v[36:37], v[26:27], v[12:13]
	v_mul_f64 v[12:13], v[24:25], v[12:13]
	v_fma_f64 v[36:37], v[24:25], v[10:11], -v[36:37]
	v_fma_f64 v[10:11], v[26:27], v[10:11], v[12:13]
	v_add_f64 v[22:23], v[22:23], v[36:37]
	v_add_f64 v[20:21], v[20:21], v[10:11]
	ds_read_b128 v[10:13], v14 offset:512
	s_waitcnt lgkmcnt(0)
	v_mul_f64 v[24:25], v[30:31], v[12:13]
	v_mul_f64 v[12:13], v[28:29], v[12:13]
	v_fma_f64 v[24:25], v[28:29], v[10:11], -v[24:25]
	;; [unrolled: 8-line block ×3, first 2 shown]
	v_fma_f64 v[10:11], v[34:35], v[10:11], v[12:13]
	v_add_f64 v[24:25], v[22:23], v[24:25]
	v_add_f64 v[26:27], v[20:21], v[10:11]
	ds_read_b128 v[10:13], v16 offset:64
	ds_read_b128 v[20:23], v14 offset:1024
	s_waitcnt lgkmcnt(0)
	v_mul_f64 v[28:29], v[12:13], v[22:23]
	v_fma_f64 v[28:29], v[10:11], v[20:21], -v[28:29]
	v_mul_f64 v[10:11], v[10:11], v[22:23]
	v_add_f64 v[24:25], v[24:25], v[28:29]
	v_fma_f64 v[10:11], v[12:13], v[20:21], v[10:11]
	v_add_f64 v[26:27], v[26:27], v[10:11]
	ds_read_b128 v[10:13], v16 offset:80
	ds_read_b128 v[20:23], v14 offset:1280
	s_waitcnt lgkmcnt(0)
	v_mul_f64 v[28:29], v[12:13], v[22:23]
	v_fma_f64 v[28:29], v[10:11], v[20:21], -v[28:29]
	v_mul_f64 v[10:11], v[10:11], v[22:23]
	v_add_f64 v[24:25], v[24:25], v[28:29]
	v_fma_f64 v[10:11], v[12:13], v[20:21], v[10:11]
	;; [unrolled: 9-line block ×11, first 2 shown]
	v_add_f64 v[26:27], v[26:27], v[10:11]
	ds_read_b128 v[10:13], v16 offset:240
	ds_read_b128 v[20:23], v14 offset:3840
	s_waitcnt lgkmcnt(0)
	s_barrier
	v_mul_f64 v[28:29], v[12:13], v[22:23]
	v_fma_f64 v[28:29], v[10:11], v[20:21], -v[28:29]
	v_mul_f64 v[10:11], v[10:11], v[22:23]
	v_fma_f64 v[10:11], v[12:13], v[20:21], v[10:11]
	v_add_f64 v[12:13], v[24:25], v[28:29]
	v_add_f64 v[10:11], v[26:27], v[10:11]
	s_cbranch_vccnz .LBB1814_2
; %bb.3:
	v_cmp_le_i32_e32 vcc, v2, v4
	s_and_saveexec_b64 s[4:5], vcc
	s_cbranch_execz .LBB1814_5
.LBB1814_4:
	v_mul_f64 v[6:7], s[14:15], v[10:11]
	v_mul_f64 v[0:1], s[16:17], v[10:11]
	v_mul_lo_u32 v10, s3, v4
	v_mul_lo_u32 v5, s2, v5
	v_mad_u64_u32 v[8:9], s[2:3], s2, v4, 0
	v_add3_u32 v9, v9, v5, v10
	v_fma_f64 v[5:6], s[16:17], v[12:13], v[6:7]
	v_lshlrev_b64 v[7:8], 4, v[8:9]
	v_fma_f64 v[0:1], s[14:15], v[12:13], -v[0:1]
	s_waitcnt lgkmcnt(0)
	v_mov_b32_e32 v9, s1
	v_add_co_u32_e32 v10, vcc, s0, v7
	v_addc_co_u32_e32 v9, vcc, v9, v8, vcc
	v_lshlrev_b64 v[7:8], 4, v[2:3]
	v_add_co_u32_e32 v7, vcc, v10, v7
	v_addc_co_u32_e32 v8, vcc, v9, v8, vcc
	v_cmp_ne_u32_e32 vcc, v2, v4
	v_cndmask_b32_e32 v3, 0, v6, vcc
	v_cndmask_b32_e32 v2, 0, v5, vcc
	flat_store_dwordx4 v[7:8], v[0:3]
.LBB1814_5:
	s_endpgm
.LBB1814_6:
	v_mov_b32_e32 v10, 0
	v_mov_b32_e32 v12, 0
	;; [unrolled: 1-line block ×4, first 2 shown]
	v_cmp_le_i32_e32 vcc, v2, v4
	s_and_saveexec_b64 s[4:5], vcc
	s_cbranch_execnz .LBB1814_4
	s_branch .LBB1814_5
	.section	.rodata,"a",@progbits
	.p2align	6, 0x0
	.amdhsa_kernel _ZL41rocblas_syrkx_herkx_small_restrict_kernelIl19rocblas_complex_numIdELi16ELb1ELb1ELc78ELc85EKPKS1_KPS1_EviT_T0_PT6_S7_lSA_S7_lS8_PT7_S7_li
		.amdhsa_group_segment_fixed_size 8192
		.amdhsa_private_segment_fixed_size 0
		.amdhsa_kernarg_size 124
		.amdhsa_user_sgpr_count 6
		.amdhsa_user_sgpr_private_segment_buffer 1
		.amdhsa_user_sgpr_dispatch_ptr 0
		.amdhsa_user_sgpr_queue_ptr 0
		.amdhsa_user_sgpr_kernarg_segment_ptr 1
		.amdhsa_user_sgpr_dispatch_id 0
		.amdhsa_user_sgpr_flat_scratch_init 0
		.amdhsa_user_sgpr_private_segment_size 0
		.amdhsa_uses_dynamic_stack 0
		.amdhsa_system_sgpr_private_segment_wavefront_offset 0
		.amdhsa_system_sgpr_workgroup_id_x 1
		.amdhsa_system_sgpr_workgroup_id_y 1
		.amdhsa_system_sgpr_workgroup_id_z 1
		.amdhsa_system_sgpr_workgroup_info 0
		.amdhsa_system_vgpr_workitem_id 1
		.amdhsa_next_free_vgpr 42
		.amdhsa_next_free_sgpr 61
		.amdhsa_reserve_vcc 1
		.amdhsa_reserve_flat_scratch 0
		.amdhsa_float_round_mode_32 0
		.amdhsa_float_round_mode_16_64 0
		.amdhsa_float_denorm_mode_32 3
		.amdhsa_float_denorm_mode_16_64 3
		.amdhsa_dx10_clamp 1
		.amdhsa_ieee_mode 1
		.amdhsa_fp16_overflow 0
		.amdhsa_exception_fp_ieee_invalid_op 0
		.amdhsa_exception_fp_denorm_src 0
		.amdhsa_exception_fp_ieee_div_zero 0
		.amdhsa_exception_fp_ieee_overflow 0
		.amdhsa_exception_fp_ieee_underflow 0
		.amdhsa_exception_fp_ieee_inexact 0
		.amdhsa_exception_int_div_zero 0
	.end_amdhsa_kernel
	.section	.text._ZL41rocblas_syrkx_herkx_small_restrict_kernelIl19rocblas_complex_numIdELi16ELb1ELb1ELc78ELc85EKPKS1_KPS1_EviT_T0_PT6_S7_lSA_S7_lS8_PT7_S7_li,"axG",@progbits,_ZL41rocblas_syrkx_herkx_small_restrict_kernelIl19rocblas_complex_numIdELi16ELb1ELb1ELc78ELc85EKPKS1_KPS1_EviT_T0_PT6_S7_lSA_S7_lS8_PT7_S7_li,comdat
.Lfunc_end1814:
	.size	_ZL41rocblas_syrkx_herkx_small_restrict_kernelIl19rocblas_complex_numIdELi16ELb1ELb1ELc78ELc85EKPKS1_KPS1_EviT_T0_PT6_S7_lSA_S7_lS8_PT7_S7_li, .Lfunc_end1814-_ZL41rocblas_syrkx_herkx_small_restrict_kernelIl19rocblas_complex_numIdELi16ELb1ELb1ELc78ELc85EKPKS1_KPS1_EviT_T0_PT6_S7_lSA_S7_lS8_PT7_S7_li
                                        ; -- End function
	.set _ZL41rocblas_syrkx_herkx_small_restrict_kernelIl19rocblas_complex_numIdELi16ELb1ELb1ELc78ELc85EKPKS1_KPS1_EviT_T0_PT6_S7_lSA_S7_lS8_PT7_S7_li.num_vgpr, 42
	.set _ZL41rocblas_syrkx_herkx_small_restrict_kernelIl19rocblas_complex_numIdELi16ELb1ELb1ELc78ELc85EKPKS1_KPS1_EviT_T0_PT6_S7_lSA_S7_lS8_PT7_S7_li.num_agpr, 0
	.set _ZL41rocblas_syrkx_herkx_small_restrict_kernelIl19rocblas_complex_numIdELi16ELb1ELb1ELc78ELc85EKPKS1_KPS1_EviT_T0_PT6_S7_lSA_S7_lS8_PT7_S7_li.numbered_sgpr, 24
	.set _ZL41rocblas_syrkx_herkx_small_restrict_kernelIl19rocblas_complex_numIdELi16ELb1ELb1ELc78ELc85EKPKS1_KPS1_EviT_T0_PT6_S7_lSA_S7_lS8_PT7_S7_li.num_named_barrier, 0
	.set _ZL41rocblas_syrkx_herkx_small_restrict_kernelIl19rocblas_complex_numIdELi16ELb1ELb1ELc78ELc85EKPKS1_KPS1_EviT_T0_PT6_S7_lSA_S7_lS8_PT7_S7_li.private_seg_size, 0
	.set _ZL41rocblas_syrkx_herkx_small_restrict_kernelIl19rocblas_complex_numIdELi16ELb1ELb1ELc78ELc85EKPKS1_KPS1_EviT_T0_PT6_S7_lSA_S7_lS8_PT7_S7_li.uses_vcc, 1
	.set _ZL41rocblas_syrkx_herkx_small_restrict_kernelIl19rocblas_complex_numIdELi16ELb1ELb1ELc78ELc85EKPKS1_KPS1_EviT_T0_PT6_S7_lSA_S7_lS8_PT7_S7_li.uses_flat_scratch, 0
	.set _ZL41rocblas_syrkx_herkx_small_restrict_kernelIl19rocblas_complex_numIdELi16ELb1ELb1ELc78ELc85EKPKS1_KPS1_EviT_T0_PT6_S7_lSA_S7_lS8_PT7_S7_li.has_dyn_sized_stack, 0
	.set _ZL41rocblas_syrkx_herkx_small_restrict_kernelIl19rocblas_complex_numIdELi16ELb1ELb1ELc78ELc85EKPKS1_KPS1_EviT_T0_PT6_S7_lSA_S7_lS8_PT7_S7_li.has_recursion, 0
	.set _ZL41rocblas_syrkx_herkx_small_restrict_kernelIl19rocblas_complex_numIdELi16ELb1ELb1ELc78ELc85EKPKS1_KPS1_EviT_T0_PT6_S7_lSA_S7_lS8_PT7_S7_li.has_indirect_call, 0
	.section	.AMDGPU.csdata,"",@progbits
; Kernel info:
; codeLenInByte = 1676
; TotalNumSgprs: 28
; NumVgprs: 42
; ScratchSize: 0
; MemoryBound: 0
; FloatMode: 240
; IeeeMode: 1
; LDSByteSize: 8192 bytes/workgroup (compile time only)
; SGPRBlocks: 8
; VGPRBlocks: 10
; NumSGPRsForWavesPerEU: 65
; NumVGPRsForWavesPerEU: 42
; Occupancy: 5
; WaveLimiterHint : 1
; COMPUTE_PGM_RSRC2:SCRATCH_EN: 0
; COMPUTE_PGM_RSRC2:USER_SGPR: 6
; COMPUTE_PGM_RSRC2:TRAP_HANDLER: 0
; COMPUTE_PGM_RSRC2:TGID_X_EN: 1
; COMPUTE_PGM_RSRC2:TGID_Y_EN: 1
; COMPUTE_PGM_RSRC2:TGID_Z_EN: 1
; COMPUTE_PGM_RSRC2:TIDIG_COMP_CNT: 1
	.section	.text._ZL41rocblas_syrkx_herkx_small_restrict_kernelIl19rocblas_complex_numIdELi16ELb0ELb1ELc84ELc76EKPKS1_KPS1_EviT_T0_PT6_S7_lSA_S7_lS8_PT7_S7_li,"axG",@progbits,_ZL41rocblas_syrkx_herkx_small_restrict_kernelIl19rocblas_complex_numIdELi16ELb0ELb1ELc84ELc76EKPKS1_KPS1_EviT_T0_PT6_S7_lSA_S7_lS8_PT7_S7_li,comdat
	.globl	_ZL41rocblas_syrkx_herkx_small_restrict_kernelIl19rocblas_complex_numIdELi16ELb0ELb1ELc84ELc76EKPKS1_KPS1_EviT_T0_PT6_S7_lSA_S7_lS8_PT7_S7_li ; -- Begin function _ZL41rocblas_syrkx_herkx_small_restrict_kernelIl19rocblas_complex_numIdELi16ELb0ELb1ELc84ELc76EKPKS1_KPS1_EviT_T0_PT6_S7_lSA_S7_lS8_PT7_S7_li
	.p2align	8
	.type	_ZL41rocblas_syrkx_herkx_small_restrict_kernelIl19rocblas_complex_numIdELi16ELb0ELb1ELc84ELc76EKPKS1_KPS1_EviT_T0_PT6_S7_lSA_S7_lS8_PT7_S7_li,@function
_ZL41rocblas_syrkx_herkx_small_restrict_kernelIl19rocblas_complex_numIdELi16ELb0ELb1ELc84ELc76EKPKS1_KPS1_EviT_T0_PT6_S7_lSA_S7_lS8_PT7_S7_li: ; @_ZL41rocblas_syrkx_herkx_small_restrict_kernelIl19rocblas_complex_numIdELi16ELb0ELb1ELc84ELc76EKPKS1_KPS1_EviT_T0_PT6_S7_lSA_S7_lS8_PT7_S7_li
; %bb.0:
	s_load_dwordx8 s[12:19], s[4:5], 0x50
	s_load_dwordx8 s[20:27], s[4:5], 0x8
	s_load_dwordx2 s[2:3], s[4:5], 0x28
	s_mov_b32 s9, 0
	s_lshl_b64 s[8:9], s[8:9], 3
	s_waitcnt lgkmcnt(0)
	s_add_u32 s0, s16, s8
	s_addc_u32 s1, s17, s9
	s_load_dwordx2 s[0:1], s[0:1], 0x0
	v_cmp_lt_i64_e64 s[10:11], s[20:21], 1
	v_lshl_add_u32 v2, s6, 4, v0
	v_lshl_add_u32 v12, s7, 4, v1
	s_and_b64 vcc, exec, s[10:11]
	v_ashrrev_i32_e32 v3, 31, v2
	v_ashrrev_i32_e32 v13, 31, v12
	s_cbranch_vccnz .LBB1815_6
; %bb.1:
	s_load_dwordx4 s[28:31], s[4:5], 0x38
	v_mul_lo_u32 v6, s3, v2
	v_mul_lo_u32 v7, s2, v3
	v_mad_u64_u32 v[4:5], s[2:3], s2, v2, 0
	s_waitcnt lgkmcnt(0)
	s_add_u32 s2, s28, s8
	s_addc_u32 s3, s29, s9
	s_add_u32 s4, s26, s8
	s_addc_u32 s5, s27, s9
	s_load_dwordx2 s[4:5], s[4:5], 0x0
	v_lshlrev_b32_e32 v8, 4, v1
	v_add3_u32 v5, v5, v7, v6
	v_lshlrev_b64 v[4:5], 4, v[4:5]
	s_load_dwordx2 s[2:3], s[2:3], 0x0
	s_waitcnt lgkmcnt(0)
	v_mov_b32_e32 v6, s5
	v_add_co_u32_e32 v7, vcc, s4, v8
	v_addc_co_u32_e32 v6, vcc, 0, v6, vcc
	v_add_co_u32_e32 v4, vcc, v7, v4
	v_addc_co_u32_e32 v5, vcc, v6, v5, vcc
	v_mul_lo_u32 v8, s31, v12
	v_mul_lo_u32 v9, s30, v13
	v_mad_u64_u32 v[6:7], s[4:5], s30, v12, 0
	v_lshlrev_b32_e32 v14, 4, v0
	v_mov_b32_e32 v0, s3
	v_add3_u32 v7, v7, v9, v8
	v_add_co_u32_e32 v8, vcc, s2, v14
	v_lshlrev_b32_e32 v10, 8, v1
	v_addc_co_u32_e32 v9, vcc, 0, v0, vcc
	v_lshlrev_b64 v[0:1], 4, v[6:7]
	v_add_u32_e32 v15, v14, v10
	v_add_co_u32_e32 v0, vcc, v8, v0
	v_addc_co_u32_e32 v1, vcc, v9, v1, vcc
	v_add_u32_e32 v16, 0x1000, v10
	v_mov_b32_e32 v8, 0
	v_mov_b32_e32 v10, 0
	;; [unrolled: 1-line block ×3, first 2 shown]
	v_add_u32_e32 v17, v16, v14
	v_mov_b32_e32 v9, 0
	s_mov_b64 s[2:3], 0
	v_mov_b32_e32 v11, 0
	v_mov_b32_e32 v7, s21
.LBB1815_2:                             ; =>This Inner Loop Header: Depth=1
	flat_load_dwordx4 v[18:21], v[4:5]
	s_add_u32 s2, s2, 16
	s_addc_u32 s3, s3, 0
	s_waitcnt vmcnt(0) lgkmcnt(0)
	ds_write2_b64 v15, v[18:19], v[20:21] offset1:1
	flat_load_dwordx4 v[18:21], v[0:1]
	v_add_co_u32_e32 v0, vcc, 0x100, v0
	v_addc_co_u32_e32 v1, vcc, 0, v1, vcc
	v_add_co_u32_e32 v4, vcc, 0x100, v4
	v_addc_co_u32_e32 v5, vcc, 0, v5, vcc
	v_cmp_lt_i64_e32 vcc, s[2:3], v[6:7]
	s_and_b64 vcc, exec, vcc
	s_waitcnt vmcnt(0) lgkmcnt(0)
	ds_write2_b64 v17, v[18:19], v[20:21] offset1:1
	s_waitcnt lgkmcnt(0)
	s_barrier
	ds_read_b128 v[18:21], v16
	ds_read_b128 v[22:25], v16 offset:16
	ds_read_b128 v[26:29], v16 offset:32
	;; [unrolled: 1-line block ×3, first 2 shown]
	ds_read_b128 v[34:37], v14
	s_waitcnt lgkmcnt(0)
	v_mul_f64 v[38:39], v[20:21], v[36:37]
	v_fma_f64 v[38:39], v[18:19], v[34:35], -v[38:39]
	v_mul_f64 v[18:19], v[18:19], v[36:37]
	v_fma_f64 v[18:19], v[20:21], v[34:35], v[18:19]
	v_add_f64 v[20:21], v[10:11], v[38:39]
	v_add_f64 v[18:19], v[8:9], v[18:19]
	ds_read_b128 v[8:11], v14 offset:256
	s_waitcnt lgkmcnt(0)
	v_mul_f64 v[34:35], v[24:25], v[10:11]
	v_mul_f64 v[10:11], v[22:23], v[10:11]
	v_fma_f64 v[34:35], v[22:23], v[8:9], -v[34:35]
	v_fma_f64 v[8:9], v[24:25], v[8:9], v[10:11]
	v_add_f64 v[20:21], v[20:21], v[34:35]
	v_add_f64 v[18:19], v[18:19], v[8:9]
	ds_read_b128 v[8:11], v14 offset:512
	s_waitcnt lgkmcnt(0)
	v_mul_f64 v[22:23], v[28:29], v[10:11]
	v_mul_f64 v[10:11], v[26:27], v[10:11]
	v_fma_f64 v[22:23], v[26:27], v[8:9], -v[22:23]
	;; [unrolled: 8-line block ×3, first 2 shown]
	v_fma_f64 v[8:9], v[32:33], v[8:9], v[10:11]
	v_add_f64 v[22:23], v[20:21], v[22:23]
	v_add_f64 v[24:25], v[18:19], v[8:9]
	ds_read_b128 v[8:11], v16 offset:64
	ds_read_b128 v[18:21], v14 offset:1024
	s_waitcnt lgkmcnt(0)
	v_mul_f64 v[26:27], v[10:11], v[20:21]
	v_fma_f64 v[26:27], v[8:9], v[18:19], -v[26:27]
	v_mul_f64 v[8:9], v[8:9], v[20:21]
	v_add_f64 v[22:23], v[22:23], v[26:27]
	v_fma_f64 v[8:9], v[10:11], v[18:19], v[8:9]
	v_add_f64 v[24:25], v[24:25], v[8:9]
	ds_read_b128 v[8:11], v16 offset:80
	ds_read_b128 v[18:21], v14 offset:1280
	s_waitcnt lgkmcnt(0)
	v_mul_f64 v[26:27], v[10:11], v[20:21]
	v_fma_f64 v[26:27], v[8:9], v[18:19], -v[26:27]
	v_mul_f64 v[8:9], v[8:9], v[20:21]
	v_add_f64 v[22:23], v[22:23], v[26:27]
	v_fma_f64 v[8:9], v[10:11], v[18:19], v[8:9]
	;; [unrolled: 9-line block ×11, first 2 shown]
	v_add_f64 v[24:25], v[24:25], v[8:9]
	ds_read_b128 v[8:11], v16 offset:240
	ds_read_b128 v[18:21], v14 offset:3840
	s_waitcnt lgkmcnt(0)
	s_barrier
	v_mul_f64 v[26:27], v[10:11], v[20:21]
	v_fma_f64 v[26:27], v[8:9], v[18:19], -v[26:27]
	v_mul_f64 v[8:9], v[8:9], v[20:21]
	v_fma_f64 v[8:9], v[10:11], v[18:19], v[8:9]
	v_add_f64 v[10:11], v[22:23], v[26:27]
	v_add_f64 v[8:9], v[24:25], v[8:9]
	s_cbranch_vccnz .LBB1815_2
; %bb.3:
	v_cmp_le_i32_e32 vcc, v12, v2
	s_and_saveexec_b64 s[2:3], vcc
	s_cbranch_execz .LBB1815_5
.LBB1815_4:
	v_mul_lo_u32 v4, s19, v12
	v_mul_lo_u32 v5, s18, v13
	v_mad_u64_u32 v[0:1], s[2:3], s18, v12, 0
	v_add3_u32 v1, v1, v5, v4
	v_lshlrev_b64 v[0:1], 4, v[0:1]
	s_waitcnt lgkmcnt(0)
	v_mov_b32_e32 v4, s1
	v_add_co_u32_e32 v5, vcc, s0, v0
	v_addc_co_u32_e32 v4, vcc, v4, v1, vcc
	v_lshlrev_b64 v[0:1], 4, v[2:3]
	v_add_co_u32_e32 v13, vcc, v5, v0
	v_addc_co_u32_e32 v14, vcc, v4, v1, vcc
	flat_load_dwordx4 v[3:6], v[13:14]
	v_mul_f64 v[0:1], s[22:23], v[8:9]
	v_mul_f64 v[7:8], s[24:25], v[8:9]
	v_cmp_ne_u32_e32 vcc, v2, v12
	v_fma_f64 v[0:1], s[24:25], v[10:11], v[0:1]
	v_fma_f64 v[7:8], s[22:23], v[10:11], -v[7:8]
	s_waitcnt vmcnt(0) lgkmcnt(0)
	v_mul_f64 v[15:16], s[12:13], v[5:6]
	v_mul_f64 v[5:6], s[14:15], v[5:6]
	v_fma_f64 v[15:16], s[14:15], v[3:4], v[15:16]
	v_fma_f64 v[3:4], s[12:13], v[3:4], -v[5:6]
	v_add_f64 v[5:6], v[0:1], v[15:16]
	v_add_f64 v[0:1], v[7:8], v[3:4]
	v_cndmask_b32_e32 v3, 0, v6, vcc
	v_cndmask_b32_e32 v2, 0, v5, vcc
	flat_store_dwordx4 v[13:14], v[0:3]
.LBB1815_5:
	s_endpgm
.LBB1815_6:
	v_mov_b32_e32 v8, 0
	v_mov_b32_e32 v10, 0
	;; [unrolled: 1-line block ×4, first 2 shown]
	v_cmp_le_i32_e32 vcc, v12, v2
	s_and_saveexec_b64 s[2:3], vcc
	s_cbranch_execnz .LBB1815_4
	s_branch .LBB1815_5
	.section	.rodata,"a",@progbits
	.p2align	6, 0x0
	.amdhsa_kernel _ZL41rocblas_syrkx_herkx_small_restrict_kernelIl19rocblas_complex_numIdELi16ELb0ELb1ELc84ELc76EKPKS1_KPS1_EviT_T0_PT6_S7_lSA_S7_lS8_PT7_S7_li
		.amdhsa_group_segment_fixed_size 8192
		.amdhsa_private_segment_fixed_size 0
		.amdhsa_kernarg_size 124
		.amdhsa_user_sgpr_count 6
		.amdhsa_user_sgpr_private_segment_buffer 1
		.amdhsa_user_sgpr_dispatch_ptr 0
		.amdhsa_user_sgpr_queue_ptr 0
		.amdhsa_user_sgpr_kernarg_segment_ptr 1
		.amdhsa_user_sgpr_dispatch_id 0
		.amdhsa_user_sgpr_flat_scratch_init 0
		.amdhsa_user_sgpr_private_segment_size 0
		.amdhsa_uses_dynamic_stack 0
		.amdhsa_system_sgpr_private_segment_wavefront_offset 0
		.amdhsa_system_sgpr_workgroup_id_x 1
		.amdhsa_system_sgpr_workgroup_id_y 1
		.amdhsa_system_sgpr_workgroup_id_z 1
		.amdhsa_system_sgpr_workgroup_info 0
		.amdhsa_system_vgpr_workitem_id 1
		.amdhsa_next_free_vgpr 40
		.amdhsa_next_free_sgpr 61
		.amdhsa_reserve_vcc 1
		.amdhsa_reserve_flat_scratch 0
		.amdhsa_float_round_mode_32 0
		.amdhsa_float_round_mode_16_64 0
		.amdhsa_float_denorm_mode_32 3
		.amdhsa_float_denorm_mode_16_64 3
		.amdhsa_dx10_clamp 1
		.amdhsa_ieee_mode 1
		.amdhsa_fp16_overflow 0
		.amdhsa_exception_fp_ieee_invalid_op 0
		.amdhsa_exception_fp_denorm_src 0
		.amdhsa_exception_fp_ieee_div_zero 0
		.amdhsa_exception_fp_ieee_overflow 0
		.amdhsa_exception_fp_ieee_underflow 0
		.amdhsa_exception_fp_ieee_inexact 0
		.amdhsa_exception_int_div_zero 0
	.end_amdhsa_kernel
	.section	.text._ZL41rocblas_syrkx_herkx_small_restrict_kernelIl19rocblas_complex_numIdELi16ELb0ELb1ELc84ELc76EKPKS1_KPS1_EviT_T0_PT6_S7_lSA_S7_lS8_PT7_S7_li,"axG",@progbits,_ZL41rocblas_syrkx_herkx_small_restrict_kernelIl19rocblas_complex_numIdELi16ELb0ELb1ELc84ELc76EKPKS1_KPS1_EviT_T0_PT6_S7_lSA_S7_lS8_PT7_S7_li,comdat
.Lfunc_end1815:
	.size	_ZL41rocblas_syrkx_herkx_small_restrict_kernelIl19rocblas_complex_numIdELi16ELb0ELb1ELc84ELc76EKPKS1_KPS1_EviT_T0_PT6_S7_lSA_S7_lS8_PT7_S7_li, .Lfunc_end1815-_ZL41rocblas_syrkx_herkx_small_restrict_kernelIl19rocblas_complex_numIdELi16ELb0ELb1ELc84ELc76EKPKS1_KPS1_EviT_T0_PT6_S7_lSA_S7_lS8_PT7_S7_li
                                        ; -- End function
	.set _ZL41rocblas_syrkx_herkx_small_restrict_kernelIl19rocblas_complex_numIdELi16ELb0ELb1ELc84ELc76EKPKS1_KPS1_EviT_T0_PT6_S7_lSA_S7_lS8_PT7_S7_li.num_vgpr, 40
	.set _ZL41rocblas_syrkx_herkx_small_restrict_kernelIl19rocblas_complex_numIdELi16ELb0ELb1ELc84ELc76EKPKS1_KPS1_EviT_T0_PT6_S7_lSA_S7_lS8_PT7_S7_li.num_agpr, 0
	.set _ZL41rocblas_syrkx_herkx_small_restrict_kernelIl19rocblas_complex_numIdELi16ELb0ELb1ELc84ELc76EKPKS1_KPS1_EviT_T0_PT6_S7_lSA_S7_lS8_PT7_S7_li.numbered_sgpr, 32
	.set _ZL41rocblas_syrkx_herkx_small_restrict_kernelIl19rocblas_complex_numIdELi16ELb0ELb1ELc84ELc76EKPKS1_KPS1_EviT_T0_PT6_S7_lSA_S7_lS8_PT7_S7_li.num_named_barrier, 0
	.set _ZL41rocblas_syrkx_herkx_small_restrict_kernelIl19rocblas_complex_numIdELi16ELb0ELb1ELc84ELc76EKPKS1_KPS1_EviT_T0_PT6_S7_lSA_S7_lS8_PT7_S7_li.private_seg_size, 0
	.set _ZL41rocblas_syrkx_herkx_small_restrict_kernelIl19rocblas_complex_numIdELi16ELb0ELb1ELc84ELc76EKPKS1_KPS1_EviT_T0_PT6_S7_lSA_S7_lS8_PT7_S7_li.uses_vcc, 1
	.set _ZL41rocblas_syrkx_herkx_small_restrict_kernelIl19rocblas_complex_numIdELi16ELb0ELb1ELc84ELc76EKPKS1_KPS1_EviT_T0_PT6_S7_lSA_S7_lS8_PT7_S7_li.uses_flat_scratch, 0
	.set _ZL41rocblas_syrkx_herkx_small_restrict_kernelIl19rocblas_complex_numIdELi16ELb0ELb1ELc84ELc76EKPKS1_KPS1_EviT_T0_PT6_S7_lSA_S7_lS8_PT7_S7_li.has_dyn_sized_stack, 0
	.set _ZL41rocblas_syrkx_herkx_small_restrict_kernelIl19rocblas_complex_numIdELi16ELb0ELb1ELc84ELc76EKPKS1_KPS1_EviT_T0_PT6_S7_lSA_S7_lS8_PT7_S7_li.has_recursion, 0
	.set _ZL41rocblas_syrkx_herkx_small_restrict_kernelIl19rocblas_complex_numIdELi16ELb0ELb1ELc84ELc76EKPKS1_KPS1_EviT_T0_PT6_S7_lSA_S7_lS8_PT7_S7_li.has_indirect_call, 0
	.section	.AMDGPU.csdata,"",@progbits
; Kernel info:
; codeLenInByte = 1732
; TotalNumSgprs: 36
; NumVgprs: 40
; ScratchSize: 0
; MemoryBound: 0
; FloatMode: 240
; IeeeMode: 1
; LDSByteSize: 8192 bytes/workgroup (compile time only)
; SGPRBlocks: 8
; VGPRBlocks: 9
; NumSGPRsForWavesPerEU: 65
; NumVGPRsForWavesPerEU: 40
; Occupancy: 6
; WaveLimiterHint : 1
; COMPUTE_PGM_RSRC2:SCRATCH_EN: 0
; COMPUTE_PGM_RSRC2:USER_SGPR: 6
; COMPUTE_PGM_RSRC2:TRAP_HANDLER: 0
; COMPUTE_PGM_RSRC2:TGID_X_EN: 1
; COMPUTE_PGM_RSRC2:TGID_Y_EN: 1
; COMPUTE_PGM_RSRC2:TGID_Z_EN: 1
; COMPUTE_PGM_RSRC2:TIDIG_COMP_CNT: 1
	.section	.text._ZL41rocblas_syrkx_herkx_small_restrict_kernelIl19rocblas_complex_numIdELi16ELb0ELb1ELc67ELc76EKPKS1_KPS1_EviT_T0_PT6_S7_lSA_S7_lS8_PT7_S7_li,"axG",@progbits,_ZL41rocblas_syrkx_herkx_small_restrict_kernelIl19rocblas_complex_numIdELi16ELb0ELb1ELc67ELc76EKPKS1_KPS1_EviT_T0_PT6_S7_lSA_S7_lS8_PT7_S7_li,comdat
	.globl	_ZL41rocblas_syrkx_herkx_small_restrict_kernelIl19rocblas_complex_numIdELi16ELb0ELb1ELc67ELc76EKPKS1_KPS1_EviT_T0_PT6_S7_lSA_S7_lS8_PT7_S7_li ; -- Begin function _ZL41rocblas_syrkx_herkx_small_restrict_kernelIl19rocblas_complex_numIdELi16ELb0ELb1ELc67ELc76EKPKS1_KPS1_EviT_T0_PT6_S7_lSA_S7_lS8_PT7_S7_li
	.p2align	8
	.type	_ZL41rocblas_syrkx_herkx_small_restrict_kernelIl19rocblas_complex_numIdELi16ELb0ELb1ELc67ELc76EKPKS1_KPS1_EviT_T0_PT6_S7_lSA_S7_lS8_PT7_S7_li,@function
_ZL41rocblas_syrkx_herkx_small_restrict_kernelIl19rocblas_complex_numIdELi16ELb0ELb1ELc67ELc76EKPKS1_KPS1_EviT_T0_PT6_S7_lSA_S7_lS8_PT7_S7_li: ; @_ZL41rocblas_syrkx_herkx_small_restrict_kernelIl19rocblas_complex_numIdELi16ELb0ELb1ELc67ELc76EKPKS1_KPS1_EviT_T0_PT6_S7_lSA_S7_lS8_PT7_S7_li
; %bb.0:
	s_load_dwordx8 s[12:19], s[4:5], 0x50
	s_load_dwordx8 s[20:27], s[4:5], 0x8
	s_load_dwordx2 s[2:3], s[4:5], 0x28
	s_mov_b32 s9, 0
	s_lshl_b64 s[8:9], s[8:9], 3
	s_waitcnt lgkmcnt(0)
	s_add_u32 s0, s16, s8
	s_addc_u32 s1, s17, s9
	s_load_dwordx2 s[0:1], s[0:1], 0x0
	v_cmp_lt_i64_e64 s[10:11], s[20:21], 1
	v_lshl_add_u32 v2, s6, 4, v0
	v_lshl_add_u32 v12, s7, 4, v1
	s_and_b64 vcc, exec, s[10:11]
	v_ashrrev_i32_e32 v3, 31, v2
	v_ashrrev_i32_e32 v13, 31, v12
	s_cbranch_vccnz .LBB1816_6
; %bb.1:
	s_load_dwordx4 s[28:31], s[4:5], 0x38
	v_mul_lo_u32 v6, s3, v2
	v_mul_lo_u32 v7, s2, v3
	v_mad_u64_u32 v[4:5], s[2:3], s2, v2, 0
	s_waitcnt lgkmcnt(0)
	s_add_u32 s2, s28, s8
	s_addc_u32 s3, s29, s9
	s_add_u32 s4, s26, s8
	s_addc_u32 s5, s27, s9
	s_load_dwordx2 s[4:5], s[4:5], 0x0
	v_lshlrev_b32_e32 v8, 4, v1
	v_add3_u32 v5, v5, v7, v6
	v_lshlrev_b64 v[4:5], 4, v[4:5]
	s_load_dwordx2 s[2:3], s[2:3], 0x0
	s_waitcnt lgkmcnt(0)
	v_mov_b32_e32 v6, s5
	v_add_co_u32_e32 v7, vcc, s4, v8
	v_addc_co_u32_e32 v6, vcc, 0, v6, vcc
	v_add_co_u32_e32 v4, vcc, v7, v4
	v_addc_co_u32_e32 v5, vcc, v6, v5, vcc
	v_mul_lo_u32 v8, s31, v12
	v_mul_lo_u32 v9, s30, v13
	v_mad_u64_u32 v[6:7], s[4:5], s30, v12, 0
	v_lshlrev_b32_e32 v14, 4, v0
	v_mov_b32_e32 v0, s3
	v_add3_u32 v7, v7, v9, v8
	v_add_co_u32_e32 v8, vcc, s2, v14
	v_lshlrev_b32_e32 v10, 8, v1
	v_addc_co_u32_e32 v9, vcc, 0, v0, vcc
	v_lshlrev_b64 v[0:1], 4, v[6:7]
	v_add_u32_e32 v15, v14, v10
	v_add_co_u32_e32 v0, vcc, v8, v0
	v_addc_co_u32_e32 v1, vcc, v9, v1, vcc
	v_add_u32_e32 v16, 0x1000, v10
	v_mov_b32_e32 v8, 0
	v_mov_b32_e32 v10, 0
	;; [unrolled: 1-line block ×3, first 2 shown]
	v_add_u32_e32 v17, v16, v14
	v_mov_b32_e32 v9, 0
	s_mov_b64 s[2:3], 0
	v_mov_b32_e32 v11, 0
	v_mov_b32_e32 v7, s21
.LBB1816_2:                             ; =>This Inner Loop Header: Depth=1
	flat_load_dwordx4 v[18:21], v[4:5]
	s_add_u32 s2, s2, 16
	s_addc_u32 s3, s3, 0
	s_waitcnt vmcnt(0) lgkmcnt(0)
	v_xor_b32_e32 v21, 0x80000000, v21
	ds_write_b128 v15, v[18:21]
	flat_load_dwordx4 v[18:21], v[0:1]
	v_add_co_u32_e32 v0, vcc, 0x100, v0
	v_addc_co_u32_e32 v1, vcc, 0, v1, vcc
	v_add_co_u32_e32 v4, vcc, 0x100, v4
	v_addc_co_u32_e32 v5, vcc, 0, v5, vcc
	v_cmp_lt_i64_e32 vcc, s[2:3], v[6:7]
	s_and_b64 vcc, exec, vcc
	s_waitcnt vmcnt(0) lgkmcnt(0)
	ds_write2_b64 v17, v[18:19], v[20:21] offset1:1
	s_waitcnt lgkmcnt(0)
	s_barrier
	ds_read_b128 v[18:21], v16
	ds_read_b128 v[22:25], v16 offset:16
	ds_read_b128 v[26:29], v16 offset:32
	ds_read_b128 v[30:33], v16 offset:48
	ds_read_b128 v[34:37], v14
	s_waitcnt lgkmcnt(0)
	v_mul_f64 v[38:39], v[20:21], v[36:37]
	v_fma_f64 v[38:39], v[18:19], v[34:35], -v[38:39]
	v_mul_f64 v[18:19], v[18:19], v[36:37]
	v_fma_f64 v[18:19], v[20:21], v[34:35], v[18:19]
	v_add_f64 v[20:21], v[10:11], v[38:39]
	v_add_f64 v[18:19], v[8:9], v[18:19]
	ds_read_b128 v[8:11], v14 offset:256
	s_waitcnt lgkmcnt(0)
	v_mul_f64 v[34:35], v[24:25], v[10:11]
	v_mul_f64 v[10:11], v[22:23], v[10:11]
	v_fma_f64 v[34:35], v[22:23], v[8:9], -v[34:35]
	v_fma_f64 v[8:9], v[24:25], v[8:9], v[10:11]
	v_add_f64 v[20:21], v[20:21], v[34:35]
	v_add_f64 v[18:19], v[18:19], v[8:9]
	ds_read_b128 v[8:11], v14 offset:512
	s_waitcnt lgkmcnt(0)
	v_mul_f64 v[22:23], v[28:29], v[10:11]
	v_mul_f64 v[10:11], v[26:27], v[10:11]
	v_fma_f64 v[22:23], v[26:27], v[8:9], -v[22:23]
	;; [unrolled: 8-line block ×3, first 2 shown]
	v_fma_f64 v[8:9], v[32:33], v[8:9], v[10:11]
	v_add_f64 v[22:23], v[20:21], v[22:23]
	v_add_f64 v[24:25], v[18:19], v[8:9]
	ds_read_b128 v[8:11], v16 offset:64
	ds_read_b128 v[18:21], v14 offset:1024
	s_waitcnt lgkmcnt(0)
	v_mul_f64 v[26:27], v[10:11], v[20:21]
	v_fma_f64 v[26:27], v[8:9], v[18:19], -v[26:27]
	v_mul_f64 v[8:9], v[8:9], v[20:21]
	v_add_f64 v[22:23], v[22:23], v[26:27]
	v_fma_f64 v[8:9], v[10:11], v[18:19], v[8:9]
	v_add_f64 v[24:25], v[24:25], v[8:9]
	ds_read_b128 v[8:11], v16 offset:80
	ds_read_b128 v[18:21], v14 offset:1280
	s_waitcnt lgkmcnt(0)
	v_mul_f64 v[26:27], v[10:11], v[20:21]
	v_fma_f64 v[26:27], v[8:9], v[18:19], -v[26:27]
	v_mul_f64 v[8:9], v[8:9], v[20:21]
	v_add_f64 v[22:23], v[22:23], v[26:27]
	v_fma_f64 v[8:9], v[10:11], v[18:19], v[8:9]
	;; [unrolled: 9-line block ×11, first 2 shown]
	v_add_f64 v[24:25], v[24:25], v[8:9]
	ds_read_b128 v[8:11], v16 offset:240
	ds_read_b128 v[18:21], v14 offset:3840
	s_waitcnt lgkmcnt(0)
	s_barrier
	v_mul_f64 v[26:27], v[10:11], v[20:21]
	v_fma_f64 v[26:27], v[8:9], v[18:19], -v[26:27]
	v_mul_f64 v[8:9], v[8:9], v[20:21]
	v_fma_f64 v[8:9], v[10:11], v[18:19], v[8:9]
	v_add_f64 v[10:11], v[22:23], v[26:27]
	v_add_f64 v[8:9], v[24:25], v[8:9]
	s_cbranch_vccnz .LBB1816_2
; %bb.3:
	v_cmp_le_i32_e32 vcc, v12, v2
	s_and_saveexec_b64 s[2:3], vcc
	s_cbranch_execz .LBB1816_5
.LBB1816_4:
	v_mul_lo_u32 v4, s19, v12
	v_mul_lo_u32 v5, s18, v13
	v_mad_u64_u32 v[0:1], s[2:3], s18, v12, 0
	v_add3_u32 v1, v1, v5, v4
	v_lshlrev_b64 v[0:1], 4, v[0:1]
	s_waitcnt lgkmcnt(0)
	v_mov_b32_e32 v4, s1
	v_add_co_u32_e32 v5, vcc, s0, v0
	v_addc_co_u32_e32 v4, vcc, v4, v1, vcc
	v_lshlrev_b64 v[0:1], 4, v[2:3]
	v_add_co_u32_e32 v13, vcc, v5, v0
	v_addc_co_u32_e32 v14, vcc, v4, v1, vcc
	flat_load_dwordx4 v[3:6], v[13:14]
	v_mul_f64 v[0:1], s[22:23], v[8:9]
	v_mul_f64 v[7:8], s[24:25], v[8:9]
	v_cmp_ne_u32_e32 vcc, v2, v12
	v_fma_f64 v[0:1], s[24:25], v[10:11], v[0:1]
	v_fma_f64 v[7:8], s[22:23], v[10:11], -v[7:8]
	s_waitcnt vmcnt(0) lgkmcnt(0)
	v_mul_f64 v[15:16], s[12:13], v[5:6]
	v_mul_f64 v[5:6], s[14:15], v[5:6]
	v_fma_f64 v[15:16], s[14:15], v[3:4], v[15:16]
	v_fma_f64 v[3:4], s[12:13], v[3:4], -v[5:6]
	v_add_f64 v[5:6], v[0:1], v[15:16]
	v_add_f64 v[0:1], v[7:8], v[3:4]
	v_cndmask_b32_e32 v3, 0, v6, vcc
	v_cndmask_b32_e32 v2, 0, v5, vcc
	flat_store_dwordx4 v[13:14], v[0:3]
.LBB1816_5:
	s_endpgm
.LBB1816_6:
	v_mov_b32_e32 v8, 0
	v_mov_b32_e32 v10, 0
	;; [unrolled: 1-line block ×4, first 2 shown]
	v_cmp_le_i32_e32 vcc, v12, v2
	s_and_saveexec_b64 s[2:3], vcc
	s_cbranch_execnz .LBB1816_4
	s_branch .LBB1816_5
	.section	.rodata,"a",@progbits
	.p2align	6, 0x0
	.amdhsa_kernel _ZL41rocblas_syrkx_herkx_small_restrict_kernelIl19rocblas_complex_numIdELi16ELb0ELb1ELc67ELc76EKPKS1_KPS1_EviT_T0_PT6_S7_lSA_S7_lS8_PT7_S7_li
		.amdhsa_group_segment_fixed_size 8192
		.amdhsa_private_segment_fixed_size 0
		.amdhsa_kernarg_size 124
		.amdhsa_user_sgpr_count 6
		.amdhsa_user_sgpr_private_segment_buffer 1
		.amdhsa_user_sgpr_dispatch_ptr 0
		.amdhsa_user_sgpr_queue_ptr 0
		.amdhsa_user_sgpr_kernarg_segment_ptr 1
		.amdhsa_user_sgpr_dispatch_id 0
		.amdhsa_user_sgpr_flat_scratch_init 0
		.amdhsa_user_sgpr_private_segment_size 0
		.amdhsa_uses_dynamic_stack 0
		.amdhsa_system_sgpr_private_segment_wavefront_offset 0
		.amdhsa_system_sgpr_workgroup_id_x 1
		.amdhsa_system_sgpr_workgroup_id_y 1
		.amdhsa_system_sgpr_workgroup_id_z 1
		.amdhsa_system_sgpr_workgroup_info 0
		.amdhsa_system_vgpr_workitem_id 1
		.amdhsa_next_free_vgpr 40
		.amdhsa_next_free_sgpr 61
		.amdhsa_reserve_vcc 1
		.amdhsa_reserve_flat_scratch 0
		.amdhsa_float_round_mode_32 0
		.amdhsa_float_round_mode_16_64 0
		.amdhsa_float_denorm_mode_32 3
		.amdhsa_float_denorm_mode_16_64 3
		.amdhsa_dx10_clamp 1
		.amdhsa_ieee_mode 1
		.amdhsa_fp16_overflow 0
		.amdhsa_exception_fp_ieee_invalid_op 0
		.amdhsa_exception_fp_denorm_src 0
		.amdhsa_exception_fp_ieee_div_zero 0
		.amdhsa_exception_fp_ieee_overflow 0
		.amdhsa_exception_fp_ieee_underflow 0
		.amdhsa_exception_fp_ieee_inexact 0
		.amdhsa_exception_int_div_zero 0
	.end_amdhsa_kernel
	.section	.text._ZL41rocblas_syrkx_herkx_small_restrict_kernelIl19rocblas_complex_numIdELi16ELb0ELb1ELc67ELc76EKPKS1_KPS1_EviT_T0_PT6_S7_lSA_S7_lS8_PT7_S7_li,"axG",@progbits,_ZL41rocblas_syrkx_herkx_small_restrict_kernelIl19rocblas_complex_numIdELi16ELb0ELb1ELc67ELc76EKPKS1_KPS1_EviT_T0_PT6_S7_lSA_S7_lS8_PT7_S7_li,comdat
.Lfunc_end1816:
	.size	_ZL41rocblas_syrkx_herkx_small_restrict_kernelIl19rocblas_complex_numIdELi16ELb0ELb1ELc67ELc76EKPKS1_KPS1_EviT_T0_PT6_S7_lSA_S7_lS8_PT7_S7_li, .Lfunc_end1816-_ZL41rocblas_syrkx_herkx_small_restrict_kernelIl19rocblas_complex_numIdELi16ELb0ELb1ELc67ELc76EKPKS1_KPS1_EviT_T0_PT6_S7_lSA_S7_lS8_PT7_S7_li
                                        ; -- End function
	.set _ZL41rocblas_syrkx_herkx_small_restrict_kernelIl19rocblas_complex_numIdELi16ELb0ELb1ELc67ELc76EKPKS1_KPS1_EviT_T0_PT6_S7_lSA_S7_lS8_PT7_S7_li.num_vgpr, 40
	.set _ZL41rocblas_syrkx_herkx_small_restrict_kernelIl19rocblas_complex_numIdELi16ELb0ELb1ELc67ELc76EKPKS1_KPS1_EviT_T0_PT6_S7_lSA_S7_lS8_PT7_S7_li.num_agpr, 0
	.set _ZL41rocblas_syrkx_herkx_small_restrict_kernelIl19rocblas_complex_numIdELi16ELb0ELb1ELc67ELc76EKPKS1_KPS1_EviT_T0_PT6_S7_lSA_S7_lS8_PT7_S7_li.numbered_sgpr, 32
	.set _ZL41rocblas_syrkx_herkx_small_restrict_kernelIl19rocblas_complex_numIdELi16ELb0ELb1ELc67ELc76EKPKS1_KPS1_EviT_T0_PT6_S7_lSA_S7_lS8_PT7_S7_li.num_named_barrier, 0
	.set _ZL41rocblas_syrkx_herkx_small_restrict_kernelIl19rocblas_complex_numIdELi16ELb0ELb1ELc67ELc76EKPKS1_KPS1_EviT_T0_PT6_S7_lSA_S7_lS8_PT7_S7_li.private_seg_size, 0
	.set _ZL41rocblas_syrkx_herkx_small_restrict_kernelIl19rocblas_complex_numIdELi16ELb0ELb1ELc67ELc76EKPKS1_KPS1_EviT_T0_PT6_S7_lSA_S7_lS8_PT7_S7_li.uses_vcc, 1
	.set _ZL41rocblas_syrkx_herkx_small_restrict_kernelIl19rocblas_complex_numIdELi16ELb0ELb1ELc67ELc76EKPKS1_KPS1_EviT_T0_PT6_S7_lSA_S7_lS8_PT7_S7_li.uses_flat_scratch, 0
	.set _ZL41rocblas_syrkx_herkx_small_restrict_kernelIl19rocblas_complex_numIdELi16ELb0ELb1ELc67ELc76EKPKS1_KPS1_EviT_T0_PT6_S7_lSA_S7_lS8_PT7_S7_li.has_dyn_sized_stack, 0
	.set _ZL41rocblas_syrkx_herkx_small_restrict_kernelIl19rocblas_complex_numIdELi16ELb0ELb1ELc67ELc76EKPKS1_KPS1_EviT_T0_PT6_S7_lSA_S7_lS8_PT7_S7_li.has_recursion, 0
	.set _ZL41rocblas_syrkx_herkx_small_restrict_kernelIl19rocblas_complex_numIdELi16ELb0ELb1ELc67ELc76EKPKS1_KPS1_EviT_T0_PT6_S7_lSA_S7_lS8_PT7_S7_li.has_indirect_call, 0
	.section	.AMDGPU.csdata,"",@progbits
; Kernel info:
; codeLenInByte = 1740
; TotalNumSgprs: 36
; NumVgprs: 40
; ScratchSize: 0
; MemoryBound: 0
; FloatMode: 240
; IeeeMode: 1
; LDSByteSize: 8192 bytes/workgroup (compile time only)
; SGPRBlocks: 8
; VGPRBlocks: 9
; NumSGPRsForWavesPerEU: 65
; NumVGPRsForWavesPerEU: 40
; Occupancy: 6
; WaveLimiterHint : 1
; COMPUTE_PGM_RSRC2:SCRATCH_EN: 0
; COMPUTE_PGM_RSRC2:USER_SGPR: 6
; COMPUTE_PGM_RSRC2:TRAP_HANDLER: 0
; COMPUTE_PGM_RSRC2:TGID_X_EN: 1
; COMPUTE_PGM_RSRC2:TGID_Y_EN: 1
; COMPUTE_PGM_RSRC2:TGID_Z_EN: 1
; COMPUTE_PGM_RSRC2:TIDIG_COMP_CNT: 1
	.section	.text._ZL41rocblas_syrkx_herkx_small_restrict_kernelIl19rocblas_complex_numIdELi16ELb0ELb1ELc78ELc76EKPKS1_KPS1_EviT_T0_PT6_S7_lSA_S7_lS8_PT7_S7_li,"axG",@progbits,_ZL41rocblas_syrkx_herkx_small_restrict_kernelIl19rocblas_complex_numIdELi16ELb0ELb1ELc78ELc76EKPKS1_KPS1_EviT_T0_PT6_S7_lSA_S7_lS8_PT7_S7_li,comdat
	.globl	_ZL41rocblas_syrkx_herkx_small_restrict_kernelIl19rocblas_complex_numIdELi16ELb0ELb1ELc78ELc76EKPKS1_KPS1_EviT_T0_PT6_S7_lSA_S7_lS8_PT7_S7_li ; -- Begin function _ZL41rocblas_syrkx_herkx_small_restrict_kernelIl19rocblas_complex_numIdELi16ELb0ELb1ELc78ELc76EKPKS1_KPS1_EviT_T0_PT6_S7_lSA_S7_lS8_PT7_S7_li
	.p2align	8
	.type	_ZL41rocblas_syrkx_herkx_small_restrict_kernelIl19rocblas_complex_numIdELi16ELb0ELb1ELc78ELc76EKPKS1_KPS1_EviT_T0_PT6_S7_lSA_S7_lS8_PT7_S7_li,@function
_ZL41rocblas_syrkx_herkx_small_restrict_kernelIl19rocblas_complex_numIdELi16ELb0ELb1ELc78ELc76EKPKS1_KPS1_EviT_T0_PT6_S7_lSA_S7_lS8_PT7_S7_li: ; @_ZL41rocblas_syrkx_herkx_small_restrict_kernelIl19rocblas_complex_numIdELi16ELb0ELb1ELc78ELc76EKPKS1_KPS1_EviT_T0_PT6_S7_lSA_S7_lS8_PT7_S7_li
; %bb.0:
	s_load_dwordx8 s[12:19], s[4:5], 0x50
	s_load_dwordx8 s[20:27], s[4:5], 0x8
	s_load_dwordx2 s[10:11], s[4:5], 0x28
	s_mov_b32 s9, 0
	s_lshl_b64 s[28:29], s[8:9], 3
	s_waitcnt lgkmcnt(0)
	s_add_u32 s0, s16, s28
	s_addc_u32 s1, s17, s29
	s_load_dwordx2 s[8:9], s[0:1], 0x0
	v_cmp_lt_i64_e64 s[0:1], s[20:21], 1
	v_lshl_add_u32 v2, s6, 4, v0
	v_lshl_add_u32 v4, s7, 4, v1
	s_and_b64 vcc, exec, s[0:1]
	v_ashrrev_i32_e32 v3, 31, v2
	v_ashrrev_i32_e32 v5, 31, v4
	s_cbranch_vccnz .LBB1817_6
; %bb.1:
	s_load_dwordx4 s[0:3], s[4:5], 0x38
	v_mad_u64_u32 v[10:11], s[6:7], s10, v1, 0
	v_lshlrev_b32_e32 v9, 8, v1
	v_lshlrev_b32_e32 v14, 4, v0
	s_waitcnt lgkmcnt(0)
	v_mad_u64_u32 v[6:7], s[4:5], s2, v0, 0
	s_add_u32 s0, s0, s28
	v_add_u32_e32 v15, v14, v9
	v_mad_u64_u32 v[7:8], s[6:7], s3, v0, v[7:8]
	v_add_u32_e32 v16, 0x1000, v9
	v_lshlrev_b64 v[8:9], 4, v[4:5]
	v_lshlrev_b64 v[6:7], 4, v[6:7]
	s_addc_u32 s1, s1, s29
	s_load_dwordx2 s[0:1], s[0:1], 0x0
	v_add_co_u32_e32 v8, vcc, v6, v8
	v_mov_b32_e32 v0, v11
	v_addc_co_u32_e32 v9, vcc, v7, v9, vcc
	v_mad_u64_u32 v[6:7], s[6:7], s11, v1, v[0:1]
	s_add_u32 s4, s26, s28
	s_addc_u32 s5, s27, s29
	s_load_dwordx2 s[4:5], s[4:5], 0x0
	s_waitcnt lgkmcnt(0)
	v_mov_b32_e32 v12, s1
	v_add_co_u32_e32 v0, vcc, s0, v8
	v_mov_b32_e32 v11, v6
	v_addc_co_u32_e32 v1, vcc, v12, v9, vcc
	v_lshlrev_b64 v[6:7], 4, v[10:11]
	v_lshlrev_b64 v[8:9], 4, v[2:3]
	s_lshl_b64 s[0:1], s[2:3], 8
	v_add_co_u32_e32 v6, vcc, v6, v8
	v_addc_co_u32_e32 v7, vcc, v7, v9, vcc
	v_mov_b32_e32 v8, s5
	v_add_co_u32_e32 v6, vcc, s4, v6
	v_addc_co_u32_e32 v7, vcc, v8, v7, vcc
	s_lshl_b64 s[2:3], s[10:11], 8
	v_mov_b32_e32 v10, 0
	v_mov_b32_e32 v12, 0
	;; [unrolled: 1-line block ×3, first 2 shown]
	v_add_u32_e32 v17, v16, v14
	v_mov_b32_e32 v11, 0
	s_mov_b64 s[4:5], 0
	v_mov_b32_e32 v18, s1
	v_mov_b32_e32 v19, s3
	;; [unrolled: 1-line block ×4, first 2 shown]
.LBB1817_2:                             ; =>This Inner Loop Header: Depth=1
	flat_load_dwordx4 v[20:23], v[6:7]
	s_add_u32 s4, s4, 16
	s_addc_u32 s5, s5, 0
	s_waitcnt vmcnt(0) lgkmcnt(0)
	ds_write2_b64 v15, v[20:21], v[22:23] offset1:1
	flat_load_dwordx4 v[20:23], v[0:1]
	v_add_co_u32_e32 v0, vcc, s0, v0
	v_addc_co_u32_e32 v1, vcc, v1, v18, vcc
	v_add_co_u32_e32 v6, vcc, s2, v6
	v_addc_co_u32_e32 v7, vcc, v7, v19, vcc
	v_cmp_lt_i64_e32 vcc, s[4:5], v[8:9]
	s_and_b64 vcc, exec, vcc
	s_waitcnt vmcnt(0) lgkmcnt(0)
	v_xor_b32_e32 v23, 0x80000000, v23
	ds_write_b128 v17, v[20:23]
	s_waitcnt lgkmcnt(0)
	s_barrier
	ds_read_b128 v[20:23], v16
	ds_read_b128 v[24:27], v16 offset:16
	ds_read_b128 v[28:31], v16 offset:32
	;; [unrolled: 1-line block ×3, first 2 shown]
	ds_read_b128 v[36:39], v14
	s_waitcnt lgkmcnt(0)
	v_mul_f64 v[40:41], v[22:23], v[38:39]
	v_fma_f64 v[40:41], v[20:21], v[36:37], -v[40:41]
	v_mul_f64 v[20:21], v[20:21], v[38:39]
	v_fma_f64 v[20:21], v[22:23], v[36:37], v[20:21]
	v_add_f64 v[22:23], v[12:13], v[40:41]
	v_add_f64 v[20:21], v[10:11], v[20:21]
	ds_read_b128 v[10:13], v14 offset:256
	s_waitcnt lgkmcnt(0)
	v_mul_f64 v[36:37], v[26:27], v[12:13]
	v_mul_f64 v[12:13], v[24:25], v[12:13]
	v_fma_f64 v[36:37], v[24:25], v[10:11], -v[36:37]
	v_fma_f64 v[10:11], v[26:27], v[10:11], v[12:13]
	v_add_f64 v[22:23], v[22:23], v[36:37]
	v_add_f64 v[20:21], v[20:21], v[10:11]
	ds_read_b128 v[10:13], v14 offset:512
	s_waitcnt lgkmcnt(0)
	v_mul_f64 v[24:25], v[30:31], v[12:13]
	v_mul_f64 v[12:13], v[28:29], v[12:13]
	v_fma_f64 v[24:25], v[28:29], v[10:11], -v[24:25]
	v_fma_f64 v[10:11], v[30:31], v[10:11], v[12:13]
	v_add_f64 v[22:23], v[22:23], v[24:25]
	v_add_f64 v[20:21], v[20:21], v[10:11]
	ds_read_b128 v[10:13], v14 offset:768
	s_waitcnt lgkmcnt(0)
	v_mul_f64 v[24:25], v[34:35], v[12:13]
	v_mul_f64 v[12:13], v[32:33], v[12:13]
	v_fma_f64 v[24:25], v[32:33], v[10:11], -v[24:25]
	v_fma_f64 v[10:11], v[34:35], v[10:11], v[12:13]
	v_add_f64 v[24:25], v[22:23], v[24:25]
	v_add_f64 v[26:27], v[20:21], v[10:11]
	ds_read_b128 v[10:13], v16 offset:64
	ds_read_b128 v[20:23], v14 offset:1024
	s_waitcnt lgkmcnt(0)
	v_mul_f64 v[28:29], v[12:13], v[22:23]
	v_fma_f64 v[28:29], v[10:11], v[20:21], -v[28:29]
	v_mul_f64 v[10:11], v[10:11], v[22:23]
	v_add_f64 v[24:25], v[24:25], v[28:29]
	v_fma_f64 v[10:11], v[12:13], v[20:21], v[10:11]
	v_add_f64 v[26:27], v[26:27], v[10:11]
	ds_read_b128 v[10:13], v16 offset:80
	ds_read_b128 v[20:23], v14 offset:1280
	s_waitcnt lgkmcnt(0)
	v_mul_f64 v[28:29], v[12:13], v[22:23]
	v_fma_f64 v[28:29], v[10:11], v[20:21], -v[28:29]
	v_mul_f64 v[10:11], v[10:11], v[22:23]
	v_add_f64 v[24:25], v[24:25], v[28:29]
	v_fma_f64 v[10:11], v[12:13], v[20:21], v[10:11]
	;; [unrolled: 9-line block ×11, first 2 shown]
	v_add_f64 v[26:27], v[26:27], v[10:11]
	ds_read_b128 v[10:13], v16 offset:240
	ds_read_b128 v[20:23], v14 offset:3840
	s_waitcnt lgkmcnt(0)
	s_barrier
	v_mul_f64 v[28:29], v[12:13], v[22:23]
	v_fma_f64 v[28:29], v[10:11], v[20:21], -v[28:29]
	v_mul_f64 v[10:11], v[10:11], v[22:23]
	v_fma_f64 v[10:11], v[12:13], v[20:21], v[10:11]
	v_add_f64 v[12:13], v[24:25], v[28:29]
	v_add_f64 v[10:11], v[26:27], v[10:11]
	s_cbranch_vccnz .LBB1817_2
; %bb.3:
	v_cmp_le_i32_e32 vcc, v4, v2
	s_and_saveexec_b64 s[0:1], vcc
	s_cbranch_execz .LBB1817_5
.LBB1817_4:
	v_mul_lo_u32 v6, s19, v4
	v_mul_lo_u32 v5, s18, v5
	v_mad_u64_u32 v[0:1], s[0:1], s18, v4, 0
	v_add3_u32 v1, v1, v5, v6
	v_lshlrev_b64 v[0:1], 4, v[0:1]
	s_waitcnt lgkmcnt(0)
	v_mov_b32_e32 v5, s9
	v_add_co_u32_e32 v6, vcc, s8, v0
	v_addc_co_u32_e32 v5, vcc, v5, v1, vcc
	v_lshlrev_b64 v[0:1], 4, v[2:3]
	v_add_co_u32_e32 v14, vcc, v6, v0
	v_addc_co_u32_e32 v15, vcc, v5, v1, vcc
	flat_load_dwordx4 v[5:8], v[14:15]
	v_mul_f64 v[0:1], s[22:23], v[10:11]
	v_mul_f64 v[9:10], s[24:25], v[10:11]
	v_cmp_ne_u32_e32 vcc, v2, v4
	v_fma_f64 v[0:1], s[24:25], v[12:13], v[0:1]
	v_fma_f64 v[9:10], s[22:23], v[12:13], -v[9:10]
	s_waitcnt vmcnt(0) lgkmcnt(0)
	v_mul_f64 v[16:17], s[12:13], v[7:8]
	v_mul_f64 v[7:8], s[14:15], v[7:8]
	v_fma_f64 v[16:17], s[14:15], v[5:6], v[16:17]
	v_fma_f64 v[5:6], s[12:13], v[5:6], -v[7:8]
	v_add_f64 v[7:8], v[0:1], v[16:17]
	v_add_f64 v[0:1], v[9:10], v[5:6]
	v_cndmask_b32_e32 v3, 0, v8, vcc
	v_cndmask_b32_e32 v2, 0, v7, vcc
	flat_store_dwordx4 v[14:15], v[0:3]
.LBB1817_5:
	s_endpgm
.LBB1817_6:
	v_mov_b32_e32 v10, 0
	v_mov_b32_e32 v12, 0
	;; [unrolled: 1-line block ×4, first 2 shown]
	v_cmp_le_i32_e32 vcc, v4, v2
	s_and_saveexec_b64 s[0:1], vcc
	s_cbranch_execnz .LBB1817_4
	s_branch .LBB1817_5
	.section	.rodata,"a",@progbits
	.p2align	6, 0x0
	.amdhsa_kernel _ZL41rocblas_syrkx_herkx_small_restrict_kernelIl19rocblas_complex_numIdELi16ELb0ELb1ELc78ELc76EKPKS1_KPS1_EviT_T0_PT6_S7_lSA_S7_lS8_PT7_S7_li
		.amdhsa_group_segment_fixed_size 8192
		.amdhsa_private_segment_fixed_size 0
		.amdhsa_kernarg_size 124
		.amdhsa_user_sgpr_count 6
		.amdhsa_user_sgpr_private_segment_buffer 1
		.amdhsa_user_sgpr_dispatch_ptr 0
		.amdhsa_user_sgpr_queue_ptr 0
		.amdhsa_user_sgpr_kernarg_segment_ptr 1
		.amdhsa_user_sgpr_dispatch_id 0
		.amdhsa_user_sgpr_flat_scratch_init 0
		.amdhsa_user_sgpr_private_segment_size 0
		.amdhsa_uses_dynamic_stack 0
		.amdhsa_system_sgpr_private_segment_wavefront_offset 0
		.amdhsa_system_sgpr_workgroup_id_x 1
		.amdhsa_system_sgpr_workgroup_id_y 1
		.amdhsa_system_sgpr_workgroup_id_z 1
		.amdhsa_system_sgpr_workgroup_info 0
		.amdhsa_system_vgpr_workitem_id 1
		.amdhsa_next_free_vgpr 42
		.amdhsa_next_free_sgpr 61
		.amdhsa_reserve_vcc 1
		.amdhsa_reserve_flat_scratch 0
		.amdhsa_float_round_mode_32 0
		.amdhsa_float_round_mode_16_64 0
		.amdhsa_float_denorm_mode_32 3
		.amdhsa_float_denorm_mode_16_64 3
		.amdhsa_dx10_clamp 1
		.amdhsa_ieee_mode 1
		.amdhsa_fp16_overflow 0
		.amdhsa_exception_fp_ieee_invalid_op 0
		.amdhsa_exception_fp_denorm_src 0
		.amdhsa_exception_fp_ieee_div_zero 0
		.amdhsa_exception_fp_ieee_overflow 0
		.amdhsa_exception_fp_ieee_underflow 0
		.amdhsa_exception_fp_ieee_inexact 0
		.amdhsa_exception_int_div_zero 0
	.end_amdhsa_kernel
	.section	.text._ZL41rocblas_syrkx_herkx_small_restrict_kernelIl19rocblas_complex_numIdELi16ELb0ELb1ELc78ELc76EKPKS1_KPS1_EviT_T0_PT6_S7_lSA_S7_lS8_PT7_S7_li,"axG",@progbits,_ZL41rocblas_syrkx_herkx_small_restrict_kernelIl19rocblas_complex_numIdELi16ELb0ELb1ELc78ELc76EKPKS1_KPS1_EviT_T0_PT6_S7_lSA_S7_lS8_PT7_S7_li,comdat
.Lfunc_end1817:
	.size	_ZL41rocblas_syrkx_herkx_small_restrict_kernelIl19rocblas_complex_numIdELi16ELb0ELb1ELc78ELc76EKPKS1_KPS1_EviT_T0_PT6_S7_lSA_S7_lS8_PT7_S7_li, .Lfunc_end1817-_ZL41rocblas_syrkx_herkx_small_restrict_kernelIl19rocblas_complex_numIdELi16ELb0ELb1ELc78ELc76EKPKS1_KPS1_EviT_T0_PT6_S7_lSA_S7_lS8_PT7_S7_li
                                        ; -- End function
	.set _ZL41rocblas_syrkx_herkx_small_restrict_kernelIl19rocblas_complex_numIdELi16ELb0ELb1ELc78ELc76EKPKS1_KPS1_EviT_T0_PT6_S7_lSA_S7_lS8_PT7_S7_li.num_vgpr, 42
	.set _ZL41rocblas_syrkx_herkx_small_restrict_kernelIl19rocblas_complex_numIdELi16ELb0ELb1ELc78ELc76EKPKS1_KPS1_EviT_T0_PT6_S7_lSA_S7_lS8_PT7_S7_li.num_agpr, 0
	.set _ZL41rocblas_syrkx_herkx_small_restrict_kernelIl19rocblas_complex_numIdELi16ELb0ELb1ELc78ELc76EKPKS1_KPS1_EviT_T0_PT6_S7_lSA_S7_lS8_PT7_S7_li.numbered_sgpr, 30
	.set _ZL41rocblas_syrkx_herkx_small_restrict_kernelIl19rocblas_complex_numIdELi16ELb0ELb1ELc78ELc76EKPKS1_KPS1_EviT_T0_PT6_S7_lSA_S7_lS8_PT7_S7_li.num_named_barrier, 0
	.set _ZL41rocblas_syrkx_herkx_small_restrict_kernelIl19rocblas_complex_numIdELi16ELb0ELb1ELc78ELc76EKPKS1_KPS1_EviT_T0_PT6_S7_lSA_S7_lS8_PT7_S7_li.private_seg_size, 0
	.set _ZL41rocblas_syrkx_herkx_small_restrict_kernelIl19rocblas_complex_numIdELi16ELb0ELb1ELc78ELc76EKPKS1_KPS1_EviT_T0_PT6_S7_lSA_S7_lS8_PT7_S7_li.uses_vcc, 1
	.set _ZL41rocblas_syrkx_herkx_small_restrict_kernelIl19rocblas_complex_numIdELi16ELb0ELb1ELc78ELc76EKPKS1_KPS1_EviT_T0_PT6_S7_lSA_S7_lS8_PT7_S7_li.uses_flat_scratch, 0
	.set _ZL41rocblas_syrkx_herkx_small_restrict_kernelIl19rocblas_complex_numIdELi16ELb0ELb1ELc78ELc76EKPKS1_KPS1_EviT_T0_PT6_S7_lSA_S7_lS8_PT7_S7_li.has_dyn_sized_stack, 0
	.set _ZL41rocblas_syrkx_herkx_small_restrict_kernelIl19rocblas_complex_numIdELi16ELb0ELb1ELc78ELc76EKPKS1_KPS1_EviT_T0_PT6_S7_lSA_S7_lS8_PT7_S7_li.has_recursion, 0
	.set _ZL41rocblas_syrkx_herkx_small_restrict_kernelIl19rocblas_complex_numIdELi16ELb0ELb1ELc78ELc76EKPKS1_KPS1_EviT_T0_PT6_S7_lSA_S7_lS8_PT7_S7_li.has_indirect_call, 0
	.section	.AMDGPU.csdata,"",@progbits
; Kernel info:
; codeLenInByte = 1736
; TotalNumSgprs: 34
; NumVgprs: 42
; ScratchSize: 0
; MemoryBound: 0
; FloatMode: 240
; IeeeMode: 1
; LDSByteSize: 8192 bytes/workgroup (compile time only)
; SGPRBlocks: 8
; VGPRBlocks: 10
; NumSGPRsForWavesPerEU: 65
; NumVGPRsForWavesPerEU: 42
; Occupancy: 5
; WaveLimiterHint : 1
; COMPUTE_PGM_RSRC2:SCRATCH_EN: 0
; COMPUTE_PGM_RSRC2:USER_SGPR: 6
; COMPUTE_PGM_RSRC2:TRAP_HANDLER: 0
; COMPUTE_PGM_RSRC2:TGID_X_EN: 1
; COMPUTE_PGM_RSRC2:TGID_Y_EN: 1
; COMPUTE_PGM_RSRC2:TGID_Z_EN: 1
; COMPUTE_PGM_RSRC2:TIDIG_COMP_CNT: 1
	.section	.text._ZL41rocblas_syrkx_herkx_small_restrict_kernelIl19rocblas_complex_numIdELi16ELb0ELb1ELc84ELc85EKPKS1_KPS1_EviT_T0_PT6_S7_lSA_S7_lS8_PT7_S7_li,"axG",@progbits,_ZL41rocblas_syrkx_herkx_small_restrict_kernelIl19rocblas_complex_numIdELi16ELb0ELb1ELc84ELc85EKPKS1_KPS1_EviT_T0_PT6_S7_lSA_S7_lS8_PT7_S7_li,comdat
	.globl	_ZL41rocblas_syrkx_herkx_small_restrict_kernelIl19rocblas_complex_numIdELi16ELb0ELb1ELc84ELc85EKPKS1_KPS1_EviT_T0_PT6_S7_lSA_S7_lS8_PT7_S7_li ; -- Begin function _ZL41rocblas_syrkx_herkx_small_restrict_kernelIl19rocblas_complex_numIdELi16ELb0ELb1ELc84ELc85EKPKS1_KPS1_EviT_T0_PT6_S7_lSA_S7_lS8_PT7_S7_li
	.p2align	8
	.type	_ZL41rocblas_syrkx_herkx_small_restrict_kernelIl19rocblas_complex_numIdELi16ELb0ELb1ELc84ELc85EKPKS1_KPS1_EviT_T0_PT6_S7_lSA_S7_lS8_PT7_S7_li,@function
_ZL41rocblas_syrkx_herkx_small_restrict_kernelIl19rocblas_complex_numIdELi16ELb0ELb1ELc84ELc85EKPKS1_KPS1_EviT_T0_PT6_S7_lSA_S7_lS8_PT7_S7_li: ; @_ZL41rocblas_syrkx_herkx_small_restrict_kernelIl19rocblas_complex_numIdELi16ELb0ELb1ELc84ELc85EKPKS1_KPS1_EviT_T0_PT6_S7_lSA_S7_lS8_PT7_S7_li
; %bb.0:
	s_load_dwordx8 s[12:19], s[4:5], 0x50
	s_load_dwordx8 s[20:27], s[4:5], 0x8
	s_load_dwordx2 s[2:3], s[4:5], 0x28
	s_mov_b32 s9, 0
	s_lshl_b64 s[8:9], s[8:9], 3
	s_waitcnt lgkmcnt(0)
	s_add_u32 s0, s16, s8
	s_addc_u32 s1, s17, s9
	s_load_dwordx2 s[0:1], s[0:1], 0x0
	v_cmp_lt_i64_e64 s[10:11], s[20:21], 1
	v_lshl_add_u32 v2, s6, 4, v0
	v_lshl_add_u32 v12, s7, 4, v1
	s_and_b64 vcc, exec, s[10:11]
	v_ashrrev_i32_e32 v3, 31, v2
	v_ashrrev_i32_e32 v13, 31, v12
	s_cbranch_vccnz .LBB1818_6
; %bb.1:
	s_load_dwordx4 s[28:31], s[4:5], 0x38
	v_mul_lo_u32 v6, s3, v2
	v_mul_lo_u32 v7, s2, v3
	v_mad_u64_u32 v[4:5], s[2:3], s2, v2, 0
	s_waitcnt lgkmcnt(0)
	s_add_u32 s2, s28, s8
	s_addc_u32 s3, s29, s9
	s_add_u32 s4, s26, s8
	s_addc_u32 s5, s27, s9
	s_load_dwordx2 s[4:5], s[4:5], 0x0
	v_lshlrev_b32_e32 v8, 4, v1
	v_add3_u32 v5, v5, v7, v6
	v_lshlrev_b64 v[4:5], 4, v[4:5]
	s_load_dwordx2 s[2:3], s[2:3], 0x0
	s_waitcnt lgkmcnt(0)
	v_mov_b32_e32 v6, s5
	v_add_co_u32_e32 v7, vcc, s4, v8
	v_addc_co_u32_e32 v6, vcc, 0, v6, vcc
	v_add_co_u32_e32 v4, vcc, v7, v4
	v_addc_co_u32_e32 v5, vcc, v6, v5, vcc
	v_mul_lo_u32 v8, s31, v12
	v_mul_lo_u32 v9, s30, v13
	v_mad_u64_u32 v[6:7], s[4:5], s30, v12, 0
	v_lshlrev_b32_e32 v14, 4, v0
	v_mov_b32_e32 v0, s3
	v_add3_u32 v7, v7, v9, v8
	v_add_co_u32_e32 v8, vcc, s2, v14
	v_lshlrev_b32_e32 v10, 8, v1
	v_addc_co_u32_e32 v9, vcc, 0, v0, vcc
	v_lshlrev_b64 v[0:1], 4, v[6:7]
	v_add_u32_e32 v15, v14, v10
	v_add_co_u32_e32 v0, vcc, v8, v0
	v_addc_co_u32_e32 v1, vcc, v9, v1, vcc
	v_add_u32_e32 v16, 0x1000, v10
	v_mov_b32_e32 v8, 0
	v_mov_b32_e32 v10, 0
	;; [unrolled: 1-line block ×3, first 2 shown]
	v_add_u32_e32 v17, v16, v14
	v_mov_b32_e32 v9, 0
	s_mov_b64 s[2:3], 0
	v_mov_b32_e32 v11, 0
	v_mov_b32_e32 v7, s21
.LBB1818_2:                             ; =>This Inner Loop Header: Depth=1
	flat_load_dwordx4 v[18:21], v[4:5]
	s_add_u32 s2, s2, 16
	s_addc_u32 s3, s3, 0
	s_waitcnt vmcnt(0) lgkmcnt(0)
	ds_write2_b64 v15, v[18:19], v[20:21] offset1:1
	flat_load_dwordx4 v[18:21], v[0:1]
	v_add_co_u32_e32 v0, vcc, 0x100, v0
	v_addc_co_u32_e32 v1, vcc, 0, v1, vcc
	v_add_co_u32_e32 v4, vcc, 0x100, v4
	v_addc_co_u32_e32 v5, vcc, 0, v5, vcc
	v_cmp_lt_i64_e32 vcc, s[2:3], v[6:7]
	s_and_b64 vcc, exec, vcc
	s_waitcnt vmcnt(0) lgkmcnt(0)
	ds_write2_b64 v17, v[18:19], v[20:21] offset1:1
	s_waitcnt lgkmcnt(0)
	s_barrier
	ds_read_b128 v[18:21], v16
	ds_read_b128 v[22:25], v16 offset:16
	ds_read_b128 v[26:29], v16 offset:32
	;; [unrolled: 1-line block ×3, first 2 shown]
	ds_read_b128 v[34:37], v14
	s_waitcnt lgkmcnt(0)
	v_mul_f64 v[38:39], v[20:21], v[36:37]
	v_fma_f64 v[38:39], v[18:19], v[34:35], -v[38:39]
	v_mul_f64 v[18:19], v[18:19], v[36:37]
	v_fma_f64 v[18:19], v[20:21], v[34:35], v[18:19]
	v_add_f64 v[20:21], v[10:11], v[38:39]
	v_add_f64 v[18:19], v[8:9], v[18:19]
	ds_read_b128 v[8:11], v14 offset:256
	s_waitcnt lgkmcnt(0)
	v_mul_f64 v[34:35], v[24:25], v[10:11]
	v_mul_f64 v[10:11], v[22:23], v[10:11]
	v_fma_f64 v[34:35], v[22:23], v[8:9], -v[34:35]
	v_fma_f64 v[8:9], v[24:25], v[8:9], v[10:11]
	v_add_f64 v[20:21], v[20:21], v[34:35]
	v_add_f64 v[18:19], v[18:19], v[8:9]
	ds_read_b128 v[8:11], v14 offset:512
	s_waitcnt lgkmcnt(0)
	v_mul_f64 v[22:23], v[28:29], v[10:11]
	v_mul_f64 v[10:11], v[26:27], v[10:11]
	v_fma_f64 v[22:23], v[26:27], v[8:9], -v[22:23]
	;; [unrolled: 8-line block ×3, first 2 shown]
	v_fma_f64 v[8:9], v[32:33], v[8:9], v[10:11]
	v_add_f64 v[22:23], v[20:21], v[22:23]
	v_add_f64 v[24:25], v[18:19], v[8:9]
	ds_read_b128 v[8:11], v16 offset:64
	ds_read_b128 v[18:21], v14 offset:1024
	s_waitcnt lgkmcnt(0)
	v_mul_f64 v[26:27], v[10:11], v[20:21]
	v_fma_f64 v[26:27], v[8:9], v[18:19], -v[26:27]
	v_mul_f64 v[8:9], v[8:9], v[20:21]
	v_add_f64 v[22:23], v[22:23], v[26:27]
	v_fma_f64 v[8:9], v[10:11], v[18:19], v[8:9]
	v_add_f64 v[24:25], v[24:25], v[8:9]
	ds_read_b128 v[8:11], v16 offset:80
	ds_read_b128 v[18:21], v14 offset:1280
	s_waitcnt lgkmcnt(0)
	v_mul_f64 v[26:27], v[10:11], v[20:21]
	v_fma_f64 v[26:27], v[8:9], v[18:19], -v[26:27]
	v_mul_f64 v[8:9], v[8:9], v[20:21]
	v_add_f64 v[22:23], v[22:23], v[26:27]
	v_fma_f64 v[8:9], v[10:11], v[18:19], v[8:9]
	;; [unrolled: 9-line block ×11, first 2 shown]
	v_add_f64 v[24:25], v[24:25], v[8:9]
	ds_read_b128 v[8:11], v16 offset:240
	ds_read_b128 v[18:21], v14 offset:3840
	s_waitcnt lgkmcnt(0)
	s_barrier
	v_mul_f64 v[26:27], v[10:11], v[20:21]
	v_fma_f64 v[26:27], v[8:9], v[18:19], -v[26:27]
	v_mul_f64 v[8:9], v[8:9], v[20:21]
	v_fma_f64 v[8:9], v[10:11], v[18:19], v[8:9]
	v_add_f64 v[10:11], v[22:23], v[26:27]
	v_add_f64 v[8:9], v[24:25], v[8:9]
	s_cbranch_vccnz .LBB1818_2
; %bb.3:
	v_cmp_le_i32_e32 vcc, v2, v12
	s_and_saveexec_b64 s[2:3], vcc
	s_cbranch_execz .LBB1818_5
.LBB1818_4:
	v_mul_lo_u32 v4, s19, v12
	v_mul_lo_u32 v5, s18, v13
	v_mad_u64_u32 v[0:1], s[2:3], s18, v12, 0
	v_add3_u32 v1, v1, v5, v4
	v_lshlrev_b64 v[0:1], 4, v[0:1]
	s_waitcnt lgkmcnt(0)
	v_mov_b32_e32 v4, s1
	v_add_co_u32_e32 v5, vcc, s0, v0
	v_addc_co_u32_e32 v4, vcc, v4, v1, vcc
	v_lshlrev_b64 v[0:1], 4, v[2:3]
	v_add_co_u32_e32 v13, vcc, v5, v0
	v_addc_co_u32_e32 v14, vcc, v4, v1, vcc
	flat_load_dwordx4 v[3:6], v[13:14]
	v_mul_f64 v[0:1], s[22:23], v[8:9]
	v_mul_f64 v[7:8], s[24:25], v[8:9]
	v_cmp_ne_u32_e32 vcc, v2, v12
	v_fma_f64 v[0:1], s[24:25], v[10:11], v[0:1]
	v_fma_f64 v[7:8], s[22:23], v[10:11], -v[7:8]
	s_waitcnt vmcnt(0) lgkmcnt(0)
	v_mul_f64 v[15:16], s[12:13], v[5:6]
	v_mul_f64 v[5:6], s[14:15], v[5:6]
	v_fma_f64 v[15:16], s[14:15], v[3:4], v[15:16]
	v_fma_f64 v[3:4], s[12:13], v[3:4], -v[5:6]
	v_add_f64 v[5:6], v[0:1], v[15:16]
	v_add_f64 v[0:1], v[7:8], v[3:4]
	v_cndmask_b32_e32 v3, 0, v6, vcc
	v_cndmask_b32_e32 v2, 0, v5, vcc
	flat_store_dwordx4 v[13:14], v[0:3]
.LBB1818_5:
	s_endpgm
.LBB1818_6:
	v_mov_b32_e32 v8, 0
	v_mov_b32_e32 v10, 0
	;; [unrolled: 1-line block ×4, first 2 shown]
	v_cmp_le_i32_e32 vcc, v2, v12
	s_and_saveexec_b64 s[2:3], vcc
	s_cbranch_execnz .LBB1818_4
	s_branch .LBB1818_5
	.section	.rodata,"a",@progbits
	.p2align	6, 0x0
	.amdhsa_kernel _ZL41rocblas_syrkx_herkx_small_restrict_kernelIl19rocblas_complex_numIdELi16ELb0ELb1ELc84ELc85EKPKS1_KPS1_EviT_T0_PT6_S7_lSA_S7_lS8_PT7_S7_li
		.amdhsa_group_segment_fixed_size 8192
		.amdhsa_private_segment_fixed_size 0
		.amdhsa_kernarg_size 124
		.amdhsa_user_sgpr_count 6
		.amdhsa_user_sgpr_private_segment_buffer 1
		.amdhsa_user_sgpr_dispatch_ptr 0
		.amdhsa_user_sgpr_queue_ptr 0
		.amdhsa_user_sgpr_kernarg_segment_ptr 1
		.amdhsa_user_sgpr_dispatch_id 0
		.amdhsa_user_sgpr_flat_scratch_init 0
		.amdhsa_user_sgpr_private_segment_size 0
		.amdhsa_uses_dynamic_stack 0
		.amdhsa_system_sgpr_private_segment_wavefront_offset 0
		.amdhsa_system_sgpr_workgroup_id_x 1
		.amdhsa_system_sgpr_workgroup_id_y 1
		.amdhsa_system_sgpr_workgroup_id_z 1
		.amdhsa_system_sgpr_workgroup_info 0
		.amdhsa_system_vgpr_workitem_id 1
		.amdhsa_next_free_vgpr 40
		.amdhsa_next_free_sgpr 61
		.amdhsa_reserve_vcc 1
		.amdhsa_reserve_flat_scratch 0
		.amdhsa_float_round_mode_32 0
		.amdhsa_float_round_mode_16_64 0
		.amdhsa_float_denorm_mode_32 3
		.amdhsa_float_denorm_mode_16_64 3
		.amdhsa_dx10_clamp 1
		.amdhsa_ieee_mode 1
		.amdhsa_fp16_overflow 0
		.amdhsa_exception_fp_ieee_invalid_op 0
		.amdhsa_exception_fp_denorm_src 0
		.amdhsa_exception_fp_ieee_div_zero 0
		.amdhsa_exception_fp_ieee_overflow 0
		.amdhsa_exception_fp_ieee_underflow 0
		.amdhsa_exception_fp_ieee_inexact 0
		.amdhsa_exception_int_div_zero 0
	.end_amdhsa_kernel
	.section	.text._ZL41rocblas_syrkx_herkx_small_restrict_kernelIl19rocblas_complex_numIdELi16ELb0ELb1ELc84ELc85EKPKS1_KPS1_EviT_T0_PT6_S7_lSA_S7_lS8_PT7_S7_li,"axG",@progbits,_ZL41rocblas_syrkx_herkx_small_restrict_kernelIl19rocblas_complex_numIdELi16ELb0ELb1ELc84ELc85EKPKS1_KPS1_EviT_T0_PT6_S7_lSA_S7_lS8_PT7_S7_li,comdat
.Lfunc_end1818:
	.size	_ZL41rocblas_syrkx_herkx_small_restrict_kernelIl19rocblas_complex_numIdELi16ELb0ELb1ELc84ELc85EKPKS1_KPS1_EviT_T0_PT6_S7_lSA_S7_lS8_PT7_S7_li, .Lfunc_end1818-_ZL41rocblas_syrkx_herkx_small_restrict_kernelIl19rocblas_complex_numIdELi16ELb0ELb1ELc84ELc85EKPKS1_KPS1_EviT_T0_PT6_S7_lSA_S7_lS8_PT7_S7_li
                                        ; -- End function
	.set _ZL41rocblas_syrkx_herkx_small_restrict_kernelIl19rocblas_complex_numIdELi16ELb0ELb1ELc84ELc85EKPKS1_KPS1_EviT_T0_PT6_S7_lSA_S7_lS8_PT7_S7_li.num_vgpr, 40
	.set _ZL41rocblas_syrkx_herkx_small_restrict_kernelIl19rocblas_complex_numIdELi16ELb0ELb1ELc84ELc85EKPKS1_KPS1_EviT_T0_PT6_S7_lSA_S7_lS8_PT7_S7_li.num_agpr, 0
	.set _ZL41rocblas_syrkx_herkx_small_restrict_kernelIl19rocblas_complex_numIdELi16ELb0ELb1ELc84ELc85EKPKS1_KPS1_EviT_T0_PT6_S7_lSA_S7_lS8_PT7_S7_li.numbered_sgpr, 32
	.set _ZL41rocblas_syrkx_herkx_small_restrict_kernelIl19rocblas_complex_numIdELi16ELb0ELb1ELc84ELc85EKPKS1_KPS1_EviT_T0_PT6_S7_lSA_S7_lS8_PT7_S7_li.num_named_barrier, 0
	.set _ZL41rocblas_syrkx_herkx_small_restrict_kernelIl19rocblas_complex_numIdELi16ELb0ELb1ELc84ELc85EKPKS1_KPS1_EviT_T0_PT6_S7_lSA_S7_lS8_PT7_S7_li.private_seg_size, 0
	.set _ZL41rocblas_syrkx_herkx_small_restrict_kernelIl19rocblas_complex_numIdELi16ELb0ELb1ELc84ELc85EKPKS1_KPS1_EviT_T0_PT6_S7_lSA_S7_lS8_PT7_S7_li.uses_vcc, 1
	.set _ZL41rocblas_syrkx_herkx_small_restrict_kernelIl19rocblas_complex_numIdELi16ELb0ELb1ELc84ELc85EKPKS1_KPS1_EviT_T0_PT6_S7_lSA_S7_lS8_PT7_S7_li.uses_flat_scratch, 0
	.set _ZL41rocblas_syrkx_herkx_small_restrict_kernelIl19rocblas_complex_numIdELi16ELb0ELb1ELc84ELc85EKPKS1_KPS1_EviT_T0_PT6_S7_lSA_S7_lS8_PT7_S7_li.has_dyn_sized_stack, 0
	.set _ZL41rocblas_syrkx_herkx_small_restrict_kernelIl19rocblas_complex_numIdELi16ELb0ELb1ELc84ELc85EKPKS1_KPS1_EviT_T0_PT6_S7_lSA_S7_lS8_PT7_S7_li.has_recursion, 0
	.set _ZL41rocblas_syrkx_herkx_small_restrict_kernelIl19rocblas_complex_numIdELi16ELb0ELb1ELc84ELc85EKPKS1_KPS1_EviT_T0_PT6_S7_lSA_S7_lS8_PT7_S7_li.has_indirect_call, 0
	.section	.AMDGPU.csdata,"",@progbits
; Kernel info:
; codeLenInByte = 1732
; TotalNumSgprs: 36
; NumVgprs: 40
; ScratchSize: 0
; MemoryBound: 0
; FloatMode: 240
; IeeeMode: 1
; LDSByteSize: 8192 bytes/workgroup (compile time only)
; SGPRBlocks: 8
; VGPRBlocks: 9
; NumSGPRsForWavesPerEU: 65
; NumVGPRsForWavesPerEU: 40
; Occupancy: 6
; WaveLimiterHint : 1
; COMPUTE_PGM_RSRC2:SCRATCH_EN: 0
; COMPUTE_PGM_RSRC2:USER_SGPR: 6
; COMPUTE_PGM_RSRC2:TRAP_HANDLER: 0
; COMPUTE_PGM_RSRC2:TGID_X_EN: 1
; COMPUTE_PGM_RSRC2:TGID_Y_EN: 1
; COMPUTE_PGM_RSRC2:TGID_Z_EN: 1
; COMPUTE_PGM_RSRC2:TIDIG_COMP_CNT: 1
	.section	.text._ZL41rocblas_syrkx_herkx_small_restrict_kernelIl19rocblas_complex_numIdELi16ELb0ELb1ELc67ELc85EKPKS1_KPS1_EviT_T0_PT6_S7_lSA_S7_lS8_PT7_S7_li,"axG",@progbits,_ZL41rocblas_syrkx_herkx_small_restrict_kernelIl19rocblas_complex_numIdELi16ELb0ELb1ELc67ELc85EKPKS1_KPS1_EviT_T0_PT6_S7_lSA_S7_lS8_PT7_S7_li,comdat
	.globl	_ZL41rocblas_syrkx_herkx_small_restrict_kernelIl19rocblas_complex_numIdELi16ELb0ELb1ELc67ELc85EKPKS1_KPS1_EviT_T0_PT6_S7_lSA_S7_lS8_PT7_S7_li ; -- Begin function _ZL41rocblas_syrkx_herkx_small_restrict_kernelIl19rocblas_complex_numIdELi16ELb0ELb1ELc67ELc85EKPKS1_KPS1_EviT_T0_PT6_S7_lSA_S7_lS8_PT7_S7_li
	.p2align	8
	.type	_ZL41rocblas_syrkx_herkx_small_restrict_kernelIl19rocblas_complex_numIdELi16ELb0ELb1ELc67ELc85EKPKS1_KPS1_EviT_T0_PT6_S7_lSA_S7_lS8_PT7_S7_li,@function
_ZL41rocblas_syrkx_herkx_small_restrict_kernelIl19rocblas_complex_numIdELi16ELb0ELb1ELc67ELc85EKPKS1_KPS1_EviT_T0_PT6_S7_lSA_S7_lS8_PT7_S7_li: ; @_ZL41rocblas_syrkx_herkx_small_restrict_kernelIl19rocblas_complex_numIdELi16ELb0ELb1ELc67ELc85EKPKS1_KPS1_EviT_T0_PT6_S7_lSA_S7_lS8_PT7_S7_li
; %bb.0:
	s_load_dwordx8 s[12:19], s[4:5], 0x50
	s_load_dwordx8 s[20:27], s[4:5], 0x8
	s_load_dwordx2 s[2:3], s[4:5], 0x28
	s_mov_b32 s9, 0
	s_lshl_b64 s[8:9], s[8:9], 3
	s_waitcnt lgkmcnt(0)
	s_add_u32 s0, s16, s8
	s_addc_u32 s1, s17, s9
	s_load_dwordx2 s[0:1], s[0:1], 0x0
	v_cmp_lt_i64_e64 s[10:11], s[20:21], 1
	v_lshl_add_u32 v2, s6, 4, v0
	v_lshl_add_u32 v12, s7, 4, v1
	s_and_b64 vcc, exec, s[10:11]
	v_ashrrev_i32_e32 v3, 31, v2
	v_ashrrev_i32_e32 v13, 31, v12
	s_cbranch_vccnz .LBB1819_6
; %bb.1:
	s_load_dwordx4 s[28:31], s[4:5], 0x38
	v_mul_lo_u32 v6, s3, v2
	v_mul_lo_u32 v7, s2, v3
	v_mad_u64_u32 v[4:5], s[2:3], s2, v2, 0
	s_waitcnt lgkmcnt(0)
	s_add_u32 s2, s28, s8
	s_addc_u32 s3, s29, s9
	s_add_u32 s4, s26, s8
	s_addc_u32 s5, s27, s9
	s_load_dwordx2 s[4:5], s[4:5], 0x0
	v_lshlrev_b32_e32 v8, 4, v1
	v_add3_u32 v5, v5, v7, v6
	v_lshlrev_b64 v[4:5], 4, v[4:5]
	s_load_dwordx2 s[2:3], s[2:3], 0x0
	s_waitcnt lgkmcnt(0)
	v_mov_b32_e32 v6, s5
	v_add_co_u32_e32 v7, vcc, s4, v8
	v_addc_co_u32_e32 v6, vcc, 0, v6, vcc
	v_add_co_u32_e32 v4, vcc, v7, v4
	v_addc_co_u32_e32 v5, vcc, v6, v5, vcc
	v_mul_lo_u32 v8, s31, v12
	v_mul_lo_u32 v9, s30, v13
	v_mad_u64_u32 v[6:7], s[4:5], s30, v12, 0
	v_lshlrev_b32_e32 v14, 4, v0
	v_mov_b32_e32 v0, s3
	v_add3_u32 v7, v7, v9, v8
	v_add_co_u32_e32 v8, vcc, s2, v14
	v_lshlrev_b32_e32 v10, 8, v1
	v_addc_co_u32_e32 v9, vcc, 0, v0, vcc
	v_lshlrev_b64 v[0:1], 4, v[6:7]
	v_add_u32_e32 v15, v14, v10
	v_add_co_u32_e32 v0, vcc, v8, v0
	v_addc_co_u32_e32 v1, vcc, v9, v1, vcc
	v_add_u32_e32 v16, 0x1000, v10
	v_mov_b32_e32 v8, 0
	v_mov_b32_e32 v10, 0
	;; [unrolled: 1-line block ×3, first 2 shown]
	v_add_u32_e32 v17, v16, v14
	v_mov_b32_e32 v9, 0
	s_mov_b64 s[2:3], 0
	v_mov_b32_e32 v11, 0
	v_mov_b32_e32 v7, s21
.LBB1819_2:                             ; =>This Inner Loop Header: Depth=1
	flat_load_dwordx4 v[18:21], v[4:5]
	s_add_u32 s2, s2, 16
	s_addc_u32 s3, s3, 0
	s_waitcnt vmcnt(0) lgkmcnt(0)
	v_xor_b32_e32 v21, 0x80000000, v21
	ds_write_b128 v15, v[18:21]
	flat_load_dwordx4 v[18:21], v[0:1]
	v_add_co_u32_e32 v0, vcc, 0x100, v0
	v_addc_co_u32_e32 v1, vcc, 0, v1, vcc
	v_add_co_u32_e32 v4, vcc, 0x100, v4
	v_addc_co_u32_e32 v5, vcc, 0, v5, vcc
	v_cmp_lt_i64_e32 vcc, s[2:3], v[6:7]
	s_and_b64 vcc, exec, vcc
	s_waitcnt vmcnt(0) lgkmcnt(0)
	ds_write2_b64 v17, v[18:19], v[20:21] offset1:1
	s_waitcnt lgkmcnt(0)
	s_barrier
	ds_read_b128 v[18:21], v16
	ds_read_b128 v[22:25], v16 offset:16
	ds_read_b128 v[26:29], v16 offset:32
	;; [unrolled: 1-line block ×3, first 2 shown]
	ds_read_b128 v[34:37], v14
	s_waitcnt lgkmcnt(0)
	v_mul_f64 v[38:39], v[20:21], v[36:37]
	v_fma_f64 v[38:39], v[18:19], v[34:35], -v[38:39]
	v_mul_f64 v[18:19], v[18:19], v[36:37]
	v_fma_f64 v[18:19], v[20:21], v[34:35], v[18:19]
	v_add_f64 v[20:21], v[10:11], v[38:39]
	v_add_f64 v[18:19], v[8:9], v[18:19]
	ds_read_b128 v[8:11], v14 offset:256
	s_waitcnt lgkmcnt(0)
	v_mul_f64 v[34:35], v[24:25], v[10:11]
	v_mul_f64 v[10:11], v[22:23], v[10:11]
	v_fma_f64 v[34:35], v[22:23], v[8:9], -v[34:35]
	v_fma_f64 v[8:9], v[24:25], v[8:9], v[10:11]
	v_add_f64 v[20:21], v[20:21], v[34:35]
	v_add_f64 v[18:19], v[18:19], v[8:9]
	ds_read_b128 v[8:11], v14 offset:512
	s_waitcnt lgkmcnt(0)
	v_mul_f64 v[22:23], v[28:29], v[10:11]
	v_mul_f64 v[10:11], v[26:27], v[10:11]
	v_fma_f64 v[22:23], v[26:27], v[8:9], -v[22:23]
	;; [unrolled: 8-line block ×3, first 2 shown]
	v_fma_f64 v[8:9], v[32:33], v[8:9], v[10:11]
	v_add_f64 v[22:23], v[20:21], v[22:23]
	v_add_f64 v[24:25], v[18:19], v[8:9]
	ds_read_b128 v[8:11], v16 offset:64
	ds_read_b128 v[18:21], v14 offset:1024
	s_waitcnt lgkmcnt(0)
	v_mul_f64 v[26:27], v[10:11], v[20:21]
	v_fma_f64 v[26:27], v[8:9], v[18:19], -v[26:27]
	v_mul_f64 v[8:9], v[8:9], v[20:21]
	v_add_f64 v[22:23], v[22:23], v[26:27]
	v_fma_f64 v[8:9], v[10:11], v[18:19], v[8:9]
	v_add_f64 v[24:25], v[24:25], v[8:9]
	ds_read_b128 v[8:11], v16 offset:80
	ds_read_b128 v[18:21], v14 offset:1280
	s_waitcnt lgkmcnt(0)
	v_mul_f64 v[26:27], v[10:11], v[20:21]
	v_fma_f64 v[26:27], v[8:9], v[18:19], -v[26:27]
	v_mul_f64 v[8:9], v[8:9], v[20:21]
	v_add_f64 v[22:23], v[22:23], v[26:27]
	v_fma_f64 v[8:9], v[10:11], v[18:19], v[8:9]
	v_add_f64 v[24:25], v[24:25], v[8:9]
	ds_read_b128 v[8:11], v16 offset:96
	ds_read_b128 v[18:21], v14 offset:1536
	s_waitcnt lgkmcnt(0)
	v_mul_f64 v[26:27], v[10:11], v[20:21]
	v_fma_f64 v[26:27], v[8:9], v[18:19], -v[26:27]
	v_mul_f64 v[8:9], v[8:9], v[20:21]
	v_add_f64 v[22:23], v[22:23], v[26:27]
	v_fma_f64 v[8:9], v[10:11], v[18:19], v[8:9]
	v_add_f64 v[24:25], v[24:25], v[8:9]
	ds_read_b128 v[8:11], v16 offset:112
	ds_read_b128 v[18:21], v14 offset:1792
	s_waitcnt lgkmcnt(0)
	v_mul_f64 v[26:27], v[10:11], v[20:21]
	v_fma_f64 v[26:27], v[8:9], v[18:19], -v[26:27]
	v_mul_f64 v[8:9], v[8:9], v[20:21]
	v_add_f64 v[22:23], v[22:23], v[26:27]
	v_fma_f64 v[8:9], v[10:11], v[18:19], v[8:9]
	v_add_f64 v[24:25], v[24:25], v[8:9]
	ds_read_b128 v[8:11], v16 offset:128
	ds_read_b128 v[18:21], v14 offset:2048
	s_waitcnt lgkmcnt(0)
	v_mul_f64 v[26:27], v[10:11], v[20:21]
	v_fma_f64 v[26:27], v[8:9], v[18:19], -v[26:27]
	v_mul_f64 v[8:9], v[8:9], v[20:21]
	v_add_f64 v[22:23], v[22:23], v[26:27]
	v_fma_f64 v[8:9], v[10:11], v[18:19], v[8:9]
	v_add_f64 v[24:25], v[24:25], v[8:9]
	ds_read_b128 v[8:11], v16 offset:144
	ds_read_b128 v[18:21], v14 offset:2304
	s_waitcnt lgkmcnt(0)
	v_mul_f64 v[26:27], v[10:11], v[20:21]
	v_fma_f64 v[26:27], v[8:9], v[18:19], -v[26:27]
	v_mul_f64 v[8:9], v[8:9], v[20:21]
	v_add_f64 v[22:23], v[22:23], v[26:27]
	v_fma_f64 v[8:9], v[10:11], v[18:19], v[8:9]
	v_add_f64 v[24:25], v[24:25], v[8:9]
	ds_read_b128 v[8:11], v16 offset:160
	ds_read_b128 v[18:21], v14 offset:2560
	s_waitcnt lgkmcnt(0)
	v_mul_f64 v[26:27], v[10:11], v[20:21]
	v_fma_f64 v[26:27], v[8:9], v[18:19], -v[26:27]
	v_mul_f64 v[8:9], v[8:9], v[20:21]
	v_add_f64 v[22:23], v[22:23], v[26:27]
	v_fma_f64 v[8:9], v[10:11], v[18:19], v[8:9]
	v_add_f64 v[24:25], v[24:25], v[8:9]
	ds_read_b128 v[8:11], v16 offset:176
	ds_read_b128 v[18:21], v14 offset:2816
	s_waitcnt lgkmcnt(0)
	v_mul_f64 v[26:27], v[10:11], v[20:21]
	v_fma_f64 v[26:27], v[8:9], v[18:19], -v[26:27]
	v_mul_f64 v[8:9], v[8:9], v[20:21]
	v_add_f64 v[22:23], v[22:23], v[26:27]
	v_fma_f64 v[8:9], v[10:11], v[18:19], v[8:9]
	v_add_f64 v[24:25], v[24:25], v[8:9]
	ds_read_b128 v[8:11], v16 offset:192
	ds_read_b128 v[18:21], v14 offset:3072
	s_waitcnt lgkmcnt(0)
	v_mul_f64 v[26:27], v[10:11], v[20:21]
	v_fma_f64 v[26:27], v[8:9], v[18:19], -v[26:27]
	v_mul_f64 v[8:9], v[8:9], v[20:21]
	v_add_f64 v[22:23], v[22:23], v[26:27]
	v_fma_f64 v[8:9], v[10:11], v[18:19], v[8:9]
	v_add_f64 v[24:25], v[24:25], v[8:9]
	ds_read_b128 v[8:11], v16 offset:208
	ds_read_b128 v[18:21], v14 offset:3328
	s_waitcnt lgkmcnt(0)
	v_mul_f64 v[26:27], v[10:11], v[20:21]
	v_fma_f64 v[26:27], v[8:9], v[18:19], -v[26:27]
	v_mul_f64 v[8:9], v[8:9], v[20:21]
	v_add_f64 v[22:23], v[22:23], v[26:27]
	v_fma_f64 v[8:9], v[10:11], v[18:19], v[8:9]
	v_add_f64 v[24:25], v[24:25], v[8:9]
	ds_read_b128 v[8:11], v16 offset:224
	ds_read_b128 v[18:21], v14 offset:3584
	s_waitcnt lgkmcnt(0)
	v_mul_f64 v[26:27], v[10:11], v[20:21]
	v_fma_f64 v[26:27], v[8:9], v[18:19], -v[26:27]
	v_mul_f64 v[8:9], v[8:9], v[20:21]
	v_add_f64 v[22:23], v[22:23], v[26:27]
	v_fma_f64 v[8:9], v[10:11], v[18:19], v[8:9]
	v_add_f64 v[24:25], v[24:25], v[8:9]
	ds_read_b128 v[8:11], v16 offset:240
	ds_read_b128 v[18:21], v14 offset:3840
	s_waitcnt lgkmcnt(0)
	s_barrier
	v_mul_f64 v[26:27], v[10:11], v[20:21]
	v_fma_f64 v[26:27], v[8:9], v[18:19], -v[26:27]
	v_mul_f64 v[8:9], v[8:9], v[20:21]
	v_fma_f64 v[8:9], v[10:11], v[18:19], v[8:9]
	v_add_f64 v[10:11], v[22:23], v[26:27]
	v_add_f64 v[8:9], v[24:25], v[8:9]
	s_cbranch_vccnz .LBB1819_2
; %bb.3:
	v_cmp_le_i32_e32 vcc, v2, v12
	s_and_saveexec_b64 s[2:3], vcc
	s_cbranch_execz .LBB1819_5
.LBB1819_4:
	v_mul_lo_u32 v4, s19, v12
	v_mul_lo_u32 v5, s18, v13
	v_mad_u64_u32 v[0:1], s[2:3], s18, v12, 0
	v_add3_u32 v1, v1, v5, v4
	v_lshlrev_b64 v[0:1], 4, v[0:1]
	s_waitcnt lgkmcnt(0)
	v_mov_b32_e32 v4, s1
	v_add_co_u32_e32 v5, vcc, s0, v0
	v_addc_co_u32_e32 v4, vcc, v4, v1, vcc
	v_lshlrev_b64 v[0:1], 4, v[2:3]
	v_add_co_u32_e32 v13, vcc, v5, v0
	v_addc_co_u32_e32 v14, vcc, v4, v1, vcc
	flat_load_dwordx4 v[3:6], v[13:14]
	v_mul_f64 v[0:1], s[22:23], v[8:9]
	v_mul_f64 v[7:8], s[24:25], v[8:9]
	v_cmp_ne_u32_e32 vcc, v2, v12
	v_fma_f64 v[0:1], s[24:25], v[10:11], v[0:1]
	v_fma_f64 v[7:8], s[22:23], v[10:11], -v[7:8]
	s_waitcnt vmcnt(0) lgkmcnt(0)
	v_mul_f64 v[15:16], s[12:13], v[5:6]
	v_mul_f64 v[5:6], s[14:15], v[5:6]
	v_fma_f64 v[15:16], s[14:15], v[3:4], v[15:16]
	v_fma_f64 v[3:4], s[12:13], v[3:4], -v[5:6]
	v_add_f64 v[5:6], v[0:1], v[15:16]
	v_add_f64 v[0:1], v[7:8], v[3:4]
	v_cndmask_b32_e32 v3, 0, v6, vcc
	v_cndmask_b32_e32 v2, 0, v5, vcc
	flat_store_dwordx4 v[13:14], v[0:3]
.LBB1819_5:
	s_endpgm
.LBB1819_6:
	v_mov_b32_e32 v8, 0
	v_mov_b32_e32 v10, 0
	;; [unrolled: 1-line block ×4, first 2 shown]
	v_cmp_le_i32_e32 vcc, v2, v12
	s_and_saveexec_b64 s[2:3], vcc
	s_cbranch_execnz .LBB1819_4
	s_branch .LBB1819_5
	.section	.rodata,"a",@progbits
	.p2align	6, 0x0
	.amdhsa_kernel _ZL41rocblas_syrkx_herkx_small_restrict_kernelIl19rocblas_complex_numIdELi16ELb0ELb1ELc67ELc85EKPKS1_KPS1_EviT_T0_PT6_S7_lSA_S7_lS8_PT7_S7_li
		.amdhsa_group_segment_fixed_size 8192
		.amdhsa_private_segment_fixed_size 0
		.amdhsa_kernarg_size 124
		.amdhsa_user_sgpr_count 6
		.amdhsa_user_sgpr_private_segment_buffer 1
		.amdhsa_user_sgpr_dispatch_ptr 0
		.amdhsa_user_sgpr_queue_ptr 0
		.amdhsa_user_sgpr_kernarg_segment_ptr 1
		.amdhsa_user_sgpr_dispatch_id 0
		.amdhsa_user_sgpr_flat_scratch_init 0
		.amdhsa_user_sgpr_private_segment_size 0
		.amdhsa_uses_dynamic_stack 0
		.amdhsa_system_sgpr_private_segment_wavefront_offset 0
		.amdhsa_system_sgpr_workgroup_id_x 1
		.amdhsa_system_sgpr_workgroup_id_y 1
		.amdhsa_system_sgpr_workgroup_id_z 1
		.amdhsa_system_sgpr_workgroup_info 0
		.amdhsa_system_vgpr_workitem_id 1
		.amdhsa_next_free_vgpr 40
		.amdhsa_next_free_sgpr 61
		.amdhsa_reserve_vcc 1
		.amdhsa_reserve_flat_scratch 0
		.amdhsa_float_round_mode_32 0
		.amdhsa_float_round_mode_16_64 0
		.amdhsa_float_denorm_mode_32 3
		.amdhsa_float_denorm_mode_16_64 3
		.amdhsa_dx10_clamp 1
		.amdhsa_ieee_mode 1
		.amdhsa_fp16_overflow 0
		.amdhsa_exception_fp_ieee_invalid_op 0
		.amdhsa_exception_fp_denorm_src 0
		.amdhsa_exception_fp_ieee_div_zero 0
		.amdhsa_exception_fp_ieee_overflow 0
		.amdhsa_exception_fp_ieee_underflow 0
		.amdhsa_exception_fp_ieee_inexact 0
		.amdhsa_exception_int_div_zero 0
	.end_amdhsa_kernel
	.section	.text._ZL41rocblas_syrkx_herkx_small_restrict_kernelIl19rocblas_complex_numIdELi16ELb0ELb1ELc67ELc85EKPKS1_KPS1_EviT_T0_PT6_S7_lSA_S7_lS8_PT7_S7_li,"axG",@progbits,_ZL41rocblas_syrkx_herkx_small_restrict_kernelIl19rocblas_complex_numIdELi16ELb0ELb1ELc67ELc85EKPKS1_KPS1_EviT_T0_PT6_S7_lSA_S7_lS8_PT7_S7_li,comdat
.Lfunc_end1819:
	.size	_ZL41rocblas_syrkx_herkx_small_restrict_kernelIl19rocblas_complex_numIdELi16ELb0ELb1ELc67ELc85EKPKS1_KPS1_EviT_T0_PT6_S7_lSA_S7_lS8_PT7_S7_li, .Lfunc_end1819-_ZL41rocblas_syrkx_herkx_small_restrict_kernelIl19rocblas_complex_numIdELi16ELb0ELb1ELc67ELc85EKPKS1_KPS1_EviT_T0_PT6_S7_lSA_S7_lS8_PT7_S7_li
                                        ; -- End function
	.set _ZL41rocblas_syrkx_herkx_small_restrict_kernelIl19rocblas_complex_numIdELi16ELb0ELb1ELc67ELc85EKPKS1_KPS1_EviT_T0_PT6_S7_lSA_S7_lS8_PT7_S7_li.num_vgpr, 40
	.set _ZL41rocblas_syrkx_herkx_small_restrict_kernelIl19rocblas_complex_numIdELi16ELb0ELb1ELc67ELc85EKPKS1_KPS1_EviT_T0_PT6_S7_lSA_S7_lS8_PT7_S7_li.num_agpr, 0
	.set _ZL41rocblas_syrkx_herkx_small_restrict_kernelIl19rocblas_complex_numIdELi16ELb0ELb1ELc67ELc85EKPKS1_KPS1_EviT_T0_PT6_S7_lSA_S7_lS8_PT7_S7_li.numbered_sgpr, 32
	.set _ZL41rocblas_syrkx_herkx_small_restrict_kernelIl19rocblas_complex_numIdELi16ELb0ELb1ELc67ELc85EKPKS1_KPS1_EviT_T0_PT6_S7_lSA_S7_lS8_PT7_S7_li.num_named_barrier, 0
	.set _ZL41rocblas_syrkx_herkx_small_restrict_kernelIl19rocblas_complex_numIdELi16ELb0ELb1ELc67ELc85EKPKS1_KPS1_EviT_T0_PT6_S7_lSA_S7_lS8_PT7_S7_li.private_seg_size, 0
	.set _ZL41rocblas_syrkx_herkx_small_restrict_kernelIl19rocblas_complex_numIdELi16ELb0ELb1ELc67ELc85EKPKS1_KPS1_EviT_T0_PT6_S7_lSA_S7_lS8_PT7_S7_li.uses_vcc, 1
	.set _ZL41rocblas_syrkx_herkx_small_restrict_kernelIl19rocblas_complex_numIdELi16ELb0ELb1ELc67ELc85EKPKS1_KPS1_EviT_T0_PT6_S7_lSA_S7_lS8_PT7_S7_li.uses_flat_scratch, 0
	.set _ZL41rocblas_syrkx_herkx_small_restrict_kernelIl19rocblas_complex_numIdELi16ELb0ELb1ELc67ELc85EKPKS1_KPS1_EviT_T0_PT6_S7_lSA_S7_lS8_PT7_S7_li.has_dyn_sized_stack, 0
	.set _ZL41rocblas_syrkx_herkx_small_restrict_kernelIl19rocblas_complex_numIdELi16ELb0ELb1ELc67ELc85EKPKS1_KPS1_EviT_T0_PT6_S7_lSA_S7_lS8_PT7_S7_li.has_recursion, 0
	.set _ZL41rocblas_syrkx_herkx_small_restrict_kernelIl19rocblas_complex_numIdELi16ELb0ELb1ELc67ELc85EKPKS1_KPS1_EviT_T0_PT6_S7_lSA_S7_lS8_PT7_S7_li.has_indirect_call, 0
	.section	.AMDGPU.csdata,"",@progbits
; Kernel info:
; codeLenInByte = 1740
; TotalNumSgprs: 36
; NumVgprs: 40
; ScratchSize: 0
; MemoryBound: 0
; FloatMode: 240
; IeeeMode: 1
; LDSByteSize: 8192 bytes/workgroup (compile time only)
; SGPRBlocks: 8
; VGPRBlocks: 9
; NumSGPRsForWavesPerEU: 65
; NumVGPRsForWavesPerEU: 40
; Occupancy: 6
; WaveLimiterHint : 1
; COMPUTE_PGM_RSRC2:SCRATCH_EN: 0
; COMPUTE_PGM_RSRC2:USER_SGPR: 6
; COMPUTE_PGM_RSRC2:TRAP_HANDLER: 0
; COMPUTE_PGM_RSRC2:TGID_X_EN: 1
; COMPUTE_PGM_RSRC2:TGID_Y_EN: 1
; COMPUTE_PGM_RSRC2:TGID_Z_EN: 1
; COMPUTE_PGM_RSRC2:TIDIG_COMP_CNT: 1
	.section	.text._ZL41rocblas_syrkx_herkx_small_restrict_kernelIl19rocblas_complex_numIdELi16ELb0ELb1ELc78ELc85EKPKS1_KPS1_EviT_T0_PT6_S7_lSA_S7_lS8_PT7_S7_li,"axG",@progbits,_ZL41rocblas_syrkx_herkx_small_restrict_kernelIl19rocblas_complex_numIdELi16ELb0ELb1ELc78ELc85EKPKS1_KPS1_EviT_T0_PT6_S7_lSA_S7_lS8_PT7_S7_li,comdat
	.globl	_ZL41rocblas_syrkx_herkx_small_restrict_kernelIl19rocblas_complex_numIdELi16ELb0ELb1ELc78ELc85EKPKS1_KPS1_EviT_T0_PT6_S7_lSA_S7_lS8_PT7_S7_li ; -- Begin function _ZL41rocblas_syrkx_herkx_small_restrict_kernelIl19rocblas_complex_numIdELi16ELb0ELb1ELc78ELc85EKPKS1_KPS1_EviT_T0_PT6_S7_lSA_S7_lS8_PT7_S7_li
	.p2align	8
	.type	_ZL41rocblas_syrkx_herkx_small_restrict_kernelIl19rocblas_complex_numIdELi16ELb0ELb1ELc78ELc85EKPKS1_KPS1_EviT_T0_PT6_S7_lSA_S7_lS8_PT7_S7_li,@function
_ZL41rocblas_syrkx_herkx_small_restrict_kernelIl19rocblas_complex_numIdELi16ELb0ELb1ELc78ELc85EKPKS1_KPS1_EviT_T0_PT6_S7_lSA_S7_lS8_PT7_S7_li: ; @_ZL41rocblas_syrkx_herkx_small_restrict_kernelIl19rocblas_complex_numIdELi16ELb0ELb1ELc78ELc85EKPKS1_KPS1_EviT_T0_PT6_S7_lSA_S7_lS8_PT7_S7_li
; %bb.0:
	s_load_dwordx8 s[12:19], s[4:5], 0x50
	s_load_dwordx8 s[20:27], s[4:5], 0x8
	s_load_dwordx2 s[10:11], s[4:5], 0x28
	s_mov_b32 s9, 0
	s_lshl_b64 s[28:29], s[8:9], 3
	s_waitcnt lgkmcnt(0)
	s_add_u32 s0, s16, s28
	s_addc_u32 s1, s17, s29
	s_load_dwordx2 s[8:9], s[0:1], 0x0
	v_cmp_lt_i64_e64 s[0:1], s[20:21], 1
	v_lshl_add_u32 v2, s6, 4, v0
	v_lshl_add_u32 v4, s7, 4, v1
	s_and_b64 vcc, exec, s[0:1]
	v_ashrrev_i32_e32 v3, 31, v2
	v_ashrrev_i32_e32 v5, 31, v4
	s_cbranch_vccnz .LBB1820_6
; %bb.1:
	s_load_dwordx4 s[0:3], s[4:5], 0x38
	v_mad_u64_u32 v[10:11], s[6:7], s10, v1, 0
	v_lshlrev_b32_e32 v9, 8, v1
	v_lshlrev_b32_e32 v14, 4, v0
	s_waitcnt lgkmcnt(0)
	v_mad_u64_u32 v[6:7], s[4:5], s2, v0, 0
	s_add_u32 s0, s0, s28
	v_add_u32_e32 v15, v14, v9
	v_mad_u64_u32 v[7:8], s[6:7], s3, v0, v[7:8]
	v_add_u32_e32 v16, 0x1000, v9
	v_lshlrev_b64 v[8:9], 4, v[4:5]
	v_lshlrev_b64 v[6:7], 4, v[6:7]
	s_addc_u32 s1, s1, s29
	s_load_dwordx2 s[0:1], s[0:1], 0x0
	v_add_co_u32_e32 v8, vcc, v6, v8
	v_mov_b32_e32 v0, v11
	v_addc_co_u32_e32 v9, vcc, v7, v9, vcc
	v_mad_u64_u32 v[6:7], s[6:7], s11, v1, v[0:1]
	s_add_u32 s4, s26, s28
	s_addc_u32 s5, s27, s29
	s_load_dwordx2 s[4:5], s[4:5], 0x0
	s_waitcnt lgkmcnt(0)
	v_mov_b32_e32 v12, s1
	v_add_co_u32_e32 v0, vcc, s0, v8
	v_mov_b32_e32 v11, v6
	v_addc_co_u32_e32 v1, vcc, v12, v9, vcc
	v_lshlrev_b64 v[6:7], 4, v[10:11]
	v_lshlrev_b64 v[8:9], 4, v[2:3]
	s_lshl_b64 s[0:1], s[2:3], 8
	v_add_co_u32_e32 v6, vcc, v6, v8
	v_addc_co_u32_e32 v7, vcc, v7, v9, vcc
	v_mov_b32_e32 v8, s5
	v_add_co_u32_e32 v6, vcc, s4, v6
	v_addc_co_u32_e32 v7, vcc, v8, v7, vcc
	s_lshl_b64 s[2:3], s[10:11], 8
	v_mov_b32_e32 v10, 0
	v_mov_b32_e32 v12, 0
	;; [unrolled: 1-line block ×3, first 2 shown]
	v_add_u32_e32 v17, v16, v14
	v_mov_b32_e32 v11, 0
	s_mov_b64 s[4:5], 0
	v_mov_b32_e32 v18, s1
	v_mov_b32_e32 v19, s3
	;; [unrolled: 1-line block ×4, first 2 shown]
.LBB1820_2:                             ; =>This Inner Loop Header: Depth=1
	flat_load_dwordx4 v[20:23], v[6:7]
	s_add_u32 s4, s4, 16
	s_addc_u32 s5, s5, 0
	s_waitcnt vmcnt(0) lgkmcnt(0)
	ds_write2_b64 v15, v[20:21], v[22:23] offset1:1
	flat_load_dwordx4 v[20:23], v[0:1]
	v_add_co_u32_e32 v0, vcc, s0, v0
	v_addc_co_u32_e32 v1, vcc, v1, v18, vcc
	v_add_co_u32_e32 v6, vcc, s2, v6
	v_addc_co_u32_e32 v7, vcc, v7, v19, vcc
	v_cmp_lt_i64_e32 vcc, s[4:5], v[8:9]
	s_and_b64 vcc, exec, vcc
	s_waitcnt vmcnt(0) lgkmcnt(0)
	v_xor_b32_e32 v23, 0x80000000, v23
	ds_write_b128 v17, v[20:23]
	s_waitcnt lgkmcnt(0)
	s_barrier
	ds_read_b128 v[20:23], v16
	ds_read_b128 v[24:27], v16 offset:16
	ds_read_b128 v[28:31], v16 offset:32
	;; [unrolled: 1-line block ×3, first 2 shown]
	ds_read_b128 v[36:39], v14
	s_waitcnt lgkmcnt(0)
	v_mul_f64 v[40:41], v[22:23], v[38:39]
	v_fma_f64 v[40:41], v[20:21], v[36:37], -v[40:41]
	v_mul_f64 v[20:21], v[20:21], v[38:39]
	v_fma_f64 v[20:21], v[22:23], v[36:37], v[20:21]
	v_add_f64 v[22:23], v[12:13], v[40:41]
	v_add_f64 v[20:21], v[10:11], v[20:21]
	ds_read_b128 v[10:13], v14 offset:256
	s_waitcnt lgkmcnt(0)
	v_mul_f64 v[36:37], v[26:27], v[12:13]
	v_mul_f64 v[12:13], v[24:25], v[12:13]
	v_fma_f64 v[36:37], v[24:25], v[10:11], -v[36:37]
	v_fma_f64 v[10:11], v[26:27], v[10:11], v[12:13]
	v_add_f64 v[22:23], v[22:23], v[36:37]
	v_add_f64 v[20:21], v[20:21], v[10:11]
	ds_read_b128 v[10:13], v14 offset:512
	s_waitcnt lgkmcnt(0)
	v_mul_f64 v[24:25], v[30:31], v[12:13]
	v_mul_f64 v[12:13], v[28:29], v[12:13]
	v_fma_f64 v[24:25], v[28:29], v[10:11], -v[24:25]
	;; [unrolled: 8-line block ×3, first 2 shown]
	v_fma_f64 v[10:11], v[34:35], v[10:11], v[12:13]
	v_add_f64 v[24:25], v[22:23], v[24:25]
	v_add_f64 v[26:27], v[20:21], v[10:11]
	ds_read_b128 v[10:13], v16 offset:64
	ds_read_b128 v[20:23], v14 offset:1024
	s_waitcnt lgkmcnt(0)
	v_mul_f64 v[28:29], v[12:13], v[22:23]
	v_fma_f64 v[28:29], v[10:11], v[20:21], -v[28:29]
	v_mul_f64 v[10:11], v[10:11], v[22:23]
	v_add_f64 v[24:25], v[24:25], v[28:29]
	v_fma_f64 v[10:11], v[12:13], v[20:21], v[10:11]
	v_add_f64 v[26:27], v[26:27], v[10:11]
	ds_read_b128 v[10:13], v16 offset:80
	ds_read_b128 v[20:23], v14 offset:1280
	s_waitcnt lgkmcnt(0)
	v_mul_f64 v[28:29], v[12:13], v[22:23]
	v_fma_f64 v[28:29], v[10:11], v[20:21], -v[28:29]
	v_mul_f64 v[10:11], v[10:11], v[22:23]
	v_add_f64 v[24:25], v[24:25], v[28:29]
	v_fma_f64 v[10:11], v[12:13], v[20:21], v[10:11]
	v_add_f64 v[26:27], v[26:27], v[10:11]
	ds_read_b128 v[10:13], v16 offset:96
	ds_read_b128 v[20:23], v14 offset:1536
	s_waitcnt lgkmcnt(0)
	v_mul_f64 v[28:29], v[12:13], v[22:23]
	v_fma_f64 v[28:29], v[10:11], v[20:21], -v[28:29]
	v_mul_f64 v[10:11], v[10:11], v[22:23]
	v_add_f64 v[24:25], v[24:25], v[28:29]
	v_fma_f64 v[10:11], v[12:13], v[20:21], v[10:11]
	v_add_f64 v[26:27], v[26:27], v[10:11]
	ds_read_b128 v[10:13], v16 offset:112
	ds_read_b128 v[20:23], v14 offset:1792
	s_waitcnt lgkmcnt(0)
	v_mul_f64 v[28:29], v[12:13], v[22:23]
	v_fma_f64 v[28:29], v[10:11], v[20:21], -v[28:29]
	v_mul_f64 v[10:11], v[10:11], v[22:23]
	v_add_f64 v[24:25], v[24:25], v[28:29]
	v_fma_f64 v[10:11], v[12:13], v[20:21], v[10:11]
	v_add_f64 v[26:27], v[26:27], v[10:11]
	ds_read_b128 v[10:13], v16 offset:128
	ds_read_b128 v[20:23], v14 offset:2048
	s_waitcnt lgkmcnt(0)
	v_mul_f64 v[28:29], v[12:13], v[22:23]
	v_fma_f64 v[28:29], v[10:11], v[20:21], -v[28:29]
	v_mul_f64 v[10:11], v[10:11], v[22:23]
	v_add_f64 v[24:25], v[24:25], v[28:29]
	v_fma_f64 v[10:11], v[12:13], v[20:21], v[10:11]
	v_add_f64 v[26:27], v[26:27], v[10:11]
	ds_read_b128 v[10:13], v16 offset:144
	ds_read_b128 v[20:23], v14 offset:2304
	s_waitcnt lgkmcnt(0)
	v_mul_f64 v[28:29], v[12:13], v[22:23]
	v_fma_f64 v[28:29], v[10:11], v[20:21], -v[28:29]
	v_mul_f64 v[10:11], v[10:11], v[22:23]
	v_add_f64 v[24:25], v[24:25], v[28:29]
	v_fma_f64 v[10:11], v[12:13], v[20:21], v[10:11]
	v_add_f64 v[26:27], v[26:27], v[10:11]
	ds_read_b128 v[10:13], v16 offset:160
	ds_read_b128 v[20:23], v14 offset:2560
	s_waitcnt lgkmcnt(0)
	v_mul_f64 v[28:29], v[12:13], v[22:23]
	v_fma_f64 v[28:29], v[10:11], v[20:21], -v[28:29]
	v_mul_f64 v[10:11], v[10:11], v[22:23]
	v_add_f64 v[24:25], v[24:25], v[28:29]
	v_fma_f64 v[10:11], v[12:13], v[20:21], v[10:11]
	v_add_f64 v[26:27], v[26:27], v[10:11]
	ds_read_b128 v[10:13], v16 offset:176
	ds_read_b128 v[20:23], v14 offset:2816
	s_waitcnt lgkmcnt(0)
	v_mul_f64 v[28:29], v[12:13], v[22:23]
	v_fma_f64 v[28:29], v[10:11], v[20:21], -v[28:29]
	v_mul_f64 v[10:11], v[10:11], v[22:23]
	v_add_f64 v[24:25], v[24:25], v[28:29]
	v_fma_f64 v[10:11], v[12:13], v[20:21], v[10:11]
	v_add_f64 v[26:27], v[26:27], v[10:11]
	ds_read_b128 v[10:13], v16 offset:192
	ds_read_b128 v[20:23], v14 offset:3072
	s_waitcnt lgkmcnt(0)
	v_mul_f64 v[28:29], v[12:13], v[22:23]
	v_fma_f64 v[28:29], v[10:11], v[20:21], -v[28:29]
	v_mul_f64 v[10:11], v[10:11], v[22:23]
	v_add_f64 v[24:25], v[24:25], v[28:29]
	v_fma_f64 v[10:11], v[12:13], v[20:21], v[10:11]
	v_add_f64 v[26:27], v[26:27], v[10:11]
	ds_read_b128 v[10:13], v16 offset:208
	ds_read_b128 v[20:23], v14 offset:3328
	s_waitcnt lgkmcnt(0)
	v_mul_f64 v[28:29], v[12:13], v[22:23]
	v_fma_f64 v[28:29], v[10:11], v[20:21], -v[28:29]
	v_mul_f64 v[10:11], v[10:11], v[22:23]
	v_add_f64 v[24:25], v[24:25], v[28:29]
	v_fma_f64 v[10:11], v[12:13], v[20:21], v[10:11]
	v_add_f64 v[26:27], v[26:27], v[10:11]
	ds_read_b128 v[10:13], v16 offset:224
	ds_read_b128 v[20:23], v14 offset:3584
	s_waitcnt lgkmcnt(0)
	v_mul_f64 v[28:29], v[12:13], v[22:23]
	v_fma_f64 v[28:29], v[10:11], v[20:21], -v[28:29]
	v_mul_f64 v[10:11], v[10:11], v[22:23]
	v_add_f64 v[24:25], v[24:25], v[28:29]
	v_fma_f64 v[10:11], v[12:13], v[20:21], v[10:11]
	v_add_f64 v[26:27], v[26:27], v[10:11]
	ds_read_b128 v[10:13], v16 offset:240
	ds_read_b128 v[20:23], v14 offset:3840
	s_waitcnt lgkmcnt(0)
	s_barrier
	v_mul_f64 v[28:29], v[12:13], v[22:23]
	v_fma_f64 v[28:29], v[10:11], v[20:21], -v[28:29]
	v_mul_f64 v[10:11], v[10:11], v[22:23]
	v_fma_f64 v[10:11], v[12:13], v[20:21], v[10:11]
	v_add_f64 v[12:13], v[24:25], v[28:29]
	v_add_f64 v[10:11], v[26:27], v[10:11]
	s_cbranch_vccnz .LBB1820_2
; %bb.3:
	v_cmp_le_i32_e32 vcc, v2, v4
	s_and_saveexec_b64 s[0:1], vcc
	s_cbranch_execz .LBB1820_5
.LBB1820_4:
	v_mul_lo_u32 v6, s19, v4
	v_mul_lo_u32 v5, s18, v5
	v_mad_u64_u32 v[0:1], s[0:1], s18, v4, 0
	v_add3_u32 v1, v1, v5, v6
	v_lshlrev_b64 v[0:1], 4, v[0:1]
	s_waitcnt lgkmcnt(0)
	v_mov_b32_e32 v5, s9
	v_add_co_u32_e32 v6, vcc, s8, v0
	v_addc_co_u32_e32 v5, vcc, v5, v1, vcc
	v_lshlrev_b64 v[0:1], 4, v[2:3]
	v_add_co_u32_e32 v14, vcc, v6, v0
	v_addc_co_u32_e32 v15, vcc, v5, v1, vcc
	flat_load_dwordx4 v[5:8], v[14:15]
	v_mul_f64 v[0:1], s[22:23], v[10:11]
	v_mul_f64 v[9:10], s[24:25], v[10:11]
	v_cmp_ne_u32_e32 vcc, v2, v4
	v_fma_f64 v[0:1], s[24:25], v[12:13], v[0:1]
	v_fma_f64 v[9:10], s[22:23], v[12:13], -v[9:10]
	s_waitcnt vmcnt(0) lgkmcnt(0)
	v_mul_f64 v[16:17], s[12:13], v[7:8]
	v_mul_f64 v[7:8], s[14:15], v[7:8]
	v_fma_f64 v[16:17], s[14:15], v[5:6], v[16:17]
	v_fma_f64 v[5:6], s[12:13], v[5:6], -v[7:8]
	v_add_f64 v[7:8], v[0:1], v[16:17]
	v_add_f64 v[0:1], v[9:10], v[5:6]
	v_cndmask_b32_e32 v3, 0, v8, vcc
	v_cndmask_b32_e32 v2, 0, v7, vcc
	flat_store_dwordx4 v[14:15], v[0:3]
.LBB1820_5:
	s_endpgm
.LBB1820_6:
	v_mov_b32_e32 v10, 0
	v_mov_b32_e32 v12, 0
	;; [unrolled: 1-line block ×4, first 2 shown]
	v_cmp_le_i32_e32 vcc, v2, v4
	s_and_saveexec_b64 s[0:1], vcc
	s_cbranch_execnz .LBB1820_4
	s_branch .LBB1820_5
	.section	.rodata,"a",@progbits
	.p2align	6, 0x0
	.amdhsa_kernel _ZL41rocblas_syrkx_herkx_small_restrict_kernelIl19rocblas_complex_numIdELi16ELb0ELb1ELc78ELc85EKPKS1_KPS1_EviT_T0_PT6_S7_lSA_S7_lS8_PT7_S7_li
		.amdhsa_group_segment_fixed_size 8192
		.amdhsa_private_segment_fixed_size 0
		.amdhsa_kernarg_size 124
		.amdhsa_user_sgpr_count 6
		.amdhsa_user_sgpr_private_segment_buffer 1
		.amdhsa_user_sgpr_dispatch_ptr 0
		.amdhsa_user_sgpr_queue_ptr 0
		.amdhsa_user_sgpr_kernarg_segment_ptr 1
		.amdhsa_user_sgpr_dispatch_id 0
		.amdhsa_user_sgpr_flat_scratch_init 0
		.amdhsa_user_sgpr_private_segment_size 0
		.amdhsa_uses_dynamic_stack 0
		.amdhsa_system_sgpr_private_segment_wavefront_offset 0
		.amdhsa_system_sgpr_workgroup_id_x 1
		.amdhsa_system_sgpr_workgroup_id_y 1
		.amdhsa_system_sgpr_workgroup_id_z 1
		.amdhsa_system_sgpr_workgroup_info 0
		.amdhsa_system_vgpr_workitem_id 1
		.amdhsa_next_free_vgpr 42
		.amdhsa_next_free_sgpr 61
		.amdhsa_reserve_vcc 1
		.amdhsa_reserve_flat_scratch 0
		.amdhsa_float_round_mode_32 0
		.amdhsa_float_round_mode_16_64 0
		.amdhsa_float_denorm_mode_32 3
		.amdhsa_float_denorm_mode_16_64 3
		.amdhsa_dx10_clamp 1
		.amdhsa_ieee_mode 1
		.amdhsa_fp16_overflow 0
		.amdhsa_exception_fp_ieee_invalid_op 0
		.amdhsa_exception_fp_denorm_src 0
		.amdhsa_exception_fp_ieee_div_zero 0
		.amdhsa_exception_fp_ieee_overflow 0
		.amdhsa_exception_fp_ieee_underflow 0
		.amdhsa_exception_fp_ieee_inexact 0
		.amdhsa_exception_int_div_zero 0
	.end_amdhsa_kernel
	.section	.text._ZL41rocblas_syrkx_herkx_small_restrict_kernelIl19rocblas_complex_numIdELi16ELb0ELb1ELc78ELc85EKPKS1_KPS1_EviT_T0_PT6_S7_lSA_S7_lS8_PT7_S7_li,"axG",@progbits,_ZL41rocblas_syrkx_herkx_small_restrict_kernelIl19rocblas_complex_numIdELi16ELb0ELb1ELc78ELc85EKPKS1_KPS1_EviT_T0_PT6_S7_lSA_S7_lS8_PT7_S7_li,comdat
.Lfunc_end1820:
	.size	_ZL41rocblas_syrkx_herkx_small_restrict_kernelIl19rocblas_complex_numIdELi16ELb0ELb1ELc78ELc85EKPKS1_KPS1_EviT_T0_PT6_S7_lSA_S7_lS8_PT7_S7_li, .Lfunc_end1820-_ZL41rocblas_syrkx_herkx_small_restrict_kernelIl19rocblas_complex_numIdELi16ELb0ELb1ELc78ELc85EKPKS1_KPS1_EviT_T0_PT6_S7_lSA_S7_lS8_PT7_S7_li
                                        ; -- End function
	.set _ZL41rocblas_syrkx_herkx_small_restrict_kernelIl19rocblas_complex_numIdELi16ELb0ELb1ELc78ELc85EKPKS1_KPS1_EviT_T0_PT6_S7_lSA_S7_lS8_PT7_S7_li.num_vgpr, 42
	.set _ZL41rocblas_syrkx_herkx_small_restrict_kernelIl19rocblas_complex_numIdELi16ELb0ELb1ELc78ELc85EKPKS1_KPS1_EviT_T0_PT6_S7_lSA_S7_lS8_PT7_S7_li.num_agpr, 0
	.set _ZL41rocblas_syrkx_herkx_small_restrict_kernelIl19rocblas_complex_numIdELi16ELb0ELb1ELc78ELc85EKPKS1_KPS1_EviT_T0_PT6_S7_lSA_S7_lS8_PT7_S7_li.numbered_sgpr, 30
	.set _ZL41rocblas_syrkx_herkx_small_restrict_kernelIl19rocblas_complex_numIdELi16ELb0ELb1ELc78ELc85EKPKS1_KPS1_EviT_T0_PT6_S7_lSA_S7_lS8_PT7_S7_li.num_named_barrier, 0
	.set _ZL41rocblas_syrkx_herkx_small_restrict_kernelIl19rocblas_complex_numIdELi16ELb0ELb1ELc78ELc85EKPKS1_KPS1_EviT_T0_PT6_S7_lSA_S7_lS8_PT7_S7_li.private_seg_size, 0
	.set _ZL41rocblas_syrkx_herkx_small_restrict_kernelIl19rocblas_complex_numIdELi16ELb0ELb1ELc78ELc85EKPKS1_KPS1_EviT_T0_PT6_S7_lSA_S7_lS8_PT7_S7_li.uses_vcc, 1
	.set _ZL41rocblas_syrkx_herkx_small_restrict_kernelIl19rocblas_complex_numIdELi16ELb0ELb1ELc78ELc85EKPKS1_KPS1_EviT_T0_PT6_S7_lSA_S7_lS8_PT7_S7_li.uses_flat_scratch, 0
	.set _ZL41rocblas_syrkx_herkx_small_restrict_kernelIl19rocblas_complex_numIdELi16ELb0ELb1ELc78ELc85EKPKS1_KPS1_EviT_T0_PT6_S7_lSA_S7_lS8_PT7_S7_li.has_dyn_sized_stack, 0
	.set _ZL41rocblas_syrkx_herkx_small_restrict_kernelIl19rocblas_complex_numIdELi16ELb0ELb1ELc78ELc85EKPKS1_KPS1_EviT_T0_PT6_S7_lSA_S7_lS8_PT7_S7_li.has_recursion, 0
	.set _ZL41rocblas_syrkx_herkx_small_restrict_kernelIl19rocblas_complex_numIdELi16ELb0ELb1ELc78ELc85EKPKS1_KPS1_EviT_T0_PT6_S7_lSA_S7_lS8_PT7_S7_li.has_indirect_call, 0
	.section	.AMDGPU.csdata,"",@progbits
; Kernel info:
; codeLenInByte = 1736
; TotalNumSgprs: 34
; NumVgprs: 42
; ScratchSize: 0
; MemoryBound: 0
; FloatMode: 240
; IeeeMode: 1
; LDSByteSize: 8192 bytes/workgroup (compile time only)
; SGPRBlocks: 8
; VGPRBlocks: 10
; NumSGPRsForWavesPerEU: 65
; NumVGPRsForWavesPerEU: 42
; Occupancy: 5
; WaveLimiterHint : 1
; COMPUTE_PGM_RSRC2:SCRATCH_EN: 0
; COMPUTE_PGM_RSRC2:USER_SGPR: 6
; COMPUTE_PGM_RSRC2:TRAP_HANDLER: 0
; COMPUTE_PGM_RSRC2:TGID_X_EN: 1
; COMPUTE_PGM_RSRC2:TGID_Y_EN: 1
; COMPUTE_PGM_RSRC2:TGID_Z_EN: 1
; COMPUTE_PGM_RSRC2:TIDIG_COMP_CNT: 1
	.section	.text._ZL32rocblas_syrkx_herkx_small_kernelIl19rocblas_complex_numIdELi16ELb1ELb1ELc84ELc76EKPKS1_KPS1_EviT_T0_PT6_S7_lSA_S7_lS8_PT7_S7_li,"axG",@progbits,_ZL32rocblas_syrkx_herkx_small_kernelIl19rocblas_complex_numIdELi16ELb1ELb1ELc84ELc76EKPKS1_KPS1_EviT_T0_PT6_S7_lSA_S7_lS8_PT7_S7_li,comdat
	.globl	_ZL32rocblas_syrkx_herkx_small_kernelIl19rocblas_complex_numIdELi16ELb1ELb1ELc84ELc76EKPKS1_KPS1_EviT_T0_PT6_S7_lSA_S7_lS8_PT7_S7_li ; -- Begin function _ZL32rocblas_syrkx_herkx_small_kernelIl19rocblas_complex_numIdELi16ELb1ELb1ELc84ELc76EKPKS1_KPS1_EviT_T0_PT6_S7_lSA_S7_lS8_PT7_S7_li
	.p2align	8
	.type	_ZL32rocblas_syrkx_herkx_small_kernelIl19rocblas_complex_numIdELi16ELb1ELb1ELc84ELc76EKPKS1_KPS1_EviT_T0_PT6_S7_lSA_S7_lS8_PT7_S7_li,@function
_ZL32rocblas_syrkx_herkx_small_kernelIl19rocblas_complex_numIdELi16ELb1ELb1ELc84ELc76EKPKS1_KPS1_EviT_T0_PT6_S7_lSA_S7_lS8_PT7_S7_li: ; @_ZL32rocblas_syrkx_herkx_small_kernelIl19rocblas_complex_numIdELi16ELb1ELb1ELc84ELc76EKPKS1_KPS1_EviT_T0_PT6_S7_lSA_S7_lS8_PT7_S7_li
; %bb.0:
	s_load_dwordx2 s[10:11], s[4:5], 0x28
	s_load_dwordx4 s[20:23], s[4:5], 0x60
	s_load_dword s24, s[4:5], 0x0
	s_load_dwordx8 s[12:19], s[4:5], 0x8
	s_mov_b32 s9, 0
	s_lshl_b64 s[2:3], s[8:9], 3
	s_waitcnt lgkmcnt(0)
	s_add_u32 s0, s20, s2
	s_addc_u32 s1, s21, s3
	s_load_dwordx2 s[8:9], s[0:1], 0x0
	v_cmp_lt_i64_e64 s[0:1], s[12:13], 1
	v_lshl_add_u32 v6, s6, 4, v0
	v_lshl_add_u32 v18, s7, 4, v1
	s_and_b64 vcc, exec, s[0:1]
	v_cmp_gt_i32_e64 s[0:1], s24, v6
	v_ashrrev_i32_e32 v7, 31, v6
	v_ashrrev_i32_e32 v19, 31, v18
	s_cbranch_vccnz .LBB1821_11
; %bb.1:
	s_load_dwordx4 s[28:31], s[4:5], 0x38
	v_lshlrev_b32_e32 v5, 8, v1
	v_lshlrev_b32_e32 v20, 4, v0
	v_add_u32_e32 v21, v20, v5
	v_add_u32_e32 v22, 0x1000, v5
	s_waitcnt lgkmcnt(0)
	s_add_u32 s4, s28, s2
	s_addc_u32 s5, s29, s3
	s_add_u32 s2, s18, s2
	s_addc_u32 s3, s19, s3
	s_load_dwordx2 s[6:7], s[2:3], 0x0
	v_mul_lo_u32 v8, s31, v18
	v_mul_lo_u32 v9, s30, v19
	v_mad_u64_u32 v[3:4], s[2:3], s30, v18, 0
	s_load_dwordx2 s[4:5], s[4:5], 0x0
	v_mul_lo_u32 v11, s11, v6
	v_add3_u32 v4, v4, v9, v8
	v_lshlrev_b64 v[3:4], 4, v[3:4]
	v_mul_lo_u32 v12, s10, v7
	v_add_co_u32_e64 v5, s[2:3], v3, v20
	v_addc_co_u32_e64 v9, s[2:3], 0, v4, s[2:3]
	v_mad_u64_u32 v[3:4], s[2:3], s10, v6, 0
	s_waitcnt lgkmcnt(0)
	v_mov_b32_e32 v10, s5
	v_add_co_u32_e64 v8, s[2:3], s4, v5
	v_add3_u32 v4, v4, v12, v11
	v_lshlrev_b64 v[3:4], 4, v[3:4]
	v_addc_co_u32_e64 v9, s[2:3], v10, v9, s[2:3]
	v_lshlrev_b32_e32 v5, 4, v1
	v_add_co_u32_e64 v3, s[2:3], v3, v5
	v_addc_co_u32_e64 v4, s[2:3], 0, v4, s[2:3]
	v_mov_b32_e32 v5, s7
	v_add_co_u32_e64 v10, s[2:3], s6, v3
	v_cmp_gt_i32_e32 vcc, s24, v18
	v_addc_co_u32_e64 v11, s[2:3], v5, v4, s[2:3]
	v_mov_b32_e32 v14, 0
	v_mov_b32_e32 v16, 0
	;; [unrolled: 1-line block ×4, first 2 shown]
	v_add_u32_e32 v23, v22, v20
	v_mov_b32_e32 v15, 0
	s_mov_b64 s[2:3], 0
	s_xor_b64 s[4:5], s[0:1], -1
	s_xor_b64 s[6:7], vcc, -1
	v_mov_b32_e32 v17, 0
	v_mov_b32_e32 v13, s13
	s_branch .LBB1821_3
.LBB1821_2:                             ;   in Loop: Header=BB1821_3 Depth=1
	s_or_b64 exec, exec, s[0:1]
	s_waitcnt lgkmcnt(0)
	s_barrier
	ds_read_b128 v[24:27], v20
	ds_read_b128 v[28:31], v22
	ds_read_b128 v[32:35], v22 offset:16
	ds_read_b128 v[36:39], v20 offset:256
	s_add_u32 s2, s2, 16
	v_add_co_u32_e32 v8, vcc, 0x100, v8
	s_waitcnt lgkmcnt(2)
	v_mul_f64 v[3:4], v[30:31], v[26:27]
	v_mul_f64 v[26:27], v[28:29], v[26:27]
	s_waitcnt lgkmcnt(0)
	v_mul_f64 v[46:47], v[34:35], v[38:39]
	v_mul_f64 v[48:49], v[32:33], v[38:39]
	ds_read_b128 v[38:41], v20 offset:512
	s_addc_u32 s3, s3, 0
	v_addc_co_u32_e32 v9, vcc, 0, v9, vcc
	v_fma_f64 v[3:4], v[28:29], v[24:25], -v[3:4]
	v_fma_f64 v[50:51], v[30:31], v[24:25], v[26:27]
	ds_read_b128 v[24:27], v22 offset:32
	ds_read_b128 v[28:31], v22 offset:48
	ds_read_b128 v[42:45], v20 offset:768
	v_fma_f64 v[32:33], v[32:33], v[36:37], -v[46:47]
	v_fma_f64 v[34:35], v[34:35], v[36:37], v[48:49]
	s_waitcnt lgkmcnt(2)
	v_mul_f64 v[36:37], v[26:27], v[40:41]
	v_mul_f64 v[40:41], v[24:25], v[40:41]
	s_waitcnt lgkmcnt(0)
	v_mul_f64 v[48:49], v[30:31], v[44:45]
	v_add_f64 v[3:4], v[16:17], v[3:4]
	v_add_f64 v[46:47], v[14:15], v[50:51]
	v_mul_f64 v[44:45], v[28:29], v[44:45]
	ds_read_b128 v[14:17], v20 offset:1024
	v_add_co_u32_e32 v10, vcc, 0x100, v10
	v_fma_f64 v[50:51], v[24:25], v[38:39], -v[36:37]
	v_fma_f64 v[40:41], v[26:27], v[38:39], v[40:41]
	v_add_f64 v[3:4], v[3:4], v[32:33]
	v_add_f64 v[46:47], v[46:47], v[34:35]
	ds_read_b128 v[24:27], v22 offset:64
	ds_read_b128 v[32:35], v22 offset:80
	;; [unrolled: 1-line block ×3, first 2 shown]
	v_fma_f64 v[48:49], v[28:29], v[42:43], -v[48:49]
	v_fma_f64 v[42:43], v[30:31], v[42:43], v[44:45]
	s_waitcnt lgkmcnt(2)
	v_mul_f64 v[44:45], v[26:27], v[16:17]
	v_mul_f64 v[16:17], v[24:25], v[16:17]
	ds_read_b128 v[28:31], v20 offset:1536
	v_add_f64 v[3:4], v[3:4], v[50:51]
	v_add_f64 v[40:41], v[46:47], v[40:41]
	s_waitcnt lgkmcnt(1)
	v_mul_f64 v[46:47], v[34:35], v[38:39]
	v_mul_f64 v[50:51], v[32:33], v[38:39]
	v_cmp_ge_i64_e64 s[0:1], s[2:3], v[12:13]
	v_fma_f64 v[44:45], v[24:25], v[14:15], -v[44:45]
	v_fma_f64 v[52:53], v[26:27], v[14:15], v[16:17]
	v_addc_co_u32_e32 v11, vcc, 0, v11, vcc
	v_add_f64 v[3:4], v[3:4], v[48:49]
	v_add_f64 v[42:43], v[40:41], v[42:43]
	ds_read_b128 v[14:17], v22 offset:96
	ds_read_b128 v[24:27], v22 offset:112
	;; [unrolled: 1-line block ×3, first 2 shown]
	v_fma_f64 v[46:47], v[32:33], v[36:37], -v[46:47]
	v_fma_f64 v[34:35], v[34:35], v[36:37], v[50:51]
	s_waitcnt lgkmcnt(2)
	v_mul_f64 v[36:37], v[16:17], v[30:31]
	v_mul_f64 v[48:49], v[14:15], v[30:31]
	s_waitcnt lgkmcnt(0)
	v_mul_f64 v[50:51], v[24:25], v[40:41]
	v_add_f64 v[3:4], v[3:4], v[44:45]
	v_add_f64 v[42:43], v[42:43], v[52:53]
	v_mul_f64 v[44:45], v[26:27], v[40:41]
	ds_read_b128 v[30:33], v20 offset:2048
	s_and_b64 vcc, exec, s[0:1]
	v_fma_f64 v[52:53], v[14:15], v[28:29], -v[36:37]
	v_fma_f64 v[28:29], v[16:17], v[28:29], v[48:49]
	v_add_f64 v[3:4], v[3:4], v[46:47]
	v_add_f64 v[46:47], v[42:43], v[34:35]
	ds_read_b128 v[14:17], v22 offset:128
	ds_read_b128 v[34:37], v22 offset:144
	;; [unrolled: 1-line block ×3, first 2 shown]
	v_fma_f64 v[44:45], v[24:25], v[38:39], -v[44:45]
	v_fma_f64 v[38:39], v[26:27], v[38:39], v[50:51]
	s_waitcnt lgkmcnt(2)
	v_mul_f64 v[48:49], v[16:17], v[32:33]
	v_mul_f64 v[32:33], v[14:15], v[32:33]
	s_waitcnt lgkmcnt(0)
	v_mul_f64 v[50:51], v[34:35], v[42:43]
	v_add_f64 v[3:4], v[3:4], v[52:53]
	v_add_f64 v[28:29], v[46:47], v[28:29]
	v_mul_f64 v[46:47], v[36:37], v[42:43]
	ds_read_b128 v[24:27], v20 offset:2560
	v_fma_f64 v[48:49], v[14:15], v[30:31], -v[48:49]
	v_fma_f64 v[32:33], v[16:17], v[30:31], v[32:33]
	v_fma_f64 v[36:37], v[36:37], v[40:41], v[50:51]
	v_add_f64 v[3:4], v[3:4], v[44:45]
	v_add_f64 v[38:39], v[28:29], v[38:39]
	ds_read_b128 v[14:17], v22 offset:160
	ds_read_b128 v[28:31], v22 offset:176
	;; [unrolled: 1-line block ×3, first 2 shown]
	v_fma_f64 v[46:47], v[34:35], v[40:41], -v[46:47]
	s_waitcnt lgkmcnt(2)
	v_mul_f64 v[40:41], v[16:17], v[26:27]
	v_mul_f64 v[26:27], v[14:15], v[26:27]
	v_add_f64 v[3:4], v[3:4], v[48:49]
	v_add_f64 v[38:39], v[38:39], v[32:33]
	s_waitcnt lgkmcnt(0)
	v_mul_f64 v[48:49], v[30:31], v[44:45]
	v_mul_f64 v[44:45], v[28:29], v[44:45]
	ds_read_b128 v[32:35], v20 offset:3072
	v_fma_f64 v[40:41], v[14:15], v[24:25], -v[40:41]
	v_fma_f64 v[50:51], v[16:17], v[24:25], v[26:27]
	v_add_f64 v[3:4], v[3:4], v[46:47]
	v_add_f64 v[46:47], v[38:39], v[36:37]
	ds_read_b128 v[14:17], v22 offset:192
	ds_read_b128 v[24:27], v22 offset:208
	;; [unrolled: 1-line block ×3, first 2 shown]
	v_fma_f64 v[48:49], v[28:29], v[42:43], -v[48:49]
	v_fma_f64 v[42:43], v[30:31], v[42:43], v[44:45]
	s_waitcnt lgkmcnt(2)
	v_mul_f64 v[44:45], v[16:17], v[34:35]
	v_mul_f64 v[34:35], v[14:15], v[34:35]
	ds_read_b128 v[28:31], v20 offset:3584
	v_add_f64 v[3:4], v[3:4], v[40:41]
	v_add_f64 v[40:41], v[46:47], v[50:51]
	s_waitcnt lgkmcnt(1)
	v_mul_f64 v[46:47], v[26:27], v[38:39]
	v_mul_f64 v[50:51], v[24:25], v[38:39]
	v_fma_f64 v[44:45], v[14:15], v[32:33], -v[44:45]
	v_fma_f64 v[52:53], v[16:17], v[32:33], v[34:35]
	v_add_f64 v[3:4], v[3:4], v[48:49]
	v_add_f64 v[42:43], v[40:41], v[42:43]
	ds_read_b128 v[14:17], v22 offset:224
	ds_read_b128 v[32:35], v22 offset:240
	;; [unrolled: 1-line block ×3, first 2 shown]
	v_fma_f64 v[24:25], v[24:25], v[36:37], -v[46:47]
	v_fma_f64 v[26:27], v[26:27], v[36:37], v[50:51]
	s_waitcnt lgkmcnt(2)
	v_mul_f64 v[36:37], v[16:17], v[30:31]
	v_mul_f64 v[30:31], v[14:15], v[30:31]
	s_waitcnt lgkmcnt(0)
	v_add_f64 v[3:4], v[3:4], v[44:45]
	v_add_f64 v[42:43], v[42:43], v[52:53]
	v_mul_f64 v[44:45], v[34:35], v[40:41]
	v_mul_f64 v[40:41], v[32:33], v[40:41]
	s_barrier
	v_fma_f64 v[14:15], v[14:15], v[28:29], -v[36:37]
	v_fma_f64 v[16:17], v[16:17], v[28:29], v[30:31]
	v_add_f64 v[3:4], v[3:4], v[24:25]
	v_add_f64 v[24:25], v[42:43], v[26:27]
	v_fma_f64 v[26:27], v[32:33], v[38:39], -v[44:45]
	v_fma_f64 v[28:29], v[34:35], v[38:39], v[40:41]
	v_add_f64 v[3:4], v[3:4], v[14:15]
	v_add_f64 v[14:15], v[24:25], v[16:17]
	;; [unrolled: 1-line block ×4, first 2 shown]
	s_cbranch_vccnz .LBB1821_12
.LBB1821_3:                             ; =>This Inner Loop Header: Depth=1
	v_mov_b32_e32 v4, s3
	v_add_co_u32_e32 v3, vcc, s2, v1
	v_addc_co_u32_e32 v4, vcc, 0, v4, vcc
	v_cmp_le_i64_e32 vcc, s[12:13], v[3:4]
	s_or_b64 s[0:1], s[4:5], vcc
	s_and_saveexec_b64 s[10:11], s[0:1]
	s_xor_b64 s[0:1], exec, s[10:11]
; %bb.4:                                ;   in Loop: Header=BB1821_3 Depth=1
	v_mov_b32_e32 v3, v2
	v_mov_b32_e32 v4, v2
	;; [unrolled: 1-line block ×3, first 2 shown]
	ds_write_b128 v21, v[2:5]
; %bb.5:                                ;   in Loop: Header=BB1821_3 Depth=1
	s_andn2_saveexec_b64 s[0:1], s[0:1]
	s_cbranch_execz .LBB1821_7
; %bb.6:                                ;   in Loop: Header=BB1821_3 Depth=1
	flat_load_dwordx4 v[24:27], v[10:11]
	s_waitcnt vmcnt(0) lgkmcnt(0)
	ds_write2_b64 v21, v[24:25], v[26:27] offset1:1
.LBB1821_7:                             ;   in Loop: Header=BB1821_3 Depth=1
	s_or_b64 exec, exec, s[0:1]
	v_mov_b32_e32 v4, s3
	v_add_co_u32_e32 v3, vcc, s2, v0
	v_addc_co_u32_e32 v4, vcc, 0, v4, vcc
	v_cmp_le_i64_e32 vcc, s[12:13], v[3:4]
	s_or_b64 s[0:1], s[6:7], vcc
	s_and_saveexec_b64 s[10:11], s[0:1]
	s_xor_b64 s[0:1], exec, s[10:11]
; %bb.8:                                ;   in Loop: Header=BB1821_3 Depth=1
	v_mov_b32_e32 v3, v2
	v_mov_b32_e32 v4, v2
	;; [unrolled: 1-line block ×3, first 2 shown]
	ds_write_b128 v23, v[2:5]
; %bb.9:                                ;   in Loop: Header=BB1821_3 Depth=1
	s_andn2_saveexec_b64 s[0:1], s[0:1]
	s_cbranch_execz .LBB1821_2
; %bb.10:                               ;   in Loop: Header=BB1821_3 Depth=1
	flat_load_dwordx4 v[24:27], v[8:9]
	s_waitcnt vmcnt(0) lgkmcnt(0)
	ds_write2_b64 v23, v[24:25], v[26:27] offset1:1
	s_branch .LBB1821_2
.LBB1821_11:
	v_mov_b32_e32 v14, 0
	v_mov_b32_e32 v16, 0
	;; [unrolled: 1-line block ×4, first 2 shown]
.LBB1821_12:
	v_cmp_le_i32_e32 vcc, v18, v6
	v_cmp_gt_i32_e64 s[0:1], s24, v6
	s_and_b64 s[0:1], vcc, s[0:1]
	s_and_saveexec_b64 s[2:3], s[0:1]
	s_cbranch_execz .LBB1821_14
; %bb.13:
	v_mul_f64 v[2:3], s[14:15], v[14:15]
	v_mul_f64 v[0:1], s[16:17], v[14:15]
	v_mul_lo_u32 v8, s23, v18
	v_mul_lo_u32 v9, s22, v19
	v_mad_u64_u32 v[4:5], s[0:1], s22, v18, 0
	v_add3_u32 v5, v5, v9, v8
	v_fma_f64 v[2:3], s[16:17], v[16:17], v[2:3]
	v_lshlrev_b64 v[4:5], 4, v[4:5]
	v_fma_f64 v[0:1], s[14:15], v[16:17], -v[0:1]
	s_waitcnt lgkmcnt(0)
	v_mov_b32_e32 v8, s9
	v_add_co_u32_e32 v9, vcc, s8, v4
	v_addc_co_u32_e32 v8, vcc, v8, v5, vcc
	v_lshlrev_b64 v[4:5], 4, v[6:7]
	v_add_co_u32_e32 v4, vcc, v9, v4
	v_addc_co_u32_e32 v5, vcc, v8, v5, vcc
	v_cmp_ne_u32_e32 vcc, v6, v18
	v_cndmask_b32_e32 v3, 0, v3, vcc
	v_cndmask_b32_e32 v2, 0, v2, vcc
	flat_store_dwordx4 v[4:5], v[0:3]
.LBB1821_14:
	s_endpgm
	.section	.rodata,"a",@progbits
	.p2align	6, 0x0
	.amdhsa_kernel _ZL32rocblas_syrkx_herkx_small_kernelIl19rocblas_complex_numIdELi16ELb1ELb1ELc84ELc76EKPKS1_KPS1_EviT_T0_PT6_S7_lSA_S7_lS8_PT7_S7_li
		.amdhsa_group_segment_fixed_size 8192
		.amdhsa_private_segment_fixed_size 0
		.amdhsa_kernarg_size 124
		.amdhsa_user_sgpr_count 6
		.amdhsa_user_sgpr_private_segment_buffer 1
		.amdhsa_user_sgpr_dispatch_ptr 0
		.amdhsa_user_sgpr_queue_ptr 0
		.amdhsa_user_sgpr_kernarg_segment_ptr 1
		.amdhsa_user_sgpr_dispatch_id 0
		.amdhsa_user_sgpr_flat_scratch_init 0
		.amdhsa_user_sgpr_private_segment_size 0
		.amdhsa_uses_dynamic_stack 0
		.amdhsa_system_sgpr_private_segment_wavefront_offset 0
		.amdhsa_system_sgpr_workgroup_id_x 1
		.amdhsa_system_sgpr_workgroup_id_y 1
		.amdhsa_system_sgpr_workgroup_id_z 1
		.amdhsa_system_sgpr_workgroup_info 0
		.amdhsa_system_vgpr_workitem_id 1
		.amdhsa_next_free_vgpr 54
		.amdhsa_next_free_sgpr 61
		.amdhsa_reserve_vcc 1
		.amdhsa_reserve_flat_scratch 0
		.amdhsa_float_round_mode_32 0
		.amdhsa_float_round_mode_16_64 0
		.amdhsa_float_denorm_mode_32 3
		.amdhsa_float_denorm_mode_16_64 3
		.amdhsa_dx10_clamp 1
		.amdhsa_ieee_mode 1
		.amdhsa_fp16_overflow 0
		.amdhsa_exception_fp_ieee_invalid_op 0
		.amdhsa_exception_fp_denorm_src 0
		.amdhsa_exception_fp_ieee_div_zero 0
		.amdhsa_exception_fp_ieee_overflow 0
		.amdhsa_exception_fp_ieee_underflow 0
		.amdhsa_exception_fp_ieee_inexact 0
		.amdhsa_exception_int_div_zero 0
	.end_amdhsa_kernel
	.section	.text._ZL32rocblas_syrkx_herkx_small_kernelIl19rocblas_complex_numIdELi16ELb1ELb1ELc84ELc76EKPKS1_KPS1_EviT_T0_PT6_S7_lSA_S7_lS8_PT7_S7_li,"axG",@progbits,_ZL32rocblas_syrkx_herkx_small_kernelIl19rocblas_complex_numIdELi16ELb1ELb1ELc84ELc76EKPKS1_KPS1_EviT_T0_PT6_S7_lSA_S7_lS8_PT7_S7_li,comdat
.Lfunc_end1821:
	.size	_ZL32rocblas_syrkx_herkx_small_kernelIl19rocblas_complex_numIdELi16ELb1ELb1ELc84ELc76EKPKS1_KPS1_EviT_T0_PT6_S7_lSA_S7_lS8_PT7_S7_li, .Lfunc_end1821-_ZL32rocblas_syrkx_herkx_small_kernelIl19rocblas_complex_numIdELi16ELb1ELb1ELc84ELc76EKPKS1_KPS1_EviT_T0_PT6_S7_lSA_S7_lS8_PT7_S7_li
                                        ; -- End function
	.set _ZL32rocblas_syrkx_herkx_small_kernelIl19rocblas_complex_numIdELi16ELb1ELb1ELc84ELc76EKPKS1_KPS1_EviT_T0_PT6_S7_lSA_S7_lS8_PT7_S7_li.num_vgpr, 54
	.set _ZL32rocblas_syrkx_herkx_small_kernelIl19rocblas_complex_numIdELi16ELb1ELb1ELc84ELc76EKPKS1_KPS1_EviT_T0_PT6_S7_lSA_S7_lS8_PT7_S7_li.num_agpr, 0
	.set _ZL32rocblas_syrkx_herkx_small_kernelIl19rocblas_complex_numIdELi16ELb1ELb1ELc84ELc76EKPKS1_KPS1_EviT_T0_PT6_S7_lSA_S7_lS8_PT7_S7_li.numbered_sgpr, 32
	.set _ZL32rocblas_syrkx_herkx_small_kernelIl19rocblas_complex_numIdELi16ELb1ELb1ELc84ELc76EKPKS1_KPS1_EviT_T0_PT6_S7_lSA_S7_lS8_PT7_S7_li.num_named_barrier, 0
	.set _ZL32rocblas_syrkx_herkx_small_kernelIl19rocblas_complex_numIdELi16ELb1ELb1ELc84ELc76EKPKS1_KPS1_EviT_T0_PT6_S7_lSA_S7_lS8_PT7_S7_li.private_seg_size, 0
	.set _ZL32rocblas_syrkx_herkx_small_kernelIl19rocblas_complex_numIdELi16ELb1ELb1ELc84ELc76EKPKS1_KPS1_EviT_T0_PT6_S7_lSA_S7_lS8_PT7_S7_li.uses_vcc, 1
	.set _ZL32rocblas_syrkx_herkx_small_kernelIl19rocblas_complex_numIdELi16ELb1ELb1ELc84ELc76EKPKS1_KPS1_EviT_T0_PT6_S7_lSA_S7_lS8_PT7_S7_li.uses_flat_scratch, 0
	.set _ZL32rocblas_syrkx_herkx_small_kernelIl19rocblas_complex_numIdELi16ELb1ELb1ELc84ELc76EKPKS1_KPS1_EviT_T0_PT6_S7_lSA_S7_lS8_PT7_S7_li.has_dyn_sized_stack, 0
	.set _ZL32rocblas_syrkx_herkx_small_kernelIl19rocblas_complex_numIdELi16ELb1ELb1ELc84ELc76EKPKS1_KPS1_EviT_T0_PT6_S7_lSA_S7_lS8_PT7_S7_li.has_recursion, 0
	.set _ZL32rocblas_syrkx_herkx_small_kernelIl19rocblas_complex_numIdELi16ELb1ELb1ELc84ELc76EKPKS1_KPS1_EviT_T0_PT6_S7_lSA_S7_lS8_PT7_S7_li.has_indirect_call, 0
	.section	.AMDGPU.csdata,"",@progbits
; Kernel info:
; codeLenInByte = 1864
; TotalNumSgprs: 36
; NumVgprs: 54
; ScratchSize: 0
; MemoryBound: 0
; FloatMode: 240
; IeeeMode: 1
; LDSByteSize: 8192 bytes/workgroup (compile time only)
; SGPRBlocks: 8
; VGPRBlocks: 13
; NumSGPRsForWavesPerEU: 65
; NumVGPRsForWavesPerEU: 54
; Occupancy: 4
; WaveLimiterHint : 1
; COMPUTE_PGM_RSRC2:SCRATCH_EN: 0
; COMPUTE_PGM_RSRC2:USER_SGPR: 6
; COMPUTE_PGM_RSRC2:TRAP_HANDLER: 0
; COMPUTE_PGM_RSRC2:TGID_X_EN: 1
; COMPUTE_PGM_RSRC2:TGID_Y_EN: 1
; COMPUTE_PGM_RSRC2:TGID_Z_EN: 1
; COMPUTE_PGM_RSRC2:TIDIG_COMP_CNT: 1
	.section	.text._ZL32rocblas_syrkx_herkx_small_kernelIl19rocblas_complex_numIdELi16ELb1ELb1ELc67ELc76EKPKS1_KPS1_EviT_T0_PT6_S7_lSA_S7_lS8_PT7_S7_li,"axG",@progbits,_ZL32rocblas_syrkx_herkx_small_kernelIl19rocblas_complex_numIdELi16ELb1ELb1ELc67ELc76EKPKS1_KPS1_EviT_T0_PT6_S7_lSA_S7_lS8_PT7_S7_li,comdat
	.globl	_ZL32rocblas_syrkx_herkx_small_kernelIl19rocblas_complex_numIdELi16ELb1ELb1ELc67ELc76EKPKS1_KPS1_EviT_T0_PT6_S7_lSA_S7_lS8_PT7_S7_li ; -- Begin function _ZL32rocblas_syrkx_herkx_small_kernelIl19rocblas_complex_numIdELi16ELb1ELb1ELc67ELc76EKPKS1_KPS1_EviT_T0_PT6_S7_lSA_S7_lS8_PT7_S7_li
	.p2align	8
	.type	_ZL32rocblas_syrkx_herkx_small_kernelIl19rocblas_complex_numIdELi16ELb1ELb1ELc67ELc76EKPKS1_KPS1_EviT_T0_PT6_S7_lSA_S7_lS8_PT7_S7_li,@function
_ZL32rocblas_syrkx_herkx_small_kernelIl19rocblas_complex_numIdELi16ELb1ELb1ELc67ELc76EKPKS1_KPS1_EviT_T0_PT6_S7_lSA_S7_lS8_PT7_S7_li: ; @_ZL32rocblas_syrkx_herkx_small_kernelIl19rocblas_complex_numIdELi16ELb1ELb1ELc67ELc76EKPKS1_KPS1_EviT_T0_PT6_S7_lSA_S7_lS8_PT7_S7_li
; %bb.0:
	s_load_dwordx2 s[10:11], s[4:5], 0x28
	s_load_dwordx4 s[20:23], s[4:5], 0x60
	s_load_dword s24, s[4:5], 0x0
	s_load_dwordx8 s[12:19], s[4:5], 0x8
	s_mov_b32 s9, 0
	s_lshl_b64 s[2:3], s[8:9], 3
	s_waitcnt lgkmcnt(0)
	s_add_u32 s0, s20, s2
	s_addc_u32 s1, s21, s3
	s_load_dwordx2 s[8:9], s[0:1], 0x0
	v_cmp_lt_i64_e64 s[0:1], s[12:13], 1
	v_lshl_add_u32 v7, s6, 4, v0
	v_lshl_add_u32 v19, s7, 4, v1
	s_and_b64 vcc, exec, s[0:1]
	v_cmp_gt_i32_e64 s[0:1], s24, v7
	v_ashrrev_i32_e32 v8, 31, v7
	v_ashrrev_i32_e32 v20, 31, v19
	s_cbranch_vccnz .LBB1822_9
; %bb.1:
	s_load_dwordx4 s[28:31], s[4:5], 0x38
	v_lshlrev_b32_e32 v5, 8, v1
	v_lshlrev_b32_e32 v21, 4, v0
	v_add_u32_e32 v22, v21, v5
	v_add_u32_e32 v23, 0x1000, v5
	s_waitcnt lgkmcnt(0)
	s_add_u32 s4, s28, s2
	s_addc_u32 s5, s29, s3
	s_add_u32 s2, s18, s2
	s_addc_u32 s3, s19, s3
	s_load_dwordx2 s[6:7], s[2:3], 0x0
	v_mul_lo_u32 v6, s31, v19
	v_mul_lo_u32 v9, s30, v20
	v_mad_u64_u32 v[3:4], s[2:3], s30, v19, 0
	s_load_dwordx2 s[4:5], s[4:5], 0x0
	v_mul_lo_u32 v11, s11, v7
	v_add3_u32 v4, v4, v9, v6
	v_lshlrev_b64 v[3:4], 4, v[3:4]
	v_mul_lo_u32 v12, s10, v8
	v_add_co_u32_e64 v5, s[2:3], v3, v21
	v_addc_co_u32_e64 v6, s[2:3], 0, v4, s[2:3]
	v_mad_u64_u32 v[3:4], s[2:3], s10, v7, 0
	s_waitcnt lgkmcnt(0)
	v_mov_b32_e32 v10, s5
	v_add_co_u32_e64 v9, s[2:3], s4, v5
	v_add3_u32 v4, v4, v12, v11
	v_lshlrev_b64 v[3:4], 4, v[3:4]
	v_addc_co_u32_e64 v10, s[2:3], v10, v6, s[2:3]
	v_lshlrev_b32_e32 v5, 4, v1
	v_add_co_u32_e64 v3, s[2:3], v3, v5
	v_addc_co_u32_e64 v4, s[2:3], 0, v4, s[2:3]
	v_cmp_gt_i32_e32 vcc, s24, v19
	v_mov_b32_e32 v5, s7
	v_add_co_u32_e64 v11, s[2:3], s6, v3
	v_mov_b32_e32 v15, 0
	v_mov_b32_e32 v17, 0
	;; [unrolled: 1-line block ×4, first 2 shown]
	v_add_u32_e32 v24, v23, v21
	v_addc_co_u32_e64 v12, s[2:3], v5, v4, s[2:3]
	v_mov_b32_e32 v16, 0
	s_mov_b64 s[4:5], 0
	s_xor_b64 s[6:7], vcc, -1
	v_mov_b32_e32 v18, 0
	v_mov_b32_e32 v13, s12
	s_branch .LBB1822_3
.LBB1822_2:                             ;   in Loop: Header=BB1822_3 Depth=1
	s_or_b64 exec, exec, s[2:3]
	s_waitcnt lgkmcnt(0)
	s_barrier
	ds_read_b128 v[3:6], v21
	ds_read_b128 v[25:28], v23
	ds_read_b128 v[29:32], v23 offset:16
	ds_read_b128 v[33:36], v21 offset:256
	s_add_u32 s4, s4, 16
	v_add_co_u32_e32 v9, vcc, 0x100, v9
	s_waitcnt lgkmcnt(2)
	v_mul_f64 v[39:40], v[27:28], v[5:6]
	v_mul_f64 v[5:6], v[25:26], v[5:6]
	s_waitcnt lgkmcnt(0)
	v_mul_f64 v[43:44], v[31:32], v[35:36]
	v_mul_f64 v[45:46], v[29:30], v[35:36]
	ds_read_b128 v[35:38], v21 offset:512
	s_addc_u32 s5, s5, 0
	v_addc_co_u32_e32 v10, vcc, 0, v10, vcc
	v_fma_f64 v[47:48], v[25:26], v[3:4], -v[39:40]
	v_fma_f64 v[49:50], v[27:28], v[3:4], v[5:6]
	ds_read_b128 v[3:6], v23 offset:32
	ds_read_b128 v[25:28], v23 offset:48
	;; [unrolled: 1-line block ×3, first 2 shown]
	v_fma_f64 v[29:30], v[29:30], v[33:34], -v[43:44]
	v_fma_f64 v[31:32], v[31:32], v[33:34], v[45:46]
	s_waitcnt lgkmcnt(2)
	v_mul_f64 v[33:34], v[5:6], v[37:38]
	v_mul_f64 v[37:38], v[3:4], v[37:38]
	v_add_co_u32_e32 v11, vcc, 0x100, v11
	v_add_f64 v[43:44], v[17:18], v[47:48]
	v_add_f64 v[45:46], v[15:16], v[49:50]
	s_waitcnt lgkmcnt(0)
	v_mul_f64 v[47:48], v[27:28], v[41:42]
	v_mul_f64 v[41:42], v[25:26], v[41:42]
	v_fma_f64 v[49:50], v[3:4], v[35:36], -v[33:34]
	v_fma_f64 v[37:38], v[5:6], v[35:36], v[37:38]
	ds_read_b128 v[15:18], v21 offset:1024
	v_cmp_ge_i64_e64 s[2:3], s[4:5], v[13:14]
	v_add_f64 v[43:44], v[43:44], v[29:30]
	v_add_f64 v[45:46], v[45:46], v[31:32]
	ds_read_b128 v[3:6], v23 offset:64
	ds_read_b128 v[29:32], v23 offset:80
	;; [unrolled: 1-line block ×3, first 2 shown]
	v_fma_f64 v[47:48], v[25:26], v[39:40], -v[47:48]
	v_fma_f64 v[39:40], v[27:28], v[39:40], v[41:42]
	s_waitcnt lgkmcnt(2)
	v_mul_f64 v[41:42], v[5:6], v[17:18]
	v_mul_f64 v[17:18], v[3:4], v[17:18]
	ds_read_b128 v[25:28], v21 offset:1536
	v_add_f64 v[43:44], v[43:44], v[49:50]
	v_add_f64 v[37:38], v[45:46], v[37:38]
	s_waitcnt lgkmcnt(1)
	v_mul_f64 v[45:46], v[31:32], v[35:36]
	v_mul_f64 v[49:50], v[29:30], v[35:36]
	v_addc_co_u32_e32 v12, vcc, 0, v12, vcc
	v_fma_f64 v[41:42], v[3:4], v[15:16], -v[41:42]
	v_fma_f64 v[51:52], v[5:6], v[15:16], v[17:18]
	v_add_f64 v[43:44], v[43:44], v[47:48]
	v_add_f64 v[39:40], v[37:38], v[39:40]
	ds_read_b128 v[3:6], v23 offset:96
	ds_read_b128 v[15:18], v23 offset:112
	;; [unrolled: 1-line block ×3, first 2 shown]
	v_fma_f64 v[45:46], v[29:30], v[33:34], -v[45:46]
	v_fma_f64 v[31:32], v[31:32], v[33:34], v[49:50]
	s_waitcnt lgkmcnt(2)
	v_mul_f64 v[33:34], v[5:6], v[27:28]
	v_mul_f64 v[47:48], v[3:4], v[27:28]
	s_waitcnt lgkmcnt(0)
	v_mul_f64 v[49:50], v[15:16], v[37:38]
	v_add_f64 v[41:42], v[43:44], v[41:42]
	v_add_f64 v[39:40], v[39:40], v[51:52]
	v_mul_f64 v[43:44], v[17:18], v[37:38]
	ds_read_b128 v[27:30], v21 offset:2048
	s_and_b64 vcc, exec, s[2:3]
	v_fma_f64 v[51:52], v[3:4], v[25:26], -v[33:34]
	v_fma_f64 v[25:26], v[5:6], v[25:26], v[47:48]
	v_add_f64 v[41:42], v[41:42], v[45:46]
	v_add_f64 v[45:46], v[39:40], v[31:32]
	ds_read_b128 v[3:6], v23 offset:128
	ds_read_b128 v[31:34], v23 offset:144
	;; [unrolled: 1-line block ×3, first 2 shown]
	v_fma_f64 v[43:44], v[15:16], v[35:36], -v[43:44]
	v_fma_f64 v[35:36], v[17:18], v[35:36], v[49:50]
	s_waitcnt lgkmcnt(2)
	v_mul_f64 v[47:48], v[5:6], v[29:30]
	v_mul_f64 v[29:30], v[3:4], v[29:30]
	s_waitcnt lgkmcnt(0)
	v_mul_f64 v[49:50], v[31:32], v[39:40]
	v_add_f64 v[41:42], v[41:42], v[51:52]
	v_add_f64 v[25:26], v[45:46], v[25:26]
	v_mul_f64 v[45:46], v[33:34], v[39:40]
	ds_read_b128 v[15:18], v21 offset:2560
	v_fma_f64 v[47:48], v[3:4], v[27:28], -v[47:48]
	v_fma_f64 v[29:30], v[5:6], v[27:28], v[29:30]
	v_fma_f64 v[33:34], v[33:34], v[37:38], v[49:50]
	v_add_f64 v[43:44], v[41:42], v[43:44]
	v_add_f64 v[35:36], v[25:26], v[35:36]
	ds_read_b128 v[3:6], v23 offset:160
	ds_read_b128 v[25:28], v23 offset:176
	;; [unrolled: 1-line block ×3, first 2 shown]
	v_fma_f64 v[45:46], v[31:32], v[37:38], -v[45:46]
	s_waitcnt lgkmcnt(2)
	v_mul_f64 v[37:38], v[5:6], v[17:18]
	v_mul_f64 v[17:18], v[3:4], v[17:18]
	v_add_f64 v[43:44], v[43:44], v[47:48]
	v_add_f64 v[35:36], v[35:36], v[29:30]
	s_waitcnt lgkmcnt(0)
	v_mul_f64 v[47:48], v[27:28], v[41:42]
	v_mul_f64 v[41:42], v[25:26], v[41:42]
	ds_read_b128 v[29:32], v21 offset:3072
	v_fma_f64 v[37:38], v[3:4], v[15:16], -v[37:38]
	v_fma_f64 v[49:50], v[5:6], v[15:16], v[17:18]
	v_add_f64 v[43:44], v[43:44], v[45:46]
	v_add_f64 v[45:46], v[35:36], v[33:34]
	ds_read_b128 v[3:6], v23 offset:192
	ds_read_b128 v[15:18], v23 offset:208
	ds_read_b128 v[33:36], v21 offset:3328
	v_fma_f64 v[47:48], v[25:26], v[39:40], -v[47:48]
	v_fma_f64 v[39:40], v[27:28], v[39:40], v[41:42]
	s_waitcnt lgkmcnt(2)
	v_mul_f64 v[41:42], v[5:6], v[31:32]
	v_mul_f64 v[31:32], v[3:4], v[31:32]
	ds_read_b128 v[25:28], v21 offset:3584
	v_add_f64 v[37:38], v[43:44], v[37:38]
	v_add_f64 v[43:44], v[45:46], v[49:50]
	s_waitcnt lgkmcnt(1)
	v_mul_f64 v[45:46], v[17:18], v[35:36]
	v_mul_f64 v[49:50], v[15:16], v[35:36]
	v_fma_f64 v[41:42], v[3:4], v[29:30], -v[41:42]
	v_fma_f64 v[51:52], v[5:6], v[29:30], v[31:32]
	v_add_f64 v[47:48], v[37:38], v[47:48]
	v_add_f64 v[39:40], v[43:44], v[39:40]
	ds_read_b128 v[3:6], v23 offset:224
	ds_read_b128 v[29:32], v23 offset:240
	;; [unrolled: 1-line block ×3, first 2 shown]
	v_fma_f64 v[15:16], v[15:16], v[33:34], -v[45:46]
	v_fma_f64 v[17:18], v[17:18], v[33:34], v[49:50]
	s_waitcnt lgkmcnt(2)
	v_mul_f64 v[33:34], v[5:6], v[27:28]
	v_mul_f64 v[27:28], v[3:4], v[27:28]
	s_waitcnt lgkmcnt(0)
	v_mul_f64 v[43:44], v[31:32], v[37:38]
	v_add_f64 v[41:42], v[47:48], v[41:42]
	v_add_f64 v[39:40], v[39:40], v[51:52]
	v_mul_f64 v[37:38], v[29:30], v[37:38]
	s_barrier
	v_fma_f64 v[3:4], v[3:4], v[25:26], -v[33:34]
	v_fma_f64 v[5:6], v[5:6], v[25:26], v[27:28]
	v_fma_f64 v[25:26], v[29:30], v[35:36], -v[43:44]
	v_add_f64 v[15:16], v[41:42], v[15:16]
	v_add_f64 v[17:18], v[39:40], v[17:18]
	v_fma_f64 v[27:28], v[31:32], v[35:36], v[37:38]
	v_add_f64 v[3:4], v[15:16], v[3:4]
	v_add_f64 v[5:6], v[17:18], v[5:6]
	;; [unrolled: 1-line block ×4, first 2 shown]
	s_cbranch_vccnz .LBB1822_10
.LBB1822_3:                             ; =>This Inner Loop Header: Depth=1
	v_mov_b32_e32 v4, s5
	v_add_co_u32_e32 v3, vcc, s4, v1
	v_addc_co_u32_e32 v4, vcc, 0, v4, vcc
	v_cmp_gt_i64_e32 vcc, s[12:13], v[3:4]
	v_mov_b32_e32 v3, 0
	v_mov_b32_e32 v5, 0
	;; [unrolled: 1-line block ×4, first 2 shown]
	s_and_b64 s[10:11], s[0:1], vcc
	s_and_saveexec_b64 s[2:3], s[10:11]
	s_cbranch_execz .LBB1822_5
; %bb.4:                                ;   in Loop: Header=BB1822_3 Depth=1
	flat_load_dwordx4 v[3:6], v[11:12]
	s_waitcnt vmcnt(0) lgkmcnt(0)
	v_xor_b32_e32 v6, 0x80000000, v6
.LBB1822_5:                             ;   in Loop: Header=BB1822_3 Depth=1
	s_or_b64 exec, exec, s[2:3]
	v_mov_b32_e32 v26, s5
	v_add_co_u32_e32 v25, vcc, s4, v0
	v_addc_co_u32_e32 v26, vcc, 0, v26, vcc
	v_cmp_le_i64_e32 vcc, s[12:13], v[25:26]
	ds_write_b128 v22, v[3:6]
	s_or_b64 s[2:3], s[6:7], vcc
	s_and_saveexec_b64 s[10:11], s[2:3]
	s_xor_b64 s[2:3], exec, s[10:11]
; %bb.6:                                ;   in Loop: Header=BB1822_3 Depth=1
	v_mov_b32_e32 v3, v2
	v_mov_b32_e32 v4, v2
	;; [unrolled: 1-line block ×3, first 2 shown]
	ds_write_b128 v24, v[2:5]
; %bb.7:                                ;   in Loop: Header=BB1822_3 Depth=1
	s_andn2_saveexec_b64 s[2:3], s[2:3]
	s_cbranch_execz .LBB1822_2
; %bb.8:                                ;   in Loop: Header=BB1822_3 Depth=1
	flat_load_dwordx4 v[3:6], v[9:10]
	s_waitcnt vmcnt(0) lgkmcnt(0)
	ds_write2_b64 v24, v[3:4], v[5:6] offset1:1
	s_branch .LBB1822_2
.LBB1822_9:
	v_mov_b32_e32 v15, 0
	v_mov_b32_e32 v17, 0
	;; [unrolled: 1-line block ×4, first 2 shown]
.LBB1822_10:
	v_cmp_le_i32_e32 vcc, v19, v7
	v_cmp_gt_i32_e64 s[0:1], s24, v7
	s_and_b64 s[0:1], vcc, s[0:1]
	s_and_saveexec_b64 s[2:3], s[0:1]
	s_cbranch_execz .LBB1822_12
; %bb.11:
	v_mul_f64 v[2:3], s[14:15], v[15:16]
	v_mul_f64 v[0:1], s[16:17], v[15:16]
	v_mul_lo_u32 v6, s23, v19
	v_mul_lo_u32 v9, s22, v20
	v_mad_u64_u32 v[4:5], s[0:1], s22, v19, 0
	v_add3_u32 v5, v5, v9, v6
	v_fma_f64 v[2:3], s[16:17], v[17:18], v[2:3]
	v_lshlrev_b64 v[4:5], 4, v[4:5]
	v_fma_f64 v[0:1], s[14:15], v[17:18], -v[0:1]
	s_waitcnt lgkmcnt(0)
	v_mov_b32_e32 v6, s9
	v_add_co_u32_e32 v9, vcc, s8, v4
	v_addc_co_u32_e32 v6, vcc, v6, v5, vcc
	v_lshlrev_b64 v[4:5], 4, v[7:8]
	v_add_co_u32_e32 v4, vcc, v9, v4
	v_addc_co_u32_e32 v5, vcc, v6, v5, vcc
	v_cmp_ne_u32_e32 vcc, v7, v19
	v_cndmask_b32_e32 v3, 0, v3, vcc
	v_cndmask_b32_e32 v2, 0, v2, vcc
	flat_store_dwordx4 v[4:5], v[0:3]
.LBB1822_12:
	s_endpgm
	.section	.rodata,"a",@progbits
	.p2align	6, 0x0
	.amdhsa_kernel _ZL32rocblas_syrkx_herkx_small_kernelIl19rocblas_complex_numIdELi16ELb1ELb1ELc67ELc76EKPKS1_KPS1_EviT_T0_PT6_S7_lSA_S7_lS8_PT7_S7_li
		.amdhsa_group_segment_fixed_size 8192
		.amdhsa_private_segment_fixed_size 0
		.amdhsa_kernarg_size 124
		.amdhsa_user_sgpr_count 6
		.amdhsa_user_sgpr_private_segment_buffer 1
		.amdhsa_user_sgpr_dispatch_ptr 0
		.amdhsa_user_sgpr_queue_ptr 0
		.amdhsa_user_sgpr_kernarg_segment_ptr 1
		.amdhsa_user_sgpr_dispatch_id 0
		.amdhsa_user_sgpr_flat_scratch_init 0
		.amdhsa_user_sgpr_private_segment_size 0
		.amdhsa_uses_dynamic_stack 0
		.amdhsa_system_sgpr_private_segment_wavefront_offset 0
		.amdhsa_system_sgpr_workgroup_id_x 1
		.amdhsa_system_sgpr_workgroup_id_y 1
		.amdhsa_system_sgpr_workgroup_id_z 1
		.amdhsa_system_sgpr_workgroup_info 0
		.amdhsa_system_vgpr_workitem_id 1
		.amdhsa_next_free_vgpr 53
		.amdhsa_next_free_sgpr 61
		.amdhsa_reserve_vcc 1
		.amdhsa_reserve_flat_scratch 0
		.amdhsa_float_round_mode_32 0
		.amdhsa_float_round_mode_16_64 0
		.amdhsa_float_denorm_mode_32 3
		.amdhsa_float_denorm_mode_16_64 3
		.amdhsa_dx10_clamp 1
		.amdhsa_ieee_mode 1
		.amdhsa_fp16_overflow 0
		.amdhsa_exception_fp_ieee_invalid_op 0
		.amdhsa_exception_fp_denorm_src 0
		.amdhsa_exception_fp_ieee_div_zero 0
		.amdhsa_exception_fp_ieee_overflow 0
		.amdhsa_exception_fp_ieee_underflow 0
		.amdhsa_exception_fp_ieee_inexact 0
		.amdhsa_exception_int_div_zero 0
	.end_amdhsa_kernel
	.section	.text._ZL32rocblas_syrkx_herkx_small_kernelIl19rocblas_complex_numIdELi16ELb1ELb1ELc67ELc76EKPKS1_KPS1_EviT_T0_PT6_S7_lSA_S7_lS8_PT7_S7_li,"axG",@progbits,_ZL32rocblas_syrkx_herkx_small_kernelIl19rocblas_complex_numIdELi16ELb1ELb1ELc67ELc76EKPKS1_KPS1_EviT_T0_PT6_S7_lSA_S7_lS8_PT7_S7_li,comdat
.Lfunc_end1822:
	.size	_ZL32rocblas_syrkx_herkx_small_kernelIl19rocblas_complex_numIdELi16ELb1ELb1ELc67ELc76EKPKS1_KPS1_EviT_T0_PT6_S7_lSA_S7_lS8_PT7_S7_li, .Lfunc_end1822-_ZL32rocblas_syrkx_herkx_small_kernelIl19rocblas_complex_numIdELi16ELb1ELb1ELc67ELc76EKPKS1_KPS1_EviT_T0_PT6_S7_lSA_S7_lS8_PT7_S7_li
                                        ; -- End function
	.set _ZL32rocblas_syrkx_herkx_small_kernelIl19rocblas_complex_numIdELi16ELb1ELb1ELc67ELc76EKPKS1_KPS1_EviT_T0_PT6_S7_lSA_S7_lS8_PT7_S7_li.num_vgpr, 53
	.set _ZL32rocblas_syrkx_herkx_small_kernelIl19rocblas_complex_numIdELi16ELb1ELb1ELc67ELc76EKPKS1_KPS1_EviT_T0_PT6_S7_lSA_S7_lS8_PT7_S7_li.num_agpr, 0
	.set _ZL32rocblas_syrkx_herkx_small_kernelIl19rocblas_complex_numIdELi16ELb1ELb1ELc67ELc76EKPKS1_KPS1_EviT_T0_PT6_S7_lSA_S7_lS8_PT7_S7_li.numbered_sgpr, 32
	.set _ZL32rocblas_syrkx_herkx_small_kernelIl19rocblas_complex_numIdELi16ELb1ELb1ELc67ELc76EKPKS1_KPS1_EviT_T0_PT6_S7_lSA_S7_lS8_PT7_S7_li.num_named_barrier, 0
	.set _ZL32rocblas_syrkx_herkx_small_kernelIl19rocblas_complex_numIdELi16ELb1ELb1ELc67ELc76EKPKS1_KPS1_EviT_T0_PT6_S7_lSA_S7_lS8_PT7_S7_li.private_seg_size, 0
	.set _ZL32rocblas_syrkx_herkx_small_kernelIl19rocblas_complex_numIdELi16ELb1ELb1ELc67ELc76EKPKS1_KPS1_EviT_T0_PT6_S7_lSA_S7_lS8_PT7_S7_li.uses_vcc, 1
	.set _ZL32rocblas_syrkx_herkx_small_kernelIl19rocblas_complex_numIdELi16ELb1ELb1ELc67ELc76EKPKS1_KPS1_EviT_T0_PT6_S7_lSA_S7_lS8_PT7_S7_li.uses_flat_scratch, 0
	.set _ZL32rocblas_syrkx_herkx_small_kernelIl19rocblas_complex_numIdELi16ELb1ELb1ELc67ELc76EKPKS1_KPS1_EviT_T0_PT6_S7_lSA_S7_lS8_PT7_S7_li.has_dyn_sized_stack, 0
	.set _ZL32rocblas_syrkx_herkx_small_kernelIl19rocblas_complex_numIdELi16ELb1ELb1ELc67ELc76EKPKS1_KPS1_EviT_T0_PT6_S7_lSA_S7_lS8_PT7_S7_li.has_recursion, 0
	.set _ZL32rocblas_syrkx_herkx_small_kernelIl19rocblas_complex_numIdELi16ELb1ELb1ELc67ELc76EKPKS1_KPS1_EviT_T0_PT6_S7_lSA_S7_lS8_PT7_S7_li.has_indirect_call, 0
	.section	.AMDGPU.csdata,"",@progbits
; Kernel info:
; codeLenInByte = 1856
; TotalNumSgprs: 36
; NumVgprs: 53
; ScratchSize: 0
; MemoryBound: 1
; FloatMode: 240
; IeeeMode: 1
; LDSByteSize: 8192 bytes/workgroup (compile time only)
; SGPRBlocks: 8
; VGPRBlocks: 13
; NumSGPRsForWavesPerEU: 65
; NumVGPRsForWavesPerEU: 53
; Occupancy: 4
; WaveLimiterHint : 1
; COMPUTE_PGM_RSRC2:SCRATCH_EN: 0
; COMPUTE_PGM_RSRC2:USER_SGPR: 6
; COMPUTE_PGM_RSRC2:TRAP_HANDLER: 0
; COMPUTE_PGM_RSRC2:TGID_X_EN: 1
; COMPUTE_PGM_RSRC2:TGID_Y_EN: 1
; COMPUTE_PGM_RSRC2:TGID_Z_EN: 1
; COMPUTE_PGM_RSRC2:TIDIG_COMP_CNT: 1
	.section	.text._ZL32rocblas_syrkx_herkx_small_kernelIl19rocblas_complex_numIdELi16ELb1ELb1ELc78ELc76EKPKS1_KPS1_EviT_T0_PT6_S7_lSA_S7_lS8_PT7_S7_li,"axG",@progbits,_ZL32rocblas_syrkx_herkx_small_kernelIl19rocblas_complex_numIdELi16ELb1ELb1ELc78ELc76EKPKS1_KPS1_EviT_T0_PT6_S7_lSA_S7_lS8_PT7_S7_li,comdat
	.globl	_ZL32rocblas_syrkx_herkx_small_kernelIl19rocblas_complex_numIdELi16ELb1ELb1ELc78ELc76EKPKS1_KPS1_EviT_T0_PT6_S7_lSA_S7_lS8_PT7_S7_li ; -- Begin function _ZL32rocblas_syrkx_herkx_small_kernelIl19rocblas_complex_numIdELi16ELb1ELb1ELc78ELc76EKPKS1_KPS1_EviT_T0_PT6_S7_lSA_S7_lS8_PT7_S7_li
	.p2align	8
	.type	_ZL32rocblas_syrkx_herkx_small_kernelIl19rocblas_complex_numIdELi16ELb1ELb1ELc78ELc76EKPKS1_KPS1_EviT_T0_PT6_S7_lSA_S7_lS8_PT7_S7_li,@function
_ZL32rocblas_syrkx_herkx_small_kernelIl19rocblas_complex_numIdELi16ELb1ELb1ELc78ELc76EKPKS1_KPS1_EviT_T0_PT6_S7_lSA_S7_lS8_PT7_S7_li: ; @_ZL32rocblas_syrkx_herkx_small_kernelIl19rocblas_complex_numIdELi16ELb1ELb1ELc78ELc76EKPKS1_KPS1_EviT_T0_PT6_S7_lSA_S7_lS8_PT7_S7_li
; %bb.0:
	s_load_dwordx2 s[24:25], s[4:5], 0x28
	s_load_dwordx4 s[20:23], s[4:5], 0x60
	s_load_dword s26, s[4:5], 0x0
	s_load_dwordx8 s[12:19], s[4:5], 0x8
	s_mov_b32 s9, 0
	s_lshl_b64 s[0:1], s[8:9], 3
	s_waitcnt lgkmcnt(0)
	s_add_u32 s2, s20, s0
	s_addc_u32 s3, s21, s1
	s_load_dwordx2 s[20:21], s[2:3], 0x0
	v_cmp_lt_i64_e64 s[2:3], s[12:13], 1
	v_lshl_add_u32 v7, s6, 4, v0
	v_lshl_add_u32 v9, s7, 4, v1
	s_and_b64 vcc, exec, s[2:3]
	v_cmp_gt_i32_e64 s[2:3], s26, v7
	v_ashrrev_i32_e32 v8, 31, v7
	v_ashrrev_i32_e32 v10, 31, v9
	s_cbranch_vccnz .LBB1823_9
; %bb.1:
	s_load_dwordx4 s[8:11], s[4:5], 0x38
	v_lshlrev_b32_e32 v6, 8, v1
	v_lshlrev_b32_e32 v21, 4, v0
	v_add_u32_e32 v22, v21, v6
	v_add_u32_e32 v23, 0x1000, v6
	s_waitcnt lgkmcnt(0)
	s_add_u32 s4, s8, s0
	v_mad_u64_u32 v[3:4], s[6:7], s10, v0, 0
	s_addc_u32 s5, s9, s1
	s_add_u32 s0, s18, s0
	s_addc_u32 s1, s19, s1
	s_load_dwordx2 s[6:7], s[0:1], 0x0
	v_mad_u64_u32 v[4:5], s[0:1], s11, v0, v[4:5]
	v_mad_u64_u32 v[13:14], s[8:9], s24, v1, 0
	v_lshlrev_b64 v[3:4], 4, v[3:4]
	v_lshlrev_b64 v[5:6], 4, v[9:10]
	s_load_dwordx2 s[4:5], s[4:5], 0x0
	v_add_co_u32_e32 v5, vcc, v3, v5
	v_mov_b32_e32 v3, v14
	v_addc_co_u32_e32 v6, vcc, v4, v6, vcc
	v_mad_u64_u32 v[3:4], s[8:9], s25, v1, v[3:4]
	s_waitcnt lgkmcnt(0)
	v_mov_b32_e32 v12, s5
	v_add_co_u32_e32 v11, vcc, s4, v5
	v_mov_b32_e32 v14, v3
	v_addc_co_u32_e32 v12, vcc, v12, v6, vcc
	v_lshlrev_b64 v[3:4], 4, v[13:14]
	v_lshlrev_b64 v[5:6], 4, v[7:8]
	s_lshl_b64 s[4:5], s[10:11], 8
	v_add_co_u32_e32 v3, vcc, v3, v5
	v_addc_co_u32_e32 v4, vcc, v4, v6, vcc
	v_mov_b32_e32 v5, s7
	v_add_co_u32_e32 v13, vcc, s6, v3
	s_lshl_b64 s[6:7], s[24:25], 8
	v_mov_b32_e32 v17, 0
	v_mov_b32_e32 v19, 0
	;; [unrolled: 1-line block ×4, first 2 shown]
	v_cmp_gt_i32_e64 s[0:1], s26, v9
	v_add_u32_e32 v24, v23, v21
	v_addc_co_u32_e32 v14, vcc, v5, v4, vcc
	v_mov_b32_e32 v18, 0
	s_mov_b64 s[8:9], 0
	s_xor_b64 s[10:11], s[2:3], -1
	v_mov_b32_e32 v25, s5
	v_mov_b32_e32 v26, s7
	;; [unrolled: 1-line block ×4, first 2 shown]
	s_branch .LBB1823_3
.LBB1823_2:                             ;   in Loop: Header=BB1823_3 Depth=1
	s_or_b64 exec, exec, s[2:3]
	ds_write_b128 v24, v[3:6]
	s_waitcnt lgkmcnt(0)
	s_barrier
	ds_read_b128 v[3:6], v21
	ds_read_b128 v[27:30], v23
	ds_read_b128 v[31:34], v23 offset:16
	ds_read_b128 v[35:38], v21 offset:256
	s_add_u32 s8, s8, 16
	v_add_co_u32_e32 v11, vcc, s4, v11
	s_waitcnt lgkmcnt(2)
	v_mul_f64 v[39:40], v[29:30], v[5:6]
	v_mul_f64 v[5:6], v[27:28], v[5:6]
	s_waitcnt lgkmcnt(0)
	v_mul_f64 v[41:42], v[33:34], v[37:38]
	v_mul_f64 v[43:44], v[31:32], v[37:38]
	v_addc_co_u32_e32 v12, vcc, v12, v25, vcc
	s_addc_u32 s9, s9, 0
	v_cmp_ge_i64_e32 vcc, s[8:9], v[15:16]
	v_fma_f64 v[45:46], v[27:28], v[3:4], -v[39:40]
	v_fma_f64 v[47:48], v[29:30], v[3:4], v[5:6]
	ds_read_b128 v[3:6], v21 offset:512
	ds_read_b128 v[27:30], v23 offset:32
	;; [unrolled: 1-line block ×3, first 2 shown]
	v_fma_f64 v[41:42], v[31:32], v[35:36], -v[41:42]
	v_fma_f64 v[35:36], v[33:34], v[35:36], v[43:44]
	ds_read_b128 v[31:34], v21 offset:768
	s_waitcnt lgkmcnt(2)
	v_mul_f64 v[43:44], v[29:30], v[5:6]
	v_mul_f64 v[5:6], v[27:28], v[5:6]
	v_add_f64 v[19:20], v[19:20], v[45:46]
	v_add_f64 v[17:18], v[17:18], v[47:48]
	s_waitcnt lgkmcnt(0)
	v_mul_f64 v[45:46], v[39:40], v[33:34]
	v_mul_f64 v[33:34], v[37:38], v[33:34]
	v_add_co_u32_e64 v13, s[2:3], s6, v13
	v_fma_f64 v[43:44], v[27:28], v[3:4], -v[43:44]
	v_fma_f64 v[47:48], v[29:30], v[3:4], v[5:6]
	v_add_f64 v[41:42], v[19:20], v[41:42]
	v_add_f64 v[35:36], v[17:18], v[35:36]
	ds_read_b128 v[3:6], v23 offset:64
	ds_read_b128 v[17:20], v21 offset:1024
	v_fma_f64 v[37:38], v[37:38], v[31:32], -v[45:46]
	v_fma_f64 v[39:40], v[39:40], v[31:32], v[33:34]
	ds_read_b128 v[27:30], v23 offset:80
	ds_read_b128 v[31:34], v21 offset:1280
	v_addc_co_u32_e64 v14, s[2:3], v14, v26, s[2:3]
	s_waitcnt lgkmcnt(2)
	v_mul_f64 v[45:46], v[5:6], v[19:20]
	v_mul_f64 v[19:20], v[3:4], v[19:20]
	v_add_f64 v[41:42], v[41:42], v[43:44]
	v_add_f64 v[35:36], v[35:36], v[47:48]
	s_waitcnt lgkmcnt(0)
	v_mul_f64 v[43:44], v[29:30], v[33:34]
	v_mul_f64 v[33:34], v[27:28], v[33:34]
	s_and_b64 vcc, exec, vcc
	v_fma_f64 v[45:46], v[3:4], v[17:18], -v[45:46]
	v_fma_f64 v[47:48], v[5:6], v[17:18], v[19:20]
	v_add_f64 v[37:38], v[41:42], v[37:38]
	v_add_f64 v[35:36], v[35:36], v[39:40]
	ds_read_b128 v[3:6], v23 offset:96
	ds_read_b128 v[17:20], v21 offset:1536
	v_fma_f64 v[39:40], v[27:28], v[31:32], -v[43:44]
	v_fma_f64 v[41:42], v[29:30], v[31:32], v[33:34]
	ds_read_b128 v[27:30], v23 offset:112
	ds_read_b128 v[31:34], v21 offset:1792
	s_waitcnt lgkmcnt(2)
	v_mul_f64 v[43:44], v[5:6], v[19:20]
	v_mul_f64 v[19:20], v[3:4], v[19:20]
	v_add_f64 v[37:38], v[37:38], v[45:46]
	v_add_f64 v[35:36], v[35:36], v[47:48]
	s_waitcnt lgkmcnt(0)
	v_mul_f64 v[45:46], v[29:30], v[33:34]
	v_mul_f64 v[33:34], v[27:28], v[33:34]
	v_fma_f64 v[43:44], v[3:4], v[17:18], -v[43:44]
	v_fma_f64 v[47:48], v[5:6], v[17:18], v[19:20]
	v_add_f64 v[37:38], v[37:38], v[39:40]
	v_add_f64 v[35:36], v[35:36], v[41:42]
	ds_read_b128 v[3:6], v23 offset:128
	ds_read_b128 v[17:20], v21 offset:2048
	v_fma_f64 v[39:40], v[27:28], v[31:32], -v[45:46]
	v_fma_f64 v[41:42], v[29:30], v[31:32], v[33:34]
	ds_read_b128 v[27:30], v23 offset:144
	ds_read_b128 v[31:34], v21 offset:2304
	s_waitcnt lgkmcnt(2)
	v_mul_f64 v[45:46], v[5:6], v[19:20]
	v_mul_f64 v[19:20], v[3:4], v[19:20]
	v_add_f64 v[37:38], v[37:38], v[43:44]
	v_add_f64 v[35:36], v[35:36], v[47:48]
	s_waitcnt lgkmcnt(0)
	v_mul_f64 v[43:44], v[29:30], v[33:34]
	v_mul_f64 v[33:34], v[27:28], v[33:34]
	;; [unrolled: 18-line block ×4, first 2 shown]
	v_fma_f64 v[45:46], v[3:4], v[17:18], -v[45:46]
	v_fma_f64 v[47:48], v[5:6], v[17:18], v[19:20]
	v_add_f64 v[37:38], v[37:38], v[39:40]
	v_add_f64 v[35:36], v[35:36], v[41:42]
	ds_read_b128 v[3:6], v23 offset:224
	ds_read_b128 v[17:20], v21 offset:3584
	v_fma_f64 v[39:40], v[27:28], v[31:32], -v[43:44]
	v_fma_f64 v[41:42], v[29:30], v[31:32], v[33:34]
	ds_read_b128 v[27:30], v23 offset:240
	ds_read_b128 v[31:34], v21 offset:3840
	s_waitcnt lgkmcnt(0)
	v_mul_f64 v[43:44], v[5:6], v[19:20]
	v_mul_f64 v[19:20], v[3:4], v[19:20]
	v_add_f64 v[37:38], v[37:38], v[45:46]
	v_add_f64 v[35:36], v[35:36], v[47:48]
	v_mul_f64 v[45:46], v[29:30], v[33:34]
	v_mul_f64 v[33:34], v[27:28], v[33:34]
	s_barrier
	v_fma_f64 v[3:4], v[3:4], v[17:18], -v[43:44]
	v_fma_f64 v[5:6], v[5:6], v[17:18], v[19:20]
	v_add_f64 v[17:18], v[37:38], v[39:40]
	v_add_f64 v[19:20], v[35:36], v[41:42]
	v_fma_f64 v[27:28], v[27:28], v[31:32], -v[45:46]
	v_fma_f64 v[29:30], v[29:30], v[31:32], v[33:34]
	v_add_f64 v[3:4], v[17:18], v[3:4]
	v_add_f64 v[5:6], v[19:20], v[5:6]
	;; [unrolled: 1-line block ×4, first 2 shown]
	s_cbranch_vccnz .LBB1823_10
.LBB1823_3:                             ; =>This Inner Loop Header: Depth=1
	v_mov_b32_e32 v4, s9
	v_add_co_u32_e32 v3, vcc, s8, v1
	v_addc_co_u32_e32 v4, vcc, 0, v4, vcc
	v_cmp_le_i64_e32 vcc, s[12:13], v[3:4]
	s_or_b64 s[2:3], s[10:11], vcc
	s_and_saveexec_b64 s[18:19], s[2:3]
	s_xor_b64 s[2:3], exec, s[18:19]
; %bb.4:                                ;   in Loop: Header=BB1823_3 Depth=1
	v_mov_b32_e32 v3, v2
	v_mov_b32_e32 v4, v2
	;; [unrolled: 1-line block ×3, first 2 shown]
	ds_write_b128 v22, v[2:5]
; %bb.5:                                ;   in Loop: Header=BB1823_3 Depth=1
	s_andn2_saveexec_b64 s[2:3], s[2:3]
	s_cbranch_execz .LBB1823_7
; %bb.6:                                ;   in Loop: Header=BB1823_3 Depth=1
	flat_load_dwordx4 v[3:6], v[13:14]
	s_waitcnt vmcnt(0) lgkmcnt(0)
	ds_write2_b64 v22, v[3:4], v[5:6] offset1:1
.LBB1823_7:                             ;   in Loop: Header=BB1823_3 Depth=1
	s_or_b64 exec, exec, s[2:3]
	v_mov_b32_e32 v4, s9
	v_add_co_u32_e32 v3, vcc, s8, v0
	v_addc_co_u32_e32 v4, vcc, 0, v4, vcc
	v_cmp_gt_i64_e32 vcc, s[12:13], v[3:4]
	v_mov_b32_e32 v3, 0
	v_mov_b32_e32 v5, 0
	;; [unrolled: 1-line block ×4, first 2 shown]
	s_and_b64 s[18:19], s[0:1], vcc
	s_and_saveexec_b64 s[2:3], s[18:19]
	s_cbranch_execz .LBB1823_2
; %bb.8:                                ;   in Loop: Header=BB1823_3 Depth=1
	flat_load_dwordx4 v[3:6], v[11:12]
	s_waitcnt vmcnt(0) lgkmcnt(0)
	v_xor_b32_e32 v6, 0x80000000, v6
	s_branch .LBB1823_2
.LBB1823_9:
	v_mov_b32_e32 v17, 0
	v_mov_b32_e32 v19, 0
	;; [unrolled: 1-line block ×4, first 2 shown]
.LBB1823_10:
	v_cmp_le_i32_e32 vcc, v9, v7
	v_cmp_gt_i32_e64 s[0:1], s26, v7
	s_and_b64 s[0:1], vcc, s[0:1]
	s_and_saveexec_b64 s[2:3], s[0:1]
	s_cbranch_execz .LBB1823_12
; %bb.11:
	v_mul_f64 v[2:3], s[14:15], v[17:18]
	v_mul_f64 v[0:1], s[16:17], v[17:18]
	v_mul_lo_u32 v6, s23, v9
	v_mul_lo_u32 v10, s22, v10
	v_mad_u64_u32 v[4:5], s[0:1], s22, v9, 0
	v_add3_u32 v5, v5, v10, v6
	v_fma_f64 v[2:3], s[16:17], v[19:20], v[2:3]
	v_lshlrev_b64 v[4:5], 4, v[4:5]
	v_fma_f64 v[0:1], s[14:15], v[19:20], -v[0:1]
	s_waitcnt lgkmcnt(0)
	v_mov_b32_e32 v6, s21
	v_add_co_u32_e32 v10, vcc, s20, v4
	v_addc_co_u32_e32 v6, vcc, v6, v5, vcc
	v_lshlrev_b64 v[4:5], 4, v[7:8]
	v_add_co_u32_e32 v4, vcc, v10, v4
	v_addc_co_u32_e32 v5, vcc, v6, v5, vcc
	v_cmp_ne_u32_e32 vcc, v7, v9
	v_cndmask_b32_e32 v3, 0, v3, vcc
	v_cndmask_b32_e32 v2, 0, v2, vcc
	flat_store_dwordx4 v[4:5], v[0:3]
.LBB1823_12:
	s_endpgm
	.section	.rodata,"a",@progbits
	.p2align	6, 0x0
	.amdhsa_kernel _ZL32rocblas_syrkx_herkx_small_kernelIl19rocblas_complex_numIdELi16ELb1ELb1ELc78ELc76EKPKS1_KPS1_EviT_T0_PT6_S7_lSA_S7_lS8_PT7_S7_li
		.amdhsa_group_segment_fixed_size 8192
		.amdhsa_private_segment_fixed_size 0
		.amdhsa_kernarg_size 124
		.amdhsa_user_sgpr_count 6
		.amdhsa_user_sgpr_private_segment_buffer 1
		.amdhsa_user_sgpr_dispatch_ptr 0
		.amdhsa_user_sgpr_queue_ptr 0
		.amdhsa_user_sgpr_kernarg_segment_ptr 1
		.amdhsa_user_sgpr_dispatch_id 0
		.amdhsa_user_sgpr_flat_scratch_init 0
		.amdhsa_user_sgpr_private_segment_size 0
		.amdhsa_uses_dynamic_stack 0
		.amdhsa_system_sgpr_private_segment_wavefront_offset 0
		.amdhsa_system_sgpr_workgroup_id_x 1
		.amdhsa_system_sgpr_workgroup_id_y 1
		.amdhsa_system_sgpr_workgroup_id_z 1
		.amdhsa_system_sgpr_workgroup_info 0
		.amdhsa_system_vgpr_workitem_id 1
		.amdhsa_next_free_vgpr 49
		.amdhsa_next_free_sgpr 61
		.amdhsa_reserve_vcc 1
		.amdhsa_reserve_flat_scratch 0
		.amdhsa_float_round_mode_32 0
		.amdhsa_float_round_mode_16_64 0
		.amdhsa_float_denorm_mode_32 3
		.amdhsa_float_denorm_mode_16_64 3
		.amdhsa_dx10_clamp 1
		.amdhsa_ieee_mode 1
		.amdhsa_fp16_overflow 0
		.amdhsa_exception_fp_ieee_invalid_op 0
		.amdhsa_exception_fp_denorm_src 0
		.amdhsa_exception_fp_ieee_div_zero 0
		.amdhsa_exception_fp_ieee_overflow 0
		.amdhsa_exception_fp_ieee_underflow 0
		.amdhsa_exception_fp_ieee_inexact 0
		.amdhsa_exception_int_div_zero 0
	.end_amdhsa_kernel
	.section	.text._ZL32rocblas_syrkx_herkx_small_kernelIl19rocblas_complex_numIdELi16ELb1ELb1ELc78ELc76EKPKS1_KPS1_EviT_T0_PT6_S7_lSA_S7_lS8_PT7_S7_li,"axG",@progbits,_ZL32rocblas_syrkx_herkx_small_kernelIl19rocblas_complex_numIdELi16ELb1ELb1ELc78ELc76EKPKS1_KPS1_EviT_T0_PT6_S7_lSA_S7_lS8_PT7_S7_li,comdat
.Lfunc_end1823:
	.size	_ZL32rocblas_syrkx_herkx_small_kernelIl19rocblas_complex_numIdELi16ELb1ELb1ELc78ELc76EKPKS1_KPS1_EviT_T0_PT6_S7_lSA_S7_lS8_PT7_S7_li, .Lfunc_end1823-_ZL32rocblas_syrkx_herkx_small_kernelIl19rocblas_complex_numIdELi16ELb1ELb1ELc78ELc76EKPKS1_KPS1_EviT_T0_PT6_S7_lSA_S7_lS8_PT7_S7_li
                                        ; -- End function
	.set _ZL32rocblas_syrkx_herkx_small_kernelIl19rocblas_complex_numIdELi16ELb1ELb1ELc78ELc76EKPKS1_KPS1_EviT_T0_PT6_S7_lSA_S7_lS8_PT7_S7_li.num_vgpr, 49
	.set _ZL32rocblas_syrkx_herkx_small_kernelIl19rocblas_complex_numIdELi16ELb1ELb1ELc78ELc76EKPKS1_KPS1_EviT_T0_PT6_S7_lSA_S7_lS8_PT7_S7_li.num_agpr, 0
	.set _ZL32rocblas_syrkx_herkx_small_kernelIl19rocblas_complex_numIdELi16ELb1ELb1ELc78ELc76EKPKS1_KPS1_EviT_T0_PT6_S7_lSA_S7_lS8_PT7_S7_li.numbered_sgpr, 27
	.set _ZL32rocblas_syrkx_herkx_small_kernelIl19rocblas_complex_numIdELi16ELb1ELb1ELc78ELc76EKPKS1_KPS1_EviT_T0_PT6_S7_lSA_S7_lS8_PT7_S7_li.num_named_barrier, 0
	.set _ZL32rocblas_syrkx_herkx_small_kernelIl19rocblas_complex_numIdELi16ELb1ELb1ELc78ELc76EKPKS1_KPS1_EviT_T0_PT6_S7_lSA_S7_lS8_PT7_S7_li.private_seg_size, 0
	.set _ZL32rocblas_syrkx_herkx_small_kernelIl19rocblas_complex_numIdELi16ELb1ELb1ELc78ELc76EKPKS1_KPS1_EviT_T0_PT6_S7_lSA_S7_lS8_PT7_S7_li.uses_vcc, 1
	.set _ZL32rocblas_syrkx_herkx_small_kernelIl19rocblas_complex_numIdELi16ELb1ELb1ELc78ELc76EKPKS1_KPS1_EviT_T0_PT6_S7_lSA_S7_lS8_PT7_S7_li.uses_flat_scratch, 0
	.set _ZL32rocblas_syrkx_herkx_small_kernelIl19rocblas_complex_numIdELi16ELb1ELb1ELc78ELc76EKPKS1_KPS1_EviT_T0_PT6_S7_lSA_S7_lS8_PT7_S7_li.has_dyn_sized_stack, 0
	.set _ZL32rocblas_syrkx_herkx_small_kernelIl19rocblas_complex_numIdELi16ELb1ELb1ELc78ELc76EKPKS1_KPS1_EviT_T0_PT6_S7_lSA_S7_lS8_PT7_S7_li.has_recursion, 0
	.set _ZL32rocblas_syrkx_herkx_small_kernelIl19rocblas_complex_numIdELi16ELb1ELb1ELc78ELc76EKPKS1_KPS1_EviT_T0_PT6_S7_lSA_S7_lS8_PT7_S7_li.has_indirect_call, 0
	.section	.AMDGPU.csdata,"",@progbits
; Kernel info:
; codeLenInByte = 1824
; TotalNumSgprs: 31
; NumVgprs: 49
; ScratchSize: 0
; MemoryBound: 1
; FloatMode: 240
; IeeeMode: 1
; LDSByteSize: 8192 bytes/workgroup (compile time only)
; SGPRBlocks: 8
; VGPRBlocks: 12
; NumSGPRsForWavesPerEU: 65
; NumVGPRsForWavesPerEU: 49
; Occupancy: 4
; WaveLimiterHint : 1
; COMPUTE_PGM_RSRC2:SCRATCH_EN: 0
; COMPUTE_PGM_RSRC2:USER_SGPR: 6
; COMPUTE_PGM_RSRC2:TRAP_HANDLER: 0
; COMPUTE_PGM_RSRC2:TGID_X_EN: 1
; COMPUTE_PGM_RSRC2:TGID_Y_EN: 1
; COMPUTE_PGM_RSRC2:TGID_Z_EN: 1
; COMPUTE_PGM_RSRC2:TIDIG_COMP_CNT: 1
	.section	.text._ZL32rocblas_syrkx_herkx_small_kernelIl19rocblas_complex_numIdELi16ELb1ELb1ELc84ELc85EKPKS1_KPS1_EviT_T0_PT6_S7_lSA_S7_lS8_PT7_S7_li,"axG",@progbits,_ZL32rocblas_syrkx_herkx_small_kernelIl19rocblas_complex_numIdELi16ELb1ELb1ELc84ELc85EKPKS1_KPS1_EviT_T0_PT6_S7_lSA_S7_lS8_PT7_S7_li,comdat
	.globl	_ZL32rocblas_syrkx_herkx_small_kernelIl19rocblas_complex_numIdELi16ELb1ELb1ELc84ELc85EKPKS1_KPS1_EviT_T0_PT6_S7_lSA_S7_lS8_PT7_S7_li ; -- Begin function _ZL32rocblas_syrkx_herkx_small_kernelIl19rocblas_complex_numIdELi16ELb1ELb1ELc84ELc85EKPKS1_KPS1_EviT_T0_PT6_S7_lSA_S7_lS8_PT7_S7_li
	.p2align	8
	.type	_ZL32rocblas_syrkx_herkx_small_kernelIl19rocblas_complex_numIdELi16ELb1ELb1ELc84ELc85EKPKS1_KPS1_EviT_T0_PT6_S7_lSA_S7_lS8_PT7_S7_li,@function
_ZL32rocblas_syrkx_herkx_small_kernelIl19rocblas_complex_numIdELi16ELb1ELb1ELc84ELc85EKPKS1_KPS1_EviT_T0_PT6_S7_lSA_S7_lS8_PT7_S7_li: ; @_ZL32rocblas_syrkx_herkx_small_kernelIl19rocblas_complex_numIdELi16ELb1ELb1ELc84ELc85EKPKS1_KPS1_EviT_T0_PT6_S7_lSA_S7_lS8_PT7_S7_li
; %bb.0:
	s_load_dwordx2 s[10:11], s[4:5], 0x28
	s_load_dwordx4 s[20:23], s[4:5], 0x60
	s_load_dword s24, s[4:5], 0x0
	s_load_dwordx8 s[12:19], s[4:5], 0x8
	s_mov_b32 s9, 0
	s_lshl_b64 s[2:3], s[8:9], 3
	s_waitcnt lgkmcnt(0)
	s_add_u32 s0, s20, s2
	s_addc_u32 s1, s21, s3
	s_load_dwordx2 s[8:9], s[0:1], 0x0
	v_cmp_lt_i64_e64 s[0:1], s[12:13], 1
	v_lshl_add_u32 v6, s6, 4, v0
	v_lshl_add_u32 v18, s7, 4, v1
	s_and_b64 vcc, exec, s[0:1]
	v_ashrrev_i32_e32 v7, 31, v6
	v_cmp_gt_i32_e64 s[0:1], s24, v18
	v_ashrrev_i32_e32 v19, 31, v18
	s_cbranch_vccnz .LBB1824_11
; %bb.1:
	s_load_dwordx4 s[28:31], s[4:5], 0x38
	v_lshlrev_b32_e32 v5, 8, v1
	v_lshlrev_b32_e32 v20, 4, v0
	v_add_u32_e32 v21, v20, v5
	v_add_u32_e32 v22, 0x1000, v5
	s_waitcnt lgkmcnt(0)
	s_add_u32 s4, s28, s2
	s_addc_u32 s5, s29, s3
	s_add_u32 s2, s18, s2
	s_addc_u32 s3, s19, s3
	s_load_dwordx2 s[6:7], s[2:3], 0x0
	v_mul_lo_u32 v8, s31, v18
	v_mul_lo_u32 v9, s30, v19
	v_mad_u64_u32 v[3:4], s[2:3], s30, v18, 0
	s_load_dwordx2 s[4:5], s[4:5], 0x0
	v_mul_lo_u32 v11, s11, v6
	v_add3_u32 v4, v4, v9, v8
	v_lshlrev_b64 v[3:4], 4, v[3:4]
	v_mul_lo_u32 v12, s10, v7
	v_add_co_u32_e64 v5, s[2:3], v3, v20
	v_addc_co_u32_e64 v9, s[2:3], 0, v4, s[2:3]
	v_mad_u64_u32 v[3:4], s[2:3], s10, v6, 0
	s_waitcnt lgkmcnt(0)
	v_mov_b32_e32 v10, s5
	v_add_co_u32_e64 v8, s[2:3], s4, v5
	v_add3_u32 v4, v4, v12, v11
	v_lshlrev_b64 v[3:4], 4, v[3:4]
	v_addc_co_u32_e64 v9, s[2:3], v10, v9, s[2:3]
	v_lshlrev_b32_e32 v5, 4, v1
	v_add_co_u32_e64 v3, s[2:3], v3, v5
	v_addc_co_u32_e64 v4, s[2:3], 0, v4, s[2:3]
	v_mov_b32_e32 v5, s7
	v_add_co_u32_e64 v10, s[2:3], s6, v3
	v_cmp_gt_i32_e32 vcc, s24, v6
	v_addc_co_u32_e64 v11, s[2:3], v5, v4, s[2:3]
	v_mov_b32_e32 v14, 0
	v_mov_b32_e32 v16, 0
	;; [unrolled: 1-line block ×4, first 2 shown]
	v_add_u32_e32 v23, v22, v20
	v_mov_b32_e32 v15, 0
	s_mov_b64 s[2:3], 0
	s_xor_b64 s[4:5], vcc, -1
	s_xor_b64 s[6:7], s[0:1], -1
	v_mov_b32_e32 v17, 0
	v_mov_b32_e32 v13, s13
	s_branch .LBB1824_3
.LBB1824_2:                             ;   in Loop: Header=BB1824_3 Depth=1
	s_or_b64 exec, exec, s[0:1]
	s_waitcnt lgkmcnt(0)
	s_barrier
	ds_read_b128 v[24:27], v20
	ds_read_b128 v[28:31], v22
	ds_read_b128 v[32:35], v22 offset:16
	ds_read_b128 v[36:39], v20 offset:256
	s_add_u32 s2, s2, 16
	v_add_co_u32_e32 v8, vcc, 0x100, v8
	s_waitcnt lgkmcnt(2)
	v_mul_f64 v[3:4], v[30:31], v[26:27]
	v_mul_f64 v[26:27], v[28:29], v[26:27]
	s_waitcnt lgkmcnt(0)
	v_mul_f64 v[46:47], v[34:35], v[38:39]
	v_mul_f64 v[48:49], v[32:33], v[38:39]
	ds_read_b128 v[38:41], v20 offset:512
	s_addc_u32 s3, s3, 0
	v_addc_co_u32_e32 v9, vcc, 0, v9, vcc
	v_fma_f64 v[3:4], v[28:29], v[24:25], -v[3:4]
	v_fma_f64 v[50:51], v[30:31], v[24:25], v[26:27]
	ds_read_b128 v[24:27], v22 offset:32
	ds_read_b128 v[28:31], v22 offset:48
	;; [unrolled: 1-line block ×3, first 2 shown]
	v_fma_f64 v[32:33], v[32:33], v[36:37], -v[46:47]
	v_fma_f64 v[34:35], v[34:35], v[36:37], v[48:49]
	s_waitcnt lgkmcnt(2)
	v_mul_f64 v[36:37], v[26:27], v[40:41]
	v_mul_f64 v[40:41], v[24:25], v[40:41]
	s_waitcnt lgkmcnt(0)
	v_mul_f64 v[48:49], v[30:31], v[44:45]
	v_add_f64 v[3:4], v[16:17], v[3:4]
	v_add_f64 v[46:47], v[14:15], v[50:51]
	v_mul_f64 v[44:45], v[28:29], v[44:45]
	ds_read_b128 v[14:17], v20 offset:1024
	v_add_co_u32_e32 v10, vcc, 0x100, v10
	v_fma_f64 v[50:51], v[24:25], v[38:39], -v[36:37]
	v_fma_f64 v[40:41], v[26:27], v[38:39], v[40:41]
	v_add_f64 v[3:4], v[3:4], v[32:33]
	v_add_f64 v[46:47], v[46:47], v[34:35]
	ds_read_b128 v[24:27], v22 offset:64
	ds_read_b128 v[32:35], v22 offset:80
	;; [unrolled: 1-line block ×3, first 2 shown]
	v_fma_f64 v[48:49], v[28:29], v[42:43], -v[48:49]
	v_fma_f64 v[42:43], v[30:31], v[42:43], v[44:45]
	s_waitcnt lgkmcnt(2)
	v_mul_f64 v[44:45], v[26:27], v[16:17]
	v_mul_f64 v[16:17], v[24:25], v[16:17]
	ds_read_b128 v[28:31], v20 offset:1536
	v_add_f64 v[3:4], v[3:4], v[50:51]
	v_add_f64 v[40:41], v[46:47], v[40:41]
	s_waitcnt lgkmcnt(1)
	v_mul_f64 v[46:47], v[34:35], v[38:39]
	v_mul_f64 v[50:51], v[32:33], v[38:39]
	v_cmp_ge_i64_e64 s[0:1], s[2:3], v[12:13]
	v_fma_f64 v[44:45], v[24:25], v[14:15], -v[44:45]
	v_fma_f64 v[52:53], v[26:27], v[14:15], v[16:17]
	v_addc_co_u32_e32 v11, vcc, 0, v11, vcc
	v_add_f64 v[3:4], v[3:4], v[48:49]
	v_add_f64 v[42:43], v[40:41], v[42:43]
	ds_read_b128 v[14:17], v22 offset:96
	ds_read_b128 v[24:27], v22 offset:112
	;; [unrolled: 1-line block ×3, first 2 shown]
	v_fma_f64 v[46:47], v[32:33], v[36:37], -v[46:47]
	v_fma_f64 v[34:35], v[34:35], v[36:37], v[50:51]
	s_waitcnt lgkmcnt(2)
	v_mul_f64 v[36:37], v[16:17], v[30:31]
	v_mul_f64 v[48:49], v[14:15], v[30:31]
	s_waitcnt lgkmcnt(0)
	v_mul_f64 v[50:51], v[24:25], v[40:41]
	v_add_f64 v[3:4], v[3:4], v[44:45]
	v_add_f64 v[42:43], v[42:43], v[52:53]
	v_mul_f64 v[44:45], v[26:27], v[40:41]
	ds_read_b128 v[30:33], v20 offset:2048
	s_and_b64 vcc, exec, s[0:1]
	v_fma_f64 v[52:53], v[14:15], v[28:29], -v[36:37]
	v_fma_f64 v[28:29], v[16:17], v[28:29], v[48:49]
	v_add_f64 v[3:4], v[3:4], v[46:47]
	v_add_f64 v[46:47], v[42:43], v[34:35]
	ds_read_b128 v[14:17], v22 offset:128
	ds_read_b128 v[34:37], v22 offset:144
	;; [unrolled: 1-line block ×3, first 2 shown]
	v_fma_f64 v[44:45], v[24:25], v[38:39], -v[44:45]
	v_fma_f64 v[38:39], v[26:27], v[38:39], v[50:51]
	s_waitcnt lgkmcnt(2)
	v_mul_f64 v[48:49], v[16:17], v[32:33]
	v_mul_f64 v[32:33], v[14:15], v[32:33]
	s_waitcnt lgkmcnt(0)
	v_mul_f64 v[50:51], v[34:35], v[42:43]
	v_add_f64 v[3:4], v[3:4], v[52:53]
	v_add_f64 v[28:29], v[46:47], v[28:29]
	v_mul_f64 v[46:47], v[36:37], v[42:43]
	ds_read_b128 v[24:27], v20 offset:2560
	v_fma_f64 v[48:49], v[14:15], v[30:31], -v[48:49]
	v_fma_f64 v[32:33], v[16:17], v[30:31], v[32:33]
	v_fma_f64 v[36:37], v[36:37], v[40:41], v[50:51]
	v_add_f64 v[3:4], v[3:4], v[44:45]
	v_add_f64 v[38:39], v[28:29], v[38:39]
	ds_read_b128 v[14:17], v22 offset:160
	ds_read_b128 v[28:31], v22 offset:176
	;; [unrolled: 1-line block ×3, first 2 shown]
	v_fma_f64 v[46:47], v[34:35], v[40:41], -v[46:47]
	s_waitcnt lgkmcnt(2)
	v_mul_f64 v[40:41], v[16:17], v[26:27]
	v_mul_f64 v[26:27], v[14:15], v[26:27]
	v_add_f64 v[3:4], v[3:4], v[48:49]
	v_add_f64 v[38:39], v[38:39], v[32:33]
	s_waitcnt lgkmcnt(0)
	v_mul_f64 v[48:49], v[30:31], v[44:45]
	v_mul_f64 v[44:45], v[28:29], v[44:45]
	ds_read_b128 v[32:35], v20 offset:3072
	v_fma_f64 v[40:41], v[14:15], v[24:25], -v[40:41]
	v_fma_f64 v[50:51], v[16:17], v[24:25], v[26:27]
	v_add_f64 v[3:4], v[3:4], v[46:47]
	v_add_f64 v[46:47], v[38:39], v[36:37]
	ds_read_b128 v[14:17], v22 offset:192
	ds_read_b128 v[24:27], v22 offset:208
	;; [unrolled: 1-line block ×3, first 2 shown]
	v_fma_f64 v[48:49], v[28:29], v[42:43], -v[48:49]
	v_fma_f64 v[42:43], v[30:31], v[42:43], v[44:45]
	s_waitcnt lgkmcnt(2)
	v_mul_f64 v[44:45], v[16:17], v[34:35]
	v_mul_f64 v[34:35], v[14:15], v[34:35]
	ds_read_b128 v[28:31], v20 offset:3584
	v_add_f64 v[3:4], v[3:4], v[40:41]
	v_add_f64 v[40:41], v[46:47], v[50:51]
	s_waitcnt lgkmcnt(1)
	v_mul_f64 v[46:47], v[26:27], v[38:39]
	v_mul_f64 v[50:51], v[24:25], v[38:39]
	v_fma_f64 v[44:45], v[14:15], v[32:33], -v[44:45]
	v_fma_f64 v[52:53], v[16:17], v[32:33], v[34:35]
	v_add_f64 v[3:4], v[3:4], v[48:49]
	v_add_f64 v[42:43], v[40:41], v[42:43]
	ds_read_b128 v[14:17], v22 offset:224
	ds_read_b128 v[32:35], v22 offset:240
	;; [unrolled: 1-line block ×3, first 2 shown]
	v_fma_f64 v[24:25], v[24:25], v[36:37], -v[46:47]
	v_fma_f64 v[26:27], v[26:27], v[36:37], v[50:51]
	s_waitcnt lgkmcnt(2)
	v_mul_f64 v[36:37], v[16:17], v[30:31]
	v_mul_f64 v[30:31], v[14:15], v[30:31]
	s_waitcnt lgkmcnt(0)
	v_add_f64 v[3:4], v[3:4], v[44:45]
	v_add_f64 v[42:43], v[42:43], v[52:53]
	v_mul_f64 v[44:45], v[34:35], v[40:41]
	v_mul_f64 v[40:41], v[32:33], v[40:41]
	s_barrier
	v_fma_f64 v[14:15], v[14:15], v[28:29], -v[36:37]
	v_fma_f64 v[16:17], v[16:17], v[28:29], v[30:31]
	v_add_f64 v[3:4], v[3:4], v[24:25]
	v_add_f64 v[24:25], v[42:43], v[26:27]
	v_fma_f64 v[26:27], v[32:33], v[38:39], -v[44:45]
	v_fma_f64 v[28:29], v[34:35], v[38:39], v[40:41]
	v_add_f64 v[3:4], v[3:4], v[14:15]
	v_add_f64 v[14:15], v[24:25], v[16:17]
	;; [unrolled: 1-line block ×4, first 2 shown]
	s_cbranch_vccnz .LBB1824_12
.LBB1824_3:                             ; =>This Inner Loop Header: Depth=1
	v_mov_b32_e32 v4, s3
	v_add_co_u32_e32 v3, vcc, s2, v1
	v_addc_co_u32_e32 v4, vcc, 0, v4, vcc
	v_cmp_le_i64_e32 vcc, s[12:13], v[3:4]
	s_or_b64 s[0:1], s[4:5], vcc
	s_and_saveexec_b64 s[10:11], s[0:1]
	s_xor_b64 s[0:1], exec, s[10:11]
; %bb.4:                                ;   in Loop: Header=BB1824_3 Depth=1
	v_mov_b32_e32 v3, v2
	v_mov_b32_e32 v4, v2
	;; [unrolled: 1-line block ×3, first 2 shown]
	ds_write_b128 v21, v[2:5]
; %bb.5:                                ;   in Loop: Header=BB1824_3 Depth=1
	s_andn2_saveexec_b64 s[0:1], s[0:1]
	s_cbranch_execz .LBB1824_7
; %bb.6:                                ;   in Loop: Header=BB1824_3 Depth=1
	flat_load_dwordx4 v[24:27], v[10:11]
	s_waitcnt vmcnt(0) lgkmcnt(0)
	ds_write2_b64 v21, v[24:25], v[26:27] offset1:1
.LBB1824_7:                             ;   in Loop: Header=BB1824_3 Depth=1
	s_or_b64 exec, exec, s[0:1]
	v_mov_b32_e32 v4, s3
	v_add_co_u32_e32 v3, vcc, s2, v0
	v_addc_co_u32_e32 v4, vcc, 0, v4, vcc
	v_cmp_le_i64_e32 vcc, s[12:13], v[3:4]
	s_or_b64 s[0:1], s[6:7], vcc
	s_and_saveexec_b64 s[10:11], s[0:1]
	s_xor_b64 s[0:1], exec, s[10:11]
; %bb.8:                                ;   in Loop: Header=BB1824_3 Depth=1
	v_mov_b32_e32 v3, v2
	v_mov_b32_e32 v4, v2
	;; [unrolled: 1-line block ×3, first 2 shown]
	ds_write_b128 v23, v[2:5]
; %bb.9:                                ;   in Loop: Header=BB1824_3 Depth=1
	s_andn2_saveexec_b64 s[0:1], s[0:1]
	s_cbranch_execz .LBB1824_2
; %bb.10:                               ;   in Loop: Header=BB1824_3 Depth=1
	flat_load_dwordx4 v[24:27], v[8:9]
	s_waitcnt vmcnt(0) lgkmcnt(0)
	ds_write2_b64 v23, v[24:25], v[26:27] offset1:1
	s_branch .LBB1824_2
.LBB1824_11:
	v_mov_b32_e32 v14, 0
	v_mov_b32_e32 v16, 0
	v_mov_b32_e32 v15, 0
	v_mov_b32_e32 v17, 0
.LBB1824_12:
	v_cmp_le_i32_e32 vcc, v6, v18
	v_cmp_gt_i32_e64 s[0:1], s24, v18
	s_and_b64 s[0:1], vcc, s[0:1]
	s_and_saveexec_b64 s[2:3], s[0:1]
	s_cbranch_execz .LBB1824_14
; %bb.13:
	v_mul_f64 v[2:3], s[14:15], v[14:15]
	v_mul_f64 v[0:1], s[16:17], v[14:15]
	v_mul_lo_u32 v8, s23, v18
	v_mul_lo_u32 v9, s22, v19
	v_mad_u64_u32 v[4:5], s[0:1], s22, v18, 0
	v_add3_u32 v5, v5, v9, v8
	v_fma_f64 v[2:3], s[16:17], v[16:17], v[2:3]
	v_lshlrev_b64 v[4:5], 4, v[4:5]
	v_fma_f64 v[0:1], s[14:15], v[16:17], -v[0:1]
	s_waitcnt lgkmcnt(0)
	v_mov_b32_e32 v8, s9
	v_add_co_u32_e32 v9, vcc, s8, v4
	v_addc_co_u32_e32 v8, vcc, v8, v5, vcc
	v_lshlrev_b64 v[4:5], 4, v[6:7]
	v_add_co_u32_e32 v4, vcc, v9, v4
	v_addc_co_u32_e32 v5, vcc, v8, v5, vcc
	v_cmp_ne_u32_e32 vcc, v6, v18
	v_cndmask_b32_e32 v3, 0, v3, vcc
	v_cndmask_b32_e32 v2, 0, v2, vcc
	flat_store_dwordx4 v[4:5], v[0:3]
.LBB1824_14:
	s_endpgm
	.section	.rodata,"a",@progbits
	.p2align	6, 0x0
	.amdhsa_kernel _ZL32rocblas_syrkx_herkx_small_kernelIl19rocblas_complex_numIdELi16ELb1ELb1ELc84ELc85EKPKS1_KPS1_EviT_T0_PT6_S7_lSA_S7_lS8_PT7_S7_li
		.amdhsa_group_segment_fixed_size 8192
		.amdhsa_private_segment_fixed_size 0
		.amdhsa_kernarg_size 124
		.amdhsa_user_sgpr_count 6
		.amdhsa_user_sgpr_private_segment_buffer 1
		.amdhsa_user_sgpr_dispatch_ptr 0
		.amdhsa_user_sgpr_queue_ptr 0
		.amdhsa_user_sgpr_kernarg_segment_ptr 1
		.amdhsa_user_sgpr_dispatch_id 0
		.amdhsa_user_sgpr_flat_scratch_init 0
		.amdhsa_user_sgpr_private_segment_size 0
		.amdhsa_uses_dynamic_stack 0
		.amdhsa_system_sgpr_private_segment_wavefront_offset 0
		.amdhsa_system_sgpr_workgroup_id_x 1
		.amdhsa_system_sgpr_workgroup_id_y 1
		.amdhsa_system_sgpr_workgroup_id_z 1
		.amdhsa_system_sgpr_workgroup_info 0
		.amdhsa_system_vgpr_workitem_id 1
		.amdhsa_next_free_vgpr 54
		.amdhsa_next_free_sgpr 61
		.amdhsa_reserve_vcc 1
		.amdhsa_reserve_flat_scratch 0
		.amdhsa_float_round_mode_32 0
		.amdhsa_float_round_mode_16_64 0
		.amdhsa_float_denorm_mode_32 3
		.amdhsa_float_denorm_mode_16_64 3
		.amdhsa_dx10_clamp 1
		.amdhsa_ieee_mode 1
		.amdhsa_fp16_overflow 0
		.amdhsa_exception_fp_ieee_invalid_op 0
		.amdhsa_exception_fp_denorm_src 0
		.amdhsa_exception_fp_ieee_div_zero 0
		.amdhsa_exception_fp_ieee_overflow 0
		.amdhsa_exception_fp_ieee_underflow 0
		.amdhsa_exception_fp_ieee_inexact 0
		.amdhsa_exception_int_div_zero 0
	.end_amdhsa_kernel
	.section	.text._ZL32rocblas_syrkx_herkx_small_kernelIl19rocblas_complex_numIdELi16ELb1ELb1ELc84ELc85EKPKS1_KPS1_EviT_T0_PT6_S7_lSA_S7_lS8_PT7_S7_li,"axG",@progbits,_ZL32rocblas_syrkx_herkx_small_kernelIl19rocblas_complex_numIdELi16ELb1ELb1ELc84ELc85EKPKS1_KPS1_EviT_T0_PT6_S7_lSA_S7_lS8_PT7_S7_li,comdat
.Lfunc_end1824:
	.size	_ZL32rocblas_syrkx_herkx_small_kernelIl19rocblas_complex_numIdELi16ELb1ELb1ELc84ELc85EKPKS1_KPS1_EviT_T0_PT6_S7_lSA_S7_lS8_PT7_S7_li, .Lfunc_end1824-_ZL32rocblas_syrkx_herkx_small_kernelIl19rocblas_complex_numIdELi16ELb1ELb1ELc84ELc85EKPKS1_KPS1_EviT_T0_PT6_S7_lSA_S7_lS8_PT7_S7_li
                                        ; -- End function
	.set _ZL32rocblas_syrkx_herkx_small_kernelIl19rocblas_complex_numIdELi16ELb1ELb1ELc84ELc85EKPKS1_KPS1_EviT_T0_PT6_S7_lSA_S7_lS8_PT7_S7_li.num_vgpr, 54
	.set _ZL32rocblas_syrkx_herkx_small_kernelIl19rocblas_complex_numIdELi16ELb1ELb1ELc84ELc85EKPKS1_KPS1_EviT_T0_PT6_S7_lSA_S7_lS8_PT7_S7_li.num_agpr, 0
	.set _ZL32rocblas_syrkx_herkx_small_kernelIl19rocblas_complex_numIdELi16ELb1ELb1ELc84ELc85EKPKS1_KPS1_EviT_T0_PT6_S7_lSA_S7_lS8_PT7_S7_li.numbered_sgpr, 32
	.set _ZL32rocblas_syrkx_herkx_small_kernelIl19rocblas_complex_numIdELi16ELb1ELb1ELc84ELc85EKPKS1_KPS1_EviT_T0_PT6_S7_lSA_S7_lS8_PT7_S7_li.num_named_barrier, 0
	.set _ZL32rocblas_syrkx_herkx_small_kernelIl19rocblas_complex_numIdELi16ELb1ELb1ELc84ELc85EKPKS1_KPS1_EviT_T0_PT6_S7_lSA_S7_lS8_PT7_S7_li.private_seg_size, 0
	.set _ZL32rocblas_syrkx_herkx_small_kernelIl19rocblas_complex_numIdELi16ELb1ELb1ELc84ELc85EKPKS1_KPS1_EviT_T0_PT6_S7_lSA_S7_lS8_PT7_S7_li.uses_vcc, 1
	.set _ZL32rocblas_syrkx_herkx_small_kernelIl19rocblas_complex_numIdELi16ELb1ELb1ELc84ELc85EKPKS1_KPS1_EviT_T0_PT6_S7_lSA_S7_lS8_PT7_S7_li.uses_flat_scratch, 0
	.set _ZL32rocblas_syrkx_herkx_small_kernelIl19rocblas_complex_numIdELi16ELb1ELb1ELc84ELc85EKPKS1_KPS1_EviT_T0_PT6_S7_lSA_S7_lS8_PT7_S7_li.has_dyn_sized_stack, 0
	.set _ZL32rocblas_syrkx_herkx_small_kernelIl19rocblas_complex_numIdELi16ELb1ELb1ELc84ELc85EKPKS1_KPS1_EviT_T0_PT6_S7_lSA_S7_lS8_PT7_S7_li.has_recursion, 0
	.set _ZL32rocblas_syrkx_herkx_small_kernelIl19rocblas_complex_numIdELi16ELb1ELb1ELc84ELc85EKPKS1_KPS1_EviT_T0_PT6_S7_lSA_S7_lS8_PT7_S7_li.has_indirect_call, 0
	.section	.AMDGPU.csdata,"",@progbits
; Kernel info:
; codeLenInByte = 1864
; TotalNumSgprs: 36
; NumVgprs: 54
; ScratchSize: 0
; MemoryBound: 0
; FloatMode: 240
; IeeeMode: 1
; LDSByteSize: 8192 bytes/workgroup (compile time only)
; SGPRBlocks: 8
; VGPRBlocks: 13
; NumSGPRsForWavesPerEU: 65
; NumVGPRsForWavesPerEU: 54
; Occupancy: 4
; WaveLimiterHint : 1
; COMPUTE_PGM_RSRC2:SCRATCH_EN: 0
; COMPUTE_PGM_RSRC2:USER_SGPR: 6
; COMPUTE_PGM_RSRC2:TRAP_HANDLER: 0
; COMPUTE_PGM_RSRC2:TGID_X_EN: 1
; COMPUTE_PGM_RSRC2:TGID_Y_EN: 1
; COMPUTE_PGM_RSRC2:TGID_Z_EN: 1
; COMPUTE_PGM_RSRC2:TIDIG_COMP_CNT: 1
	.section	.text._ZL32rocblas_syrkx_herkx_small_kernelIl19rocblas_complex_numIdELi16ELb1ELb1ELc67ELc85EKPKS1_KPS1_EviT_T0_PT6_S7_lSA_S7_lS8_PT7_S7_li,"axG",@progbits,_ZL32rocblas_syrkx_herkx_small_kernelIl19rocblas_complex_numIdELi16ELb1ELb1ELc67ELc85EKPKS1_KPS1_EviT_T0_PT6_S7_lSA_S7_lS8_PT7_S7_li,comdat
	.globl	_ZL32rocblas_syrkx_herkx_small_kernelIl19rocblas_complex_numIdELi16ELb1ELb1ELc67ELc85EKPKS1_KPS1_EviT_T0_PT6_S7_lSA_S7_lS8_PT7_S7_li ; -- Begin function _ZL32rocblas_syrkx_herkx_small_kernelIl19rocblas_complex_numIdELi16ELb1ELb1ELc67ELc85EKPKS1_KPS1_EviT_T0_PT6_S7_lSA_S7_lS8_PT7_S7_li
	.p2align	8
	.type	_ZL32rocblas_syrkx_herkx_small_kernelIl19rocblas_complex_numIdELi16ELb1ELb1ELc67ELc85EKPKS1_KPS1_EviT_T0_PT6_S7_lSA_S7_lS8_PT7_S7_li,@function
_ZL32rocblas_syrkx_herkx_small_kernelIl19rocblas_complex_numIdELi16ELb1ELb1ELc67ELc85EKPKS1_KPS1_EviT_T0_PT6_S7_lSA_S7_lS8_PT7_S7_li: ; @_ZL32rocblas_syrkx_herkx_small_kernelIl19rocblas_complex_numIdELi16ELb1ELb1ELc67ELc85EKPKS1_KPS1_EviT_T0_PT6_S7_lSA_S7_lS8_PT7_S7_li
; %bb.0:
	s_load_dwordx2 s[10:11], s[4:5], 0x28
	s_load_dwordx4 s[20:23], s[4:5], 0x60
	s_load_dword s26, s[4:5], 0x0
	s_load_dwordx8 s[12:19], s[4:5], 0x8
	s_mov_b32 s9, 0
	s_lshl_b64 s[24:25], s[8:9], 3
	s_waitcnt lgkmcnt(0)
	s_add_u32 s0, s20, s24
	s_addc_u32 s1, s21, s25
	s_load_dwordx2 s[8:9], s[0:1], 0x0
	v_cmp_lt_i64_e64 s[0:1], s[12:13], 1
	v_lshl_add_u32 v7, s6, 4, v0
	v_lshl_add_u32 v19, s7, 4, v1
	s_and_b64 vcc, exec, s[0:1]
	v_ashrrev_i32_e32 v8, 31, v7
	v_cmp_gt_i32_e64 s[2:3], s26, v19
	v_ashrrev_i32_e32 v20, 31, v19
	s_cbranch_vccnz .LBB1825_9
; %bb.1:
	s_load_dwordx4 s[28:31], s[4:5], 0x38
	v_lshlrev_b32_e32 v5, 8, v1
	v_lshlrev_b32_e32 v21, 4, v0
	v_add_u32_e32 v22, v21, v5
	v_add_u32_e32 v23, 0x1000, v5
	s_waitcnt lgkmcnt(0)
	s_add_u32 s4, s28, s24
	s_addc_u32 s5, s29, s25
	s_add_u32 s6, s18, s24
	s_addc_u32 s7, s19, s25
	v_mul_lo_u32 v6, s31, v19
	v_mul_lo_u32 v9, s30, v20
	v_mad_u64_u32 v[3:4], s[18:19], s30, v19, 0
	s_load_dwordx2 s[4:5], s[4:5], 0x0
	v_mul_lo_u32 v11, s11, v7
	v_add3_u32 v4, v4, v9, v6
	v_lshlrev_b64 v[3:4], 4, v[3:4]
	v_mul_lo_u32 v12, s10, v8
	v_add_co_u32_e32 v5, vcc, v3, v21
	v_addc_co_u32_e32 v6, vcc, 0, v4, vcc
	v_mad_u64_u32 v[3:4], s[10:11], s10, v7, 0
	s_load_dwordx2 s[6:7], s[6:7], 0x0
	s_waitcnt lgkmcnt(0)
	v_mov_b32_e32 v10, s5
	v_add3_u32 v4, v4, v12, v11
	v_add_co_u32_e32 v9, vcc, s4, v5
	v_lshlrev_b64 v[3:4], 4, v[3:4]
	v_addc_co_u32_e32 v10, vcc, v10, v6, vcc
	v_lshlrev_b32_e32 v5, 4, v1
	v_add_co_u32_e32 v3, vcc, v3, v5
	v_addc_co_u32_e32 v4, vcc, 0, v4, vcc
	v_mov_b32_e32 v5, s7
	v_add_co_u32_e32 v11, vcc, s6, v3
	v_mov_b32_e32 v15, 0
	v_mov_b32_e32 v17, 0
	;; [unrolled: 1-line block ×4, first 2 shown]
	v_cmp_gt_i32_e64 s[0:1], s26, v7
	v_add_u32_e32 v24, v23, v21
	v_addc_co_u32_e32 v12, vcc, v5, v4, vcc
	v_mov_b32_e32 v16, 0
	s_mov_b64 s[4:5], 0
	s_xor_b64 s[6:7], s[2:3], -1
	v_mov_b32_e32 v18, 0
	v_mov_b32_e32 v13, s12
	s_branch .LBB1825_3
.LBB1825_2:                             ;   in Loop: Header=BB1825_3 Depth=1
	s_or_b64 exec, exec, s[2:3]
	s_waitcnt lgkmcnt(0)
	s_barrier
	ds_read_b128 v[3:6], v21
	ds_read_b128 v[25:28], v23
	ds_read_b128 v[29:32], v23 offset:16
	ds_read_b128 v[33:36], v21 offset:256
	s_add_u32 s4, s4, 16
	v_add_co_u32_e32 v9, vcc, 0x100, v9
	s_waitcnt lgkmcnt(2)
	v_mul_f64 v[39:40], v[27:28], v[5:6]
	v_mul_f64 v[5:6], v[25:26], v[5:6]
	s_waitcnt lgkmcnt(0)
	v_mul_f64 v[43:44], v[31:32], v[35:36]
	v_mul_f64 v[45:46], v[29:30], v[35:36]
	ds_read_b128 v[35:38], v21 offset:512
	s_addc_u32 s5, s5, 0
	v_addc_co_u32_e32 v10, vcc, 0, v10, vcc
	v_fma_f64 v[47:48], v[25:26], v[3:4], -v[39:40]
	v_fma_f64 v[49:50], v[27:28], v[3:4], v[5:6]
	ds_read_b128 v[3:6], v23 offset:32
	ds_read_b128 v[25:28], v23 offset:48
	;; [unrolled: 1-line block ×3, first 2 shown]
	v_fma_f64 v[29:30], v[29:30], v[33:34], -v[43:44]
	v_fma_f64 v[31:32], v[31:32], v[33:34], v[45:46]
	s_waitcnt lgkmcnt(2)
	v_mul_f64 v[33:34], v[5:6], v[37:38]
	v_mul_f64 v[37:38], v[3:4], v[37:38]
	v_add_co_u32_e32 v11, vcc, 0x100, v11
	v_add_f64 v[43:44], v[17:18], v[47:48]
	v_add_f64 v[45:46], v[15:16], v[49:50]
	s_waitcnt lgkmcnt(0)
	v_mul_f64 v[47:48], v[27:28], v[41:42]
	v_mul_f64 v[41:42], v[25:26], v[41:42]
	v_fma_f64 v[49:50], v[3:4], v[35:36], -v[33:34]
	v_fma_f64 v[37:38], v[5:6], v[35:36], v[37:38]
	ds_read_b128 v[15:18], v21 offset:1024
	v_cmp_ge_i64_e64 s[2:3], s[4:5], v[13:14]
	v_add_f64 v[43:44], v[43:44], v[29:30]
	v_add_f64 v[45:46], v[45:46], v[31:32]
	ds_read_b128 v[3:6], v23 offset:64
	ds_read_b128 v[29:32], v23 offset:80
	;; [unrolled: 1-line block ×3, first 2 shown]
	v_fma_f64 v[47:48], v[25:26], v[39:40], -v[47:48]
	v_fma_f64 v[39:40], v[27:28], v[39:40], v[41:42]
	s_waitcnt lgkmcnt(2)
	v_mul_f64 v[41:42], v[5:6], v[17:18]
	v_mul_f64 v[17:18], v[3:4], v[17:18]
	ds_read_b128 v[25:28], v21 offset:1536
	v_add_f64 v[43:44], v[43:44], v[49:50]
	v_add_f64 v[37:38], v[45:46], v[37:38]
	s_waitcnt lgkmcnt(1)
	v_mul_f64 v[45:46], v[31:32], v[35:36]
	v_mul_f64 v[49:50], v[29:30], v[35:36]
	v_addc_co_u32_e32 v12, vcc, 0, v12, vcc
	v_fma_f64 v[41:42], v[3:4], v[15:16], -v[41:42]
	v_fma_f64 v[51:52], v[5:6], v[15:16], v[17:18]
	v_add_f64 v[43:44], v[43:44], v[47:48]
	v_add_f64 v[39:40], v[37:38], v[39:40]
	ds_read_b128 v[3:6], v23 offset:96
	ds_read_b128 v[15:18], v23 offset:112
	;; [unrolled: 1-line block ×3, first 2 shown]
	v_fma_f64 v[45:46], v[29:30], v[33:34], -v[45:46]
	v_fma_f64 v[31:32], v[31:32], v[33:34], v[49:50]
	s_waitcnt lgkmcnt(2)
	v_mul_f64 v[33:34], v[5:6], v[27:28]
	v_mul_f64 v[47:48], v[3:4], v[27:28]
	s_waitcnt lgkmcnt(0)
	v_mul_f64 v[49:50], v[15:16], v[37:38]
	v_add_f64 v[41:42], v[43:44], v[41:42]
	v_add_f64 v[39:40], v[39:40], v[51:52]
	v_mul_f64 v[43:44], v[17:18], v[37:38]
	ds_read_b128 v[27:30], v21 offset:2048
	s_and_b64 vcc, exec, s[2:3]
	v_fma_f64 v[51:52], v[3:4], v[25:26], -v[33:34]
	v_fma_f64 v[25:26], v[5:6], v[25:26], v[47:48]
	v_add_f64 v[41:42], v[41:42], v[45:46]
	v_add_f64 v[45:46], v[39:40], v[31:32]
	ds_read_b128 v[3:6], v23 offset:128
	ds_read_b128 v[31:34], v23 offset:144
	;; [unrolled: 1-line block ×3, first 2 shown]
	v_fma_f64 v[43:44], v[15:16], v[35:36], -v[43:44]
	v_fma_f64 v[35:36], v[17:18], v[35:36], v[49:50]
	s_waitcnt lgkmcnt(2)
	v_mul_f64 v[47:48], v[5:6], v[29:30]
	v_mul_f64 v[29:30], v[3:4], v[29:30]
	s_waitcnt lgkmcnt(0)
	v_mul_f64 v[49:50], v[31:32], v[39:40]
	v_add_f64 v[41:42], v[41:42], v[51:52]
	v_add_f64 v[25:26], v[45:46], v[25:26]
	v_mul_f64 v[45:46], v[33:34], v[39:40]
	ds_read_b128 v[15:18], v21 offset:2560
	v_fma_f64 v[47:48], v[3:4], v[27:28], -v[47:48]
	v_fma_f64 v[29:30], v[5:6], v[27:28], v[29:30]
	v_fma_f64 v[33:34], v[33:34], v[37:38], v[49:50]
	v_add_f64 v[43:44], v[41:42], v[43:44]
	v_add_f64 v[35:36], v[25:26], v[35:36]
	ds_read_b128 v[3:6], v23 offset:160
	ds_read_b128 v[25:28], v23 offset:176
	;; [unrolled: 1-line block ×3, first 2 shown]
	v_fma_f64 v[45:46], v[31:32], v[37:38], -v[45:46]
	s_waitcnt lgkmcnt(2)
	v_mul_f64 v[37:38], v[5:6], v[17:18]
	v_mul_f64 v[17:18], v[3:4], v[17:18]
	v_add_f64 v[43:44], v[43:44], v[47:48]
	v_add_f64 v[35:36], v[35:36], v[29:30]
	s_waitcnt lgkmcnt(0)
	v_mul_f64 v[47:48], v[27:28], v[41:42]
	v_mul_f64 v[41:42], v[25:26], v[41:42]
	ds_read_b128 v[29:32], v21 offset:3072
	v_fma_f64 v[37:38], v[3:4], v[15:16], -v[37:38]
	v_fma_f64 v[49:50], v[5:6], v[15:16], v[17:18]
	v_add_f64 v[43:44], v[43:44], v[45:46]
	v_add_f64 v[45:46], v[35:36], v[33:34]
	ds_read_b128 v[3:6], v23 offset:192
	ds_read_b128 v[15:18], v23 offset:208
	;; [unrolled: 1-line block ×3, first 2 shown]
	v_fma_f64 v[47:48], v[25:26], v[39:40], -v[47:48]
	v_fma_f64 v[39:40], v[27:28], v[39:40], v[41:42]
	s_waitcnt lgkmcnt(2)
	v_mul_f64 v[41:42], v[5:6], v[31:32]
	v_mul_f64 v[31:32], v[3:4], v[31:32]
	ds_read_b128 v[25:28], v21 offset:3584
	v_add_f64 v[37:38], v[43:44], v[37:38]
	v_add_f64 v[43:44], v[45:46], v[49:50]
	s_waitcnt lgkmcnt(1)
	v_mul_f64 v[45:46], v[17:18], v[35:36]
	v_mul_f64 v[49:50], v[15:16], v[35:36]
	v_fma_f64 v[41:42], v[3:4], v[29:30], -v[41:42]
	v_fma_f64 v[51:52], v[5:6], v[29:30], v[31:32]
	v_add_f64 v[47:48], v[37:38], v[47:48]
	v_add_f64 v[39:40], v[43:44], v[39:40]
	ds_read_b128 v[3:6], v23 offset:224
	ds_read_b128 v[29:32], v23 offset:240
	;; [unrolled: 1-line block ×3, first 2 shown]
	v_fma_f64 v[15:16], v[15:16], v[33:34], -v[45:46]
	v_fma_f64 v[17:18], v[17:18], v[33:34], v[49:50]
	s_waitcnt lgkmcnt(2)
	v_mul_f64 v[33:34], v[5:6], v[27:28]
	v_mul_f64 v[27:28], v[3:4], v[27:28]
	s_waitcnt lgkmcnt(0)
	v_mul_f64 v[43:44], v[31:32], v[37:38]
	v_add_f64 v[41:42], v[47:48], v[41:42]
	v_add_f64 v[39:40], v[39:40], v[51:52]
	v_mul_f64 v[37:38], v[29:30], v[37:38]
	s_barrier
	v_fma_f64 v[3:4], v[3:4], v[25:26], -v[33:34]
	v_fma_f64 v[5:6], v[5:6], v[25:26], v[27:28]
	v_fma_f64 v[25:26], v[29:30], v[35:36], -v[43:44]
	v_add_f64 v[15:16], v[41:42], v[15:16]
	v_add_f64 v[17:18], v[39:40], v[17:18]
	v_fma_f64 v[27:28], v[31:32], v[35:36], v[37:38]
	v_add_f64 v[3:4], v[15:16], v[3:4]
	v_add_f64 v[5:6], v[17:18], v[5:6]
	;; [unrolled: 1-line block ×4, first 2 shown]
	s_cbranch_vccnz .LBB1825_10
.LBB1825_3:                             ; =>This Inner Loop Header: Depth=1
	v_mov_b32_e32 v4, s5
	v_add_co_u32_e32 v3, vcc, s4, v1
	v_addc_co_u32_e32 v4, vcc, 0, v4, vcc
	v_cmp_gt_i64_e32 vcc, s[12:13], v[3:4]
	v_mov_b32_e32 v3, 0
	v_mov_b32_e32 v5, 0
	;; [unrolled: 1-line block ×4, first 2 shown]
	s_and_b64 s[10:11], s[0:1], vcc
	s_and_saveexec_b64 s[2:3], s[10:11]
	s_cbranch_execz .LBB1825_5
; %bb.4:                                ;   in Loop: Header=BB1825_3 Depth=1
	flat_load_dwordx4 v[3:6], v[11:12]
	s_waitcnt vmcnt(0) lgkmcnt(0)
	v_xor_b32_e32 v6, 0x80000000, v6
.LBB1825_5:                             ;   in Loop: Header=BB1825_3 Depth=1
	s_or_b64 exec, exec, s[2:3]
	v_mov_b32_e32 v26, s5
	v_add_co_u32_e32 v25, vcc, s4, v0
	v_addc_co_u32_e32 v26, vcc, 0, v26, vcc
	v_cmp_le_i64_e32 vcc, s[12:13], v[25:26]
	ds_write_b128 v22, v[3:6]
	s_or_b64 s[2:3], s[6:7], vcc
	s_and_saveexec_b64 s[10:11], s[2:3]
	s_xor_b64 s[2:3], exec, s[10:11]
; %bb.6:                                ;   in Loop: Header=BB1825_3 Depth=1
	v_mov_b32_e32 v3, v2
	v_mov_b32_e32 v4, v2
	;; [unrolled: 1-line block ×3, first 2 shown]
	ds_write_b128 v24, v[2:5]
; %bb.7:                                ;   in Loop: Header=BB1825_3 Depth=1
	s_andn2_saveexec_b64 s[2:3], s[2:3]
	s_cbranch_execz .LBB1825_2
; %bb.8:                                ;   in Loop: Header=BB1825_3 Depth=1
	flat_load_dwordx4 v[3:6], v[9:10]
	s_waitcnt vmcnt(0) lgkmcnt(0)
	ds_write2_b64 v24, v[3:4], v[5:6] offset1:1
	s_branch .LBB1825_2
.LBB1825_9:
	v_mov_b32_e32 v15, 0
	v_mov_b32_e32 v17, 0
	;; [unrolled: 1-line block ×4, first 2 shown]
.LBB1825_10:
	v_cmp_le_i32_e32 vcc, v7, v19
	v_cmp_gt_i32_e64 s[0:1], s26, v19
	s_and_b64 s[0:1], vcc, s[0:1]
	s_and_saveexec_b64 s[2:3], s[0:1]
	s_cbranch_execz .LBB1825_12
; %bb.11:
	v_mul_f64 v[2:3], s[14:15], v[15:16]
	v_mul_f64 v[0:1], s[16:17], v[15:16]
	v_mul_lo_u32 v6, s23, v19
	v_mul_lo_u32 v9, s22, v20
	v_mad_u64_u32 v[4:5], s[0:1], s22, v19, 0
	v_add3_u32 v5, v5, v9, v6
	v_fma_f64 v[2:3], s[16:17], v[17:18], v[2:3]
	v_lshlrev_b64 v[4:5], 4, v[4:5]
	v_fma_f64 v[0:1], s[14:15], v[17:18], -v[0:1]
	s_waitcnt lgkmcnt(0)
	v_mov_b32_e32 v6, s9
	v_add_co_u32_e32 v9, vcc, s8, v4
	v_addc_co_u32_e32 v6, vcc, v6, v5, vcc
	v_lshlrev_b64 v[4:5], 4, v[7:8]
	v_add_co_u32_e32 v4, vcc, v9, v4
	v_addc_co_u32_e32 v5, vcc, v6, v5, vcc
	v_cmp_ne_u32_e32 vcc, v7, v19
	v_cndmask_b32_e32 v3, 0, v3, vcc
	v_cndmask_b32_e32 v2, 0, v2, vcc
	flat_store_dwordx4 v[4:5], v[0:3]
.LBB1825_12:
	s_endpgm
	.section	.rodata,"a",@progbits
	.p2align	6, 0x0
	.amdhsa_kernel _ZL32rocblas_syrkx_herkx_small_kernelIl19rocblas_complex_numIdELi16ELb1ELb1ELc67ELc85EKPKS1_KPS1_EviT_T0_PT6_S7_lSA_S7_lS8_PT7_S7_li
		.amdhsa_group_segment_fixed_size 8192
		.amdhsa_private_segment_fixed_size 0
		.amdhsa_kernarg_size 124
		.amdhsa_user_sgpr_count 6
		.amdhsa_user_sgpr_private_segment_buffer 1
		.amdhsa_user_sgpr_dispatch_ptr 0
		.amdhsa_user_sgpr_queue_ptr 0
		.amdhsa_user_sgpr_kernarg_segment_ptr 1
		.amdhsa_user_sgpr_dispatch_id 0
		.amdhsa_user_sgpr_flat_scratch_init 0
		.amdhsa_user_sgpr_private_segment_size 0
		.amdhsa_uses_dynamic_stack 0
		.amdhsa_system_sgpr_private_segment_wavefront_offset 0
		.amdhsa_system_sgpr_workgroup_id_x 1
		.amdhsa_system_sgpr_workgroup_id_y 1
		.amdhsa_system_sgpr_workgroup_id_z 1
		.amdhsa_system_sgpr_workgroup_info 0
		.amdhsa_system_vgpr_workitem_id 1
		.amdhsa_next_free_vgpr 53
		.amdhsa_next_free_sgpr 61
		.amdhsa_reserve_vcc 1
		.amdhsa_reserve_flat_scratch 0
		.amdhsa_float_round_mode_32 0
		.amdhsa_float_round_mode_16_64 0
		.amdhsa_float_denorm_mode_32 3
		.amdhsa_float_denorm_mode_16_64 3
		.amdhsa_dx10_clamp 1
		.amdhsa_ieee_mode 1
		.amdhsa_fp16_overflow 0
		.amdhsa_exception_fp_ieee_invalid_op 0
		.amdhsa_exception_fp_denorm_src 0
		.amdhsa_exception_fp_ieee_div_zero 0
		.amdhsa_exception_fp_ieee_overflow 0
		.amdhsa_exception_fp_ieee_underflow 0
		.amdhsa_exception_fp_ieee_inexact 0
		.amdhsa_exception_int_div_zero 0
	.end_amdhsa_kernel
	.section	.text._ZL32rocblas_syrkx_herkx_small_kernelIl19rocblas_complex_numIdELi16ELb1ELb1ELc67ELc85EKPKS1_KPS1_EviT_T0_PT6_S7_lSA_S7_lS8_PT7_S7_li,"axG",@progbits,_ZL32rocblas_syrkx_herkx_small_kernelIl19rocblas_complex_numIdELi16ELb1ELb1ELc67ELc85EKPKS1_KPS1_EviT_T0_PT6_S7_lSA_S7_lS8_PT7_S7_li,comdat
.Lfunc_end1825:
	.size	_ZL32rocblas_syrkx_herkx_small_kernelIl19rocblas_complex_numIdELi16ELb1ELb1ELc67ELc85EKPKS1_KPS1_EviT_T0_PT6_S7_lSA_S7_lS8_PT7_S7_li, .Lfunc_end1825-_ZL32rocblas_syrkx_herkx_small_kernelIl19rocblas_complex_numIdELi16ELb1ELb1ELc67ELc85EKPKS1_KPS1_EviT_T0_PT6_S7_lSA_S7_lS8_PT7_S7_li
                                        ; -- End function
	.set _ZL32rocblas_syrkx_herkx_small_kernelIl19rocblas_complex_numIdELi16ELb1ELb1ELc67ELc85EKPKS1_KPS1_EviT_T0_PT6_S7_lSA_S7_lS8_PT7_S7_li.num_vgpr, 53
	.set _ZL32rocblas_syrkx_herkx_small_kernelIl19rocblas_complex_numIdELi16ELb1ELb1ELc67ELc85EKPKS1_KPS1_EviT_T0_PT6_S7_lSA_S7_lS8_PT7_S7_li.num_agpr, 0
	.set _ZL32rocblas_syrkx_herkx_small_kernelIl19rocblas_complex_numIdELi16ELb1ELb1ELc67ELc85EKPKS1_KPS1_EviT_T0_PT6_S7_lSA_S7_lS8_PT7_S7_li.numbered_sgpr, 32
	.set _ZL32rocblas_syrkx_herkx_small_kernelIl19rocblas_complex_numIdELi16ELb1ELb1ELc67ELc85EKPKS1_KPS1_EviT_T0_PT6_S7_lSA_S7_lS8_PT7_S7_li.num_named_barrier, 0
	.set _ZL32rocblas_syrkx_herkx_small_kernelIl19rocblas_complex_numIdELi16ELb1ELb1ELc67ELc85EKPKS1_KPS1_EviT_T0_PT6_S7_lSA_S7_lS8_PT7_S7_li.private_seg_size, 0
	.set _ZL32rocblas_syrkx_herkx_small_kernelIl19rocblas_complex_numIdELi16ELb1ELb1ELc67ELc85EKPKS1_KPS1_EviT_T0_PT6_S7_lSA_S7_lS8_PT7_S7_li.uses_vcc, 1
	.set _ZL32rocblas_syrkx_herkx_small_kernelIl19rocblas_complex_numIdELi16ELb1ELb1ELc67ELc85EKPKS1_KPS1_EviT_T0_PT6_S7_lSA_S7_lS8_PT7_S7_li.uses_flat_scratch, 0
	.set _ZL32rocblas_syrkx_herkx_small_kernelIl19rocblas_complex_numIdELi16ELb1ELb1ELc67ELc85EKPKS1_KPS1_EviT_T0_PT6_S7_lSA_S7_lS8_PT7_S7_li.has_dyn_sized_stack, 0
	.set _ZL32rocblas_syrkx_herkx_small_kernelIl19rocblas_complex_numIdELi16ELb1ELb1ELc67ELc85EKPKS1_KPS1_EviT_T0_PT6_S7_lSA_S7_lS8_PT7_S7_li.has_recursion, 0
	.set _ZL32rocblas_syrkx_herkx_small_kernelIl19rocblas_complex_numIdELi16ELb1ELb1ELc67ELc85EKPKS1_KPS1_EviT_T0_PT6_S7_lSA_S7_lS8_PT7_S7_li.has_indirect_call, 0
	.section	.AMDGPU.csdata,"",@progbits
; Kernel info:
; codeLenInByte = 1828
; TotalNumSgprs: 36
; NumVgprs: 53
; ScratchSize: 0
; MemoryBound: 1
; FloatMode: 240
; IeeeMode: 1
; LDSByteSize: 8192 bytes/workgroup (compile time only)
; SGPRBlocks: 8
; VGPRBlocks: 13
; NumSGPRsForWavesPerEU: 65
; NumVGPRsForWavesPerEU: 53
; Occupancy: 4
; WaveLimiterHint : 1
; COMPUTE_PGM_RSRC2:SCRATCH_EN: 0
; COMPUTE_PGM_RSRC2:USER_SGPR: 6
; COMPUTE_PGM_RSRC2:TRAP_HANDLER: 0
; COMPUTE_PGM_RSRC2:TGID_X_EN: 1
; COMPUTE_PGM_RSRC2:TGID_Y_EN: 1
; COMPUTE_PGM_RSRC2:TGID_Z_EN: 1
; COMPUTE_PGM_RSRC2:TIDIG_COMP_CNT: 1
	.section	.text._ZL32rocblas_syrkx_herkx_small_kernelIl19rocblas_complex_numIdELi16ELb1ELb1ELc78ELc85EKPKS1_KPS1_EviT_T0_PT6_S7_lSA_S7_lS8_PT7_S7_li,"axG",@progbits,_ZL32rocblas_syrkx_herkx_small_kernelIl19rocblas_complex_numIdELi16ELb1ELb1ELc78ELc85EKPKS1_KPS1_EviT_T0_PT6_S7_lSA_S7_lS8_PT7_S7_li,comdat
	.globl	_ZL32rocblas_syrkx_herkx_small_kernelIl19rocblas_complex_numIdELi16ELb1ELb1ELc78ELc85EKPKS1_KPS1_EviT_T0_PT6_S7_lSA_S7_lS8_PT7_S7_li ; -- Begin function _ZL32rocblas_syrkx_herkx_small_kernelIl19rocblas_complex_numIdELi16ELb1ELb1ELc78ELc85EKPKS1_KPS1_EviT_T0_PT6_S7_lSA_S7_lS8_PT7_S7_li
	.p2align	8
	.type	_ZL32rocblas_syrkx_herkx_small_kernelIl19rocblas_complex_numIdELi16ELb1ELb1ELc78ELc85EKPKS1_KPS1_EviT_T0_PT6_S7_lSA_S7_lS8_PT7_S7_li,@function
_ZL32rocblas_syrkx_herkx_small_kernelIl19rocblas_complex_numIdELi16ELb1ELb1ELc78ELc85EKPKS1_KPS1_EviT_T0_PT6_S7_lSA_S7_lS8_PT7_S7_li: ; @_ZL32rocblas_syrkx_herkx_small_kernelIl19rocblas_complex_numIdELi16ELb1ELb1ELc78ELc85EKPKS1_KPS1_EviT_T0_PT6_S7_lSA_S7_lS8_PT7_S7_li
; %bb.0:
	s_load_dwordx2 s[24:25], s[4:5], 0x28
	s_load_dwordx4 s[20:23], s[4:5], 0x60
	s_load_dword s26, s[4:5], 0x0
	s_load_dwordx8 s[12:19], s[4:5], 0x8
	s_mov_b32 s9, 0
	s_lshl_b64 s[2:3], s[8:9], 3
	s_waitcnt lgkmcnt(0)
	s_add_u32 s0, s20, s2
	s_addc_u32 s1, s21, s3
	s_load_dwordx2 s[20:21], s[0:1], 0x0
	v_cmp_lt_i64_e64 s[0:1], s[12:13], 1
	v_lshl_add_u32 v7, s6, 4, v0
	v_lshl_add_u32 v9, s7, 4, v1
	s_and_b64 vcc, exec, s[0:1]
	v_ashrrev_i32_e32 v8, 31, v7
	v_cmp_gt_i32_e64 s[0:1], s26, v9
	v_ashrrev_i32_e32 v10, 31, v9
	s_cbranch_vccnz .LBB1826_9
; %bb.1:
	s_load_dwordx4 s[8:11], s[4:5], 0x38
	v_lshlrev_b32_e32 v6, 8, v1
	v_lshlrev_b32_e32 v21, 4, v0
	v_add_u32_e32 v22, v21, v6
	v_add_u32_e32 v23, 0x1000, v6
	s_waitcnt lgkmcnt(0)
	s_add_u32 s4, s8, s2
	v_mad_u64_u32 v[3:4], s[6:7], s10, v0, 0
	s_addc_u32 s5, s9, s3
	s_add_u32 s2, s18, s2
	s_addc_u32 s3, s19, s3
	s_load_dwordx2 s[6:7], s[2:3], 0x0
	v_mad_u64_u32 v[4:5], s[2:3], s11, v0, v[4:5]
	v_mad_u64_u32 v[13:14], s[2:3], s24, v1, 0
	v_lshlrev_b64 v[3:4], 4, v[3:4]
	v_lshlrev_b64 v[5:6], 4, v[9:10]
	s_load_dwordx2 s[4:5], s[4:5], 0x0
	v_add_co_u32_e64 v5, s[2:3], v3, v5
	v_mov_b32_e32 v3, v14
	v_addc_co_u32_e64 v6, s[2:3], v4, v6, s[2:3]
	v_mad_u64_u32 v[3:4], s[2:3], s25, v1, v[3:4]
	s_waitcnt lgkmcnt(0)
	v_mov_b32_e32 v12, s5
	v_add_co_u32_e64 v11, s[2:3], s4, v5
	v_mov_b32_e32 v14, v3
	v_addc_co_u32_e64 v12, s[2:3], v12, v6, s[2:3]
	v_lshlrev_b64 v[3:4], 4, v[13:14]
	v_lshlrev_b64 v[5:6], 4, v[7:8]
	v_cmp_gt_i32_e32 vcc, s26, v7
	v_add_co_u32_e64 v3, s[2:3], v3, v5
	v_addc_co_u32_e64 v4, s[2:3], v4, v6, s[2:3]
	s_lshl_b64 s[4:5], s[10:11], 8
	v_mov_b32_e32 v5, s7
	v_add_co_u32_e64 v13, s[2:3], s6, v3
	s_lshl_b64 s[6:7], s[24:25], 8
	v_mov_b32_e32 v17, 0
	v_mov_b32_e32 v19, 0
	;; [unrolled: 1-line block ×4, first 2 shown]
	v_add_u32_e32 v24, v23, v21
	v_addc_co_u32_e64 v14, s[2:3], v5, v4, s[2:3]
	v_mov_b32_e32 v18, 0
	s_mov_b64 s[8:9], 0
	s_xor_b64 s[10:11], vcc, -1
	v_mov_b32_e32 v25, s5
	v_mov_b32_e32 v26, s7
	;; [unrolled: 1-line block ×4, first 2 shown]
	s_branch .LBB1826_3
.LBB1826_2:                             ;   in Loop: Header=BB1826_3 Depth=1
	s_or_b64 exec, exec, s[2:3]
	ds_write_b128 v24, v[3:6]
	s_waitcnt lgkmcnt(0)
	s_barrier
	ds_read_b128 v[3:6], v21
	ds_read_b128 v[27:30], v23
	ds_read_b128 v[31:34], v23 offset:16
	ds_read_b128 v[35:38], v21 offset:256
	s_add_u32 s8, s8, 16
	v_add_co_u32_e32 v11, vcc, s4, v11
	s_waitcnt lgkmcnt(2)
	v_mul_f64 v[39:40], v[29:30], v[5:6]
	v_mul_f64 v[5:6], v[27:28], v[5:6]
	s_waitcnt lgkmcnt(0)
	v_mul_f64 v[41:42], v[33:34], v[37:38]
	v_mul_f64 v[43:44], v[31:32], v[37:38]
	v_addc_co_u32_e32 v12, vcc, v12, v25, vcc
	s_addc_u32 s9, s9, 0
	v_cmp_ge_i64_e32 vcc, s[8:9], v[15:16]
	v_fma_f64 v[45:46], v[27:28], v[3:4], -v[39:40]
	v_fma_f64 v[47:48], v[29:30], v[3:4], v[5:6]
	ds_read_b128 v[3:6], v21 offset:512
	ds_read_b128 v[27:30], v23 offset:32
	;; [unrolled: 1-line block ×3, first 2 shown]
	v_fma_f64 v[41:42], v[31:32], v[35:36], -v[41:42]
	v_fma_f64 v[35:36], v[33:34], v[35:36], v[43:44]
	ds_read_b128 v[31:34], v21 offset:768
	s_waitcnt lgkmcnt(2)
	v_mul_f64 v[43:44], v[29:30], v[5:6]
	v_mul_f64 v[5:6], v[27:28], v[5:6]
	v_add_f64 v[19:20], v[19:20], v[45:46]
	v_add_f64 v[17:18], v[17:18], v[47:48]
	s_waitcnt lgkmcnt(0)
	v_mul_f64 v[45:46], v[39:40], v[33:34]
	v_mul_f64 v[33:34], v[37:38], v[33:34]
	v_add_co_u32_e64 v13, s[2:3], s6, v13
	v_fma_f64 v[43:44], v[27:28], v[3:4], -v[43:44]
	v_fma_f64 v[47:48], v[29:30], v[3:4], v[5:6]
	v_add_f64 v[41:42], v[19:20], v[41:42]
	v_add_f64 v[35:36], v[17:18], v[35:36]
	ds_read_b128 v[3:6], v23 offset:64
	ds_read_b128 v[17:20], v21 offset:1024
	v_fma_f64 v[37:38], v[37:38], v[31:32], -v[45:46]
	v_fma_f64 v[39:40], v[39:40], v[31:32], v[33:34]
	ds_read_b128 v[27:30], v23 offset:80
	ds_read_b128 v[31:34], v21 offset:1280
	v_addc_co_u32_e64 v14, s[2:3], v14, v26, s[2:3]
	s_waitcnt lgkmcnt(2)
	v_mul_f64 v[45:46], v[5:6], v[19:20]
	v_mul_f64 v[19:20], v[3:4], v[19:20]
	v_add_f64 v[41:42], v[41:42], v[43:44]
	v_add_f64 v[35:36], v[35:36], v[47:48]
	s_waitcnt lgkmcnt(0)
	v_mul_f64 v[43:44], v[29:30], v[33:34]
	v_mul_f64 v[33:34], v[27:28], v[33:34]
	s_and_b64 vcc, exec, vcc
	v_fma_f64 v[45:46], v[3:4], v[17:18], -v[45:46]
	v_fma_f64 v[47:48], v[5:6], v[17:18], v[19:20]
	v_add_f64 v[37:38], v[41:42], v[37:38]
	v_add_f64 v[35:36], v[35:36], v[39:40]
	ds_read_b128 v[3:6], v23 offset:96
	ds_read_b128 v[17:20], v21 offset:1536
	v_fma_f64 v[39:40], v[27:28], v[31:32], -v[43:44]
	v_fma_f64 v[41:42], v[29:30], v[31:32], v[33:34]
	ds_read_b128 v[27:30], v23 offset:112
	ds_read_b128 v[31:34], v21 offset:1792
	s_waitcnt lgkmcnt(2)
	v_mul_f64 v[43:44], v[5:6], v[19:20]
	v_mul_f64 v[19:20], v[3:4], v[19:20]
	v_add_f64 v[37:38], v[37:38], v[45:46]
	v_add_f64 v[35:36], v[35:36], v[47:48]
	s_waitcnt lgkmcnt(0)
	v_mul_f64 v[45:46], v[29:30], v[33:34]
	v_mul_f64 v[33:34], v[27:28], v[33:34]
	v_fma_f64 v[43:44], v[3:4], v[17:18], -v[43:44]
	v_fma_f64 v[47:48], v[5:6], v[17:18], v[19:20]
	v_add_f64 v[37:38], v[37:38], v[39:40]
	v_add_f64 v[35:36], v[35:36], v[41:42]
	ds_read_b128 v[3:6], v23 offset:128
	ds_read_b128 v[17:20], v21 offset:2048
	v_fma_f64 v[39:40], v[27:28], v[31:32], -v[45:46]
	v_fma_f64 v[41:42], v[29:30], v[31:32], v[33:34]
	ds_read_b128 v[27:30], v23 offset:144
	ds_read_b128 v[31:34], v21 offset:2304
	s_waitcnt lgkmcnt(2)
	v_mul_f64 v[45:46], v[5:6], v[19:20]
	v_mul_f64 v[19:20], v[3:4], v[19:20]
	v_add_f64 v[37:38], v[37:38], v[43:44]
	v_add_f64 v[35:36], v[35:36], v[47:48]
	s_waitcnt lgkmcnt(0)
	v_mul_f64 v[43:44], v[29:30], v[33:34]
	v_mul_f64 v[33:34], v[27:28], v[33:34]
	;; [unrolled: 18-line block ×4, first 2 shown]
	v_fma_f64 v[45:46], v[3:4], v[17:18], -v[45:46]
	v_fma_f64 v[47:48], v[5:6], v[17:18], v[19:20]
	v_add_f64 v[37:38], v[37:38], v[39:40]
	v_add_f64 v[35:36], v[35:36], v[41:42]
	ds_read_b128 v[3:6], v23 offset:224
	ds_read_b128 v[17:20], v21 offset:3584
	v_fma_f64 v[39:40], v[27:28], v[31:32], -v[43:44]
	v_fma_f64 v[41:42], v[29:30], v[31:32], v[33:34]
	ds_read_b128 v[27:30], v23 offset:240
	ds_read_b128 v[31:34], v21 offset:3840
	s_waitcnt lgkmcnt(0)
	v_mul_f64 v[43:44], v[5:6], v[19:20]
	v_mul_f64 v[19:20], v[3:4], v[19:20]
	v_add_f64 v[37:38], v[37:38], v[45:46]
	v_add_f64 v[35:36], v[35:36], v[47:48]
	v_mul_f64 v[45:46], v[29:30], v[33:34]
	v_mul_f64 v[33:34], v[27:28], v[33:34]
	s_barrier
	v_fma_f64 v[3:4], v[3:4], v[17:18], -v[43:44]
	v_fma_f64 v[5:6], v[5:6], v[17:18], v[19:20]
	v_add_f64 v[17:18], v[37:38], v[39:40]
	v_add_f64 v[19:20], v[35:36], v[41:42]
	v_fma_f64 v[27:28], v[27:28], v[31:32], -v[45:46]
	v_fma_f64 v[29:30], v[29:30], v[31:32], v[33:34]
	v_add_f64 v[3:4], v[17:18], v[3:4]
	v_add_f64 v[5:6], v[19:20], v[5:6]
	v_add_f64 v[19:20], v[3:4], v[27:28]
	v_add_f64 v[17:18], v[5:6], v[29:30]
	s_cbranch_vccnz .LBB1826_10
.LBB1826_3:                             ; =>This Inner Loop Header: Depth=1
	v_mov_b32_e32 v4, s9
	v_add_co_u32_e32 v3, vcc, s8, v1
	v_addc_co_u32_e32 v4, vcc, 0, v4, vcc
	v_cmp_le_i64_e32 vcc, s[12:13], v[3:4]
	s_or_b64 s[2:3], s[10:11], vcc
	s_and_saveexec_b64 s[18:19], s[2:3]
	s_xor_b64 s[2:3], exec, s[18:19]
; %bb.4:                                ;   in Loop: Header=BB1826_3 Depth=1
	v_mov_b32_e32 v3, v2
	v_mov_b32_e32 v4, v2
	;; [unrolled: 1-line block ×3, first 2 shown]
	ds_write_b128 v22, v[2:5]
; %bb.5:                                ;   in Loop: Header=BB1826_3 Depth=1
	s_andn2_saveexec_b64 s[2:3], s[2:3]
	s_cbranch_execz .LBB1826_7
; %bb.6:                                ;   in Loop: Header=BB1826_3 Depth=1
	flat_load_dwordx4 v[3:6], v[13:14]
	s_waitcnt vmcnt(0) lgkmcnt(0)
	ds_write2_b64 v22, v[3:4], v[5:6] offset1:1
.LBB1826_7:                             ;   in Loop: Header=BB1826_3 Depth=1
	s_or_b64 exec, exec, s[2:3]
	v_mov_b32_e32 v4, s9
	v_add_co_u32_e32 v3, vcc, s8, v0
	v_addc_co_u32_e32 v4, vcc, 0, v4, vcc
	v_cmp_gt_i64_e32 vcc, s[12:13], v[3:4]
	v_mov_b32_e32 v3, 0
	v_mov_b32_e32 v5, 0
	;; [unrolled: 1-line block ×4, first 2 shown]
	s_and_b64 s[18:19], s[0:1], vcc
	s_and_saveexec_b64 s[2:3], s[18:19]
	s_cbranch_execz .LBB1826_2
; %bb.8:                                ;   in Loop: Header=BB1826_3 Depth=1
	flat_load_dwordx4 v[3:6], v[11:12]
	s_waitcnt vmcnt(0) lgkmcnt(0)
	v_xor_b32_e32 v6, 0x80000000, v6
	s_branch .LBB1826_2
.LBB1826_9:
	v_mov_b32_e32 v17, 0
	v_mov_b32_e32 v19, 0
	;; [unrolled: 1-line block ×4, first 2 shown]
.LBB1826_10:
	v_cmp_le_i32_e32 vcc, v7, v9
	v_cmp_gt_i32_e64 s[0:1], s26, v9
	s_and_b64 s[0:1], vcc, s[0:1]
	s_and_saveexec_b64 s[2:3], s[0:1]
	s_cbranch_execz .LBB1826_12
; %bb.11:
	v_mul_f64 v[2:3], s[14:15], v[17:18]
	v_mul_f64 v[0:1], s[16:17], v[17:18]
	v_mul_lo_u32 v6, s23, v9
	v_mul_lo_u32 v10, s22, v10
	v_mad_u64_u32 v[4:5], s[0:1], s22, v9, 0
	v_add3_u32 v5, v5, v10, v6
	v_fma_f64 v[2:3], s[16:17], v[19:20], v[2:3]
	v_lshlrev_b64 v[4:5], 4, v[4:5]
	v_fma_f64 v[0:1], s[14:15], v[19:20], -v[0:1]
	s_waitcnt lgkmcnt(0)
	v_mov_b32_e32 v6, s21
	v_add_co_u32_e32 v10, vcc, s20, v4
	v_addc_co_u32_e32 v6, vcc, v6, v5, vcc
	v_lshlrev_b64 v[4:5], 4, v[7:8]
	v_add_co_u32_e32 v4, vcc, v10, v4
	v_addc_co_u32_e32 v5, vcc, v6, v5, vcc
	v_cmp_ne_u32_e32 vcc, v7, v9
	v_cndmask_b32_e32 v3, 0, v3, vcc
	v_cndmask_b32_e32 v2, 0, v2, vcc
	flat_store_dwordx4 v[4:5], v[0:3]
.LBB1826_12:
	s_endpgm
	.section	.rodata,"a",@progbits
	.p2align	6, 0x0
	.amdhsa_kernel _ZL32rocblas_syrkx_herkx_small_kernelIl19rocblas_complex_numIdELi16ELb1ELb1ELc78ELc85EKPKS1_KPS1_EviT_T0_PT6_S7_lSA_S7_lS8_PT7_S7_li
		.amdhsa_group_segment_fixed_size 8192
		.amdhsa_private_segment_fixed_size 0
		.amdhsa_kernarg_size 124
		.amdhsa_user_sgpr_count 6
		.amdhsa_user_sgpr_private_segment_buffer 1
		.amdhsa_user_sgpr_dispatch_ptr 0
		.amdhsa_user_sgpr_queue_ptr 0
		.amdhsa_user_sgpr_kernarg_segment_ptr 1
		.amdhsa_user_sgpr_dispatch_id 0
		.amdhsa_user_sgpr_flat_scratch_init 0
		.amdhsa_user_sgpr_private_segment_size 0
		.amdhsa_uses_dynamic_stack 0
		.amdhsa_system_sgpr_private_segment_wavefront_offset 0
		.amdhsa_system_sgpr_workgroup_id_x 1
		.amdhsa_system_sgpr_workgroup_id_y 1
		.amdhsa_system_sgpr_workgroup_id_z 1
		.amdhsa_system_sgpr_workgroup_info 0
		.amdhsa_system_vgpr_workitem_id 1
		.amdhsa_next_free_vgpr 49
		.amdhsa_next_free_sgpr 61
		.amdhsa_reserve_vcc 1
		.amdhsa_reserve_flat_scratch 0
		.amdhsa_float_round_mode_32 0
		.amdhsa_float_round_mode_16_64 0
		.amdhsa_float_denorm_mode_32 3
		.amdhsa_float_denorm_mode_16_64 3
		.amdhsa_dx10_clamp 1
		.amdhsa_ieee_mode 1
		.amdhsa_fp16_overflow 0
		.amdhsa_exception_fp_ieee_invalid_op 0
		.amdhsa_exception_fp_denorm_src 0
		.amdhsa_exception_fp_ieee_div_zero 0
		.amdhsa_exception_fp_ieee_overflow 0
		.amdhsa_exception_fp_ieee_underflow 0
		.amdhsa_exception_fp_ieee_inexact 0
		.amdhsa_exception_int_div_zero 0
	.end_amdhsa_kernel
	.section	.text._ZL32rocblas_syrkx_herkx_small_kernelIl19rocblas_complex_numIdELi16ELb1ELb1ELc78ELc85EKPKS1_KPS1_EviT_T0_PT6_S7_lSA_S7_lS8_PT7_S7_li,"axG",@progbits,_ZL32rocblas_syrkx_herkx_small_kernelIl19rocblas_complex_numIdELi16ELb1ELb1ELc78ELc85EKPKS1_KPS1_EviT_T0_PT6_S7_lSA_S7_lS8_PT7_S7_li,comdat
.Lfunc_end1826:
	.size	_ZL32rocblas_syrkx_herkx_small_kernelIl19rocblas_complex_numIdELi16ELb1ELb1ELc78ELc85EKPKS1_KPS1_EviT_T0_PT6_S7_lSA_S7_lS8_PT7_S7_li, .Lfunc_end1826-_ZL32rocblas_syrkx_herkx_small_kernelIl19rocblas_complex_numIdELi16ELb1ELb1ELc78ELc85EKPKS1_KPS1_EviT_T0_PT6_S7_lSA_S7_lS8_PT7_S7_li
                                        ; -- End function
	.set _ZL32rocblas_syrkx_herkx_small_kernelIl19rocblas_complex_numIdELi16ELb1ELb1ELc78ELc85EKPKS1_KPS1_EviT_T0_PT6_S7_lSA_S7_lS8_PT7_S7_li.num_vgpr, 49
	.set _ZL32rocblas_syrkx_herkx_small_kernelIl19rocblas_complex_numIdELi16ELb1ELb1ELc78ELc85EKPKS1_KPS1_EviT_T0_PT6_S7_lSA_S7_lS8_PT7_S7_li.num_agpr, 0
	.set _ZL32rocblas_syrkx_herkx_small_kernelIl19rocblas_complex_numIdELi16ELb1ELb1ELc78ELc85EKPKS1_KPS1_EviT_T0_PT6_S7_lSA_S7_lS8_PT7_S7_li.numbered_sgpr, 27
	.set _ZL32rocblas_syrkx_herkx_small_kernelIl19rocblas_complex_numIdELi16ELb1ELb1ELc78ELc85EKPKS1_KPS1_EviT_T0_PT6_S7_lSA_S7_lS8_PT7_S7_li.num_named_barrier, 0
	.set _ZL32rocblas_syrkx_herkx_small_kernelIl19rocblas_complex_numIdELi16ELb1ELb1ELc78ELc85EKPKS1_KPS1_EviT_T0_PT6_S7_lSA_S7_lS8_PT7_S7_li.private_seg_size, 0
	.set _ZL32rocblas_syrkx_herkx_small_kernelIl19rocblas_complex_numIdELi16ELb1ELb1ELc78ELc85EKPKS1_KPS1_EviT_T0_PT6_S7_lSA_S7_lS8_PT7_S7_li.uses_vcc, 1
	.set _ZL32rocblas_syrkx_herkx_small_kernelIl19rocblas_complex_numIdELi16ELb1ELb1ELc78ELc85EKPKS1_KPS1_EviT_T0_PT6_S7_lSA_S7_lS8_PT7_S7_li.uses_flat_scratch, 0
	.set _ZL32rocblas_syrkx_herkx_small_kernelIl19rocblas_complex_numIdELi16ELb1ELb1ELc78ELc85EKPKS1_KPS1_EviT_T0_PT6_S7_lSA_S7_lS8_PT7_S7_li.has_dyn_sized_stack, 0
	.set _ZL32rocblas_syrkx_herkx_small_kernelIl19rocblas_complex_numIdELi16ELb1ELb1ELc78ELc85EKPKS1_KPS1_EviT_T0_PT6_S7_lSA_S7_lS8_PT7_S7_li.has_recursion, 0
	.set _ZL32rocblas_syrkx_herkx_small_kernelIl19rocblas_complex_numIdELi16ELb1ELb1ELc78ELc85EKPKS1_KPS1_EviT_T0_PT6_S7_lSA_S7_lS8_PT7_S7_li.has_indirect_call, 0
	.section	.AMDGPU.csdata,"",@progbits
; Kernel info:
; codeLenInByte = 1852
; TotalNumSgprs: 31
; NumVgprs: 49
; ScratchSize: 0
; MemoryBound: 1
; FloatMode: 240
; IeeeMode: 1
; LDSByteSize: 8192 bytes/workgroup (compile time only)
; SGPRBlocks: 8
; VGPRBlocks: 12
; NumSGPRsForWavesPerEU: 65
; NumVGPRsForWavesPerEU: 49
; Occupancy: 4
; WaveLimiterHint : 1
; COMPUTE_PGM_RSRC2:SCRATCH_EN: 0
; COMPUTE_PGM_RSRC2:USER_SGPR: 6
; COMPUTE_PGM_RSRC2:TRAP_HANDLER: 0
; COMPUTE_PGM_RSRC2:TGID_X_EN: 1
; COMPUTE_PGM_RSRC2:TGID_Y_EN: 1
; COMPUTE_PGM_RSRC2:TGID_Z_EN: 1
; COMPUTE_PGM_RSRC2:TIDIG_COMP_CNT: 1
	.section	.text._ZL32rocblas_syrkx_herkx_small_kernelIl19rocblas_complex_numIdELi16ELb0ELb1ELc84ELc76EKPKS1_KPS1_EviT_T0_PT6_S7_lSA_S7_lS8_PT7_S7_li,"axG",@progbits,_ZL32rocblas_syrkx_herkx_small_kernelIl19rocblas_complex_numIdELi16ELb0ELb1ELc84ELc76EKPKS1_KPS1_EviT_T0_PT6_S7_lSA_S7_lS8_PT7_S7_li,comdat
	.globl	_ZL32rocblas_syrkx_herkx_small_kernelIl19rocblas_complex_numIdELi16ELb0ELb1ELc84ELc76EKPKS1_KPS1_EviT_T0_PT6_S7_lSA_S7_lS8_PT7_S7_li ; -- Begin function _ZL32rocblas_syrkx_herkx_small_kernelIl19rocblas_complex_numIdELi16ELb0ELb1ELc84ELc76EKPKS1_KPS1_EviT_T0_PT6_S7_lSA_S7_lS8_PT7_S7_li
	.p2align	8
	.type	_ZL32rocblas_syrkx_herkx_small_kernelIl19rocblas_complex_numIdELi16ELb0ELb1ELc84ELc76EKPKS1_KPS1_EviT_T0_PT6_S7_lSA_S7_lS8_PT7_S7_li,@function
_ZL32rocblas_syrkx_herkx_small_kernelIl19rocblas_complex_numIdELi16ELb0ELb1ELc84ELc76EKPKS1_KPS1_EviT_T0_PT6_S7_lSA_S7_lS8_PT7_S7_li: ; @_ZL32rocblas_syrkx_herkx_small_kernelIl19rocblas_complex_numIdELi16ELb0ELb1ELc84ELc76EKPKS1_KPS1_EviT_T0_PT6_S7_lSA_S7_lS8_PT7_S7_li
; %bb.0:
	s_load_dword s28, s[4:5], 0x0
	s_load_dwordx8 s[12:19], s[4:5], 0x50
	s_load_dwordx8 s[20:27], s[4:5], 0x8
	s_load_dwordx2 s[10:11], s[4:5], 0x28
	s_mov_b32 s9, 0
	s_lshl_b64 s[2:3], s[8:9], 3
	s_waitcnt lgkmcnt(0)
	s_add_u32 s0, s16, s2
	s_addc_u32 s1, s17, s3
	s_load_dwordx2 s[8:9], s[0:1], 0x0
	v_cmp_lt_i64_e64 s[0:1], s[20:21], 1
	v_lshl_add_u32 v6, s6, 4, v0
	v_lshl_add_u32 v18, s7, 4, v1
	s_and_b64 vcc, exec, s[0:1]
	v_cmp_gt_i32_e64 s[0:1], s28, v6
	v_ashrrev_i32_e32 v7, 31, v6
	v_ashrrev_i32_e32 v19, 31, v18
	s_cbranch_vccnz .LBB1827_11
; %bb.1:
	s_load_dwordx4 s[36:39], s[4:5], 0x38
	v_lshlrev_b32_e32 v5, 8, v1
	v_lshlrev_b32_e32 v20, 4, v0
	v_add_u32_e32 v21, v20, v5
	v_add_u32_e32 v22, 0x1000, v5
	s_waitcnt lgkmcnt(0)
	s_add_u32 s4, s36, s2
	s_addc_u32 s5, s37, s3
	s_add_u32 s2, s26, s2
	s_addc_u32 s3, s27, s3
	s_load_dwordx2 s[6:7], s[2:3], 0x0
	v_mul_lo_u32 v8, s39, v18
	v_mul_lo_u32 v9, s38, v19
	v_mad_u64_u32 v[3:4], s[2:3], s38, v18, 0
	s_load_dwordx2 s[4:5], s[4:5], 0x0
	v_mul_lo_u32 v11, s11, v6
	v_add3_u32 v4, v4, v9, v8
	v_lshlrev_b64 v[3:4], 4, v[3:4]
	v_mul_lo_u32 v12, s10, v7
	v_add_co_u32_e64 v5, s[2:3], v3, v20
	v_addc_co_u32_e64 v9, s[2:3], 0, v4, s[2:3]
	v_mad_u64_u32 v[3:4], s[2:3], s10, v6, 0
	s_waitcnt lgkmcnt(0)
	v_mov_b32_e32 v10, s5
	v_add_co_u32_e64 v8, s[2:3], s4, v5
	v_add3_u32 v4, v4, v12, v11
	v_lshlrev_b64 v[3:4], 4, v[3:4]
	v_addc_co_u32_e64 v9, s[2:3], v10, v9, s[2:3]
	v_lshlrev_b32_e32 v5, 4, v1
	v_add_co_u32_e64 v3, s[2:3], v3, v5
	v_addc_co_u32_e64 v4, s[2:3], 0, v4, s[2:3]
	v_mov_b32_e32 v5, s7
	v_add_co_u32_e64 v10, s[2:3], s6, v3
	v_cmp_gt_i32_e32 vcc, s28, v18
	v_addc_co_u32_e64 v11, s[2:3], v5, v4, s[2:3]
	v_mov_b32_e32 v14, 0
	v_mov_b32_e32 v16, 0
	;; [unrolled: 1-line block ×4, first 2 shown]
	v_add_u32_e32 v23, v22, v20
	v_mov_b32_e32 v15, 0
	s_mov_b64 s[2:3], 0
	s_xor_b64 s[4:5], s[0:1], -1
	s_xor_b64 s[6:7], vcc, -1
	v_mov_b32_e32 v17, 0
	v_mov_b32_e32 v13, s21
	s_branch .LBB1827_3
.LBB1827_2:                             ;   in Loop: Header=BB1827_3 Depth=1
	s_or_b64 exec, exec, s[0:1]
	s_waitcnt lgkmcnt(0)
	s_barrier
	ds_read_b128 v[24:27], v20
	ds_read_b128 v[28:31], v22
	ds_read_b128 v[32:35], v22 offset:16
	ds_read_b128 v[36:39], v20 offset:256
	s_add_u32 s2, s2, 16
	v_add_co_u32_e32 v8, vcc, 0x100, v8
	s_waitcnt lgkmcnt(2)
	v_mul_f64 v[3:4], v[30:31], v[26:27]
	v_mul_f64 v[26:27], v[28:29], v[26:27]
	s_waitcnt lgkmcnt(0)
	v_mul_f64 v[46:47], v[34:35], v[38:39]
	v_mul_f64 v[48:49], v[32:33], v[38:39]
	ds_read_b128 v[38:41], v20 offset:512
	s_addc_u32 s3, s3, 0
	v_addc_co_u32_e32 v9, vcc, 0, v9, vcc
	v_fma_f64 v[3:4], v[28:29], v[24:25], -v[3:4]
	v_fma_f64 v[50:51], v[30:31], v[24:25], v[26:27]
	ds_read_b128 v[24:27], v22 offset:32
	ds_read_b128 v[28:31], v22 offset:48
	;; [unrolled: 1-line block ×3, first 2 shown]
	v_fma_f64 v[32:33], v[32:33], v[36:37], -v[46:47]
	v_fma_f64 v[34:35], v[34:35], v[36:37], v[48:49]
	s_waitcnt lgkmcnt(2)
	v_mul_f64 v[36:37], v[26:27], v[40:41]
	v_mul_f64 v[40:41], v[24:25], v[40:41]
	s_waitcnt lgkmcnt(0)
	v_mul_f64 v[48:49], v[30:31], v[44:45]
	v_add_f64 v[3:4], v[16:17], v[3:4]
	v_add_f64 v[46:47], v[14:15], v[50:51]
	v_mul_f64 v[44:45], v[28:29], v[44:45]
	ds_read_b128 v[14:17], v20 offset:1024
	v_add_co_u32_e32 v10, vcc, 0x100, v10
	v_fma_f64 v[50:51], v[24:25], v[38:39], -v[36:37]
	v_fma_f64 v[40:41], v[26:27], v[38:39], v[40:41]
	v_add_f64 v[3:4], v[3:4], v[32:33]
	v_add_f64 v[46:47], v[46:47], v[34:35]
	ds_read_b128 v[24:27], v22 offset:64
	ds_read_b128 v[32:35], v22 offset:80
	;; [unrolled: 1-line block ×3, first 2 shown]
	v_fma_f64 v[48:49], v[28:29], v[42:43], -v[48:49]
	v_fma_f64 v[42:43], v[30:31], v[42:43], v[44:45]
	s_waitcnt lgkmcnt(2)
	v_mul_f64 v[44:45], v[26:27], v[16:17]
	v_mul_f64 v[16:17], v[24:25], v[16:17]
	ds_read_b128 v[28:31], v20 offset:1536
	v_add_f64 v[3:4], v[3:4], v[50:51]
	v_add_f64 v[40:41], v[46:47], v[40:41]
	s_waitcnt lgkmcnt(1)
	v_mul_f64 v[46:47], v[34:35], v[38:39]
	v_mul_f64 v[50:51], v[32:33], v[38:39]
	v_cmp_ge_i64_e64 s[0:1], s[2:3], v[12:13]
	v_fma_f64 v[44:45], v[24:25], v[14:15], -v[44:45]
	v_fma_f64 v[52:53], v[26:27], v[14:15], v[16:17]
	v_addc_co_u32_e32 v11, vcc, 0, v11, vcc
	v_add_f64 v[3:4], v[3:4], v[48:49]
	v_add_f64 v[42:43], v[40:41], v[42:43]
	ds_read_b128 v[14:17], v22 offset:96
	ds_read_b128 v[24:27], v22 offset:112
	;; [unrolled: 1-line block ×3, first 2 shown]
	v_fma_f64 v[46:47], v[32:33], v[36:37], -v[46:47]
	v_fma_f64 v[34:35], v[34:35], v[36:37], v[50:51]
	s_waitcnt lgkmcnt(2)
	v_mul_f64 v[36:37], v[16:17], v[30:31]
	v_mul_f64 v[48:49], v[14:15], v[30:31]
	s_waitcnt lgkmcnt(0)
	v_mul_f64 v[50:51], v[24:25], v[40:41]
	v_add_f64 v[3:4], v[3:4], v[44:45]
	v_add_f64 v[42:43], v[42:43], v[52:53]
	v_mul_f64 v[44:45], v[26:27], v[40:41]
	ds_read_b128 v[30:33], v20 offset:2048
	s_and_b64 vcc, exec, s[0:1]
	v_fma_f64 v[52:53], v[14:15], v[28:29], -v[36:37]
	v_fma_f64 v[28:29], v[16:17], v[28:29], v[48:49]
	v_add_f64 v[3:4], v[3:4], v[46:47]
	v_add_f64 v[46:47], v[42:43], v[34:35]
	ds_read_b128 v[14:17], v22 offset:128
	ds_read_b128 v[34:37], v22 offset:144
	;; [unrolled: 1-line block ×3, first 2 shown]
	v_fma_f64 v[44:45], v[24:25], v[38:39], -v[44:45]
	v_fma_f64 v[38:39], v[26:27], v[38:39], v[50:51]
	s_waitcnt lgkmcnt(2)
	v_mul_f64 v[48:49], v[16:17], v[32:33]
	v_mul_f64 v[32:33], v[14:15], v[32:33]
	s_waitcnt lgkmcnt(0)
	v_mul_f64 v[50:51], v[34:35], v[42:43]
	v_add_f64 v[3:4], v[3:4], v[52:53]
	v_add_f64 v[28:29], v[46:47], v[28:29]
	v_mul_f64 v[46:47], v[36:37], v[42:43]
	ds_read_b128 v[24:27], v20 offset:2560
	v_fma_f64 v[48:49], v[14:15], v[30:31], -v[48:49]
	v_fma_f64 v[32:33], v[16:17], v[30:31], v[32:33]
	v_fma_f64 v[36:37], v[36:37], v[40:41], v[50:51]
	v_add_f64 v[3:4], v[3:4], v[44:45]
	v_add_f64 v[38:39], v[28:29], v[38:39]
	ds_read_b128 v[14:17], v22 offset:160
	ds_read_b128 v[28:31], v22 offset:176
	;; [unrolled: 1-line block ×3, first 2 shown]
	v_fma_f64 v[46:47], v[34:35], v[40:41], -v[46:47]
	s_waitcnt lgkmcnt(2)
	v_mul_f64 v[40:41], v[16:17], v[26:27]
	v_mul_f64 v[26:27], v[14:15], v[26:27]
	v_add_f64 v[3:4], v[3:4], v[48:49]
	v_add_f64 v[38:39], v[38:39], v[32:33]
	s_waitcnt lgkmcnt(0)
	v_mul_f64 v[48:49], v[30:31], v[44:45]
	v_mul_f64 v[44:45], v[28:29], v[44:45]
	ds_read_b128 v[32:35], v20 offset:3072
	v_fma_f64 v[40:41], v[14:15], v[24:25], -v[40:41]
	v_fma_f64 v[50:51], v[16:17], v[24:25], v[26:27]
	v_add_f64 v[3:4], v[3:4], v[46:47]
	v_add_f64 v[46:47], v[38:39], v[36:37]
	ds_read_b128 v[14:17], v22 offset:192
	ds_read_b128 v[24:27], v22 offset:208
	;; [unrolled: 1-line block ×3, first 2 shown]
	v_fma_f64 v[48:49], v[28:29], v[42:43], -v[48:49]
	v_fma_f64 v[42:43], v[30:31], v[42:43], v[44:45]
	s_waitcnt lgkmcnt(2)
	v_mul_f64 v[44:45], v[16:17], v[34:35]
	v_mul_f64 v[34:35], v[14:15], v[34:35]
	ds_read_b128 v[28:31], v20 offset:3584
	v_add_f64 v[3:4], v[3:4], v[40:41]
	v_add_f64 v[40:41], v[46:47], v[50:51]
	s_waitcnt lgkmcnt(1)
	v_mul_f64 v[46:47], v[26:27], v[38:39]
	v_mul_f64 v[50:51], v[24:25], v[38:39]
	v_fma_f64 v[44:45], v[14:15], v[32:33], -v[44:45]
	v_fma_f64 v[52:53], v[16:17], v[32:33], v[34:35]
	v_add_f64 v[3:4], v[3:4], v[48:49]
	v_add_f64 v[42:43], v[40:41], v[42:43]
	ds_read_b128 v[14:17], v22 offset:224
	ds_read_b128 v[32:35], v22 offset:240
	;; [unrolled: 1-line block ×3, first 2 shown]
	v_fma_f64 v[24:25], v[24:25], v[36:37], -v[46:47]
	v_fma_f64 v[26:27], v[26:27], v[36:37], v[50:51]
	s_waitcnt lgkmcnt(2)
	v_mul_f64 v[36:37], v[16:17], v[30:31]
	v_mul_f64 v[30:31], v[14:15], v[30:31]
	s_waitcnt lgkmcnt(0)
	v_add_f64 v[3:4], v[3:4], v[44:45]
	v_add_f64 v[42:43], v[42:43], v[52:53]
	v_mul_f64 v[44:45], v[34:35], v[40:41]
	v_mul_f64 v[40:41], v[32:33], v[40:41]
	s_barrier
	v_fma_f64 v[14:15], v[14:15], v[28:29], -v[36:37]
	v_fma_f64 v[16:17], v[16:17], v[28:29], v[30:31]
	v_add_f64 v[3:4], v[3:4], v[24:25]
	v_add_f64 v[24:25], v[42:43], v[26:27]
	v_fma_f64 v[26:27], v[32:33], v[38:39], -v[44:45]
	v_fma_f64 v[28:29], v[34:35], v[38:39], v[40:41]
	v_add_f64 v[3:4], v[3:4], v[14:15]
	v_add_f64 v[14:15], v[24:25], v[16:17]
	v_add_f64 v[16:17], v[3:4], v[26:27]
	v_add_f64 v[14:15], v[14:15], v[28:29]
	s_cbranch_vccnz .LBB1827_12
.LBB1827_3:                             ; =>This Inner Loop Header: Depth=1
	v_mov_b32_e32 v4, s3
	v_add_co_u32_e32 v3, vcc, s2, v1
	v_addc_co_u32_e32 v4, vcc, 0, v4, vcc
	v_cmp_le_i64_e32 vcc, s[20:21], v[3:4]
	s_or_b64 s[0:1], s[4:5], vcc
	s_and_saveexec_b64 s[10:11], s[0:1]
	s_xor_b64 s[0:1], exec, s[10:11]
; %bb.4:                                ;   in Loop: Header=BB1827_3 Depth=1
	v_mov_b32_e32 v3, v2
	v_mov_b32_e32 v4, v2
	;; [unrolled: 1-line block ×3, first 2 shown]
	ds_write_b128 v21, v[2:5]
; %bb.5:                                ;   in Loop: Header=BB1827_3 Depth=1
	s_andn2_saveexec_b64 s[0:1], s[0:1]
	s_cbranch_execz .LBB1827_7
; %bb.6:                                ;   in Loop: Header=BB1827_3 Depth=1
	flat_load_dwordx4 v[24:27], v[10:11]
	s_waitcnt vmcnt(0) lgkmcnt(0)
	ds_write2_b64 v21, v[24:25], v[26:27] offset1:1
.LBB1827_7:                             ;   in Loop: Header=BB1827_3 Depth=1
	s_or_b64 exec, exec, s[0:1]
	v_mov_b32_e32 v4, s3
	v_add_co_u32_e32 v3, vcc, s2, v0
	v_addc_co_u32_e32 v4, vcc, 0, v4, vcc
	v_cmp_le_i64_e32 vcc, s[20:21], v[3:4]
	s_or_b64 s[0:1], s[6:7], vcc
	s_and_saveexec_b64 s[10:11], s[0:1]
	s_xor_b64 s[0:1], exec, s[10:11]
; %bb.8:                                ;   in Loop: Header=BB1827_3 Depth=1
	v_mov_b32_e32 v3, v2
	v_mov_b32_e32 v4, v2
	;; [unrolled: 1-line block ×3, first 2 shown]
	ds_write_b128 v23, v[2:5]
; %bb.9:                                ;   in Loop: Header=BB1827_3 Depth=1
	s_andn2_saveexec_b64 s[0:1], s[0:1]
	s_cbranch_execz .LBB1827_2
; %bb.10:                               ;   in Loop: Header=BB1827_3 Depth=1
	flat_load_dwordx4 v[24:27], v[8:9]
	s_waitcnt vmcnt(0) lgkmcnt(0)
	ds_write2_b64 v23, v[24:25], v[26:27] offset1:1
	s_branch .LBB1827_2
.LBB1827_11:
	v_mov_b32_e32 v14, 0
	v_mov_b32_e32 v16, 0
	;; [unrolled: 1-line block ×4, first 2 shown]
.LBB1827_12:
	v_cmp_le_i32_e32 vcc, v18, v6
	v_cmp_gt_i32_e64 s[0:1], s28, v6
	s_and_b64 s[0:1], vcc, s[0:1]
	s_and_saveexec_b64 s[2:3], s[0:1]
	s_cbranch_execz .LBB1827_14
; %bb.13:
	v_mul_lo_u32 v2, s19, v18
	v_mul_lo_u32 v3, s18, v19
	v_mad_u64_u32 v[0:1], s[0:1], s18, v18, 0
	v_mul_f64 v[11:12], s[24:25], v[14:15]
	v_add3_u32 v1, v1, v3, v2
	v_lshlrev_b64 v[0:1], 4, v[0:1]
	s_waitcnt lgkmcnt(0)
	v_mov_b32_e32 v2, s9
	v_add_co_u32_e32 v3, vcc, s8, v0
	v_addc_co_u32_e32 v2, vcc, v2, v1, vcc
	v_lshlrev_b64 v[0:1], 4, v[6:7]
	v_mul_f64 v[7:8], s[22:23], v[14:15]
	v_add_co_u32_e32 v4, vcc, v3, v0
	v_addc_co_u32_e32 v5, vcc, v2, v1, vcc
	flat_load_dwordx4 v[0:3], v[4:5]
	v_fma_f64 v[11:12], s[22:23], v[16:17], -v[11:12]
	v_cmp_ne_u32_e32 vcc, v6, v18
	v_fma_f64 v[7:8], s[24:25], v[16:17], v[7:8]
	s_waitcnt vmcnt(0) lgkmcnt(0)
	v_mul_f64 v[9:10], s[12:13], v[2:3]
	v_mul_f64 v[2:3], s[14:15], v[2:3]
	v_fma_f64 v[9:10], s[14:15], v[0:1], v[9:10]
	v_fma_f64 v[0:1], s[12:13], v[0:1], -v[2:3]
	v_add_f64 v[2:3], v[7:8], v[9:10]
	v_add_f64 v[0:1], v[11:12], v[0:1]
	v_cndmask_b32_e32 v3, 0, v3, vcc
	v_cndmask_b32_e32 v2, 0, v2, vcc
	flat_store_dwordx4 v[4:5], v[0:3]
.LBB1827_14:
	s_endpgm
	.section	.rodata,"a",@progbits
	.p2align	6, 0x0
	.amdhsa_kernel _ZL32rocblas_syrkx_herkx_small_kernelIl19rocblas_complex_numIdELi16ELb0ELb1ELc84ELc76EKPKS1_KPS1_EviT_T0_PT6_S7_lSA_S7_lS8_PT7_S7_li
		.amdhsa_group_segment_fixed_size 8192
		.amdhsa_private_segment_fixed_size 0
		.amdhsa_kernarg_size 124
		.amdhsa_user_sgpr_count 6
		.amdhsa_user_sgpr_private_segment_buffer 1
		.amdhsa_user_sgpr_dispatch_ptr 0
		.amdhsa_user_sgpr_queue_ptr 0
		.amdhsa_user_sgpr_kernarg_segment_ptr 1
		.amdhsa_user_sgpr_dispatch_id 0
		.amdhsa_user_sgpr_flat_scratch_init 0
		.amdhsa_user_sgpr_private_segment_size 0
		.amdhsa_uses_dynamic_stack 0
		.amdhsa_system_sgpr_private_segment_wavefront_offset 0
		.amdhsa_system_sgpr_workgroup_id_x 1
		.amdhsa_system_sgpr_workgroup_id_y 1
		.amdhsa_system_sgpr_workgroup_id_z 1
		.amdhsa_system_sgpr_workgroup_info 0
		.amdhsa_system_vgpr_workitem_id 1
		.amdhsa_next_free_vgpr 54
		.amdhsa_next_free_sgpr 61
		.amdhsa_reserve_vcc 1
		.amdhsa_reserve_flat_scratch 0
		.amdhsa_float_round_mode_32 0
		.amdhsa_float_round_mode_16_64 0
		.amdhsa_float_denorm_mode_32 3
		.amdhsa_float_denorm_mode_16_64 3
		.amdhsa_dx10_clamp 1
		.amdhsa_ieee_mode 1
		.amdhsa_fp16_overflow 0
		.amdhsa_exception_fp_ieee_invalid_op 0
		.amdhsa_exception_fp_denorm_src 0
		.amdhsa_exception_fp_ieee_div_zero 0
		.amdhsa_exception_fp_ieee_overflow 0
		.amdhsa_exception_fp_ieee_underflow 0
		.amdhsa_exception_fp_ieee_inexact 0
		.amdhsa_exception_int_div_zero 0
	.end_amdhsa_kernel
	.section	.text._ZL32rocblas_syrkx_herkx_small_kernelIl19rocblas_complex_numIdELi16ELb0ELb1ELc84ELc76EKPKS1_KPS1_EviT_T0_PT6_S7_lSA_S7_lS8_PT7_S7_li,"axG",@progbits,_ZL32rocblas_syrkx_herkx_small_kernelIl19rocblas_complex_numIdELi16ELb0ELb1ELc84ELc76EKPKS1_KPS1_EviT_T0_PT6_S7_lSA_S7_lS8_PT7_S7_li,comdat
.Lfunc_end1827:
	.size	_ZL32rocblas_syrkx_herkx_small_kernelIl19rocblas_complex_numIdELi16ELb0ELb1ELc84ELc76EKPKS1_KPS1_EviT_T0_PT6_S7_lSA_S7_lS8_PT7_S7_li, .Lfunc_end1827-_ZL32rocblas_syrkx_herkx_small_kernelIl19rocblas_complex_numIdELi16ELb0ELb1ELc84ELc76EKPKS1_KPS1_EviT_T0_PT6_S7_lSA_S7_lS8_PT7_S7_li
                                        ; -- End function
	.set _ZL32rocblas_syrkx_herkx_small_kernelIl19rocblas_complex_numIdELi16ELb0ELb1ELc84ELc76EKPKS1_KPS1_EviT_T0_PT6_S7_lSA_S7_lS8_PT7_S7_li.num_vgpr, 54
	.set _ZL32rocblas_syrkx_herkx_small_kernelIl19rocblas_complex_numIdELi16ELb0ELb1ELc84ELc76EKPKS1_KPS1_EviT_T0_PT6_S7_lSA_S7_lS8_PT7_S7_li.num_agpr, 0
	.set _ZL32rocblas_syrkx_herkx_small_kernelIl19rocblas_complex_numIdELi16ELb0ELb1ELc84ELc76EKPKS1_KPS1_EviT_T0_PT6_S7_lSA_S7_lS8_PT7_S7_li.numbered_sgpr, 40
	.set _ZL32rocblas_syrkx_herkx_small_kernelIl19rocblas_complex_numIdELi16ELb0ELb1ELc84ELc76EKPKS1_KPS1_EviT_T0_PT6_S7_lSA_S7_lS8_PT7_S7_li.num_named_barrier, 0
	.set _ZL32rocblas_syrkx_herkx_small_kernelIl19rocblas_complex_numIdELi16ELb0ELb1ELc84ELc76EKPKS1_KPS1_EviT_T0_PT6_S7_lSA_S7_lS8_PT7_S7_li.private_seg_size, 0
	.set _ZL32rocblas_syrkx_herkx_small_kernelIl19rocblas_complex_numIdELi16ELb0ELb1ELc84ELc76EKPKS1_KPS1_EviT_T0_PT6_S7_lSA_S7_lS8_PT7_S7_li.uses_vcc, 1
	.set _ZL32rocblas_syrkx_herkx_small_kernelIl19rocblas_complex_numIdELi16ELb0ELb1ELc84ELc76EKPKS1_KPS1_EviT_T0_PT6_S7_lSA_S7_lS8_PT7_S7_li.uses_flat_scratch, 0
	.set _ZL32rocblas_syrkx_herkx_small_kernelIl19rocblas_complex_numIdELi16ELb0ELb1ELc84ELc76EKPKS1_KPS1_EviT_T0_PT6_S7_lSA_S7_lS8_PT7_S7_li.has_dyn_sized_stack, 0
	.set _ZL32rocblas_syrkx_herkx_small_kernelIl19rocblas_complex_numIdELi16ELb0ELb1ELc84ELc76EKPKS1_KPS1_EviT_T0_PT6_S7_lSA_S7_lS8_PT7_S7_li.has_recursion, 0
	.set _ZL32rocblas_syrkx_herkx_small_kernelIl19rocblas_complex_numIdELi16ELb0ELb1ELc84ELc76EKPKS1_KPS1_EviT_T0_PT6_S7_lSA_S7_lS8_PT7_S7_li.has_indirect_call, 0
	.section	.AMDGPU.csdata,"",@progbits
; Kernel info:
; codeLenInByte = 1924
; TotalNumSgprs: 44
; NumVgprs: 54
; ScratchSize: 0
; MemoryBound: 0
; FloatMode: 240
; IeeeMode: 1
; LDSByteSize: 8192 bytes/workgroup (compile time only)
; SGPRBlocks: 8
; VGPRBlocks: 13
; NumSGPRsForWavesPerEU: 65
; NumVGPRsForWavesPerEU: 54
; Occupancy: 4
; WaveLimiterHint : 1
; COMPUTE_PGM_RSRC2:SCRATCH_EN: 0
; COMPUTE_PGM_RSRC2:USER_SGPR: 6
; COMPUTE_PGM_RSRC2:TRAP_HANDLER: 0
; COMPUTE_PGM_RSRC2:TGID_X_EN: 1
; COMPUTE_PGM_RSRC2:TGID_Y_EN: 1
; COMPUTE_PGM_RSRC2:TGID_Z_EN: 1
; COMPUTE_PGM_RSRC2:TIDIG_COMP_CNT: 1
	.section	.text._ZL32rocblas_syrkx_herkx_small_kernelIl19rocblas_complex_numIdELi16ELb0ELb1ELc67ELc76EKPKS1_KPS1_EviT_T0_PT6_S7_lSA_S7_lS8_PT7_S7_li,"axG",@progbits,_ZL32rocblas_syrkx_herkx_small_kernelIl19rocblas_complex_numIdELi16ELb0ELb1ELc67ELc76EKPKS1_KPS1_EviT_T0_PT6_S7_lSA_S7_lS8_PT7_S7_li,comdat
	.globl	_ZL32rocblas_syrkx_herkx_small_kernelIl19rocblas_complex_numIdELi16ELb0ELb1ELc67ELc76EKPKS1_KPS1_EviT_T0_PT6_S7_lSA_S7_lS8_PT7_S7_li ; -- Begin function _ZL32rocblas_syrkx_herkx_small_kernelIl19rocblas_complex_numIdELi16ELb0ELb1ELc67ELc76EKPKS1_KPS1_EviT_T0_PT6_S7_lSA_S7_lS8_PT7_S7_li
	.p2align	8
	.type	_ZL32rocblas_syrkx_herkx_small_kernelIl19rocblas_complex_numIdELi16ELb0ELb1ELc67ELc76EKPKS1_KPS1_EviT_T0_PT6_S7_lSA_S7_lS8_PT7_S7_li,@function
_ZL32rocblas_syrkx_herkx_small_kernelIl19rocblas_complex_numIdELi16ELb0ELb1ELc67ELc76EKPKS1_KPS1_EviT_T0_PT6_S7_lSA_S7_lS8_PT7_S7_li: ; @_ZL32rocblas_syrkx_herkx_small_kernelIl19rocblas_complex_numIdELi16ELb0ELb1ELc67ELc76EKPKS1_KPS1_EviT_T0_PT6_S7_lSA_S7_lS8_PT7_S7_li
; %bb.0:
	s_load_dword s28, s[4:5], 0x0
	s_load_dwordx8 s[12:19], s[4:5], 0x50
	s_load_dwordx8 s[20:27], s[4:5], 0x8
	s_load_dwordx2 s[10:11], s[4:5], 0x28
	s_mov_b32 s9, 0
	s_lshl_b64 s[2:3], s[8:9], 3
	s_waitcnt lgkmcnt(0)
	s_add_u32 s0, s16, s2
	s_addc_u32 s1, s17, s3
	s_load_dwordx2 s[8:9], s[0:1], 0x0
	v_cmp_lt_i64_e64 s[0:1], s[20:21], 1
	v_lshl_add_u32 v7, s6, 4, v0
	v_lshl_add_u32 v19, s7, 4, v1
	s_and_b64 vcc, exec, s[0:1]
	v_cmp_gt_i32_e64 s[0:1], s28, v7
	v_ashrrev_i32_e32 v8, 31, v7
	v_ashrrev_i32_e32 v20, 31, v19
	s_cbranch_vccnz .LBB1828_9
; %bb.1:
	s_load_dwordx4 s[36:39], s[4:5], 0x38
	v_lshlrev_b32_e32 v5, 8, v1
	v_lshlrev_b32_e32 v21, 4, v0
	v_add_u32_e32 v22, v21, v5
	v_add_u32_e32 v23, 0x1000, v5
	s_waitcnt lgkmcnt(0)
	s_add_u32 s4, s36, s2
	s_addc_u32 s5, s37, s3
	s_add_u32 s2, s26, s2
	s_addc_u32 s3, s27, s3
	s_load_dwordx2 s[6:7], s[2:3], 0x0
	v_mul_lo_u32 v6, s39, v19
	v_mul_lo_u32 v9, s38, v20
	v_mad_u64_u32 v[3:4], s[2:3], s38, v19, 0
	s_load_dwordx2 s[4:5], s[4:5], 0x0
	v_mul_lo_u32 v11, s11, v7
	v_add3_u32 v4, v4, v9, v6
	v_lshlrev_b64 v[3:4], 4, v[3:4]
	v_mul_lo_u32 v12, s10, v8
	v_add_co_u32_e64 v5, s[2:3], v3, v21
	v_addc_co_u32_e64 v6, s[2:3], 0, v4, s[2:3]
	v_mad_u64_u32 v[3:4], s[2:3], s10, v7, 0
	s_waitcnt lgkmcnt(0)
	v_mov_b32_e32 v10, s5
	v_add_co_u32_e64 v9, s[2:3], s4, v5
	v_add3_u32 v4, v4, v12, v11
	v_lshlrev_b64 v[3:4], 4, v[3:4]
	v_addc_co_u32_e64 v10, s[2:3], v10, v6, s[2:3]
	v_lshlrev_b32_e32 v5, 4, v1
	v_add_co_u32_e64 v3, s[2:3], v3, v5
	v_addc_co_u32_e64 v4, s[2:3], 0, v4, s[2:3]
	v_cmp_gt_i32_e32 vcc, s28, v19
	v_mov_b32_e32 v5, s7
	v_add_co_u32_e64 v11, s[2:3], s6, v3
	v_mov_b32_e32 v15, 0
	v_mov_b32_e32 v17, 0
	;; [unrolled: 1-line block ×4, first 2 shown]
	v_add_u32_e32 v24, v23, v21
	v_addc_co_u32_e64 v12, s[2:3], v5, v4, s[2:3]
	v_mov_b32_e32 v16, 0
	s_mov_b64 s[4:5], 0
	s_xor_b64 s[6:7], vcc, -1
	v_mov_b32_e32 v18, 0
	v_mov_b32_e32 v14, s21
	s_branch .LBB1828_3
.LBB1828_2:                             ;   in Loop: Header=BB1828_3 Depth=1
	s_or_b64 exec, exec, s[2:3]
	s_waitcnt lgkmcnt(0)
	s_barrier
	ds_read_b128 v[3:6], v21
	ds_read_b128 v[25:28], v23
	ds_read_b128 v[29:32], v23 offset:16
	ds_read_b128 v[33:36], v21 offset:256
	s_add_u32 s4, s4, 16
	v_add_co_u32_e32 v9, vcc, 0x100, v9
	s_waitcnt lgkmcnt(2)
	v_mul_f64 v[39:40], v[27:28], v[5:6]
	v_mul_f64 v[5:6], v[25:26], v[5:6]
	s_waitcnt lgkmcnt(0)
	v_mul_f64 v[43:44], v[31:32], v[35:36]
	v_mul_f64 v[45:46], v[29:30], v[35:36]
	ds_read_b128 v[35:38], v21 offset:512
	s_addc_u32 s5, s5, 0
	v_addc_co_u32_e32 v10, vcc, 0, v10, vcc
	v_fma_f64 v[47:48], v[25:26], v[3:4], -v[39:40]
	v_fma_f64 v[49:50], v[27:28], v[3:4], v[5:6]
	ds_read_b128 v[3:6], v23 offset:32
	ds_read_b128 v[25:28], v23 offset:48
	;; [unrolled: 1-line block ×3, first 2 shown]
	v_fma_f64 v[29:30], v[29:30], v[33:34], -v[43:44]
	v_fma_f64 v[31:32], v[31:32], v[33:34], v[45:46]
	s_waitcnt lgkmcnt(2)
	v_mul_f64 v[33:34], v[5:6], v[37:38]
	v_mul_f64 v[37:38], v[3:4], v[37:38]
	v_add_co_u32_e32 v11, vcc, 0x100, v11
	v_add_f64 v[43:44], v[17:18], v[47:48]
	v_add_f64 v[45:46], v[15:16], v[49:50]
	s_waitcnt lgkmcnt(0)
	v_mul_f64 v[47:48], v[27:28], v[41:42]
	v_mul_f64 v[41:42], v[25:26], v[41:42]
	v_fma_f64 v[49:50], v[3:4], v[35:36], -v[33:34]
	v_fma_f64 v[37:38], v[5:6], v[35:36], v[37:38]
	ds_read_b128 v[15:18], v21 offset:1024
	v_cmp_ge_i64_e64 s[2:3], s[4:5], v[13:14]
	v_add_f64 v[43:44], v[43:44], v[29:30]
	v_add_f64 v[45:46], v[45:46], v[31:32]
	ds_read_b128 v[3:6], v23 offset:64
	ds_read_b128 v[29:32], v23 offset:80
	;; [unrolled: 1-line block ×3, first 2 shown]
	v_fma_f64 v[47:48], v[25:26], v[39:40], -v[47:48]
	v_fma_f64 v[39:40], v[27:28], v[39:40], v[41:42]
	s_waitcnt lgkmcnt(2)
	v_mul_f64 v[41:42], v[5:6], v[17:18]
	v_mul_f64 v[17:18], v[3:4], v[17:18]
	ds_read_b128 v[25:28], v21 offset:1536
	v_add_f64 v[43:44], v[43:44], v[49:50]
	v_add_f64 v[37:38], v[45:46], v[37:38]
	s_waitcnt lgkmcnt(1)
	v_mul_f64 v[45:46], v[31:32], v[35:36]
	v_mul_f64 v[49:50], v[29:30], v[35:36]
	v_addc_co_u32_e32 v12, vcc, 0, v12, vcc
	v_fma_f64 v[41:42], v[3:4], v[15:16], -v[41:42]
	v_fma_f64 v[51:52], v[5:6], v[15:16], v[17:18]
	v_add_f64 v[43:44], v[43:44], v[47:48]
	v_add_f64 v[39:40], v[37:38], v[39:40]
	ds_read_b128 v[3:6], v23 offset:96
	ds_read_b128 v[15:18], v23 offset:112
	;; [unrolled: 1-line block ×3, first 2 shown]
	v_fma_f64 v[45:46], v[29:30], v[33:34], -v[45:46]
	v_fma_f64 v[31:32], v[31:32], v[33:34], v[49:50]
	s_waitcnt lgkmcnt(2)
	v_mul_f64 v[33:34], v[5:6], v[27:28]
	v_mul_f64 v[47:48], v[3:4], v[27:28]
	s_waitcnt lgkmcnt(0)
	v_mul_f64 v[49:50], v[15:16], v[37:38]
	v_add_f64 v[41:42], v[43:44], v[41:42]
	v_add_f64 v[39:40], v[39:40], v[51:52]
	v_mul_f64 v[43:44], v[17:18], v[37:38]
	ds_read_b128 v[27:30], v21 offset:2048
	s_and_b64 vcc, exec, s[2:3]
	v_fma_f64 v[51:52], v[3:4], v[25:26], -v[33:34]
	v_fma_f64 v[25:26], v[5:6], v[25:26], v[47:48]
	v_add_f64 v[41:42], v[41:42], v[45:46]
	v_add_f64 v[45:46], v[39:40], v[31:32]
	ds_read_b128 v[3:6], v23 offset:128
	ds_read_b128 v[31:34], v23 offset:144
	;; [unrolled: 1-line block ×3, first 2 shown]
	v_fma_f64 v[43:44], v[15:16], v[35:36], -v[43:44]
	v_fma_f64 v[35:36], v[17:18], v[35:36], v[49:50]
	s_waitcnt lgkmcnt(2)
	v_mul_f64 v[47:48], v[5:6], v[29:30]
	v_mul_f64 v[29:30], v[3:4], v[29:30]
	s_waitcnt lgkmcnt(0)
	v_mul_f64 v[49:50], v[31:32], v[39:40]
	v_add_f64 v[41:42], v[41:42], v[51:52]
	v_add_f64 v[25:26], v[45:46], v[25:26]
	v_mul_f64 v[45:46], v[33:34], v[39:40]
	ds_read_b128 v[15:18], v21 offset:2560
	v_fma_f64 v[47:48], v[3:4], v[27:28], -v[47:48]
	v_fma_f64 v[29:30], v[5:6], v[27:28], v[29:30]
	v_fma_f64 v[33:34], v[33:34], v[37:38], v[49:50]
	v_add_f64 v[43:44], v[41:42], v[43:44]
	v_add_f64 v[35:36], v[25:26], v[35:36]
	ds_read_b128 v[3:6], v23 offset:160
	ds_read_b128 v[25:28], v23 offset:176
	;; [unrolled: 1-line block ×3, first 2 shown]
	v_fma_f64 v[45:46], v[31:32], v[37:38], -v[45:46]
	s_waitcnt lgkmcnt(2)
	v_mul_f64 v[37:38], v[5:6], v[17:18]
	v_mul_f64 v[17:18], v[3:4], v[17:18]
	v_add_f64 v[43:44], v[43:44], v[47:48]
	v_add_f64 v[35:36], v[35:36], v[29:30]
	s_waitcnt lgkmcnt(0)
	v_mul_f64 v[47:48], v[27:28], v[41:42]
	v_mul_f64 v[41:42], v[25:26], v[41:42]
	ds_read_b128 v[29:32], v21 offset:3072
	v_fma_f64 v[37:38], v[3:4], v[15:16], -v[37:38]
	v_fma_f64 v[49:50], v[5:6], v[15:16], v[17:18]
	v_add_f64 v[43:44], v[43:44], v[45:46]
	v_add_f64 v[45:46], v[35:36], v[33:34]
	ds_read_b128 v[3:6], v23 offset:192
	ds_read_b128 v[15:18], v23 offset:208
	;; [unrolled: 1-line block ×3, first 2 shown]
	v_fma_f64 v[47:48], v[25:26], v[39:40], -v[47:48]
	v_fma_f64 v[39:40], v[27:28], v[39:40], v[41:42]
	s_waitcnt lgkmcnt(2)
	v_mul_f64 v[41:42], v[5:6], v[31:32]
	v_mul_f64 v[31:32], v[3:4], v[31:32]
	ds_read_b128 v[25:28], v21 offset:3584
	v_add_f64 v[37:38], v[43:44], v[37:38]
	v_add_f64 v[43:44], v[45:46], v[49:50]
	s_waitcnt lgkmcnt(1)
	v_mul_f64 v[45:46], v[17:18], v[35:36]
	v_mul_f64 v[49:50], v[15:16], v[35:36]
	v_fma_f64 v[41:42], v[3:4], v[29:30], -v[41:42]
	v_fma_f64 v[51:52], v[5:6], v[29:30], v[31:32]
	v_add_f64 v[47:48], v[37:38], v[47:48]
	v_add_f64 v[39:40], v[43:44], v[39:40]
	ds_read_b128 v[3:6], v23 offset:224
	ds_read_b128 v[29:32], v23 offset:240
	;; [unrolled: 1-line block ×3, first 2 shown]
	v_fma_f64 v[15:16], v[15:16], v[33:34], -v[45:46]
	v_fma_f64 v[17:18], v[17:18], v[33:34], v[49:50]
	s_waitcnt lgkmcnt(2)
	v_mul_f64 v[33:34], v[5:6], v[27:28]
	v_mul_f64 v[27:28], v[3:4], v[27:28]
	s_waitcnt lgkmcnt(0)
	v_mul_f64 v[43:44], v[31:32], v[37:38]
	v_add_f64 v[41:42], v[47:48], v[41:42]
	v_add_f64 v[39:40], v[39:40], v[51:52]
	v_mul_f64 v[37:38], v[29:30], v[37:38]
	s_barrier
	v_fma_f64 v[3:4], v[3:4], v[25:26], -v[33:34]
	v_fma_f64 v[5:6], v[5:6], v[25:26], v[27:28]
	v_fma_f64 v[25:26], v[29:30], v[35:36], -v[43:44]
	v_add_f64 v[15:16], v[41:42], v[15:16]
	v_add_f64 v[17:18], v[39:40], v[17:18]
	v_fma_f64 v[27:28], v[31:32], v[35:36], v[37:38]
	v_add_f64 v[3:4], v[15:16], v[3:4]
	v_add_f64 v[5:6], v[17:18], v[5:6]
	v_add_f64 v[17:18], v[3:4], v[25:26]
	v_add_f64 v[15:16], v[5:6], v[27:28]
	s_cbranch_vccnz .LBB1828_10
.LBB1828_3:                             ; =>This Inner Loop Header: Depth=1
	v_mov_b32_e32 v4, s5
	v_add_co_u32_e32 v3, vcc, s4, v1
	v_addc_co_u32_e32 v4, vcc, 0, v4, vcc
	v_cmp_gt_i64_e32 vcc, s[20:21], v[3:4]
	v_mov_b32_e32 v3, 0
	v_mov_b32_e32 v5, 0
	;; [unrolled: 1-line block ×4, first 2 shown]
	s_and_b64 s[10:11], s[0:1], vcc
	s_and_saveexec_b64 s[2:3], s[10:11]
	s_cbranch_execz .LBB1828_5
; %bb.4:                                ;   in Loop: Header=BB1828_3 Depth=1
	flat_load_dwordx4 v[3:6], v[11:12]
	s_waitcnt vmcnt(0) lgkmcnt(0)
	v_xor_b32_e32 v6, 0x80000000, v6
.LBB1828_5:                             ;   in Loop: Header=BB1828_3 Depth=1
	s_or_b64 exec, exec, s[2:3]
	v_mov_b32_e32 v26, s5
	v_add_co_u32_e32 v25, vcc, s4, v0
	v_addc_co_u32_e32 v26, vcc, 0, v26, vcc
	v_cmp_le_i64_e32 vcc, s[20:21], v[25:26]
	ds_write_b128 v22, v[3:6]
	s_or_b64 s[2:3], s[6:7], vcc
	s_and_saveexec_b64 s[10:11], s[2:3]
	s_xor_b64 s[2:3], exec, s[10:11]
; %bb.6:                                ;   in Loop: Header=BB1828_3 Depth=1
	v_mov_b32_e32 v3, v2
	v_mov_b32_e32 v4, v2
	;; [unrolled: 1-line block ×3, first 2 shown]
	ds_write_b128 v24, v[2:5]
; %bb.7:                                ;   in Loop: Header=BB1828_3 Depth=1
	s_andn2_saveexec_b64 s[2:3], s[2:3]
	s_cbranch_execz .LBB1828_2
; %bb.8:                                ;   in Loop: Header=BB1828_3 Depth=1
	flat_load_dwordx4 v[3:6], v[9:10]
	s_waitcnt vmcnt(0) lgkmcnt(0)
	ds_write2_b64 v24, v[3:4], v[5:6] offset1:1
	s_branch .LBB1828_2
.LBB1828_9:
	v_mov_b32_e32 v15, 0
	v_mov_b32_e32 v17, 0
	;; [unrolled: 1-line block ×4, first 2 shown]
.LBB1828_10:
	v_cmp_le_i32_e32 vcc, v19, v7
	v_cmp_gt_i32_e64 s[0:1], s28, v7
	s_and_b64 s[0:1], vcc, s[0:1]
	s_and_saveexec_b64 s[2:3], s[0:1]
	s_cbranch_execz .LBB1828_12
; %bb.11:
	v_mul_lo_u32 v2, s19, v19
	v_mul_lo_u32 v3, s18, v20
	v_mad_u64_u32 v[0:1], s[0:1], s18, v19, 0
	v_mul_f64 v[12:13], s[24:25], v[15:16]
	v_add3_u32 v1, v1, v3, v2
	v_lshlrev_b64 v[0:1], 4, v[0:1]
	s_waitcnt lgkmcnt(0)
	v_mov_b32_e32 v2, s9
	v_add_co_u32_e32 v3, vcc, s8, v0
	v_addc_co_u32_e32 v2, vcc, v2, v1, vcc
	v_lshlrev_b64 v[0:1], 4, v[7:8]
	v_mul_f64 v[8:9], s[22:23], v[15:16]
	v_add_co_u32_e32 v4, vcc, v3, v0
	v_addc_co_u32_e32 v5, vcc, v2, v1, vcc
	flat_load_dwordx4 v[0:3], v[4:5]
	v_fma_f64 v[12:13], s[22:23], v[17:18], -v[12:13]
	v_cmp_ne_u32_e32 vcc, v7, v19
	v_fma_f64 v[8:9], s[24:25], v[17:18], v[8:9]
	s_waitcnt vmcnt(0) lgkmcnt(0)
	v_mul_f64 v[10:11], s[12:13], v[2:3]
	v_mul_f64 v[2:3], s[14:15], v[2:3]
	v_fma_f64 v[10:11], s[14:15], v[0:1], v[10:11]
	v_fma_f64 v[0:1], s[12:13], v[0:1], -v[2:3]
	v_add_f64 v[2:3], v[8:9], v[10:11]
	v_add_f64 v[0:1], v[12:13], v[0:1]
	v_cndmask_b32_e32 v3, 0, v3, vcc
	v_cndmask_b32_e32 v2, 0, v2, vcc
	flat_store_dwordx4 v[4:5], v[0:3]
.LBB1828_12:
	s_endpgm
	.section	.rodata,"a",@progbits
	.p2align	6, 0x0
	.amdhsa_kernel _ZL32rocblas_syrkx_herkx_small_kernelIl19rocblas_complex_numIdELi16ELb0ELb1ELc67ELc76EKPKS1_KPS1_EviT_T0_PT6_S7_lSA_S7_lS8_PT7_S7_li
		.amdhsa_group_segment_fixed_size 8192
		.amdhsa_private_segment_fixed_size 0
		.amdhsa_kernarg_size 124
		.amdhsa_user_sgpr_count 6
		.amdhsa_user_sgpr_private_segment_buffer 1
		.amdhsa_user_sgpr_dispatch_ptr 0
		.amdhsa_user_sgpr_queue_ptr 0
		.amdhsa_user_sgpr_kernarg_segment_ptr 1
		.amdhsa_user_sgpr_dispatch_id 0
		.amdhsa_user_sgpr_flat_scratch_init 0
		.amdhsa_user_sgpr_private_segment_size 0
		.amdhsa_uses_dynamic_stack 0
		.amdhsa_system_sgpr_private_segment_wavefront_offset 0
		.amdhsa_system_sgpr_workgroup_id_x 1
		.amdhsa_system_sgpr_workgroup_id_y 1
		.amdhsa_system_sgpr_workgroup_id_z 1
		.amdhsa_system_sgpr_workgroup_info 0
		.amdhsa_system_vgpr_workitem_id 1
		.amdhsa_next_free_vgpr 53
		.amdhsa_next_free_sgpr 61
		.amdhsa_reserve_vcc 1
		.amdhsa_reserve_flat_scratch 0
		.amdhsa_float_round_mode_32 0
		.amdhsa_float_round_mode_16_64 0
		.amdhsa_float_denorm_mode_32 3
		.amdhsa_float_denorm_mode_16_64 3
		.amdhsa_dx10_clamp 1
		.amdhsa_ieee_mode 1
		.amdhsa_fp16_overflow 0
		.amdhsa_exception_fp_ieee_invalid_op 0
		.amdhsa_exception_fp_denorm_src 0
		.amdhsa_exception_fp_ieee_div_zero 0
		.amdhsa_exception_fp_ieee_overflow 0
		.amdhsa_exception_fp_ieee_underflow 0
		.amdhsa_exception_fp_ieee_inexact 0
		.amdhsa_exception_int_div_zero 0
	.end_amdhsa_kernel
	.section	.text._ZL32rocblas_syrkx_herkx_small_kernelIl19rocblas_complex_numIdELi16ELb0ELb1ELc67ELc76EKPKS1_KPS1_EviT_T0_PT6_S7_lSA_S7_lS8_PT7_S7_li,"axG",@progbits,_ZL32rocblas_syrkx_herkx_small_kernelIl19rocblas_complex_numIdELi16ELb0ELb1ELc67ELc76EKPKS1_KPS1_EviT_T0_PT6_S7_lSA_S7_lS8_PT7_S7_li,comdat
.Lfunc_end1828:
	.size	_ZL32rocblas_syrkx_herkx_small_kernelIl19rocblas_complex_numIdELi16ELb0ELb1ELc67ELc76EKPKS1_KPS1_EviT_T0_PT6_S7_lSA_S7_lS8_PT7_S7_li, .Lfunc_end1828-_ZL32rocblas_syrkx_herkx_small_kernelIl19rocblas_complex_numIdELi16ELb0ELb1ELc67ELc76EKPKS1_KPS1_EviT_T0_PT6_S7_lSA_S7_lS8_PT7_S7_li
                                        ; -- End function
	.set _ZL32rocblas_syrkx_herkx_small_kernelIl19rocblas_complex_numIdELi16ELb0ELb1ELc67ELc76EKPKS1_KPS1_EviT_T0_PT6_S7_lSA_S7_lS8_PT7_S7_li.num_vgpr, 53
	.set _ZL32rocblas_syrkx_herkx_small_kernelIl19rocblas_complex_numIdELi16ELb0ELb1ELc67ELc76EKPKS1_KPS1_EviT_T0_PT6_S7_lSA_S7_lS8_PT7_S7_li.num_agpr, 0
	.set _ZL32rocblas_syrkx_herkx_small_kernelIl19rocblas_complex_numIdELi16ELb0ELb1ELc67ELc76EKPKS1_KPS1_EviT_T0_PT6_S7_lSA_S7_lS8_PT7_S7_li.numbered_sgpr, 40
	.set _ZL32rocblas_syrkx_herkx_small_kernelIl19rocblas_complex_numIdELi16ELb0ELb1ELc67ELc76EKPKS1_KPS1_EviT_T0_PT6_S7_lSA_S7_lS8_PT7_S7_li.num_named_barrier, 0
	.set _ZL32rocblas_syrkx_herkx_small_kernelIl19rocblas_complex_numIdELi16ELb0ELb1ELc67ELc76EKPKS1_KPS1_EviT_T0_PT6_S7_lSA_S7_lS8_PT7_S7_li.private_seg_size, 0
	.set _ZL32rocblas_syrkx_herkx_small_kernelIl19rocblas_complex_numIdELi16ELb0ELb1ELc67ELc76EKPKS1_KPS1_EviT_T0_PT6_S7_lSA_S7_lS8_PT7_S7_li.uses_vcc, 1
	.set _ZL32rocblas_syrkx_herkx_small_kernelIl19rocblas_complex_numIdELi16ELb0ELb1ELc67ELc76EKPKS1_KPS1_EviT_T0_PT6_S7_lSA_S7_lS8_PT7_S7_li.uses_flat_scratch, 0
	.set _ZL32rocblas_syrkx_herkx_small_kernelIl19rocblas_complex_numIdELi16ELb0ELb1ELc67ELc76EKPKS1_KPS1_EviT_T0_PT6_S7_lSA_S7_lS8_PT7_S7_li.has_dyn_sized_stack, 0
	.set _ZL32rocblas_syrkx_herkx_small_kernelIl19rocblas_complex_numIdELi16ELb0ELb1ELc67ELc76EKPKS1_KPS1_EviT_T0_PT6_S7_lSA_S7_lS8_PT7_S7_li.has_recursion, 0
	.set _ZL32rocblas_syrkx_herkx_small_kernelIl19rocblas_complex_numIdELi16ELb0ELb1ELc67ELc76EKPKS1_KPS1_EviT_T0_PT6_S7_lSA_S7_lS8_PT7_S7_li.has_indirect_call, 0
	.section	.AMDGPU.csdata,"",@progbits
; Kernel info:
; codeLenInByte = 1916
; TotalNumSgprs: 44
; NumVgprs: 53
; ScratchSize: 0
; MemoryBound: 1
; FloatMode: 240
; IeeeMode: 1
; LDSByteSize: 8192 bytes/workgroup (compile time only)
; SGPRBlocks: 8
; VGPRBlocks: 13
; NumSGPRsForWavesPerEU: 65
; NumVGPRsForWavesPerEU: 53
; Occupancy: 4
; WaveLimiterHint : 1
; COMPUTE_PGM_RSRC2:SCRATCH_EN: 0
; COMPUTE_PGM_RSRC2:USER_SGPR: 6
; COMPUTE_PGM_RSRC2:TRAP_HANDLER: 0
; COMPUTE_PGM_RSRC2:TGID_X_EN: 1
; COMPUTE_PGM_RSRC2:TGID_Y_EN: 1
; COMPUTE_PGM_RSRC2:TGID_Z_EN: 1
; COMPUTE_PGM_RSRC2:TIDIG_COMP_CNT: 1
	.section	.text._ZL32rocblas_syrkx_herkx_small_kernelIl19rocblas_complex_numIdELi16ELb0ELb1ELc78ELc76EKPKS1_KPS1_EviT_T0_PT6_S7_lSA_S7_lS8_PT7_S7_li,"axG",@progbits,_ZL32rocblas_syrkx_herkx_small_kernelIl19rocblas_complex_numIdELi16ELb0ELb1ELc78ELc76EKPKS1_KPS1_EviT_T0_PT6_S7_lSA_S7_lS8_PT7_S7_li,comdat
	.globl	_ZL32rocblas_syrkx_herkx_small_kernelIl19rocblas_complex_numIdELi16ELb0ELb1ELc78ELc76EKPKS1_KPS1_EviT_T0_PT6_S7_lSA_S7_lS8_PT7_S7_li ; -- Begin function _ZL32rocblas_syrkx_herkx_small_kernelIl19rocblas_complex_numIdELi16ELb0ELb1ELc78ELc76EKPKS1_KPS1_EviT_T0_PT6_S7_lSA_S7_lS8_PT7_S7_li
	.p2align	8
	.type	_ZL32rocblas_syrkx_herkx_small_kernelIl19rocblas_complex_numIdELi16ELb0ELb1ELc78ELc76EKPKS1_KPS1_EviT_T0_PT6_S7_lSA_S7_lS8_PT7_S7_li,@function
_ZL32rocblas_syrkx_herkx_small_kernelIl19rocblas_complex_numIdELi16ELb0ELb1ELc78ELc76EKPKS1_KPS1_EviT_T0_PT6_S7_lSA_S7_lS8_PT7_S7_li: ; @_ZL32rocblas_syrkx_herkx_small_kernelIl19rocblas_complex_numIdELi16ELb0ELb1ELc78ELc76EKPKS1_KPS1_EviT_T0_PT6_S7_lSA_S7_lS8_PT7_S7_li
; %bb.0:
	s_load_dword s30, s[4:5], 0x0
	s_load_dwordx8 s[12:19], s[4:5], 0x50
	s_load_dwordx8 s[20:27], s[4:5], 0x8
	s_load_dwordx2 s[28:29], s[4:5], 0x28
	s_mov_b32 s9, 0
	s_lshl_b64 s[0:1], s[8:9], 3
	s_waitcnt lgkmcnt(0)
	s_add_u32 s2, s16, s0
	s_addc_u32 s3, s17, s1
	s_load_dwordx2 s[16:17], s[2:3], 0x0
	v_cmp_lt_i64_e64 s[2:3], s[20:21], 1
	v_lshl_add_u32 v7, s6, 4, v0
	v_lshl_add_u32 v9, s7, 4, v1
	s_and_b64 vcc, exec, s[2:3]
	v_cmp_gt_i32_e64 s[2:3], s30, v7
	v_ashrrev_i32_e32 v8, 31, v7
	v_ashrrev_i32_e32 v10, 31, v9
	s_cbranch_vccnz .LBB1829_9
; %bb.1:
	s_load_dwordx4 s[8:11], s[4:5], 0x38
	v_lshlrev_b32_e32 v6, 8, v1
	v_lshlrev_b32_e32 v21, 4, v0
	v_add_u32_e32 v22, v21, v6
	v_add_u32_e32 v23, 0x1000, v6
	s_waitcnt lgkmcnt(0)
	s_add_u32 s4, s8, s0
	v_mad_u64_u32 v[3:4], s[6:7], s10, v0, 0
	s_addc_u32 s5, s9, s1
	s_add_u32 s0, s26, s0
	s_addc_u32 s1, s27, s1
	s_load_dwordx2 s[6:7], s[0:1], 0x0
	v_mad_u64_u32 v[4:5], s[0:1], s11, v0, v[4:5]
	v_mad_u64_u32 v[13:14], s[8:9], s28, v1, 0
	v_lshlrev_b64 v[3:4], 4, v[3:4]
	v_lshlrev_b64 v[5:6], 4, v[9:10]
	s_load_dwordx2 s[4:5], s[4:5], 0x0
	v_add_co_u32_e32 v5, vcc, v3, v5
	v_mov_b32_e32 v3, v14
	v_addc_co_u32_e32 v6, vcc, v4, v6, vcc
	v_mad_u64_u32 v[3:4], s[8:9], s29, v1, v[3:4]
	s_waitcnt lgkmcnt(0)
	v_mov_b32_e32 v12, s5
	v_add_co_u32_e32 v11, vcc, s4, v5
	v_mov_b32_e32 v14, v3
	v_addc_co_u32_e32 v12, vcc, v12, v6, vcc
	v_lshlrev_b64 v[3:4], 4, v[13:14]
	v_lshlrev_b64 v[5:6], 4, v[7:8]
	s_lshl_b64 s[4:5], s[10:11], 8
	v_add_co_u32_e32 v3, vcc, v3, v5
	v_addc_co_u32_e32 v4, vcc, v4, v6, vcc
	v_mov_b32_e32 v5, s7
	v_add_co_u32_e32 v13, vcc, s6, v3
	s_lshl_b64 s[6:7], s[28:29], 8
	v_mov_b32_e32 v17, 0
	v_mov_b32_e32 v19, 0
	;; [unrolled: 1-line block ×4, first 2 shown]
	v_cmp_gt_i32_e64 s[0:1], s30, v9
	v_add_u32_e32 v24, v23, v21
	v_addc_co_u32_e32 v14, vcc, v5, v4, vcc
	v_mov_b32_e32 v18, 0
	s_mov_b64 s[8:9], 0
	s_xor_b64 s[10:11], s[2:3], -1
	v_mov_b32_e32 v25, s5
	v_mov_b32_e32 v26, s7
	;; [unrolled: 1-line block ×4, first 2 shown]
	s_branch .LBB1829_3
.LBB1829_2:                             ;   in Loop: Header=BB1829_3 Depth=1
	s_or_b64 exec, exec, s[2:3]
	ds_write_b128 v24, v[3:6]
	s_waitcnt lgkmcnt(0)
	s_barrier
	ds_read_b128 v[3:6], v21
	ds_read_b128 v[27:30], v23
	ds_read_b128 v[31:34], v23 offset:16
	ds_read_b128 v[35:38], v21 offset:256
	s_add_u32 s8, s8, 16
	v_add_co_u32_e32 v11, vcc, s4, v11
	s_waitcnt lgkmcnt(2)
	v_mul_f64 v[39:40], v[29:30], v[5:6]
	v_mul_f64 v[5:6], v[27:28], v[5:6]
	s_waitcnt lgkmcnt(0)
	v_mul_f64 v[41:42], v[33:34], v[37:38]
	v_mul_f64 v[43:44], v[31:32], v[37:38]
	v_addc_co_u32_e32 v12, vcc, v12, v25, vcc
	s_addc_u32 s9, s9, 0
	v_cmp_ge_i64_e32 vcc, s[8:9], v[15:16]
	v_fma_f64 v[45:46], v[27:28], v[3:4], -v[39:40]
	v_fma_f64 v[47:48], v[29:30], v[3:4], v[5:6]
	ds_read_b128 v[3:6], v21 offset:512
	ds_read_b128 v[27:30], v23 offset:32
	;; [unrolled: 1-line block ×3, first 2 shown]
	v_fma_f64 v[41:42], v[31:32], v[35:36], -v[41:42]
	v_fma_f64 v[35:36], v[33:34], v[35:36], v[43:44]
	ds_read_b128 v[31:34], v21 offset:768
	s_waitcnt lgkmcnt(2)
	v_mul_f64 v[43:44], v[29:30], v[5:6]
	v_mul_f64 v[5:6], v[27:28], v[5:6]
	v_add_f64 v[19:20], v[19:20], v[45:46]
	v_add_f64 v[17:18], v[17:18], v[47:48]
	s_waitcnt lgkmcnt(0)
	v_mul_f64 v[45:46], v[39:40], v[33:34]
	v_mul_f64 v[33:34], v[37:38], v[33:34]
	v_add_co_u32_e64 v13, s[2:3], s6, v13
	v_fma_f64 v[43:44], v[27:28], v[3:4], -v[43:44]
	v_fma_f64 v[47:48], v[29:30], v[3:4], v[5:6]
	v_add_f64 v[41:42], v[19:20], v[41:42]
	v_add_f64 v[35:36], v[17:18], v[35:36]
	ds_read_b128 v[3:6], v23 offset:64
	ds_read_b128 v[17:20], v21 offset:1024
	v_fma_f64 v[37:38], v[37:38], v[31:32], -v[45:46]
	v_fma_f64 v[39:40], v[39:40], v[31:32], v[33:34]
	ds_read_b128 v[27:30], v23 offset:80
	ds_read_b128 v[31:34], v21 offset:1280
	v_addc_co_u32_e64 v14, s[2:3], v14, v26, s[2:3]
	s_waitcnt lgkmcnt(2)
	v_mul_f64 v[45:46], v[5:6], v[19:20]
	v_mul_f64 v[19:20], v[3:4], v[19:20]
	v_add_f64 v[41:42], v[41:42], v[43:44]
	v_add_f64 v[35:36], v[35:36], v[47:48]
	s_waitcnt lgkmcnt(0)
	v_mul_f64 v[43:44], v[29:30], v[33:34]
	v_mul_f64 v[33:34], v[27:28], v[33:34]
	s_and_b64 vcc, exec, vcc
	v_fma_f64 v[45:46], v[3:4], v[17:18], -v[45:46]
	v_fma_f64 v[47:48], v[5:6], v[17:18], v[19:20]
	v_add_f64 v[37:38], v[41:42], v[37:38]
	v_add_f64 v[35:36], v[35:36], v[39:40]
	ds_read_b128 v[3:6], v23 offset:96
	ds_read_b128 v[17:20], v21 offset:1536
	v_fma_f64 v[39:40], v[27:28], v[31:32], -v[43:44]
	v_fma_f64 v[41:42], v[29:30], v[31:32], v[33:34]
	ds_read_b128 v[27:30], v23 offset:112
	ds_read_b128 v[31:34], v21 offset:1792
	s_waitcnt lgkmcnt(2)
	v_mul_f64 v[43:44], v[5:6], v[19:20]
	v_mul_f64 v[19:20], v[3:4], v[19:20]
	v_add_f64 v[37:38], v[37:38], v[45:46]
	v_add_f64 v[35:36], v[35:36], v[47:48]
	s_waitcnt lgkmcnt(0)
	v_mul_f64 v[45:46], v[29:30], v[33:34]
	v_mul_f64 v[33:34], v[27:28], v[33:34]
	v_fma_f64 v[43:44], v[3:4], v[17:18], -v[43:44]
	v_fma_f64 v[47:48], v[5:6], v[17:18], v[19:20]
	v_add_f64 v[37:38], v[37:38], v[39:40]
	v_add_f64 v[35:36], v[35:36], v[41:42]
	ds_read_b128 v[3:6], v23 offset:128
	ds_read_b128 v[17:20], v21 offset:2048
	v_fma_f64 v[39:40], v[27:28], v[31:32], -v[45:46]
	v_fma_f64 v[41:42], v[29:30], v[31:32], v[33:34]
	ds_read_b128 v[27:30], v23 offset:144
	ds_read_b128 v[31:34], v21 offset:2304
	s_waitcnt lgkmcnt(2)
	v_mul_f64 v[45:46], v[5:6], v[19:20]
	v_mul_f64 v[19:20], v[3:4], v[19:20]
	v_add_f64 v[37:38], v[37:38], v[43:44]
	v_add_f64 v[35:36], v[35:36], v[47:48]
	s_waitcnt lgkmcnt(0)
	v_mul_f64 v[43:44], v[29:30], v[33:34]
	v_mul_f64 v[33:34], v[27:28], v[33:34]
	;; [unrolled: 18-line block ×4, first 2 shown]
	v_fma_f64 v[45:46], v[3:4], v[17:18], -v[45:46]
	v_fma_f64 v[47:48], v[5:6], v[17:18], v[19:20]
	v_add_f64 v[37:38], v[37:38], v[39:40]
	v_add_f64 v[35:36], v[35:36], v[41:42]
	ds_read_b128 v[3:6], v23 offset:224
	ds_read_b128 v[17:20], v21 offset:3584
	v_fma_f64 v[39:40], v[27:28], v[31:32], -v[43:44]
	v_fma_f64 v[41:42], v[29:30], v[31:32], v[33:34]
	ds_read_b128 v[27:30], v23 offset:240
	ds_read_b128 v[31:34], v21 offset:3840
	s_waitcnt lgkmcnt(0)
	v_mul_f64 v[43:44], v[5:6], v[19:20]
	v_mul_f64 v[19:20], v[3:4], v[19:20]
	v_add_f64 v[37:38], v[37:38], v[45:46]
	v_add_f64 v[35:36], v[35:36], v[47:48]
	v_mul_f64 v[45:46], v[29:30], v[33:34]
	v_mul_f64 v[33:34], v[27:28], v[33:34]
	s_barrier
	v_fma_f64 v[3:4], v[3:4], v[17:18], -v[43:44]
	v_fma_f64 v[5:6], v[5:6], v[17:18], v[19:20]
	v_add_f64 v[17:18], v[37:38], v[39:40]
	v_add_f64 v[19:20], v[35:36], v[41:42]
	v_fma_f64 v[27:28], v[27:28], v[31:32], -v[45:46]
	v_fma_f64 v[29:30], v[29:30], v[31:32], v[33:34]
	v_add_f64 v[3:4], v[17:18], v[3:4]
	v_add_f64 v[5:6], v[19:20], v[5:6]
	;; [unrolled: 1-line block ×4, first 2 shown]
	s_cbranch_vccnz .LBB1829_10
.LBB1829_3:                             ; =>This Inner Loop Header: Depth=1
	v_mov_b32_e32 v4, s9
	v_add_co_u32_e32 v3, vcc, s8, v1
	v_addc_co_u32_e32 v4, vcc, 0, v4, vcc
	v_cmp_le_i64_e32 vcc, s[20:21], v[3:4]
	s_or_b64 s[2:3], s[10:11], vcc
	s_and_saveexec_b64 s[26:27], s[2:3]
	s_xor_b64 s[2:3], exec, s[26:27]
; %bb.4:                                ;   in Loop: Header=BB1829_3 Depth=1
	v_mov_b32_e32 v3, v2
	v_mov_b32_e32 v4, v2
	;; [unrolled: 1-line block ×3, first 2 shown]
	ds_write_b128 v22, v[2:5]
; %bb.5:                                ;   in Loop: Header=BB1829_3 Depth=1
	s_andn2_saveexec_b64 s[2:3], s[2:3]
	s_cbranch_execz .LBB1829_7
; %bb.6:                                ;   in Loop: Header=BB1829_3 Depth=1
	flat_load_dwordx4 v[3:6], v[13:14]
	s_waitcnt vmcnt(0) lgkmcnt(0)
	ds_write2_b64 v22, v[3:4], v[5:6] offset1:1
.LBB1829_7:                             ;   in Loop: Header=BB1829_3 Depth=1
	s_or_b64 exec, exec, s[2:3]
	v_mov_b32_e32 v4, s9
	v_add_co_u32_e32 v3, vcc, s8, v0
	v_addc_co_u32_e32 v4, vcc, 0, v4, vcc
	v_cmp_gt_i64_e32 vcc, s[20:21], v[3:4]
	v_mov_b32_e32 v3, 0
	v_mov_b32_e32 v5, 0
	;; [unrolled: 1-line block ×4, first 2 shown]
	s_and_b64 s[26:27], s[0:1], vcc
	s_and_saveexec_b64 s[2:3], s[26:27]
	s_cbranch_execz .LBB1829_2
; %bb.8:                                ;   in Loop: Header=BB1829_3 Depth=1
	flat_load_dwordx4 v[3:6], v[11:12]
	s_waitcnt vmcnt(0) lgkmcnt(0)
	v_xor_b32_e32 v6, 0x80000000, v6
	s_branch .LBB1829_2
.LBB1829_9:
	v_mov_b32_e32 v17, 0
	v_mov_b32_e32 v19, 0
	;; [unrolled: 1-line block ×4, first 2 shown]
.LBB1829_10:
	v_cmp_le_i32_e32 vcc, v9, v7
	v_cmp_gt_i32_e64 s[0:1], s30, v7
	s_and_b64 s[0:1], vcc, s[0:1]
	s_and_saveexec_b64 s[2:3], s[0:1]
	s_cbranch_execz .LBB1829_12
; %bb.11:
	v_mul_lo_u32 v2, s19, v9
	v_mul_lo_u32 v3, s18, v10
	v_mad_u64_u32 v[0:1], s[0:1], s18, v9, 0
	v_mul_f64 v[10:11], s[22:23], v[17:18]
	v_mul_f64 v[14:15], s[24:25], v[17:18]
	v_add3_u32 v1, v1, v3, v2
	v_lshlrev_b64 v[0:1], 4, v[0:1]
	s_waitcnt lgkmcnt(0)
	v_mov_b32_e32 v2, s17
	v_add_co_u32_e32 v3, vcc, s16, v0
	v_addc_co_u32_e32 v2, vcc, v2, v1, vcc
	v_lshlrev_b64 v[0:1], 4, v[7:8]
	v_fma_f64 v[10:11], s[24:25], v[19:20], v[10:11]
	v_add_co_u32_e32 v4, vcc, v3, v0
	v_addc_co_u32_e32 v5, vcc, v2, v1, vcc
	flat_load_dwordx4 v[0:3], v[4:5]
	v_fma_f64 v[14:15], s[22:23], v[19:20], -v[14:15]
	v_cmp_ne_u32_e32 vcc, v7, v9
	s_waitcnt vmcnt(0) lgkmcnt(0)
	v_mul_f64 v[12:13], s[12:13], v[2:3]
	v_mul_f64 v[2:3], s[14:15], v[2:3]
	v_fma_f64 v[12:13], s[14:15], v[0:1], v[12:13]
	v_fma_f64 v[0:1], s[12:13], v[0:1], -v[2:3]
	v_add_f64 v[2:3], v[10:11], v[12:13]
	v_add_f64 v[0:1], v[14:15], v[0:1]
	v_cndmask_b32_e32 v3, 0, v3, vcc
	v_cndmask_b32_e32 v2, 0, v2, vcc
	flat_store_dwordx4 v[4:5], v[0:3]
.LBB1829_12:
	s_endpgm
	.section	.rodata,"a",@progbits
	.p2align	6, 0x0
	.amdhsa_kernel _ZL32rocblas_syrkx_herkx_small_kernelIl19rocblas_complex_numIdELi16ELb0ELb1ELc78ELc76EKPKS1_KPS1_EviT_T0_PT6_S7_lSA_S7_lS8_PT7_S7_li
		.amdhsa_group_segment_fixed_size 8192
		.amdhsa_private_segment_fixed_size 0
		.amdhsa_kernarg_size 124
		.amdhsa_user_sgpr_count 6
		.amdhsa_user_sgpr_private_segment_buffer 1
		.amdhsa_user_sgpr_dispatch_ptr 0
		.amdhsa_user_sgpr_queue_ptr 0
		.amdhsa_user_sgpr_kernarg_segment_ptr 1
		.amdhsa_user_sgpr_dispatch_id 0
		.amdhsa_user_sgpr_flat_scratch_init 0
		.amdhsa_user_sgpr_private_segment_size 0
		.amdhsa_uses_dynamic_stack 0
		.amdhsa_system_sgpr_private_segment_wavefront_offset 0
		.amdhsa_system_sgpr_workgroup_id_x 1
		.amdhsa_system_sgpr_workgroup_id_y 1
		.amdhsa_system_sgpr_workgroup_id_z 1
		.amdhsa_system_sgpr_workgroup_info 0
		.amdhsa_system_vgpr_workitem_id 1
		.amdhsa_next_free_vgpr 49
		.amdhsa_next_free_sgpr 61
		.amdhsa_reserve_vcc 1
		.amdhsa_reserve_flat_scratch 0
		.amdhsa_float_round_mode_32 0
		.amdhsa_float_round_mode_16_64 0
		.amdhsa_float_denorm_mode_32 3
		.amdhsa_float_denorm_mode_16_64 3
		.amdhsa_dx10_clamp 1
		.amdhsa_ieee_mode 1
		.amdhsa_fp16_overflow 0
		.amdhsa_exception_fp_ieee_invalid_op 0
		.amdhsa_exception_fp_denorm_src 0
		.amdhsa_exception_fp_ieee_div_zero 0
		.amdhsa_exception_fp_ieee_overflow 0
		.amdhsa_exception_fp_ieee_underflow 0
		.amdhsa_exception_fp_ieee_inexact 0
		.amdhsa_exception_int_div_zero 0
	.end_amdhsa_kernel
	.section	.text._ZL32rocblas_syrkx_herkx_small_kernelIl19rocblas_complex_numIdELi16ELb0ELb1ELc78ELc76EKPKS1_KPS1_EviT_T0_PT6_S7_lSA_S7_lS8_PT7_S7_li,"axG",@progbits,_ZL32rocblas_syrkx_herkx_small_kernelIl19rocblas_complex_numIdELi16ELb0ELb1ELc78ELc76EKPKS1_KPS1_EviT_T0_PT6_S7_lSA_S7_lS8_PT7_S7_li,comdat
.Lfunc_end1829:
	.size	_ZL32rocblas_syrkx_herkx_small_kernelIl19rocblas_complex_numIdELi16ELb0ELb1ELc78ELc76EKPKS1_KPS1_EviT_T0_PT6_S7_lSA_S7_lS8_PT7_S7_li, .Lfunc_end1829-_ZL32rocblas_syrkx_herkx_small_kernelIl19rocblas_complex_numIdELi16ELb0ELb1ELc78ELc76EKPKS1_KPS1_EviT_T0_PT6_S7_lSA_S7_lS8_PT7_S7_li
                                        ; -- End function
	.set _ZL32rocblas_syrkx_herkx_small_kernelIl19rocblas_complex_numIdELi16ELb0ELb1ELc78ELc76EKPKS1_KPS1_EviT_T0_PT6_S7_lSA_S7_lS8_PT7_S7_li.num_vgpr, 49
	.set _ZL32rocblas_syrkx_herkx_small_kernelIl19rocblas_complex_numIdELi16ELb0ELb1ELc78ELc76EKPKS1_KPS1_EviT_T0_PT6_S7_lSA_S7_lS8_PT7_S7_li.num_agpr, 0
	.set _ZL32rocblas_syrkx_herkx_small_kernelIl19rocblas_complex_numIdELi16ELb0ELb1ELc78ELc76EKPKS1_KPS1_EviT_T0_PT6_S7_lSA_S7_lS8_PT7_S7_li.numbered_sgpr, 31
	.set _ZL32rocblas_syrkx_herkx_small_kernelIl19rocblas_complex_numIdELi16ELb0ELb1ELc78ELc76EKPKS1_KPS1_EviT_T0_PT6_S7_lSA_S7_lS8_PT7_S7_li.num_named_barrier, 0
	.set _ZL32rocblas_syrkx_herkx_small_kernelIl19rocblas_complex_numIdELi16ELb0ELb1ELc78ELc76EKPKS1_KPS1_EviT_T0_PT6_S7_lSA_S7_lS8_PT7_S7_li.private_seg_size, 0
	.set _ZL32rocblas_syrkx_herkx_small_kernelIl19rocblas_complex_numIdELi16ELb0ELb1ELc78ELc76EKPKS1_KPS1_EviT_T0_PT6_S7_lSA_S7_lS8_PT7_S7_li.uses_vcc, 1
	.set _ZL32rocblas_syrkx_herkx_small_kernelIl19rocblas_complex_numIdELi16ELb0ELb1ELc78ELc76EKPKS1_KPS1_EviT_T0_PT6_S7_lSA_S7_lS8_PT7_S7_li.uses_flat_scratch, 0
	.set _ZL32rocblas_syrkx_herkx_small_kernelIl19rocblas_complex_numIdELi16ELb0ELb1ELc78ELc76EKPKS1_KPS1_EviT_T0_PT6_S7_lSA_S7_lS8_PT7_S7_li.has_dyn_sized_stack, 0
	.set _ZL32rocblas_syrkx_herkx_small_kernelIl19rocblas_complex_numIdELi16ELb0ELb1ELc78ELc76EKPKS1_KPS1_EviT_T0_PT6_S7_lSA_S7_lS8_PT7_S7_li.has_recursion, 0
	.set _ZL32rocblas_syrkx_herkx_small_kernelIl19rocblas_complex_numIdELi16ELb0ELb1ELc78ELc76EKPKS1_KPS1_EviT_T0_PT6_S7_lSA_S7_lS8_PT7_S7_li.has_indirect_call, 0
	.section	.AMDGPU.csdata,"",@progbits
; Kernel info:
; codeLenInByte = 1884
; TotalNumSgprs: 35
; NumVgprs: 49
; ScratchSize: 0
; MemoryBound: 1
; FloatMode: 240
; IeeeMode: 1
; LDSByteSize: 8192 bytes/workgroup (compile time only)
; SGPRBlocks: 8
; VGPRBlocks: 12
; NumSGPRsForWavesPerEU: 65
; NumVGPRsForWavesPerEU: 49
; Occupancy: 4
; WaveLimiterHint : 1
; COMPUTE_PGM_RSRC2:SCRATCH_EN: 0
; COMPUTE_PGM_RSRC2:USER_SGPR: 6
; COMPUTE_PGM_RSRC2:TRAP_HANDLER: 0
; COMPUTE_PGM_RSRC2:TGID_X_EN: 1
; COMPUTE_PGM_RSRC2:TGID_Y_EN: 1
; COMPUTE_PGM_RSRC2:TGID_Z_EN: 1
; COMPUTE_PGM_RSRC2:TIDIG_COMP_CNT: 1
	.section	.text._ZL32rocblas_syrkx_herkx_small_kernelIl19rocblas_complex_numIdELi16ELb0ELb1ELc84ELc85EKPKS1_KPS1_EviT_T0_PT6_S7_lSA_S7_lS8_PT7_S7_li,"axG",@progbits,_ZL32rocblas_syrkx_herkx_small_kernelIl19rocblas_complex_numIdELi16ELb0ELb1ELc84ELc85EKPKS1_KPS1_EviT_T0_PT6_S7_lSA_S7_lS8_PT7_S7_li,comdat
	.globl	_ZL32rocblas_syrkx_herkx_small_kernelIl19rocblas_complex_numIdELi16ELb0ELb1ELc84ELc85EKPKS1_KPS1_EviT_T0_PT6_S7_lSA_S7_lS8_PT7_S7_li ; -- Begin function _ZL32rocblas_syrkx_herkx_small_kernelIl19rocblas_complex_numIdELi16ELb0ELb1ELc84ELc85EKPKS1_KPS1_EviT_T0_PT6_S7_lSA_S7_lS8_PT7_S7_li
	.p2align	8
	.type	_ZL32rocblas_syrkx_herkx_small_kernelIl19rocblas_complex_numIdELi16ELb0ELb1ELc84ELc85EKPKS1_KPS1_EviT_T0_PT6_S7_lSA_S7_lS8_PT7_S7_li,@function
_ZL32rocblas_syrkx_herkx_small_kernelIl19rocblas_complex_numIdELi16ELb0ELb1ELc84ELc85EKPKS1_KPS1_EviT_T0_PT6_S7_lSA_S7_lS8_PT7_S7_li: ; @_ZL32rocblas_syrkx_herkx_small_kernelIl19rocblas_complex_numIdELi16ELb0ELb1ELc84ELc85EKPKS1_KPS1_EviT_T0_PT6_S7_lSA_S7_lS8_PT7_S7_li
; %bb.0:
	s_load_dword s28, s[4:5], 0x0
	s_load_dwordx8 s[12:19], s[4:5], 0x50
	s_load_dwordx8 s[20:27], s[4:5], 0x8
	s_load_dwordx2 s[10:11], s[4:5], 0x28
	s_mov_b32 s9, 0
	s_lshl_b64 s[2:3], s[8:9], 3
	s_waitcnt lgkmcnt(0)
	s_add_u32 s0, s16, s2
	s_addc_u32 s1, s17, s3
	s_load_dwordx2 s[8:9], s[0:1], 0x0
	v_cmp_lt_i64_e64 s[0:1], s[20:21], 1
	v_lshl_add_u32 v6, s6, 4, v0
	v_lshl_add_u32 v18, s7, 4, v1
	s_and_b64 vcc, exec, s[0:1]
	v_ashrrev_i32_e32 v7, 31, v6
	v_cmp_gt_i32_e64 s[0:1], s28, v18
	v_ashrrev_i32_e32 v19, 31, v18
	s_cbranch_vccnz .LBB1830_11
; %bb.1:
	s_load_dwordx4 s[36:39], s[4:5], 0x38
	v_lshlrev_b32_e32 v5, 8, v1
	v_lshlrev_b32_e32 v20, 4, v0
	v_add_u32_e32 v21, v20, v5
	v_add_u32_e32 v22, 0x1000, v5
	s_waitcnt lgkmcnt(0)
	s_add_u32 s4, s36, s2
	s_addc_u32 s5, s37, s3
	s_add_u32 s2, s26, s2
	s_addc_u32 s3, s27, s3
	s_load_dwordx2 s[6:7], s[2:3], 0x0
	v_mul_lo_u32 v8, s39, v18
	v_mul_lo_u32 v9, s38, v19
	v_mad_u64_u32 v[3:4], s[2:3], s38, v18, 0
	s_load_dwordx2 s[4:5], s[4:5], 0x0
	v_mul_lo_u32 v11, s11, v6
	v_add3_u32 v4, v4, v9, v8
	v_lshlrev_b64 v[3:4], 4, v[3:4]
	v_mul_lo_u32 v12, s10, v7
	v_add_co_u32_e64 v5, s[2:3], v3, v20
	v_addc_co_u32_e64 v9, s[2:3], 0, v4, s[2:3]
	v_mad_u64_u32 v[3:4], s[2:3], s10, v6, 0
	s_waitcnt lgkmcnt(0)
	v_mov_b32_e32 v10, s5
	v_add_co_u32_e64 v8, s[2:3], s4, v5
	v_add3_u32 v4, v4, v12, v11
	v_lshlrev_b64 v[3:4], 4, v[3:4]
	v_addc_co_u32_e64 v9, s[2:3], v10, v9, s[2:3]
	v_lshlrev_b32_e32 v5, 4, v1
	v_add_co_u32_e64 v3, s[2:3], v3, v5
	v_addc_co_u32_e64 v4, s[2:3], 0, v4, s[2:3]
	v_mov_b32_e32 v5, s7
	v_add_co_u32_e64 v10, s[2:3], s6, v3
	v_cmp_gt_i32_e32 vcc, s28, v6
	v_addc_co_u32_e64 v11, s[2:3], v5, v4, s[2:3]
	v_mov_b32_e32 v14, 0
	v_mov_b32_e32 v16, 0
	;; [unrolled: 1-line block ×4, first 2 shown]
	v_add_u32_e32 v23, v22, v20
	v_mov_b32_e32 v15, 0
	s_mov_b64 s[2:3], 0
	s_xor_b64 s[4:5], vcc, -1
	s_xor_b64 s[6:7], s[0:1], -1
	v_mov_b32_e32 v17, 0
	v_mov_b32_e32 v13, s21
	s_branch .LBB1830_3
.LBB1830_2:                             ;   in Loop: Header=BB1830_3 Depth=1
	s_or_b64 exec, exec, s[0:1]
	s_waitcnt lgkmcnt(0)
	s_barrier
	ds_read_b128 v[24:27], v20
	ds_read_b128 v[28:31], v22
	ds_read_b128 v[32:35], v22 offset:16
	ds_read_b128 v[36:39], v20 offset:256
	s_add_u32 s2, s2, 16
	v_add_co_u32_e32 v8, vcc, 0x100, v8
	s_waitcnt lgkmcnt(2)
	v_mul_f64 v[3:4], v[30:31], v[26:27]
	v_mul_f64 v[26:27], v[28:29], v[26:27]
	s_waitcnt lgkmcnt(0)
	v_mul_f64 v[46:47], v[34:35], v[38:39]
	v_mul_f64 v[48:49], v[32:33], v[38:39]
	ds_read_b128 v[38:41], v20 offset:512
	s_addc_u32 s3, s3, 0
	v_addc_co_u32_e32 v9, vcc, 0, v9, vcc
	v_fma_f64 v[3:4], v[28:29], v[24:25], -v[3:4]
	v_fma_f64 v[50:51], v[30:31], v[24:25], v[26:27]
	ds_read_b128 v[24:27], v22 offset:32
	ds_read_b128 v[28:31], v22 offset:48
	;; [unrolled: 1-line block ×3, first 2 shown]
	v_fma_f64 v[32:33], v[32:33], v[36:37], -v[46:47]
	v_fma_f64 v[34:35], v[34:35], v[36:37], v[48:49]
	s_waitcnt lgkmcnt(2)
	v_mul_f64 v[36:37], v[26:27], v[40:41]
	v_mul_f64 v[40:41], v[24:25], v[40:41]
	s_waitcnt lgkmcnt(0)
	v_mul_f64 v[48:49], v[30:31], v[44:45]
	v_add_f64 v[3:4], v[16:17], v[3:4]
	v_add_f64 v[46:47], v[14:15], v[50:51]
	v_mul_f64 v[44:45], v[28:29], v[44:45]
	ds_read_b128 v[14:17], v20 offset:1024
	v_add_co_u32_e32 v10, vcc, 0x100, v10
	v_fma_f64 v[50:51], v[24:25], v[38:39], -v[36:37]
	v_fma_f64 v[40:41], v[26:27], v[38:39], v[40:41]
	v_add_f64 v[3:4], v[3:4], v[32:33]
	v_add_f64 v[46:47], v[46:47], v[34:35]
	ds_read_b128 v[24:27], v22 offset:64
	ds_read_b128 v[32:35], v22 offset:80
	;; [unrolled: 1-line block ×3, first 2 shown]
	v_fma_f64 v[48:49], v[28:29], v[42:43], -v[48:49]
	v_fma_f64 v[42:43], v[30:31], v[42:43], v[44:45]
	s_waitcnt lgkmcnt(2)
	v_mul_f64 v[44:45], v[26:27], v[16:17]
	v_mul_f64 v[16:17], v[24:25], v[16:17]
	ds_read_b128 v[28:31], v20 offset:1536
	v_add_f64 v[3:4], v[3:4], v[50:51]
	v_add_f64 v[40:41], v[46:47], v[40:41]
	s_waitcnt lgkmcnt(1)
	v_mul_f64 v[46:47], v[34:35], v[38:39]
	v_mul_f64 v[50:51], v[32:33], v[38:39]
	v_cmp_ge_i64_e64 s[0:1], s[2:3], v[12:13]
	v_fma_f64 v[44:45], v[24:25], v[14:15], -v[44:45]
	v_fma_f64 v[52:53], v[26:27], v[14:15], v[16:17]
	v_addc_co_u32_e32 v11, vcc, 0, v11, vcc
	v_add_f64 v[3:4], v[3:4], v[48:49]
	v_add_f64 v[42:43], v[40:41], v[42:43]
	ds_read_b128 v[14:17], v22 offset:96
	ds_read_b128 v[24:27], v22 offset:112
	;; [unrolled: 1-line block ×3, first 2 shown]
	v_fma_f64 v[46:47], v[32:33], v[36:37], -v[46:47]
	v_fma_f64 v[34:35], v[34:35], v[36:37], v[50:51]
	s_waitcnt lgkmcnt(2)
	v_mul_f64 v[36:37], v[16:17], v[30:31]
	v_mul_f64 v[48:49], v[14:15], v[30:31]
	s_waitcnt lgkmcnt(0)
	v_mul_f64 v[50:51], v[24:25], v[40:41]
	v_add_f64 v[3:4], v[3:4], v[44:45]
	v_add_f64 v[42:43], v[42:43], v[52:53]
	v_mul_f64 v[44:45], v[26:27], v[40:41]
	ds_read_b128 v[30:33], v20 offset:2048
	s_and_b64 vcc, exec, s[0:1]
	v_fma_f64 v[52:53], v[14:15], v[28:29], -v[36:37]
	v_fma_f64 v[28:29], v[16:17], v[28:29], v[48:49]
	v_add_f64 v[3:4], v[3:4], v[46:47]
	v_add_f64 v[46:47], v[42:43], v[34:35]
	ds_read_b128 v[14:17], v22 offset:128
	ds_read_b128 v[34:37], v22 offset:144
	ds_read_b128 v[40:43], v20 offset:2304
	v_fma_f64 v[44:45], v[24:25], v[38:39], -v[44:45]
	v_fma_f64 v[38:39], v[26:27], v[38:39], v[50:51]
	s_waitcnt lgkmcnt(2)
	v_mul_f64 v[48:49], v[16:17], v[32:33]
	v_mul_f64 v[32:33], v[14:15], v[32:33]
	s_waitcnt lgkmcnt(0)
	v_mul_f64 v[50:51], v[34:35], v[42:43]
	v_add_f64 v[3:4], v[3:4], v[52:53]
	v_add_f64 v[28:29], v[46:47], v[28:29]
	v_mul_f64 v[46:47], v[36:37], v[42:43]
	ds_read_b128 v[24:27], v20 offset:2560
	v_fma_f64 v[48:49], v[14:15], v[30:31], -v[48:49]
	v_fma_f64 v[32:33], v[16:17], v[30:31], v[32:33]
	v_fma_f64 v[36:37], v[36:37], v[40:41], v[50:51]
	v_add_f64 v[3:4], v[3:4], v[44:45]
	v_add_f64 v[38:39], v[28:29], v[38:39]
	ds_read_b128 v[14:17], v22 offset:160
	ds_read_b128 v[28:31], v22 offset:176
	;; [unrolled: 1-line block ×3, first 2 shown]
	v_fma_f64 v[46:47], v[34:35], v[40:41], -v[46:47]
	s_waitcnt lgkmcnt(2)
	v_mul_f64 v[40:41], v[16:17], v[26:27]
	v_mul_f64 v[26:27], v[14:15], v[26:27]
	v_add_f64 v[3:4], v[3:4], v[48:49]
	v_add_f64 v[38:39], v[38:39], v[32:33]
	s_waitcnt lgkmcnt(0)
	v_mul_f64 v[48:49], v[30:31], v[44:45]
	v_mul_f64 v[44:45], v[28:29], v[44:45]
	ds_read_b128 v[32:35], v20 offset:3072
	v_fma_f64 v[40:41], v[14:15], v[24:25], -v[40:41]
	v_fma_f64 v[50:51], v[16:17], v[24:25], v[26:27]
	v_add_f64 v[3:4], v[3:4], v[46:47]
	v_add_f64 v[46:47], v[38:39], v[36:37]
	ds_read_b128 v[14:17], v22 offset:192
	ds_read_b128 v[24:27], v22 offset:208
	;; [unrolled: 1-line block ×3, first 2 shown]
	v_fma_f64 v[48:49], v[28:29], v[42:43], -v[48:49]
	v_fma_f64 v[42:43], v[30:31], v[42:43], v[44:45]
	s_waitcnt lgkmcnt(2)
	v_mul_f64 v[44:45], v[16:17], v[34:35]
	v_mul_f64 v[34:35], v[14:15], v[34:35]
	ds_read_b128 v[28:31], v20 offset:3584
	v_add_f64 v[3:4], v[3:4], v[40:41]
	v_add_f64 v[40:41], v[46:47], v[50:51]
	s_waitcnt lgkmcnt(1)
	v_mul_f64 v[46:47], v[26:27], v[38:39]
	v_mul_f64 v[50:51], v[24:25], v[38:39]
	v_fma_f64 v[44:45], v[14:15], v[32:33], -v[44:45]
	v_fma_f64 v[52:53], v[16:17], v[32:33], v[34:35]
	v_add_f64 v[3:4], v[3:4], v[48:49]
	v_add_f64 v[42:43], v[40:41], v[42:43]
	ds_read_b128 v[14:17], v22 offset:224
	ds_read_b128 v[32:35], v22 offset:240
	;; [unrolled: 1-line block ×3, first 2 shown]
	v_fma_f64 v[24:25], v[24:25], v[36:37], -v[46:47]
	v_fma_f64 v[26:27], v[26:27], v[36:37], v[50:51]
	s_waitcnt lgkmcnt(2)
	v_mul_f64 v[36:37], v[16:17], v[30:31]
	v_mul_f64 v[30:31], v[14:15], v[30:31]
	s_waitcnt lgkmcnt(0)
	v_add_f64 v[3:4], v[3:4], v[44:45]
	v_add_f64 v[42:43], v[42:43], v[52:53]
	v_mul_f64 v[44:45], v[34:35], v[40:41]
	v_mul_f64 v[40:41], v[32:33], v[40:41]
	s_barrier
	v_fma_f64 v[14:15], v[14:15], v[28:29], -v[36:37]
	v_fma_f64 v[16:17], v[16:17], v[28:29], v[30:31]
	v_add_f64 v[3:4], v[3:4], v[24:25]
	v_add_f64 v[24:25], v[42:43], v[26:27]
	v_fma_f64 v[26:27], v[32:33], v[38:39], -v[44:45]
	v_fma_f64 v[28:29], v[34:35], v[38:39], v[40:41]
	v_add_f64 v[3:4], v[3:4], v[14:15]
	v_add_f64 v[14:15], v[24:25], v[16:17]
	;; [unrolled: 1-line block ×4, first 2 shown]
	s_cbranch_vccnz .LBB1830_12
.LBB1830_3:                             ; =>This Inner Loop Header: Depth=1
	v_mov_b32_e32 v4, s3
	v_add_co_u32_e32 v3, vcc, s2, v1
	v_addc_co_u32_e32 v4, vcc, 0, v4, vcc
	v_cmp_le_i64_e32 vcc, s[20:21], v[3:4]
	s_or_b64 s[0:1], s[4:5], vcc
	s_and_saveexec_b64 s[10:11], s[0:1]
	s_xor_b64 s[0:1], exec, s[10:11]
; %bb.4:                                ;   in Loop: Header=BB1830_3 Depth=1
	v_mov_b32_e32 v3, v2
	v_mov_b32_e32 v4, v2
	;; [unrolled: 1-line block ×3, first 2 shown]
	ds_write_b128 v21, v[2:5]
; %bb.5:                                ;   in Loop: Header=BB1830_3 Depth=1
	s_andn2_saveexec_b64 s[0:1], s[0:1]
	s_cbranch_execz .LBB1830_7
; %bb.6:                                ;   in Loop: Header=BB1830_3 Depth=1
	flat_load_dwordx4 v[24:27], v[10:11]
	s_waitcnt vmcnt(0) lgkmcnt(0)
	ds_write2_b64 v21, v[24:25], v[26:27] offset1:1
.LBB1830_7:                             ;   in Loop: Header=BB1830_3 Depth=1
	s_or_b64 exec, exec, s[0:1]
	v_mov_b32_e32 v4, s3
	v_add_co_u32_e32 v3, vcc, s2, v0
	v_addc_co_u32_e32 v4, vcc, 0, v4, vcc
	v_cmp_le_i64_e32 vcc, s[20:21], v[3:4]
	s_or_b64 s[0:1], s[6:7], vcc
	s_and_saveexec_b64 s[10:11], s[0:1]
	s_xor_b64 s[0:1], exec, s[10:11]
; %bb.8:                                ;   in Loop: Header=BB1830_3 Depth=1
	v_mov_b32_e32 v3, v2
	v_mov_b32_e32 v4, v2
	;; [unrolled: 1-line block ×3, first 2 shown]
	ds_write_b128 v23, v[2:5]
; %bb.9:                                ;   in Loop: Header=BB1830_3 Depth=1
	s_andn2_saveexec_b64 s[0:1], s[0:1]
	s_cbranch_execz .LBB1830_2
; %bb.10:                               ;   in Loop: Header=BB1830_3 Depth=1
	flat_load_dwordx4 v[24:27], v[8:9]
	s_waitcnt vmcnt(0) lgkmcnt(0)
	ds_write2_b64 v23, v[24:25], v[26:27] offset1:1
	s_branch .LBB1830_2
.LBB1830_11:
	v_mov_b32_e32 v14, 0
	v_mov_b32_e32 v16, 0
	;; [unrolled: 1-line block ×4, first 2 shown]
.LBB1830_12:
	v_cmp_le_i32_e32 vcc, v6, v18
	v_cmp_gt_i32_e64 s[0:1], s28, v18
	s_and_b64 s[0:1], vcc, s[0:1]
	s_and_saveexec_b64 s[2:3], s[0:1]
	s_cbranch_execz .LBB1830_14
; %bb.13:
	v_mul_lo_u32 v2, s19, v18
	v_mul_lo_u32 v3, s18, v19
	v_mad_u64_u32 v[0:1], s[0:1], s18, v18, 0
	v_mul_f64 v[11:12], s[24:25], v[14:15]
	v_add3_u32 v1, v1, v3, v2
	v_lshlrev_b64 v[0:1], 4, v[0:1]
	s_waitcnt lgkmcnt(0)
	v_mov_b32_e32 v2, s9
	v_add_co_u32_e32 v3, vcc, s8, v0
	v_addc_co_u32_e32 v2, vcc, v2, v1, vcc
	v_lshlrev_b64 v[0:1], 4, v[6:7]
	v_mul_f64 v[7:8], s[22:23], v[14:15]
	v_add_co_u32_e32 v4, vcc, v3, v0
	v_addc_co_u32_e32 v5, vcc, v2, v1, vcc
	flat_load_dwordx4 v[0:3], v[4:5]
	v_fma_f64 v[11:12], s[22:23], v[16:17], -v[11:12]
	v_cmp_ne_u32_e32 vcc, v6, v18
	v_fma_f64 v[7:8], s[24:25], v[16:17], v[7:8]
	s_waitcnt vmcnt(0) lgkmcnt(0)
	v_mul_f64 v[9:10], s[12:13], v[2:3]
	v_mul_f64 v[2:3], s[14:15], v[2:3]
	v_fma_f64 v[9:10], s[14:15], v[0:1], v[9:10]
	v_fma_f64 v[0:1], s[12:13], v[0:1], -v[2:3]
	v_add_f64 v[2:3], v[7:8], v[9:10]
	v_add_f64 v[0:1], v[11:12], v[0:1]
	v_cndmask_b32_e32 v3, 0, v3, vcc
	v_cndmask_b32_e32 v2, 0, v2, vcc
	flat_store_dwordx4 v[4:5], v[0:3]
.LBB1830_14:
	s_endpgm
	.section	.rodata,"a",@progbits
	.p2align	6, 0x0
	.amdhsa_kernel _ZL32rocblas_syrkx_herkx_small_kernelIl19rocblas_complex_numIdELi16ELb0ELb1ELc84ELc85EKPKS1_KPS1_EviT_T0_PT6_S7_lSA_S7_lS8_PT7_S7_li
		.amdhsa_group_segment_fixed_size 8192
		.amdhsa_private_segment_fixed_size 0
		.amdhsa_kernarg_size 124
		.amdhsa_user_sgpr_count 6
		.amdhsa_user_sgpr_private_segment_buffer 1
		.amdhsa_user_sgpr_dispatch_ptr 0
		.amdhsa_user_sgpr_queue_ptr 0
		.amdhsa_user_sgpr_kernarg_segment_ptr 1
		.amdhsa_user_sgpr_dispatch_id 0
		.amdhsa_user_sgpr_flat_scratch_init 0
		.amdhsa_user_sgpr_private_segment_size 0
		.amdhsa_uses_dynamic_stack 0
		.amdhsa_system_sgpr_private_segment_wavefront_offset 0
		.amdhsa_system_sgpr_workgroup_id_x 1
		.amdhsa_system_sgpr_workgroup_id_y 1
		.amdhsa_system_sgpr_workgroup_id_z 1
		.amdhsa_system_sgpr_workgroup_info 0
		.amdhsa_system_vgpr_workitem_id 1
		.amdhsa_next_free_vgpr 54
		.amdhsa_next_free_sgpr 61
		.amdhsa_reserve_vcc 1
		.amdhsa_reserve_flat_scratch 0
		.amdhsa_float_round_mode_32 0
		.amdhsa_float_round_mode_16_64 0
		.amdhsa_float_denorm_mode_32 3
		.amdhsa_float_denorm_mode_16_64 3
		.amdhsa_dx10_clamp 1
		.amdhsa_ieee_mode 1
		.amdhsa_fp16_overflow 0
		.amdhsa_exception_fp_ieee_invalid_op 0
		.amdhsa_exception_fp_denorm_src 0
		.amdhsa_exception_fp_ieee_div_zero 0
		.amdhsa_exception_fp_ieee_overflow 0
		.amdhsa_exception_fp_ieee_underflow 0
		.amdhsa_exception_fp_ieee_inexact 0
		.amdhsa_exception_int_div_zero 0
	.end_amdhsa_kernel
	.section	.text._ZL32rocblas_syrkx_herkx_small_kernelIl19rocblas_complex_numIdELi16ELb0ELb1ELc84ELc85EKPKS1_KPS1_EviT_T0_PT6_S7_lSA_S7_lS8_PT7_S7_li,"axG",@progbits,_ZL32rocblas_syrkx_herkx_small_kernelIl19rocblas_complex_numIdELi16ELb0ELb1ELc84ELc85EKPKS1_KPS1_EviT_T0_PT6_S7_lSA_S7_lS8_PT7_S7_li,comdat
.Lfunc_end1830:
	.size	_ZL32rocblas_syrkx_herkx_small_kernelIl19rocblas_complex_numIdELi16ELb0ELb1ELc84ELc85EKPKS1_KPS1_EviT_T0_PT6_S7_lSA_S7_lS8_PT7_S7_li, .Lfunc_end1830-_ZL32rocblas_syrkx_herkx_small_kernelIl19rocblas_complex_numIdELi16ELb0ELb1ELc84ELc85EKPKS1_KPS1_EviT_T0_PT6_S7_lSA_S7_lS8_PT7_S7_li
                                        ; -- End function
	.set _ZL32rocblas_syrkx_herkx_small_kernelIl19rocblas_complex_numIdELi16ELb0ELb1ELc84ELc85EKPKS1_KPS1_EviT_T0_PT6_S7_lSA_S7_lS8_PT7_S7_li.num_vgpr, 54
	.set _ZL32rocblas_syrkx_herkx_small_kernelIl19rocblas_complex_numIdELi16ELb0ELb1ELc84ELc85EKPKS1_KPS1_EviT_T0_PT6_S7_lSA_S7_lS8_PT7_S7_li.num_agpr, 0
	.set _ZL32rocblas_syrkx_herkx_small_kernelIl19rocblas_complex_numIdELi16ELb0ELb1ELc84ELc85EKPKS1_KPS1_EviT_T0_PT6_S7_lSA_S7_lS8_PT7_S7_li.numbered_sgpr, 40
	.set _ZL32rocblas_syrkx_herkx_small_kernelIl19rocblas_complex_numIdELi16ELb0ELb1ELc84ELc85EKPKS1_KPS1_EviT_T0_PT6_S7_lSA_S7_lS8_PT7_S7_li.num_named_barrier, 0
	.set _ZL32rocblas_syrkx_herkx_small_kernelIl19rocblas_complex_numIdELi16ELb0ELb1ELc84ELc85EKPKS1_KPS1_EviT_T0_PT6_S7_lSA_S7_lS8_PT7_S7_li.private_seg_size, 0
	.set _ZL32rocblas_syrkx_herkx_small_kernelIl19rocblas_complex_numIdELi16ELb0ELb1ELc84ELc85EKPKS1_KPS1_EviT_T0_PT6_S7_lSA_S7_lS8_PT7_S7_li.uses_vcc, 1
	.set _ZL32rocblas_syrkx_herkx_small_kernelIl19rocblas_complex_numIdELi16ELb0ELb1ELc84ELc85EKPKS1_KPS1_EviT_T0_PT6_S7_lSA_S7_lS8_PT7_S7_li.uses_flat_scratch, 0
	.set _ZL32rocblas_syrkx_herkx_small_kernelIl19rocblas_complex_numIdELi16ELb0ELb1ELc84ELc85EKPKS1_KPS1_EviT_T0_PT6_S7_lSA_S7_lS8_PT7_S7_li.has_dyn_sized_stack, 0
	.set _ZL32rocblas_syrkx_herkx_small_kernelIl19rocblas_complex_numIdELi16ELb0ELb1ELc84ELc85EKPKS1_KPS1_EviT_T0_PT6_S7_lSA_S7_lS8_PT7_S7_li.has_recursion, 0
	.set _ZL32rocblas_syrkx_herkx_small_kernelIl19rocblas_complex_numIdELi16ELb0ELb1ELc84ELc85EKPKS1_KPS1_EviT_T0_PT6_S7_lSA_S7_lS8_PT7_S7_li.has_indirect_call, 0
	.section	.AMDGPU.csdata,"",@progbits
; Kernel info:
; codeLenInByte = 1924
; TotalNumSgprs: 44
; NumVgprs: 54
; ScratchSize: 0
; MemoryBound: 0
; FloatMode: 240
; IeeeMode: 1
; LDSByteSize: 8192 bytes/workgroup (compile time only)
; SGPRBlocks: 8
; VGPRBlocks: 13
; NumSGPRsForWavesPerEU: 65
; NumVGPRsForWavesPerEU: 54
; Occupancy: 4
; WaveLimiterHint : 1
; COMPUTE_PGM_RSRC2:SCRATCH_EN: 0
; COMPUTE_PGM_RSRC2:USER_SGPR: 6
; COMPUTE_PGM_RSRC2:TRAP_HANDLER: 0
; COMPUTE_PGM_RSRC2:TGID_X_EN: 1
; COMPUTE_PGM_RSRC2:TGID_Y_EN: 1
; COMPUTE_PGM_RSRC2:TGID_Z_EN: 1
; COMPUTE_PGM_RSRC2:TIDIG_COMP_CNT: 1
	.section	.text._ZL32rocblas_syrkx_herkx_small_kernelIl19rocblas_complex_numIdELi16ELb0ELb1ELc67ELc85EKPKS1_KPS1_EviT_T0_PT6_S7_lSA_S7_lS8_PT7_S7_li,"axG",@progbits,_ZL32rocblas_syrkx_herkx_small_kernelIl19rocblas_complex_numIdELi16ELb0ELb1ELc67ELc85EKPKS1_KPS1_EviT_T0_PT6_S7_lSA_S7_lS8_PT7_S7_li,comdat
	.globl	_ZL32rocblas_syrkx_herkx_small_kernelIl19rocblas_complex_numIdELi16ELb0ELb1ELc67ELc85EKPKS1_KPS1_EviT_T0_PT6_S7_lSA_S7_lS8_PT7_S7_li ; -- Begin function _ZL32rocblas_syrkx_herkx_small_kernelIl19rocblas_complex_numIdELi16ELb0ELb1ELc67ELc85EKPKS1_KPS1_EviT_T0_PT6_S7_lSA_S7_lS8_PT7_S7_li
	.p2align	8
	.type	_ZL32rocblas_syrkx_herkx_small_kernelIl19rocblas_complex_numIdELi16ELb0ELb1ELc67ELc85EKPKS1_KPS1_EviT_T0_PT6_S7_lSA_S7_lS8_PT7_S7_li,@function
_ZL32rocblas_syrkx_herkx_small_kernelIl19rocblas_complex_numIdELi16ELb0ELb1ELc67ELc85EKPKS1_KPS1_EviT_T0_PT6_S7_lSA_S7_lS8_PT7_S7_li: ; @_ZL32rocblas_syrkx_herkx_small_kernelIl19rocblas_complex_numIdELi16ELb0ELb1ELc67ELc85EKPKS1_KPS1_EviT_T0_PT6_S7_lSA_S7_lS8_PT7_S7_li
; %bb.0:
	s_load_dword s30, s[4:5], 0x0
	s_load_dwordx8 s[12:19], s[4:5], 0x50
	s_load_dwordx8 s[20:27], s[4:5], 0x8
	s_load_dwordx2 s[10:11], s[4:5], 0x28
	s_mov_b32 s9, 0
	s_lshl_b64 s[28:29], s[8:9], 3
	s_waitcnt lgkmcnt(0)
	s_add_u32 s0, s16, s28
	s_addc_u32 s1, s17, s29
	s_load_dwordx2 s[8:9], s[0:1], 0x0
	v_cmp_lt_i64_e64 s[0:1], s[20:21], 1
	v_lshl_add_u32 v7, s6, 4, v0
	v_lshl_add_u32 v19, s7, 4, v1
	s_and_b64 vcc, exec, s[0:1]
	v_ashrrev_i32_e32 v8, 31, v7
	v_cmp_gt_i32_e64 s[2:3], s30, v19
	v_ashrrev_i32_e32 v20, 31, v19
	s_cbranch_vccnz .LBB1831_9
; %bb.1:
	s_load_dwordx4 s[36:39], s[4:5], 0x38
	v_lshlrev_b32_e32 v5, 8, v1
	v_lshlrev_b32_e32 v21, 4, v0
	v_add_u32_e32 v22, v21, v5
	v_add_u32_e32 v23, 0x1000, v5
	s_waitcnt lgkmcnt(0)
	v_mul_lo_u32 v6, s39, v19
	v_mul_lo_u32 v9, s38, v20
	v_mad_u64_u32 v[3:4], s[16:17], s38, v19, 0
	s_add_u32 s4, s36, s28
	s_addc_u32 s5, s37, s29
	v_add3_u32 v4, v4, v9, v6
	v_lshlrev_b64 v[3:4], 4, v[3:4]
	s_load_dwordx2 s[4:5], s[4:5], 0x0
	v_add_co_u32_e32 v5, vcc, v3, v21
	v_addc_co_u32_e32 v6, vcc, 0, v4, vcc
	v_mul_lo_u32 v11, s11, v7
	v_mul_lo_u32 v12, s10, v8
	v_mad_u64_u32 v[3:4], s[10:11], s10, v7, 0
	s_add_u32 s6, s26, s28
	s_addc_u32 s7, s27, s29
	s_load_dwordx2 s[6:7], s[6:7], 0x0
	v_add3_u32 v4, v4, v12, v11
	s_waitcnt lgkmcnt(0)
	v_mov_b32_e32 v10, s5
	v_add_co_u32_e32 v9, vcc, s4, v5
	v_lshlrev_b64 v[3:4], 4, v[3:4]
	v_addc_co_u32_e32 v10, vcc, v10, v6, vcc
	v_lshlrev_b32_e32 v5, 4, v1
	v_add_co_u32_e32 v3, vcc, v3, v5
	v_addc_co_u32_e32 v4, vcc, 0, v4, vcc
	v_mov_b32_e32 v5, s7
	v_add_co_u32_e32 v11, vcc, s6, v3
	v_mov_b32_e32 v15, 0
	v_mov_b32_e32 v17, 0
	;; [unrolled: 1-line block ×4, first 2 shown]
	v_cmp_gt_i32_e64 s[0:1], s30, v7
	v_add_u32_e32 v24, v23, v21
	v_addc_co_u32_e32 v12, vcc, v5, v4, vcc
	v_mov_b32_e32 v16, 0
	s_mov_b64 s[4:5], 0
	s_xor_b64 s[6:7], s[2:3], -1
	v_mov_b32_e32 v18, 0
	v_mov_b32_e32 v14, s21
	s_branch .LBB1831_3
.LBB1831_2:                             ;   in Loop: Header=BB1831_3 Depth=1
	s_or_b64 exec, exec, s[2:3]
	s_waitcnt lgkmcnt(0)
	s_barrier
	ds_read_b128 v[3:6], v21
	ds_read_b128 v[25:28], v23
	ds_read_b128 v[29:32], v23 offset:16
	ds_read_b128 v[33:36], v21 offset:256
	s_add_u32 s4, s4, 16
	v_add_co_u32_e32 v9, vcc, 0x100, v9
	s_waitcnt lgkmcnt(2)
	v_mul_f64 v[39:40], v[27:28], v[5:6]
	v_mul_f64 v[5:6], v[25:26], v[5:6]
	s_waitcnt lgkmcnt(0)
	v_mul_f64 v[43:44], v[31:32], v[35:36]
	v_mul_f64 v[45:46], v[29:30], v[35:36]
	ds_read_b128 v[35:38], v21 offset:512
	s_addc_u32 s5, s5, 0
	v_addc_co_u32_e32 v10, vcc, 0, v10, vcc
	v_fma_f64 v[47:48], v[25:26], v[3:4], -v[39:40]
	v_fma_f64 v[49:50], v[27:28], v[3:4], v[5:6]
	ds_read_b128 v[3:6], v23 offset:32
	ds_read_b128 v[25:28], v23 offset:48
	;; [unrolled: 1-line block ×3, first 2 shown]
	v_fma_f64 v[29:30], v[29:30], v[33:34], -v[43:44]
	v_fma_f64 v[31:32], v[31:32], v[33:34], v[45:46]
	s_waitcnt lgkmcnt(2)
	v_mul_f64 v[33:34], v[5:6], v[37:38]
	v_mul_f64 v[37:38], v[3:4], v[37:38]
	v_add_co_u32_e32 v11, vcc, 0x100, v11
	v_add_f64 v[43:44], v[17:18], v[47:48]
	v_add_f64 v[45:46], v[15:16], v[49:50]
	s_waitcnt lgkmcnt(0)
	v_mul_f64 v[47:48], v[27:28], v[41:42]
	v_mul_f64 v[41:42], v[25:26], v[41:42]
	v_fma_f64 v[49:50], v[3:4], v[35:36], -v[33:34]
	v_fma_f64 v[37:38], v[5:6], v[35:36], v[37:38]
	ds_read_b128 v[15:18], v21 offset:1024
	v_cmp_ge_i64_e64 s[2:3], s[4:5], v[13:14]
	v_add_f64 v[43:44], v[43:44], v[29:30]
	v_add_f64 v[45:46], v[45:46], v[31:32]
	ds_read_b128 v[3:6], v23 offset:64
	ds_read_b128 v[29:32], v23 offset:80
	;; [unrolled: 1-line block ×3, first 2 shown]
	v_fma_f64 v[47:48], v[25:26], v[39:40], -v[47:48]
	v_fma_f64 v[39:40], v[27:28], v[39:40], v[41:42]
	s_waitcnt lgkmcnt(2)
	v_mul_f64 v[41:42], v[5:6], v[17:18]
	v_mul_f64 v[17:18], v[3:4], v[17:18]
	ds_read_b128 v[25:28], v21 offset:1536
	v_add_f64 v[43:44], v[43:44], v[49:50]
	v_add_f64 v[37:38], v[45:46], v[37:38]
	s_waitcnt lgkmcnt(1)
	v_mul_f64 v[45:46], v[31:32], v[35:36]
	v_mul_f64 v[49:50], v[29:30], v[35:36]
	v_addc_co_u32_e32 v12, vcc, 0, v12, vcc
	v_fma_f64 v[41:42], v[3:4], v[15:16], -v[41:42]
	v_fma_f64 v[51:52], v[5:6], v[15:16], v[17:18]
	v_add_f64 v[43:44], v[43:44], v[47:48]
	v_add_f64 v[39:40], v[37:38], v[39:40]
	ds_read_b128 v[3:6], v23 offset:96
	ds_read_b128 v[15:18], v23 offset:112
	;; [unrolled: 1-line block ×3, first 2 shown]
	v_fma_f64 v[45:46], v[29:30], v[33:34], -v[45:46]
	v_fma_f64 v[31:32], v[31:32], v[33:34], v[49:50]
	s_waitcnt lgkmcnt(2)
	v_mul_f64 v[33:34], v[5:6], v[27:28]
	v_mul_f64 v[47:48], v[3:4], v[27:28]
	s_waitcnt lgkmcnt(0)
	v_mul_f64 v[49:50], v[15:16], v[37:38]
	v_add_f64 v[41:42], v[43:44], v[41:42]
	v_add_f64 v[39:40], v[39:40], v[51:52]
	v_mul_f64 v[43:44], v[17:18], v[37:38]
	ds_read_b128 v[27:30], v21 offset:2048
	s_and_b64 vcc, exec, s[2:3]
	v_fma_f64 v[51:52], v[3:4], v[25:26], -v[33:34]
	v_fma_f64 v[25:26], v[5:6], v[25:26], v[47:48]
	v_add_f64 v[41:42], v[41:42], v[45:46]
	v_add_f64 v[45:46], v[39:40], v[31:32]
	ds_read_b128 v[3:6], v23 offset:128
	ds_read_b128 v[31:34], v23 offset:144
	;; [unrolled: 1-line block ×3, first 2 shown]
	v_fma_f64 v[43:44], v[15:16], v[35:36], -v[43:44]
	v_fma_f64 v[35:36], v[17:18], v[35:36], v[49:50]
	s_waitcnt lgkmcnt(2)
	v_mul_f64 v[47:48], v[5:6], v[29:30]
	v_mul_f64 v[29:30], v[3:4], v[29:30]
	s_waitcnt lgkmcnt(0)
	v_mul_f64 v[49:50], v[31:32], v[39:40]
	v_add_f64 v[41:42], v[41:42], v[51:52]
	v_add_f64 v[25:26], v[45:46], v[25:26]
	v_mul_f64 v[45:46], v[33:34], v[39:40]
	ds_read_b128 v[15:18], v21 offset:2560
	v_fma_f64 v[47:48], v[3:4], v[27:28], -v[47:48]
	v_fma_f64 v[29:30], v[5:6], v[27:28], v[29:30]
	v_fma_f64 v[33:34], v[33:34], v[37:38], v[49:50]
	v_add_f64 v[43:44], v[41:42], v[43:44]
	v_add_f64 v[35:36], v[25:26], v[35:36]
	ds_read_b128 v[3:6], v23 offset:160
	ds_read_b128 v[25:28], v23 offset:176
	;; [unrolled: 1-line block ×3, first 2 shown]
	v_fma_f64 v[45:46], v[31:32], v[37:38], -v[45:46]
	s_waitcnt lgkmcnt(2)
	v_mul_f64 v[37:38], v[5:6], v[17:18]
	v_mul_f64 v[17:18], v[3:4], v[17:18]
	v_add_f64 v[43:44], v[43:44], v[47:48]
	v_add_f64 v[35:36], v[35:36], v[29:30]
	s_waitcnt lgkmcnt(0)
	v_mul_f64 v[47:48], v[27:28], v[41:42]
	v_mul_f64 v[41:42], v[25:26], v[41:42]
	ds_read_b128 v[29:32], v21 offset:3072
	v_fma_f64 v[37:38], v[3:4], v[15:16], -v[37:38]
	v_fma_f64 v[49:50], v[5:6], v[15:16], v[17:18]
	v_add_f64 v[43:44], v[43:44], v[45:46]
	v_add_f64 v[45:46], v[35:36], v[33:34]
	ds_read_b128 v[3:6], v23 offset:192
	ds_read_b128 v[15:18], v23 offset:208
	;; [unrolled: 1-line block ×3, first 2 shown]
	v_fma_f64 v[47:48], v[25:26], v[39:40], -v[47:48]
	v_fma_f64 v[39:40], v[27:28], v[39:40], v[41:42]
	s_waitcnt lgkmcnt(2)
	v_mul_f64 v[41:42], v[5:6], v[31:32]
	v_mul_f64 v[31:32], v[3:4], v[31:32]
	ds_read_b128 v[25:28], v21 offset:3584
	v_add_f64 v[37:38], v[43:44], v[37:38]
	v_add_f64 v[43:44], v[45:46], v[49:50]
	s_waitcnt lgkmcnt(1)
	v_mul_f64 v[45:46], v[17:18], v[35:36]
	v_mul_f64 v[49:50], v[15:16], v[35:36]
	v_fma_f64 v[41:42], v[3:4], v[29:30], -v[41:42]
	v_fma_f64 v[51:52], v[5:6], v[29:30], v[31:32]
	v_add_f64 v[47:48], v[37:38], v[47:48]
	v_add_f64 v[39:40], v[43:44], v[39:40]
	ds_read_b128 v[3:6], v23 offset:224
	ds_read_b128 v[29:32], v23 offset:240
	;; [unrolled: 1-line block ×3, first 2 shown]
	v_fma_f64 v[15:16], v[15:16], v[33:34], -v[45:46]
	v_fma_f64 v[17:18], v[17:18], v[33:34], v[49:50]
	s_waitcnt lgkmcnt(2)
	v_mul_f64 v[33:34], v[5:6], v[27:28]
	v_mul_f64 v[27:28], v[3:4], v[27:28]
	s_waitcnt lgkmcnt(0)
	v_mul_f64 v[43:44], v[31:32], v[37:38]
	v_add_f64 v[41:42], v[47:48], v[41:42]
	v_add_f64 v[39:40], v[39:40], v[51:52]
	v_mul_f64 v[37:38], v[29:30], v[37:38]
	s_barrier
	v_fma_f64 v[3:4], v[3:4], v[25:26], -v[33:34]
	v_fma_f64 v[5:6], v[5:6], v[25:26], v[27:28]
	v_fma_f64 v[25:26], v[29:30], v[35:36], -v[43:44]
	v_add_f64 v[15:16], v[41:42], v[15:16]
	v_add_f64 v[17:18], v[39:40], v[17:18]
	v_fma_f64 v[27:28], v[31:32], v[35:36], v[37:38]
	v_add_f64 v[3:4], v[15:16], v[3:4]
	v_add_f64 v[5:6], v[17:18], v[5:6]
	;; [unrolled: 1-line block ×4, first 2 shown]
	s_cbranch_vccnz .LBB1831_10
.LBB1831_3:                             ; =>This Inner Loop Header: Depth=1
	v_mov_b32_e32 v4, s5
	v_add_co_u32_e32 v3, vcc, s4, v1
	v_addc_co_u32_e32 v4, vcc, 0, v4, vcc
	v_cmp_gt_i64_e32 vcc, s[20:21], v[3:4]
	v_mov_b32_e32 v3, 0
	v_mov_b32_e32 v5, 0
	;; [unrolled: 1-line block ×4, first 2 shown]
	s_and_b64 s[10:11], s[0:1], vcc
	s_and_saveexec_b64 s[2:3], s[10:11]
	s_cbranch_execz .LBB1831_5
; %bb.4:                                ;   in Loop: Header=BB1831_3 Depth=1
	flat_load_dwordx4 v[3:6], v[11:12]
	s_waitcnt vmcnt(0) lgkmcnt(0)
	v_xor_b32_e32 v6, 0x80000000, v6
.LBB1831_5:                             ;   in Loop: Header=BB1831_3 Depth=1
	s_or_b64 exec, exec, s[2:3]
	v_mov_b32_e32 v26, s5
	v_add_co_u32_e32 v25, vcc, s4, v0
	v_addc_co_u32_e32 v26, vcc, 0, v26, vcc
	v_cmp_le_i64_e32 vcc, s[20:21], v[25:26]
	ds_write_b128 v22, v[3:6]
	s_or_b64 s[2:3], s[6:7], vcc
	s_and_saveexec_b64 s[10:11], s[2:3]
	s_xor_b64 s[2:3], exec, s[10:11]
; %bb.6:                                ;   in Loop: Header=BB1831_3 Depth=1
	v_mov_b32_e32 v3, v2
	v_mov_b32_e32 v4, v2
	;; [unrolled: 1-line block ×3, first 2 shown]
	ds_write_b128 v24, v[2:5]
; %bb.7:                                ;   in Loop: Header=BB1831_3 Depth=1
	s_andn2_saveexec_b64 s[2:3], s[2:3]
	s_cbranch_execz .LBB1831_2
; %bb.8:                                ;   in Loop: Header=BB1831_3 Depth=1
	flat_load_dwordx4 v[3:6], v[9:10]
	s_waitcnt vmcnt(0) lgkmcnt(0)
	ds_write2_b64 v24, v[3:4], v[5:6] offset1:1
	s_branch .LBB1831_2
.LBB1831_9:
	v_mov_b32_e32 v15, 0
	v_mov_b32_e32 v17, 0
	;; [unrolled: 1-line block ×4, first 2 shown]
.LBB1831_10:
	v_cmp_le_i32_e32 vcc, v7, v19
	v_cmp_gt_i32_e64 s[0:1], s30, v19
	s_and_b64 s[0:1], vcc, s[0:1]
	s_and_saveexec_b64 s[2:3], s[0:1]
	s_cbranch_execz .LBB1831_12
; %bb.11:
	v_mul_lo_u32 v2, s19, v19
	v_mul_lo_u32 v3, s18, v20
	v_mad_u64_u32 v[0:1], s[0:1], s18, v19, 0
	v_mul_f64 v[12:13], s[24:25], v[15:16]
	v_add3_u32 v1, v1, v3, v2
	v_lshlrev_b64 v[0:1], 4, v[0:1]
	s_waitcnt lgkmcnt(0)
	v_mov_b32_e32 v2, s9
	v_add_co_u32_e32 v3, vcc, s8, v0
	v_addc_co_u32_e32 v2, vcc, v2, v1, vcc
	v_lshlrev_b64 v[0:1], 4, v[7:8]
	v_mul_f64 v[8:9], s[22:23], v[15:16]
	v_add_co_u32_e32 v4, vcc, v3, v0
	v_addc_co_u32_e32 v5, vcc, v2, v1, vcc
	flat_load_dwordx4 v[0:3], v[4:5]
	v_fma_f64 v[12:13], s[22:23], v[17:18], -v[12:13]
	v_cmp_ne_u32_e32 vcc, v7, v19
	v_fma_f64 v[8:9], s[24:25], v[17:18], v[8:9]
	s_waitcnt vmcnt(0) lgkmcnt(0)
	v_mul_f64 v[10:11], s[12:13], v[2:3]
	v_mul_f64 v[2:3], s[14:15], v[2:3]
	v_fma_f64 v[10:11], s[14:15], v[0:1], v[10:11]
	v_fma_f64 v[0:1], s[12:13], v[0:1], -v[2:3]
	v_add_f64 v[2:3], v[8:9], v[10:11]
	v_add_f64 v[0:1], v[12:13], v[0:1]
	v_cndmask_b32_e32 v3, 0, v3, vcc
	v_cndmask_b32_e32 v2, 0, v2, vcc
	flat_store_dwordx4 v[4:5], v[0:3]
.LBB1831_12:
	s_endpgm
	.section	.rodata,"a",@progbits
	.p2align	6, 0x0
	.amdhsa_kernel _ZL32rocblas_syrkx_herkx_small_kernelIl19rocblas_complex_numIdELi16ELb0ELb1ELc67ELc85EKPKS1_KPS1_EviT_T0_PT6_S7_lSA_S7_lS8_PT7_S7_li
		.amdhsa_group_segment_fixed_size 8192
		.amdhsa_private_segment_fixed_size 0
		.amdhsa_kernarg_size 124
		.amdhsa_user_sgpr_count 6
		.amdhsa_user_sgpr_private_segment_buffer 1
		.amdhsa_user_sgpr_dispatch_ptr 0
		.amdhsa_user_sgpr_queue_ptr 0
		.amdhsa_user_sgpr_kernarg_segment_ptr 1
		.amdhsa_user_sgpr_dispatch_id 0
		.amdhsa_user_sgpr_flat_scratch_init 0
		.amdhsa_user_sgpr_private_segment_size 0
		.amdhsa_uses_dynamic_stack 0
		.amdhsa_system_sgpr_private_segment_wavefront_offset 0
		.amdhsa_system_sgpr_workgroup_id_x 1
		.amdhsa_system_sgpr_workgroup_id_y 1
		.amdhsa_system_sgpr_workgroup_id_z 1
		.amdhsa_system_sgpr_workgroup_info 0
		.amdhsa_system_vgpr_workitem_id 1
		.amdhsa_next_free_vgpr 53
		.amdhsa_next_free_sgpr 61
		.amdhsa_reserve_vcc 1
		.amdhsa_reserve_flat_scratch 0
		.amdhsa_float_round_mode_32 0
		.amdhsa_float_round_mode_16_64 0
		.amdhsa_float_denorm_mode_32 3
		.amdhsa_float_denorm_mode_16_64 3
		.amdhsa_dx10_clamp 1
		.amdhsa_ieee_mode 1
		.amdhsa_fp16_overflow 0
		.amdhsa_exception_fp_ieee_invalid_op 0
		.amdhsa_exception_fp_denorm_src 0
		.amdhsa_exception_fp_ieee_div_zero 0
		.amdhsa_exception_fp_ieee_overflow 0
		.amdhsa_exception_fp_ieee_underflow 0
		.amdhsa_exception_fp_ieee_inexact 0
		.amdhsa_exception_int_div_zero 0
	.end_amdhsa_kernel
	.section	.text._ZL32rocblas_syrkx_herkx_small_kernelIl19rocblas_complex_numIdELi16ELb0ELb1ELc67ELc85EKPKS1_KPS1_EviT_T0_PT6_S7_lSA_S7_lS8_PT7_S7_li,"axG",@progbits,_ZL32rocblas_syrkx_herkx_small_kernelIl19rocblas_complex_numIdELi16ELb0ELb1ELc67ELc85EKPKS1_KPS1_EviT_T0_PT6_S7_lSA_S7_lS8_PT7_S7_li,comdat
.Lfunc_end1831:
	.size	_ZL32rocblas_syrkx_herkx_small_kernelIl19rocblas_complex_numIdELi16ELb0ELb1ELc67ELc85EKPKS1_KPS1_EviT_T0_PT6_S7_lSA_S7_lS8_PT7_S7_li, .Lfunc_end1831-_ZL32rocblas_syrkx_herkx_small_kernelIl19rocblas_complex_numIdELi16ELb0ELb1ELc67ELc85EKPKS1_KPS1_EviT_T0_PT6_S7_lSA_S7_lS8_PT7_S7_li
                                        ; -- End function
	.set _ZL32rocblas_syrkx_herkx_small_kernelIl19rocblas_complex_numIdELi16ELb0ELb1ELc67ELc85EKPKS1_KPS1_EviT_T0_PT6_S7_lSA_S7_lS8_PT7_S7_li.num_vgpr, 53
	.set _ZL32rocblas_syrkx_herkx_small_kernelIl19rocblas_complex_numIdELi16ELb0ELb1ELc67ELc85EKPKS1_KPS1_EviT_T0_PT6_S7_lSA_S7_lS8_PT7_S7_li.num_agpr, 0
	.set _ZL32rocblas_syrkx_herkx_small_kernelIl19rocblas_complex_numIdELi16ELb0ELb1ELc67ELc85EKPKS1_KPS1_EviT_T0_PT6_S7_lSA_S7_lS8_PT7_S7_li.numbered_sgpr, 40
	.set _ZL32rocblas_syrkx_herkx_small_kernelIl19rocblas_complex_numIdELi16ELb0ELb1ELc67ELc85EKPKS1_KPS1_EviT_T0_PT6_S7_lSA_S7_lS8_PT7_S7_li.num_named_barrier, 0
	.set _ZL32rocblas_syrkx_herkx_small_kernelIl19rocblas_complex_numIdELi16ELb0ELb1ELc67ELc85EKPKS1_KPS1_EviT_T0_PT6_S7_lSA_S7_lS8_PT7_S7_li.private_seg_size, 0
	.set _ZL32rocblas_syrkx_herkx_small_kernelIl19rocblas_complex_numIdELi16ELb0ELb1ELc67ELc85EKPKS1_KPS1_EviT_T0_PT6_S7_lSA_S7_lS8_PT7_S7_li.uses_vcc, 1
	.set _ZL32rocblas_syrkx_herkx_small_kernelIl19rocblas_complex_numIdELi16ELb0ELb1ELc67ELc85EKPKS1_KPS1_EviT_T0_PT6_S7_lSA_S7_lS8_PT7_S7_li.uses_flat_scratch, 0
	.set _ZL32rocblas_syrkx_herkx_small_kernelIl19rocblas_complex_numIdELi16ELb0ELb1ELc67ELc85EKPKS1_KPS1_EviT_T0_PT6_S7_lSA_S7_lS8_PT7_S7_li.has_dyn_sized_stack, 0
	.set _ZL32rocblas_syrkx_herkx_small_kernelIl19rocblas_complex_numIdELi16ELb0ELb1ELc67ELc85EKPKS1_KPS1_EviT_T0_PT6_S7_lSA_S7_lS8_PT7_S7_li.has_recursion, 0
	.set _ZL32rocblas_syrkx_herkx_small_kernelIl19rocblas_complex_numIdELi16ELb0ELb1ELc67ELc85EKPKS1_KPS1_EviT_T0_PT6_S7_lSA_S7_lS8_PT7_S7_li.has_indirect_call, 0
	.section	.AMDGPU.csdata,"",@progbits
; Kernel info:
; codeLenInByte = 1888
; TotalNumSgprs: 44
; NumVgprs: 53
; ScratchSize: 0
; MemoryBound: 1
; FloatMode: 240
; IeeeMode: 1
; LDSByteSize: 8192 bytes/workgroup (compile time only)
; SGPRBlocks: 8
; VGPRBlocks: 13
; NumSGPRsForWavesPerEU: 65
; NumVGPRsForWavesPerEU: 53
; Occupancy: 4
; WaveLimiterHint : 1
; COMPUTE_PGM_RSRC2:SCRATCH_EN: 0
; COMPUTE_PGM_RSRC2:USER_SGPR: 6
; COMPUTE_PGM_RSRC2:TRAP_HANDLER: 0
; COMPUTE_PGM_RSRC2:TGID_X_EN: 1
; COMPUTE_PGM_RSRC2:TGID_Y_EN: 1
; COMPUTE_PGM_RSRC2:TGID_Z_EN: 1
; COMPUTE_PGM_RSRC2:TIDIG_COMP_CNT: 1
	.section	.text._ZL32rocblas_syrkx_herkx_small_kernelIl19rocblas_complex_numIdELi16ELb0ELb1ELc78ELc85EKPKS1_KPS1_EviT_T0_PT6_S7_lSA_S7_lS8_PT7_S7_li,"axG",@progbits,_ZL32rocblas_syrkx_herkx_small_kernelIl19rocblas_complex_numIdELi16ELb0ELb1ELc78ELc85EKPKS1_KPS1_EviT_T0_PT6_S7_lSA_S7_lS8_PT7_S7_li,comdat
	.globl	_ZL32rocblas_syrkx_herkx_small_kernelIl19rocblas_complex_numIdELi16ELb0ELb1ELc78ELc85EKPKS1_KPS1_EviT_T0_PT6_S7_lSA_S7_lS8_PT7_S7_li ; -- Begin function _ZL32rocblas_syrkx_herkx_small_kernelIl19rocblas_complex_numIdELi16ELb0ELb1ELc78ELc85EKPKS1_KPS1_EviT_T0_PT6_S7_lSA_S7_lS8_PT7_S7_li
	.p2align	8
	.type	_ZL32rocblas_syrkx_herkx_small_kernelIl19rocblas_complex_numIdELi16ELb0ELb1ELc78ELc85EKPKS1_KPS1_EviT_T0_PT6_S7_lSA_S7_lS8_PT7_S7_li,@function
_ZL32rocblas_syrkx_herkx_small_kernelIl19rocblas_complex_numIdELi16ELb0ELb1ELc78ELc85EKPKS1_KPS1_EviT_T0_PT6_S7_lSA_S7_lS8_PT7_S7_li: ; @_ZL32rocblas_syrkx_herkx_small_kernelIl19rocblas_complex_numIdELi16ELb0ELb1ELc78ELc85EKPKS1_KPS1_EviT_T0_PT6_S7_lSA_S7_lS8_PT7_S7_li
; %bb.0:
	s_load_dword s30, s[4:5], 0x0
	s_load_dwordx8 s[12:19], s[4:5], 0x50
	s_load_dwordx8 s[20:27], s[4:5], 0x8
	s_load_dwordx2 s[28:29], s[4:5], 0x28
	s_mov_b32 s9, 0
	s_lshl_b64 s[2:3], s[8:9], 3
	s_waitcnt lgkmcnt(0)
	s_add_u32 s0, s16, s2
	s_addc_u32 s1, s17, s3
	s_load_dwordx2 s[16:17], s[0:1], 0x0
	v_cmp_lt_i64_e64 s[0:1], s[20:21], 1
	v_lshl_add_u32 v7, s6, 4, v0
	v_lshl_add_u32 v9, s7, 4, v1
	s_and_b64 vcc, exec, s[0:1]
	v_ashrrev_i32_e32 v8, 31, v7
	v_cmp_gt_i32_e64 s[0:1], s30, v9
	v_ashrrev_i32_e32 v10, 31, v9
	s_cbranch_vccnz .LBB1832_9
; %bb.1:
	s_load_dwordx4 s[8:11], s[4:5], 0x38
	v_lshlrev_b32_e32 v6, 8, v1
	v_lshlrev_b32_e32 v21, 4, v0
	v_add_u32_e32 v22, v21, v6
	v_add_u32_e32 v23, 0x1000, v6
	s_waitcnt lgkmcnt(0)
	s_add_u32 s4, s8, s2
	v_mad_u64_u32 v[3:4], s[6:7], s10, v0, 0
	s_addc_u32 s5, s9, s3
	s_add_u32 s2, s26, s2
	s_addc_u32 s3, s27, s3
	s_load_dwordx2 s[6:7], s[2:3], 0x0
	v_mad_u64_u32 v[4:5], s[2:3], s11, v0, v[4:5]
	v_mad_u64_u32 v[13:14], s[2:3], s28, v1, 0
	v_lshlrev_b64 v[3:4], 4, v[3:4]
	v_lshlrev_b64 v[5:6], 4, v[9:10]
	s_load_dwordx2 s[4:5], s[4:5], 0x0
	v_add_co_u32_e64 v5, s[2:3], v3, v5
	v_mov_b32_e32 v3, v14
	v_addc_co_u32_e64 v6, s[2:3], v4, v6, s[2:3]
	v_mad_u64_u32 v[3:4], s[2:3], s29, v1, v[3:4]
	s_waitcnt lgkmcnt(0)
	v_mov_b32_e32 v12, s5
	v_add_co_u32_e64 v11, s[2:3], s4, v5
	v_mov_b32_e32 v14, v3
	v_addc_co_u32_e64 v12, s[2:3], v12, v6, s[2:3]
	v_lshlrev_b64 v[3:4], 4, v[13:14]
	v_lshlrev_b64 v[5:6], 4, v[7:8]
	v_cmp_gt_i32_e32 vcc, s30, v7
	v_add_co_u32_e64 v3, s[2:3], v3, v5
	v_addc_co_u32_e64 v4, s[2:3], v4, v6, s[2:3]
	s_lshl_b64 s[4:5], s[10:11], 8
	v_mov_b32_e32 v5, s7
	v_add_co_u32_e64 v13, s[2:3], s6, v3
	s_lshl_b64 s[6:7], s[28:29], 8
	v_mov_b32_e32 v17, 0
	v_mov_b32_e32 v19, 0
	;; [unrolled: 1-line block ×4, first 2 shown]
	v_add_u32_e32 v24, v23, v21
	v_addc_co_u32_e64 v14, s[2:3], v5, v4, s[2:3]
	v_mov_b32_e32 v18, 0
	s_mov_b64 s[8:9], 0
	s_xor_b64 s[10:11], vcc, -1
	v_mov_b32_e32 v25, s5
	v_mov_b32_e32 v26, s7
	;; [unrolled: 1-line block ×4, first 2 shown]
	s_branch .LBB1832_3
.LBB1832_2:                             ;   in Loop: Header=BB1832_3 Depth=1
	s_or_b64 exec, exec, s[2:3]
	ds_write_b128 v24, v[3:6]
	s_waitcnt lgkmcnt(0)
	s_barrier
	ds_read_b128 v[3:6], v21
	ds_read_b128 v[27:30], v23
	ds_read_b128 v[31:34], v23 offset:16
	ds_read_b128 v[35:38], v21 offset:256
	s_add_u32 s8, s8, 16
	v_add_co_u32_e32 v11, vcc, s4, v11
	s_waitcnt lgkmcnt(2)
	v_mul_f64 v[39:40], v[29:30], v[5:6]
	v_mul_f64 v[5:6], v[27:28], v[5:6]
	s_waitcnt lgkmcnt(0)
	v_mul_f64 v[41:42], v[33:34], v[37:38]
	v_mul_f64 v[43:44], v[31:32], v[37:38]
	v_addc_co_u32_e32 v12, vcc, v12, v25, vcc
	s_addc_u32 s9, s9, 0
	v_cmp_ge_i64_e32 vcc, s[8:9], v[15:16]
	v_fma_f64 v[45:46], v[27:28], v[3:4], -v[39:40]
	v_fma_f64 v[47:48], v[29:30], v[3:4], v[5:6]
	ds_read_b128 v[3:6], v21 offset:512
	ds_read_b128 v[27:30], v23 offset:32
	;; [unrolled: 1-line block ×3, first 2 shown]
	v_fma_f64 v[41:42], v[31:32], v[35:36], -v[41:42]
	v_fma_f64 v[35:36], v[33:34], v[35:36], v[43:44]
	ds_read_b128 v[31:34], v21 offset:768
	s_waitcnt lgkmcnt(2)
	v_mul_f64 v[43:44], v[29:30], v[5:6]
	v_mul_f64 v[5:6], v[27:28], v[5:6]
	v_add_f64 v[19:20], v[19:20], v[45:46]
	v_add_f64 v[17:18], v[17:18], v[47:48]
	s_waitcnt lgkmcnt(0)
	v_mul_f64 v[45:46], v[39:40], v[33:34]
	v_mul_f64 v[33:34], v[37:38], v[33:34]
	v_add_co_u32_e64 v13, s[2:3], s6, v13
	v_fma_f64 v[43:44], v[27:28], v[3:4], -v[43:44]
	v_fma_f64 v[47:48], v[29:30], v[3:4], v[5:6]
	v_add_f64 v[41:42], v[19:20], v[41:42]
	v_add_f64 v[35:36], v[17:18], v[35:36]
	ds_read_b128 v[3:6], v23 offset:64
	ds_read_b128 v[17:20], v21 offset:1024
	v_fma_f64 v[37:38], v[37:38], v[31:32], -v[45:46]
	v_fma_f64 v[39:40], v[39:40], v[31:32], v[33:34]
	ds_read_b128 v[27:30], v23 offset:80
	ds_read_b128 v[31:34], v21 offset:1280
	v_addc_co_u32_e64 v14, s[2:3], v14, v26, s[2:3]
	s_waitcnt lgkmcnt(2)
	v_mul_f64 v[45:46], v[5:6], v[19:20]
	v_mul_f64 v[19:20], v[3:4], v[19:20]
	v_add_f64 v[41:42], v[41:42], v[43:44]
	v_add_f64 v[35:36], v[35:36], v[47:48]
	s_waitcnt lgkmcnt(0)
	v_mul_f64 v[43:44], v[29:30], v[33:34]
	v_mul_f64 v[33:34], v[27:28], v[33:34]
	s_and_b64 vcc, exec, vcc
	v_fma_f64 v[45:46], v[3:4], v[17:18], -v[45:46]
	v_fma_f64 v[47:48], v[5:6], v[17:18], v[19:20]
	v_add_f64 v[37:38], v[41:42], v[37:38]
	v_add_f64 v[35:36], v[35:36], v[39:40]
	ds_read_b128 v[3:6], v23 offset:96
	ds_read_b128 v[17:20], v21 offset:1536
	v_fma_f64 v[39:40], v[27:28], v[31:32], -v[43:44]
	v_fma_f64 v[41:42], v[29:30], v[31:32], v[33:34]
	ds_read_b128 v[27:30], v23 offset:112
	ds_read_b128 v[31:34], v21 offset:1792
	s_waitcnt lgkmcnt(2)
	v_mul_f64 v[43:44], v[5:6], v[19:20]
	v_mul_f64 v[19:20], v[3:4], v[19:20]
	v_add_f64 v[37:38], v[37:38], v[45:46]
	v_add_f64 v[35:36], v[35:36], v[47:48]
	s_waitcnt lgkmcnt(0)
	v_mul_f64 v[45:46], v[29:30], v[33:34]
	v_mul_f64 v[33:34], v[27:28], v[33:34]
	v_fma_f64 v[43:44], v[3:4], v[17:18], -v[43:44]
	v_fma_f64 v[47:48], v[5:6], v[17:18], v[19:20]
	v_add_f64 v[37:38], v[37:38], v[39:40]
	v_add_f64 v[35:36], v[35:36], v[41:42]
	ds_read_b128 v[3:6], v23 offset:128
	ds_read_b128 v[17:20], v21 offset:2048
	v_fma_f64 v[39:40], v[27:28], v[31:32], -v[45:46]
	v_fma_f64 v[41:42], v[29:30], v[31:32], v[33:34]
	ds_read_b128 v[27:30], v23 offset:144
	ds_read_b128 v[31:34], v21 offset:2304
	s_waitcnt lgkmcnt(2)
	v_mul_f64 v[45:46], v[5:6], v[19:20]
	v_mul_f64 v[19:20], v[3:4], v[19:20]
	v_add_f64 v[37:38], v[37:38], v[43:44]
	v_add_f64 v[35:36], v[35:36], v[47:48]
	s_waitcnt lgkmcnt(0)
	v_mul_f64 v[43:44], v[29:30], v[33:34]
	v_mul_f64 v[33:34], v[27:28], v[33:34]
	;; [unrolled: 18-line block ×4, first 2 shown]
	v_fma_f64 v[45:46], v[3:4], v[17:18], -v[45:46]
	v_fma_f64 v[47:48], v[5:6], v[17:18], v[19:20]
	v_add_f64 v[37:38], v[37:38], v[39:40]
	v_add_f64 v[35:36], v[35:36], v[41:42]
	ds_read_b128 v[3:6], v23 offset:224
	ds_read_b128 v[17:20], v21 offset:3584
	v_fma_f64 v[39:40], v[27:28], v[31:32], -v[43:44]
	v_fma_f64 v[41:42], v[29:30], v[31:32], v[33:34]
	ds_read_b128 v[27:30], v23 offset:240
	ds_read_b128 v[31:34], v21 offset:3840
	s_waitcnt lgkmcnt(0)
	v_mul_f64 v[43:44], v[5:6], v[19:20]
	v_mul_f64 v[19:20], v[3:4], v[19:20]
	v_add_f64 v[37:38], v[37:38], v[45:46]
	v_add_f64 v[35:36], v[35:36], v[47:48]
	v_mul_f64 v[45:46], v[29:30], v[33:34]
	v_mul_f64 v[33:34], v[27:28], v[33:34]
	s_barrier
	v_fma_f64 v[3:4], v[3:4], v[17:18], -v[43:44]
	v_fma_f64 v[5:6], v[5:6], v[17:18], v[19:20]
	v_add_f64 v[17:18], v[37:38], v[39:40]
	v_add_f64 v[19:20], v[35:36], v[41:42]
	v_fma_f64 v[27:28], v[27:28], v[31:32], -v[45:46]
	v_fma_f64 v[29:30], v[29:30], v[31:32], v[33:34]
	v_add_f64 v[3:4], v[17:18], v[3:4]
	v_add_f64 v[5:6], v[19:20], v[5:6]
	;; [unrolled: 1-line block ×4, first 2 shown]
	s_cbranch_vccnz .LBB1832_10
.LBB1832_3:                             ; =>This Inner Loop Header: Depth=1
	v_mov_b32_e32 v4, s9
	v_add_co_u32_e32 v3, vcc, s8, v1
	v_addc_co_u32_e32 v4, vcc, 0, v4, vcc
	v_cmp_le_i64_e32 vcc, s[20:21], v[3:4]
	s_or_b64 s[2:3], s[10:11], vcc
	s_and_saveexec_b64 s[26:27], s[2:3]
	s_xor_b64 s[2:3], exec, s[26:27]
; %bb.4:                                ;   in Loop: Header=BB1832_3 Depth=1
	v_mov_b32_e32 v3, v2
	v_mov_b32_e32 v4, v2
	;; [unrolled: 1-line block ×3, first 2 shown]
	ds_write_b128 v22, v[2:5]
; %bb.5:                                ;   in Loop: Header=BB1832_3 Depth=1
	s_andn2_saveexec_b64 s[2:3], s[2:3]
	s_cbranch_execz .LBB1832_7
; %bb.6:                                ;   in Loop: Header=BB1832_3 Depth=1
	flat_load_dwordx4 v[3:6], v[13:14]
	s_waitcnt vmcnt(0) lgkmcnt(0)
	ds_write2_b64 v22, v[3:4], v[5:6] offset1:1
.LBB1832_7:                             ;   in Loop: Header=BB1832_3 Depth=1
	s_or_b64 exec, exec, s[2:3]
	v_mov_b32_e32 v4, s9
	v_add_co_u32_e32 v3, vcc, s8, v0
	v_addc_co_u32_e32 v4, vcc, 0, v4, vcc
	v_cmp_gt_i64_e32 vcc, s[20:21], v[3:4]
	v_mov_b32_e32 v3, 0
	v_mov_b32_e32 v5, 0
	v_mov_b32_e32 v4, 0
	v_mov_b32_e32 v6, 0
	s_and_b64 s[26:27], s[0:1], vcc
	s_and_saveexec_b64 s[2:3], s[26:27]
	s_cbranch_execz .LBB1832_2
; %bb.8:                                ;   in Loop: Header=BB1832_3 Depth=1
	flat_load_dwordx4 v[3:6], v[11:12]
	s_waitcnt vmcnt(0) lgkmcnt(0)
	v_xor_b32_e32 v6, 0x80000000, v6
	s_branch .LBB1832_2
.LBB1832_9:
	v_mov_b32_e32 v17, 0
	v_mov_b32_e32 v19, 0
	;; [unrolled: 1-line block ×4, first 2 shown]
.LBB1832_10:
	v_cmp_le_i32_e32 vcc, v7, v9
	v_cmp_gt_i32_e64 s[0:1], s30, v9
	s_and_b64 s[0:1], vcc, s[0:1]
	s_and_saveexec_b64 s[2:3], s[0:1]
	s_cbranch_execz .LBB1832_12
; %bb.11:
	v_mul_lo_u32 v2, s19, v9
	v_mul_lo_u32 v3, s18, v10
	v_mad_u64_u32 v[0:1], s[0:1], s18, v9, 0
	v_mul_f64 v[10:11], s[22:23], v[17:18]
	v_mul_f64 v[14:15], s[24:25], v[17:18]
	v_add3_u32 v1, v1, v3, v2
	v_lshlrev_b64 v[0:1], 4, v[0:1]
	s_waitcnt lgkmcnt(0)
	v_mov_b32_e32 v2, s17
	v_add_co_u32_e32 v3, vcc, s16, v0
	v_addc_co_u32_e32 v2, vcc, v2, v1, vcc
	v_lshlrev_b64 v[0:1], 4, v[7:8]
	v_fma_f64 v[10:11], s[24:25], v[19:20], v[10:11]
	v_add_co_u32_e32 v4, vcc, v3, v0
	v_addc_co_u32_e32 v5, vcc, v2, v1, vcc
	flat_load_dwordx4 v[0:3], v[4:5]
	v_fma_f64 v[14:15], s[22:23], v[19:20], -v[14:15]
	v_cmp_ne_u32_e32 vcc, v7, v9
	s_waitcnt vmcnt(0) lgkmcnt(0)
	v_mul_f64 v[12:13], s[12:13], v[2:3]
	v_mul_f64 v[2:3], s[14:15], v[2:3]
	v_fma_f64 v[12:13], s[14:15], v[0:1], v[12:13]
	v_fma_f64 v[0:1], s[12:13], v[0:1], -v[2:3]
	v_add_f64 v[2:3], v[10:11], v[12:13]
	v_add_f64 v[0:1], v[14:15], v[0:1]
	v_cndmask_b32_e32 v3, 0, v3, vcc
	v_cndmask_b32_e32 v2, 0, v2, vcc
	flat_store_dwordx4 v[4:5], v[0:3]
.LBB1832_12:
	s_endpgm
	.section	.rodata,"a",@progbits
	.p2align	6, 0x0
	.amdhsa_kernel _ZL32rocblas_syrkx_herkx_small_kernelIl19rocblas_complex_numIdELi16ELb0ELb1ELc78ELc85EKPKS1_KPS1_EviT_T0_PT6_S7_lSA_S7_lS8_PT7_S7_li
		.amdhsa_group_segment_fixed_size 8192
		.amdhsa_private_segment_fixed_size 0
		.amdhsa_kernarg_size 124
		.amdhsa_user_sgpr_count 6
		.amdhsa_user_sgpr_private_segment_buffer 1
		.amdhsa_user_sgpr_dispatch_ptr 0
		.amdhsa_user_sgpr_queue_ptr 0
		.amdhsa_user_sgpr_kernarg_segment_ptr 1
		.amdhsa_user_sgpr_dispatch_id 0
		.amdhsa_user_sgpr_flat_scratch_init 0
		.amdhsa_user_sgpr_private_segment_size 0
		.amdhsa_uses_dynamic_stack 0
		.amdhsa_system_sgpr_private_segment_wavefront_offset 0
		.amdhsa_system_sgpr_workgroup_id_x 1
		.amdhsa_system_sgpr_workgroup_id_y 1
		.amdhsa_system_sgpr_workgroup_id_z 1
		.amdhsa_system_sgpr_workgroup_info 0
		.amdhsa_system_vgpr_workitem_id 1
		.amdhsa_next_free_vgpr 49
		.amdhsa_next_free_sgpr 61
		.amdhsa_reserve_vcc 1
		.amdhsa_reserve_flat_scratch 0
		.amdhsa_float_round_mode_32 0
		.amdhsa_float_round_mode_16_64 0
		.amdhsa_float_denorm_mode_32 3
		.amdhsa_float_denorm_mode_16_64 3
		.amdhsa_dx10_clamp 1
		.amdhsa_ieee_mode 1
		.amdhsa_fp16_overflow 0
		.amdhsa_exception_fp_ieee_invalid_op 0
		.amdhsa_exception_fp_denorm_src 0
		.amdhsa_exception_fp_ieee_div_zero 0
		.amdhsa_exception_fp_ieee_overflow 0
		.amdhsa_exception_fp_ieee_underflow 0
		.amdhsa_exception_fp_ieee_inexact 0
		.amdhsa_exception_int_div_zero 0
	.end_amdhsa_kernel
	.section	.text._ZL32rocblas_syrkx_herkx_small_kernelIl19rocblas_complex_numIdELi16ELb0ELb1ELc78ELc85EKPKS1_KPS1_EviT_T0_PT6_S7_lSA_S7_lS8_PT7_S7_li,"axG",@progbits,_ZL32rocblas_syrkx_herkx_small_kernelIl19rocblas_complex_numIdELi16ELb0ELb1ELc78ELc85EKPKS1_KPS1_EviT_T0_PT6_S7_lSA_S7_lS8_PT7_S7_li,comdat
.Lfunc_end1832:
	.size	_ZL32rocblas_syrkx_herkx_small_kernelIl19rocblas_complex_numIdELi16ELb0ELb1ELc78ELc85EKPKS1_KPS1_EviT_T0_PT6_S7_lSA_S7_lS8_PT7_S7_li, .Lfunc_end1832-_ZL32rocblas_syrkx_herkx_small_kernelIl19rocblas_complex_numIdELi16ELb0ELb1ELc78ELc85EKPKS1_KPS1_EviT_T0_PT6_S7_lSA_S7_lS8_PT7_S7_li
                                        ; -- End function
	.set _ZL32rocblas_syrkx_herkx_small_kernelIl19rocblas_complex_numIdELi16ELb0ELb1ELc78ELc85EKPKS1_KPS1_EviT_T0_PT6_S7_lSA_S7_lS8_PT7_S7_li.num_vgpr, 49
	.set _ZL32rocblas_syrkx_herkx_small_kernelIl19rocblas_complex_numIdELi16ELb0ELb1ELc78ELc85EKPKS1_KPS1_EviT_T0_PT6_S7_lSA_S7_lS8_PT7_S7_li.num_agpr, 0
	.set _ZL32rocblas_syrkx_herkx_small_kernelIl19rocblas_complex_numIdELi16ELb0ELb1ELc78ELc85EKPKS1_KPS1_EviT_T0_PT6_S7_lSA_S7_lS8_PT7_S7_li.numbered_sgpr, 31
	.set _ZL32rocblas_syrkx_herkx_small_kernelIl19rocblas_complex_numIdELi16ELb0ELb1ELc78ELc85EKPKS1_KPS1_EviT_T0_PT6_S7_lSA_S7_lS8_PT7_S7_li.num_named_barrier, 0
	.set _ZL32rocblas_syrkx_herkx_small_kernelIl19rocblas_complex_numIdELi16ELb0ELb1ELc78ELc85EKPKS1_KPS1_EviT_T0_PT6_S7_lSA_S7_lS8_PT7_S7_li.private_seg_size, 0
	.set _ZL32rocblas_syrkx_herkx_small_kernelIl19rocblas_complex_numIdELi16ELb0ELb1ELc78ELc85EKPKS1_KPS1_EviT_T0_PT6_S7_lSA_S7_lS8_PT7_S7_li.uses_vcc, 1
	.set _ZL32rocblas_syrkx_herkx_small_kernelIl19rocblas_complex_numIdELi16ELb0ELb1ELc78ELc85EKPKS1_KPS1_EviT_T0_PT6_S7_lSA_S7_lS8_PT7_S7_li.uses_flat_scratch, 0
	.set _ZL32rocblas_syrkx_herkx_small_kernelIl19rocblas_complex_numIdELi16ELb0ELb1ELc78ELc85EKPKS1_KPS1_EviT_T0_PT6_S7_lSA_S7_lS8_PT7_S7_li.has_dyn_sized_stack, 0
	.set _ZL32rocblas_syrkx_herkx_small_kernelIl19rocblas_complex_numIdELi16ELb0ELb1ELc78ELc85EKPKS1_KPS1_EviT_T0_PT6_S7_lSA_S7_lS8_PT7_S7_li.has_recursion, 0
	.set _ZL32rocblas_syrkx_herkx_small_kernelIl19rocblas_complex_numIdELi16ELb0ELb1ELc78ELc85EKPKS1_KPS1_EviT_T0_PT6_S7_lSA_S7_lS8_PT7_S7_li.has_indirect_call, 0
	.section	.AMDGPU.csdata,"",@progbits
; Kernel info:
; codeLenInByte = 1912
; TotalNumSgprs: 35
; NumVgprs: 49
; ScratchSize: 0
; MemoryBound: 1
; FloatMode: 240
; IeeeMode: 1
; LDSByteSize: 8192 bytes/workgroup (compile time only)
; SGPRBlocks: 8
; VGPRBlocks: 12
; NumSGPRsForWavesPerEU: 65
; NumVGPRsForWavesPerEU: 49
; Occupancy: 4
; WaveLimiterHint : 1
; COMPUTE_PGM_RSRC2:SCRATCH_EN: 0
; COMPUTE_PGM_RSRC2:USER_SGPR: 6
; COMPUTE_PGM_RSRC2:TRAP_HANDLER: 0
; COMPUTE_PGM_RSRC2:TGID_X_EN: 1
; COMPUTE_PGM_RSRC2:TGID_Y_EN: 1
; COMPUTE_PGM_RSRC2:TGID_Z_EN: 1
; COMPUTE_PGM_RSRC2:TIDIG_COMP_CNT: 1
	.section	.text._ZL34rocblas_syrkx_herkx_general_kernelIl19rocblas_complex_numIdELi16ELi32ELi8ELb1ELb1ELc84ELc76EKPKS1_KPS1_EviT_T0_PT8_S7_lSA_S7_lS8_PT9_S7_li,"axG",@progbits,_ZL34rocblas_syrkx_herkx_general_kernelIl19rocblas_complex_numIdELi16ELi32ELi8ELb1ELb1ELc84ELc76EKPKS1_KPS1_EviT_T0_PT8_S7_lSA_S7_lS8_PT9_S7_li,comdat
	.globl	_ZL34rocblas_syrkx_herkx_general_kernelIl19rocblas_complex_numIdELi16ELi32ELi8ELb1ELb1ELc84ELc76EKPKS1_KPS1_EviT_T0_PT8_S7_lSA_S7_lS8_PT9_S7_li ; -- Begin function _ZL34rocblas_syrkx_herkx_general_kernelIl19rocblas_complex_numIdELi16ELi32ELi8ELb1ELb1ELc84ELc76EKPKS1_KPS1_EviT_T0_PT8_S7_lSA_S7_lS8_PT9_S7_li
	.p2align	8
	.type	_ZL34rocblas_syrkx_herkx_general_kernelIl19rocblas_complex_numIdELi16ELi32ELi8ELb1ELb1ELc84ELc76EKPKS1_KPS1_EviT_T0_PT8_S7_lSA_S7_lS8_PT9_S7_li,@function
_ZL34rocblas_syrkx_herkx_general_kernelIl19rocblas_complex_numIdELi16ELi32ELi8ELb1ELb1ELc84ELc76EKPKS1_KPS1_EviT_T0_PT8_S7_lSA_S7_lS8_PT9_S7_li: ; @_ZL34rocblas_syrkx_herkx_general_kernelIl19rocblas_complex_numIdELi16ELi32ELi8ELb1ELb1ELc84ELc76EKPKS1_KPS1_EviT_T0_PT8_S7_lSA_S7_lS8_PT9_S7_li
; %bb.0:
	s_load_dwordx2 s[2:3], s[4:5], 0x28
	s_load_dwordx4 s[20:23], s[4:5], 0x60
	s_load_dword s24, s[4:5], 0x0
	s_load_dwordx8 s[12:19], s[4:5], 0x8
	s_mov_b32 s9, 0
	s_lshl_b64 s[0:1], s[8:9], 3
	s_waitcnt lgkmcnt(0)
	s_add_u32 s8, s20, s0
	s_addc_u32 s9, s21, s1
	s_load_dwordx2 s[20:21], s[8:9], 0x0
	v_cmp_lt_i64_e64 s[8:9], s[12:13], 1
	s_lshl_b32 s25, s6, 5
	s_lshl_b32 s26, s7, 5
	s_and_b64 vcc, exec, s[8:9]
	s_cbranch_vccnz .LBB1833_11
; %bb.1:
	v_lshl_add_u32 v2, v1, 4, v0
	v_and_b32_e32 v5, 31, v2
	v_and_b32_e32 v29, 7, v0
	v_lshrrev_b32_e32 v3, 3, v2
	v_lshrrev_b32_e32 v28, 5, v2
	v_lshlrev_b32_e32 v2, 4, v5
	v_lshlrev_b32_e32 v8, 4, v29
	v_lshl_or_b32 v30, v28, 9, v2
	v_lshl_or_b32 v2, v3, 7, v8
	v_add_u32_e32 v31, 0x1000, v2
	v_add_u32_e32 v2, s25, v5
	s_load_dwordx4 s[8:11], s[4:5], 0x38
	v_add_u32_e32 v4, s26, v3
	v_ashrrev_i32_e32 v3, 31, v2
	v_or_b32_e32 v6, s25, v5
	v_mul_lo_u32 v5, s2, v3
	v_mul_lo_u32 v7, s3, v2
	v_mad_u64_u32 v[2:3], s[2:3], s2, v2, 0
	s_waitcnt lgkmcnt(0)
	s_add_u32 s4, s8, s0
	s_addc_u32 s5, s9, s1
	v_add3_u32 v3, v3, v5, v7
	v_lshlrev_b64 v[2:3], 4, v[2:3]
	s_add_u32 s0, s18, s0
	v_lshlrev_b32_e32 v5, 4, v28
	s_addc_u32 s1, s19, s1
	v_cmp_gt_i32_e32 vcc, s24, v6
	v_ashrrev_i32_e32 v6, 31, v4
	v_add_co_u32_e64 v5, s[2:3], v2, v5
	s_load_dwordx2 s[6:7], s[0:1], 0x0
	v_addc_co_u32_e64 v7, s[2:3], 0, v3, s[2:3]
	v_mul_lo_u32 v10, s10, v6
	v_mul_lo_u32 v11, s11, v4
	v_mad_u64_u32 v[2:3], s[2:3], s10, v4, 0
	s_load_dwordx2 s[4:5], s[4:5], 0x0
	v_mov_b32_e32 v9, 0x1000
	v_add3_u32 v3, v3, v10, v11
	v_lshl_add_u32 v33, v1, 7, v9
	s_waitcnt lgkmcnt(0)
	v_mov_b32_e32 v9, s7
	v_add_co_u32_e64 v6, s[2:3], s6, v5
	v_lshlrev_b64 v[2:3], 4, v[2:3]
	v_addc_co_u32_e64 v7, s[2:3], v9, v7, s[2:3]
	v_add_co_u32_e64 v2, s[2:3], v2, v8
	v_addc_co_u32_e64 v3, s[2:3], 0, v3, s[2:3]
	v_cmp_gt_i32_e64 s[0:1], s24, v4
	v_mov_b32_e32 v4, s5
	v_add_co_u32_e64 v8, s[2:3], s4, v2
	v_addc_co_u32_e64 v9, s[2:3], v4, v3, s[2:3]
	v_mov_b32_e32 v26, 0
	v_mov_b32_e32 v10, s12
	;; [unrolled: 1-line block ×9, first 2 shown]
	v_lshlrev_b32_e32 v32, 4, v0
	s_mov_b64 s[2:3], 0
	v_mov_b32_e32 v27, 0
	s_xor_b64 s[4:5], vcc, -1
	s_xor_b64 s[0:1], s[0:1], -1
	v_mov_b32_e32 v11, s13
	v_mov_b32_e32 v25, 0
	;; [unrolled: 1-line block ×9, first 2 shown]
	s_branch .LBB1833_3
.LBB1833_2:                             ;   in Loop: Header=BB1833_3 Depth=1
	s_or_b64 exec, exec, s[6:7]
	s_waitcnt lgkmcnt(0)
	s_barrier
	ds_read_b128 v[34:37], v33
	ds_read_b128 v[38:41], v33 offset:16
	ds_read_b128 v[42:45], v33 offset:32
	;; [unrolled: 1-line block ×3, first 2 shown]
	ds_read_b128 v[50:53], v32
	v_add_co_u32_e32 v6, vcc, 0x80, v6
	v_addc_co_u32_e32 v7, vcc, 0, v7, vcc
	s_waitcnt lgkmcnt(0)
	v_mul_f64 v[3:4], v[36:37], v[52:53]
	v_mul_f64 v[54:55], v[34:35], v[52:53]
	s_add_u32 s2, s2, 8
	v_add_co_u32_e32 v8, vcc, 0x80, v8
	s_addc_u32 s3, s3, 0
	v_addc_co_u32_e32 v9, vcc, 0, v9, vcc
	v_fma_f64 v[3:4], v[34:35], v[50:51], -v[3:4]
	v_fma_f64 v[54:55], v[36:37], v[50:51], v[54:55]
	v_cmp_ge_i64_e32 vcc, s[2:3], v[10:11]
	s_and_b64 vcc, exec, vcc
	v_add_f64 v[3:4], v[20:21], v[3:4]
	v_add_f64 v[54:55], v[54:55], v[22:23]
	ds_read_b128 v[20:23], v32 offset:256
	s_waitcnt lgkmcnt(0)
	v_mul_f64 v[56:57], v[36:37], v[22:23]
	v_fma_f64 v[56:57], v[34:35], v[20:21], -v[56:57]
	v_mul_f64 v[34:35], v[34:35], v[22:23]
	v_fma_f64 v[34:35], v[36:37], v[20:21], v[34:35]
	v_add_f64 v[36:37], v[12:13], v[56:57]
	v_add_f64 v[34:35], v[34:35], v[14:15]
	ds_read_b128 v[12:15], v33 offset:2048
	s_waitcnt lgkmcnt(0)
	v_mul_f64 v[56:57], v[14:15], v[52:53]
	v_mul_f64 v[52:53], v[12:13], v[52:53]
	v_fma_f64 v[56:57], v[12:13], v[50:51], -v[56:57]
	v_fma_f64 v[50:51], v[14:15], v[50:51], v[52:53]
	v_add_f64 v[52:53], v[16:17], v[56:57]
	v_mul_f64 v[16:17], v[14:15], v[22:23]
	v_add_f64 v[50:51], v[50:51], v[18:19]
	v_fma_f64 v[16:17], v[12:13], v[20:21], -v[16:17]
	v_mul_f64 v[12:13], v[12:13], v[22:23]
	v_add_f64 v[24:25], v[24:25], v[16:17]
	v_fma_f64 v[12:13], v[14:15], v[20:21], v[12:13]
	v_add_f64 v[26:27], v[12:13], v[26:27]
	ds_read_b128 v[12:15], v32 offset:512
	s_waitcnt lgkmcnt(0)
	v_mul_f64 v[16:17], v[40:41], v[14:15]
	v_mul_f64 v[18:19], v[38:39], v[14:15]
	v_fma_f64 v[16:17], v[38:39], v[12:13], -v[16:17]
	v_fma_f64 v[18:19], v[40:41], v[12:13], v[18:19]
	v_add_f64 v[3:4], v[3:4], v[16:17]
	v_add_f64 v[54:55], v[18:19], v[54:55]
	ds_read_b128 v[16:19], v32 offset:768
	s_waitcnt lgkmcnt(0)
	v_mul_f64 v[20:21], v[40:41], v[18:19]
	v_mul_f64 v[22:23], v[38:39], v[18:19]
	v_fma_f64 v[20:21], v[38:39], v[16:17], -v[20:21]
	v_fma_f64 v[22:23], v[40:41], v[16:17], v[22:23]
	v_add_f64 v[36:37], v[36:37], v[20:21]
	v_add_f64 v[34:35], v[22:23], v[34:35]
	ds_read_b128 v[20:23], v33 offset:2064
	s_waitcnt lgkmcnt(0)
	v_mul_f64 v[38:39], v[22:23], v[14:15]
	v_mul_f64 v[14:15], v[20:21], v[14:15]
	v_fma_f64 v[38:39], v[20:21], v[12:13], -v[38:39]
	v_fma_f64 v[12:13], v[22:23], v[12:13], v[14:15]
	v_mul_f64 v[14:15], v[20:21], v[18:19]
	v_add_f64 v[38:39], v[52:53], v[38:39]
	v_add_f64 v[40:41], v[12:13], v[50:51]
	v_mul_f64 v[12:13], v[22:23], v[18:19]
	v_fma_f64 v[14:15], v[22:23], v[16:17], v[14:15]
	v_fma_f64 v[12:13], v[20:21], v[16:17], -v[12:13]
	v_add_f64 v[26:27], v[14:15], v[26:27]
	v_add_f64 v[24:25], v[24:25], v[12:13]
	ds_read_b128 v[12:15], v32 offset:1024
	s_waitcnt lgkmcnt(0)
	v_mul_f64 v[16:17], v[44:45], v[14:15]
	v_mul_f64 v[18:19], v[42:43], v[14:15]
	v_fma_f64 v[16:17], v[42:43], v[12:13], -v[16:17]
	v_fma_f64 v[18:19], v[44:45], v[12:13], v[18:19]
	v_add_f64 v[3:4], v[3:4], v[16:17]
	v_add_f64 v[50:51], v[18:19], v[54:55]
	ds_read_b128 v[16:19], v32 offset:1280
	s_waitcnt lgkmcnt(0)
	v_mul_f64 v[20:21], v[44:45], v[18:19]
	v_mul_f64 v[22:23], v[42:43], v[18:19]
	v_fma_f64 v[20:21], v[42:43], v[16:17], -v[20:21]
	v_fma_f64 v[22:23], v[44:45], v[16:17], v[22:23]
	v_add_f64 v[36:37], v[36:37], v[20:21]
	v_add_f64 v[34:35], v[22:23], v[34:35]
	ds_read_b128 v[20:23], v33 offset:2080
	s_waitcnt lgkmcnt(0)
	v_mul_f64 v[42:43], v[22:23], v[14:15]
	v_mul_f64 v[14:15], v[20:21], v[14:15]
	v_fma_f64 v[42:43], v[20:21], v[12:13], -v[42:43]
	v_fma_f64 v[12:13], v[22:23], v[12:13], v[14:15]
	v_mul_f64 v[14:15], v[20:21], v[18:19]
	v_add_f64 v[38:39], v[38:39], v[42:43]
	v_add_f64 v[40:41], v[12:13], v[40:41]
	v_mul_f64 v[12:13], v[22:23], v[18:19]
	v_fma_f64 v[14:15], v[22:23], v[16:17], v[14:15]
	v_fma_f64 v[12:13], v[20:21], v[16:17], -v[12:13]
	v_add_f64 v[26:27], v[14:15], v[26:27]
	;; [unrolled: 30-line block ×3, first 2 shown]
	v_add_f64 v[24:25], v[24:25], v[12:13]
	ds_read_b128 v[12:15], v33 offset:64
	ds_read_b128 v[16:19], v32 offset:2048
	s_waitcnt lgkmcnt(0)
	v_mul_f64 v[20:21], v[14:15], v[18:19]
	v_mul_f64 v[22:23], v[12:13], v[18:19]
	v_fma_f64 v[20:21], v[12:13], v[16:17], -v[20:21]
	v_fma_f64 v[22:23], v[14:15], v[16:17], v[22:23]
	v_add_f64 v[3:4], v[3:4], v[20:21]
	v_add_f64 v[42:43], v[22:23], v[42:43]
	ds_read_b128 v[20:23], v32 offset:2304
	s_waitcnt lgkmcnt(0)
	v_mul_f64 v[44:45], v[14:15], v[22:23]
	v_fma_f64 v[44:45], v[12:13], v[20:21], -v[44:45]
	v_mul_f64 v[12:13], v[12:13], v[22:23]
	v_add_f64 v[36:37], v[36:37], v[44:45]
	v_fma_f64 v[12:13], v[14:15], v[20:21], v[12:13]
	v_add_f64 v[34:35], v[12:13], v[34:35]
	ds_read_b128 v[12:15], v33 offset:2112
	s_waitcnt lgkmcnt(0)
	v_mul_f64 v[44:45], v[14:15], v[18:19]
	v_mul_f64 v[18:19], v[12:13], v[18:19]
	v_fma_f64 v[44:45], v[12:13], v[16:17], -v[44:45]
	v_fma_f64 v[16:17], v[14:15], v[16:17], v[18:19]
	v_add_f64 v[38:39], v[38:39], v[44:45]
	v_add_f64 v[40:41], v[16:17], v[40:41]
	v_mul_f64 v[16:17], v[14:15], v[22:23]
	v_fma_f64 v[16:17], v[12:13], v[20:21], -v[16:17]
	v_mul_f64 v[12:13], v[12:13], v[22:23]
	v_add_f64 v[24:25], v[24:25], v[16:17]
	v_fma_f64 v[12:13], v[14:15], v[20:21], v[12:13]
	v_add_f64 v[26:27], v[12:13], v[26:27]
	ds_read_b128 v[12:15], v33 offset:80
	ds_read_b128 v[16:19], v32 offset:2560
	s_waitcnt lgkmcnt(0)
	v_mul_f64 v[20:21], v[14:15], v[18:19]
	v_mul_f64 v[22:23], v[12:13], v[18:19]
	v_fma_f64 v[20:21], v[12:13], v[16:17], -v[20:21]
	v_fma_f64 v[22:23], v[14:15], v[16:17], v[22:23]
	v_add_f64 v[3:4], v[3:4], v[20:21]
	v_add_f64 v[42:43], v[22:23], v[42:43]
	ds_read_b128 v[20:23], v32 offset:2816
	s_waitcnt lgkmcnt(0)
	v_mul_f64 v[44:45], v[14:15], v[22:23]
	v_fma_f64 v[44:45], v[12:13], v[20:21], -v[44:45]
	v_mul_f64 v[12:13], v[12:13], v[22:23]
	v_add_f64 v[36:37], v[36:37], v[44:45]
	v_fma_f64 v[12:13], v[14:15], v[20:21], v[12:13]
	v_add_f64 v[34:35], v[12:13], v[34:35]
	ds_read_b128 v[12:15], v33 offset:2128
	s_waitcnt lgkmcnt(0)
	v_mul_f64 v[44:45], v[14:15], v[18:19]
	v_mul_f64 v[18:19], v[12:13], v[18:19]
	v_fma_f64 v[44:45], v[12:13], v[16:17], -v[44:45]
	v_fma_f64 v[16:17], v[14:15], v[16:17], v[18:19]
	v_add_f64 v[38:39], v[38:39], v[44:45]
	v_add_f64 v[40:41], v[16:17], v[40:41]
	v_mul_f64 v[16:17], v[14:15], v[22:23]
	v_fma_f64 v[16:17], v[12:13], v[20:21], -v[16:17]
	v_mul_f64 v[12:13], v[12:13], v[22:23]
	v_add_f64 v[24:25], v[24:25], v[16:17]
	v_fma_f64 v[12:13], v[14:15], v[20:21], v[12:13]
	;; [unrolled: 31-line block ×3, first 2 shown]
	v_add_f64 v[46:47], v[12:13], v[26:27]
	ds_read_b128 v[12:15], v33 offset:112
	ds_read_b128 v[16:19], v32 offset:3584
	;; [unrolled: 1-line block ×3, first 2 shown]
	s_waitcnt lgkmcnt(1)
	v_mul_f64 v[20:21], v[14:15], v[18:19]
	v_mul_f64 v[22:23], v[12:13], v[18:19]
	v_fma_f64 v[20:21], v[12:13], v[16:17], -v[20:21]
	v_fma_f64 v[22:23], v[14:15], v[16:17], v[22:23]
	v_add_f64 v[20:21], v[3:4], v[20:21]
	s_waitcnt lgkmcnt(0)
	v_mul_f64 v[3:4], v[14:15], v[26:27]
	v_add_f64 v[22:23], v[22:23], v[42:43]
	v_fma_f64 v[3:4], v[12:13], v[24:25], -v[3:4]
	v_mul_f64 v[12:13], v[12:13], v[26:27]
	v_fma_f64 v[14:15], v[14:15], v[24:25], v[12:13]
	v_add_f64 v[12:13], v[36:37], v[3:4]
	v_add_f64 v[14:15], v[14:15], v[34:35]
	ds_read_b128 v[34:37], v33 offset:2160
	s_waitcnt lgkmcnt(0)
	s_barrier
	v_mul_f64 v[3:4], v[36:37], v[18:19]
	v_mul_f64 v[18:19], v[34:35], v[18:19]
	v_fma_f64 v[3:4], v[34:35], v[16:17], -v[3:4]
	v_fma_f64 v[18:19], v[36:37], v[16:17], v[18:19]
	v_add_f64 v[16:17], v[38:39], v[3:4]
	v_mul_f64 v[3:4], v[36:37], v[26:27]
	v_mul_f64 v[26:27], v[34:35], v[26:27]
	v_add_f64 v[18:19], v[18:19], v[40:41]
	v_fma_f64 v[3:4], v[34:35], v[24:25], -v[3:4]
	v_fma_f64 v[26:27], v[36:37], v[24:25], v[26:27]
	v_add_f64 v[24:25], v[44:45], v[3:4]
	v_add_f64 v[26:27], v[26:27], v[46:47]
	s_cbranch_vccnz .LBB1833_12
.LBB1833_3:                             ; =>This Inner Loop Header: Depth=1
	v_mov_b32_e32 v4, s3
	v_add_co_u32_e32 v3, vcc, s2, v28
	v_addc_co_u32_e32 v4, vcc, 0, v4, vcc
	v_cmp_le_i64_e32 vcc, s[12:13], v[3:4]
	s_or_b64 s[6:7], s[4:5], vcc
	s_and_saveexec_b64 s[8:9], s[6:7]
	s_xor_b64 s[6:7], exec, s[8:9]
; %bb.4:                                ;   in Loop: Header=BB1833_3 Depth=1
	v_mov_b32_e32 v3, v2
	v_mov_b32_e32 v4, v2
	;; [unrolled: 1-line block ×3, first 2 shown]
	ds_write_b128 v30, v[2:5]
; %bb.5:                                ;   in Loop: Header=BB1833_3 Depth=1
	s_andn2_saveexec_b64 s[6:7], s[6:7]
	s_cbranch_execz .LBB1833_7
; %bb.6:                                ;   in Loop: Header=BB1833_3 Depth=1
	flat_load_dwordx4 v[34:37], v[6:7]
	s_waitcnt vmcnt(0) lgkmcnt(0)
	ds_write2_b64 v30, v[34:35], v[36:37] offset1:1
.LBB1833_7:                             ;   in Loop: Header=BB1833_3 Depth=1
	s_or_b64 exec, exec, s[6:7]
	v_mov_b32_e32 v4, s3
	v_add_co_u32_e32 v3, vcc, s2, v29
	v_addc_co_u32_e32 v4, vcc, 0, v4, vcc
	v_cmp_le_i64_e32 vcc, s[12:13], v[3:4]
	s_or_b64 s[6:7], vcc, s[0:1]
	s_and_saveexec_b64 s[8:9], s[6:7]
	s_xor_b64 s[6:7], exec, s[8:9]
; %bb.8:                                ;   in Loop: Header=BB1833_3 Depth=1
	v_mov_b32_e32 v3, v2
	v_mov_b32_e32 v4, v2
	;; [unrolled: 1-line block ×3, first 2 shown]
	ds_write_b128 v31, v[2:5]
; %bb.9:                                ;   in Loop: Header=BB1833_3 Depth=1
	s_andn2_saveexec_b64 s[6:7], s[6:7]
	s_cbranch_execz .LBB1833_2
; %bb.10:                               ;   in Loop: Header=BB1833_3 Depth=1
	flat_load_dwordx4 v[34:37], v[8:9]
	s_waitcnt vmcnt(0) lgkmcnt(0)
	ds_write2_b64 v31, v[34:35], v[36:37] offset1:1
	s_branch .LBB1833_2
.LBB1833_11:
	v_mov_b32_e32 v20, 0
	v_mov_b32_e32 v22, 0
	;; [unrolled: 1-line block ×16, first 2 shown]
.LBB1833_12:
	v_add_u32_e32 v4, s26, v1
	v_ashrrev_i32_e32 v1, 31, v4
	v_mul_lo_u32 v3, s22, v1
	v_mul_lo_u32 v5, s23, v4
	v_mad_u64_u32 v[1:2], s[0:1], s22, v4, 0
	v_add_u32_e32 v0, s25, v0
	v_cmp_le_i32_e64 s[0:1], v4, v0
	v_add3_u32 v2, v2, v3, v5
	v_lshlrev_b64 v[1:2], 4, v[1:2]
	s_waitcnt lgkmcnt(0)
	v_mov_b32_e32 v3, s21
	v_add_co_u32_e32 v5, vcc, s20, v1
	v_addc_co_u32_e32 v6, vcc, v3, v2, vcc
	v_cmp_gt_i32_e32 vcc, s24, v0
	s_and_b64 s[0:1], s[0:1], vcc
	s_and_saveexec_b64 s[2:3], s[0:1]
	s_cbranch_execz .LBB1833_14
; %bb.13:
	v_mul_f64 v[2:3], s[14:15], v[22:23]
	v_mul_f64 v[7:8], s[16:17], v[22:23]
	v_ashrrev_i32_e32 v1, 31, v0
	v_lshlrev_b64 v[9:10], 4, v[0:1]
	v_fma_f64 v[2:3], s[16:17], v[20:21], v[2:3]
	v_fma_f64 v[7:8], s[14:15], v[20:21], -v[7:8]
	v_add_co_u32_e64 v20, s[0:1], v5, v9
	v_addc_co_u32_e64 v21, s[0:1], v6, v10, s[0:1]
	v_cmp_ne_u32_e64 s[0:1], v4, v0
	v_cndmask_b32_e64 v10, 0, v3, s[0:1]
	v_cndmask_b32_e64 v9, 0, v2, s[0:1]
	flat_store_dwordx4 v[20:21], v[7:10]
.LBB1833_14:
	s_or_b64 exec, exec, s[2:3]
	v_add_u32_e32 v2, 16, v0
	v_cmp_le_i32_e64 s[2:3], v4, v2
	v_cmp_gt_i32_e64 s[0:1], s24, v2
	s_and_b64 s[2:3], s[2:3], s[0:1]
	s_and_saveexec_b64 s[4:5], s[2:3]
	s_cbranch_execz .LBB1833_16
; %bb.15:
	v_mul_f64 v[7:8], s[14:15], v[14:15]
	v_mul_f64 v[9:10], s[16:17], v[14:15]
	v_ashrrev_i32_e32 v3, 31, v2
	v_lshlrev_b64 v[20:21], 4, v[2:3]
	v_add_co_u32_e64 v5, s[2:3], v5, v20
	v_addc_co_u32_e64 v6, s[2:3], v6, v21, s[2:3]
	v_fma_f64 v[14:15], s[16:17], v[12:13], v[7:8]
	v_fma_f64 v[7:8], s[14:15], v[12:13], -v[9:10]
	v_cmp_ne_u32_e64 s[2:3], v4, v2
	v_cndmask_b32_e64 v10, 0, v15, s[2:3]
	v_cndmask_b32_e64 v9, 0, v14, s[2:3]
	flat_store_dwordx4 v[5:6], v[7:10]
.LBB1833_16:
	s_or_b64 exec, exec, s[4:5]
	v_add_u32_e32 v3, 16, v4
	v_ashrrev_i32_e32 v1, 31, v3
	v_mul_lo_u32 v7, s23, v3
	v_mad_u64_u32 v[5:6], s[2:3], s22, v3, 0
	v_mul_lo_u32 v1, s22, v1
	v_add3_u32 v6, v6, v1, v7
	v_lshlrev_b64 v[5:6], 4, v[5:6]
	v_mov_b32_e32 v1, s21
	v_add_co_u32_e64 v5, s[2:3], s20, v5
	v_addc_co_u32_e64 v6, s[2:3], v1, v6, s[2:3]
	v_cmp_le_i32_e64 s[2:3], v3, v0
	s_and_b64 s[4:5], s[2:3], vcc
	s_and_saveexec_b64 s[2:3], s[4:5]
	s_cbranch_execz .LBB1833_18
; %bb.17:
	v_mul_f64 v[7:8], s[14:15], v[18:19]
	v_mul_f64 v[9:10], s[16:17], v[18:19]
	v_ashrrev_i32_e32 v1, 31, v0
	v_lshlrev_b64 v[13:14], 4, v[0:1]
	v_add_co_u32_e32 v13, vcc, v5, v13
	v_addc_co_u32_e32 v14, vcc, v6, v14, vcc
	v_fma_f64 v[11:12], s[16:17], v[16:17], v[7:8]
	v_fma_f64 v[7:8], s[14:15], v[16:17], -v[9:10]
	v_cmp_ne_u32_e32 vcc, v3, v0
	v_cndmask_b32_e32 v10, 0, v12, vcc
	v_cndmask_b32_e32 v9, 0, v11, vcc
	flat_store_dwordx4 v[13:14], v[7:10]
.LBB1833_18:
	s_or_b64 exec, exec, s[2:3]
	v_cmp_le_i32_e32 vcc, v3, v2
	s_and_b64 s[0:1], vcc, s[0:1]
	s_and_saveexec_b64 s[2:3], s[0:1]
	s_cbranch_execz .LBB1833_20
; %bb.19:
	v_mul_f64 v[7:8], s[14:15], v[26:27]
	v_mul_f64 v[9:10], s[16:17], v[26:27]
	v_ashrrev_i32_e32 v3, 31, v2
	v_lshlrev_b64 v[11:12], 4, v[2:3]
	v_add_co_u32_e32 v5, vcc, v5, v11
	v_addc_co_u32_e32 v6, vcc, v6, v12, vcc
	v_fma_f64 v[7:8], s[16:17], v[24:25], v[7:8]
	v_fma_f64 v[1:2], s[14:15], v[24:25], -v[9:10]
	v_cmp_ne_u32_e32 vcc, v4, v0
	v_cndmask_b32_e32 v4, 0, v8, vcc
	v_cndmask_b32_e32 v3, 0, v7, vcc
	flat_store_dwordx4 v[5:6], v[1:4]
.LBB1833_20:
	s_endpgm
	.section	.rodata,"a",@progbits
	.p2align	6, 0x0
	.amdhsa_kernel _ZL34rocblas_syrkx_herkx_general_kernelIl19rocblas_complex_numIdELi16ELi32ELi8ELb1ELb1ELc84ELc76EKPKS1_KPS1_EviT_T0_PT8_S7_lSA_S7_lS8_PT9_S7_li
		.amdhsa_group_segment_fixed_size 8192
		.amdhsa_private_segment_fixed_size 0
		.amdhsa_kernarg_size 124
		.amdhsa_user_sgpr_count 6
		.amdhsa_user_sgpr_private_segment_buffer 1
		.amdhsa_user_sgpr_dispatch_ptr 0
		.amdhsa_user_sgpr_queue_ptr 0
		.amdhsa_user_sgpr_kernarg_segment_ptr 1
		.amdhsa_user_sgpr_dispatch_id 0
		.amdhsa_user_sgpr_flat_scratch_init 0
		.amdhsa_user_sgpr_private_segment_size 0
		.amdhsa_uses_dynamic_stack 0
		.amdhsa_system_sgpr_private_segment_wavefront_offset 0
		.amdhsa_system_sgpr_workgroup_id_x 1
		.amdhsa_system_sgpr_workgroup_id_y 1
		.amdhsa_system_sgpr_workgroup_id_z 1
		.amdhsa_system_sgpr_workgroup_info 0
		.amdhsa_system_vgpr_workitem_id 1
		.amdhsa_next_free_vgpr 58
		.amdhsa_next_free_sgpr 61
		.amdhsa_reserve_vcc 1
		.amdhsa_reserve_flat_scratch 0
		.amdhsa_float_round_mode_32 0
		.amdhsa_float_round_mode_16_64 0
		.amdhsa_float_denorm_mode_32 3
		.amdhsa_float_denorm_mode_16_64 3
		.amdhsa_dx10_clamp 1
		.amdhsa_ieee_mode 1
		.amdhsa_fp16_overflow 0
		.amdhsa_exception_fp_ieee_invalid_op 0
		.amdhsa_exception_fp_denorm_src 0
		.amdhsa_exception_fp_ieee_div_zero 0
		.amdhsa_exception_fp_ieee_overflow 0
		.amdhsa_exception_fp_ieee_underflow 0
		.amdhsa_exception_fp_ieee_inexact 0
		.amdhsa_exception_int_div_zero 0
	.end_amdhsa_kernel
	.section	.text._ZL34rocblas_syrkx_herkx_general_kernelIl19rocblas_complex_numIdELi16ELi32ELi8ELb1ELb1ELc84ELc76EKPKS1_KPS1_EviT_T0_PT8_S7_lSA_S7_lS8_PT9_S7_li,"axG",@progbits,_ZL34rocblas_syrkx_herkx_general_kernelIl19rocblas_complex_numIdELi16ELi32ELi8ELb1ELb1ELc84ELc76EKPKS1_KPS1_EviT_T0_PT8_S7_lSA_S7_lS8_PT9_S7_li,comdat
.Lfunc_end1833:
	.size	_ZL34rocblas_syrkx_herkx_general_kernelIl19rocblas_complex_numIdELi16ELi32ELi8ELb1ELb1ELc84ELc76EKPKS1_KPS1_EviT_T0_PT8_S7_lSA_S7_lS8_PT9_S7_li, .Lfunc_end1833-_ZL34rocblas_syrkx_herkx_general_kernelIl19rocblas_complex_numIdELi16ELi32ELi8ELb1ELb1ELc84ELc76EKPKS1_KPS1_EviT_T0_PT8_S7_lSA_S7_lS8_PT9_S7_li
                                        ; -- End function
	.set _ZL34rocblas_syrkx_herkx_general_kernelIl19rocblas_complex_numIdELi16ELi32ELi8ELb1ELb1ELc84ELc76EKPKS1_KPS1_EviT_T0_PT8_S7_lSA_S7_lS8_PT9_S7_li.num_vgpr, 58
	.set _ZL34rocblas_syrkx_herkx_general_kernelIl19rocblas_complex_numIdELi16ELi32ELi8ELb1ELb1ELc84ELc76EKPKS1_KPS1_EviT_T0_PT8_S7_lSA_S7_lS8_PT9_S7_li.num_agpr, 0
	.set _ZL34rocblas_syrkx_herkx_general_kernelIl19rocblas_complex_numIdELi16ELi32ELi8ELb1ELb1ELc84ELc76EKPKS1_KPS1_EviT_T0_PT8_S7_lSA_S7_lS8_PT9_S7_li.numbered_sgpr, 27
	.set _ZL34rocblas_syrkx_herkx_general_kernelIl19rocblas_complex_numIdELi16ELi32ELi8ELb1ELb1ELc84ELc76EKPKS1_KPS1_EviT_T0_PT8_S7_lSA_S7_lS8_PT9_S7_li.num_named_barrier, 0
	.set _ZL34rocblas_syrkx_herkx_general_kernelIl19rocblas_complex_numIdELi16ELi32ELi8ELb1ELb1ELc84ELc76EKPKS1_KPS1_EviT_T0_PT8_S7_lSA_S7_lS8_PT9_S7_li.private_seg_size, 0
	.set _ZL34rocblas_syrkx_herkx_general_kernelIl19rocblas_complex_numIdELi16ELi32ELi8ELb1ELb1ELc84ELc76EKPKS1_KPS1_EviT_T0_PT8_S7_lSA_S7_lS8_PT9_S7_li.uses_vcc, 1
	.set _ZL34rocblas_syrkx_herkx_general_kernelIl19rocblas_complex_numIdELi16ELi32ELi8ELb1ELb1ELc84ELc76EKPKS1_KPS1_EviT_T0_PT8_S7_lSA_S7_lS8_PT9_S7_li.uses_flat_scratch, 0
	.set _ZL34rocblas_syrkx_herkx_general_kernelIl19rocblas_complex_numIdELi16ELi32ELi8ELb1ELb1ELc84ELc76EKPKS1_KPS1_EviT_T0_PT8_S7_lSA_S7_lS8_PT9_S7_li.has_dyn_sized_stack, 0
	.set _ZL34rocblas_syrkx_herkx_general_kernelIl19rocblas_complex_numIdELi16ELi32ELi8ELb1ELb1ELc84ELc76EKPKS1_KPS1_EviT_T0_PT8_S7_lSA_S7_lS8_PT9_S7_li.has_recursion, 0
	.set _ZL34rocblas_syrkx_herkx_general_kernelIl19rocblas_complex_numIdELi16ELi32ELi8ELb1ELb1ELc84ELc76EKPKS1_KPS1_EviT_T0_PT8_S7_lSA_S7_lS8_PT9_S7_li.has_indirect_call, 0
	.section	.AMDGPU.csdata,"",@progbits
; Kernel info:
; codeLenInByte = 3232
; TotalNumSgprs: 31
; NumVgprs: 58
; ScratchSize: 0
; MemoryBound: 0
; FloatMode: 240
; IeeeMode: 1
; LDSByteSize: 8192 bytes/workgroup (compile time only)
; SGPRBlocks: 8
; VGPRBlocks: 14
; NumSGPRsForWavesPerEU: 65
; NumVGPRsForWavesPerEU: 58
; Occupancy: 4
; WaveLimiterHint : 1
; COMPUTE_PGM_RSRC2:SCRATCH_EN: 0
; COMPUTE_PGM_RSRC2:USER_SGPR: 6
; COMPUTE_PGM_RSRC2:TRAP_HANDLER: 0
; COMPUTE_PGM_RSRC2:TGID_X_EN: 1
; COMPUTE_PGM_RSRC2:TGID_Y_EN: 1
; COMPUTE_PGM_RSRC2:TGID_Z_EN: 1
; COMPUTE_PGM_RSRC2:TIDIG_COMP_CNT: 1
	.section	.text._ZL34rocblas_syrkx_herkx_general_kernelIl19rocblas_complex_numIdELi16ELi32ELi8ELb1ELb1ELc67ELc76EKPKS1_KPS1_EviT_T0_PT8_S7_lSA_S7_lS8_PT9_S7_li,"axG",@progbits,_ZL34rocblas_syrkx_herkx_general_kernelIl19rocblas_complex_numIdELi16ELi32ELi8ELb1ELb1ELc67ELc76EKPKS1_KPS1_EviT_T0_PT8_S7_lSA_S7_lS8_PT9_S7_li,comdat
	.globl	_ZL34rocblas_syrkx_herkx_general_kernelIl19rocblas_complex_numIdELi16ELi32ELi8ELb1ELb1ELc67ELc76EKPKS1_KPS1_EviT_T0_PT8_S7_lSA_S7_lS8_PT9_S7_li ; -- Begin function _ZL34rocblas_syrkx_herkx_general_kernelIl19rocblas_complex_numIdELi16ELi32ELi8ELb1ELb1ELc67ELc76EKPKS1_KPS1_EviT_T0_PT8_S7_lSA_S7_lS8_PT9_S7_li
	.p2align	8
	.type	_ZL34rocblas_syrkx_herkx_general_kernelIl19rocblas_complex_numIdELi16ELi32ELi8ELb1ELb1ELc67ELc76EKPKS1_KPS1_EviT_T0_PT8_S7_lSA_S7_lS8_PT9_S7_li,@function
_ZL34rocblas_syrkx_herkx_general_kernelIl19rocblas_complex_numIdELi16ELi32ELi8ELb1ELb1ELc67ELc76EKPKS1_KPS1_EviT_T0_PT8_S7_lSA_S7_lS8_PT9_S7_li: ; @_ZL34rocblas_syrkx_herkx_general_kernelIl19rocblas_complex_numIdELi16ELi32ELi8ELb1ELb1ELc67ELc76EKPKS1_KPS1_EviT_T0_PT8_S7_lSA_S7_lS8_PT9_S7_li
; %bb.0:
	s_load_dwordx2 s[2:3], s[4:5], 0x28
	s_load_dwordx4 s[20:23], s[4:5], 0x60
	s_load_dword s24, s[4:5], 0x0
	s_load_dwordx8 s[12:19], s[4:5], 0x8
	s_mov_b32 s9, 0
	s_lshl_b64 s[0:1], s[8:9], 3
	s_waitcnt lgkmcnt(0)
	s_add_u32 s8, s20, s0
	s_addc_u32 s9, s21, s1
	s_load_dwordx2 s[20:21], s[8:9], 0x0
	v_cmp_lt_i64_e64 s[8:9], s[12:13], 1
	s_lshl_b32 s25, s6, 5
	s_lshl_b32 s26, s7, 5
	s_and_b64 vcc, exec, s[8:9]
	s_cbranch_vccnz .LBB1834_9
; %bb.1:
	s_load_dwordx4 s[8:11], s[4:5], 0x38
	v_lshl_add_u32 v2, v1, 4, v0
	v_and_b32_e32 v5, 31, v2
	v_or_b32_e32 v6, s25, v5
	v_and_b32_e32 v30, 7, v0
	s_waitcnt lgkmcnt(0)
	s_add_u32 s4, s8, s0
	s_addc_u32 s5, s9, s1
	s_add_u32 s0, s18, s0
	s_addc_u32 s1, s19, s1
	v_lshrrev_b32_e32 v3, 3, v2
	v_lshrrev_b32_e32 v29, 5, v2
	s_load_dwordx2 s[6:7], s[0:1], 0x0
	v_cmp_gt_i32_e64 s[0:1], s24, v6
	v_lshlrev_b32_e32 v2, 4, v5
	v_lshlrev_b32_e32 v6, 4, v30
	v_lshl_or_b32 v31, v29, 9, v2
	v_lshl_or_b32 v2, v3, 7, v6
	v_add_u32_e32 v32, 0x1000, v2
	v_add_u32_e32 v2, s25, v5
	;; [unrolled: 1-line block ×3, first 2 shown]
	v_ashrrev_i32_e32 v3, 31, v2
	v_mul_lo_u32 v5, s2, v3
	v_mul_lo_u32 v8, s3, v2
	v_mad_u64_u32 v[2:3], s[2:3], s2, v2, 0
	v_ashrrev_i32_e32 v7, 31, v4
	v_mul_lo_u32 v10, s10, v7
	v_add3_u32 v3, v3, v5, v8
	v_lshlrev_b64 v[2:3], 4, v[2:3]
	v_lshlrev_b32_e32 v5, 4, v29
	v_add_co_u32_e64 v5, s[2:3], v2, v5
	v_addc_co_u32_e64 v8, s[2:3], 0, v3, s[2:3]
	v_mul_lo_u32 v11, s11, v4
	v_mad_u64_u32 v[2:3], s[2:3], s10, v4, 0
	s_load_dwordx2 s[4:5], s[4:5], 0x0
	v_mov_b32_e32 v9, 0x1000
	v_add3_u32 v3, v3, v10, v11
	v_lshl_add_u32 v34, v1, 7, v9
	s_waitcnt lgkmcnt(0)
	v_mov_b32_e32 v9, s7
	v_add_co_u32_e64 v7, s[2:3], s6, v5
	v_lshlrev_b64 v[2:3], 4, v[2:3]
	v_addc_co_u32_e64 v8, s[2:3], v9, v8, s[2:3]
	v_add_co_u32_e64 v2, s[2:3], v2, v6
	v_addc_co_u32_e64 v3, s[2:3], 0, v3, s[2:3]
	v_cmp_gt_i32_e32 vcc, s24, v4
	v_mov_b32_e32 v4, s5
	v_add_co_u32_e64 v9, s[2:3], s4, v2
	v_addc_co_u32_e64 v10, s[2:3], v4, v3, s[2:3]
	v_mov_b32_e32 v27, 0
	v_mov_b32_e32 v11, s12
	;; [unrolled: 1-line block ×9, first 2 shown]
	v_lshlrev_b32_e32 v33, 4, v0
	s_mov_b64 s[2:3], 0
	v_mov_b32_e32 v28, 0
	s_xor_b64 s[4:5], vcc, -1
	v_mov_b32_e32 v12, s13
	v_mov_b32_e32 v26, 0
	;; [unrolled: 1-line block ×9, first 2 shown]
	s_branch .LBB1834_3
.LBB1834_2:                             ;   in Loop: Header=BB1834_3 Depth=1
	s_or_b64 exec, exec, s[6:7]
	s_waitcnt lgkmcnt(0)
	s_barrier
	ds_read_b128 v[3:6], v34
	ds_read_b128 v[35:38], v34 offset:16
	ds_read_b128 v[39:42], v34 offset:32
	;; [unrolled: 1-line block ×3, first 2 shown]
	ds_read_b128 v[47:50], v33
	v_add_co_u32_e32 v7, vcc, 0x80, v7
	v_addc_co_u32_e32 v8, vcc, 0, v8, vcc
	s_waitcnt lgkmcnt(0)
	v_mul_f64 v[51:52], v[5:6], v[49:50]
	v_mul_f64 v[53:54], v[3:4], v[49:50]
	s_add_u32 s2, s2, 8
	v_add_co_u32_e32 v9, vcc, 0x80, v9
	s_addc_u32 s3, s3, 0
	v_addc_co_u32_e32 v10, vcc, 0, v10, vcc
	v_fma_f64 v[51:52], v[3:4], v[47:48], -v[51:52]
	v_fma_f64 v[53:54], v[5:6], v[47:48], v[53:54]
	v_cmp_ge_i64_e32 vcc, s[2:3], v[11:12]
	s_and_b64 vcc, exec, vcc
	v_add_f64 v[51:52], v[21:22], v[51:52]
	v_add_f64 v[53:54], v[53:54], v[23:24]
	ds_read_b128 v[21:24], v33 offset:256
	s_waitcnt lgkmcnt(0)
	v_mul_f64 v[55:56], v[5:6], v[23:24]
	v_fma_f64 v[55:56], v[3:4], v[21:22], -v[55:56]
	v_mul_f64 v[3:4], v[3:4], v[23:24]
	v_add_f64 v[55:56], v[13:14], v[55:56]
	v_fma_f64 v[3:4], v[5:6], v[21:22], v[3:4]
	v_add_f64 v[57:58], v[3:4], v[15:16]
	ds_read_b128 v[3:6], v34 offset:2048
	s_waitcnt lgkmcnt(0)
	v_mul_f64 v[13:14], v[5:6], v[49:50]
	v_mul_f64 v[15:16], v[3:4], v[49:50]
	v_fma_f64 v[13:14], v[3:4], v[47:48], -v[13:14]
	v_fma_f64 v[15:16], v[5:6], v[47:48], v[15:16]
	v_add_f64 v[47:48], v[17:18], v[13:14]
	v_mul_f64 v[13:14], v[5:6], v[23:24]
	v_add_f64 v[49:50], v[15:16], v[19:20]
	v_fma_f64 v[13:14], v[3:4], v[21:22], -v[13:14]
	v_mul_f64 v[3:4], v[3:4], v[23:24]
	v_fma_f64 v[3:4], v[5:6], v[21:22], v[3:4]
	v_add_f64 v[21:22], v[25:26], v[13:14]
	v_add_f64 v[23:24], v[3:4], v[27:28]
	ds_read_b128 v[3:6], v33 offset:512
	s_waitcnt lgkmcnt(0)
	v_mul_f64 v[13:14], v[37:38], v[5:6]
	v_mul_f64 v[15:16], v[35:36], v[5:6]
	v_fma_f64 v[13:14], v[35:36], v[3:4], -v[13:14]
	v_fma_f64 v[15:16], v[37:38], v[3:4], v[15:16]
	v_add_f64 v[25:26], v[51:52], v[13:14]
	v_add_f64 v[27:28], v[15:16], v[53:54]
	ds_read_b128 v[13:16], v33 offset:768
	s_waitcnt lgkmcnt(0)
	v_mul_f64 v[17:18], v[37:38], v[15:16]
	v_mul_f64 v[19:20], v[35:36], v[15:16]
	v_fma_f64 v[17:18], v[35:36], v[13:14], -v[17:18]
	;; [unrolled: 8-line block ×3, first 2 shown]
	v_fma_f64 v[3:4], v[19:20], v[3:4], v[5:6]
	v_mul_f64 v[5:6], v[17:18], v[15:16]
	v_add_f64 v[47:48], v[47:48], v[51:52]
	v_add_f64 v[49:50], v[3:4], v[49:50]
	v_mul_f64 v[3:4], v[19:20], v[15:16]
	v_fma_f64 v[5:6], v[19:20], v[13:14], v[5:6]
	v_fma_f64 v[3:4], v[17:18], v[13:14], -v[3:4]
	v_add_f64 v[23:24], v[5:6], v[23:24]
	v_add_f64 v[21:22], v[21:22], v[3:4]
	ds_read_b128 v[3:6], v33 offset:1024
	s_waitcnt lgkmcnt(0)
	v_mul_f64 v[13:14], v[41:42], v[5:6]
	v_mul_f64 v[15:16], v[39:40], v[5:6]
	v_fma_f64 v[13:14], v[39:40], v[3:4], -v[13:14]
	v_fma_f64 v[15:16], v[41:42], v[3:4], v[15:16]
	v_add_f64 v[25:26], v[25:26], v[13:14]
	v_add_f64 v[27:28], v[15:16], v[27:28]
	ds_read_b128 v[13:16], v33 offset:1280
	s_waitcnt lgkmcnt(0)
	v_mul_f64 v[17:18], v[41:42], v[15:16]
	v_mul_f64 v[19:20], v[39:40], v[15:16]
	v_fma_f64 v[17:18], v[39:40], v[13:14], -v[17:18]
	v_fma_f64 v[19:20], v[41:42], v[13:14], v[19:20]
	;; [unrolled: 8-line block ×3, first 2 shown]
	v_mul_f64 v[5:6], v[17:18], v[15:16]
	v_add_f64 v[39:40], v[47:48], v[39:40]
	v_add_f64 v[41:42], v[3:4], v[49:50]
	v_mul_f64 v[3:4], v[19:20], v[15:16]
	v_fma_f64 v[5:6], v[19:20], v[13:14], v[5:6]
	v_fma_f64 v[3:4], v[17:18], v[13:14], -v[3:4]
	v_add_f64 v[23:24], v[5:6], v[23:24]
	v_add_f64 v[21:22], v[21:22], v[3:4]
	ds_read_b128 v[3:6], v33 offset:1536
	s_waitcnt lgkmcnt(0)
	v_mul_f64 v[13:14], v[45:46], v[5:6]
	v_mul_f64 v[15:16], v[43:44], v[5:6]
	v_fma_f64 v[13:14], v[43:44], v[3:4], -v[13:14]
	v_fma_f64 v[15:16], v[45:46], v[3:4], v[15:16]
	v_add_f64 v[25:26], v[25:26], v[13:14]
	v_add_f64 v[27:28], v[15:16], v[27:28]
	ds_read_b128 v[13:16], v33 offset:1792
	s_waitcnt lgkmcnt(0)
	v_mul_f64 v[17:18], v[45:46], v[15:16]
	v_mul_f64 v[19:20], v[43:44], v[15:16]
	v_fma_f64 v[17:18], v[43:44], v[13:14], -v[17:18]
	v_fma_f64 v[19:20], v[45:46], v[13:14], v[19:20]
	;; [unrolled: 8-line block ×3, first 2 shown]
	v_mul_f64 v[5:6], v[17:18], v[15:16]
	v_add_f64 v[39:40], v[39:40], v[43:44]
	v_add_f64 v[41:42], v[3:4], v[41:42]
	v_mul_f64 v[3:4], v[19:20], v[15:16]
	v_fma_f64 v[5:6], v[19:20], v[13:14], v[5:6]
	v_fma_f64 v[3:4], v[17:18], v[13:14], -v[3:4]
	v_add_f64 v[23:24], v[5:6], v[23:24]
	v_add_f64 v[21:22], v[21:22], v[3:4]
	ds_read_b128 v[3:6], v34 offset:64
	ds_read_b128 v[13:16], v33 offset:2048
	s_waitcnt lgkmcnt(0)
	v_mul_f64 v[17:18], v[5:6], v[15:16]
	v_mul_f64 v[19:20], v[3:4], v[15:16]
	v_fma_f64 v[17:18], v[3:4], v[13:14], -v[17:18]
	v_fma_f64 v[19:20], v[5:6], v[13:14], v[19:20]
	v_add_f64 v[25:26], v[25:26], v[17:18]
	v_add_f64 v[27:28], v[19:20], v[27:28]
	ds_read_b128 v[17:20], v33 offset:2304
	s_waitcnt lgkmcnt(0)
	v_mul_f64 v[43:44], v[5:6], v[19:20]
	v_fma_f64 v[43:44], v[3:4], v[17:18], -v[43:44]
	v_mul_f64 v[3:4], v[3:4], v[19:20]
	v_add_f64 v[35:36], v[35:36], v[43:44]
	v_fma_f64 v[3:4], v[5:6], v[17:18], v[3:4]
	v_add_f64 v[37:38], v[3:4], v[37:38]
	ds_read_b128 v[3:6], v34 offset:2112
	s_waitcnt lgkmcnt(0)
	v_mul_f64 v[43:44], v[5:6], v[15:16]
	v_mul_f64 v[15:16], v[3:4], v[15:16]
	v_fma_f64 v[43:44], v[3:4], v[13:14], -v[43:44]
	v_fma_f64 v[13:14], v[5:6], v[13:14], v[15:16]
	v_add_f64 v[39:40], v[39:40], v[43:44]
	v_add_f64 v[41:42], v[13:14], v[41:42]
	v_mul_f64 v[13:14], v[5:6], v[19:20]
	v_fma_f64 v[13:14], v[3:4], v[17:18], -v[13:14]
	v_mul_f64 v[3:4], v[3:4], v[19:20]
	v_add_f64 v[21:22], v[21:22], v[13:14]
	v_fma_f64 v[3:4], v[5:6], v[17:18], v[3:4]
	v_add_f64 v[23:24], v[3:4], v[23:24]
	ds_read_b128 v[3:6], v34 offset:80
	ds_read_b128 v[13:16], v33 offset:2560
	s_waitcnt lgkmcnt(0)
	v_mul_f64 v[17:18], v[5:6], v[15:16]
	v_mul_f64 v[19:20], v[3:4], v[15:16]
	v_fma_f64 v[17:18], v[3:4], v[13:14], -v[17:18]
	v_fma_f64 v[19:20], v[5:6], v[13:14], v[19:20]
	v_add_f64 v[25:26], v[25:26], v[17:18]
	v_add_f64 v[27:28], v[19:20], v[27:28]
	ds_read_b128 v[17:20], v33 offset:2816
	s_waitcnt lgkmcnt(0)
	v_mul_f64 v[43:44], v[5:6], v[19:20]
	v_fma_f64 v[43:44], v[3:4], v[17:18], -v[43:44]
	v_mul_f64 v[3:4], v[3:4], v[19:20]
	v_add_f64 v[35:36], v[35:36], v[43:44]
	v_fma_f64 v[3:4], v[5:6], v[17:18], v[3:4]
	v_add_f64 v[37:38], v[3:4], v[37:38]
	ds_read_b128 v[3:6], v34 offset:2128
	s_waitcnt lgkmcnt(0)
	v_mul_f64 v[43:44], v[5:6], v[15:16]
	v_mul_f64 v[15:16], v[3:4], v[15:16]
	v_fma_f64 v[43:44], v[3:4], v[13:14], -v[43:44]
	v_fma_f64 v[13:14], v[5:6], v[13:14], v[15:16]
	v_add_f64 v[39:40], v[39:40], v[43:44]
	v_add_f64 v[41:42], v[13:14], v[41:42]
	v_mul_f64 v[13:14], v[5:6], v[19:20]
	v_fma_f64 v[13:14], v[3:4], v[17:18], -v[13:14]
	v_mul_f64 v[3:4], v[3:4], v[19:20]
	v_add_f64 v[21:22], v[21:22], v[13:14]
	v_fma_f64 v[3:4], v[5:6], v[17:18], v[3:4]
	;; [unrolled: 31-line block ×3, first 2 shown]
	v_add_f64 v[45:46], v[3:4], v[23:24]
	ds_read_b128 v[3:6], v34 offset:112
	ds_read_b128 v[17:20], v33 offset:3584
	s_waitcnt lgkmcnt(0)
	v_mul_f64 v[13:14], v[5:6], v[19:20]
	v_mul_f64 v[15:16], v[3:4], v[19:20]
	v_fma_f64 v[13:14], v[3:4], v[17:18], -v[13:14]
	v_fma_f64 v[15:16], v[5:6], v[17:18], v[15:16]
	v_add_f64 v[21:22], v[25:26], v[13:14]
	v_add_f64 v[23:24], v[15:16], v[27:28]
	ds_read_b128 v[25:28], v33 offset:3840
	s_waitcnt lgkmcnt(0)
	v_mul_f64 v[13:14], v[5:6], v[27:28]
	v_fma_f64 v[13:14], v[3:4], v[25:26], -v[13:14]
	v_mul_f64 v[3:4], v[3:4], v[27:28]
	v_add_f64 v[13:14], v[35:36], v[13:14]
	v_fma_f64 v[3:4], v[5:6], v[25:26], v[3:4]
	v_add_f64 v[15:16], v[3:4], v[37:38]
	ds_read_b128 v[3:6], v34 offset:2160
	s_waitcnt lgkmcnt(0)
	s_barrier
	v_mul_f64 v[35:36], v[5:6], v[19:20]
	v_mul_f64 v[19:20], v[3:4], v[19:20]
	v_fma_f64 v[35:36], v[3:4], v[17:18], -v[35:36]
	v_fma_f64 v[19:20], v[5:6], v[17:18], v[19:20]
	v_add_f64 v[17:18], v[39:40], v[35:36]
	v_mul_f64 v[35:36], v[5:6], v[27:28]
	v_add_f64 v[19:20], v[19:20], v[41:42]
	v_fma_f64 v[35:36], v[3:4], v[25:26], -v[35:36]
	v_mul_f64 v[3:4], v[3:4], v[27:28]
	v_fma_f64 v[3:4], v[5:6], v[25:26], v[3:4]
	v_add_f64 v[25:26], v[43:44], v[35:36]
	v_add_f64 v[27:28], v[3:4], v[45:46]
	s_cbranch_vccnz .LBB1834_10
.LBB1834_3:                             ; =>This Inner Loop Header: Depth=1
	v_mov_b32_e32 v4, s3
	v_add_co_u32_e32 v3, vcc, s2, v29
	v_addc_co_u32_e32 v4, vcc, 0, v4, vcc
	v_cmp_gt_i64_e32 vcc, s[12:13], v[3:4]
	v_mov_b32_e32 v3, 0
	v_mov_b32_e32 v5, 0
	;; [unrolled: 1-line block ×4, first 2 shown]
	s_and_b64 s[8:9], s[0:1], vcc
	s_and_saveexec_b64 s[6:7], s[8:9]
	s_cbranch_execz .LBB1834_5
; %bb.4:                                ;   in Loop: Header=BB1834_3 Depth=1
	flat_load_dwordx4 v[3:6], v[7:8]
	s_waitcnt vmcnt(0) lgkmcnt(0)
	v_xor_b32_e32 v6, 0x80000000, v6
.LBB1834_5:                             ;   in Loop: Header=BB1834_3 Depth=1
	s_or_b64 exec, exec, s[6:7]
	v_mov_b32_e32 v36, s3
	v_add_co_u32_e32 v35, vcc, s2, v30
	v_addc_co_u32_e32 v36, vcc, 0, v36, vcc
	v_cmp_le_i64_e32 vcc, s[12:13], v[35:36]
	ds_write_b128 v31, v[3:6]
	s_or_b64 s[6:7], vcc, s[4:5]
	s_and_saveexec_b64 s[8:9], s[6:7]
	s_xor_b64 s[6:7], exec, s[8:9]
; %bb.6:                                ;   in Loop: Header=BB1834_3 Depth=1
	v_mov_b32_e32 v3, v2
	v_mov_b32_e32 v4, v2
	;; [unrolled: 1-line block ×3, first 2 shown]
	ds_write_b128 v32, v[2:5]
; %bb.7:                                ;   in Loop: Header=BB1834_3 Depth=1
	s_andn2_saveexec_b64 s[6:7], s[6:7]
	s_cbranch_execz .LBB1834_2
; %bb.8:                                ;   in Loop: Header=BB1834_3 Depth=1
	flat_load_dwordx4 v[3:6], v[9:10]
	s_waitcnt vmcnt(0) lgkmcnt(0)
	ds_write2_b64 v32, v[3:4], v[5:6] offset1:1
	s_branch .LBB1834_2
.LBB1834_9:
	v_mov_b32_e32 v21, 0
	v_mov_b32_e32 v23, 0
	;; [unrolled: 1-line block ×16, first 2 shown]
.LBB1834_10:
	v_add_u32_e32 v4, s26, v1
	v_ashrrev_i32_e32 v1, 31, v4
	v_mul_lo_u32 v3, s22, v1
	v_mul_lo_u32 v5, s23, v4
	v_mad_u64_u32 v[1:2], s[0:1], s22, v4, 0
	v_add_u32_e32 v0, s25, v0
	v_cmp_le_i32_e64 s[0:1], v4, v0
	v_add3_u32 v2, v2, v3, v5
	v_lshlrev_b64 v[1:2], 4, v[1:2]
	s_waitcnt lgkmcnt(0)
	v_mov_b32_e32 v3, s21
	v_add_co_u32_e32 v5, vcc, s20, v1
	v_addc_co_u32_e32 v6, vcc, v3, v2, vcc
	v_cmp_gt_i32_e32 vcc, s24, v0
	s_and_b64 s[0:1], s[0:1], vcc
	s_and_saveexec_b64 s[2:3], s[0:1]
	s_cbranch_execz .LBB1834_12
; %bb.11:
	v_mul_f64 v[2:3], s[14:15], v[23:24]
	v_mul_f64 v[7:8], s[16:17], v[23:24]
	v_ashrrev_i32_e32 v1, 31, v0
	v_lshlrev_b64 v[9:10], 4, v[0:1]
	v_add_co_u32_e64 v11, s[0:1], v5, v9
	v_addc_co_u32_e64 v12, s[0:1], v6, v10, s[0:1]
	v_fma_f64 v[2:3], s[16:17], v[21:22], v[2:3]
	v_fma_f64 v[7:8], s[14:15], v[21:22], -v[7:8]
	v_cmp_ne_u32_e64 s[0:1], v4, v0
	v_cndmask_b32_e64 v10, 0, v3, s[0:1]
	v_cndmask_b32_e64 v9, 0, v2, s[0:1]
	flat_store_dwordx4 v[11:12], v[7:10]
.LBB1834_12:
	s_or_b64 exec, exec, s[2:3]
	v_add_u32_e32 v2, 16, v0
	v_cmp_le_i32_e64 s[2:3], v4, v2
	v_cmp_gt_i32_e64 s[0:1], s24, v2
	s_and_b64 s[2:3], s[2:3], s[0:1]
	s_and_saveexec_b64 s[4:5], s[2:3]
	s_cbranch_execz .LBB1834_14
; %bb.13:
	v_mul_f64 v[7:8], s[14:15], v[15:16]
	v_mul_f64 v[9:10], s[16:17], v[15:16]
	v_ashrrev_i32_e32 v3, 31, v2
	v_lshlrev_b64 v[15:16], 4, v[2:3]
	v_add_co_u32_e64 v5, s[2:3], v5, v15
	v_addc_co_u32_e64 v6, s[2:3], v6, v16, s[2:3]
	v_fma_f64 v[11:12], s[16:17], v[13:14], v[7:8]
	v_fma_f64 v[7:8], s[14:15], v[13:14], -v[9:10]
	v_cmp_ne_u32_e64 s[2:3], v4, v2
	v_cndmask_b32_e64 v10, 0, v12, s[2:3]
	v_cndmask_b32_e64 v9, 0, v11, s[2:3]
	flat_store_dwordx4 v[5:6], v[7:10]
.LBB1834_14:
	s_or_b64 exec, exec, s[4:5]
	v_add_u32_e32 v3, 16, v4
	v_ashrrev_i32_e32 v1, 31, v3
	v_mul_lo_u32 v7, s23, v3
	v_mad_u64_u32 v[5:6], s[2:3], s22, v3, 0
	v_mul_lo_u32 v1, s22, v1
	v_add3_u32 v6, v6, v1, v7
	v_lshlrev_b64 v[5:6], 4, v[5:6]
	v_mov_b32_e32 v1, s21
	v_add_co_u32_e64 v5, s[2:3], s20, v5
	v_addc_co_u32_e64 v6, s[2:3], v1, v6, s[2:3]
	v_cmp_le_i32_e64 s[2:3], v3, v0
	s_and_b64 s[4:5], s[2:3], vcc
	s_and_saveexec_b64 s[2:3], s[4:5]
	s_cbranch_execz .LBB1834_16
; %bb.15:
	v_mul_f64 v[7:8], s[14:15], v[19:20]
	v_mul_f64 v[9:10], s[16:17], v[19:20]
	v_ashrrev_i32_e32 v1, 31, v0
	v_lshlrev_b64 v[13:14], 4, v[0:1]
	v_add_co_u32_e32 v13, vcc, v5, v13
	v_addc_co_u32_e32 v14, vcc, v6, v14, vcc
	v_fma_f64 v[11:12], s[16:17], v[17:18], v[7:8]
	v_fma_f64 v[7:8], s[14:15], v[17:18], -v[9:10]
	v_cmp_ne_u32_e32 vcc, v3, v0
	v_cndmask_b32_e32 v10, 0, v12, vcc
	v_cndmask_b32_e32 v9, 0, v11, vcc
	flat_store_dwordx4 v[13:14], v[7:10]
.LBB1834_16:
	s_or_b64 exec, exec, s[2:3]
	v_cmp_le_i32_e32 vcc, v3, v2
	s_and_b64 s[0:1], vcc, s[0:1]
	s_and_saveexec_b64 s[2:3], s[0:1]
	s_cbranch_execz .LBB1834_18
; %bb.17:
	v_mul_f64 v[7:8], s[14:15], v[27:28]
	v_mul_f64 v[9:10], s[16:17], v[27:28]
	v_ashrrev_i32_e32 v3, 31, v2
	v_lshlrev_b64 v[11:12], 4, v[2:3]
	v_add_co_u32_e32 v5, vcc, v5, v11
	v_addc_co_u32_e32 v6, vcc, v6, v12, vcc
	v_fma_f64 v[7:8], s[16:17], v[25:26], v[7:8]
	v_fma_f64 v[1:2], s[14:15], v[25:26], -v[9:10]
	v_cmp_ne_u32_e32 vcc, v4, v0
	v_cndmask_b32_e32 v4, 0, v8, vcc
	v_cndmask_b32_e32 v3, 0, v7, vcc
	flat_store_dwordx4 v[5:6], v[1:4]
.LBB1834_18:
	s_endpgm
	.section	.rodata,"a",@progbits
	.p2align	6, 0x0
	.amdhsa_kernel _ZL34rocblas_syrkx_herkx_general_kernelIl19rocblas_complex_numIdELi16ELi32ELi8ELb1ELb1ELc67ELc76EKPKS1_KPS1_EviT_T0_PT8_S7_lSA_S7_lS8_PT9_S7_li
		.amdhsa_group_segment_fixed_size 8192
		.amdhsa_private_segment_fixed_size 0
		.amdhsa_kernarg_size 124
		.amdhsa_user_sgpr_count 6
		.amdhsa_user_sgpr_private_segment_buffer 1
		.amdhsa_user_sgpr_dispatch_ptr 0
		.amdhsa_user_sgpr_queue_ptr 0
		.amdhsa_user_sgpr_kernarg_segment_ptr 1
		.amdhsa_user_sgpr_dispatch_id 0
		.amdhsa_user_sgpr_flat_scratch_init 0
		.amdhsa_user_sgpr_private_segment_size 0
		.amdhsa_uses_dynamic_stack 0
		.amdhsa_system_sgpr_private_segment_wavefront_offset 0
		.amdhsa_system_sgpr_workgroup_id_x 1
		.amdhsa_system_sgpr_workgroup_id_y 1
		.amdhsa_system_sgpr_workgroup_id_z 1
		.amdhsa_system_sgpr_workgroup_info 0
		.amdhsa_system_vgpr_workitem_id 1
		.amdhsa_next_free_vgpr 59
		.amdhsa_next_free_sgpr 61
		.amdhsa_reserve_vcc 1
		.amdhsa_reserve_flat_scratch 0
		.amdhsa_float_round_mode_32 0
		.amdhsa_float_round_mode_16_64 0
		.amdhsa_float_denorm_mode_32 3
		.amdhsa_float_denorm_mode_16_64 3
		.amdhsa_dx10_clamp 1
		.amdhsa_ieee_mode 1
		.amdhsa_fp16_overflow 0
		.amdhsa_exception_fp_ieee_invalid_op 0
		.amdhsa_exception_fp_denorm_src 0
		.amdhsa_exception_fp_ieee_div_zero 0
		.amdhsa_exception_fp_ieee_overflow 0
		.amdhsa_exception_fp_ieee_underflow 0
		.amdhsa_exception_fp_ieee_inexact 0
		.amdhsa_exception_int_div_zero 0
	.end_amdhsa_kernel
	.section	.text._ZL34rocblas_syrkx_herkx_general_kernelIl19rocblas_complex_numIdELi16ELi32ELi8ELb1ELb1ELc67ELc76EKPKS1_KPS1_EviT_T0_PT8_S7_lSA_S7_lS8_PT9_S7_li,"axG",@progbits,_ZL34rocblas_syrkx_herkx_general_kernelIl19rocblas_complex_numIdELi16ELi32ELi8ELb1ELb1ELc67ELc76EKPKS1_KPS1_EviT_T0_PT8_S7_lSA_S7_lS8_PT9_S7_li,comdat
.Lfunc_end1834:
	.size	_ZL34rocblas_syrkx_herkx_general_kernelIl19rocblas_complex_numIdELi16ELi32ELi8ELb1ELb1ELc67ELc76EKPKS1_KPS1_EviT_T0_PT8_S7_lSA_S7_lS8_PT9_S7_li, .Lfunc_end1834-_ZL34rocblas_syrkx_herkx_general_kernelIl19rocblas_complex_numIdELi16ELi32ELi8ELb1ELb1ELc67ELc76EKPKS1_KPS1_EviT_T0_PT8_S7_lSA_S7_lS8_PT9_S7_li
                                        ; -- End function
	.set _ZL34rocblas_syrkx_herkx_general_kernelIl19rocblas_complex_numIdELi16ELi32ELi8ELb1ELb1ELc67ELc76EKPKS1_KPS1_EviT_T0_PT8_S7_lSA_S7_lS8_PT9_S7_li.num_vgpr, 59
	.set _ZL34rocblas_syrkx_herkx_general_kernelIl19rocblas_complex_numIdELi16ELi32ELi8ELb1ELb1ELc67ELc76EKPKS1_KPS1_EviT_T0_PT8_S7_lSA_S7_lS8_PT9_S7_li.num_agpr, 0
	.set _ZL34rocblas_syrkx_herkx_general_kernelIl19rocblas_complex_numIdELi16ELi32ELi8ELb1ELb1ELc67ELc76EKPKS1_KPS1_EviT_T0_PT8_S7_lSA_S7_lS8_PT9_S7_li.numbered_sgpr, 27
	.set _ZL34rocblas_syrkx_herkx_general_kernelIl19rocblas_complex_numIdELi16ELi32ELi8ELb1ELb1ELc67ELc76EKPKS1_KPS1_EviT_T0_PT8_S7_lSA_S7_lS8_PT9_S7_li.num_named_barrier, 0
	.set _ZL34rocblas_syrkx_herkx_general_kernelIl19rocblas_complex_numIdELi16ELi32ELi8ELb1ELb1ELc67ELc76EKPKS1_KPS1_EviT_T0_PT8_S7_lSA_S7_lS8_PT9_S7_li.private_seg_size, 0
	.set _ZL34rocblas_syrkx_herkx_general_kernelIl19rocblas_complex_numIdELi16ELi32ELi8ELb1ELb1ELc67ELc76EKPKS1_KPS1_EviT_T0_PT8_S7_lSA_S7_lS8_PT9_S7_li.uses_vcc, 1
	.set _ZL34rocblas_syrkx_herkx_general_kernelIl19rocblas_complex_numIdELi16ELi32ELi8ELb1ELb1ELc67ELc76EKPKS1_KPS1_EviT_T0_PT8_S7_lSA_S7_lS8_PT9_S7_li.uses_flat_scratch, 0
	.set _ZL34rocblas_syrkx_herkx_general_kernelIl19rocblas_complex_numIdELi16ELi32ELi8ELb1ELb1ELc67ELc76EKPKS1_KPS1_EviT_T0_PT8_S7_lSA_S7_lS8_PT9_S7_li.has_dyn_sized_stack, 0
	.set _ZL34rocblas_syrkx_herkx_general_kernelIl19rocblas_complex_numIdELi16ELi32ELi8ELb1ELb1ELc67ELc76EKPKS1_KPS1_EviT_T0_PT8_S7_lSA_S7_lS8_PT9_S7_li.has_recursion, 0
	.set _ZL34rocblas_syrkx_herkx_general_kernelIl19rocblas_complex_numIdELi16ELi32ELi8ELb1ELb1ELc67ELc76EKPKS1_KPS1_EviT_T0_PT8_S7_lSA_S7_lS8_PT9_S7_li.has_indirect_call, 0
	.section	.AMDGPU.csdata,"",@progbits
; Kernel info:
; codeLenInByte = 3224
; TotalNumSgprs: 31
; NumVgprs: 59
; ScratchSize: 0
; MemoryBound: 1
; FloatMode: 240
; IeeeMode: 1
; LDSByteSize: 8192 bytes/workgroup (compile time only)
; SGPRBlocks: 8
; VGPRBlocks: 14
; NumSGPRsForWavesPerEU: 65
; NumVGPRsForWavesPerEU: 59
; Occupancy: 4
; WaveLimiterHint : 1
; COMPUTE_PGM_RSRC2:SCRATCH_EN: 0
; COMPUTE_PGM_RSRC2:USER_SGPR: 6
; COMPUTE_PGM_RSRC2:TRAP_HANDLER: 0
; COMPUTE_PGM_RSRC2:TGID_X_EN: 1
; COMPUTE_PGM_RSRC2:TGID_Y_EN: 1
; COMPUTE_PGM_RSRC2:TGID_Z_EN: 1
; COMPUTE_PGM_RSRC2:TIDIG_COMP_CNT: 1
	.section	.text._ZL34rocblas_syrkx_herkx_general_kernelIl19rocblas_complex_numIdELi16ELi32ELi8ELb1ELb1ELc78ELc76EKPKS1_KPS1_EviT_T0_PT8_S7_lSA_S7_lS8_PT9_S7_li,"axG",@progbits,_ZL34rocblas_syrkx_herkx_general_kernelIl19rocblas_complex_numIdELi16ELi32ELi8ELb1ELb1ELc78ELc76EKPKS1_KPS1_EviT_T0_PT8_S7_lSA_S7_lS8_PT9_S7_li,comdat
	.globl	_ZL34rocblas_syrkx_herkx_general_kernelIl19rocblas_complex_numIdELi16ELi32ELi8ELb1ELb1ELc78ELc76EKPKS1_KPS1_EviT_T0_PT8_S7_lSA_S7_lS8_PT9_S7_li ; -- Begin function _ZL34rocblas_syrkx_herkx_general_kernelIl19rocblas_complex_numIdELi16ELi32ELi8ELb1ELb1ELc78ELc76EKPKS1_KPS1_EviT_T0_PT8_S7_lSA_S7_lS8_PT9_S7_li
	.p2align	8
	.type	_ZL34rocblas_syrkx_herkx_general_kernelIl19rocblas_complex_numIdELi16ELi32ELi8ELb1ELb1ELc78ELc76EKPKS1_KPS1_EviT_T0_PT8_S7_lSA_S7_lS8_PT9_S7_li,@function
_ZL34rocblas_syrkx_herkx_general_kernelIl19rocblas_complex_numIdELi16ELi32ELi8ELb1ELb1ELc78ELc76EKPKS1_KPS1_EviT_T0_PT8_S7_lSA_S7_lS8_PT9_S7_li: ; @_ZL34rocblas_syrkx_herkx_general_kernelIl19rocblas_complex_numIdELi16ELi32ELi8ELb1ELb1ELc78ELc76EKPKS1_KPS1_EviT_T0_PT8_S7_lSA_S7_lS8_PT9_S7_li
; %bb.0:
	s_load_dwordx2 s[24:25], s[4:5], 0x28
	s_load_dwordx4 s[20:23], s[4:5], 0x60
	s_load_dword s26, s[4:5], 0x0
	s_load_dwordx8 s[12:19], s[4:5], 0x8
	s_mov_b32 s9, 0
	s_lshl_b64 s[0:1], s[8:9], 3
	s_waitcnt lgkmcnt(0)
	s_add_u32 s2, s20, s0
	s_addc_u32 s3, s21, s1
	s_load_dwordx2 s[20:21], s[2:3], 0x0
	v_cmp_lt_i64_e64 s[2:3], s[12:13], 1
	s_lshl_b32 s27, s6, 5
	s_lshl_b32 s28, s7, 5
	s_and_b64 vcc, exec, s[2:3]
	s_cbranch_vccnz .LBB1835_9
; %bb.1:
	s_load_dwordx4 s[8:11], s[4:5], 0x38
	v_lshl_add_u32 v3, v1, 4, v0
	v_and_b32_e32 v7, 31, v3
	v_or_b32_e32 v4, s27, v7
	v_lshrrev_b32_e32 v29, 5, v3
	s_waitcnt lgkmcnt(0)
	s_add_u32 s2, s8, s0
	s_addc_u32 s3, s9, s1
	s_load_dwordx2 s[6:7], s[2:3], 0x0
	v_cmp_gt_i32_e32 vcc, s26, v4
	v_mad_u64_u32 v[4:5], s[2:3], s24, v29, 0
	v_lshrrev_b32_e32 v6, 3, v3
	v_and_b32_e32 v30, 7, v0
	v_lshlrev_b32_e32 v3, 4, v7
	v_lshl_or_b32 v31, v29, 9, v3
	v_lshlrev_b32_e32 v3, 4, v30
	v_add_u32_e32 v2, s28, v6
	v_lshl_or_b32 v3, v6, 7, v3
	v_mad_u64_u32 v[5:6], s[2:3], s25, v29, v[5:6]
	v_mov_b32_e32 v6, 0x1000
	v_lshl_add_u32 v34, v1, 7, v6
	v_add_u32_e32 v6, s27, v7
	v_mad_u64_u32 v[9:10], s[2:3], s10, v30, 0
	v_ashrrev_i32_e32 v7, 31, v6
	v_lshlrev_b64 v[4:5], 4, v[4:5]
	v_lshlrev_b64 v[6:7], 4, v[6:7]
	s_add_u32 s0, s18, s0
	s_addc_u32 s1, s19, s1
	v_add_co_u32_e64 v6, s[2:3], v4, v6
	v_mov_b32_e32 v4, v10
	s_load_dwordx2 s[4:5], s[0:1], 0x0
	v_addc_co_u32_e64 v8, s[2:3], v5, v7, s[2:3]
	v_mad_u64_u32 v[4:5], s[2:3], s11, v30, v[4:5]
	v_add_u32_e32 v32, 0x1000, v3
	v_ashrrev_i32_e32 v3, 31, v2
	v_mov_b32_e32 v10, v4
	v_cmp_gt_i32_e64 s[0:1], s26, v2
	s_waitcnt lgkmcnt(0)
	v_mov_b32_e32 v11, s5
	v_add_co_u32_e64 v7, s[2:3], s4, v6
	v_lshlrev_b64 v[4:5], 4, v[9:10]
	v_lshlrev_b64 v[2:3], 4, v[2:3]
	v_addc_co_u32_e64 v8, s[2:3], v11, v8, s[2:3]
	v_add_co_u32_e64 v2, s[2:3], v4, v2
	v_addc_co_u32_e64 v3, s[2:3], v5, v3, s[2:3]
	v_mov_b32_e32 v4, s7
	v_add_co_u32_e64 v9, s[2:3], s6, v2
	v_addc_co_u32_e64 v10, s[2:3], v4, v3, s[2:3]
	s_lshl_b64 s[4:5], s[24:25], 7
	s_lshl_b64 s[2:3], s[10:11], 7
	v_mov_b32_e32 v27, 0
	v_mov_b32_e32 v11, s12
	;; [unrolled: 1-line block ×9, first 2 shown]
	v_lshlrev_b32_e32 v33, 4, v0
	s_mov_b64 s[6:7], 0
	v_mov_b32_e32 v28, 0
	s_xor_b64 s[8:9], vcc, -1
	v_mov_b32_e32 v35, s5
	v_mov_b32_e32 v36, s3
	;; [unrolled: 1-line block ×11, first 2 shown]
	s_branch .LBB1835_3
.LBB1835_2:                             ;   in Loop: Header=BB1835_3 Depth=1
	s_or_b64 exec, exec, s[10:11]
	ds_write_b128 v32, v[3:6]
	s_waitcnt lgkmcnt(0)
	s_barrier
	ds_read_b128 v[3:6], v34
	ds_read_b128 v[37:40], v34 offset:16
	ds_read_b128 v[41:44], v34 offset:32
	;; [unrolled: 1-line block ×3, first 2 shown]
	ds_read_b128 v[49:52], v33
	v_add_co_u32_e32 v7, vcc, s4, v7
	v_addc_co_u32_e32 v8, vcc, v8, v35, vcc
	s_waitcnt lgkmcnt(0)
	v_mul_f64 v[53:54], v[5:6], v[51:52]
	v_mul_f64 v[55:56], v[3:4], v[51:52]
	s_add_u32 s6, s6, 8
	v_add_co_u32_e32 v9, vcc, s2, v9
	s_addc_u32 s7, s7, 0
	v_addc_co_u32_e32 v10, vcc, v10, v36, vcc
	v_fma_f64 v[53:54], v[3:4], v[49:50], -v[53:54]
	v_fma_f64 v[55:56], v[5:6], v[49:50], v[55:56]
	v_cmp_ge_i64_e32 vcc, s[6:7], v[11:12]
	s_and_b64 vcc, exec, vcc
	v_add_f64 v[53:54], v[21:22], v[53:54]
	v_add_f64 v[55:56], v[55:56], v[23:24]
	ds_read_b128 v[21:24], v33 offset:256
	s_waitcnt lgkmcnt(0)
	v_mul_f64 v[57:58], v[5:6], v[23:24]
	v_fma_f64 v[57:58], v[3:4], v[21:22], -v[57:58]
	v_mul_f64 v[3:4], v[3:4], v[23:24]
	v_add_f64 v[57:58], v[13:14], v[57:58]
	v_fma_f64 v[3:4], v[5:6], v[21:22], v[3:4]
	v_add_f64 v[59:60], v[3:4], v[15:16]
	ds_read_b128 v[3:6], v34 offset:2048
	s_waitcnt lgkmcnt(0)
	v_mul_f64 v[13:14], v[5:6], v[51:52]
	v_mul_f64 v[15:16], v[3:4], v[51:52]
	v_fma_f64 v[13:14], v[3:4], v[49:50], -v[13:14]
	v_fma_f64 v[15:16], v[5:6], v[49:50], v[15:16]
	v_add_f64 v[49:50], v[17:18], v[13:14]
	v_mul_f64 v[13:14], v[5:6], v[23:24]
	v_add_f64 v[51:52], v[15:16], v[19:20]
	v_fma_f64 v[13:14], v[3:4], v[21:22], -v[13:14]
	v_mul_f64 v[3:4], v[3:4], v[23:24]
	v_fma_f64 v[3:4], v[5:6], v[21:22], v[3:4]
	v_add_f64 v[21:22], v[25:26], v[13:14]
	v_add_f64 v[23:24], v[3:4], v[27:28]
	ds_read_b128 v[3:6], v33 offset:512
	s_waitcnt lgkmcnt(0)
	v_mul_f64 v[13:14], v[39:40], v[5:6]
	v_mul_f64 v[15:16], v[37:38], v[5:6]
	v_fma_f64 v[13:14], v[37:38], v[3:4], -v[13:14]
	v_fma_f64 v[15:16], v[39:40], v[3:4], v[15:16]
	v_add_f64 v[25:26], v[53:54], v[13:14]
	v_add_f64 v[27:28], v[15:16], v[55:56]
	ds_read_b128 v[13:16], v33 offset:768
	s_waitcnt lgkmcnt(0)
	v_mul_f64 v[17:18], v[39:40], v[15:16]
	v_mul_f64 v[19:20], v[37:38], v[15:16]
	v_fma_f64 v[17:18], v[37:38], v[13:14], -v[17:18]
	;; [unrolled: 8-line block ×3, first 2 shown]
	v_fma_f64 v[3:4], v[19:20], v[3:4], v[5:6]
	v_mul_f64 v[5:6], v[17:18], v[15:16]
	v_add_f64 v[49:50], v[49:50], v[53:54]
	v_add_f64 v[51:52], v[3:4], v[51:52]
	v_mul_f64 v[3:4], v[19:20], v[15:16]
	v_fma_f64 v[5:6], v[19:20], v[13:14], v[5:6]
	v_fma_f64 v[3:4], v[17:18], v[13:14], -v[3:4]
	v_add_f64 v[23:24], v[5:6], v[23:24]
	v_add_f64 v[21:22], v[21:22], v[3:4]
	ds_read_b128 v[3:6], v33 offset:1024
	s_waitcnt lgkmcnt(0)
	v_mul_f64 v[13:14], v[43:44], v[5:6]
	v_mul_f64 v[15:16], v[41:42], v[5:6]
	v_fma_f64 v[13:14], v[41:42], v[3:4], -v[13:14]
	v_fma_f64 v[15:16], v[43:44], v[3:4], v[15:16]
	v_add_f64 v[25:26], v[25:26], v[13:14]
	v_add_f64 v[27:28], v[15:16], v[27:28]
	ds_read_b128 v[13:16], v33 offset:1280
	s_waitcnt lgkmcnt(0)
	v_mul_f64 v[17:18], v[43:44], v[15:16]
	v_mul_f64 v[19:20], v[41:42], v[15:16]
	v_fma_f64 v[17:18], v[41:42], v[13:14], -v[17:18]
	v_fma_f64 v[19:20], v[43:44], v[13:14], v[19:20]
	;; [unrolled: 8-line block ×3, first 2 shown]
	v_mul_f64 v[5:6], v[17:18], v[15:16]
	v_add_f64 v[41:42], v[49:50], v[41:42]
	v_add_f64 v[43:44], v[3:4], v[51:52]
	v_mul_f64 v[3:4], v[19:20], v[15:16]
	v_fma_f64 v[5:6], v[19:20], v[13:14], v[5:6]
	v_fma_f64 v[3:4], v[17:18], v[13:14], -v[3:4]
	v_add_f64 v[23:24], v[5:6], v[23:24]
	v_add_f64 v[21:22], v[21:22], v[3:4]
	ds_read_b128 v[3:6], v33 offset:1536
	s_waitcnt lgkmcnt(0)
	v_mul_f64 v[13:14], v[47:48], v[5:6]
	v_mul_f64 v[15:16], v[45:46], v[5:6]
	v_fma_f64 v[13:14], v[45:46], v[3:4], -v[13:14]
	v_fma_f64 v[15:16], v[47:48], v[3:4], v[15:16]
	v_add_f64 v[25:26], v[25:26], v[13:14]
	v_add_f64 v[27:28], v[15:16], v[27:28]
	ds_read_b128 v[13:16], v33 offset:1792
	s_waitcnt lgkmcnt(0)
	v_mul_f64 v[17:18], v[47:48], v[15:16]
	v_mul_f64 v[19:20], v[45:46], v[15:16]
	v_fma_f64 v[17:18], v[45:46], v[13:14], -v[17:18]
	v_fma_f64 v[19:20], v[47:48], v[13:14], v[19:20]
	v_add_f64 v[37:38], v[37:38], v[17:18]
	v_add_f64 v[39:40], v[19:20], v[39:40]
	ds_read_b128 v[17:20], v34 offset:2096
	s_waitcnt lgkmcnt(0)
	v_mul_f64 v[45:46], v[19:20], v[5:6]
	v_mul_f64 v[5:6], v[17:18], v[5:6]
	v_fma_f64 v[45:46], v[17:18], v[3:4], -v[45:46]
	v_fma_f64 v[3:4], v[19:20], v[3:4], v[5:6]
	v_mul_f64 v[5:6], v[17:18], v[15:16]
	v_add_f64 v[41:42], v[41:42], v[45:46]
	v_add_f64 v[43:44], v[3:4], v[43:44]
	v_mul_f64 v[3:4], v[19:20], v[15:16]
	v_fma_f64 v[5:6], v[19:20], v[13:14], v[5:6]
	v_fma_f64 v[3:4], v[17:18], v[13:14], -v[3:4]
	v_add_f64 v[23:24], v[5:6], v[23:24]
	v_add_f64 v[21:22], v[21:22], v[3:4]
	ds_read_b128 v[3:6], v34 offset:64
	ds_read_b128 v[13:16], v33 offset:2048
	s_waitcnt lgkmcnt(0)
	v_mul_f64 v[17:18], v[5:6], v[15:16]
	v_mul_f64 v[19:20], v[3:4], v[15:16]
	v_fma_f64 v[17:18], v[3:4], v[13:14], -v[17:18]
	v_fma_f64 v[19:20], v[5:6], v[13:14], v[19:20]
	v_add_f64 v[25:26], v[25:26], v[17:18]
	v_add_f64 v[27:28], v[19:20], v[27:28]
	ds_read_b128 v[17:20], v33 offset:2304
	s_waitcnt lgkmcnt(0)
	v_mul_f64 v[45:46], v[5:6], v[19:20]
	v_fma_f64 v[45:46], v[3:4], v[17:18], -v[45:46]
	v_mul_f64 v[3:4], v[3:4], v[19:20]
	v_add_f64 v[37:38], v[37:38], v[45:46]
	v_fma_f64 v[3:4], v[5:6], v[17:18], v[3:4]
	v_add_f64 v[39:40], v[3:4], v[39:40]
	ds_read_b128 v[3:6], v34 offset:2112
	s_waitcnt lgkmcnt(0)
	v_mul_f64 v[45:46], v[5:6], v[15:16]
	v_mul_f64 v[15:16], v[3:4], v[15:16]
	v_fma_f64 v[45:46], v[3:4], v[13:14], -v[45:46]
	v_fma_f64 v[13:14], v[5:6], v[13:14], v[15:16]
	v_add_f64 v[41:42], v[41:42], v[45:46]
	v_add_f64 v[43:44], v[13:14], v[43:44]
	v_mul_f64 v[13:14], v[5:6], v[19:20]
	v_fma_f64 v[13:14], v[3:4], v[17:18], -v[13:14]
	v_mul_f64 v[3:4], v[3:4], v[19:20]
	v_add_f64 v[21:22], v[21:22], v[13:14]
	v_fma_f64 v[3:4], v[5:6], v[17:18], v[3:4]
	v_add_f64 v[23:24], v[3:4], v[23:24]
	ds_read_b128 v[3:6], v34 offset:80
	ds_read_b128 v[13:16], v33 offset:2560
	s_waitcnt lgkmcnt(0)
	v_mul_f64 v[17:18], v[5:6], v[15:16]
	v_mul_f64 v[19:20], v[3:4], v[15:16]
	v_fma_f64 v[17:18], v[3:4], v[13:14], -v[17:18]
	v_fma_f64 v[19:20], v[5:6], v[13:14], v[19:20]
	v_add_f64 v[25:26], v[25:26], v[17:18]
	v_add_f64 v[27:28], v[19:20], v[27:28]
	ds_read_b128 v[17:20], v33 offset:2816
	s_waitcnt lgkmcnt(0)
	v_mul_f64 v[45:46], v[5:6], v[19:20]
	v_fma_f64 v[45:46], v[3:4], v[17:18], -v[45:46]
	v_mul_f64 v[3:4], v[3:4], v[19:20]
	v_add_f64 v[37:38], v[37:38], v[45:46]
	v_fma_f64 v[3:4], v[5:6], v[17:18], v[3:4]
	v_add_f64 v[39:40], v[3:4], v[39:40]
	ds_read_b128 v[3:6], v34 offset:2128
	s_waitcnt lgkmcnt(0)
	v_mul_f64 v[45:46], v[5:6], v[15:16]
	v_mul_f64 v[15:16], v[3:4], v[15:16]
	v_fma_f64 v[45:46], v[3:4], v[13:14], -v[45:46]
	v_fma_f64 v[13:14], v[5:6], v[13:14], v[15:16]
	v_add_f64 v[41:42], v[41:42], v[45:46]
	v_add_f64 v[43:44], v[13:14], v[43:44]
	v_mul_f64 v[13:14], v[5:6], v[19:20]
	v_fma_f64 v[13:14], v[3:4], v[17:18], -v[13:14]
	v_mul_f64 v[3:4], v[3:4], v[19:20]
	v_add_f64 v[21:22], v[21:22], v[13:14]
	v_fma_f64 v[3:4], v[5:6], v[17:18], v[3:4]
	;; [unrolled: 31-line block ×3, first 2 shown]
	v_add_f64 v[47:48], v[3:4], v[23:24]
	ds_read_b128 v[3:6], v34 offset:112
	ds_read_b128 v[17:20], v33 offset:3584
	s_waitcnt lgkmcnt(0)
	v_mul_f64 v[13:14], v[5:6], v[19:20]
	v_mul_f64 v[15:16], v[3:4], v[19:20]
	v_fma_f64 v[13:14], v[3:4], v[17:18], -v[13:14]
	v_fma_f64 v[15:16], v[5:6], v[17:18], v[15:16]
	v_add_f64 v[21:22], v[25:26], v[13:14]
	v_add_f64 v[23:24], v[15:16], v[27:28]
	ds_read_b128 v[25:28], v33 offset:3840
	s_waitcnt lgkmcnt(0)
	v_mul_f64 v[13:14], v[5:6], v[27:28]
	v_fma_f64 v[13:14], v[3:4], v[25:26], -v[13:14]
	v_mul_f64 v[3:4], v[3:4], v[27:28]
	v_add_f64 v[13:14], v[37:38], v[13:14]
	v_fma_f64 v[3:4], v[5:6], v[25:26], v[3:4]
	v_add_f64 v[15:16], v[3:4], v[39:40]
	ds_read_b128 v[3:6], v34 offset:2160
	s_waitcnt lgkmcnt(0)
	s_barrier
	v_mul_f64 v[37:38], v[5:6], v[19:20]
	v_mul_f64 v[19:20], v[3:4], v[19:20]
	v_fma_f64 v[37:38], v[3:4], v[17:18], -v[37:38]
	v_fma_f64 v[19:20], v[5:6], v[17:18], v[19:20]
	v_add_f64 v[17:18], v[41:42], v[37:38]
	v_mul_f64 v[37:38], v[5:6], v[27:28]
	v_add_f64 v[19:20], v[19:20], v[43:44]
	v_fma_f64 v[37:38], v[3:4], v[25:26], -v[37:38]
	v_mul_f64 v[3:4], v[3:4], v[27:28]
	v_fma_f64 v[3:4], v[5:6], v[25:26], v[3:4]
	v_add_f64 v[25:26], v[45:46], v[37:38]
	v_add_f64 v[27:28], v[3:4], v[47:48]
	s_cbranch_vccnz .LBB1835_10
.LBB1835_3:                             ; =>This Inner Loop Header: Depth=1
	v_mov_b32_e32 v4, s7
	v_add_co_u32_e32 v3, vcc, s6, v29
	v_addc_co_u32_e32 v4, vcc, 0, v4, vcc
	v_cmp_le_i64_e32 vcc, s[12:13], v[3:4]
	s_or_b64 s[10:11], s[8:9], vcc
	s_and_saveexec_b64 s[18:19], s[10:11]
	s_xor_b64 s[10:11], exec, s[18:19]
; %bb.4:                                ;   in Loop: Header=BB1835_3 Depth=1
	v_mov_b32_e32 v3, v2
	v_mov_b32_e32 v4, v2
	;; [unrolled: 1-line block ×3, first 2 shown]
	ds_write_b128 v31, v[2:5]
; %bb.5:                                ;   in Loop: Header=BB1835_3 Depth=1
	s_andn2_saveexec_b64 s[10:11], s[10:11]
	s_cbranch_execz .LBB1835_7
; %bb.6:                                ;   in Loop: Header=BB1835_3 Depth=1
	flat_load_dwordx4 v[3:6], v[7:8]
	s_waitcnt vmcnt(0) lgkmcnt(0)
	ds_write2_b64 v31, v[3:4], v[5:6] offset1:1
.LBB1835_7:                             ;   in Loop: Header=BB1835_3 Depth=1
	s_or_b64 exec, exec, s[10:11]
	v_mov_b32_e32 v4, s7
	v_add_co_u32_e32 v3, vcc, s6, v30
	v_addc_co_u32_e32 v4, vcc, 0, v4, vcc
	v_cmp_gt_i64_e32 vcc, s[12:13], v[3:4]
	v_mov_b32_e32 v3, 0
	v_mov_b32_e32 v5, 0
	;; [unrolled: 1-line block ×4, first 2 shown]
	s_and_b64 s[18:19], vcc, s[0:1]
	s_and_saveexec_b64 s[10:11], s[18:19]
	s_cbranch_execz .LBB1835_2
; %bb.8:                                ;   in Loop: Header=BB1835_3 Depth=1
	flat_load_dwordx4 v[3:6], v[9:10]
	s_waitcnt vmcnt(0) lgkmcnt(0)
	v_xor_b32_e32 v6, 0x80000000, v6
	s_branch .LBB1835_2
.LBB1835_9:
	v_mov_b32_e32 v21, 0
	v_mov_b32_e32 v23, 0
	;; [unrolled: 1-line block ×16, first 2 shown]
.LBB1835_10:
	v_add_u32_e32 v4, s28, v1
	v_ashrrev_i32_e32 v1, 31, v4
	v_mul_lo_u32 v3, s22, v1
	v_mul_lo_u32 v5, s23, v4
	v_mad_u64_u32 v[1:2], s[0:1], s22, v4, 0
	v_add_u32_e32 v0, s27, v0
	v_cmp_le_i32_e64 s[0:1], v4, v0
	v_add3_u32 v2, v2, v3, v5
	v_lshlrev_b64 v[1:2], 4, v[1:2]
	s_waitcnt lgkmcnt(0)
	v_mov_b32_e32 v3, s21
	v_add_co_u32_e32 v5, vcc, s20, v1
	v_addc_co_u32_e32 v6, vcc, v3, v2, vcc
	v_cmp_gt_i32_e32 vcc, s26, v0
	s_and_b64 s[0:1], s[0:1], vcc
	s_and_saveexec_b64 s[2:3], s[0:1]
	s_cbranch_execz .LBB1835_12
; %bb.11:
	v_mul_f64 v[2:3], s[14:15], v[23:24]
	v_mul_f64 v[7:8], s[16:17], v[23:24]
	v_ashrrev_i32_e32 v1, 31, v0
	v_lshlrev_b64 v[9:10], 4, v[0:1]
	v_add_co_u32_e64 v11, s[0:1], v5, v9
	v_addc_co_u32_e64 v12, s[0:1], v6, v10, s[0:1]
	v_fma_f64 v[2:3], s[16:17], v[21:22], v[2:3]
	v_fma_f64 v[7:8], s[14:15], v[21:22], -v[7:8]
	v_cmp_ne_u32_e64 s[0:1], v4, v0
	v_cndmask_b32_e64 v10, 0, v3, s[0:1]
	v_cndmask_b32_e64 v9, 0, v2, s[0:1]
	flat_store_dwordx4 v[11:12], v[7:10]
.LBB1835_12:
	s_or_b64 exec, exec, s[2:3]
	v_add_u32_e32 v2, 16, v0
	v_cmp_le_i32_e64 s[2:3], v4, v2
	v_cmp_gt_i32_e64 s[0:1], s26, v2
	s_and_b64 s[2:3], s[2:3], s[0:1]
	s_and_saveexec_b64 s[4:5], s[2:3]
	s_cbranch_execz .LBB1835_14
; %bb.13:
	v_mul_f64 v[7:8], s[14:15], v[15:16]
	v_mul_f64 v[9:10], s[16:17], v[15:16]
	v_ashrrev_i32_e32 v3, 31, v2
	v_lshlrev_b64 v[15:16], 4, v[2:3]
	v_add_co_u32_e64 v5, s[2:3], v5, v15
	v_addc_co_u32_e64 v6, s[2:3], v6, v16, s[2:3]
	v_fma_f64 v[11:12], s[16:17], v[13:14], v[7:8]
	v_fma_f64 v[7:8], s[14:15], v[13:14], -v[9:10]
	v_cmp_ne_u32_e64 s[2:3], v4, v2
	v_cndmask_b32_e64 v10, 0, v12, s[2:3]
	v_cndmask_b32_e64 v9, 0, v11, s[2:3]
	flat_store_dwordx4 v[5:6], v[7:10]
.LBB1835_14:
	s_or_b64 exec, exec, s[4:5]
	v_add_u32_e32 v3, 16, v4
	v_ashrrev_i32_e32 v1, 31, v3
	v_mul_lo_u32 v7, s23, v3
	v_mad_u64_u32 v[5:6], s[2:3], s22, v3, 0
	v_mul_lo_u32 v1, s22, v1
	v_add3_u32 v6, v6, v1, v7
	v_lshlrev_b64 v[5:6], 4, v[5:6]
	v_mov_b32_e32 v1, s21
	v_add_co_u32_e64 v5, s[2:3], s20, v5
	v_addc_co_u32_e64 v6, s[2:3], v1, v6, s[2:3]
	v_cmp_le_i32_e64 s[2:3], v3, v0
	s_and_b64 s[4:5], s[2:3], vcc
	s_and_saveexec_b64 s[2:3], s[4:5]
	s_cbranch_execz .LBB1835_16
; %bb.15:
	v_mul_f64 v[7:8], s[14:15], v[19:20]
	v_mul_f64 v[9:10], s[16:17], v[19:20]
	v_ashrrev_i32_e32 v1, 31, v0
	v_lshlrev_b64 v[13:14], 4, v[0:1]
	v_add_co_u32_e32 v13, vcc, v5, v13
	v_addc_co_u32_e32 v14, vcc, v6, v14, vcc
	v_fma_f64 v[11:12], s[16:17], v[17:18], v[7:8]
	v_fma_f64 v[7:8], s[14:15], v[17:18], -v[9:10]
	v_cmp_ne_u32_e32 vcc, v3, v0
	v_cndmask_b32_e32 v10, 0, v12, vcc
	v_cndmask_b32_e32 v9, 0, v11, vcc
	flat_store_dwordx4 v[13:14], v[7:10]
.LBB1835_16:
	s_or_b64 exec, exec, s[2:3]
	v_cmp_le_i32_e32 vcc, v3, v2
	s_and_b64 s[0:1], vcc, s[0:1]
	s_and_saveexec_b64 s[2:3], s[0:1]
	s_cbranch_execz .LBB1835_18
; %bb.17:
	v_mul_f64 v[7:8], s[14:15], v[27:28]
	v_mul_f64 v[9:10], s[16:17], v[27:28]
	v_ashrrev_i32_e32 v3, 31, v2
	v_lshlrev_b64 v[11:12], 4, v[2:3]
	v_add_co_u32_e32 v5, vcc, v5, v11
	v_addc_co_u32_e32 v6, vcc, v6, v12, vcc
	v_fma_f64 v[7:8], s[16:17], v[25:26], v[7:8]
	v_fma_f64 v[1:2], s[14:15], v[25:26], -v[9:10]
	v_cmp_ne_u32_e32 vcc, v4, v0
	v_cndmask_b32_e32 v4, 0, v8, vcc
	v_cndmask_b32_e32 v3, 0, v7, vcc
	flat_store_dwordx4 v[5:6], v[1:4]
.LBB1835_18:
	s_endpgm
	.section	.rodata,"a",@progbits
	.p2align	6, 0x0
	.amdhsa_kernel _ZL34rocblas_syrkx_herkx_general_kernelIl19rocblas_complex_numIdELi16ELi32ELi8ELb1ELb1ELc78ELc76EKPKS1_KPS1_EviT_T0_PT8_S7_lSA_S7_lS8_PT9_S7_li
		.amdhsa_group_segment_fixed_size 8192
		.amdhsa_private_segment_fixed_size 0
		.amdhsa_kernarg_size 124
		.amdhsa_user_sgpr_count 6
		.amdhsa_user_sgpr_private_segment_buffer 1
		.amdhsa_user_sgpr_dispatch_ptr 0
		.amdhsa_user_sgpr_queue_ptr 0
		.amdhsa_user_sgpr_kernarg_segment_ptr 1
		.amdhsa_user_sgpr_dispatch_id 0
		.amdhsa_user_sgpr_flat_scratch_init 0
		.amdhsa_user_sgpr_private_segment_size 0
		.amdhsa_uses_dynamic_stack 0
		.amdhsa_system_sgpr_private_segment_wavefront_offset 0
		.amdhsa_system_sgpr_workgroup_id_x 1
		.amdhsa_system_sgpr_workgroup_id_y 1
		.amdhsa_system_sgpr_workgroup_id_z 1
		.amdhsa_system_sgpr_workgroup_info 0
		.amdhsa_system_vgpr_workitem_id 1
		.amdhsa_next_free_vgpr 61
		.amdhsa_next_free_sgpr 61
		.amdhsa_reserve_vcc 1
		.amdhsa_reserve_flat_scratch 0
		.amdhsa_float_round_mode_32 0
		.amdhsa_float_round_mode_16_64 0
		.amdhsa_float_denorm_mode_32 3
		.amdhsa_float_denorm_mode_16_64 3
		.amdhsa_dx10_clamp 1
		.amdhsa_ieee_mode 1
		.amdhsa_fp16_overflow 0
		.amdhsa_exception_fp_ieee_invalid_op 0
		.amdhsa_exception_fp_denorm_src 0
		.amdhsa_exception_fp_ieee_div_zero 0
		.amdhsa_exception_fp_ieee_overflow 0
		.amdhsa_exception_fp_ieee_underflow 0
		.amdhsa_exception_fp_ieee_inexact 0
		.amdhsa_exception_int_div_zero 0
	.end_amdhsa_kernel
	.section	.text._ZL34rocblas_syrkx_herkx_general_kernelIl19rocblas_complex_numIdELi16ELi32ELi8ELb1ELb1ELc78ELc76EKPKS1_KPS1_EviT_T0_PT8_S7_lSA_S7_lS8_PT9_S7_li,"axG",@progbits,_ZL34rocblas_syrkx_herkx_general_kernelIl19rocblas_complex_numIdELi16ELi32ELi8ELb1ELb1ELc78ELc76EKPKS1_KPS1_EviT_T0_PT8_S7_lSA_S7_lS8_PT9_S7_li,comdat
.Lfunc_end1835:
	.size	_ZL34rocblas_syrkx_herkx_general_kernelIl19rocblas_complex_numIdELi16ELi32ELi8ELb1ELb1ELc78ELc76EKPKS1_KPS1_EviT_T0_PT8_S7_lSA_S7_lS8_PT9_S7_li, .Lfunc_end1835-_ZL34rocblas_syrkx_herkx_general_kernelIl19rocblas_complex_numIdELi16ELi32ELi8ELb1ELb1ELc78ELc76EKPKS1_KPS1_EviT_T0_PT8_S7_lSA_S7_lS8_PT9_S7_li
                                        ; -- End function
	.set _ZL34rocblas_syrkx_herkx_general_kernelIl19rocblas_complex_numIdELi16ELi32ELi8ELb1ELb1ELc78ELc76EKPKS1_KPS1_EviT_T0_PT8_S7_lSA_S7_lS8_PT9_S7_li.num_vgpr, 61
	.set _ZL34rocblas_syrkx_herkx_general_kernelIl19rocblas_complex_numIdELi16ELi32ELi8ELb1ELb1ELc78ELc76EKPKS1_KPS1_EviT_T0_PT8_S7_lSA_S7_lS8_PT9_S7_li.num_agpr, 0
	.set _ZL34rocblas_syrkx_herkx_general_kernelIl19rocblas_complex_numIdELi16ELi32ELi8ELb1ELb1ELc78ELc76EKPKS1_KPS1_EviT_T0_PT8_S7_lSA_S7_lS8_PT9_S7_li.numbered_sgpr, 29
	.set _ZL34rocblas_syrkx_herkx_general_kernelIl19rocblas_complex_numIdELi16ELi32ELi8ELb1ELb1ELc78ELc76EKPKS1_KPS1_EviT_T0_PT8_S7_lSA_S7_lS8_PT9_S7_li.num_named_barrier, 0
	.set _ZL34rocblas_syrkx_herkx_general_kernelIl19rocblas_complex_numIdELi16ELi32ELi8ELb1ELb1ELc78ELc76EKPKS1_KPS1_EviT_T0_PT8_S7_lSA_S7_lS8_PT9_S7_li.private_seg_size, 0
	.set _ZL34rocblas_syrkx_herkx_general_kernelIl19rocblas_complex_numIdELi16ELi32ELi8ELb1ELb1ELc78ELc76EKPKS1_KPS1_EviT_T0_PT8_S7_lSA_S7_lS8_PT9_S7_li.uses_vcc, 1
	.set _ZL34rocblas_syrkx_herkx_general_kernelIl19rocblas_complex_numIdELi16ELi32ELi8ELb1ELb1ELc78ELc76EKPKS1_KPS1_EviT_T0_PT8_S7_lSA_S7_lS8_PT9_S7_li.uses_flat_scratch, 0
	.set _ZL34rocblas_syrkx_herkx_general_kernelIl19rocblas_complex_numIdELi16ELi32ELi8ELb1ELb1ELc78ELc76EKPKS1_KPS1_EviT_T0_PT8_S7_lSA_S7_lS8_PT9_S7_li.has_dyn_sized_stack, 0
	.set _ZL34rocblas_syrkx_herkx_general_kernelIl19rocblas_complex_numIdELi16ELi32ELi8ELb1ELb1ELc78ELc76EKPKS1_KPS1_EviT_T0_PT8_S7_lSA_S7_lS8_PT9_S7_li.has_recursion, 0
	.set _ZL34rocblas_syrkx_herkx_general_kernelIl19rocblas_complex_numIdELi16ELi32ELi8ELb1ELb1ELc78ELc76EKPKS1_KPS1_EviT_T0_PT8_S7_lSA_S7_lS8_PT9_S7_li.has_indirect_call, 0
	.section	.AMDGPU.csdata,"",@progbits
; Kernel info:
; codeLenInByte = 3220
; TotalNumSgprs: 33
; NumVgprs: 61
; ScratchSize: 0
; MemoryBound: 1
; FloatMode: 240
; IeeeMode: 1
; LDSByteSize: 8192 bytes/workgroup (compile time only)
; SGPRBlocks: 8
; VGPRBlocks: 15
; NumSGPRsForWavesPerEU: 65
; NumVGPRsForWavesPerEU: 61
; Occupancy: 4
; WaveLimiterHint : 1
; COMPUTE_PGM_RSRC2:SCRATCH_EN: 0
; COMPUTE_PGM_RSRC2:USER_SGPR: 6
; COMPUTE_PGM_RSRC2:TRAP_HANDLER: 0
; COMPUTE_PGM_RSRC2:TGID_X_EN: 1
; COMPUTE_PGM_RSRC2:TGID_Y_EN: 1
; COMPUTE_PGM_RSRC2:TGID_Z_EN: 1
; COMPUTE_PGM_RSRC2:TIDIG_COMP_CNT: 1
	.section	.text._ZL34rocblas_syrkx_herkx_general_kernelIl19rocblas_complex_numIdELi16ELi32ELi8ELb1ELb1ELc84ELc85EKPKS1_KPS1_EviT_T0_PT8_S7_lSA_S7_lS8_PT9_S7_li,"axG",@progbits,_ZL34rocblas_syrkx_herkx_general_kernelIl19rocblas_complex_numIdELi16ELi32ELi8ELb1ELb1ELc84ELc85EKPKS1_KPS1_EviT_T0_PT8_S7_lSA_S7_lS8_PT9_S7_li,comdat
	.globl	_ZL34rocblas_syrkx_herkx_general_kernelIl19rocblas_complex_numIdELi16ELi32ELi8ELb1ELb1ELc84ELc85EKPKS1_KPS1_EviT_T0_PT8_S7_lSA_S7_lS8_PT9_S7_li ; -- Begin function _ZL34rocblas_syrkx_herkx_general_kernelIl19rocblas_complex_numIdELi16ELi32ELi8ELb1ELb1ELc84ELc85EKPKS1_KPS1_EviT_T0_PT8_S7_lSA_S7_lS8_PT9_S7_li
	.p2align	8
	.type	_ZL34rocblas_syrkx_herkx_general_kernelIl19rocblas_complex_numIdELi16ELi32ELi8ELb1ELb1ELc84ELc85EKPKS1_KPS1_EviT_T0_PT8_S7_lSA_S7_lS8_PT9_S7_li,@function
_ZL34rocblas_syrkx_herkx_general_kernelIl19rocblas_complex_numIdELi16ELi32ELi8ELb1ELb1ELc84ELc85EKPKS1_KPS1_EviT_T0_PT8_S7_lSA_S7_lS8_PT9_S7_li: ; @_ZL34rocblas_syrkx_herkx_general_kernelIl19rocblas_complex_numIdELi16ELi32ELi8ELb1ELb1ELc84ELc85EKPKS1_KPS1_EviT_T0_PT8_S7_lSA_S7_lS8_PT9_S7_li
; %bb.0:
	s_load_dwordx2 s[2:3], s[4:5], 0x28
	s_load_dwordx4 s[20:23], s[4:5], 0x60
	s_load_dword s24, s[4:5], 0x0
	s_load_dwordx8 s[12:19], s[4:5], 0x8
	s_mov_b32 s9, 0
	s_lshl_b64 s[0:1], s[8:9], 3
	s_waitcnt lgkmcnt(0)
	s_add_u32 s8, s20, s0
	s_addc_u32 s9, s21, s1
	s_load_dwordx2 s[20:21], s[8:9], 0x0
	v_cmp_lt_i64_e64 s[8:9], s[12:13], 1
	s_lshl_b32 s25, s6, 5
	s_lshl_b32 s26, s7, 5
	s_and_b64 vcc, exec, s[8:9]
	s_cbranch_vccnz .LBB1836_11
; %bb.1:
	v_lshl_add_u32 v2, v1, 4, v0
	v_and_b32_e32 v5, 31, v2
	v_and_b32_e32 v29, 7, v0
	v_lshrrev_b32_e32 v3, 3, v2
	v_lshrrev_b32_e32 v28, 5, v2
	v_lshlrev_b32_e32 v2, 4, v5
	v_lshlrev_b32_e32 v8, 4, v29
	v_lshl_or_b32 v30, v28, 9, v2
	v_lshl_or_b32 v2, v3, 7, v8
	v_add_u32_e32 v31, 0x1000, v2
	v_add_u32_e32 v2, s25, v5
	s_load_dwordx4 s[8:11], s[4:5], 0x38
	v_add_u32_e32 v4, s26, v3
	v_ashrrev_i32_e32 v3, 31, v2
	v_or_b32_e32 v6, s25, v5
	v_mul_lo_u32 v5, s2, v3
	v_mul_lo_u32 v7, s3, v2
	v_mad_u64_u32 v[2:3], s[2:3], s2, v2, 0
	s_waitcnt lgkmcnt(0)
	s_add_u32 s4, s8, s0
	s_addc_u32 s5, s9, s1
	v_add3_u32 v3, v3, v5, v7
	v_lshlrev_b64 v[2:3], 4, v[2:3]
	s_add_u32 s0, s18, s0
	v_lshlrev_b32_e32 v5, 4, v28
	s_addc_u32 s1, s19, s1
	v_cmp_gt_i32_e32 vcc, s24, v6
	v_ashrrev_i32_e32 v6, 31, v4
	v_add_co_u32_e64 v5, s[2:3], v2, v5
	s_load_dwordx2 s[6:7], s[0:1], 0x0
	v_addc_co_u32_e64 v7, s[2:3], 0, v3, s[2:3]
	v_mul_lo_u32 v10, s10, v6
	v_mul_lo_u32 v11, s11, v4
	v_mad_u64_u32 v[2:3], s[2:3], s10, v4, 0
	s_load_dwordx2 s[4:5], s[4:5], 0x0
	v_mov_b32_e32 v9, 0x1000
	v_add3_u32 v3, v3, v10, v11
	v_lshl_add_u32 v33, v1, 7, v9
	s_waitcnt lgkmcnt(0)
	v_mov_b32_e32 v9, s7
	v_add_co_u32_e64 v6, s[2:3], s6, v5
	v_lshlrev_b64 v[2:3], 4, v[2:3]
	v_addc_co_u32_e64 v7, s[2:3], v9, v7, s[2:3]
	v_add_co_u32_e64 v2, s[2:3], v2, v8
	v_addc_co_u32_e64 v3, s[2:3], 0, v3, s[2:3]
	v_cmp_gt_i32_e64 s[0:1], s24, v4
	v_mov_b32_e32 v4, s5
	v_add_co_u32_e64 v8, s[2:3], s4, v2
	v_addc_co_u32_e64 v9, s[2:3], v4, v3, s[2:3]
	v_mov_b32_e32 v26, 0
	v_mov_b32_e32 v10, s12
	;; [unrolled: 1-line block ×9, first 2 shown]
	v_lshlrev_b32_e32 v32, 4, v0
	s_mov_b64 s[2:3], 0
	v_mov_b32_e32 v27, 0
	s_xor_b64 s[4:5], vcc, -1
	s_xor_b64 s[0:1], s[0:1], -1
	v_mov_b32_e32 v11, s13
	v_mov_b32_e32 v25, 0
	;; [unrolled: 1-line block ×9, first 2 shown]
	s_branch .LBB1836_3
.LBB1836_2:                             ;   in Loop: Header=BB1836_3 Depth=1
	s_or_b64 exec, exec, s[6:7]
	s_waitcnt lgkmcnt(0)
	s_barrier
	ds_read_b128 v[34:37], v33
	ds_read_b128 v[38:41], v33 offset:16
	ds_read_b128 v[42:45], v33 offset:32
	;; [unrolled: 1-line block ×3, first 2 shown]
	ds_read_b128 v[50:53], v32
	v_add_co_u32_e32 v6, vcc, 0x80, v6
	v_addc_co_u32_e32 v7, vcc, 0, v7, vcc
	s_waitcnt lgkmcnt(0)
	v_mul_f64 v[3:4], v[36:37], v[52:53]
	v_mul_f64 v[54:55], v[34:35], v[52:53]
	s_add_u32 s2, s2, 8
	v_add_co_u32_e32 v8, vcc, 0x80, v8
	s_addc_u32 s3, s3, 0
	v_addc_co_u32_e32 v9, vcc, 0, v9, vcc
	v_fma_f64 v[3:4], v[34:35], v[50:51], -v[3:4]
	v_fma_f64 v[54:55], v[36:37], v[50:51], v[54:55]
	v_cmp_ge_i64_e32 vcc, s[2:3], v[10:11]
	s_and_b64 vcc, exec, vcc
	v_add_f64 v[3:4], v[20:21], v[3:4]
	v_add_f64 v[54:55], v[54:55], v[22:23]
	ds_read_b128 v[20:23], v32 offset:256
	s_waitcnt lgkmcnt(0)
	v_mul_f64 v[56:57], v[36:37], v[22:23]
	v_fma_f64 v[56:57], v[34:35], v[20:21], -v[56:57]
	v_mul_f64 v[34:35], v[34:35], v[22:23]
	v_fma_f64 v[34:35], v[36:37], v[20:21], v[34:35]
	v_add_f64 v[36:37], v[12:13], v[56:57]
	v_add_f64 v[34:35], v[34:35], v[14:15]
	ds_read_b128 v[12:15], v33 offset:2048
	s_waitcnt lgkmcnt(0)
	v_mul_f64 v[56:57], v[14:15], v[52:53]
	v_mul_f64 v[52:53], v[12:13], v[52:53]
	v_fma_f64 v[56:57], v[12:13], v[50:51], -v[56:57]
	v_fma_f64 v[50:51], v[14:15], v[50:51], v[52:53]
	v_add_f64 v[52:53], v[16:17], v[56:57]
	v_mul_f64 v[16:17], v[14:15], v[22:23]
	v_add_f64 v[50:51], v[50:51], v[18:19]
	v_fma_f64 v[16:17], v[12:13], v[20:21], -v[16:17]
	v_mul_f64 v[12:13], v[12:13], v[22:23]
	v_add_f64 v[24:25], v[24:25], v[16:17]
	v_fma_f64 v[12:13], v[14:15], v[20:21], v[12:13]
	v_add_f64 v[26:27], v[12:13], v[26:27]
	ds_read_b128 v[12:15], v32 offset:512
	s_waitcnt lgkmcnt(0)
	v_mul_f64 v[16:17], v[40:41], v[14:15]
	v_mul_f64 v[18:19], v[38:39], v[14:15]
	v_fma_f64 v[16:17], v[38:39], v[12:13], -v[16:17]
	v_fma_f64 v[18:19], v[40:41], v[12:13], v[18:19]
	v_add_f64 v[3:4], v[3:4], v[16:17]
	v_add_f64 v[54:55], v[18:19], v[54:55]
	ds_read_b128 v[16:19], v32 offset:768
	s_waitcnt lgkmcnt(0)
	v_mul_f64 v[20:21], v[40:41], v[18:19]
	v_mul_f64 v[22:23], v[38:39], v[18:19]
	v_fma_f64 v[20:21], v[38:39], v[16:17], -v[20:21]
	v_fma_f64 v[22:23], v[40:41], v[16:17], v[22:23]
	v_add_f64 v[36:37], v[36:37], v[20:21]
	v_add_f64 v[34:35], v[22:23], v[34:35]
	ds_read_b128 v[20:23], v33 offset:2064
	s_waitcnt lgkmcnt(0)
	v_mul_f64 v[38:39], v[22:23], v[14:15]
	v_mul_f64 v[14:15], v[20:21], v[14:15]
	v_fma_f64 v[38:39], v[20:21], v[12:13], -v[38:39]
	v_fma_f64 v[12:13], v[22:23], v[12:13], v[14:15]
	v_mul_f64 v[14:15], v[20:21], v[18:19]
	v_add_f64 v[38:39], v[52:53], v[38:39]
	v_add_f64 v[40:41], v[12:13], v[50:51]
	v_mul_f64 v[12:13], v[22:23], v[18:19]
	v_fma_f64 v[14:15], v[22:23], v[16:17], v[14:15]
	v_fma_f64 v[12:13], v[20:21], v[16:17], -v[12:13]
	v_add_f64 v[26:27], v[14:15], v[26:27]
	v_add_f64 v[24:25], v[24:25], v[12:13]
	ds_read_b128 v[12:15], v32 offset:1024
	s_waitcnt lgkmcnt(0)
	v_mul_f64 v[16:17], v[44:45], v[14:15]
	v_mul_f64 v[18:19], v[42:43], v[14:15]
	v_fma_f64 v[16:17], v[42:43], v[12:13], -v[16:17]
	v_fma_f64 v[18:19], v[44:45], v[12:13], v[18:19]
	v_add_f64 v[3:4], v[3:4], v[16:17]
	v_add_f64 v[50:51], v[18:19], v[54:55]
	ds_read_b128 v[16:19], v32 offset:1280
	s_waitcnt lgkmcnt(0)
	v_mul_f64 v[20:21], v[44:45], v[18:19]
	v_mul_f64 v[22:23], v[42:43], v[18:19]
	v_fma_f64 v[20:21], v[42:43], v[16:17], -v[20:21]
	v_fma_f64 v[22:23], v[44:45], v[16:17], v[22:23]
	v_add_f64 v[36:37], v[36:37], v[20:21]
	v_add_f64 v[34:35], v[22:23], v[34:35]
	ds_read_b128 v[20:23], v33 offset:2080
	s_waitcnt lgkmcnt(0)
	v_mul_f64 v[42:43], v[22:23], v[14:15]
	v_mul_f64 v[14:15], v[20:21], v[14:15]
	v_fma_f64 v[42:43], v[20:21], v[12:13], -v[42:43]
	v_fma_f64 v[12:13], v[22:23], v[12:13], v[14:15]
	v_mul_f64 v[14:15], v[20:21], v[18:19]
	v_add_f64 v[38:39], v[38:39], v[42:43]
	v_add_f64 v[40:41], v[12:13], v[40:41]
	v_mul_f64 v[12:13], v[22:23], v[18:19]
	v_fma_f64 v[14:15], v[22:23], v[16:17], v[14:15]
	v_fma_f64 v[12:13], v[20:21], v[16:17], -v[12:13]
	v_add_f64 v[26:27], v[14:15], v[26:27]
	;; [unrolled: 30-line block ×3, first 2 shown]
	v_add_f64 v[24:25], v[24:25], v[12:13]
	ds_read_b128 v[12:15], v33 offset:64
	ds_read_b128 v[16:19], v32 offset:2048
	s_waitcnt lgkmcnt(0)
	v_mul_f64 v[20:21], v[14:15], v[18:19]
	v_mul_f64 v[22:23], v[12:13], v[18:19]
	v_fma_f64 v[20:21], v[12:13], v[16:17], -v[20:21]
	v_fma_f64 v[22:23], v[14:15], v[16:17], v[22:23]
	v_add_f64 v[3:4], v[3:4], v[20:21]
	v_add_f64 v[42:43], v[22:23], v[42:43]
	ds_read_b128 v[20:23], v32 offset:2304
	s_waitcnt lgkmcnt(0)
	v_mul_f64 v[44:45], v[14:15], v[22:23]
	v_fma_f64 v[44:45], v[12:13], v[20:21], -v[44:45]
	v_mul_f64 v[12:13], v[12:13], v[22:23]
	v_add_f64 v[36:37], v[36:37], v[44:45]
	v_fma_f64 v[12:13], v[14:15], v[20:21], v[12:13]
	v_add_f64 v[34:35], v[12:13], v[34:35]
	ds_read_b128 v[12:15], v33 offset:2112
	s_waitcnt lgkmcnt(0)
	v_mul_f64 v[44:45], v[14:15], v[18:19]
	v_mul_f64 v[18:19], v[12:13], v[18:19]
	v_fma_f64 v[44:45], v[12:13], v[16:17], -v[44:45]
	v_fma_f64 v[16:17], v[14:15], v[16:17], v[18:19]
	v_add_f64 v[38:39], v[38:39], v[44:45]
	v_add_f64 v[40:41], v[16:17], v[40:41]
	v_mul_f64 v[16:17], v[14:15], v[22:23]
	v_fma_f64 v[16:17], v[12:13], v[20:21], -v[16:17]
	v_mul_f64 v[12:13], v[12:13], v[22:23]
	v_add_f64 v[24:25], v[24:25], v[16:17]
	v_fma_f64 v[12:13], v[14:15], v[20:21], v[12:13]
	v_add_f64 v[26:27], v[12:13], v[26:27]
	ds_read_b128 v[12:15], v33 offset:80
	ds_read_b128 v[16:19], v32 offset:2560
	s_waitcnt lgkmcnt(0)
	v_mul_f64 v[20:21], v[14:15], v[18:19]
	v_mul_f64 v[22:23], v[12:13], v[18:19]
	v_fma_f64 v[20:21], v[12:13], v[16:17], -v[20:21]
	v_fma_f64 v[22:23], v[14:15], v[16:17], v[22:23]
	v_add_f64 v[3:4], v[3:4], v[20:21]
	v_add_f64 v[42:43], v[22:23], v[42:43]
	ds_read_b128 v[20:23], v32 offset:2816
	s_waitcnt lgkmcnt(0)
	v_mul_f64 v[44:45], v[14:15], v[22:23]
	v_fma_f64 v[44:45], v[12:13], v[20:21], -v[44:45]
	v_mul_f64 v[12:13], v[12:13], v[22:23]
	v_add_f64 v[36:37], v[36:37], v[44:45]
	v_fma_f64 v[12:13], v[14:15], v[20:21], v[12:13]
	v_add_f64 v[34:35], v[12:13], v[34:35]
	ds_read_b128 v[12:15], v33 offset:2128
	s_waitcnt lgkmcnt(0)
	v_mul_f64 v[44:45], v[14:15], v[18:19]
	v_mul_f64 v[18:19], v[12:13], v[18:19]
	v_fma_f64 v[44:45], v[12:13], v[16:17], -v[44:45]
	v_fma_f64 v[16:17], v[14:15], v[16:17], v[18:19]
	v_add_f64 v[38:39], v[38:39], v[44:45]
	v_add_f64 v[40:41], v[16:17], v[40:41]
	v_mul_f64 v[16:17], v[14:15], v[22:23]
	v_fma_f64 v[16:17], v[12:13], v[20:21], -v[16:17]
	v_mul_f64 v[12:13], v[12:13], v[22:23]
	v_add_f64 v[24:25], v[24:25], v[16:17]
	v_fma_f64 v[12:13], v[14:15], v[20:21], v[12:13]
	;; [unrolled: 31-line block ×3, first 2 shown]
	v_add_f64 v[46:47], v[12:13], v[26:27]
	ds_read_b128 v[12:15], v33 offset:112
	ds_read_b128 v[16:19], v32 offset:3584
	;; [unrolled: 1-line block ×3, first 2 shown]
	s_waitcnt lgkmcnt(1)
	v_mul_f64 v[20:21], v[14:15], v[18:19]
	v_mul_f64 v[22:23], v[12:13], v[18:19]
	v_fma_f64 v[20:21], v[12:13], v[16:17], -v[20:21]
	v_fma_f64 v[22:23], v[14:15], v[16:17], v[22:23]
	v_add_f64 v[20:21], v[3:4], v[20:21]
	s_waitcnt lgkmcnt(0)
	v_mul_f64 v[3:4], v[14:15], v[26:27]
	v_add_f64 v[22:23], v[22:23], v[42:43]
	v_fma_f64 v[3:4], v[12:13], v[24:25], -v[3:4]
	v_mul_f64 v[12:13], v[12:13], v[26:27]
	v_fma_f64 v[14:15], v[14:15], v[24:25], v[12:13]
	v_add_f64 v[12:13], v[36:37], v[3:4]
	v_add_f64 v[14:15], v[14:15], v[34:35]
	ds_read_b128 v[34:37], v33 offset:2160
	s_waitcnt lgkmcnt(0)
	s_barrier
	v_mul_f64 v[3:4], v[36:37], v[18:19]
	v_mul_f64 v[18:19], v[34:35], v[18:19]
	v_fma_f64 v[3:4], v[34:35], v[16:17], -v[3:4]
	v_fma_f64 v[18:19], v[36:37], v[16:17], v[18:19]
	v_add_f64 v[16:17], v[38:39], v[3:4]
	v_mul_f64 v[3:4], v[36:37], v[26:27]
	v_mul_f64 v[26:27], v[34:35], v[26:27]
	v_add_f64 v[18:19], v[18:19], v[40:41]
	v_fma_f64 v[3:4], v[34:35], v[24:25], -v[3:4]
	v_fma_f64 v[26:27], v[36:37], v[24:25], v[26:27]
	v_add_f64 v[24:25], v[44:45], v[3:4]
	v_add_f64 v[26:27], v[26:27], v[46:47]
	s_cbranch_vccnz .LBB1836_12
.LBB1836_3:                             ; =>This Inner Loop Header: Depth=1
	v_mov_b32_e32 v4, s3
	v_add_co_u32_e32 v3, vcc, s2, v28
	v_addc_co_u32_e32 v4, vcc, 0, v4, vcc
	v_cmp_le_i64_e32 vcc, s[12:13], v[3:4]
	s_or_b64 s[6:7], s[4:5], vcc
	s_and_saveexec_b64 s[8:9], s[6:7]
	s_xor_b64 s[6:7], exec, s[8:9]
; %bb.4:                                ;   in Loop: Header=BB1836_3 Depth=1
	v_mov_b32_e32 v3, v2
	v_mov_b32_e32 v4, v2
	;; [unrolled: 1-line block ×3, first 2 shown]
	ds_write_b128 v30, v[2:5]
; %bb.5:                                ;   in Loop: Header=BB1836_3 Depth=1
	s_andn2_saveexec_b64 s[6:7], s[6:7]
	s_cbranch_execz .LBB1836_7
; %bb.6:                                ;   in Loop: Header=BB1836_3 Depth=1
	flat_load_dwordx4 v[34:37], v[6:7]
	s_waitcnt vmcnt(0) lgkmcnt(0)
	ds_write2_b64 v30, v[34:35], v[36:37] offset1:1
.LBB1836_7:                             ;   in Loop: Header=BB1836_3 Depth=1
	s_or_b64 exec, exec, s[6:7]
	v_mov_b32_e32 v4, s3
	v_add_co_u32_e32 v3, vcc, s2, v29
	v_addc_co_u32_e32 v4, vcc, 0, v4, vcc
	v_cmp_le_i64_e32 vcc, s[12:13], v[3:4]
	s_or_b64 s[6:7], vcc, s[0:1]
	s_and_saveexec_b64 s[8:9], s[6:7]
	s_xor_b64 s[6:7], exec, s[8:9]
; %bb.8:                                ;   in Loop: Header=BB1836_3 Depth=1
	v_mov_b32_e32 v3, v2
	v_mov_b32_e32 v4, v2
	;; [unrolled: 1-line block ×3, first 2 shown]
	ds_write_b128 v31, v[2:5]
; %bb.9:                                ;   in Loop: Header=BB1836_3 Depth=1
	s_andn2_saveexec_b64 s[6:7], s[6:7]
	s_cbranch_execz .LBB1836_2
; %bb.10:                               ;   in Loop: Header=BB1836_3 Depth=1
	flat_load_dwordx4 v[34:37], v[8:9]
	s_waitcnt vmcnt(0) lgkmcnt(0)
	ds_write2_b64 v31, v[34:35], v[36:37] offset1:1
	s_branch .LBB1836_2
.LBB1836_11:
	v_mov_b32_e32 v20, 0
	v_mov_b32_e32 v22, 0
	;; [unrolled: 1-line block ×16, first 2 shown]
.LBB1836_12:
	v_add_u32_e32 v4, s26, v1
	v_ashrrev_i32_e32 v1, 31, v4
	v_mul_lo_u32 v3, s22, v1
	v_mul_lo_u32 v5, s23, v4
	v_mad_u64_u32 v[1:2], s[0:1], s22, v4, 0
	v_add_u32_e32 v0, s25, v0
	v_cmp_gt_i32_e32 vcc, s24, v4
	v_add3_u32 v2, v2, v3, v5
	v_lshlrev_b64 v[1:2], 4, v[1:2]
	s_waitcnt lgkmcnt(0)
	v_mov_b32_e32 v3, s21
	v_add_co_u32_e64 v5, s[0:1], s20, v1
	v_addc_co_u32_e64 v6, s[0:1], v3, v2, s[0:1]
	v_cmp_le_i32_e64 s[0:1], v0, v4
	s_and_b64 s[0:1], vcc, s[0:1]
	s_and_saveexec_b64 s[2:3], s[0:1]
	s_cbranch_execz .LBB1836_14
; %bb.13:
	v_mul_f64 v[2:3], s[14:15], v[22:23]
	v_mul_f64 v[7:8], s[16:17], v[22:23]
	v_ashrrev_i32_e32 v1, 31, v0
	v_lshlrev_b64 v[9:10], 4, v[0:1]
	v_fma_f64 v[2:3], s[16:17], v[20:21], v[2:3]
	v_fma_f64 v[7:8], s[14:15], v[20:21], -v[7:8]
	v_add_co_u32_e64 v20, s[0:1], v5, v9
	v_addc_co_u32_e64 v21, s[0:1], v6, v10, s[0:1]
	v_cmp_ne_u32_e64 s[0:1], v4, v0
	v_cndmask_b32_e64 v10, 0, v3, s[0:1]
	v_cndmask_b32_e64 v9, 0, v2, s[0:1]
	flat_store_dwordx4 v[20:21], v[7:10]
.LBB1836_14:
	s_or_b64 exec, exec, s[2:3]
	v_add_u32_e32 v2, 16, v0
	v_cmp_le_i32_e64 s[0:1], v2, v4
	s_and_b64 s[2:3], vcc, s[0:1]
	s_and_saveexec_b64 s[0:1], s[2:3]
	s_cbranch_execz .LBB1836_16
; %bb.15:
	v_mul_f64 v[7:8], s[14:15], v[14:15]
	v_mul_f64 v[9:10], s[16:17], v[14:15]
	v_ashrrev_i32_e32 v3, 31, v2
	v_lshlrev_b64 v[20:21], 4, v[2:3]
	v_add_co_u32_e32 v5, vcc, v5, v20
	v_addc_co_u32_e32 v6, vcc, v6, v21, vcc
	v_fma_f64 v[14:15], s[16:17], v[12:13], v[7:8]
	v_fma_f64 v[7:8], s[14:15], v[12:13], -v[9:10]
	v_cmp_ne_u32_e32 vcc, v4, v2
	v_cndmask_b32_e32 v10, 0, v15, vcc
	v_cndmask_b32_e32 v9, 0, v14, vcc
	flat_store_dwordx4 v[5:6], v[7:10]
.LBB1836_16:
	s_or_b64 exec, exec, s[0:1]
	v_add_u32_e32 v3, 16, v4
	v_ashrrev_i32_e32 v1, 31, v3
	v_mul_lo_u32 v1, s22, v1
	v_mul_lo_u32 v7, s23, v3
	v_mad_u64_u32 v[5:6], s[0:1], s22, v3, 0
	v_cmp_gt_i32_e32 vcc, s24, v3
	v_add3_u32 v6, v6, v1, v7
	v_lshlrev_b64 v[5:6], 4, v[5:6]
	v_mov_b32_e32 v1, s21
	v_add_co_u32_e64 v5, s[0:1], s20, v5
	v_addc_co_u32_e64 v6, s[0:1], v1, v6, s[0:1]
	v_cmp_le_i32_e64 s[0:1], v0, v3
	s_and_b64 s[0:1], vcc, s[0:1]
	s_and_saveexec_b64 s[2:3], s[0:1]
	s_cbranch_execz .LBB1836_18
; %bb.17:
	v_mul_f64 v[7:8], s[14:15], v[18:19]
	v_mul_f64 v[9:10], s[16:17], v[18:19]
	v_ashrrev_i32_e32 v1, 31, v0
	v_lshlrev_b64 v[13:14], 4, v[0:1]
	v_add_co_u32_e64 v13, s[0:1], v5, v13
	v_addc_co_u32_e64 v14, s[0:1], v6, v14, s[0:1]
	v_fma_f64 v[11:12], s[16:17], v[16:17], v[7:8]
	v_fma_f64 v[7:8], s[14:15], v[16:17], -v[9:10]
	v_cmp_ne_u32_e64 s[0:1], v3, v0
	v_cndmask_b32_e64 v10, 0, v12, s[0:1]
	v_cndmask_b32_e64 v9, 0, v11, s[0:1]
	flat_store_dwordx4 v[13:14], v[7:10]
.LBB1836_18:
	s_or_b64 exec, exec, s[2:3]
	v_cmp_le_i32_e64 s[0:1], v2, v3
	s_and_b64 s[0:1], vcc, s[0:1]
	s_and_saveexec_b64 s[2:3], s[0:1]
	s_cbranch_execz .LBB1836_20
; %bb.19:
	v_mul_f64 v[7:8], s[14:15], v[26:27]
	v_mul_f64 v[9:10], s[16:17], v[26:27]
	v_ashrrev_i32_e32 v3, 31, v2
	v_lshlrev_b64 v[11:12], 4, v[2:3]
	v_add_co_u32_e32 v5, vcc, v5, v11
	v_addc_co_u32_e32 v6, vcc, v6, v12, vcc
	v_fma_f64 v[7:8], s[16:17], v[24:25], v[7:8]
	v_fma_f64 v[1:2], s[14:15], v[24:25], -v[9:10]
	v_cmp_ne_u32_e32 vcc, v4, v0
	v_cndmask_b32_e32 v4, 0, v8, vcc
	v_cndmask_b32_e32 v3, 0, v7, vcc
	flat_store_dwordx4 v[5:6], v[1:4]
.LBB1836_20:
	s_endpgm
	.section	.rodata,"a",@progbits
	.p2align	6, 0x0
	.amdhsa_kernel _ZL34rocblas_syrkx_herkx_general_kernelIl19rocblas_complex_numIdELi16ELi32ELi8ELb1ELb1ELc84ELc85EKPKS1_KPS1_EviT_T0_PT8_S7_lSA_S7_lS8_PT9_S7_li
		.amdhsa_group_segment_fixed_size 8192
		.amdhsa_private_segment_fixed_size 0
		.amdhsa_kernarg_size 124
		.amdhsa_user_sgpr_count 6
		.amdhsa_user_sgpr_private_segment_buffer 1
		.amdhsa_user_sgpr_dispatch_ptr 0
		.amdhsa_user_sgpr_queue_ptr 0
		.amdhsa_user_sgpr_kernarg_segment_ptr 1
		.amdhsa_user_sgpr_dispatch_id 0
		.amdhsa_user_sgpr_flat_scratch_init 0
		.amdhsa_user_sgpr_private_segment_size 0
		.amdhsa_uses_dynamic_stack 0
		.amdhsa_system_sgpr_private_segment_wavefront_offset 0
		.amdhsa_system_sgpr_workgroup_id_x 1
		.amdhsa_system_sgpr_workgroup_id_y 1
		.amdhsa_system_sgpr_workgroup_id_z 1
		.amdhsa_system_sgpr_workgroup_info 0
		.amdhsa_system_vgpr_workitem_id 1
		.amdhsa_next_free_vgpr 58
		.amdhsa_next_free_sgpr 61
		.amdhsa_reserve_vcc 1
		.amdhsa_reserve_flat_scratch 0
		.amdhsa_float_round_mode_32 0
		.amdhsa_float_round_mode_16_64 0
		.amdhsa_float_denorm_mode_32 3
		.amdhsa_float_denorm_mode_16_64 3
		.amdhsa_dx10_clamp 1
		.amdhsa_ieee_mode 1
		.amdhsa_fp16_overflow 0
		.amdhsa_exception_fp_ieee_invalid_op 0
		.amdhsa_exception_fp_denorm_src 0
		.amdhsa_exception_fp_ieee_div_zero 0
		.amdhsa_exception_fp_ieee_overflow 0
		.amdhsa_exception_fp_ieee_underflow 0
		.amdhsa_exception_fp_ieee_inexact 0
		.amdhsa_exception_int_div_zero 0
	.end_amdhsa_kernel
	.section	.text._ZL34rocblas_syrkx_herkx_general_kernelIl19rocblas_complex_numIdELi16ELi32ELi8ELb1ELb1ELc84ELc85EKPKS1_KPS1_EviT_T0_PT8_S7_lSA_S7_lS8_PT9_S7_li,"axG",@progbits,_ZL34rocblas_syrkx_herkx_general_kernelIl19rocblas_complex_numIdELi16ELi32ELi8ELb1ELb1ELc84ELc85EKPKS1_KPS1_EviT_T0_PT8_S7_lSA_S7_lS8_PT9_S7_li,comdat
.Lfunc_end1836:
	.size	_ZL34rocblas_syrkx_herkx_general_kernelIl19rocblas_complex_numIdELi16ELi32ELi8ELb1ELb1ELc84ELc85EKPKS1_KPS1_EviT_T0_PT8_S7_lSA_S7_lS8_PT9_S7_li, .Lfunc_end1836-_ZL34rocblas_syrkx_herkx_general_kernelIl19rocblas_complex_numIdELi16ELi32ELi8ELb1ELb1ELc84ELc85EKPKS1_KPS1_EviT_T0_PT8_S7_lSA_S7_lS8_PT9_S7_li
                                        ; -- End function
	.set _ZL34rocblas_syrkx_herkx_general_kernelIl19rocblas_complex_numIdELi16ELi32ELi8ELb1ELb1ELc84ELc85EKPKS1_KPS1_EviT_T0_PT8_S7_lSA_S7_lS8_PT9_S7_li.num_vgpr, 58
	.set _ZL34rocblas_syrkx_herkx_general_kernelIl19rocblas_complex_numIdELi16ELi32ELi8ELb1ELb1ELc84ELc85EKPKS1_KPS1_EviT_T0_PT8_S7_lSA_S7_lS8_PT9_S7_li.num_agpr, 0
	.set _ZL34rocblas_syrkx_herkx_general_kernelIl19rocblas_complex_numIdELi16ELi32ELi8ELb1ELb1ELc84ELc85EKPKS1_KPS1_EviT_T0_PT8_S7_lSA_S7_lS8_PT9_S7_li.numbered_sgpr, 27
	.set _ZL34rocblas_syrkx_herkx_general_kernelIl19rocblas_complex_numIdELi16ELi32ELi8ELb1ELb1ELc84ELc85EKPKS1_KPS1_EviT_T0_PT8_S7_lSA_S7_lS8_PT9_S7_li.num_named_barrier, 0
	.set _ZL34rocblas_syrkx_herkx_general_kernelIl19rocblas_complex_numIdELi16ELi32ELi8ELb1ELb1ELc84ELc85EKPKS1_KPS1_EviT_T0_PT8_S7_lSA_S7_lS8_PT9_S7_li.private_seg_size, 0
	.set _ZL34rocblas_syrkx_herkx_general_kernelIl19rocblas_complex_numIdELi16ELi32ELi8ELb1ELb1ELc84ELc85EKPKS1_KPS1_EviT_T0_PT8_S7_lSA_S7_lS8_PT9_S7_li.uses_vcc, 1
	.set _ZL34rocblas_syrkx_herkx_general_kernelIl19rocblas_complex_numIdELi16ELi32ELi8ELb1ELb1ELc84ELc85EKPKS1_KPS1_EviT_T0_PT8_S7_lSA_S7_lS8_PT9_S7_li.uses_flat_scratch, 0
	.set _ZL34rocblas_syrkx_herkx_general_kernelIl19rocblas_complex_numIdELi16ELi32ELi8ELb1ELb1ELc84ELc85EKPKS1_KPS1_EviT_T0_PT8_S7_lSA_S7_lS8_PT9_S7_li.has_dyn_sized_stack, 0
	.set _ZL34rocblas_syrkx_herkx_general_kernelIl19rocblas_complex_numIdELi16ELi32ELi8ELb1ELb1ELc84ELc85EKPKS1_KPS1_EviT_T0_PT8_S7_lSA_S7_lS8_PT9_S7_li.has_recursion, 0
	.set _ZL34rocblas_syrkx_herkx_general_kernelIl19rocblas_complex_numIdELi16ELi32ELi8ELb1ELb1ELc84ELc85EKPKS1_KPS1_EviT_T0_PT8_S7_lSA_S7_lS8_PT9_S7_li.has_indirect_call, 0
	.section	.AMDGPU.csdata,"",@progbits
; Kernel info:
; codeLenInByte = 3240
; TotalNumSgprs: 31
; NumVgprs: 58
; ScratchSize: 0
; MemoryBound: 0
; FloatMode: 240
; IeeeMode: 1
; LDSByteSize: 8192 bytes/workgroup (compile time only)
; SGPRBlocks: 8
; VGPRBlocks: 14
; NumSGPRsForWavesPerEU: 65
; NumVGPRsForWavesPerEU: 58
; Occupancy: 4
; WaveLimiterHint : 1
; COMPUTE_PGM_RSRC2:SCRATCH_EN: 0
; COMPUTE_PGM_RSRC2:USER_SGPR: 6
; COMPUTE_PGM_RSRC2:TRAP_HANDLER: 0
; COMPUTE_PGM_RSRC2:TGID_X_EN: 1
; COMPUTE_PGM_RSRC2:TGID_Y_EN: 1
; COMPUTE_PGM_RSRC2:TGID_Z_EN: 1
; COMPUTE_PGM_RSRC2:TIDIG_COMP_CNT: 1
	.section	.text._ZL34rocblas_syrkx_herkx_general_kernelIl19rocblas_complex_numIdELi16ELi32ELi8ELb1ELb1ELc67ELc85EKPKS1_KPS1_EviT_T0_PT8_S7_lSA_S7_lS8_PT9_S7_li,"axG",@progbits,_ZL34rocblas_syrkx_herkx_general_kernelIl19rocblas_complex_numIdELi16ELi32ELi8ELb1ELb1ELc67ELc85EKPKS1_KPS1_EviT_T0_PT8_S7_lSA_S7_lS8_PT9_S7_li,comdat
	.globl	_ZL34rocblas_syrkx_herkx_general_kernelIl19rocblas_complex_numIdELi16ELi32ELi8ELb1ELb1ELc67ELc85EKPKS1_KPS1_EviT_T0_PT8_S7_lSA_S7_lS8_PT9_S7_li ; -- Begin function _ZL34rocblas_syrkx_herkx_general_kernelIl19rocblas_complex_numIdELi16ELi32ELi8ELb1ELb1ELc67ELc85EKPKS1_KPS1_EviT_T0_PT8_S7_lSA_S7_lS8_PT9_S7_li
	.p2align	8
	.type	_ZL34rocblas_syrkx_herkx_general_kernelIl19rocblas_complex_numIdELi16ELi32ELi8ELb1ELb1ELc67ELc85EKPKS1_KPS1_EviT_T0_PT8_S7_lSA_S7_lS8_PT9_S7_li,@function
_ZL34rocblas_syrkx_herkx_general_kernelIl19rocblas_complex_numIdELi16ELi32ELi8ELb1ELb1ELc67ELc85EKPKS1_KPS1_EviT_T0_PT8_S7_lSA_S7_lS8_PT9_S7_li: ; @_ZL34rocblas_syrkx_herkx_general_kernelIl19rocblas_complex_numIdELi16ELi32ELi8ELb1ELb1ELc67ELc85EKPKS1_KPS1_EviT_T0_PT8_S7_lSA_S7_lS8_PT9_S7_li
; %bb.0:
	s_load_dwordx2 s[2:3], s[4:5], 0x28
	s_load_dwordx4 s[20:23], s[4:5], 0x60
	s_load_dword s24, s[4:5], 0x0
	s_load_dwordx8 s[12:19], s[4:5], 0x8
	s_mov_b32 s9, 0
	s_lshl_b64 s[0:1], s[8:9], 3
	s_waitcnt lgkmcnt(0)
	s_add_u32 s8, s20, s0
	s_addc_u32 s9, s21, s1
	s_load_dwordx2 s[20:21], s[8:9], 0x0
	v_cmp_lt_i64_e64 s[8:9], s[12:13], 1
	s_lshl_b32 s25, s6, 5
	s_lshl_b32 s26, s7, 5
	s_and_b64 vcc, exec, s[8:9]
	s_cbranch_vccnz .LBB1837_9
; %bb.1:
	s_load_dwordx4 s[8:11], s[4:5], 0x38
	v_lshl_add_u32 v2, v1, 4, v0
	v_and_b32_e32 v5, 31, v2
	v_or_b32_e32 v6, s25, v5
	v_and_b32_e32 v30, 7, v0
	s_waitcnt lgkmcnt(0)
	s_add_u32 s4, s8, s0
	s_addc_u32 s5, s9, s1
	s_add_u32 s0, s18, s0
	s_addc_u32 s1, s19, s1
	v_lshrrev_b32_e32 v3, 3, v2
	v_lshrrev_b32_e32 v29, 5, v2
	s_load_dwordx2 s[6:7], s[0:1], 0x0
	v_cmp_gt_i32_e64 s[0:1], s24, v6
	v_lshlrev_b32_e32 v2, 4, v5
	v_lshlrev_b32_e32 v6, 4, v30
	v_lshl_or_b32 v31, v29, 9, v2
	v_lshl_or_b32 v2, v3, 7, v6
	v_add_u32_e32 v32, 0x1000, v2
	v_add_u32_e32 v2, s25, v5
	;; [unrolled: 1-line block ×3, first 2 shown]
	v_ashrrev_i32_e32 v3, 31, v2
	v_mul_lo_u32 v5, s2, v3
	v_mul_lo_u32 v8, s3, v2
	v_mad_u64_u32 v[2:3], s[2:3], s2, v2, 0
	v_ashrrev_i32_e32 v7, 31, v4
	v_mul_lo_u32 v10, s10, v7
	v_add3_u32 v3, v3, v5, v8
	v_lshlrev_b64 v[2:3], 4, v[2:3]
	v_lshlrev_b32_e32 v5, 4, v29
	v_add_co_u32_e64 v5, s[2:3], v2, v5
	v_addc_co_u32_e64 v8, s[2:3], 0, v3, s[2:3]
	v_mul_lo_u32 v11, s11, v4
	v_mad_u64_u32 v[2:3], s[2:3], s10, v4, 0
	s_load_dwordx2 s[4:5], s[4:5], 0x0
	v_mov_b32_e32 v9, 0x1000
	v_add3_u32 v3, v3, v10, v11
	v_lshl_add_u32 v34, v1, 7, v9
	s_waitcnt lgkmcnt(0)
	v_mov_b32_e32 v9, s7
	v_add_co_u32_e64 v7, s[2:3], s6, v5
	v_lshlrev_b64 v[2:3], 4, v[2:3]
	v_addc_co_u32_e64 v8, s[2:3], v9, v8, s[2:3]
	v_add_co_u32_e64 v2, s[2:3], v2, v6
	v_addc_co_u32_e64 v3, s[2:3], 0, v3, s[2:3]
	v_cmp_gt_i32_e32 vcc, s24, v4
	v_mov_b32_e32 v4, s5
	v_add_co_u32_e64 v9, s[2:3], s4, v2
	v_addc_co_u32_e64 v10, s[2:3], v4, v3, s[2:3]
	v_mov_b32_e32 v27, 0
	v_mov_b32_e32 v11, s12
	;; [unrolled: 1-line block ×9, first 2 shown]
	v_lshlrev_b32_e32 v33, 4, v0
	s_mov_b64 s[2:3], 0
	v_mov_b32_e32 v28, 0
	s_xor_b64 s[4:5], vcc, -1
	v_mov_b32_e32 v12, s13
	v_mov_b32_e32 v26, 0
	v_mov_b32_e32 v20, 0
	v_mov_b32_e32 v18, 0
	v_mov_b32_e32 v16, 0
	v_mov_b32_e32 v14, 0
	v_mov_b32_e32 v24, 0
	v_mov_b32_e32 v22, 0
	v_mov_b32_e32 v2, 0
	s_branch .LBB1837_3
.LBB1837_2:                             ;   in Loop: Header=BB1837_3 Depth=1
	s_or_b64 exec, exec, s[6:7]
	s_waitcnt lgkmcnt(0)
	s_barrier
	ds_read_b128 v[3:6], v34
	ds_read_b128 v[35:38], v34 offset:16
	ds_read_b128 v[39:42], v34 offset:32
	;; [unrolled: 1-line block ×3, first 2 shown]
	ds_read_b128 v[47:50], v33
	v_add_co_u32_e32 v7, vcc, 0x80, v7
	v_addc_co_u32_e32 v8, vcc, 0, v8, vcc
	s_waitcnt lgkmcnt(0)
	v_mul_f64 v[51:52], v[5:6], v[49:50]
	v_mul_f64 v[53:54], v[3:4], v[49:50]
	s_add_u32 s2, s2, 8
	v_add_co_u32_e32 v9, vcc, 0x80, v9
	s_addc_u32 s3, s3, 0
	v_addc_co_u32_e32 v10, vcc, 0, v10, vcc
	v_fma_f64 v[51:52], v[3:4], v[47:48], -v[51:52]
	v_fma_f64 v[53:54], v[5:6], v[47:48], v[53:54]
	v_cmp_ge_i64_e32 vcc, s[2:3], v[11:12]
	s_and_b64 vcc, exec, vcc
	v_add_f64 v[51:52], v[21:22], v[51:52]
	v_add_f64 v[53:54], v[53:54], v[23:24]
	ds_read_b128 v[21:24], v33 offset:256
	s_waitcnt lgkmcnt(0)
	v_mul_f64 v[55:56], v[5:6], v[23:24]
	v_fma_f64 v[55:56], v[3:4], v[21:22], -v[55:56]
	v_mul_f64 v[3:4], v[3:4], v[23:24]
	v_add_f64 v[55:56], v[13:14], v[55:56]
	v_fma_f64 v[3:4], v[5:6], v[21:22], v[3:4]
	v_add_f64 v[57:58], v[3:4], v[15:16]
	ds_read_b128 v[3:6], v34 offset:2048
	s_waitcnt lgkmcnt(0)
	v_mul_f64 v[13:14], v[5:6], v[49:50]
	v_mul_f64 v[15:16], v[3:4], v[49:50]
	v_fma_f64 v[13:14], v[3:4], v[47:48], -v[13:14]
	v_fma_f64 v[15:16], v[5:6], v[47:48], v[15:16]
	v_add_f64 v[47:48], v[17:18], v[13:14]
	v_mul_f64 v[13:14], v[5:6], v[23:24]
	v_add_f64 v[49:50], v[15:16], v[19:20]
	v_fma_f64 v[13:14], v[3:4], v[21:22], -v[13:14]
	v_mul_f64 v[3:4], v[3:4], v[23:24]
	v_fma_f64 v[3:4], v[5:6], v[21:22], v[3:4]
	v_add_f64 v[21:22], v[25:26], v[13:14]
	v_add_f64 v[23:24], v[3:4], v[27:28]
	ds_read_b128 v[3:6], v33 offset:512
	s_waitcnt lgkmcnt(0)
	v_mul_f64 v[13:14], v[37:38], v[5:6]
	v_mul_f64 v[15:16], v[35:36], v[5:6]
	v_fma_f64 v[13:14], v[35:36], v[3:4], -v[13:14]
	v_fma_f64 v[15:16], v[37:38], v[3:4], v[15:16]
	v_add_f64 v[25:26], v[51:52], v[13:14]
	v_add_f64 v[27:28], v[15:16], v[53:54]
	ds_read_b128 v[13:16], v33 offset:768
	s_waitcnt lgkmcnt(0)
	v_mul_f64 v[17:18], v[37:38], v[15:16]
	v_mul_f64 v[19:20], v[35:36], v[15:16]
	v_fma_f64 v[17:18], v[35:36], v[13:14], -v[17:18]
	;; [unrolled: 8-line block ×3, first 2 shown]
	v_fma_f64 v[3:4], v[19:20], v[3:4], v[5:6]
	v_mul_f64 v[5:6], v[17:18], v[15:16]
	v_add_f64 v[47:48], v[47:48], v[51:52]
	v_add_f64 v[49:50], v[3:4], v[49:50]
	v_mul_f64 v[3:4], v[19:20], v[15:16]
	v_fma_f64 v[5:6], v[19:20], v[13:14], v[5:6]
	v_fma_f64 v[3:4], v[17:18], v[13:14], -v[3:4]
	v_add_f64 v[23:24], v[5:6], v[23:24]
	v_add_f64 v[21:22], v[21:22], v[3:4]
	ds_read_b128 v[3:6], v33 offset:1024
	s_waitcnt lgkmcnt(0)
	v_mul_f64 v[13:14], v[41:42], v[5:6]
	v_mul_f64 v[15:16], v[39:40], v[5:6]
	v_fma_f64 v[13:14], v[39:40], v[3:4], -v[13:14]
	v_fma_f64 v[15:16], v[41:42], v[3:4], v[15:16]
	v_add_f64 v[25:26], v[25:26], v[13:14]
	v_add_f64 v[27:28], v[15:16], v[27:28]
	ds_read_b128 v[13:16], v33 offset:1280
	s_waitcnt lgkmcnt(0)
	v_mul_f64 v[17:18], v[41:42], v[15:16]
	v_mul_f64 v[19:20], v[39:40], v[15:16]
	v_fma_f64 v[17:18], v[39:40], v[13:14], -v[17:18]
	v_fma_f64 v[19:20], v[41:42], v[13:14], v[19:20]
	;; [unrolled: 8-line block ×3, first 2 shown]
	v_mul_f64 v[5:6], v[17:18], v[15:16]
	v_add_f64 v[39:40], v[47:48], v[39:40]
	v_add_f64 v[41:42], v[3:4], v[49:50]
	v_mul_f64 v[3:4], v[19:20], v[15:16]
	v_fma_f64 v[5:6], v[19:20], v[13:14], v[5:6]
	v_fma_f64 v[3:4], v[17:18], v[13:14], -v[3:4]
	v_add_f64 v[23:24], v[5:6], v[23:24]
	v_add_f64 v[21:22], v[21:22], v[3:4]
	ds_read_b128 v[3:6], v33 offset:1536
	s_waitcnt lgkmcnt(0)
	v_mul_f64 v[13:14], v[45:46], v[5:6]
	v_mul_f64 v[15:16], v[43:44], v[5:6]
	v_fma_f64 v[13:14], v[43:44], v[3:4], -v[13:14]
	v_fma_f64 v[15:16], v[45:46], v[3:4], v[15:16]
	v_add_f64 v[25:26], v[25:26], v[13:14]
	v_add_f64 v[27:28], v[15:16], v[27:28]
	ds_read_b128 v[13:16], v33 offset:1792
	s_waitcnt lgkmcnt(0)
	v_mul_f64 v[17:18], v[45:46], v[15:16]
	v_mul_f64 v[19:20], v[43:44], v[15:16]
	v_fma_f64 v[17:18], v[43:44], v[13:14], -v[17:18]
	v_fma_f64 v[19:20], v[45:46], v[13:14], v[19:20]
	;; [unrolled: 8-line block ×3, first 2 shown]
	v_mul_f64 v[5:6], v[17:18], v[15:16]
	v_add_f64 v[39:40], v[39:40], v[43:44]
	v_add_f64 v[41:42], v[3:4], v[41:42]
	v_mul_f64 v[3:4], v[19:20], v[15:16]
	v_fma_f64 v[5:6], v[19:20], v[13:14], v[5:6]
	v_fma_f64 v[3:4], v[17:18], v[13:14], -v[3:4]
	v_add_f64 v[23:24], v[5:6], v[23:24]
	v_add_f64 v[21:22], v[21:22], v[3:4]
	ds_read_b128 v[3:6], v34 offset:64
	ds_read_b128 v[13:16], v33 offset:2048
	s_waitcnt lgkmcnt(0)
	v_mul_f64 v[17:18], v[5:6], v[15:16]
	v_mul_f64 v[19:20], v[3:4], v[15:16]
	v_fma_f64 v[17:18], v[3:4], v[13:14], -v[17:18]
	v_fma_f64 v[19:20], v[5:6], v[13:14], v[19:20]
	v_add_f64 v[25:26], v[25:26], v[17:18]
	v_add_f64 v[27:28], v[19:20], v[27:28]
	ds_read_b128 v[17:20], v33 offset:2304
	s_waitcnt lgkmcnt(0)
	v_mul_f64 v[43:44], v[5:6], v[19:20]
	v_fma_f64 v[43:44], v[3:4], v[17:18], -v[43:44]
	v_mul_f64 v[3:4], v[3:4], v[19:20]
	v_add_f64 v[35:36], v[35:36], v[43:44]
	v_fma_f64 v[3:4], v[5:6], v[17:18], v[3:4]
	v_add_f64 v[37:38], v[3:4], v[37:38]
	ds_read_b128 v[3:6], v34 offset:2112
	s_waitcnt lgkmcnt(0)
	v_mul_f64 v[43:44], v[5:6], v[15:16]
	v_mul_f64 v[15:16], v[3:4], v[15:16]
	v_fma_f64 v[43:44], v[3:4], v[13:14], -v[43:44]
	v_fma_f64 v[13:14], v[5:6], v[13:14], v[15:16]
	v_add_f64 v[39:40], v[39:40], v[43:44]
	v_add_f64 v[41:42], v[13:14], v[41:42]
	v_mul_f64 v[13:14], v[5:6], v[19:20]
	v_fma_f64 v[13:14], v[3:4], v[17:18], -v[13:14]
	v_mul_f64 v[3:4], v[3:4], v[19:20]
	v_add_f64 v[21:22], v[21:22], v[13:14]
	v_fma_f64 v[3:4], v[5:6], v[17:18], v[3:4]
	v_add_f64 v[23:24], v[3:4], v[23:24]
	ds_read_b128 v[3:6], v34 offset:80
	ds_read_b128 v[13:16], v33 offset:2560
	s_waitcnt lgkmcnt(0)
	v_mul_f64 v[17:18], v[5:6], v[15:16]
	v_mul_f64 v[19:20], v[3:4], v[15:16]
	v_fma_f64 v[17:18], v[3:4], v[13:14], -v[17:18]
	v_fma_f64 v[19:20], v[5:6], v[13:14], v[19:20]
	v_add_f64 v[25:26], v[25:26], v[17:18]
	v_add_f64 v[27:28], v[19:20], v[27:28]
	ds_read_b128 v[17:20], v33 offset:2816
	s_waitcnt lgkmcnt(0)
	v_mul_f64 v[43:44], v[5:6], v[19:20]
	v_fma_f64 v[43:44], v[3:4], v[17:18], -v[43:44]
	v_mul_f64 v[3:4], v[3:4], v[19:20]
	v_add_f64 v[35:36], v[35:36], v[43:44]
	v_fma_f64 v[3:4], v[5:6], v[17:18], v[3:4]
	v_add_f64 v[37:38], v[3:4], v[37:38]
	ds_read_b128 v[3:6], v34 offset:2128
	s_waitcnt lgkmcnt(0)
	v_mul_f64 v[43:44], v[5:6], v[15:16]
	v_mul_f64 v[15:16], v[3:4], v[15:16]
	v_fma_f64 v[43:44], v[3:4], v[13:14], -v[43:44]
	v_fma_f64 v[13:14], v[5:6], v[13:14], v[15:16]
	v_add_f64 v[39:40], v[39:40], v[43:44]
	v_add_f64 v[41:42], v[13:14], v[41:42]
	v_mul_f64 v[13:14], v[5:6], v[19:20]
	v_fma_f64 v[13:14], v[3:4], v[17:18], -v[13:14]
	v_mul_f64 v[3:4], v[3:4], v[19:20]
	v_add_f64 v[21:22], v[21:22], v[13:14]
	v_fma_f64 v[3:4], v[5:6], v[17:18], v[3:4]
	;; [unrolled: 31-line block ×3, first 2 shown]
	v_add_f64 v[45:46], v[3:4], v[23:24]
	ds_read_b128 v[3:6], v34 offset:112
	ds_read_b128 v[17:20], v33 offset:3584
	s_waitcnt lgkmcnt(0)
	v_mul_f64 v[13:14], v[5:6], v[19:20]
	v_mul_f64 v[15:16], v[3:4], v[19:20]
	v_fma_f64 v[13:14], v[3:4], v[17:18], -v[13:14]
	v_fma_f64 v[15:16], v[5:6], v[17:18], v[15:16]
	v_add_f64 v[21:22], v[25:26], v[13:14]
	v_add_f64 v[23:24], v[15:16], v[27:28]
	ds_read_b128 v[25:28], v33 offset:3840
	s_waitcnt lgkmcnt(0)
	v_mul_f64 v[13:14], v[5:6], v[27:28]
	v_fma_f64 v[13:14], v[3:4], v[25:26], -v[13:14]
	v_mul_f64 v[3:4], v[3:4], v[27:28]
	v_add_f64 v[13:14], v[35:36], v[13:14]
	v_fma_f64 v[3:4], v[5:6], v[25:26], v[3:4]
	v_add_f64 v[15:16], v[3:4], v[37:38]
	ds_read_b128 v[3:6], v34 offset:2160
	s_waitcnt lgkmcnt(0)
	s_barrier
	v_mul_f64 v[35:36], v[5:6], v[19:20]
	v_mul_f64 v[19:20], v[3:4], v[19:20]
	v_fma_f64 v[35:36], v[3:4], v[17:18], -v[35:36]
	v_fma_f64 v[19:20], v[5:6], v[17:18], v[19:20]
	v_add_f64 v[17:18], v[39:40], v[35:36]
	v_mul_f64 v[35:36], v[5:6], v[27:28]
	v_add_f64 v[19:20], v[19:20], v[41:42]
	v_fma_f64 v[35:36], v[3:4], v[25:26], -v[35:36]
	v_mul_f64 v[3:4], v[3:4], v[27:28]
	v_fma_f64 v[3:4], v[5:6], v[25:26], v[3:4]
	v_add_f64 v[25:26], v[43:44], v[35:36]
	v_add_f64 v[27:28], v[3:4], v[45:46]
	s_cbranch_vccnz .LBB1837_10
.LBB1837_3:                             ; =>This Inner Loop Header: Depth=1
	v_mov_b32_e32 v4, s3
	v_add_co_u32_e32 v3, vcc, s2, v29
	v_addc_co_u32_e32 v4, vcc, 0, v4, vcc
	v_cmp_gt_i64_e32 vcc, s[12:13], v[3:4]
	v_mov_b32_e32 v3, 0
	v_mov_b32_e32 v5, 0
	;; [unrolled: 1-line block ×4, first 2 shown]
	s_and_b64 s[8:9], s[0:1], vcc
	s_and_saveexec_b64 s[6:7], s[8:9]
	s_cbranch_execz .LBB1837_5
; %bb.4:                                ;   in Loop: Header=BB1837_3 Depth=1
	flat_load_dwordx4 v[3:6], v[7:8]
	s_waitcnt vmcnt(0) lgkmcnt(0)
	v_xor_b32_e32 v6, 0x80000000, v6
.LBB1837_5:                             ;   in Loop: Header=BB1837_3 Depth=1
	s_or_b64 exec, exec, s[6:7]
	v_mov_b32_e32 v36, s3
	v_add_co_u32_e32 v35, vcc, s2, v30
	v_addc_co_u32_e32 v36, vcc, 0, v36, vcc
	v_cmp_le_i64_e32 vcc, s[12:13], v[35:36]
	ds_write_b128 v31, v[3:6]
	s_or_b64 s[6:7], vcc, s[4:5]
	s_and_saveexec_b64 s[8:9], s[6:7]
	s_xor_b64 s[6:7], exec, s[8:9]
; %bb.6:                                ;   in Loop: Header=BB1837_3 Depth=1
	v_mov_b32_e32 v3, v2
	v_mov_b32_e32 v4, v2
	;; [unrolled: 1-line block ×3, first 2 shown]
	ds_write_b128 v32, v[2:5]
; %bb.7:                                ;   in Loop: Header=BB1837_3 Depth=1
	s_andn2_saveexec_b64 s[6:7], s[6:7]
	s_cbranch_execz .LBB1837_2
; %bb.8:                                ;   in Loop: Header=BB1837_3 Depth=1
	flat_load_dwordx4 v[3:6], v[9:10]
	s_waitcnt vmcnt(0) lgkmcnt(0)
	ds_write2_b64 v32, v[3:4], v[5:6] offset1:1
	s_branch .LBB1837_2
.LBB1837_9:
	v_mov_b32_e32 v21, 0
	v_mov_b32_e32 v23, 0
	;; [unrolled: 1-line block ×16, first 2 shown]
.LBB1837_10:
	v_add_u32_e32 v4, s26, v1
	v_ashrrev_i32_e32 v1, 31, v4
	v_mul_lo_u32 v3, s22, v1
	v_mul_lo_u32 v5, s23, v4
	v_mad_u64_u32 v[1:2], s[0:1], s22, v4, 0
	v_add_u32_e32 v0, s25, v0
	v_cmp_gt_i32_e32 vcc, s24, v4
	v_add3_u32 v2, v2, v3, v5
	v_lshlrev_b64 v[1:2], 4, v[1:2]
	s_waitcnt lgkmcnt(0)
	v_mov_b32_e32 v3, s21
	v_add_co_u32_e64 v5, s[0:1], s20, v1
	v_addc_co_u32_e64 v6, s[0:1], v3, v2, s[0:1]
	v_cmp_le_i32_e64 s[0:1], v0, v4
	s_and_b64 s[0:1], vcc, s[0:1]
	s_and_saveexec_b64 s[2:3], s[0:1]
	s_cbranch_execz .LBB1837_12
; %bb.11:
	v_mul_f64 v[2:3], s[14:15], v[23:24]
	v_mul_f64 v[7:8], s[16:17], v[23:24]
	v_ashrrev_i32_e32 v1, 31, v0
	v_lshlrev_b64 v[9:10], 4, v[0:1]
	v_add_co_u32_e64 v11, s[0:1], v5, v9
	v_addc_co_u32_e64 v12, s[0:1], v6, v10, s[0:1]
	v_fma_f64 v[2:3], s[16:17], v[21:22], v[2:3]
	v_fma_f64 v[7:8], s[14:15], v[21:22], -v[7:8]
	v_cmp_ne_u32_e64 s[0:1], v4, v0
	v_cndmask_b32_e64 v10, 0, v3, s[0:1]
	v_cndmask_b32_e64 v9, 0, v2, s[0:1]
	flat_store_dwordx4 v[11:12], v[7:10]
.LBB1837_12:
	s_or_b64 exec, exec, s[2:3]
	v_add_u32_e32 v2, 16, v0
	v_cmp_le_i32_e64 s[0:1], v2, v4
	s_and_b64 s[2:3], vcc, s[0:1]
	s_and_saveexec_b64 s[0:1], s[2:3]
	s_cbranch_execz .LBB1837_14
; %bb.13:
	v_mul_f64 v[7:8], s[14:15], v[15:16]
	v_mul_f64 v[9:10], s[16:17], v[15:16]
	v_ashrrev_i32_e32 v3, 31, v2
	v_lshlrev_b64 v[15:16], 4, v[2:3]
	v_add_co_u32_e32 v5, vcc, v5, v15
	v_addc_co_u32_e32 v6, vcc, v6, v16, vcc
	v_fma_f64 v[11:12], s[16:17], v[13:14], v[7:8]
	v_fma_f64 v[7:8], s[14:15], v[13:14], -v[9:10]
	v_cmp_ne_u32_e32 vcc, v4, v2
	v_cndmask_b32_e32 v10, 0, v12, vcc
	v_cndmask_b32_e32 v9, 0, v11, vcc
	flat_store_dwordx4 v[5:6], v[7:10]
.LBB1837_14:
	s_or_b64 exec, exec, s[0:1]
	v_add_u32_e32 v3, 16, v4
	v_ashrrev_i32_e32 v1, 31, v3
	v_mul_lo_u32 v1, s22, v1
	v_mul_lo_u32 v7, s23, v3
	v_mad_u64_u32 v[5:6], s[0:1], s22, v3, 0
	v_cmp_gt_i32_e32 vcc, s24, v3
	v_add3_u32 v6, v6, v1, v7
	v_lshlrev_b64 v[5:6], 4, v[5:6]
	v_mov_b32_e32 v1, s21
	v_add_co_u32_e64 v5, s[0:1], s20, v5
	v_addc_co_u32_e64 v6, s[0:1], v1, v6, s[0:1]
	v_cmp_le_i32_e64 s[0:1], v0, v3
	s_and_b64 s[0:1], vcc, s[0:1]
	s_and_saveexec_b64 s[2:3], s[0:1]
	s_cbranch_execz .LBB1837_16
; %bb.15:
	v_mul_f64 v[7:8], s[14:15], v[19:20]
	v_mul_f64 v[9:10], s[16:17], v[19:20]
	v_ashrrev_i32_e32 v1, 31, v0
	v_lshlrev_b64 v[13:14], 4, v[0:1]
	v_add_co_u32_e64 v13, s[0:1], v5, v13
	v_addc_co_u32_e64 v14, s[0:1], v6, v14, s[0:1]
	v_fma_f64 v[11:12], s[16:17], v[17:18], v[7:8]
	v_fma_f64 v[7:8], s[14:15], v[17:18], -v[9:10]
	v_cmp_ne_u32_e64 s[0:1], v3, v0
	v_cndmask_b32_e64 v10, 0, v12, s[0:1]
	v_cndmask_b32_e64 v9, 0, v11, s[0:1]
	flat_store_dwordx4 v[13:14], v[7:10]
.LBB1837_16:
	s_or_b64 exec, exec, s[2:3]
	v_cmp_le_i32_e64 s[0:1], v2, v3
	s_and_b64 s[0:1], vcc, s[0:1]
	s_and_saveexec_b64 s[2:3], s[0:1]
	s_cbranch_execz .LBB1837_18
; %bb.17:
	v_mul_f64 v[7:8], s[14:15], v[27:28]
	v_mul_f64 v[9:10], s[16:17], v[27:28]
	v_ashrrev_i32_e32 v3, 31, v2
	v_lshlrev_b64 v[11:12], 4, v[2:3]
	v_add_co_u32_e32 v5, vcc, v5, v11
	v_addc_co_u32_e32 v6, vcc, v6, v12, vcc
	v_fma_f64 v[7:8], s[16:17], v[25:26], v[7:8]
	v_fma_f64 v[1:2], s[14:15], v[25:26], -v[9:10]
	v_cmp_ne_u32_e32 vcc, v4, v0
	v_cndmask_b32_e32 v4, 0, v8, vcc
	v_cndmask_b32_e32 v3, 0, v7, vcc
	flat_store_dwordx4 v[5:6], v[1:4]
.LBB1837_18:
	s_endpgm
	.section	.rodata,"a",@progbits
	.p2align	6, 0x0
	.amdhsa_kernel _ZL34rocblas_syrkx_herkx_general_kernelIl19rocblas_complex_numIdELi16ELi32ELi8ELb1ELb1ELc67ELc85EKPKS1_KPS1_EviT_T0_PT8_S7_lSA_S7_lS8_PT9_S7_li
		.amdhsa_group_segment_fixed_size 8192
		.amdhsa_private_segment_fixed_size 0
		.amdhsa_kernarg_size 124
		.amdhsa_user_sgpr_count 6
		.amdhsa_user_sgpr_private_segment_buffer 1
		.amdhsa_user_sgpr_dispatch_ptr 0
		.amdhsa_user_sgpr_queue_ptr 0
		.amdhsa_user_sgpr_kernarg_segment_ptr 1
		.amdhsa_user_sgpr_dispatch_id 0
		.amdhsa_user_sgpr_flat_scratch_init 0
		.amdhsa_user_sgpr_private_segment_size 0
		.amdhsa_uses_dynamic_stack 0
		.amdhsa_system_sgpr_private_segment_wavefront_offset 0
		.amdhsa_system_sgpr_workgroup_id_x 1
		.amdhsa_system_sgpr_workgroup_id_y 1
		.amdhsa_system_sgpr_workgroup_id_z 1
		.amdhsa_system_sgpr_workgroup_info 0
		.amdhsa_system_vgpr_workitem_id 1
		.amdhsa_next_free_vgpr 59
		.amdhsa_next_free_sgpr 61
		.amdhsa_reserve_vcc 1
		.amdhsa_reserve_flat_scratch 0
		.amdhsa_float_round_mode_32 0
		.amdhsa_float_round_mode_16_64 0
		.amdhsa_float_denorm_mode_32 3
		.amdhsa_float_denorm_mode_16_64 3
		.amdhsa_dx10_clamp 1
		.amdhsa_ieee_mode 1
		.amdhsa_fp16_overflow 0
		.amdhsa_exception_fp_ieee_invalid_op 0
		.amdhsa_exception_fp_denorm_src 0
		.amdhsa_exception_fp_ieee_div_zero 0
		.amdhsa_exception_fp_ieee_overflow 0
		.amdhsa_exception_fp_ieee_underflow 0
		.amdhsa_exception_fp_ieee_inexact 0
		.amdhsa_exception_int_div_zero 0
	.end_amdhsa_kernel
	.section	.text._ZL34rocblas_syrkx_herkx_general_kernelIl19rocblas_complex_numIdELi16ELi32ELi8ELb1ELb1ELc67ELc85EKPKS1_KPS1_EviT_T0_PT8_S7_lSA_S7_lS8_PT9_S7_li,"axG",@progbits,_ZL34rocblas_syrkx_herkx_general_kernelIl19rocblas_complex_numIdELi16ELi32ELi8ELb1ELb1ELc67ELc85EKPKS1_KPS1_EviT_T0_PT8_S7_lSA_S7_lS8_PT9_S7_li,comdat
.Lfunc_end1837:
	.size	_ZL34rocblas_syrkx_herkx_general_kernelIl19rocblas_complex_numIdELi16ELi32ELi8ELb1ELb1ELc67ELc85EKPKS1_KPS1_EviT_T0_PT8_S7_lSA_S7_lS8_PT9_S7_li, .Lfunc_end1837-_ZL34rocblas_syrkx_herkx_general_kernelIl19rocblas_complex_numIdELi16ELi32ELi8ELb1ELb1ELc67ELc85EKPKS1_KPS1_EviT_T0_PT8_S7_lSA_S7_lS8_PT9_S7_li
                                        ; -- End function
	.set _ZL34rocblas_syrkx_herkx_general_kernelIl19rocblas_complex_numIdELi16ELi32ELi8ELb1ELb1ELc67ELc85EKPKS1_KPS1_EviT_T0_PT8_S7_lSA_S7_lS8_PT9_S7_li.num_vgpr, 59
	.set _ZL34rocblas_syrkx_herkx_general_kernelIl19rocblas_complex_numIdELi16ELi32ELi8ELb1ELb1ELc67ELc85EKPKS1_KPS1_EviT_T0_PT8_S7_lSA_S7_lS8_PT9_S7_li.num_agpr, 0
	.set _ZL34rocblas_syrkx_herkx_general_kernelIl19rocblas_complex_numIdELi16ELi32ELi8ELb1ELb1ELc67ELc85EKPKS1_KPS1_EviT_T0_PT8_S7_lSA_S7_lS8_PT9_S7_li.numbered_sgpr, 27
	.set _ZL34rocblas_syrkx_herkx_general_kernelIl19rocblas_complex_numIdELi16ELi32ELi8ELb1ELb1ELc67ELc85EKPKS1_KPS1_EviT_T0_PT8_S7_lSA_S7_lS8_PT9_S7_li.num_named_barrier, 0
	.set _ZL34rocblas_syrkx_herkx_general_kernelIl19rocblas_complex_numIdELi16ELi32ELi8ELb1ELb1ELc67ELc85EKPKS1_KPS1_EviT_T0_PT8_S7_lSA_S7_lS8_PT9_S7_li.private_seg_size, 0
	.set _ZL34rocblas_syrkx_herkx_general_kernelIl19rocblas_complex_numIdELi16ELi32ELi8ELb1ELb1ELc67ELc85EKPKS1_KPS1_EviT_T0_PT8_S7_lSA_S7_lS8_PT9_S7_li.uses_vcc, 1
	.set _ZL34rocblas_syrkx_herkx_general_kernelIl19rocblas_complex_numIdELi16ELi32ELi8ELb1ELb1ELc67ELc85EKPKS1_KPS1_EviT_T0_PT8_S7_lSA_S7_lS8_PT9_S7_li.uses_flat_scratch, 0
	.set _ZL34rocblas_syrkx_herkx_general_kernelIl19rocblas_complex_numIdELi16ELi32ELi8ELb1ELb1ELc67ELc85EKPKS1_KPS1_EviT_T0_PT8_S7_lSA_S7_lS8_PT9_S7_li.has_dyn_sized_stack, 0
	.set _ZL34rocblas_syrkx_herkx_general_kernelIl19rocblas_complex_numIdELi16ELi32ELi8ELb1ELb1ELc67ELc85EKPKS1_KPS1_EviT_T0_PT8_S7_lSA_S7_lS8_PT9_S7_li.has_recursion, 0
	.set _ZL34rocblas_syrkx_herkx_general_kernelIl19rocblas_complex_numIdELi16ELi32ELi8ELb1ELb1ELc67ELc85EKPKS1_KPS1_EviT_T0_PT8_S7_lSA_S7_lS8_PT9_S7_li.has_indirect_call, 0
	.section	.AMDGPU.csdata,"",@progbits
; Kernel info:
; codeLenInByte = 3232
; TotalNumSgprs: 31
; NumVgprs: 59
; ScratchSize: 0
; MemoryBound: 1
; FloatMode: 240
; IeeeMode: 1
; LDSByteSize: 8192 bytes/workgroup (compile time only)
; SGPRBlocks: 8
; VGPRBlocks: 14
; NumSGPRsForWavesPerEU: 65
; NumVGPRsForWavesPerEU: 59
; Occupancy: 4
; WaveLimiterHint : 1
; COMPUTE_PGM_RSRC2:SCRATCH_EN: 0
; COMPUTE_PGM_RSRC2:USER_SGPR: 6
; COMPUTE_PGM_RSRC2:TRAP_HANDLER: 0
; COMPUTE_PGM_RSRC2:TGID_X_EN: 1
; COMPUTE_PGM_RSRC2:TGID_Y_EN: 1
; COMPUTE_PGM_RSRC2:TGID_Z_EN: 1
; COMPUTE_PGM_RSRC2:TIDIG_COMP_CNT: 1
	.section	.text._ZL34rocblas_syrkx_herkx_general_kernelIl19rocblas_complex_numIdELi16ELi32ELi8ELb1ELb1ELc78ELc85EKPKS1_KPS1_EviT_T0_PT8_S7_lSA_S7_lS8_PT9_S7_li,"axG",@progbits,_ZL34rocblas_syrkx_herkx_general_kernelIl19rocblas_complex_numIdELi16ELi32ELi8ELb1ELb1ELc78ELc85EKPKS1_KPS1_EviT_T0_PT8_S7_lSA_S7_lS8_PT9_S7_li,comdat
	.globl	_ZL34rocblas_syrkx_herkx_general_kernelIl19rocblas_complex_numIdELi16ELi32ELi8ELb1ELb1ELc78ELc85EKPKS1_KPS1_EviT_T0_PT8_S7_lSA_S7_lS8_PT9_S7_li ; -- Begin function _ZL34rocblas_syrkx_herkx_general_kernelIl19rocblas_complex_numIdELi16ELi32ELi8ELb1ELb1ELc78ELc85EKPKS1_KPS1_EviT_T0_PT8_S7_lSA_S7_lS8_PT9_S7_li
	.p2align	8
	.type	_ZL34rocblas_syrkx_herkx_general_kernelIl19rocblas_complex_numIdELi16ELi32ELi8ELb1ELb1ELc78ELc85EKPKS1_KPS1_EviT_T0_PT8_S7_lSA_S7_lS8_PT9_S7_li,@function
_ZL34rocblas_syrkx_herkx_general_kernelIl19rocblas_complex_numIdELi16ELi32ELi8ELb1ELb1ELc78ELc85EKPKS1_KPS1_EviT_T0_PT8_S7_lSA_S7_lS8_PT9_S7_li: ; @_ZL34rocblas_syrkx_herkx_general_kernelIl19rocblas_complex_numIdELi16ELi32ELi8ELb1ELb1ELc78ELc85EKPKS1_KPS1_EviT_T0_PT8_S7_lSA_S7_lS8_PT9_S7_li
; %bb.0:
	s_load_dwordx2 s[24:25], s[4:5], 0x28
	s_load_dwordx4 s[20:23], s[4:5], 0x60
	s_load_dword s26, s[4:5], 0x0
	s_load_dwordx8 s[12:19], s[4:5], 0x8
	s_mov_b32 s9, 0
	s_lshl_b64 s[0:1], s[8:9], 3
	s_waitcnt lgkmcnt(0)
	s_add_u32 s2, s20, s0
	s_addc_u32 s3, s21, s1
	s_load_dwordx2 s[20:21], s[2:3], 0x0
	v_cmp_lt_i64_e64 s[2:3], s[12:13], 1
	s_lshl_b32 s27, s6, 5
	s_lshl_b32 s28, s7, 5
	s_and_b64 vcc, exec, s[2:3]
	s_cbranch_vccnz .LBB1838_9
; %bb.1:
	s_load_dwordx4 s[8:11], s[4:5], 0x38
	v_lshl_add_u32 v3, v1, 4, v0
	v_and_b32_e32 v7, 31, v3
	v_or_b32_e32 v4, s27, v7
	v_lshrrev_b32_e32 v29, 5, v3
	s_waitcnt lgkmcnt(0)
	s_add_u32 s2, s8, s0
	s_addc_u32 s3, s9, s1
	s_load_dwordx2 s[6:7], s[2:3], 0x0
	v_cmp_gt_i32_e32 vcc, s26, v4
	v_mad_u64_u32 v[4:5], s[2:3], s24, v29, 0
	v_lshrrev_b32_e32 v6, 3, v3
	v_and_b32_e32 v30, 7, v0
	v_lshlrev_b32_e32 v3, 4, v7
	v_lshl_or_b32 v31, v29, 9, v3
	v_lshlrev_b32_e32 v3, 4, v30
	v_add_u32_e32 v2, s28, v6
	v_lshl_or_b32 v3, v6, 7, v3
	v_mad_u64_u32 v[5:6], s[2:3], s25, v29, v[5:6]
	v_mov_b32_e32 v6, 0x1000
	v_lshl_add_u32 v34, v1, 7, v6
	v_add_u32_e32 v6, s27, v7
	v_mad_u64_u32 v[9:10], s[2:3], s10, v30, 0
	v_ashrrev_i32_e32 v7, 31, v6
	v_lshlrev_b64 v[4:5], 4, v[4:5]
	v_lshlrev_b64 v[6:7], 4, v[6:7]
	s_add_u32 s0, s18, s0
	s_addc_u32 s1, s19, s1
	v_add_co_u32_e64 v6, s[2:3], v4, v6
	v_mov_b32_e32 v4, v10
	s_load_dwordx2 s[4:5], s[0:1], 0x0
	v_addc_co_u32_e64 v8, s[2:3], v5, v7, s[2:3]
	v_mad_u64_u32 v[4:5], s[2:3], s11, v30, v[4:5]
	v_add_u32_e32 v32, 0x1000, v3
	v_ashrrev_i32_e32 v3, 31, v2
	v_mov_b32_e32 v10, v4
	v_cmp_gt_i32_e64 s[0:1], s26, v2
	s_waitcnt lgkmcnt(0)
	v_mov_b32_e32 v11, s5
	v_add_co_u32_e64 v7, s[2:3], s4, v6
	v_lshlrev_b64 v[4:5], 4, v[9:10]
	v_lshlrev_b64 v[2:3], 4, v[2:3]
	v_addc_co_u32_e64 v8, s[2:3], v11, v8, s[2:3]
	v_add_co_u32_e64 v2, s[2:3], v4, v2
	v_addc_co_u32_e64 v3, s[2:3], v5, v3, s[2:3]
	v_mov_b32_e32 v4, s7
	v_add_co_u32_e64 v9, s[2:3], s6, v2
	v_addc_co_u32_e64 v10, s[2:3], v4, v3, s[2:3]
	s_lshl_b64 s[4:5], s[24:25], 7
	s_lshl_b64 s[2:3], s[10:11], 7
	v_mov_b32_e32 v27, 0
	v_mov_b32_e32 v11, s12
	;; [unrolled: 1-line block ×9, first 2 shown]
	v_lshlrev_b32_e32 v33, 4, v0
	s_mov_b64 s[6:7], 0
	v_mov_b32_e32 v28, 0
	s_xor_b64 s[8:9], vcc, -1
	v_mov_b32_e32 v35, s5
	v_mov_b32_e32 v36, s3
	;; [unrolled: 1-line block ×11, first 2 shown]
	s_branch .LBB1838_3
.LBB1838_2:                             ;   in Loop: Header=BB1838_3 Depth=1
	s_or_b64 exec, exec, s[10:11]
	ds_write_b128 v32, v[3:6]
	s_waitcnt lgkmcnt(0)
	s_barrier
	ds_read_b128 v[3:6], v34
	ds_read_b128 v[37:40], v34 offset:16
	ds_read_b128 v[41:44], v34 offset:32
	;; [unrolled: 1-line block ×3, first 2 shown]
	ds_read_b128 v[49:52], v33
	v_add_co_u32_e32 v7, vcc, s4, v7
	v_addc_co_u32_e32 v8, vcc, v8, v35, vcc
	s_waitcnt lgkmcnt(0)
	v_mul_f64 v[53:54], v[5:6], v[51:52]
	v_mul_f64 v[55:56], v[3:4], v[51:52]
	s_add_u32 s6, s6, 8
	v_add_co_u32_e32 v9, vcc, s2, v9
	s_addc_u32 s7, s7, 0
	v_addc_co_u32_e32 v10, vcc, v10, v36, vcc
	v_fma_f64 v[53:54], v[3:4], v[49:50], -v[53:54]
	v_fma_f64 v[55:56], v[5:6], v[49:50], v[55:56]
	v_cmp_ge_i64_e32 vcc, s[6:7], v[11:12]
	s_and_b64 vcc, exec, vcc
	v_add_f64 v[53:54], v[21:22], v[53:54]
	v_add_f64 v[55:56], v[55:56], v[23:24]
	ds_read_b128 v[21:24], v33 offset:256
	s_waitcnt lgkmcnt(0)
	v_mul_f64 v[57:58], v[5:6], v[23:24]
	v_fma_f64 v[57:58], v[3:4], v[21:22], -v[57:58]
	v_mul_f64 v[3:4], v[3:4], v[23:24]
	v_add_f64 v[57:58], v[13:14], v[57:58]
	v_fma_f64 v[3:4], v[5:6], v[21:22], v[3:4]
	v_add_f64 v[59:60], v[3:4], v[15:16]
	ds_read_b128 v[3:6], v34 offset:2048
	s_waitcnt lgkmcnt(0)
	v_mul_f64 v[13:14], v[5:6], v[51:52]
	v_mul_f64 v[15:16], v[3:4], v[51:52]
	v_fma_f64 v[13:14], v[3:4], v[49:50], -v[13:14]
	v_fma_f64 v[15:16], v[5:6], v[49:50], v[15:16]
	v_add_f64 v[49:50], v[17:18], v[13:14]
	v_mul_f64 v[13:14], v[5:6], v[23:24]
	v_add_f64 v[51:52], v[15:16], v[19:20]
	v_fma_f64 v[13:14], v[3:4], v[21:22], -v[13:14]
	v_mul_f64 v[3:4], v[3:4], v[23:24]
	v_fma_f64 v[3:4], v[5:6], v[21:22], v[3:4]
	v_add_f64 v[21:22], v[25:26], v[13:14]
	v_add_f64 v[23:24], v[3:4], v[27:28]
	ds_read_b128 v[3:6], v33 offset:512
	s_waitcnt lgkmcnt(0)
	v_mul_f64 v[13:14], v[39:40], v[5:6]
	v_mul_f64 v[15:16], v[37:38], v[5:6]
	v_fma_f64 v[13:14], v[37:38], v[3:4], -v[13:14]
	v_fma_f64 v[15:16], v[39:40], v[3:4], v[15:16]
	v_add_f64 v[25:26], v[53:54], v[13:14]
	v_add_f64 v[27:28], v[15:16], v[55:56]
	ds_read_b128 v[13:16], v33 offset:768
	s_waitcnt lgkmcnt(0)
	v_mul_f64 v[17:18], v[39:40], v[15:16]
	v_mul_f64 v[19:20], v[37:38], v[15:16]
	v_fma_f64 v[17:18], v[37:38], v[13:14], -v[17:18]
	v_fma_f64 v[19:20], v[39:40], v[13:14], v[19:20]
	v_add_f64 v[37:38], v[57:58], v[17:18]
	v_add_f64 v[39:40], v[19:20], v[59:60]
	ds_read_b128 v[17:20], v34 offset:2064
	s_waitcnt lgkmcnt(0)
	v_mul_f64 v[53:54], v[19:20], v[5:6]
	v_mul_f64 v[5:6], v[17:18], v[5:6]
	v_fma_f64 v[53:54], v[17:18], v[3:4], -v[53:54]
	v_fma_f64 v[3:4], v[19:20], v[3:4], v[5:6]
	v_mul_f64 v[5:6], v[17:18], v[15:16]
	v_add_f64 v[49:50], v[49:50], v[53:54]
	v_add_f64 v[51:52], v[3:4], v[51:52]
	v_mul_f64 v[3:4], v[19:20], v[15:16]
	v_fma_f64 v[5:6], v[19:20], v[13:14], v[5:6]
	v_fma_f64 v[3:4], v[17:18], v[13:14], -v[3:4]
	v_add_f64 v[23:24], v[5:6], v[23:24]
	v_add_f64 v[21:22], v[21:22], v[3:4]
	ds_read_b128 v[3:6], v33 offset:1024
	s_waitcnt lgkmcnt(0)
	v_mul_f64 v[13:14], v[43:44], v[5:6]
	v_mul_f64 v[15:16], v[41:42], v[5:6]
	v_fma_f64 v[13:14], v[41:42], v[3:4], -v[13:14]
	v_fma_f64 v[15:16], v[43:44], v[3:4], v[15:16]
	v_add_f64 v[25:26], v[25:26], v[13:14]
	v_add_f64 v[27:28], v[15:16], v[27:28]
	ds_read_b128 v[13:16], v33 offset:1280
	s_waitcnt lgkmcnt(0)
	v_mul_f64 v[17:18], v[43:44], v[15:16]
	v_mul_f64 v[19:20], v[41:42], v[15:16]
	v_fma_f64 v[17:18], v[41:42], v[13:14], -v[17:18]
	v_fma_f64 v[19:20], v[43:44], v[13:14], v[19:20]
	;; [unrolled: 8-line block ×3, first 2 shown]
	v_mul_f64 v[5:6], v[17:18], v[15:16]
	v_add_f64 v[41:42], v[49:50], v[41:42]
	v_add_f64 v[43:44], v[3:4], v[51:52]
	v_mul_f64 v[3:4], v[19:20], v[15:16]
	v_fma_f64 v[5:6], v[19:20], v[13:14], v[5:6]
	v_fma_f64 v[3:4], v[17:18], v[13:14], -v[3:4]
	v_add_f64 v[23:24], v[5:6], v[23:24]
	v_add_f64 v[21:22], v[21:22], v[3:4]
	ds_read_b128 v[3:6], v33 offset:1536
	s_waitcnt lgkmcnt(0)
	v_mul_f64 v[13:14], v[47:48], v[5:6]
	v_mul_f64 v[15:16], v[45:46], v[5:6]
	v_fma_f64 v[13:14], v[45:46], v[3:4], -v[13:14]
	v_fma_f64 v[15:16], v[47:48], v[3:4], v[15:16]
	v_add_f64 v[25:26], v[25:26], v[13:14]
	v_add_f64 v[27:28], v[15:16], v[27:28]
	ds_read_b128 v[13:16], v33 offset:1792
	s_waitcnt lgkmcnt(0)
	v_mul_f64 v[17:18], v[47:48], v[15:16]
	v_mul_f64 v[19:20], v[45:46], v[15:16]
	v_fma_f64 v[17:18], v[45:46], v[13:14], -v[17:18]
	v_fma_f64 v[19:20], v[47:48], v[13:14], v[19:20]
	;; [unrolled: 8-line block ×3, first 2 shown]
	v_mul_f64 v[5:6], v[17:18], v[15:16]
	v_add_f64 v[41:42], v[41:42], v[45:46]
	v_add_f64 v[43:44], v[3:4], v[43:44]
	v_mul_f64 v[3:4], v[19:20], v[15:16]
	v_fma_f64 v[5:6], v[19:20], v[13:14], v[5:6]
	v_fma_f64 v[3:4], v[17:18], v[13:14], -v[3:4]
	v_add_f64 v[23:24], v[5:6], v[23:24]
	v_add_f64 v[21:22], v[21:22], v[3:4]
	ds_read_b128 v[3:6], v34 offset:64
	ds_read_b128 v[13:16], v33 offset:2048
	s_waitcnt lgkmcnt(0)
	v_mul_f64 v[17:18], v[5:6], v[15:16]
	v_mul_f64 v[19:20], v[3:4], v[15:16]
	v_fma_f64 v[17:18], v[3:4], v[13:14], -v[17:18]
	v_fma_f64 v[19:20], v[5:6], v[13:14], v[19:20]
	v_add_f64 v[25:26], v[25:26], v[17:18]
	v_add_f64 v[27:28], v[19:20], v[27:28]
	ds_read_b128 v[17:20], v33 offset:2304
	s_waitcnt lgkmcnt(0)
	v_mul_f64 v[45:46], v[5:6], v[19:20]
	v_fma_f64 v[45:46], v[3:4], v[17:18], -v[45:46]
	v_mul_f64 v[3:4], v[3:4], v[19:20]
	v_add_f64 v[37:38], v[37:38], v[45:46]
	v_fma_f64 v[3:4], v[5:6], v[17:18], v[3:4]
	v_add_f64 v[39:40], v[3:4], v[39:40]
	ds_read_b128 v[3:6], v34 offset:2112
	s_waitcnt lgkmcnt(0)
	v_mul_f64 v[45:46], v[5:6], v[15:16]
	v_mul_f64 v[15:16], v[3:4], v[15:16]
	v_fma_f64 v[45:46], v[3:4], v[13:14], -v[45:46]
	v_fma_f64 v[13:14], v[5:6], v[13:14], v[15:16]
	v_add_f64 v[41:42], v[41:42], v[45:46]
	v_add_f64 v[43:44], v[13:14], v[43:44]
	v_mul_f64 v[13:14], v[5:6], v[19:20]
	v_fma_f64 v[13:14], v[3:4], v[17:18], -v[13:14]
	v_mul_f64 v[3:4], v[3:4], v[19:20]
	v_add_f64 v[21:22], v[21:22], v[13:14]
	v_fma_f64 v[3:4], v[5:6], v[17:18], v[3:4]
	v_add_f64 v[23:24], v[3:4], v[23:24]
	ds_read_b128 v[3:6], v34 offset:80
	ds_read_b128 v[13:16], v33 offset:2560
	s_waitcnt lgkmcnt(0)
	v_mul_f64 v[17:18], v[5:6], v[15:16]
	v_mul_f64 v[19:20], v[3:4], v[15:16]
	v_fma_f64 v[17:18], v[3:4], v[13:14], -v[17:18]
	v_fma_f64 v[19:20], v[5:6], v[13:14], v[19:20]
	v_add_f64 v[25:26], v[25:26], v[17:18]
	v_add_f64 v[27:28], v[19:20], v[27:28]
	ds_read_b128 v[17:20], v33 offset:2816
	s_waitcnt lgkmcnt(0)
	v_mul_f64 v[45:46], v[5:6], v[19:20]
	v_fma_f64 v[45:46], v[3:4], v[17:18], -v[45:46]
	v_mul_f64 v[3:4], v[3:4], v[19:20]
	v_add_f64 v[37:38], v[37:38], v[45:46]
	v_fma_f64 v[3:4], v[5:6], v[17:18], v[3:4]
	v_add_f64 v[39:40], v[3:4], v[39:40]
	ds_read_b128 v[3:6], v34 offset:2128
	s_waitcnt lgkmcnt(0)
	v_mul_f64 v[45:46], v[5:6], v[15:16]
	v_mul_f64 v[15:16], v[3:4], v[15:16]
	v_fma_f64 v[45:46], v[3:4], v[13:14], -v[45:46]
	v_fma_f64 v[13:14], v[5:6], v[13:14], v[15:16]
	v_add_f64 v[41:42], v[41:42], v[45:46]
	v_add_f64 v[43:44], v[13:14], v[43:44]
	v_mul_f64 v[13:14], v[5:6], v[19:20]
	v_fma_f64 v[13:14], v[3:4], v[17:18], -v[13:14]
	v_mul_f64 v[3:4], v[3:4], v[19:20]
	v_add_f64 v[21:22], v[21:22], v[13:14]
	v_fma_f64 v[3:4], v[5:6], v[17:18], v[3:4]
	;; [unrolled: 31-line block ×3, first 2 shown]
	v_add_f64 v[47:48], v[3:4], v[23:24]
	ds_read_b128 v[3:6], v34 offset:112
	ds_read_b128 v[17:20], v33 offset:3584
	s_waitcnt lgkmcnt(0)
	v_mul_f64 v[13:14], v[5:6], v[19:20]
	v_mul_f64 v[15:16], v[3:4], v[19:20]
	v_fma_f64 v[13:14], v[3:4], v[17:18], -v[13:14]
	v_fma_f64 v[15:16], v[5:6], v[17:18], v[15:16]
	v_add_f64 v[21:22], v[25:26], v[13:14]
	v_add_f64 v[23:24], v[15:16], v[27:28]
	ds_read_b128 v[25:28], v33 offset:3840
	s_waitcnt lgkmcnt(0)
	v_mul_f64 v[13:14], v[5:6], v[27:28]
	v_fma_f64 v[13:14], v[3:4], v[25:26], -v[13:14]
	v_mul_f64 v[3:4], v[3:4], v[27:28]
	v_add_f64 v[13:14], v[37:38], v[13:14]
	v_fma_f64 v[3:4], v[5:6], v[25:26], v[3:4]
	v_add_f64 v[15:16], v[3:4], v[39:40]
	ds_read_b128 v[3:6], v34 offset:2160
	s_waitcnt lgkmcnt(0)
	s_barrier
	v_mul_f64 v[37:38], v[5:6], v[19:20]
	v_mul_f64 v[19:20], v[3:4], v[19:20]
	v_fma_f64 v[37:38], v[3:4], v[17:18], -v[37:38]
	v_fma_f64 v[19:20], v[5:6], v[17:18], v[19:20]
	v_add_f64 v[17:18], v[41:42], v[37:38]
	v_mul_f64 v[37:38], v[5:6], v[27:28]
	v_add_f64 v[19:20], v[19:20], v[43:44]
	v_fma_f64 v[37:38], v[3:4], v[25:26], -v[37:38]
	v_mul_f64 v[3:4], v[3:4], v[27:28]
	v_fma_f64 v[3:4], v[5:6], v[25:26], v[3:4]
	v_add_f64 v[25:26], v[45:46], v[37:38]
	v_add_f64 v[27:28], v[3:4], v[47:48]
	s_cbranch_vccnz .LBB1838_10
.LBB1838_3:                             ; =>This Inner Loop Header: Depth=1
	v_mov_b32_e32 v4, s7
	v_add_co_u32_e32 v3, vcc, s6, v29
	v_addc_co_u32_e32 v4, vcc, 0, v4, vcc
	v_cmp_le_i64_e32 vcc, s[12:13], v[3:4]
	s_or_b64 s[10:11], s[8:9], vcc
	s_and_saveexec_b64 s[18:19], s[10:11]
	s_xor_b64 s[10:11], exec, s[18:19]
; %bb.4:                                ;   in Loop: Header=BB1838_3 Depth=1
	v_mov_b32_e32 v3, v2
	v_mov_b32_e32 v4, v2
	;; [unrolled: 1-line block ×3, first 2 shown]
	ds_write_b128 v31, v[2:5]
; %bb.5:                                ;   in Loop: Header=BB1838_3 Depth=1
	s_andn2_saveexec_b64 s[10:11], s[10:11]
	s_cbranch_execz .LBB1838_7
; %bb.6:                                ;   in Loop: Header=BB1838_3 Depth=1
	flat_load_dwordx4 v[3:6], v[7:8]
	s_waitcnt vmcnt(0) lgkmcnt(0)
	ds_write2_b64 v31, v[3:4], v[5:6] offset1:1
.LBB1838_7:                             ;   in Loop: Header=BB1838_3 Depth=1
	s_or_b64 exec, exec, s[10:11]
	v_mov_b32_e32 v4, s7
	v_add_co_u32_e32 v3, vcc, s6, v30
	v_addc_co_u32_e32 v4, vcc, 0, v4, vcc
	v_cmp_gt_i64_e32 vcc, s[12:13], v[3:4]
	v_mov_b32_e32 v3, 0
	v_mov_b32_e32 v5, 0
	;; [unrolled: 1-line block ×4, first 2 shown]
	s_and_b64 s[18:19], vcc, s[0:1]
	s_and_saveexec_b64 s[10:11], s[18:19]
	s_cbranch_execz .LBB1838_2
; %bb.8:                                ;   in Loop: Header=BB1838_3 Depth=1
	flat_load_dwordx4 v[3:6], v[9:10]
	s_waitcnt vmcnt(0) lgkmcnt(0)
	v_xor_b32_e32 v6, 0x80000000, v6
	s_branch .LBB1838_2
.LBB1838_9:
	v_mov_b32_e32 v21, 0
	v_mov_b32_e32 v23, 0
	;; [unrolled: 1-line block ×16, first 2 shown]
.LBB1838_10:
	v_add_u32_e32 v4, s28, v1
	v_ashrrev_i32_e32 v1, 31, v4
	v_mul_lo_u32 v3, s22, v1
	v_mul_lo_u32 v5, s23, v4
	v_mad_u64_u32 v[1:2], s[0:1], s22, v4, 0
	v_add_u32_e32 v0, s27, v0
	v_cmp_gt_i32_e32 vcc, s26, v4
	v_add3_u32 v2, v2, v3, v5
	v_lshlrev_b64 v[1:2], 4, v[1:2]
	s_waitcnt lgkmcnt(0)
	v_mov_b32_e32 v3, s21
	v_add_co_u32_e64 v5, s[0:1], s20, v1
	v_addc_co_u32_e64 v6, s[0:1], v3, v2, s[0:1]
	v_cmp_le_i32_e64 s[0:1], v0, v4
	s_and_b64 s[0:1], vcc, s[0:1]
	s_and_saveexec_b64 s[2:3], s[0:1]
	s_cbranch_execz .LBB1838_12
; %bb.11:
	v_mul_f64 v[2:3], s[14:15], v[23:24]
	v_mul_f64 v[7:8], s[16:17], v[23:24]
	v_ashrrev_i32_e32 v1, 31, v0
	v_lshlrev_b64 v[9:10], 4, v[0:1]
	v_add_co_u32_e64 v11, s[0:1], v5, v9
	v_addc_co_u32_e64 v12, s[0:1], v6, v10, s[0:1]
	v_fma_f64 v[2:3], s[16:17], v[21:22], v[2:3]
	v_fma_f64 v[7:8], s[14:15], v[21:22], -v[7:8]
	v_cmp_ne_u32_e64 s[0:1], v4, v0
	v_cndmask_b32_e64 v10, 0, v3, s[0:1]
	v_cndmask_b32_e64 v9, 0, v2, s[0:1]
	flat_store_dwordx4 v[11:12], v[7:10]
.LBB1838_12:
	s_or_b64 exec, exec, s[2:3]
	v_add_u32_e32 v2, 16, v0
	v_cmp_le_i32_e64 s[0:1], v2, v4
	s_and_b64 s[2:3], vcc, s[0:1]
	s_and_saveexec_b64 s[0:1], s[2:3]
	s_cbranch_execz .LBB1838_14
; %bb.13:
	v_mul_f64 v[7:8], s[14:15], v[15:16]
	v_mul_f64 v[9:10], s[16:17], v[15:16]
	v_ashrrev_i32_e32 v3, 31, v2
	v_lshlrev_b64 v[15:16], 4, v[2:3]
	v_add_co_u32_e32 v5, vcc, v5, v15
	v_addc_co_u32_e32 v6, vcc, v6, v16, vcc
	v_fma_f64 v[11:12], s[16:17], v[13:14], v[7:8]
	v_fma_f64 v[7:8], s[14:15], v[13:14], -v[9:10]
	v_cmp_ne_u32_e32 vcc, v4, v2
	v_cndmask_b32_e32 v10, 0, v12, vcc
	v_cndmask_b32_e32 v9, 0, v11, vcc
	flat_store_dwordx4 v[5:6], v[7:10]
.LBB1838_14:
	s_or_b64 exec, exec, s[0:1]
	v_add_u32_e32 v3, 16, v4
	v_ashrrev_i32_e32 v1, 31, v3
	v_mul_lo_u32 v1, s22, v1
	v_mul_lo_u32 v7, s23, v3
	v_mad_u64_u32 v[5:6], s[0:1], s22, v3, 0
	v_cmp_gt_i32_e32 vcc, s26, v3
	v_add3_u32 v6, v6, v1, v7
	v_lshlrev_b64 v[5:6], 4, v[5:6]
	v_mov_b32_e32 v1, s21
	v_add_co_u32_e64 v5, s[0:1], s20, v5
	v_addc_co_u32_e64 v6, s[0:1], v1, v6, s[0:1]
	v_cmp_le_i32_e64 s[0:1], v0, v3
	s_and_b64 s[0:1], vcc, s[0:1]
	s_and_saveexec_b64 s[2:3], s[0:1]
	s_cbranch_execz .LBB1838_16
; %bb.15:
	v_mul_f64 v[7:8], s[14:15], v[19:20]
	v_mul_f64 v[9:10], s[16:17], v[19:20]
	v_ashrrev_i32_e32 v1, 31, v0
	v_lshlrev_b64 v[13:14], 4, v[0:1]
	v_add_co_u32_e64 v13, s[0:1], v5, v13
	v_addc_co_u32_e64 v14, s[0:1], v6, v14, s[0:1]
	v_fma_f64 v[11:12], s[16:17], v[17:18], v[7:8]
	v_fma_f64 v[7:8], s[14:15], v[17:18], -v[9:10]
	v_cmp_ne_u32_e64 s[0:1], v3, v0
	v_cndmask_b32_e64 v10, 0, v12, s[0:1]
	v_cndmask_b32_e64 v9, 0, v11, s[0:1]
	flat_store_dwordx4 v[13:14], v[7:10]
.LBB1838_16:
	s_or_b64 exec, exec, s[2:3]
	v_cmp_le_i32_e64 s[0:1], v2, v3
	s_and_b64 s[0:1], vcc, s[0:1]
	s_and_saveexec_b64 s[2:3], s[0:1]
	s_cbranch_execz .LBB1838_18
; %bb.17:
	v_mul_f64 v[7:8], s[14:15], v[27:28]
	v_mul_f64 v[9:10], s[16:17], v[27:28]
	v_ashrrev_i32_e32 v3, 31, v2
	v_lshlrev_b64 v[11:12], 4, v[2:3]
	v_add_co_u32_e32 v5, vcc, v5, v11
	v_addc_co_u32_e32 v6, vcc, v6, v12, vcc
	v_fma_f64 v[7:8], s[16:17], v[25:26], v[7:8]
	v_fma_f64 v[1:2], s[14:15], v[25:26], -v[9:10]
	v_cmp_ne_u32_e32 vcc, v4, v0
	v_cndmask_b32_e32 v4, 0, v8, vcc
	v_cndmask_b32_e32 v3, 0, v7, vcc
	flat_store_dwordx4 v[5:6], v[1:4]
.LBB1838_18:
	s_endpgm
	.section	.rodata,"a",@progbits
	.p2align	6, 0x0
	.amdhsa_kernel _ZL34rocblas_syrkx_herkx_general_kernelIl19rocblas_complex_numIdELi16ELi32ELi8ELb1ELb1ELc78ELc85EKPKS1_KPS1_EviT_T0_PT8_S7_lSA_S7_lS8_PT9_S7_li
		.amdhsa_group_segment_fixed_size 8192
		.amdhsa_private_segment_fixed_size 0
		.amdhsa_kernarg_size 124
		.amdhsa_user_sgpr_count 6
		.amdhsa_user_sgpr_private_segment_buffer 1
		.amdhsa_user_sgpr_dispatch_ptr 0
		.amdhsa_user_sgpr_queue_ptr 0
		.amdhsa_user_sgpr_kernarg_segment_ptr 1
		.amdhsa_user_sgpr_dispatch_id 0
		.amdhsa_user_sgpr_flat_scratch_init 0
		.amdhsa_user_sgpr_private_segment_size 0
		.amdhsa_uses_dynamic_stack 0
		.amdhsa_system_sgpr_private_segment_wavefront_offset 0
		.amdhsa_system_sgpr_workgroup_id_x 1
		.amdhsa_system_sgpr_workgroup_id_y 1
		.amdhsa_system_sgpr_workgroup_id_z 1
		.amdhsa_system_sgpr_workgroup_info 0
		.amdhsa_system_vgpr_workitem_id 1
		.amdhsa_next_free_vgpr 61
		.amdhsa_next_free_sgpr 61
		.amdhsa_reserve_vcc 1
		.amdhsa_reserve_flat_scratch 0
		.amdhsa_float_round_mode_32 0
		.amdhsa_float_round_mode_16_64 0
		.amdhsa_float_denorm_mode_32 3
		.amdhsa_float_denorm_mode_16_64 3
		.amdhsa_dx10_clamp 1
		.amdhsa_ieee_mode 1
		.amdhsa_fp16_overflow 0
		.amdhsa_exception_fp_ieee_invalid_op 0
		.amdhsa_exception_fp_denorm_src 0
		.amdhsa_exception_fp_ieee_div_zero 0
		.amdhsa_exception_fp_ieee_overflow 0
		.amdhsa_exception_fp_ieee_underflow 0
		.amdhsa_exception_fp_ieee_inexact 0
		.amdhsa_exception_int_div_zero 0
	.end_amdhsa_kernel
	.section	.text._ZL34rocblas_syrkx_herkx_general_kernelIl19rocblas_complex_numIdELi16ELi32ELi8ELb1ELb1ELc78ELc85EKPKS1_KPS1_EviT_T0_PT8_S7_lSA_S7_lS8_PT9_S7_li,"axG",@progbits,_ZL34rocblas_syrkx_herkx_general_kernelIl19rocblas_complex_numIdELi16ELi32ELi8ELb1ELb1ELc78ELc85EKPKS1_KPS1_EviT_T0_PT8_S7_lSA_S7_lS8_PT9_S7_li,comdat
.Lfunc_end1838:
	.size	_ZL34rocblas_syrkx_herkx_general_kernelIl19rocblas_complex_numIdELi16ELi32ELi8ELb1ELb1ELc78ELc85EKPKS1_KPS1_EviT_T0_PT8_S7_lSA_S7_lS8_PT9_S7_li, .Lfunc_end1838-_ZL34rocblas_syrkx_herkx_general_kernelIl19rocblas_complex_numIdELi16ELi32ELi8ELb1ELb1ELc78ELc85EKPKS1_KPS1_EviT_T0_PT8_S7_lSA_S7_lS8_PT9_S7_li
                                        ; -- End function
	.set _ZL34rocblas_syrkx_herkx_general_kernelIl19rocblas_complex_numIdELi16ELi32ELi8ELb1ELb1ELc78ELc85EKPKS1_KPS1_EviT_T0_PT8_S7_lSA_S7_lS8_PT9_S7_li.num_vgpr, 61
	.set _ZL34rocblas_syrkx_herkx_general_kernelIl19rocblas_complex_numIdELi16ELi32ELi8ELb1ELb1ELc78ELc85EKPKS1_KPS1_EviT_T0_PT8_S7_lSA_S7_lS8_PT9_S7_li.num_agpr, 0
	.set _ZL34rocblas_syrkx_herkx_general_kernelIl19rocblas_complex_numIdELi16ELi32ELi8ELb1ELb1ELc78ELc85EKPKS1_KPS1_EviT_T0_PT8_S7_lSA_S7_lS8_PT9_S7_li.numbered_sgpr, 29
	.set _ZL34rocblas_syrkx_herkx_general_kernelIl19rocblas_complex_numIdELi16ELi32ELi8ELb1ELb1ELc78ELc85EKPKS1_KPS1_EviT_T0_PT8_S7_lSA_S7_lS8_PT9_S7_li.num_named_barrier, 0
	.set _ZL34rocblas_syrkx_herkx_general_kernelIl19rocblas_complex_numIdELi16ELi32ELi8ELb1ELb1ELc78ELc85EKPKS1_KPS1_EviT_T0_PT8_S7_lSA_S7_lS8_PT9_S7_li.private_seg_size, 0
	.set _ZL34rocblas_syrkx_herkx_general_kernelIl19rocblas_complex_numIdELi16ELi32ELi8ELb1ELb1ELc78ELc85EKPKS1_KPS1_EviT_T0_PT8_S7_lSA_S7_lS8_PT9_S7_li.uses_vcc, 1
	.set _ZL34rocblas_syrkx_herkx_general_kernelIl19rocblas_complex_numIdELi16ELi32ELi8ELb1ELb1ELc78ELc85EKPKS1_KPS1_EviT_T0_PT8_S7_lSA_S7_lS8_PT9_S7_li.uses_flat_scratch, 0
	.set _ZL34rocblas_syrkx_herkx_general_kernelIl19rocblas_complex_numIdELi16ELi32ELi8ELb1ELb1ELc78ELc85EKPKS1_KPS1_EviT_T0_PT8_S7_lSA_S7_lS8_PT9_S7_li.has_dyn_sized_stack, 0
	.set _ZL34rocblas_syrkx_herkx_general_kernelIl19rocblas_complex_numIdELi16ELi32ELi8ELb1ELb1ELc78ELc85EKPKS1_KPS1_EviT_T0_PT8_S7_lSA_S7_lS8_PT9_S7_li.has_recursion, 0
	.set _ZL34rocblas_syrkx_herkx_general_kernelIl19rocblas_complex_numIdELi16ELi32ELi8ELb1ELb1ELc78ELc85EKPKS1_KPS1_EviT_T0_PT8_S7_lSA_S7_lS8_PT9_S7_li.has_indirect_call, 0
	.section	.AMDGPU.csdata,"",@progbits
; Kernel info:
; codeLenInByte = 3228
; TotalNumSgprs: 33
; NumVgprs: 61
; ScratchSize: 0
; MemoryBound: 1
; FloatMode: 240
; IeeeMode: 1
; LDSByteSize: 8192 bytes/workgroup (compile time only)
; SGPRBlocks: 8
; VGPRBlocks: 15
; NumSGPRsForWavesPerEU: 65
; NumVGPRsForWavesPerEU: 61
; Occupancy: 4
; WaveLimiterHint : 1
; COMPUTE_PGM_RSRC2:SCRATCH_EN: 0
; COMPUTE_PGM_RSRC2:USER_SGPR: 6
; COMPUTE_PGM_RSRC2:TRAP_HANDLER: 0
; COMPUTE_PGM_RSRC2:TGID_X_EN: 1
; COMPUTE_PGM_RSRC2:TGID_Y_EN: 1
; COMPUTE_PGM_RSRC2:TGID_Z_EN: 1
; COMPUTE_PGM_RSRC2:TIDIG_COMP_CNT: 1
	.section	.text._ZL34rocblas_syrkx_herkx_general_kernelIl19rocblas_complex_numIdELi16ELi32ELi8ELb0ELb1ELc84ELc76EKPKS1_KPS1_EviT_T0_PT8_S7_lSA_S7_lS8_PT9_S7_li,"axG",@progbits,_ZL34rocblas_syrkx_herkx_general_kernelIl19rocblas_complex_numIdELi16ELi32ELi8ELb0ELb1ELc84ELc76EKPKS1_KPS1_EviT_T0_PT8_S7_lSA_S7_lS8_PT9_S7_li,comdat
	.globl	_ZL34rocblas_syrkx_herkx_general_kernelIl19rocblas_complex_numIdELi16ELi32ELi8ELb0ELb1ELc84ELc76EKPKS1_KPS1_EviT_T0_PT8_S7_lSA_S7_lS8_PT9_S7_li ; -- Begin function _ZL34rocblas_syrkx_herkx_general_kernelIl19rocblas_complex_numIdELi16ELi32ELi8ELb0ELb1ELc84ELc76EKPKS1_KPS1_EviT_T0_PT8_S7_lSA_S7_lS8_PT9_S7_li
	.p2align	8
	.type	_ZL34rocblas_syrkx_herkx_general_kernelIl19rocblas_complex_numIdELi16ELi32ELi8ELb0ELb1ELc84ELc76EKPKS1_KPS1_EviT_T0_PT8_S7_lSA_S7_lS8_PT9_S7_li,@function
_ZL34rocblas_syrkx_herkx_general_kernelIl19rocblas_complex_numIdELi16ELi32ELi8ELb0ELb1ELc84ELc76EKPKS1_KPS1_EviT_T0_PT8_S7_lSA_S7_lS8_PT9_S7_li: ; @_ZL34rocblas_syrkx_herkx_general_kernelIl19rocblas_complex_numIdELi16ELi32ELi8ELb0ELb1ELc84ELc76EKPKS1_KPS1_EviT_T0_PT8_S7_lSA_S7_lS8_PT9_S7_li
; %bb.0:
	s_load_dword s28, s[4:5], 0x0
	s_load_dwordx8 s[12:19], s[4:5], 0x50
	s_load_dwordx8 s[20:27], s[4:5], 0x8
	s_load_dwordx2 s[2:3], s[4:5], 0x28
	s_mov_b32 s9, 0
	s_lshl_b64 s[0:1], s[8:9], 3
	s_waitcnt lgkmcnt(0)
	s_add_u32 s8, s16, s0
	s_addc_u32 s9, s17, s1
	s_load_dwordx2 s[16:17], s[8:9], 0x0
	v_cmp_lt_i64_e64 s[8:9], s[20:21], 1
	s_lshl_b32 s29, s6, 5
	s_lshl_b32 s30, s7, 5
	s_and_b64 vcc, exec, s[8:9]
	s_cbranch_vccnz .LBB1839_11
; %bb.1:
	v_lshl_add_u32 v2, v1, 4, v0
	v_and_b32_e32 v5, 31, v2
	v_and_b32_e32 v29, 7, v0
	v_lshrrev_b32_e32 v3, 3, v2
	v_lshrrev_b32_e32 v28, 5, v2
	v_lshlrev_b32_e32 v2, 4, v5
	v_lshlrev_b32_e32 v8, 4, v29
	v_lshl_or_b32 v30, v28, 9, v2
	v_lshl_or_b32 v2, v3, 7, v8
	v_add_u32_e32 v31, 0x1000, v2
	v_add_u32_e32 v2, s29, v5
	s_load_dwordx4 s[8:11], s[4:5], 0x38
	v_add_u32_e32 v4, s30, v3
	v_ashrrev_i32_e32 v3, 31, v2
	v_or_b32_e32 v6, s29, v5
	v_mul_lo_u32 v5, s2, v3
	v_mul_lo_u32 v7, s3, v2
	v_mad_u64_u32 v[2:3], s[2:3], s2, v2, 0
	s_waitcnt lgkmcnt(0)
	s_add_u32 s4, s8, s0
	s_addc_u32 s5, s9, s1
	v_add3_u32 v3, v3, v5, v7
	v_lshlrev_b64 v[2:3], 4, v[2:3]
	s_add_u32 s0, s26, s0
	v_lshlrev_b32_e32 v5, 4, v28
	s_addc_u32 s1, s27, s1
	v_cmp_gt_i32_e32 vcc, s28, v6
	v_ashrrev_i32_e32 v6, 31, v4
	v_add_co_u32_e64 v5, s[2:3], v2, v5
	s_load_dwordx2 s[6:7], s[0:1], 0x0
	v_addc_co_u32_e64 v7, s[2:3], 0, v3, s[2:3]
	v_mul_lo_u32 v10, s10, v6
	v_mul_lo_u32 v11, s11, v4
	v_mad_u64_u32 v[2:3], s[2:3], s10, v4, 0
	s_load_dwordx2 s[4:5], s[4:5], 0x0
	v_mov_b32_e32 v9, 0x1000
	v_add3_u32 v3, v3, v10, v11
	v_lshl_add_u32 v33, v1, 7, v9
	s_waitcnt lgkmcnt(0)
	v_mov_b32_e32 v9, s7
	v_add_co_u32_e64 v6, s[2:3], s6, v5
	v_lshlrev_b64 v[2:3], 4, v[2:3]
	v_addc_co_u32_e64 v7, s[2:3], v9, v7, s[2:3]
	v_add_co_u32_e64 v2, s[2:3], v2, v8
	v_addc_co_u32_e64 v3, s[2:3], 0, v3, s[2:3]
	v_cmp_gt_i32_e64 s[0:1], s28, v4
	v_mov_b32_e32 v4, s5
	v_add_co_u32_e64 v8, s[2:3], s4, v2
	v_addc_co_u32_e64 v9, s[2:3], v4, v3, s[2:3]
	v_mov_b32_e32 v24, 0
	v_mov_b32_e32 v10, s20
	;; [unrolled: 1-line block ×9, first 2 shown]
	v_lshlrev_b32_e32 v32, 4, v0
	s_mov_b64 s[2:3], 0
	v_mov_b32_e32 v25, 0
	s_xor_b64 s[4:5], vcc, -1
	s_xor_b64 s[0:1], s[0:1], -1
	v_mov_b32_e32 v11, s21
	v_mov_b32_e32 v27, 0
	;; [unrolled: 1-line block ×9, first 2 shown]
	s_branch .LBB1839_3
.LBB1839_2:                             ;   in Loop: Header=BB1839_3 Depth=1
	s_or_b64 exec, exec, s[6:7]
	s_waitcnt lgkmcnt(0)
	s_barrier
	ds_read_b128 v[34:37], v33
	ds_read_b128 v[38:41], v33 offset:16
	ds_read_b128 v[42:45], v33 offset:32
	;; [unrolled: 1-line block ×3, first 2 shown]
	ds_read_b128 v[50:53], v32
	v_add_co_u32_e32 v6, vcc, 0x80, v6
	v_addc_co_u32_e32 v7, vcc, 0, v7, vcc
	s_waitcnt lgkmcnt(0)
	v_mul_f64 v[3:4], v[36:37], v[52:53]
	v_mul_f64 v[54:55], v[34:35], v[52:53]
	s_add_u32 s2, s2, 8
	v_add_co_u32_e32 v8, vcc, 0x80, v8
	s_addc_u32 s3, s3, 0
	v_addc_co_u32_e32 v9, vcc, 0, v9, vcc
	v_fma_f64 v[3:4], v[34:35], v[50:51], -v[3:4]
	v_fma_f64 v[54:55], v[36:37], v[50:51], v[54:55]
	v_cmp_ge_i64_e32 vcc, s[2:3], v[10:11]
	s_and_b64 vcc, exec, vcc
	v_add_f64 v[3:4], v[20:21], v[3:4]
	v_add_f64 v[54:55], v[54:55], v[22:23]
	ds_read_b128 v[20:23], v32 offset:256
	s_waitcnt lgkmcnt(0)
	v_mul_f64 v[56:57], v[36:37], v[22:23]
	v_fma_f64 v[56:57], v[34:35], v[20:21], -v[56:57]
	v_mul_f64 v[34:35], v[34:35], v[22:23]
	v_fma_f64 v[34:35], v[36:37], v[20:21], v[34:35]
	v_add_f64 v[36:37], v[12:13], v[56:57]
	v_add_f64 v[34:35], v[34:35], v[14:15]
	ds_read_b128 v[12:15], v33 offset:2048
	s_waitcnt lgkmcnt(0)
	v_mul_f64 v[56:57], v[14:15], v[52:53]
	v_mul_f64 v[52:53], v[12:13], v[52:53]
	v_fma_f64 v[56:57], v[12:13], v[50:51], -v[56:57]
	v_fma_f64 v[50:51], v[14:15], v[50:51], v[52:53]
	v_add_f64 v[52:53], v[16:17], v[56:57]
	v_mul_f64 v[16:17], v[14:15], v[22:23]
	v_add_f64 v[50:51], v[50:51], v[18:19]
	v_fma_f64 v[16:17], v[12:13], v[20:21], -v[16:17]
	v_mul_f64 v[12:13], v[12:13], v[22:23]
	v_add_f64 v[26:27], v[26:27], v[16:17]
	v_fma_f64 v[12:13], v[14:15], v[20:21], v[12:13]
	v_add_f64 v[24:25], v[12:13], v[24:25]
	ds_read_b128 v[12:15], v32 offset:512
	s_waitcnt lgkmcnt(0)
	v_mul_f64 v[16:17], v[40:41], v[14:15]
	v_mul_f64 v[18:19], v[38:39], v[14:15]
	v_fma_f64 v[16:17], v[38:39], v[12:13], -v[16:17]
	v_fma_f64 v[18:19], v[40:41], v[12:13], v[18:19]
	v_add_f64 v[3:4], v[3:4], v[16:17]
	v_add_f64 v[54:55], v[18:19], v[54:55]
	ds_read_b128 v[16:19], v32 offset:768
	s_waitcnt lgkmcnt(0)
	v_mul_f64 v[20:21], v[40:41], v[18:19]
	v_mul_f64 v[22:23], v[38:39], v[18:19]
	v_fma_f64 v[20:21], v[38:39], v[16:17], -v[20:21]
	v_fma_f64 v[22:23], v[40:41], v[16:17], v[22:23]
	v_add_f64 v[36:37], v[36:37], v[20:21]
	v_add_f64 v[34:35], v[22:23], v[34:35]
	ds_read_b128 v[20:23], v33 offset:2064
	s_waitcnt lgkmcnt(0)
	v_mul_f64 v[38:39], v[22:23], v[14:15]
	v_mul_f64 v[14:15], v[20:21], v[14:15]
	v_fma_f64 v[38:39], v[20:21], v[12:13], -v[38:39]
	v_fma_f64 v[12:13], v[22:23], v[12:13], v[14:15]
	v_mul_f64 v[14:15], v[20:21], v[18:19]
	v_add_f64 v[38:39], v[52:53], v[38:39]
	v_add_f64 v[40:41], v[12:13], v[50:51]
	v_mul_f64 v[12:13], v[22:23], v[18:19]
	v_fma_f64 v[14:15], v[22:23], v[16:17], v[14:15]
	v_fma_f64 v[12:13], v[20:21], v[16:17], -v[12:13]
	v_add_f64 v[24:25], v[14:15], v[24:25]
	v_add_f64 v[26:27], v[26:27], v[12:13]
	ds_read_b128 v[12:15], v32 offset:1024
	s_waitcnt lgkmcnt(0)
	v_mul_f64 v[16:17], v[44:45], v[14:15]
	v_mul_f64 v[18:19], v[42:43], v[14:15]
	v_fma_f64 v[16:17], v[42:43], v[12:13], -v[16:17]
	v_fma_f64 v[18:19], v[44:45], v[12:13], v[18:19]
	v_add_f64 v[3:4], v[3:4], v[16:17]
	v_add_f64 v[50:51], v[18:19], v[54:55]
	ds_read_b128 v[16:19], v32 offset:1280
	s_waitcnt lgkmcnt(0)
	v_mul_f64 v[20:21], v[44:45], v[18:19]
	v_mul_f64 v[22:23], v[42:43], v[18:19]
	v_fma_f64 v[20:21], v[42:43], v[16:17], -v[20:21]
	v_fma_f64 v[22:23], v[44:45], v[16:17], v[22:23]
	v_add_f64 v[36:37], v[36:37], v[20:21]
	v_add_f64 v[34:35], v[22:23], v[34:35]
	ds_read_b128 v[20:23], v33 offset:2080
	s_waitcnt lgkmcnt(0)
	v_mul_f64 v[42:43], v[22:23], v[14:15]
	v_mul_f64 v[14:15], v[20:21], v[14:15]
	v_fma_f64 v[42:43], v[20:21], v[12:13], -v[42:43]
	v_fma_f64 v[12:13], v[22:23], v[12:13], v[14:15]
	v_mul_f64 v[14:15], v[20:21], v[18:19]
	v_add_f64 v[38:39], v[38:39], v[42:43]
	v_add_f64 v[40:41], v[12:13], v[40:41]
	v_mul_f64 v[12:13], v[22:23], v[18:19]
	v_fma_f64 v[14:15], v[22:23], v[16:17], v[14:15]
	v_fma_f64 v[12:13], v[20:21], v[16:17], -v[12:13]
	v_add_f64 v[24:25], v[14:15], v[24:25]
	;; [unrolled: 30-line block ×3, first 2 shown]
	v_add_f64 v[26:27], v[26:27], v[12:13]
	ds_read_b128 v[12:15], v33 offset:64
	ds_read_b128 v[16:19], v32 offset:2048
	s_waitcnt lgkmcnt(0)
	v_mul_f64 v[20:21], v[14:15], v[18:19]
	v_mul_f64 v[22:23], v[12:13], v[18:19]
	v_fma_f64 v[20:21], v[12:13], v[16:17], -v[20:21]
	v_fma_f64 v[22:23], v[14:15], v[16:17], v[22:23]
	v_add_f64 v[3:4], v[3:4], v[20:21]
	v_add_f64 v[42:43], v[22:23], v[42:43]
	ds_read_b128 v[20:23], v32 offset:2304
	s_waitcnt lgkmcnt(0)
	v_mul_f64 v[44:45], v[14:15], v[22:23]
	v_fma_f64 v[44:45], v[12:13], v[20:21], -v[44:45]
	v_mul_f64 v[12:13], v[12:13], v[22:23]
	v_add_f64 v[36:37], v[36:37], v[44:45]
	v_fma_f64 v[12:13], v[14:15], v[20:21], v[12:13]
	v_add_f64 v[34:35], v[12:13], v[34:35]
	ds_read_b128 v[12:15], v33 offset:2112
	s_waitcnt lgkmcnt(0)
	v_mul_f64 v[44:45], v[14:15], v[18:19]
	v_mul_f64 v[18:19], v[12:13], v[18:19]
	v_fma_f64 v[44:45], v[12:13], v[16:17], -v[44:45]
	v_fma_f64 v[16:17], v[14:15], v[16:17], v[18:19]
	v_add_f64 v[38:39], v[38:39], v[44:45]
	v_add_f64 v[40:41], v[16:17], v[40:41]
	v_mul_f64 v[16:17], v[14:15], v[22:23]
	v_fma_f64 v[16:17], v[12:13], v[20:21], -v[16:17]
	v_mul_f64 v[12:13], v[12:13], v[22:23]
	v_add_f64 v[26:27], v[26:27], v[16:17]
	v_fma_f64 v[12:13], v[14:15], v[20:21], v[12:13]
	v_add_f64 v[24:25], v[12:13], v[24:25]
	ds_read_b128 v[12:15], v33 offset:80
	ds_read_b128 v[16:19], v32 offset:2560
	s_waitcnt lgkmcnt(0)
	v_mul_f64 v[20:21], v[14:15], v[18:19]
	v_mul_f64 v[22:23], v[12:13], v[18:19]
	v_fma_f64 v[20:21], v[12:13], v[16:17], -v[20:21]
	v_fma_f64 v[22:23], v[14:15], v[16:17], v[22:23]
	v_add_f64 v[3:4], v[3:4], v[20:21]
	v_add_f64 v[42:43], v[22:23], v[42:43]
	ds_read_b128 v[20:23], v32 offset:2816
	s_waitcnt lgkmcnt(0)
	v_mul_f64 v[44:45], v[14:15], v[22:23]
	v_fma_f64 v[44:45], v[12:13], v[20:21], -v[44:45]
	v_mul_f64 v[12:13], v[12:13], v[22:23]
	v_add_f64 v[36:37], v[36:37], v[44:45]
	v_fma_f64 v[12:13], v[14:15], v[20:21], v[12:13]
	v_add_f64 v[34:35], v[12:13], v[34:35]
	ds_read_b128 v[12:15], v33 offset:2128
	s_waitcnt lgkmcnt(0)
	v_mul_f64 v[44:45], v[14:15], v[18:19]
	v_mul_f64 v[18:19], v[12:13], v[18:19]
	v_fma_f64 v[44:45], v[12:13], v[16:17], -v[44:45]
	v_fma_f64 v[16:17], v[14:15], v[16:17], v[18:19]
	v_add_f64 v[38:39], v[38:39], v[44:45]
	v_add_f64 v[40:41], v[16:17], v[40:41]
	v_mul_f64 v[16:17], v[14:15], v[22:23]
	v_fma_f64 v[16:17], v[12:13], v[20:21], -v[16:17]
	v_mul_f64 v[12:13], v[12:13], v[22:23]
	v_add_f64 v[26:27], v[26:27], v[16:17]
	v_fma_f64 v[12:13], v[14:15], v[20:21], v[12:13]
	;; [unrolled: 31-line block ×3, first 2 shown]
	v_add_f64 v[46:47], v[12:13], v[24:25]
	ds_read_b128 v[12:15], v33 offset:112
	ds_read_b128 v[16:19], v32 offset:3584
	;; [unrolled: 1-line block ×3, first 2 shown]
	s_waitcnt lgkmcnt(1)
	v_mul_f64 v[20:21], v[14:15], v[18:19]
	v_mul_f64 v[22:23], v[12:13], v[18:19]
	v_fma_f64 v[20:21], v[12:13], v[16:17], -v[20:21]
	v_fma_f64 v[22:23], v[14:15], v[16:17], v[22:23]
	v_add_f64 v[20:21], v[3:4], v[20:21]
	s_waitcnt lgkmcnt(0)
	v_mul_f64 v[3:4], v[14:15], v[26:27]
	v_add_f64 v[22:23], v[22:23], v[42:43]
	v_fma_f64 v[3:4], v[12:13], v[24:25], -v[3:4]
	v_mul_f64 v[12:13], v[12:13], v[26:27]
	v_fma_f64 v[14:15], v[14:15], v[24:25], v[12:13]
	v_add_f64 v[12:13], v[36:37], v[3:4]
	v_add_f64 v[14:15], v[14:15], v[34:35]
	ds_read_b128 v[34:37], v33 offset:2160
	s_waitcnt lgkmcnt(0)
	s_barrier
	v_mul_f64 v[3:4], v[36:37], v[18:19]
	v_mul_f64 v[18:19], v[34:35], v[18:19]
	v_fma_f64 v[3:4], v[34:35], v[16:17], -v[3:4]
	v_fma_f64 v[18:19], v[36:37], v[16:17], v[18:19]
	v_add_f64 v[16:17], v[38:39], v[3:4]
	v_mul_f64 v[3:4], v[36:37], v[26:27]
	v_mul_f64 v[26:27], v[34:35], v[26:27]
	v_add_f64 v[18:19], v[18:19], v[40:41]
	v_fma_f64 v[3:4], v[34:35], v[24:25], -v[3:4]
	v_fma_f64 v[24:25], v[36:37], v[24:25], v[26:27]
	v_add_f64 v[26:27], v[44:45], v[3:4]
	v_add_f64 v[24:25], v[24:25], v[46:47]
	s_cbranch_vccnz .LBB1839_12
.LBB1839_3:                             ; =>This Inner Loop Header: Depth=1
	v_mov_b32_e32 v4, s3
	v_add_co_u32_e32 v3, vcc, s2, v28
	v_addc_co_u32_e32 v4, vcc, 0, v4, vcc
	v_cmp_le_i64_e32 vcc, s[20:21], v[3:4]
	s_or_b64 s[6:7], s[4:5], vcc
	s_and_saveexec_b64 s[8:9], s[6:7]
	s_xor_b64 s[6:7], exec, s[8:9]
; %bb.4:                                ;   in Loop: Header=BB1839_3 Depth=1
	v_mov_b32_e32 v3, v2
	v_mov_b32_e32 v4, v2
	;; [unrolled: 1-line block ×3, first 2 shown]
	ds_write_b128 v30, v[2:5]
; %bb.5:                                ;   in Loop: Header=BB1839_3 Depth=1
	s_andn2_saveexec_b64 s[6:7], s[6:7]
	s_cbranch_execz .LBB1839_7
; %bb.6:                                ;   in Loop: Header=BB1839_3 Depth=1
	flat_load_dwordx4 v[34:37], v[6:7]
	s_waitcnt vmcnt(0) lgkmcnt(0)
	ds_write2_b64 v30, v[34:35], v[36:37] offset1:1
.LBB1839_7:                             ;   in Loop: Header=BB1839_3 Depth=1
	s_or_b64 exec, exec, s[6:7]
	v_mov_b32_e32 v4, s3
	v_add_co_u32_e32 v3, vcc, s2, v29
	v_addc_co_u32_e32 v4, vcc, 0, v4, vcc
	v_cmp_le_i64_e32 vcc, s[20:21], v[3:4]
	s_or_b64 s[6:7], vcc, s[0:1]
	s_and_saveexec_b64 s[8:9], s[6:7]
	s_xor_b64 s[6:7], exec, s[8:9]
; %bb.8:                                ;   in Loop: Header=BB1839_3 Depth=1
	v_mov_b32_e32 v3, v2
	v_mov_b32_e32 v4, v2
	;; [unrolled: 1-line block ×3, first 2 shown]
	ds_write_b128 v31, v[2:5]
; %bb.9:                                ;   in Loop: Header=BB1839_3 Depth=1
	s_andn2_saveexec_b64 s[6:7], s[6:7]
	s_cbranch_execz .LBB1839_2
; %bb.10:                               ;   in Loop: Header=BB1839_3 Depth=1
	flat_load_dwordx4 v[34:37], v[8:9]
	s_waitcnt vmcnt(0) lgkmcnt(0)
	ds_write2_b64 v31, v[34:35], v[36:37] offset1:1
	s_branch .LBB1839_2
.LBB1839_11:
	v_mov_b32_e32 v20, 0
	v_mov_b32_e32 v22, 0
	;; [unrolled: 1-line block ×16, first 2 shown]
.LBB1839_12:
	v_add_u32_e32 v4, s30, v1
	v_ashrrev_i32_e32 v1, 31, v4
	v_mul_lo_u32 v3, s18, v1
	v_mul_lo_u32 v5, s19, v4
	v_mad_u64_u32 v[1:2], s[0:1], s18, v4, 0
	v_add_u32_e32 v0, s29, v0
	v_cmp_le_i32_e64 s[0:1], v4, v0
	v_add3_u32 v2, v2, v3, v5
	v_lshlrev_b64 v[1:2], 4, v[1:2]
	s_waitcnt lgkmcnt(0)
	v_mov_b32_e32 v3, s17
	v_add_co_u32_e32 v5, vcc, s16, v1
	v_addc_co_u32_e32 v6, vcc, v3, v2, vcc
	v_cmp_gt_i32_e32 vcc, s28, v0
	s_and_b64 s[0:1], s[0:1], vcc
	s_and_saveexec_b64 s[2:3], s[0:1]
	s_cbranch_execz .LBB1839_14
; %bb.13:
	v_ashrrev_i32_e32 v1, 31, v0
	v_lshlrev_b64 v[1:2], 4, v[0:1]
	v_mul_f64 v[28:29], s[22:23], v[22:23]
	v_add_co_u32_e64 v1, s[0:1], v5, v1
	v_addc_co_u32_e64 v2, s[0:1], v6, v2, s[0:1]
	flat_load_dwordx4 v[7:10], v[1:2]
	v_mul_f64 v[22:23], s[24:25], v[22:23]
	v_cmp_ne_u32_e64 s[0:1], v4, v0
	v_fma_f64 v[28:29], s[24:25], v[20:21], v[28:29]
	v_fma_f64 v[20:21], s[22:23], v[20:21], -v[22:23]
	s_waitcnt vmcnt(0) lgkmcnt(0)
	v_mul_f64 v[30:31], s[12:13], v[9:10]
	v_mul_f64 v[9:10], s[14:15], v[9:10]
	v_fma_f64 v[30:31], s[14:15], v[7:8], v[30:31]
	v_fma_f64 v[7:8], s[12:13], v[7:8], -v[9:10]
	v_add_f64 v[9:10], v[28:29], v[30:31]
	v_add_f64 v[7:8], v[20:21], v[7:8]
	v_cndmask_b32_e64 v10, 0, v10, s[0:1]
	v_cndmask_b32_e64 v9, 0, v9, s[0:1]
	flat_store_dwordx4 v[1:2], v[7:10]
.LBB1839_14:
	s_or_b64 exec, exec, s[2:3]
	v_add_u32_e32 v2, 16, v0
	v_cmp_le_i32_e64 s[2:3], v4, v2
	v_cmp_gt_i32_e64 s[0:1], s28, v2
	s_and_b64 s[2:3], s[2:3], s[0:1]
	s_and_saveexec_b64 s[4:5], s[2:3]
	s_cbranch_execz .LBB1839_16
; %bb.15:
	v_ashrrev_i32_e32 v3, 31, v2
	v_lshlrev_b64 v[7:8], 4, v[2:3]
	v_mul_f64 v[20:21], s[22:23], v[14:15]
	v_add_co_u32_e64 v9, s[2:3], v5, v7
	v_addc_co_u32_e64 v10, s[2:3], v6, v8, s[2:3]
	flat_load_dwordx4 v[5:8], v[9:10]
	v_mul_f64 v[14:15], s[24:25], v[14:15]
	v_cmp_ne_u32_e64 s[2:3], v4, v2
	v_fma_f64 v[20:21], s[24:25], v[12:13], v[20:21]
	v_fma_f64 v[11:12], s[22:23], v[12:13], -v[14:15]
	s_waitcnt vmcnt(0) lgkmcnt(0)
	v_mul_f64 v[22:23], s[12:13], v[7:8]
	v_mul_f64 v[7:8], s[14:15], v[7:8]
	v_fma_f64 v[22:23], s[14:15], v[5:6], v[22:23]
	v_fma_f64 v[5:6], s[12:13], v[5:6], -v[7:8]
	v_add_f64 v[7:8], v[20:21], v[22:23]
	v_add_f64 v[5:6], v[11:12], v[5:6]
	v_cndmask_b32_e64 v8, 0, v8, s[2:3]
	v_cndmask_b32_e64 v7, 0, v7, s[2:3]
	flat_store_dwordx4 v[9:10], v[5:8]
.LBB1839_16:
	s_or_b64 exec, exec, s[4:5]
	v_add_u32_e32 v3, 16, v4
	v_ashrrev_i32_e32 v1, 31, v3
	v_mul_lo_u32 v7, s19, v3
	v_mad_u64_u32 v[5:6], s[2:3], s18, v3, 0
	v_mul_lo_u32 v1, s18, v1
	v_add3_u32 v6, v6, v1, v7
	v_lshlrev_b64 v[5:6], 4, v[5:6]
	v_mov_b32_e32 v1, s17
	v_add_co_u32_e64 v5, s[2:3], s16, v5
	v_addc_co_u32_e64 v6, s[2:3], v1, v6, s[2:3]
	v_cmp_le_i32_e64 s[2:3], v3, v0
	s_and_b64 s[4:5], s[2:3], vcc
	s_and_saveexec_b64 s[2:3], s[4:5]
	s_cbranch_execz .LBB1839_18
; %bb.17:
	v_ashrrev_i32_e32 v1, 31, v0
	v_lshlrev_b64 v[7:8], 4, v[0:1]
	v_mul_f64 v[13:14], s[22:23], v[18:19]
	v_add_co_u32_e32 v11, vcc, v5, v7
	v_addc_co_u32_e32 v12, vcc, v6, v8, vcc
	flat_load_dwordx4 v[7:10], v[11:12]
	v_mul_f64 v[18:19], s[24:25], v[18:19]
	v_cmp_ne_u32_e32 vcc, v3, v0
	v_fma_f64 v[13:14], s[24:25], v[16:17], v[13:14]
	v_fma_f64 v[15:16], s[22:23], v[16:17], -v[18:19]
	s_waitcnt vmcnt(0) lgkmcnt(0)
	v_mul_f64 v[20:21], s[12:13], v[9:10]
	v_mul_f64 v[9:10], s[14:15], v[9:10]
	v_fma_f64 v[20:21], s[14:15], v[7:8], v[20:21]
	v_fma_f64 v[7:8], s[12:13], v[7:8], -v[9:10]
	v_add_f64 v[9:10], v[13:14], v[20:21]
	v_add_f64 v[7:8], v[15:16], v[7:8]
	v_cndmask_b32_e32 v10, 0, v10, vcc
	v_cndmask_b32_e32 v9, 0, v9, vcc
	flat_store_dwordx4 v[11:12], v[7:10]
.LBB1839_18:
	s_or_b64 exec, exec, s[2:3]
	v_cmp_le_i32_e32 vcc, v3, v2
	s_and_b64 s[0:1], vcc, s[0:1]
	s_and_saveexec_b64 s[2:3], s[0:1]
	s_cbranch_execz .LBB1839_20
; %bb.19:
	v_ashrrev_i32_e32 v3, 31, v2
	v_lshlrev_b64 v[1:2], 4, v[2:3]
	v_mul_f64 v[13:14], s[24:25], v[24:25]
	v_add_co_u32_e32 v9, vcc, v5, v1
	v_addc_co_u32_e32 v10, vcc, v6, v2, vcc
	flat_load_dwordx4 v[5:8], v[9:10]
	v_mul_f64 v[1:2], s[22:23], v[24:25]
	v_cmp_ne_u32_e32 vcc, v4, v0
	v_fma_f64 v[13:14], s[22:23], v[26:27], -v[13:14]
	v_fma_f64 v[1:2], s[24:25], v[26:27], v[1:2]
	s_waitcnt vmcnt(0) lgkmcnt(0)
	v_mul_f64 v[11:12], s[12:13], v[7:8]
	v_mul_f64 v[7:8], s[14:15], v[7:8]
	v_fma_f64 v[11:12], s[14:15], v[5:6], v[11:12]
	v_fma_f64 v[5:6], s[12:13], v[5:6], -v[7:8]
	v_add_f64 v[7:8], v[1:2], v[11:12]
	v_add_f64 v[1:2], v[13:14], v[5:6]
	v_cndmask_b32_e32 v4, 0, v8, vcc
	v_cndmask_b32_e32 v3, 0, v7, vcc
	flat_store_dwordx4 v[9:10], v[1:4]
.LBB1839_20:
	s_endpgm
	.section	.rodata,"a",@progbits
	.p2align	6, 0x0
	.amdhsa_kernel _ZL34rocblas_syrkx_herkx_general_kernelIl19rocblas_complex_numIdELi16ELi32ELi8ELb0ELb1ELc84ELc76EKPKS1_KPS1_EviT_T0_PT8_S7_lSA_S7_lS8_PT9_S7_li
		.amdhsa_group_segment_fixed_size 8192
		.amdhsa_private_segment_fixed_size 0
		.amdhsa_kernarg_size 124
		.amdhsa_user_sgpr_count 6
		.amdhsa_user_sgpr_private_segment_buffer 1
		.amdhsa_user_sgpr_dispatch_ptr 0
		.amdhsa_user_sgpr_queue_ptr 0
		.amdhsa_user_sgpr_kernarg_segment_ptr 1
		.amdhsa_user_sgpr_dispatch_id 0
		.amdhsa_user_sgpr_flat_scratch_init 0
		.amdhsa_user_sgpr_private_segment_size 0
		.amdhsa_uses_dynamic_stack 0
		.amdhsa_system_sgpr_private_segment_wavefront_offset 0
		.amdhsa_system_sgpr_workgroup_id_x 1
		.amdhsa_system_sgpr_workgroup_id_y 1
		.amdhsa_system_sgpr_workgroup_id_z 1
		.amdhsa_system_sgpr_workgroup_info 0
		.amdhsa_system_vgpr_workitem_id 1
		.amdhsa_next_free_vgpr 58
		.amdhsa_next_free_sgpr 61
		.amdhsa_reserve_vcc 1
		.amdhsa_reserve_flat_scratch 0
		.amdhsa_float_round_mode_32 0
		.amdhsa_float_round_mode_16_64 0
		.amdhsa_float_denorm_mode_32 3
		.amdhsa_float_denorm_mode_16_64 3
		.amdhsa_dx10_clamp 1
		.amdhsa_ieee_mode 1
		.amdhsa_fp16_overflow 0
		.amdhsa_exception_fp_ieee_invalid_op 0
		.amdhsa_exception_fp_denorm_src 0
		.amdhsa_exception_fp_ieee_div_zero 0
		.amdhsa_exception_fp_ieee_overflow 0
		.amdhsa_exception_fp_ieee_underflow 0
		.amdhsa_exception_fp_ieee_inexact 0
		.amdhsa_exception_int_div_zero 0
	.end_amdhsa_kernel
	.section	.text._ZL34rocblas_syrkx_herkx_general_kernelIl19rocblas_complex_numIdELi16ELi32ELi8ELb0ELb1ELc84ELc76EKPKS1_KPS1_EviT_T0_PT8_S7_lSA_S7_lS8_PT9_S7_li,"axG",@progbits,_ZL34rocblas_syrkx_herkx_general_kernelIl19rocblas_complex_numIdELi16ELi32ELi8ELb0ELb1ELc84ELc76EKPKS1_KPS1_EviT_T0_PT8_S7_lSA_S7_lS8_PT9_S7_li,comdat
.Lfunc_end1839:
	.size	_ZL34rocblas_syrkx_herkx_general_kernelIl19rocblas_complex_numIdELi16ELi32ELi8ELb0ELb1ELc84ELc76EKPKS1_KPS1_EviT_T0_PT8_S7_lSA_S7_lS8_PT9_S7_li, .Lfunc_end1839-_ZL34rocblas_syrkx_herkx_general_kernelIl19rocblas_complex_numIdELi16ELi32ELi8ELb0ELb1ELc84ELc76EKPKS1_KPS1_EviT_T0_PT8_S7_lSA_S7_lS8_PT9_S7_li
                                        ; -- End function
	.set _ZL34rocblas_syrkx_herkx_general_kernelIl19rocblas_complex_numIdELi16ELi32ELi8ELb0ELb1ELc84ELc76EKPKS1_KPS1_EviT_T0_PT8_S7_lSA_S7_lS8_PT9_S7_li.num_vgpr, 58
	.set _ZL34rocblas_syrkx_herkx_general_kernelIl19rocblas_complex_numIdELi16ELi32ELi8ELb0ELb1ELc84ELc76EKPKS1_KPS1_EviT_T0_PT8_S7_lSA_S7_lS8_PT9_S7_li.num_agpr, 0
	.set _ZL34rocblas_syrkx_herkx_general_kernelIl19rocblas_complex_numIdELi16ELi32ELi8ELb0ELb1ELc84ELc76EKPKS1_KPS1_EviT_T0_PT8_S7_lSA_S7_lS8_PT9_S7_li.numbered_sgpr, 31
	.set _ZL34rocblas_syrkx_herkx_general_kernelIl19rocblas_complex_numIdELi16ELi32ELi8ELb0ELb1ELc84ELc76EKPKS1_KPS1_EviT_T0_PT8_S7_lSA_S7_lS8_PT9_S7_li.num_named_barrier, 0
	.set _ZL34rocblas_syrkx_herkx_general_kernelIl19rocblas_complex_numIdELi16ELi32ELi8ELb0ELb1ELc84ELc76EKPKS1_KPS1_EviT_T0_PT8_S7_lSA_S7_lS8_PT9_S7_li.private_seg_size, 0
	.set _ZL34rocblas_syrkx_herkx_general_kernelIl19rocblas_complex_numIdELi16ELi32ELi8ELb0ELb1ELc84ELc76EKPKS1_KPS1_EviT_T0_PT8_S7_lSA_S7_lS8_PT9_S7_li.uses_vcc, 1
	.set _ZL34rocblas_syrkx_herkx_general_kernelIl19rocblas_complex_numIdELi16ELi32ELi8ELb0ELb1ELc84ELc76EKPKS1_KPS1_EviT_T0_PT8_S7_lSA_S7_lS8_PT9_S7_li.uses_flat_scratch, 0
	.set _ZL34rocblas_syrkx_herkx_general_kernelIl19rocblas_complex_numIdELi16ELi32ELi8ELb0ELb1ELc84ELc76EKPKS1_KPS1_EviT_T0_PT8_S7_lSA_S7_lS8_PT9_S7_li.has_dyn_sized_stack, 0
	.set _ZL34rocblas_syrkx_herkx_general_kernelIl19rocblas_complex_numIdELi16ELi32ELi8ELb0ELb1ELc84ELc76EKPKS1_KPS1_EviT_T0_PT8_S7_lSA_S7_lS8_PT9_S7_li.has_recursion, 0
	.set _ZL34rocblas_syrkx_herkx_general_kernelIl19rocblas_complex_numIdELi16ELi32ELi8ELb0ELb1ELc84ELc76EKPKS1_KPS1_EviT_T0_PT8_S7_lSA_S7_lS8_PT9_S7_li.has_indirect_call, 0
	.section	.AMDGPU.csdata,"",@progbits
; Kernel info:
; codeLenInByte = 3472
; TotalNumSgprs: 35
; NumVgprs: 58
; ScratchSize: 0
; MemoryBound: 0
; FloatMode: 240
; IeeeMode: 1
; LDSByteSize: 8192 bytes/workgroup (compile time only)
; SGPRBlocks: 8
; VGPRBlocks: 14
; NumSGPRsForWavesPerEU: 65
; NumVGPRsForWavesPerEU: 58
; Occupancy: 4
; WaveLimiterHint : 1
; COMPUTE_PGM_RSRC2:SCRATCH_EN: 0
; COMPUTE_PGM_RSRC2:USER_SGPR: 6
; COMPUTE_PGM_RSRC2:TRAP_HANDLER: 0
; COMPUTE_PGM_RSRC2:TGID_X_EN: 1
; COMPUTE_PGM_RSRC2:TGID_Y_EN: 1
; COMPUTE_PGM_RSRC2:TGID_Z_EN: 1
; COMPUTE_PGM_RSRC2:TIDIG_COMP_CNT: 1
	.section	.text._ZL34rocblas_syrkx_herkx_general_kernelIl19rocblas_complex_numIdELi16ELi32ELi8ELb0ELb1ELc67ELc76EKPKS1_KPS1_EviT_T0_PT8_S7_lSA_S7_lS8_PT9_S7_li,"axG",@progbits,_ZL34rocblas_syrkx_herkx_general_kernelIl19rocblas_complex_numIdELi16ELi32ELi8ELb0ELb1ELc67ELc76EKPKS1_KPS1_EviT_T0_PT8_S7_lSA_S7_lS8_PT9_S7_li,comdat
	.globl	_ZL34rocblas_syrkx_herkx_general_kernelIl19rocblas_complex_numIdELi16ELi32ELi8ELb0ELb1ELc67ELc76EKPKS1_KPS1_EviT_T0_PT8_S7_lSA_S7_lS8_PT9_S7_li ; -- Begin function _ZL34rocblas_syrkx_herkx_general_kernelIl19rocblas_complex_numIdELi16ELi32ELi8ELb0ELb1ELc67ELc76EKPKS1_KPS1_EviT_T0_PT8_S7_lSA_S7_lS8_PT9_S7_li
	.p2align	8
	.type	_ZL34rocblas_syrkx_herkx_general_kernelIl19rocblas_complex_numIdELi16ELi32ELi8ELb0ELb1ELc67ELc76EKPKS1_KPS1_EviT_T0_PT8_S7_lSA_S7_lS8_PT9_S7_li,@function
_ZL34rocblas_syrkx_herkx_general_kernelIl19rocblas_complex_numIdELi16ELi32ELi8ELb0ELb1ELc67ELc76EKPKS1_KPS1_EviT_T0_PT8_S7_lSA_S7_lS8_PT9_S7_li: ; @_ZL34rocblas_syrkx_herkx_general_kernelIl19rocblas_complex_numIdELi16ELi32ELi8ELb0ELb1ELc67ELc76EKPKS1_KPS1_EviT_T0_PT8_S7_lSA_S7_lS8_PT9_S7_li
; %bb.0:
	s_load_dword s28, s[4:5], 0x0
	s_load_dwordx8 s[12:19], s[4:5], 0x50
	s_load_dwordx8 s[20:27], s[4:5], 0x8
	s_load_dwordx2 s[2:3], s[4:5], 0x28
	s_mov_b32 s9, 0
	s_lshl_b64 s[0:1], s[8:9], 3
	s_waitcnt lgkmcnt(0)
	s_add_u32 s8, s16, s0
	s_addc_u32 s9, s17, s1
	s_load_dwordx2 s[16:17], s[8:9], 0x0
	v_cmp_lt_i64_e64 s[8:9], s[20:21], 1
	s_lshl_b32 s29, s6, 5
	s_lshl_b32 s30, s7, 5
	s_and_b64 vcc, exec, s[8:9]
	s_cbranch_vccnz .LBB1840_9
; %bb.1:
	s_load_dwordx4 s[8:11], s[4:5], 0x38
	v_lshl_add_u32 v2, v1, 4, v0
	v_and_b32_e32 v5, 31, v2
	v_or_b32_e32 v6, s29, v5
	v_and_b32_e32 v30, 7, v0
	s_waitcnt lgkmcnt(0)
	s_add_u32 s4, s8, s0
	s_addc_u32 s5, s9, s1
	s_add_u32 s0, s26, s0
	s_addc_u32 s1, s27, s1
	v_lshrrev_b32_e32 v3, 3, v2
	v_lshrrev_b32_e32 v29, 5, v2
	s_load_dwordx2 s[6:7], s[0:1], 0x0
	v_cmp_gt_i32_e64 s[0:1], s28, v6
	v_lshlrev_b32_e32 v2, 4, v5
	v_lshlrev_b32_e32 v6, 4, v30
	v_lshl_or_b32 v31, v29, 9, v2
	v_lshl_or_b32 v2, v3, 7, v6
	v_add_u32_e32 v32, 0x1000, v2
	v_add_u32_e32 v2, s29, v5
	;; [unrolled: 1-line block ×3, first 2 shown]
	v_ashrrev_i32_e32 v3, 31, v2
	v_mul_lo_u32 v5, s2, v3
	v_mul_lo_u32 v8, s3, v2
	v_mad_u64_u32 v[2:3], s[2:3], s2, v2, 0
	v_ashrrev_i32_e32 v7, 31, v4
	v_mul_lo_u32 v10, s10, v7
	v_add3_u32 v3, v3, v5, v8
	v_lshlrev_b64 v[2:3], 4, v[2:3]
	v_lshlrev_b32_e32 v5, 4, v29
	v_add_co_u32_e64 v5, s[2:3], v2, v5
	v_addc_co_u32_e64 v8, s[2:3], 0, v3, s[2:3]
	v_mul_lo_u32 v11, s11, v4
	v_mad_u64_u32 v[2:3], s[2:3], s10, v4, 0
	s_load_dwordx2 s[4:5], s[4:5], 0x0
	v_mov_b32_e32 v9, 0x1000
	v_add3_u32 v3, v3, v10, v11
	v_lshl_add_u32 v34, v1, 7, v9
	s_waitcnt lgkmcnt(0)
	v_mov_b32_e32 v9, s7
	v_add_co_u32_e64 v7, s[2:3], s6, v5
	v_lshlrev_b64 v[2:3], 4, v[2:3]
	v_addc_co_u32_e64 v8, s[2:3], v9, v8, s[2:3]
	v_add_co_u32_e64 v2, s[2:3], v2, v6
	v_addc_co_u32_e64 v3, s[2:3], 0, v3, s[2:3]
	v_cmp_gt_i32_e32 vcc, s28, v4
	v_mov_b32_e32 v4, s5
	v_add_co_u32_e64 v9, s[2:3], s4, v2
	v_addc_co_u32_e64 v10, s[2:3], v4, v3, s[2:3]
	v_mov_b32_e32 v25, 0
	v_mov_b32_e32 v11, s20
	;; [unrolled: 1-line block ×9, first 2 shown]
	v_lshlrev_b32_e32 v33, 4, v0
	s_mov_b64 s[2:3], 0
	v_mov_b32_e32 v26, 0
	s_xor_b64 s[4:5], vcc, -1
	v_mov_b32_e32 v12, s21
	v_mov_b32_e32 v28, 0
	;; [unrolled: 1-line block ×9, first 2 shown]
	s_branch .LBB1840_3
.LBB1840_2:                             ;   in Loop: Header=BB1840_3 Depth=1
	s_or_b64 exec, exec, s[6:7]
	s_waitcnt lgkmcnt(0)
	s_barrier
	ds_read_b128 v[3:6], v34
	ds_read_b128 v[35:38], v34 offset:16
	ds_read_b128 v[39:42], v34 offset:32
	;; [unrolled: 1-line block ×3, first 2 shown]
	ds_read_b128 v[47:50], v33
	v_add_co_u32_e32 v7, vcc, 0x80, v7
	v_addc_co_u32_e32 v8, vcc, 0, v8, vcc
	s_waitcnt lgkmcnt(0)
	v_mul_f64 v[51:52], v[5:6], v[49:50]
	v_mul_f64 v[53:54], v[3:4], v[49:50]
	s_add_u32 s2, s2, 8
	v_add_co_u32_e32 v9, vcc, 0x80, v9
	s_addc_u32 s3, s3, 0
	v_addc_co_u32_e32 v10, vcc, 0, v10, vcc
	v_fma_f64 v[51:52], v[3:4], v[47:48], -v[51:52]
	v_fma_f64 v[53:54], v[5:6], v[47:48], v[53:54]
	v_cmp_ge_i64_e32 vcc, s[2:3], v[11:12]
	s_and_b64 vcc, exec, vcc
	v_add_f64 v[51:52], v[21:22], v[51:52]
	v_add_f64 v[53:54], v[53:54], v[23:24]
	ds_read_b128 v[21:24], v33 offset:256
	s_waitcnt lgkmcnt(0)
	v_mul_f64 v[55:56], v[5:6], v[23:24]
	v_fma_f64 v[55:56], v[3:4], v[21:22], -v[55:56]
	v_mul_f64 v[3:4], v[3:4], v[23:24]
	v_add_f64 v[55:56], v[13:14], v[55:56]
	v_fma_f64 v[3:4], v[5:6], v[21:22], v[3:4]
	v_add_f64 v[57:58], v[3:4], v[15:16]
	ds_read_b128 v[3:6], v34 offset:2048
	s_waitcnt lgkmcnt(0)
	v_mul_f64 v[13:14], v[5:6], v[49:50]
	v_mul_f64 v[15:16], v[3:4], v[49:50]
	v_fma_f64 v[13:14], v[3:4], v[47:48], -v[13:14]
	v_fma_f64 v[15:16], v[5:6], v[47:48], v[15:16]
	v_add_f64 v[47:48], v[17:18], v[13:14]
	v_mul_f64 v[13:14], v[5:6], v[23:24]
	v_add_f64 v[49:50], v[15:16], v[19:20]
	v_fma_f64 v[13:14], v[3:4], v[21:22], -v[13:14]
	v_mul_f64 v[3:4], v[3:4], v[23:24]
	v_fma_f64 v[3:4], v[5:6], v[21:22], v[3:4]
	v_add_f64 v[21:22], v[27:28], v[13:14]
	v_add_f64 v[23:24], v[3:4], v[25:26]
	ds_read_b128 v[3:6], v33 offset:512
	s_waitcnt lgkmcnt(0)
	v_mul_f64 v[13:14], v[37:38], v[5:6]
	v_mul_f64 v[15:16], v[35:36], v[5:6]
	v_fma_f64 v[13:14], v[35:36], v[3:4], -v[13:14]
	v_fma_f64 v[15:16], v[37:38], v[3:4], v[15:16]
	v_add_f64 v[25:26], v[51:52], v[13:14]
	v_add_f64 v[27:28], v[15:16], v[53:54]
	ds_read_b128 v[13:16], v33 offset:768
	s_waitcnt lgkmcnt(0)
	v_mul_f64 v[17:18], v[37:38], v[15:16]
	v_mul_f64 v[19:20], v[35:36], v[15:16]
	v_fma_f64 v[17:18], v[35:36], v[13:14], -v[17:18]
	;; [unrolled: 8-line block ×3, first 2 shown]
	v_fma_f64 v[3:4], v[19:20], v[3:4], v[5:6]
	v_mul_f64 v[5:6], v[17:18], v[15:16]
	v_add_f64 v[47:48], v[47:48], v[51:52]
	v_add_f64 v[49:50], v[3:4], v[49:50]
	v_mul_f64 v[3:4], v[19:20], v[15:16]
	v_fma_f64 v[5:6], v[19:20], v[13:14], v[5:6]
	v_fma_f64 v[3:4], v[17:18], v[13:14], -v[3:4]
	v_add_f64 v[23:24], v[5:6], v[23:24]
	v_add_f64 v[21:22], v[21:22], v[3:4]
	ds_read_b128 v[3:6], v33 offset:1024
	s_waitcnt lgkmcnt(0)
	v_mul_f64 v[13:14], v[41:42], v[5:6]
	v_mul_f64 v[15:16], v[39:40], v[5:6]
	v_fma_f64 v[13:14], v[39:40], v[3:4], -v[13:14]
	v_fma_f64 v[15:16], v[41:42], v[3:4], v[15:16]
	v_add_f64 v[25:26], v[25:26], v[13:14]
	v_add_f64 v[27:28], v[15:16], v[27:28]
	ds_read_b128 v[13:16], v33 offset:1280
	s_waitcnt lgkmcnt(0)
	v_mul_f64 v[17:18], v[41:42], v[15:16]
	v_mul_f64 v[19:20], v[39:40], v[15:16]
	v_fma_f64 v[17:18], v[39:40], v[13:14], -v[17:18]
	v_fma_f64 v[19:20], v[41:42], v[13:14], v[19:20]
	v_add_f64 v[35:36], v[35:36], v[17:18]
	v_add_f64 v[37:38], v[19:20], v[37:38]
	ds_read_b128 v[17:20], v34 offset:2080
	s_waitcnt lgkmcnt(0)
	v_mul_f64 v[39:40], v[19:20], v[5:6]
	v_mul_f64 v[5:6], v[17:18], v[5:6]
	v_fma_f64 v[39:40], v[17:18], v[3:4], -v[39:40]
	v_fma_f64 v[3:4], v[19:20], v[3:4], v[5:6]
	v_mul_f64 v[5:6], v[17:18], v[15:16]
	v_add_f64 v[39:40], v[47:48], v[39:40]
	v_add_f64 v[41:42], v[3:4], v[49:50]
	v_mul_f64 v[3:4], v[19:20], v[15:16]
	v_fma_f64 v[5:6], v[19:20], v[13:14], v[5:6]
	v_fma_f64 v[3:4], v[17:18], v[13:14], -v[3:4]
	v_add_f64 v[23:24], v[5:6], v[23:24]
	v_add_f64 v[21:22], v[21:22], v[3:4]
	ds_read_b128 v[3:6], v33 offset:1536
	s_waitcnt lgkmcnt(0)
	v_mul_f64 v[13:14], v[45:46], v[5:6]
	v_mul_f64 v[15:16], v[43:44], v[5:6]
	v_fma_f64 v[13:14], v[43:44], v[3:4], -v[13:14]
	v_fma_f64 v[15:16], v[45:46], v[3:4], v[15:16]
	v_add_f64 v[25:26], v[25:26], v[13:14]
	v_add_f64 v[27:28], v[15:16], v[27:28]
	ds_read_b128 v[13:16], v33 offset:1792
	s_waitcnt lgkmcnt(0)
	v_mul_f64 v[17:18], v[45:46], v[15:16]
	v_mul_f64 v[19:20], v[43:44], v[15:16]
	v_fma_f64 v[17:18], v[43:44], v[13:14], -v[17:18]
	v_fma_f64 v[19:20], v[45:46], v[13:14], v[19:20]
	;; [unrolled: 8-line block ×3, first 2 shown]
	v_mul_f64 v[5:6], v[17:18], v[15:16]
	v_add_f64 v[39:40], v[39:40], v[43:44]
	v_add_f64 v[41:42], v[3:4], v[41:42]
	v_mul_f64 v[3:4], v[19:20], v[15:16]
	v_fma_f64 v[5:6], v[19:20], v[13:14], v[5:6]
	v_fma_f64 v[3:4], v[17:18], v[13:14], -v[3:4]
	v_add_f64 v[23:24], v[5:6], v[23:24]
	v_add_f64 v[21:22], v[21:22], v[3:4]
	ds_read_b128 v[3:6], v34 offset:64
	ds_read_b128 v[13:16], v33 offset:2048
	s_waitcnt lgkmcnt(0)
	v_mul_f64 v[17:18], v[5:6], v[15:16]
	v_mul_f64 v[19:20], v[3:4], v[15:16]
	v_fma_f64 v[17:18], v[3:4], v[13:14], -v[17:18]
	v_fma_f64 v[19:20], v[5:6], v[13:14], v[19:20]
	v_add_f64 v[25:26], v[25:26], v[17:18]
	v_add_f64 v[27:28], v[19:20], v[27:28]
	ds_read_b128 v[17:20], v33 offset:2304
	s_waitcnt lgkmcnt(0)
	v_mul_f64 v[43:44], v[5:6], v[19:20]
	v_fma_f64 v[43:44], v[3:4], v[17:18], -v[43:44]
	v_mul_f64 v[3:4], v[3:4], v[19:20]
	v_add_f64 v[35:36], v[35:36], v[43:44]
	v_fma_f64 v[3:4], v[5:6], v[17:18], v[3:4]
	v_add_f64 v[37:38], v[3:4], v[37:38]
	ds_read_b128 v[3:6], v34 offset:2112
	s_waitcnt lgkmcnt(0)
	v_mul_f64 v[43:44], v[5:6], v[15:16]
	v_mul_f64 v[15:16], v[3:4], v[15:16]
	v_fma_f64 v[43:44], v[3:4], v[13:14], -v[43:44]
	v_fma_f64 v[13:14], v[5:6], v[13:14], v[15:16]
	v_add_f64 v[39:40], v[39:40], v[43:44]
	v_add_f64 v[41:42], v[13:14], v[41:42]
	v_mul_f64 v[13:14], v[5:6], v[19:20]
	v_fma_f64 v[13:14], v[3:4], v[17:18], -v[13:14]
	v_mul_f64 v[3:4], v[3:4], v[19:20]
	v_add_f64 v[21:22], v[21:22], v[13:14]
	v_fma_f64 v[3:4], v[5:6], v[17:18], v[3:4]
	v_add_f64 v[23:24], v[3:4], v[23:24]
	ds_read_b128 v[3:6], v34 offset:80
	ds_read_b128 v[13:16], v33 offset:2560
	s_waitcnt lgkmcnt(0)
	v_mul_f64 v[17:18], v[5:6], v[15:16]
	v_mul_f64 v[19:20], v[3:4], v[15:16]
	v_fma_f64 v[17:18], v[3:4], v[13:14], -v[17:18]
	v_fma_f64 v[19:20], v[5:6], v[13:14], v[19:20]
	v_add_f64 v[25:26], v[25:26], v[17:18]
	v_add_f64 v[27:28], v[19:20], v[27:28]
	ds_read_b128 v[17:20], v33 offset:2816
	s_waitcnt lgkmcnt(0)
	v_mul_f64 v[43:44], v[5:6], v[19:20]
	v_fma_f64 v[43:44], v[3:4], v[17:18], -v[43:44]
	v_mul_f64 v[3:4], v[3:4], v[19:20]
	v_add_f64 v[35:36], v[35:36], v[43:44]
	v_fma_f64 v[3:4], v[5:6], v[17:18], v[3:4]
	v_add_f64 v[37:38], v[3:4], v[37:38]
	ds_read_b128 v[3:6], v34 offset:2128
	s_waitcnt lgkmcnt(0)
	v_mul_f64 v[43:44], v[5:6], v[15:16]
	v_mul_f64 v[15:16], v[3:4], v[15:16]
	v_fma_f64 v[43:44], v[3:4], v[13:14], -v[43:44]
	v_fma_f64 v[13:14], v[5:6], v[13:14], v[15:16]
	v_add_f64 v[39:40], v[39:40], v[43:44]
	v_add_f64 v[41:42], v[13:14], v[41:42]
	v_mul_f64 v[13:14], v[5:6], v[19:20]
	v_fma_f64 v[13:14], v[3:4], v[17:18], -v[13:14]
	v_mul_f64 v[3:4], v[3:4], v[19:20]
	v_add_f64 v[21:22], v[21:22], v[13:14]
	v_fma_f64 v[3:4], v[5:6], v[17:18], v[3:4]
	;; [unrolled: 31-line block ×3, first 2 shown]
	v_add_f64 v[45:46], v[3:4], v[23:24]
	ds_read_b128 v[3:6], v34 offset:112
	ds_read_b128 v[17:20], v33 offset:3584
	s_waitcnt lgkmcnt(0)
	v_mul_f64 v[13:14], v[5:6], v[19:20]
	v_mul_f64 v[15:16], v[3:4], v[19:20]
	v_fma_f64 v[13:14], v[3:4], v[17:18], -v[13:14]
	v_fma_f64 v[15:16], v[5:6], v[17:18], v[15:16]
	v_add_f64 v[21:22], v[25:26], v[13:14]
	v_add_f64 v[23:24], v[15:16], v[27:28]
	ds_read_b128 v[25:28], v33 offset:3840
	s_waitcnt lgkmcnt(0)
	v_mul_f64 v[13:14], v[5:6], v[27:28]
	v_fma_f64 v[13:14], v[3:4], v[25:26], -v[13:14]
	v_mul_f64 v[3:4], v[3:4], v[27:28]
	v_add_f64 v[13:14], v[35:36], v[13:14]
	v_fma_f64 v[3:4], v[5:6], v[25:26], v[3:4]
	v_add_f64 v[15:16], v[3:4], v[37:38]
	ds_read_b128 v[3:6], v34 offset:2160
	s_waitcnt lgkmcnt(0)
	s_barrier
	v_mul_f64 v[35:36], v[5:6], v[19:20]
	v_mul_f64 v[19:20], v[3:4], v[19:20]
	v_fma_f64 v[35:36], v[3:4], v[17:18], -v[35:36]
	v_fma_f64 v[19:20], v[5:6], v[17:18], v[19:20]
	v_add_f64 v[17:18], v[39:40], v[35:36]
	v_mul_f64 v[35:36], v[5:6], v[27:28]
	v_add_f64 v[19:20], v[19:20], v[41:42]
	v_fma_f64 v[35:36], v[3:4], v[25:26], -v[35:36]
	v_mul_f64 v[3:4], v[3:4], v[27:28]
	v_add_f64 v[27:28], v[43:44], v[35:36]
	v_fma_f64 v[3:4], v[5:6], v[25:26], v[3:4]
	v_add_f64 v[25:26], v[3:4], v[45:46]
	s_cbranch_vccnz .LBB1840_10
.LBB1840_3:                             ; =>This Inner Loop Header: Depth=1
	v_mov_b32_e32 v4, s3
	v_add_co_u32_e32 v3, vcc, s2, v29
	v_addc_co_u32_e32 v4, vcc, 0, v4, vcc
	v_cmp_gt_i64_e32 vcc, s[20:21], v[3:4]
	v_mov_b32_e32 v3, 0
	v_mov_b32_e32 v5, 0
	;; [unrolled: 1-line block ×4, first 2 shown]
	s_and_b64 s[8:9], s[0:1], vcc
	s_and_saveexec_b64 s[6:7], s[8:9]
	s_cbranch_execz .LBB1840_5
; %bb.4:                                ;   in Loop: Header=BB1840_3 Depth=1
	flat_load_dwordx4 v[3:6], v[7:8]
	s_waitcnt vmcnt(0) lgkmcnt(0)
	v_xor_b32_e32 v6, 0x80000000, v6
.LBB1840_5:                             ;   in Loop: Header=BB1840_3 Depth=1
	s_or_b64 exec, exec, s[6:7]
	v_mov_b32_e32 v36, s3
	v_add_co_u32_e32 v35, vcc, s2, v30
	v_addc_co_u32_e32 v36, vcc, 0, v36, vcc
	v_cmp_le_i64_e32 vcc, s[20:21], v[35:36]
	ds_write_b128 v31, v[3:6]
	s_or_b64 s[6:7], vcc, s[4:5]
	s_and_saveexec_b64 s[8:9], s[6:7]
	s_xor_b64 s[6:7], exec, s[8:9]
; %bb.6:                                ;   in Loop: Header=BB1840_3 Depth=1
	v_mov_b32_e32 v3, v2
	v_mov_b32_e32 v4, v2
	v_mov_b32_e32 v5, v2
	ds_write_b128 v32, v[2:5]
; %bb.7:                                ;   in Loop: Header=BB1840_3 Depth=1
	s_andn2_saveexec_b64 s[6:7], s[6:7]
	s_cbranch_execz .LBB1840_2
; %bb.8:                                ;   in Loop: Header=BB1840_3 Depth=1
	flat_load_dwordx4 v[3:6], v[9:10]
	s_waitcnt vmcnt(0) lgkmcnt(0)
	ds_write2_b64 v32, v[3:4], v[5:6] offset1:1
	s_branch .LBB1840_2
.LBB1840_9:
	v_mov_b32_e32 v21, 0
	v_mov_b32_e32 v23, 0
	v_mov_b32_e32 v13, 0
	v_mov_b32_e32 v15, 0
	v_mov_b32_e32 v17, 0
	v_mov_b32_e32 v19, 0
	v_mov_b32_e32 v27, 0
	v_mov_b32_e32 v25, 0
	v_mov_b32_e32 v22, 0
	v_mov_b32_e32 v24, 0
	v_mov_b32_e32 v14, 0
	v_mov_b32_e32 v16, 0
	v_mov_b32_e32 v18, 0
	v_mov_b32_e32 v20, 0
	v_mov_b32_e32 v28, 0
	v_mov_b32_e32 v26, 0
.LBB1840_10:
	v_add_u32_e32 v4, s30, v1
	v_ashrrev_i32_e32 v1, 31, v4
	v_mul_lo_u32 v3, s18, v1
	v_mul_lo_u32 v5, s19, v4
	v_mad_u64_u32 v[1:2], s[0:1], s18, v4, 0
	v_add_u32_e32 v0, s29, v0
	v_cmp_le_i32_e64 s[0:1], v4, v0
	v_add3_u32 v2, v2, v3, v5
	v_lshlrev_b64 v[1:2], 4, v[1:2]
	s_waitcnt lgkmcnt(0)
	v_mov_b32_e32 v3, s17
	v_add_co_u32_e32 v5, vcc, s16, v1
	v_addc_co_u32_e32 v6, vcc, v3, v2, vcc
	v_cmp_gt_i32_e32 vcc, s28, v0
	s_and_b64 s[0:1], s[0:1], vcc
	s_and_saveexec_b64 s[2:3], s[0:1]
	s_cbranch_execz .LBB1840_12
; %bb.11:
	v_ashrrev_i32_e32 v1, 31, v0
	v_lshlrev_b64 v[1:2], 4, v[0:1]
	v_mul_f64 v[11:12], s[22:23], v[23:24]
	v_add_co_u32_e64 v1, s[0:1], v5, v1
	v_addc_co_u32_e64 v2, s[0:1], v6, v2, s[0:1]
	flat_load_dwordx4 v[7:10], v[1:2]
	v_mul_f64 v[23:24], s[24:25], v[23:24]
	v_cmp_ne_u32_e64 s[0:1], v4, v0
	v_fma_f64 v[11:12], s[24:25], v[21:22], v[11:12]
	v_fma_f64 v[21:22], s[22:23], v[21:22], -v[23:24]
	s_waitcnt vmcnt(0) lgkmcnt(0)
	v_mul_f64 v[29:30], s[12:13], v[9:10]
	v_mul_f64 v[9:10], s[14:15], v[9:10]
	v_fma_f64 v[29:30], s[14:15], v[7:8], v[29:30]
	v_fma_f64 v[7:8], s[12:13], v[7:8], -v[9:10]
	v_add_f64 v[9:10], v[11:12], v[29:30]
	v_add_f64 v[7:8], v[21:22], v[7:8]
	v_cndmask_b32_e64 v10, 0, v10, s[0:1]
	v_cndmask_b32_e64 v9, 0, v9, s[0:1]
	flat_store_dwordx4 v[1:2], v[7:10]
.LBB1840_12:
	s_or_b64 exec, exec, s[2:3]
	v_add_u32_e32 v2, 16, v0
	v_cmp_le_i32_e64 s[2:3], v4, v2
	v_cmp_gt_i32_e64 s[0:1], s28, v2
	s_and_b64 s[2:3], s[2:3], s[0:1]
	s_and_saveexec_b64 s[4:5], s[2:3]
	s_cbranch_execz .LBB1840_14
; %bb.13:
	v_ashrrev_i32_e32 v3, 31, v2
	v_lshlrev_b64 v[7:8], 4, v[2:3]
	v_mul_f64 v[11:12], s[22:23], v[15:16]
	v_add_co_u32_e64 v9, s[2:3], v5, v7
	v_addc_co_u32_e64 v10, s[2:3], v6, v8, s[2:3]
	flat_load_dwordx4 v[5:8], v[9:10]
	v_mul_f64 v[15:16], s[24:25], v[15:16]
	v_cmp_ne_u32_e64 s[2:3], v4, v2
	v_fma_f64 v[11:12], s[24:25], v[13:14], v[11:12]
	v_fma_f64 v[13:14], s[22:23], v[13:14], -v[15:16]
	s_waitcnt vmcnt(0) lgkmcnt(0)
	v_mul_f64 v[21:22], s[12:13], v[7:8]
	v_mul_f64 v[7:8], s[14:15], v[7:8]
	v_fma_f64 v[21:22], s[14:15], v[5:6], v[21:22]
	v_fma_f64 v[5:6], s[12:13], v[5:6], -v[7:8]
	v_add_f64 v[7:8], v[11:12], v[21:22]
	v_add_f64 v[5:6], v[13:14], v[5:6]
	v_cndmask_b32_e64 v8, 0, v8, s[2:3]
	v_cndmask_b32_e64 v7, 0, v7, s[2:3]
	flat_store_dwordx4 v[9:10], v[5:8]
.LBB1840_14:
	s_or_b64 exec, exec, s[4:5]
	v_add_u32_e32 v3, 16, v4
	v_ashrrev_i32_e32 v1, 31, v3
	v_mul_lo_u32 v7, s19, v3
	v_mad_u64_u32 v[5:6], s[2:3], s18, v3, 0
	v_mul_lo_u32 v1, s18, v1
	v_add3_u32 v6, v6, v1, v7
	v_lshlrev_b64 v[5:6], 4, v[5:6]
	v_mov_b32_e32 v1, s17
	v_add_co_u32_e64 v5, s[2:3], s16, v5
	v_addc_co_u32_e64 v6, s[2:3], v1, v6, s[2:3]
	v_cmp_le_i32_e64 s[2:3], v3, v0
	s_and_b64 s[4:5], s[2:3], vcc
	s_and_saveexec_b64 s[2:3], s[4:5]
	s_cbranch_execz .LBB1840_16
; %bb.15:
	v_ashrrev_i32_e32 v1, 31, v0
	v_lshlrev_b64 v[7:8], 4, v[0:1]
	v_mul_f64 v[13:14], s[22:23], v[19:20]
	v_add_co_u32_e32 v11, vcc, v5, v7
	v_addc_co_u32_e32 v12, vcc, v6, v8, vcc
	flat_load_dwordx4 v[7:10], v[11:12]
	v_mul_f64 v[19:20], s[24:25], v[19:20]
	v_cmp_ne_u32_e32 vcc, v3, v0
	v_fma_f64 v[13:14], s[24:25], v[17:18], v[13:14]
	v_fma_f64 v[17:18], s[22:23], v[17:18], -v[19:20]
	s_waitcnt vmcnt(0) lgkmcnt(0)
	v_mul_f64 v[15:16], s[12:13], v[9:10]
	v_mul_f64 v[9:10], s[14:15], v[9:10]
	v_fma_f64 v[15:16], s[14:15], v[7:8], v[15:16]
	v_fma_f64 v[7:8], s[12:13], v[7:8], -v[9:10]
	v_add_f64 v[9:10], v[13:14], v[15:16]
	v_add_f64 v[7:8], v[17:18], v[7:8]
	v_cndmask_b32_e32 v10, 0, v10, vcc
	v_cndmask_b32_e32 v9, 0, v9, vcc
	flat_store_dwordx4 v[11:12], v[7:10]
.LBB1840_16:
	s_or_b64 exec, exec, s[2:3]
	v_cmp_le_i32_e32 vcc, v3, v2
	s_and_b64 s[0:1], vcc, s[0:1]
	s_and_saveexec_b64 s[2:3], s[0:1]
	s_cbranch_execz .LBB1840_18
; %bb.17:
	v_ashrrev_i32_e32 v3, 31, v2
	v_lshlrev_b64 v[1:2], 4, v[2:3]
	v_mul_f64 v[13:14], s[24:25], v[25:26]
	v_add_co_u32_e32 v9, vcc, v5, v1
	v_addc_co_u32_e32 v10, vcc, v6, v2, vcc
	flat_load_dwordx4 v[5:8], v[9:10]
	v_mul_f64 v[1:2], s[22:23], v[25:26]
	v_cmp_ne_u32_e32 vcc, v4, v0
	v_fma_f64 v[13:14], s[22:23], v[27:28], -v[13:14]
	v_fma_f64 v[1:2], s[24:25], v[27:28], v[1:2]
	s_waitcnt vmcnt(0) lgkmcnt(0)
	v_mul_f64 v[11:12], s[12:13], v[7:8]
	v_mul_f64 v[7:8], s[14:15], v[7:8]
	v_fma_f64 v[11:12], s[14:15], v[5:6], v[11:12]
	v_fma_f64 v[5:6], s[12:13], v[5:6], -v[7:8]
	v_add_f64 v[7:8], v[1:2], v[11:12]
	v_add_f64 v[1:2], v[13:14], v[5:6]
	v_cndmask_b32_e32 v4, 0, v8, vcc
	v_cndmask_b32_e32 v3, 0, v7, vcc
	flat_store_dwordx4 v[9:10], v[1:4]
.LBB1840_18:
	s_endpgm
	.section	.rodata,"a",@progbits
	.p2align	6, 0x0
	.amdhsa_kernel _ZL34rocblas_syrkx_herkx_general_kernelIl19rocblas_complex_numIdELi16ELi32ELi8ELb0ELb1ELc67ELc76EKPKS1_KPS1_EviT_T0_PT8_S7_lSA_S7_lS8_PT9_S7_li
		.amdhsa_group_segment_fixed_size 8192
		.amdhsa_private_segment_fixed_size 0
		.amdhsa_kernarg_size 124
		.amdhsa_user_sgpr_count 6
		.amdhsa_user_sgpr_private_segment_buffer 1
		.amdhsa_user_sgpr_dispatch_ptr 0
		.amdhsa_user_sgpr_queue_ptr 0
		.amdhsa_user_sgpr_kernarg_segment_ptr 1
		.amdhsa_user_sgpr_dispatch_id 0
		.amdhsa_user_sgpr_flat_scratch_init 0
		.amdhsa_user_sgpr_private_segment_size 0
		.amdhsa_uses_dynamic_stack 0
		.amdhsa_system_sgpr_private_segment_wavefront_offset 0
		.amdhsa_system_sgpr_workgroup_id_x 1
		.amdhsa_system_sgpr_workgroup_id_y 1
		.amdhsa_system_sgpr_workgroup_id_z 1
		.amdhsa_system_sgpr_workgroup_info 0
		.amdhsa_system_vgpr_workitem_id 1
		.amdhsa_next_free_vgpr 59
		.amdhsa_next_free_sgpr 61
		.amdhsa_reserve_vcc 1
		.amdhsa_reserve_flat_scratch 0
		.amdhsa_float_round_mode_32 0
		.amdhsa_float_round_mode_16_64 0
		.amdhsa_float_denorm_mode_32 3
		.amdhsa_float_denorm_mode_16_64 3
		.amdhsa_dx10_clamp 1
		.amdhsa_ieee_mode 1
		.amdhsa_fp16_overflow 0
		.amdhsa_exception_fp_ieee_invalid_op 0
		.amdhsa_exception_fp_denorm_src 0
		.amdhsa_exception_fp_ieee_div_zero 0
		.amdhsa_exception_fp_ieee_overflow 0
		.amdhsa_exception_fp_ieee_underflow 0
		.amdhsa_exception_fp_ieee_inexact 0
		.amdhsa_exception_int_div_zero 0
	.end_amdhsa_kernel
	.section	.text._ZL34rocblas_syrkx_herkx_general_kernelIl19rocblas_complex_numIdELi16ELi32ELi8ELb0ELb1ELc67ELc76EKPKS1_KPS1_EviT_T0_PT8_S7_lSA_S7_lS8_PT9_S7_li,"axG",@progbits,_ZL34rocblas_syrkx_herkx_general_kernelIl19rocblas_complex_numIdELi16ELi32ELi8ELb0ELb1ELc67ELc76EKPKS1_KPS1_EviT_T0_PT8_S7_lSA_S7_lS8_PT9_S7_li,comdat
.Lfunc_end1840:
	.size	_ZL34rocblas_syrkx_herkx_general_kernelIl19rocblas_complex_numIdELi16ELi32ELi8ELb0ELb1ELc67ELc76EKPKS1_KPS1_EviT_T0_PT8_S7_lSA_S7_lS8_PT9_S7_li, .Lfunc_end1840-_ZL34rocblas_syrkx_herkx_general_kernelIl19rocblas_complex_numIdELi16ELi32ELi8ELb0ELb1ELc67ELc76EKPKS1_KPS1_EviT_T0_PT8_S7_lSA_S7_lS8_PT9_S7_li
                                        ; -- End function
	.set _ZL34rocblas_syrkx_herkx_general_kernelIl19rocblas_complex_numIdELi16ELi32ELi8ELb0ELb1ELc67ELc76EKPKS1_KPS1_EviT_T0_PT8_S7_lSA_S7_lS8_PT9_S7_li.num_vgpr, 59
	.set _ZL34rocblas_syrkx_herkx_general_kernelIl19rocblas_complex_numIdELi16ELi32ELi8ELb0ELb1ELc67ELc76EKPKS1_KPS1_EviT_T0_PT8_S7_lSA_S7_lS8_PT9_S7_li.num_agpr, 0
	.set _ZL34rocblas_syrkx_herkx_general_kernelIl19rocblas_complex_numIdELi16ELi32ELi8ELb0ELb1ELc67ELc76EKPKS1_KPS1_EviT_T0_PT8_S7_lSA_S7_lS8_PT9_S7_li.numbered_sgpr, 31
	.set _ZL34rocblas_syrkx_herkx_general_kernelIl19rocblas_complex_numIdELi16ELi32ELi8ELb0ELb1ELc67ELc76EKPKS1_KPS1_EviT_T0_PT8_S7_lSA_S7_lS8_PT9_S7_li.num_named_barrier, 0
	.set _ZL34rocblas_syrkx_herkx_general_kernelIl19rocblas_complex_numIdELi16ELi32ELi8ELb0ELb1ELc67ELc76EKPKS1_KPS1_EviT_T0_PT8_S7_lSA_S7_lS8_PT9_S7_li.private_seg_size, 0
	.set _ZL34rocblas_syrkx_herkx_general_kernelIl19rocblas_complex_numIdELi16ELi32ELi8ELb0ELb1ELc67ELc76EKPKS1_KPS1_EviT_T0_PT8_S7_lSA_S7_lS8_PT9_S7_li.uses_vcc, 1
	.set _ZL34rocblas_syrkx_herkx_general_kernelIl19rocblas_complex_numIdELi16ELi32ELi8ELb0ELb1ELc67ELc76EKPKS1_KPS1_EviT_T0_PT8_S7_lSA_S7_lS8_PT9_S7_li.uses_flat_scratch, 0
	.set _ZL34rocblas_syrkx_herkx_general_kernelIl19rocblas_complex_numIdELi16ELi32ELi8ELb0ELb1ELc67ELc76EKPKS1_KPS1_EviT_T0_PT8_S7_lSA_S7_lS8_PT9_S7_li.has_dyn_sized_stack, 0
	.set _ZL34rocblas_syrkx_herkx_general_kernelIl19rocblas_complex_numIdELi16ELi32ELi8ELb0ELb1ELc67ELc76EKPKS1_KPS1_EviT_T0_PT8_S7_lSA_S7_lS8_PT9_S7_li.has_recursion, 0
	.set _ZL34rocblas_syrkx_herkx_general_kernelIl19rocblas_complex_numIdELi16ELi32ELi8ELb0ELb1ELc67ELc76EKPKS1_KPS1_EviT_T0_PT8_S7_lSA_S7_lS8_PT9_S7_li.has_indirect_call, 0
	.section	.AMDGPU.csdata,"",@progbits
; Kernel info:
; codeLenInByte = 3464
; TotalNumSgprs: 35
; NumVgprs: 59
; ScratchSize: 0
; MemoryBound: 1
; FloatMode: 240
; IeeeMode: 1
; LDSByteSize: 8192 bytes/workgroup (compile time only)
; SGPRBlocks: 8
; VGPRBlocks: 14
; NumSGPRsForWavesPerEU: 65
; NumVGPRsForWavesPerEU: 59
; Occupancy: 4
; WaveLimiterHint : 1
; COMPUTE_PGM_RSRC2:SCRATCH_EN: 0
; COMPUTE_PGM_RSRC2:USER_SGPR: 6
; COMPUTE_PGM_RSRC2:TRAP_HANDLER: 0
; COMPUTE_PGM_RSRC2:TGID_X_EN: 1
; COMPUTE_PGM_RSRC2:TGID_Y_EN: 1
; COMPUTE_PGM_RSRC2:TGID_Z_EN: 1
; COMPUTE_PGM_RSRC2:TIDIG_COMP_CNT: 1
	.section	.text._ZL34rocblas_syrkx_herkx_general_kernelIl19rocblas_complex_numIdELi16ELi32ELi8ELb0ELb1ELc78ELc76EKPKS1_KPS1_EviT_T0_PT8_S7_lSA_S7_lS8_PT9_S7_li,"axG",@progbits,_ZL34rocblas_syrkx_herkx_general_kernelIl19rocblas_complex_numIdELi16ELi32ELi8ELb0ELb1ELc78ELc76EKPKS1_KPS1_EviT_T0_PT8_S7_lSA_S7_lS8_PT9_S7_li,comdat
	.globl	_ZL34rocblas_syrkx_herkx_general_kernelIl19rocblas_complex_numIdELi16ELi32ELi8ELb0ELb1ELc78ELc76EKPKS1_KPS1_EviT_T0_PT8_S7_lSA_S7_lS8_PT9_S7_li ; -- Begin function _ZL34rocblas_syrkx_herkx_general_kernelIl19rocblas_complex_numIdELi16ELi32ELi8ELb0ELb1ELc78ELc76EKPKS1_KPS1_EviT_T0_PT8_S7_lSA_S7_lS8_PT9_S7_li
	.p2align	8
	.type	_ZL34rocblas_syrkx_herkx_general_kernelIl19rocblas_complex_numIdELi16ELi32ELi8ELb0ELb1ELc78ELc76EKPKS1_KPS1_EviT_T0_PT8_S7_lSA_S7_lS8_PT9_S7_li,@function
_ZL34rocblas_syrkx_herkx_general_kernelIl19rocblas_complex_numIdELi16ELi32ELi8ELb0ELb1ELc78ELc76EKPKS1_KPS1_EviT_T0_PT8_S7_lSA_S7_lS8_PT9_S7_li: ; @_ZL34rocblas_syrkx_herkx_general_kernelIl19rocblas_complex_numIdELi16ELi32ELi8ELb0ELb1ELc78ELc76EKPKS1_KPS1_EviT_T0_PT8_S7_lSA_S7_lS8_PT9_S7_li
; %bb.0:
	s_load_dword s30, s[4:5], 0x0
	s_load_dwordx8 s[12:19], s[4:5], 0x50
	s_load_dwordx8 s[20:27], s[4:5], 0x8
	s_load_dwordx2 s[28:29], s[4:5], 0x28
	s_mov_b32 s9, 0
	s_lshl_b64 s[0:1], s[8:9], 3
	s_waitcnt lgkmcnt(0)
	s_add_u32 s2, s16, s0
	s_addc_u32 s3, s17, s1
	s_load_dwordx2 s[16:17], s[2:3], 0x0
	v_cmp_lt_i64_e64 s[2:3], s[20:21], 1
	s_lshl_b32 s31, s6, 5
	s_lshl_b32 s33, s7, 5
	s_and_b64 vcc, exec, s[2:3]
	s_cbranch_vccnz .LBB1841_9
; %bb.1:
	s_load_dwordx4 s[8:11], s[4:5], 0x38
	v_lshl_add_u32 v3, v1, 4, v0
	v_and_b32_e32 v7, 31, v3
	v_or_b32_e32 v4, s31, v7
	v_lshrrev_b32_e32 v29, 5, v3
	s_waitcnt lgkmcnt(0)
	s_add_u32 s2, s8, s0
	s_addc_u32 s3, s9, s1
	s_load_dwordx2 s[6:7], s[2:3], 0x0
	v_cmp_gt_i32_e32 vcc, s30, v4
	v_mad_u64_u32 v[4:5], s[2:3], s28, v29, 0
	v_lshrrev_b32_e32 v6, 3, v3
	v_and_b32_e32 v30, 7, v0
	v_lshlrev_b32_e32 v3, 4, v7
	v_lshl_or_b32 v31, v29, 9, v3
	v_lshlrev_b32_e32 v3, 4, v30
	v_add_u32_e32 v2, s33, v6
	v_lshl_or_b32 v3, v6, 7, v3
	v_mad_u64_u32 v[5:6], s[2:3], s29, v29, v[5:6]
	v_mov_b32_e32 v6, 0x1000
	v_lshl_add_u32 v34, v1, 7, v6
	v_add_u32_e32 v6, s31, v7
	v_mad_u64_u32 v[9:10], s[2:3], s10, v30, 0
	v_ashrrev_i32_e32 v7, 31, v6
	v_lshlrev_b64 v[4:5], 4, v[4:5]
	v_lshlrev_b64 v[6:7], 4, v[6:7]
	s_add_u32 s0, s26, s0
	s_addc_u32 s1, s27, s1
	v_add_co_u32_e64 v6, s[2:3], v4, v6
	v_mov_b32_e32 v4, v10
	s_load_dwordx2 s[4:5], s[0:1], 0x0
	v_addc_co_u32_e64 v8, s[2:3], v5, v7, s[2:3]
	v_mad_u64_u32 v[4:5], s[2:3], s11, v30, v[4:5]
	v_add_u32_e32 v32, 0x1000, v3
	v_ashrrev_i32_e32 v3, 31, v2
	v_mov_b32_e32 v10, v4
	v_cmp_gt_i32_e64 s[0:1], s30, v2
	s_waitcnt lgkmcnt(0)
	v_mov_b32_e32 v11, s5
	v_add_co_u32_e64 v7, s[2:3], s4, v6
	v_lshlrev_b64 v[4:5], 4, v[9:10]
	v_lshlrev_b64 v[2:3], 4, v[2:3]
	v_addc_co_u32_e64 v8, s[2:3], v11, v8, s[2:3]
	v_add_co_u32_e64 v2, s[2:3], v4, v2
	v_addc_co_u32_e64 v3, s[2:3], v5, v3, s[2:3]
	v_mov_b32_e32 v4, s7
	v_add_co_u32_e64 v9, s[2:3], s6, v2
	v_addc_co_u32_e64 v10, s[2:3], v4, v3, s[2:3]
	s_lshl_b64 s[4:5], s[28:29], 7
	s_lshl_b64 s[2:3], s[10:11], 7
	v_mov_b32_e32 v25, 0
	v_mov_b32_e32 v11, s20
	;; [unrolled: 1-line block ×9, first 2 shown]
	v_lshlrev_b32_e32 v33, 4, v0
	s_mov_b64 s[6:7], 0
	v_mov_b32_e32 v26, 0
	s_xor_b64 s[8:9], vcc, -1
	v_mov_b32_e32 v35, s5
	v_mov_b32_e32 v36, s3
	;; [unrolled: 1-line block ×11, first 2 shown]
	s_branch .LBB1841_3
.LBB1841_2:                             ;   in Loop: Header=BB1841_3 Depth=1
	s_or_b64 exec, exec, s[10:11]
	ds_write_b128 v32, v[3:6]
	s_waitcnt lgkmcnt(0)
	s_barrier
	ds_read_b128 v[3:6], v34
	ds_read_b128 v[37:40], v34 offset:16
	ds_read_b128 v[41:44], v34 offset:32
	;; [unrolled: 1-line block ×3, first 2 shown]
	ds_read_b128 v[49:52], v33
	v_add_co_u32_e32 v7, vcc, s4, v7
	v_addc_co_u32_e32 v8, vcc, v8, v35, vcc
	s_waitcnt lgkmcnt(0)
	v_mul_f64 v[53:54], v[5:6], v[51:52]
	v_mul_f64 v[55:56], v[3:4], v[51:52]
	s_add_u32 s6, s6, 8
	v_add_co_u32_e32 v9, vcc, s2, v9
	s_addc_u32 s7, s7, 0
	v_addc_co_u32_e32 v10, vcc, v10, v36, vcc
	v_fma_f64 v[53:54], v[3:4], v[49:50], -v[53:54]
	v_fma_f64 v[55:56], v[5:6], v[49:50], v[55:56]
	v_cmp_ge_i64_e32 vcc, s[6:7], v[11:12]
	s_and_b64 vcc, exec, vcc
	v_add_f64 v[53:54], v[21:22], v[53:54]
	v_add_f64 v[55:56], v[55:56], v[23:24]
	ds_read_b128 v[21:24], v33 offset:256
	s_waitcnt lgkmcnt(0)
	v_mul_f64 v[57:58], v[5:6], v[23:24]
	v_fma_f64 v[57:58], v[3:4], v[21:22], -v[57:58]
	v_mul_f64 v[3:4], v[3:4], v[23:24]
	v_add_f64 v[57:58], v[13:14], v[57:58]
	v_fma_f64 v[3:4], v[5:6], v[21:22], v[3:4]
	v_add_f64 v[59:60], v[3:4], v[15:16]
	ds_read_b128 v[3:6], v34 offset:2048
	s_waitcnt lgkmcnt(0)
	v_mul_f64 v[13:14], v[5:6], v[51:52]
	v_mul_f64 v[15:16], v[3:4], v[51:52]
	v_fma_f64 v[13:14], v[3:4], v[49:50], -v[13:14]
	v_fma_f64 v[15:16], v[5:6], v[49:50], v[15:16]
	v_add_f64 v[49:50], v[17:18], v[13:14]
	v_mul_f64 v[13:14], v[5:6], v[23:24]
	v_add_f64 v[51:52], v[15:16], v[19:20]
	v_fma_f64 v[13:14], v[3:4], v[21:22], -v[13:14]
	v_mul_f64 v[3:4], v[3:4], v[23:24]
	v_fma_f64 v[3:4], v[5:6], v[21:22], v[3:4]
	v_add_f64 v[21:22], v[27:28], v[13:14]
	v_add_f64 v[23:24], v[3:4], v[25:26]
	ds_read_b128 v[3:6], v33 offset:512
	s_waitcnt lgkmcnt(0)
	v_mul_f64 v[13:14], v[39:40], v[5:6]
	v_mul_f64 v[15:16], v[37:38], v[5:6]
	v_fma_f64 v[13:14], v[37:38], v[3:4], -v[13:14]
	v_fma_f64 v[15:16], v[39:40], v[3:4], v[15:16]
	v_add_f64 v[25:26], v[53:54], v[13:14]
	v_add_f64 v[27:28], v[15:16], v[55:56]
	ds_read_b128 v[13:16], v33 offset:768
	s_waitcnt lgkmcnt(0)
	v_mul_f64 v[17:18], v[39:40], v[15:16]
	v_mul_f64 v[19:20], v[37:38], v[15:16]
	v_fma_f64 v[17:18], v[37:38], v[13:14], -v[17:18]
	;; [unrolled: 8-line block ×3, first 2 shown]
	v_fma_f64 v[3:4], v[19:20], v[3:4], v[5:6]
	v_mul_f64 v[5:6], v[17:18], v[15:16]
	v_add_f64 v[49:50], v[49:50], v[53:54]
	v_add_f64 v[51:52], v[3:4], v[51:52]
	v_mul_f64 v[3:4], v[19:20], v[15:16]
	v_fma_f64 v[5:6], v[19:20], v[13:14], v[5:6]
	v_fma_f64 v[3:4], v[17:18], v[13:14], -v[3:4]
	v_add_f64 v[23:24], v[5:6], v[23:24]
	v_add_f64 v[21:22], v[21:22], v[3:4]
	ds_read_b128 v[3:6], v33 offset:1024
	s_waitcnt lgkmcnt(0)
	v_mul_f64 v[13:14], v[43:44], v[5:6]
	v_mul_f64 v[15:16], v[41:42], v[5:6]
	v_fma_f64 v[13:14], v[41:42], v[3:4], -v[13:14]
	v_fma_f64 v[15:16], v[43:44], v[3:4], v[15:16]
	v_add_f64 v[25:26], v[25:26], v[13:14]
	v_add_f64 v[27:28], v[15:16], v[27:28]
	ds_read_b128 v[13:16], v33 offset:1280
	s_waitcnt lgkmcnt(0)
	v_mul_f64 v[17:18], v[43:44], v[15:16]
	v_mul_f64 v[19:20], v[41:42], v[15:16]
	v_fma_f64 v[17:18], v[41:42], v[13:14], -v[17:18]
	v_fma_f64 v[19:20], v[43:44], v[13:14], v[19:20]
	v_add_f64 v[37:38], v[37:38], v[17:18]
	v_add_f64 v[39:40], v[19:20], v[39:40]
	ds_read_b128 v[17:20], v34 offset:2080
	s_waitcnt lgkmcnt(0)
	v_mul_f64 v[41:42], v[19:20], v[5:6]
	v_mul_f64 v[5:6], v[17:18], v[5:6]
	v_fma_f64 v[41:42], v[17:18], v[3:4], -v[41:42]
	v_fma_f64 v[3:4], v[19:20], v[3:4], v[5:6]
	v_mul_f64 v[5:6], v[17:18], v[15:16]
	v_add_f64 v[41:42], v[49:50], v[41:42]
	v_add_f64 v[43:44], v[3:4], v[51:52]
	v_mul_f64 v[3:4], v[19:20], v[15:16]
	v_fma_f64 v[5:6], v[19:20], v[13:14], v[5:6]
	v_fma_f64 v[3:4], v[17:18], v[13:14], -v[3:4]
	v_add_f64 v[23:24], v[5:6], v[23:24]
	v_add_f64 v[21:22], v[21:22], v[3:4]
	ds_read_b128 v[3:6], v33 offset:1536
	s_waitcnt lgkmcnt(0)
	v_mul_f64 v[13:14], v[47:48], v[5:6]
	v_mul_f64 v[15:16], v[45:46], v[5:6]
	v_fma_f64 v[13:14], v[45:46], v[3:4], -v[13:14]
	v_fma_f64 v[15:16], v[47:48], v[3:4], v[15:16]
	v_add_f64 v[25:26], v[25:26], v[13:14]
	v_add_f64 v[27:28], v[15:16], v[27:28]
	ds_read_b128 v[13:16], v33 offset:1792
	s_waitcnt lgkmcnt(0)
	v_mul_f64 v[17:18], v[47:48], v[15:16]
	v_mul_f64 v[19:20], v[45:46], v[15:16]
	v_fma_f64 v[17:18], v[45:46], v[13:14], -v[17:18]
	v_fma_f64 v[19:20], v[47:48], v[13:14], v[19:20]
	;; [unrolled: 8-line block ×3, first 2 shown]
	v_mul_f64 v[5:6], v[17:18], v[15:16]
	v_add_f64 v[41:42], v[41:42], v[45:46]
	v_add_f64 v[43:44], v[3:4], v[43:44]
	v_mul_f64 v[3:4], v[19:20], v[15:16]
	v_fma_f64 v[5:6], v[19:20], v[13:14], v[5:6]
	v_fma_f64 v[3:4], v[17:18], v[13:14], -v[3:4]
	v_add_f64 v[23:24], v[5:6], v[23:24]
	v_add_f64 v[21:22], v[21:22], v[3:4]
	ds_read_b128 v[3:6], v34 offset:64
	ds_read_b128 v[13:16], v33 offset:2048
	s_waitcnt lgkmcnt(0)
	v_mul_f64 v[17:18], v[5:6], v[15:16]
	v_mul_f64 v[19:20], v[3:4], v[15:16]
	v_fma_f64 v[17:18], v[3:4], v[13:14], -v[17:18]
	v_fma_f64 v[19:20], v[5:6], v[13:14], v[19:20]
	v_add_f64 v[25:26], v[25:26], v[17:18]
	v_add_f64 v[27:28], v[19:20], v[27:28]
	ds_read_b128 v[17:20], v33 offset:2304
	s_waitcnt lgkmcnt(0)
	v_mul_f64 v[45:46], v[5:6], v[19:20]
	v_fma_f64 v[45:46], v[3:4], v[17:18], -v[45:46]
	v_mul_f64 v[3:4], v[3:4], v[19:20]
	v_add_f64 v[37:38], v[37:38], v[45:46]
	v_fma_f64 v[3:4], v[5:6], v[17:18], v[3:4]
	v_add_f64 v[39:40], v[3:4], v[39:40]
	ds_read_b128 v[3:6], v34 offset:2112
	s_waitcnt lgkmcnt(0)
	v_mul_f64 v[45:46], v[5:6], v[15:16]
	v_mul_f64 v[15:16], v[3:4], v[15:16]
	v_fma_f64 v[45:46], v[3:4], v[13:14], -v[45:46]
	v_fma_f64 v[13:14], v[5:6], v[13:14], v[15:16]
	v_add_f64 v[41:42], v[41:42], v[45:46]
	v_add_f64 v[43:44], v[13:14], v[43:44]
	v_mul_f64 v[13:14], v[5:6], v[19:20]
	v_fma_f64 v[13:14], v[3:4], v[17:18], -v[13:14]
	v_mul_f64 v[3:4], v[3:4], v[19:20]
	v_add_f64 v[21:22], v[21:22], v[13:14]
	v_fma_f64 v[3:4], v[5:6], v[17:18], v[3:4]
	v_add_f64 v[23:24], v[3:4], v[23:24]
	ds_read_b128 v[3:6], v34 offset:80
	ds_read_b128 v[13:16], v33 offset:2560
	s_waitcnt lgkmcnt(0)
	v_mul_f64 v[17:18], v[5:6], v[15:16]
	v_mul_f64 v[19:20], v[3:4], v[15:16]
	v_fma_f64 v[17:18], v[3:4], v[13:14], -v[17:18]
	v_fma_f64 v[19:20], v[5:6], v[13:14], v[19:20]
	v_add_f64 v[25:26], v[25:26], v[17:18]
	v_add_f64 v[27:28], v[19:20], v[27:28]
	ds_read_b128 v[17:20], v33 offset:2816
	s_waitcnt lgkmcnt(0)
	v_mul_f64 v[45:46], v[5:6], v[19:20]
	v_fma_f64 v[45:46], v[3:4], v[17:18], -v[45:46]
	v_mul_f64 v[3:4], v[3:4], v[19:20]
	v_add_f64 v[37:38], v[37:38], v[45:46]
	v_fma_f64 v[3:4], v[5:6], v[17:18], v[3:4]
	v_add_f64 v[39:40], v[3:4], v[39:40]
	ds_read_b128 v[3:6], v34 offset:2128
	s_waitcnt lgkmcnt(0)
	v_mul_f64 v[45:46], v[5:6], v[15:16]
	v_mul_f64 v[15:16], v[3:4], v[15:16]
	v_fma_f64 v[45:46], v[3:4], v[13:14], -v[45:46]
	v_fma_f64 v[13:14], v[5:6], v[13:14], v[15:16]
	v_add_f64 v[41:42], v[41:42], v[45:46]
	v_add_f64 v[43:44], v[13:14], v[43:44]
	v_mul_f64 v[13:14], v[5:6], v[19:20]
	v_fma_f64 v[13:14], v[3:4], v[17:18], -v[13:14]
	v_mul_f64 v[3:4], v[3:4], v[19:20]
	v_add_f64 v[21:22], v[21:22], v[13:14]
	v_fma_f64 v[3:4], v[5:6], v[17:18], v[3:4]
	;; [unrolled: 31-line block ×3, first 2 shown]
	v_add_f64 v[47:48], v[3:4], v[23:24]
	ds_read_b128 v[3:6], v34 offset:112
	ds_read_b128 v[17:20], v33 offset:3584
	s_waitcnt lgkmcnt(0)
	v_mul_f64 v[13:14], v[5:6], v[19:20]
	v_mul_f64 v[15:16], v[3:4], v[19:20]
	v_fma_f64 v[13:14], v[3:4], v[17:18], -v[13:14]
	v_fma_f64 v[15:16], v[5:6], v[17:18], v[15:16]
	v_add_f64 v[21:22], v[25:26], v[13:14]
	v_add_f64 v[23:24], v[15:16], v[27:28]
	ds_read_b128 v[25:28], v33 offset:3840
	s_waitcnt lgkmcnt(0)
	v_mul_f64 v[13:14], v[5:6], v[27:28]
	v_fma_f64 v[13:14], v[3:4], v[25:26], -v[13:14]
	v_mul_f64 v[3:4], v[3:4], v[27:28]
	v_add_f64 v[13:14], v[37:38], v[13:14]
	v_fma_f64 v[3:4], v[5:6], v[25:26], v[3:4]
	v_add_f64 v[15:16], v[3:4], v[39:40]
	ds_read_b128 v[3:6], v34 offset:2160
	s_waitcnt lgkmcnt(0)
	s_barrier
	v_mul_f64 v[37:38], v[5:6], v[19:20]
	v_mul_f64 v[19:20], v[3:4], v[19:20]
	v_fma_f64 v[37:38], v[3:4], v[17:18], -v[37:38]
	v_fma_f64 v[19:20], v[5:6], v[17:18], v[19:20]
	v_add_f64 v[17:18], v[41:42], v[37:38]
	v_mul_f64 v[37:38], v[5:6], v[27:28]
	v_add_f64 v[19:20], v[19:20], v[43:44]
	v_fma_f64 v[37:38], v[3:4], v[25:26], -v[37:38]
	v_mul_f64 v[3:4], v[3:4], v[27:28]
	v_add_f64 v[27:28], v[45:46], v[37:38]
	v_fma_f64 v[3:4], v[5:6], v[25:26], v[3:4]
	v_add_f64 v[25:26], v[3:4], v[47:48]
	s_cbranch_vccnz .LBB1841_10
.LBB1841_3:                             ; =>This Inner Loop Header: Depth=1
	v_mov_b32_e32 v4, s7
	v_add_co_u32_e32 v3, vcc, s6, v29
	v_addc_co_u32_e32 v4, vcc, 0, v4, vcc
	v_cmp_le_i64_e32 vcc, s[20:21], v[3:4]
	s_or_b64 s[10:11], s[8:9], vcc
	s_and_saveexec_b64 s[26:27], s[10:11]
	s_xor_b64 s[10:11], exec, s[26:27]
; %bb.4:                                ;   in Loop: Header=BB1841_3 Depth=1
	v_mov_b32_e32 v3, v2
	v_mov_b32_e32 v4, v2
	;; [unrolled: 1-line block ×3, first 2 shown]
	ds_write_b128 v31, v[2:5]
; %bb.5:                                ;   in Loop: Header=BB1841_3 Depth=1
	s_andn2_saveexec_b64 s[10:11], s[10:11]
	s_cbranch_execz .LBB1841_7
; %bb.6:                                ;   in Loop: Header=BB1841_3 Depth=1
	flat_load_dwordx4 v[3:6], v[7:8]
	s_waitcnt vmcnt(0) lgkmcnt(0)
	ds_write2_b64 v31, v[3:4], v[5:6] offset1:1
.LBB1841_7:                             ;   in Loop: Header=BB1841_3 Depth=1
	s_or_b64 exec, exec, s[10:11]
	v_mov_b32_e32 v4, s7
	v_add_co_u32_e32 v3, vcc, s6, v30
	v_addc_co_u32_e32 v4, vcc, 0, v4, vcc
	v_cmp_gt_i64_e32 vcc, s[20:21], v[3:4]
	v_mov_b32_e32 v3, 0
	v_mov_b32_e32 v5, 0
	;; [unrolled: 1-line block ×4, first 2 shown]
	s_and_b64 s[26:27], vcc, s[0:1]
	s_and_saveexec_b64 s[10:11], s[26:27]
	s_cbranch_execz .LBB1841_2
; %bb.8:                                ;   in Loop: Header=BB1841_3 Depth=1
	flat_load_dwordx4 v[3:6], v[9:10]
	s_waitcnt vmcnt(0) lgkmcnt(0)
	v_xor_b32_e32 v6, 0x80000000, v6
	s_branch .LBB1841_2
.LBB1841_9:
	v_mov_b32_e32 v21, 0
	v_mov_b32_e32 v23, 0
	v_mov_b32_e32 v13, 0
	v_mov_b32_e32 v15, 0
	v_mov_b32_e32 v17, 0
	v_mov_b32_e32 v19, 0
	v_mov_b32_e32 v27, 0
	v_mov_b32_e32 v25, 0
	v_mov_b32_e32 v22, 0
	v_mov_b32_e32 v24, 0
	v_mov_b32_e32 v14, 0
	v_mov_b32_e32 v16, 0
	v_mov_b32_e32 v18, 0
	v_mov_b32_e32 v20, 0
	v_mov_b32_e32 v28, 0
	v_mov_b32_e32 v26, 0
.LBB1841_10:
	v_add_u32_e32 v4, s33, v1
	v_ashrrev_i32_e32 v1, 31, v4
	v_mul_lo_u32 v3, s18, v1
	v_mul_lo_u32 v5, s19, v4
	v_mad_u64_u32 v[1:2], s[0:1], s18, v4, 0
	v_add_u32_e32 v0, s31, v0
	v_cmp_le_i32_e64 s[0:1], v4, v0
	v_add3_u32 v2, v2, v3, v5
	v_lshlrev_b64 v[1:2], 4, v[1:2]
	s_waitcnt lgkmcnt(0)
	v_mov_b32_e32 v3, s17
	v_add_co_u32_e32 v5, vcc, s16, v1
	v_addc_co_u32_e32 v6, vcc, v3, v2, vcc
	v_cmp_gt_i32_e32 vcc, s30, v0
	s_and_b64 s[0:1], s[0:1], vcc
	s_and_saveexec_b64 s[2:3], s[0:1]
	s_cbranch_execz .LBB1841_12
; %bb.11:
	v_ashrrev_i32_e32 v1, 31, v0
	v_lshlrev_b64 v[1:2], 4, v[0:1]
	v_mul_f64 v[11:12], s[22:23], v[23:24]
	v_add_co_u32_e64 v1, s[0:1], v5, v1
	v_addc_co_u32_e64 v2, s[0:1], v6, v2, s[0:1]
	flat_load_dwordx4 v[7:10], v[1:2]
	v_mul_f64 v[23:24], s[24:25], v[23:24]
	v_cmp_ne_u32_e64 s[0:1], v4, v0
	v_fma_f64 v[11:12], s[24:25], v[21:22], v[11:12]
	v_fma_f64 v[21:22], s[22:23], v[21:22], -v[23:24]
	s_waitcnt vmcnt(0) lgkmcnt(0)
	v_mul_f64 v[29:30], s[12:13], v[9:10]
	v_mul_f64 v[9:10], s[14:15], v[9:10]
	v_fma_f64 v[29:30], s[14:15], v[7:8], v[29:30]
	v_fma_f64 v[7:8], s[12:13], v[7:8], -v[9:10]
	v_add_f64 v[9:10], v[11:12], v[29:30]
	v_add_f64 v[7:8], v[21:22], v[7:8]
	v_cndmask_b32_e64 v10, 0, v10, s[0:1]
	v_cndmask_b32_e64 v9, 0, v9, s[0:1]
	flat_store_dwordx4 v[1:2], v[7:10]
.LBB1841_12:
	s_or_b64 exec, exec, s[2:3]
	v_add_u32_e32 v2, 16, v0
	v_cmp_le_i32_e64 s[2:3], v4, v2
	v_cmp_gt_i32_e64 s[0:1], s30, v2
	s_and_b64 s[2:3], s[2:3], s[0:1]
	s_and_saveexec_b64 s[4:5], s[2:3]
	s_cbranch_execz .LBB1841_14
; %bb.13:
	v_ashrrev_i32_e32 v3, 31, v2
	v_lshlrev_b64 v[7:8], 4, v[2:3]
	v_mul_f64 v[11:12], s[22:23], v[15:16]
	v_add_co_u32_e64 v9, s[2:3], v5, v7
	v_addc_co_u32_e64 v10, s[2:3], v6, v8, s[2:3]
	flat_load_dwordx4 v[5:8], v[9:10]
	v_mul_f64 v[15:16], s[24:25], v[15:16]
	v_cmp_ne_u32_e64 s[2:3], v4, v2
	v_fma_f64 v[11:12], s[24:25], v[13:14], v[11:12]
	v_fma_f64 v[13:14], s[22:23], v[13:14], -v[15:16]
	s_waitcnt vmcnt(0) lgkmcnt(0)
	v_mul_f64 v[21:22], s[12:13], v[7:8]
	v_mul_f64 v[7:8], s[14:15], v[7:8]
	v_fma_f64 v[21:22], s[14:15], v[5:6], v[21:22]
	v_fma_f64 v[5:6], s[12:13], v[5:6], -v[7:8]
	v_add_f64 v[7:8], v[11:12], v[21:22]
	v_add_f64 v[5:6], v[13:14], v[5:6]
	v_cndmask_b32_e64 v8, 0, v8, s[2:3]
	v_cndmask_b32_e64 v7, 0, v7, s[2:3]
	flat_store_dwordx4 v[9:10], v[5:8]
.LBB1841_14:
	s_or_b64 exec, exec, s[4:5]
	v_add_u32_e32 v3, 16, v4
	v_ashrrev_i32_e32 v1, 31, v3
	v_mul_lo_u32 v7, s19, v3
	v_mad_u64_u32 v[5:6], s[2:3], s18, v3, 0
	v_mul_lo_u32 v1, s18, v1
	v_add3_u32 v6, v6, v1, v7
	v_lshlrev_b64 v[5:6], 4, v[5:6]
	v_mov_b32_e32 v1, s17
	v_add_co_u32_e64 v5, s[2:3], s16, v5
	v_addc_co_u32_e64 v6, s[2:3], v1, v6, s[2:3]
	v_cmp_le_i32_e64 s[2:3], v3, v0
	s_and_b64 s[4:5], s[2:3], vcc
	s_and_saveexec_b64 s[2:3], s[4:5]
	s_cbranch_execz .LBB1841_16
; %bb.15:
	v_ashrrev_i32_e32 v1, 31, v0
	v_lshlrev_b64 v[7:8], 4, v[0:1]
	v_mul_f64 v[13:14], s[22:23], v[19:20]
	v_add_co_u32_e32 v11, vcc, v5, v7
	v_addc_co_u32_e32 v12, vcc, v6, v8, vcc
	flat_load_dwordx4 v[7:10], v[11:12]
	v_mul_f64 v[19:20], s[24:25], v[19:20]
	v_cmp_ne_u32_e32 vcc, v3, v0
	v_fma_f64 v[13:14], s[24:25], v[17:18], v[13:14]
	v_fma_f64 v[17:18], s[22:23], v[17:18], -v[19:20]
	s_waitcnt vmcnt(0) lgkmcnt(0)
	v_mul_f64 v[15:16], s[12:13], v[9:10]
	v_mul_f64 v[9:10], s[14:15], v[9:10]
	v_fma_f64 v[15:16], s[14:15], v[7:8], v[15:16]
	v_fma_f64 v[7:8], s[12:13], v[7:8], -v[9:10]
	v_add_f64 v[9:10], v[13:14], v[15:16]
	v_add_f64 v[7:8], v[17:18], v[7:8]
	v_cndmask_b32_e32 v10, 0, v10, vcc
	v_cndmask_b32_e32 v9, 0, v9, vcc
	flat_store_dwordx4 v[11:12], v[7:10]
.LBB1841_16:
	s_or_b64 exec, exec, s[2:3]
	v_cmp_le_i32_e32 vcc, v3, v2
	s_and_b64 s[0:1], vcc, s[0:1]
	s_and_saveexec_b64 s[2:3], s[0:1]
	s_cbranch_execz .LBB1841_18
; %bb.17:
	v_ashrrev_i32_e32 v3, 31, v2
	v_lshlrev_b64 v[1:2], 4, v[2:3]
	v_mul_f64 v[13:14], s[24:25], v[25:26]
	v_add_co_u32_e32 v9, vcc, v5, v1
	v_addc_co_u32_e32 v10, vcc, v6, v2, vcc
	flat_load_dwordx4 v[5:8], v[9:10]
	v_mul_f64 v[1:2], s[22:23], v[25:26]
	v_cmp_ne_u32_e32 vcc, v4, v0
	v_fma_f64 v[13:14], s[22:23], v[27:28], -v[13:14]
	v_fma_f64 v[1:2], s[24:25], v[27:28], v[1:2]
	s_waitcnt vmcnt(0) lgkmcnt(0)
	v_mul_f64 v[11:12], s[12:13], v[7:8]
	v_mul_f64 v[7:8], s[14:15], v[7:8]
	v_fma_f64 v[11:12], s[14:15], v[5:6], v[11:12]
	v_fma_f64 v[5:6], s[12:13], v[5:6], -v[7:8]
	v_add_f64 v[7:8], v[1:2], v[11:12]
	v_add_f64 v[1:2], v[13:14], v[5:6]
	v_cndmask_b32_e32 v4, 0, v8, vcc
	v_cndmask_b32_e32 v3, 0, v7, vcc
	flat_store_dwordx4 v[9:10], v[1:4]
.LBB1841_18:
	s_endpgm
	.section	.rodata,"a",@progbits
	.p2align	6, 0x0
	.amdhsa_kernel _ZL34rocblas_syrkx_herkx_general_kernelIl19rocblas_complex_numIdELi16ELi32ELi8ELb0ELb1ELc78ELc76EKPKS1_KPS1_EviT_T0_PT8_S7_lSA_S7_lS8_PT9_S7_li
		.amdhsa_group_segment_fixed_size 8192
		.amdhsa_private_segment_fixed_size 0
		.amdhsa_kernarg_size 124
		.amdhsa_user_sgpr_count 6
		.amdhsa_user_sgpr_private_segment_buffer 1
		.amdhsa_user_sgpr_dispatch_ptr 0
		.amdhsa_user_sgpr_queue_ptr 0
		.amdhsa_user_sgpr_kernarg_segment_ptr 1
		.amdhsa_user_sgpr_dispatch_id 0
		.amdhsa_user_sgpr_flat_scratch_init 0
		.amdhsa_user_sgpr_private_segment_size 0
		.amdhsa_uses_dynamic_stack 0
		.amdhsa_system_sgpr_private_segment_wavefront_offset 0
		.amdhsa_system_sgpr_workgroup_id_x 1
		.amdhsa_system_sgpr_workgroup_id_y 1
		.amdhsa_system_sgpr_workgroup_id_z 1
		.amdhsa_system_sgpr_workgroup_info 0
		.amdhsa_system_vgpr_workitem_id 1
		.amdhsa_next_free_vgpr 61
		.amdhsa_next_free_sgpr 61
		.amdhsa_reserve_vcc 1
		.amdhsa_reserve_flat_scratch 0
		.amdhsa_float_round_mode_32 0
		.amdhsa_float_round_mode_16_64 0
		.amdhsa_float_denorm_mode_32 3
		.amdhsa_float_denorm_mode_16_64 3
		.amdhsa_dx10_clamp 1
		.amdhsa_ieee_mode 1
		.amdhsa_fp16_overflow 0
		.amdhsa_exception_fp_ieee_invalid_op 0
		.amdhsa_exception_fp_denorm_src 0
		.amdhsa_exception_fp_ieee_div_zero 0
		.amdhsa_exception_fp_ieee_overflow 0
		.amdhsa_exception_fp_ieee_underflow 0
		.amdhsa_exception_fp_ieee_inexact 0
		.amdhsa_exception_int_div_zero 0
	.end_amdhsa_kernel
	.section	.text._ZL34rocblas_syrkx_herkx_general_kernelIl19rocblas_complex_numIdELi16ELi32ELi8ELb0ELb1ELc78ELc76EKPKS1_KPS1_EviT_T0_PT8_S7_lSA_S7_lS8_PT9_S7_li,"axG",@progbits,_ZL34rocblas_syrkx_herkx_general_kernelIl19rocblas_complex_numIdELi16ELi32ELi8ELb0ELb1ELc78ELc76EKPKS1_KPS1_EviT_T0_PT8_S7_lSA_S7_lS8_PT9_S7_li,comdat
.Lfunc_end1841:
	.size	_ZL34rocblas_syrkx_herkx_general_kernelIl19rocblas_complex_numIdELi16ELi32ELi8ELb0ELb1ELc78ELc76EKPKS1_KPS1_EviT_T0_PT8_S7_lSA_S7_lS8_PT9_S7_li, .Lfunc_end1841-_ZL34rocblas_syrkx_herkx_general_kernelIl19rocblas_complex_numIdELi16ELi32ELi8ELb0ELb1ELc78ELc76EKPKS1_KPS1_EviT_T0_PT8_S7_lSA_S7_lS8_PT9_S7_li
                                        ; -- End function
	.set _ZL34rocblas_syrkx_herkx_general_kernelIl19rocblas_complex_numIdELi16ELi32ELi8ELb0ELb1ELc78ELc76EKPKS1_KPS1_EviT_T0_PT8_S7_lSA_S7_lS8_PT9_S7_li.num_vgpr, 61
	.set _ZL34rocblas_syrkx_herkx_general_kernelIl19rocblas_complex_numIdELi16ELi32ELi8ELb0ELb1ELc78ELc76EKPKS1_KPS1_EviT_T0_PT8_S7_lSA_S7_lS8_PT9_S7_li.num_agpr, 0
	.set _ZL34rocblas_syrkx_herkx_general_kernelIl19rocblas_complex_numIdELi16ELi32ELi8ELb0ELb1ELc78ELc76EKPKS1_KPS1_EviT_T0_PT8_S7_lSA_S7_lS8_PT9_S7_li.numbered_sgpr, 34
	.set _ZL34rocblas_syrkx_herkx_general_kernelIl19rocblas_complex_numIdELi16ELi32ELi8ELb0ELb1ELc78ELc76EKPKS1_KPS1_EviT_T0_PT8_S7_lSA_S7_lS8_PT9_S7_li.num_named_barrier, 0
	.set _ZL34rocblas_syrkx_herkx_general_kernelIl19rocblas_complex_numIdELi16ELi32ELi8ELb0ELb1ELc78ELc76EKPKS1_KPS1_EviT_T0_PT8_S7_lSA_S7_lS8_PT9_S7_li.private_seg_size, 0
	.set _ZL34rocblas_syrkx_herkx_general_kernelIl19rocblas_complex_numIdELi16ELi32ELi8ELb0ELb1ELc78ELc76EKPKS1_KPS1_EviT_T0_PT8_S7_lSA_S7_lS8_PT9_S7_li.uses_vcc, 1
	.set _ZL34rocblas_syrkx_herkx_general_kernelIl19rocblas_complex_numIdELi16ELi32ELi8ELb0ELb1ELc78ELc76EKPKS1_KPS1_EviT_T0_PT8_S7_lSA_S7_lS8_PT9_S7_li.uses_flat_scratch, 0
	.set _ZL34rocblas_syrkx_herkx_general_kernelIl19rocblas_complex_numIdELi16ELi32ELi8ELb0ELb1ELc78ELc76EKPKS1_KPS1_EviT_T0_PT8_S7_lSA_S7_lS8_PT9_S7_li.has_dyn_sized_stack, 0
	.set _ZL34rocblas_syrkx_herkx_general_kernelIl19rocblas_complex_numIdELi16ELi32ELi8ELb0ELb1ELc78ELc76EKPKS1_KPS1_EviT_T0_PT8_S7_lSA_S7_lS8_PT9_S7_li.has_recursion, 0
	.set _ZL34rocblas_syrkx_herkx_general_kernelIl19rocblas_complex_numIdELi16ELi32ELi8ELb0ELb1ELc78ELc76EKPKS1_KPS1_EviT_T0_PT8_S7_lSA_S7_lS8_PT9_S7_li.has_indirect_call, 0
	.section	.AMDGPU.csdata,"",@progbits
; Kernel info:
; codeLenInByte = 3460
; TotalNumSgprs: 38
; NumVgprs: 61
; ScratchSize: 0
; MemoryBound: 1
; FloatMode: 240
; IeeeMode: 1
; LDSByteSize: 8192 bytes/workgroup (compile time only)
; SGPRBlocks: 8
; VGPRBlocks: 15
; NumSGPRsForWavesPerEU: 65
; NumVGPRsForWavesPerEU: 61
; Occupancy: 4
; WaveLimiterHint : 1
; COMPUTE_PGM_RSRC2:SCRATCH_EN: 0
; COMPUTE_PGM_RSRC2:USER_SGPR: 6
; COMPUTE_PGM_RSRC2:TRAP_HANDLER: 0
; COMPUTE_PGM_RSRC2:TGID_X_EN: 1
; COMPUTE_PGM_RSRC2:TGID_Y_EN: 1
; COMPUTE_PGM_RSRC2:TGID_Z_EN: 1
; COMPUTE_PGM_RSRC2:TIDIG_COMP_CNT: 1
	.section	.text._ZL34rocblas_syrkx_herkx_general_kernelIl19rocblas_complex_numIdELi16ELi32ELi8ELb0ELb1ELc84ELc85EKPKS1_KPS1_EviT_T0_PT8_S7_lSA_S7_lS8_PT9_S7_li,"axG",@progbits,_ZL34rocblas_syrkx_herkx_general_kernelIl19rocblas_complex_numIdELi16ELi32ELi8ELb0ELb1ELc84ELc85EKPKS1_KPS1_EviT_T0_PT8_S7_lSA_S7_lS8_PT9_S7_li,comdat
	.globl	_ZL34rocblas_syrkx_herkx_general_kernelIl19rocblas_complex_numIdELi16ELi32ELi8ELb0ELb1ELc84ELc85EKPKS1_KPS1_EviT_T0_PT8_S7_lSA_S7_lS8_PT9_S7_li ; -- Begin function _ZL34rocblas_syrkx_herkx_general_kernelIl19rocblas_complex_numIdELi16ELi32ELi8ELb0ELb1ELc84ELc85EKPKS1_KPS1_EviT_T0_PT8_S7_lSA_S7_lS8_PT9_S7_li
	.p2align	8
	.type	_ZL34rocblas_syrkx_herkx_general_kernelIl19rocblas_complex_numIdELi16ELi32ELi8ELb0ELb1ELc84ELc85EKPKS1_KPS1_EviT_T0_PT8_S7_lSA_S7_lS8_PT9_S7_li,@function
_ZL34rocblas_syrkx_herkx_general_kernelIl19rocblas_complex_numIdELi16ELi32ELi8ELb0ELb1ELc84ELc85EKPKS1_KPS1_EviT_T0_PT8_S7_lSA_S7_lS8_PT9_S7_li: ; @_ZL34rocblas_syrkx_herkx_general_kernelIl19rocblas_complex_numIdELi16ELi32ELi8ELb0ELb1ELc84ELc85EKPKS1_KPS1_EviT_T0_PT8_S7_lSA_S7_lS8_PT9_S7_li
; %bb.0:
	s_load_dword s28, s[4:5], 0x0
	s_load_dwordx8 s[12:19], s[4:5], 0x50
	s_load_dwordx8 s[20:27], s[4:5], 0x8
	s_load_dwordx2 s[2:3], s[4:5], 0x28
	s_mov_b32 s9, 0
	s_lshl_b64 s[0:1], s[8:9], 3
	s_waitcnt lgkmcnt(0)
	s_add_u32 s8, s16, s0
	s_addc_u32 s9, s17, s1
	s_load_dwordx2 s[16:17], s[8:9], 0x0
	v_cmp_lt_i64_e64 s[8:9], s[20:21], 1
	s_lshl_b32 s29, s6, 5
	s_lshl_b32 s30, s7, 5
	s_and_b64 vcc, exec, s[8:9]
	s_cbranch_vccnz .LBB1842_11
; %bb.1:
	v_lshl_add_u32 v2, v1, 4, v0
	v_and_b32_e32 v5, 31, v2
	v_and_b32_e32 v29, 7, v0
	v_lshrrev_b32_e32 v3, 3, v2
	v_lshrrev_b32_e32 v28, 5, v2
	v_lshlrev_b32_e32 v2, 4, v5
	v_lshlrev_b32_e32 v8, 4, v29
	v_lshl_or_b32 v30, v28, 9, v2
	v_lshl_or_b32 v2, v3, 7, v8
	v_add_u32_e32 v31, 0x1000, v2
	v_add_u32_e32 v2, s29, v5
	s_load_dwordx4 s[8:11], s[4:5], 0x38
	v_add_u32_e32 v4, s30, v3
	v_ashrrev_i32_e32 v3, 31, v2
	v_or_b32_e32 v6, s29, v5
	v_mul_lo_u32 v5, s2, v3
	v_mul_lo_u32 v7, s3, v2
	v_mad_u64_u32 v[2:3], s[2:3], s2, v2, 0
	s_waitcnt lgkmcnt(0)
	s_add_u32 s4, s8, s0
	s_addc_u32 s5, s9, s1
	v_add3_u32 v3, v3, v5, v7
	v_lshlrev_b64 v[2:3], 4, v[2:3]
	s_add_u32 s0, s26, s0
	v_lshlrev_b32_e32 v5, 4, v28
	s_addc_u32 s1, s27, s1
	v_cmp_gt_i32_e32 vcc, s28, v6
	v_ashrrev_i32_e32 v6, 31, v4
	v_add_co_u32_e64 v5, s[2:3], v2, v5
	s_load_dwordx2 s[6:7], s[0:1], 0x0
	v_addc_co_u32_e64 v7, s[2:3], 0, v3, s[2:3]
	v_mul_lo_u32 v10, s10, v6
	v_mul_lo_u32 v11, s11, v4
	v_mad_u64_u32 v[2:3], s[2:3], s10, v4, 0
	s_load_dwordx2 s[4:5], s[4:5], 0x0
	v_mov_b32_e32 v9, 0x1000
	v_add3_u32 v3, v3, v10, v11
	v_lshl_add_u32 v33, v1, 7, v9
	s_waitcnt lgkmcnt(0)
	v_mov_b32_e32 v9, s7
	v_add_co_u32_e64 v6, s[2:3], s6, v5
	v_lshlrev_b64 v[2:3], 4, v[2:3]
	v_addc_co_u32_e64 v7, s[2:3], v9, v7, s[2:3]
	v_add_co_u32_e64 v2, s[2:3], v2, v8
	v_addc_co_u32_e64 v3, s[2:3], 0, v3, s[2:3]
	v_cmp_gt_i32_e64 s[0:1], s28, v4
	v_mov_b32_e32 v4, s5
	v_add_co_u32_e64 v8, s[2:3], s4, v2
	v_addc_co_u32_e64 v9, s[2:3], v4, v3, s[2:3]
	v_mov_b32_e32 v24, 0
	v_mov_b32_e32 v10, s20
	;; [unrolled: 1-line block ×9, first 2 shown]
	v_lshlrev_b32_e32 v32, 4, v0
	s_mov_b64 s[2:3], 0
	v_mov_b32_e32 v25, 0
	s_xor_b64 s[4:5], vcc, -1
	s_xor_b64 s[0:1], s[0:1], -1
	v_mov_b32_e32 v11, s21
	v_mov_b32_e32 v27, 0
	v_mov_b32_e32 v19, 0
	v_mov_b32_e32 v17, 0
	v_mov_b32_e32 v15, 0
	v_mov_b32_e32 v13, 0
	v_mov_b32_e32 v23, 0
	v_mov_b32_e32 v21, 0
	v_mov_b32_e32 v2, 0
	s_branch .LBB1842_3
.LBB1842_2:                             ;   in Loop: Header=BB1842_3 Depth=1
	s_or_b64 exec, exec, s[6:7]
	s_waitcnt lgkmcnt(0)
	s_barrier
	ds_read_b128 v[34:37], v33
	ds_read_b128 v[38:41], v33 offset:16
	ds_read_b128 v[42:45], v33 offset:32
	;; [unrolled: 1-line block ×3, first 2 shown]
	ds_read_b128 v[50:53], v32
	v_add_co_u32_e32 v6, vcc, 0x80, v6
	v_addc_co_u32_e32 v7, vcc, 0, v7, vcc
	s_waitcnt lgkmcnt(0)
	v_mul_f64 v[3:4], v[36:37], v[52:53]
	v_mul_f64 v[54:55], v[34:35], v[52:53]
	s_add_u32 s2, s2, 8
	v_add_co_u32_e32 v8, vcc, 0x80, v8
	s_addc_u32 s3, s3, 0
	v_addc_co_u32_e32 v9, vcc, 0, v9, vcc
	v_fma_f64 v[3:4], v[34:35], v[50:51], -v[3:4]
	v_fma_f64 v[54:55], v[36:37], v[50:51], v[54:55]
	v_cmp_ge_i64_e32 vcc, s[2:3], v[10:11]
	s_and_b64 vcc, exec, vcc
	v_add_f64 v[3:4], v[20:21], v[3:4]
	v_add_f64 v[54:55], v[54:55], v[22:23]
	ds_read_b128 v[20:23], v32 offset:256
	s_waitcnt lgkmcnt(0)
	v_mul_f64 v[56:57], v[36:37], v[22:23]
	v_fma_f64 v[56:57], v[34:35], v[20:21], -v[56:57]
	v_mul_f64 v[34:35], v[34:35], v[22:23]
	v_fma_f64 v[34:35], v[36:37], v[20:21], v[34:35]
	v_add_f64 v[36:37], v[12:13], v[56:57]
	v_add_f64 v[34:35], v[34:35], v[14:15]
	ds_read_b128 v[12:15], v33 offset:2048
	s_waitcnt lgkmcnt(0)
	v_mul_f64 v[56:57], v[14:15], v[52:53]
	v_mul_f64 v[52:53], v[12:13], v[52:53]
	v_fma_f64 v[56:57], v[12:13], v[50:51], -v[56:57]
	v_fma_f64 v[50:51], v[14:15], v[50:51], v[52:53]
	v_add_f64 v[52:53], v[16:17], v[56:57]
	v_mul_f64 v[16:17], v[14:15], v[22:23]
	v_add_f64 v[50:51], v[50:51], v[18:19]
	v_fma_f64 v[16:17], v[12:13], v[20:21], -v[16:17]
	v_mul_f64 v[12:13], v[12:13], v[22:23]
	v_add_f64 v[26:27], v[26:27], v[16:17]
	v_fma_f64 v[12:13], v[14:15], v[20:21], v[12:13]
	v_add_f64 v[24:25], v[12:13], v[24:25]
	ds_read_b128 v[12:15], v32 offset:512
	s_waitcnt lgkmcnt(0)
	v_mul_f64 v[16:17], v[40:41], v[14:15]
	v_mul_f64 v[18:19], v[38:39], v[14:15]
	v_fma_f64 v[16:17], v[38:39], v[12:13], -v[16:17]
	v_fma_f64 v[18:19], v[40:41], v[12:13], v[18:19]
	v_add_f64 v[3:4], v[3:4], v[16:17]
	v_add_f64 v[54:55], v[18:19], v[54:55]
	ds_read_b128 v[16:19], v32 offset:768
	s_waitcnt lgkmcnt(0)
	v_mul_f64 v[20:21], v[40:41], v[18:19]
	v_mul_f64 v[22:23], v[38:39], v[18:19]
	v_fma_f64 v[20:21], v[38:39], v[16:17], -v[20:21]
	v_fma_f64 v[22:23], v[40:41], v[16:17], v[22:23]
	v_add_f64 v[36:37], v[36:37], v[20:21]
	v_add_f64 v[34:35], v[22:23], v[34:35]
	ds_read_b128 v[20:23], v33 offset:2064
	s_waitcnt lgkmcnt(0)
	v_mul_f64 v[38:39], v[22:23], v[14:15]
	v_mul_f64 v[14:15], v[20:21], v[14:15]
	v_fma_f64 v[38:39], v[20:21], v[12:13], -v[38:39]
	v_fma_f64 v[12:13], v[22:23], v[12:13], v[14:15]
	v_mul_f64 v[14:15], v[20:21], v[18:19]
	v_add_f64 v[38:39], v[52:53], v[38:39]
	v_add_f64 v[40:41], v[12:13], v[50:51]
	v_mul_f64 v[12:13], v[22:23], v[18:19]
	v_fma_f64 v[14:15], v[22:23], v[16:17], v[14:15]
	v_fma_f64 v[12:13], v[20:21], v[16:17], -v[12:13]
	v_add_f64 v[24:25], v[14:15], v[24:25]
	v_add_f64 v[26:27], v[26:27], v[12:13]
	ds_read_b128 v[12:15], v32 offset:1024
	s_waitcnt lgkmcnt(0)
	v_mul_f64 v[16:17], v[44:45], v[14:15]
	v_mul_f64 v[18:19], v[42:43], v[14:15]
	v_fma_f64 v[16:17], v[42:43], v[12:13], -v[16:17]
	v_fma_f64 v[18:19], v[44:45], v[12:13], v[18:19]
	v_add_f64 v[3:4], v[3:4], v[16:17]
	v_add_f64 v[50:51], v[18:19], v[54:55]
	ds_read_b128 v[16:19], v32 offset:1280
	s_waitcnt lgkmcnt(0)
	v_mul_f64 v[20:21], v[44:45], v[18:19]
	v_mul_f64 v[22:23], v[42:43], v[18:19]
	v_fma_f64 v[20:21], v[42:43], v[16:17], -v[20:21]
	v_fma_f64 v[22:23], v[44:45], v[16:17], v[22:23]
	v_add_f64 v[36:37], v[36:37], v[20:21]
	v_add_f64 v[34:35], v[22:23], v[34:35]
	ds_read_b128 v[20:23], v33 offset:2080
	s_waitcnt lgkmcnt(0)
	v_mul_f64 v[42:43], v[22:23], v[14:15]
	v_mul_f64 v[14:15], v[20:21], v[14:15]
	v_fma_f64 v[42:43], v[20:21], v[12:13], -v[42:43]
	v_fma_f64 v[12:13], v[22:23], v[12:13], v[14:15]
	v_mul_f64 v[14:15], v[20:21], v[18:19]
	v_add_f64 v[38:39], v[38:39], v[42:43]
	v_add_f64 v[40:41], v[12:13], v[40:41]
	v_mul_f64 v[12:13], v[22:23], v[18:19]
	v_fma_f64 v[14:15], v[22:23], v[16:17], v[14:15]
	v_fma_f64 v[12:13], v[20:21], v[16:17], -v[12:13]
	v_add_f64 v[24:25], v[14:15], v[24:25]
	v_add_f64 v[26:27], v[26:27], v[12:13]
	ds_read_b128 v[12:15], v32 offset:1536
	s_waitcnt lgkmcnt(0)
	v_mul_f64 v[16:17], v[48:49], v[14:15]
	v_mul_f64 v[18:19], v[46:47], v[14:15]
	v_fma_f64 v[16:17], v[46:47], v[12:13], -v[16:17]
	v_fma_f64 v[18:19], v[48:49], v[12:13], v[18:19]
	v_add_f64 v[3:4], v[3:4], v[16:17]
	v_add_f64 v[42:43], v[18:19], v[50:51]
	ds_read_b128 v[16:19], v32 offset:1792
	s_waitcnt lgkmcnt(0)
	v_mul_f64 v[20:21], v[48:49], v[18:19]
	v_mul_f64 v[22:23], v[46:47], v[18:19]
	v_fma_f64 v[20:21], v[46:47], v[16:17], -v[20:21]
	v_fma_f64 v[22:23], v[48:49], v[16:17], v[22:23]
	v_add_f64 v[36:37], v[36:37], v[20:21]
	v_add_f64 v[34:35], v[22:23], v[34:35]
	ds_read_b128 v[20:23], v33 offset:2096
	s_waitcnt lgkmcnt(0)
	v_mul_f64 v[44:45], v[22:23], v[14:15]
	v_mul_f64 v[14:15], v[20:21], v[14:15]
	v_fma_f64 v[44:45], v[20:21], v[12:13], -v[44:45]
	v_fma_f64 v[12:13], v[22:23], v[12:13], v[14:15]
	v_mul_f64 v[14:15], v[20:21], v[18:19]
	v_add_f64 v[38:39], v[38:39], v[44:45]
	v_add_f64 v[40:41], v[12:13], v[40:41]
	v_mul_f64 v[12:13], v[22:23], v[18:19]
	v_fma_f64 v[14:15], v[22:23], v[16:17], v[14:15]
	v_fma_f64 v[12:13], v[20:21], v[16:17], -v[12:13]
	v_add_f64 v[24:25], v[14:15], v[24:25]
	v_add_f64 v[26:27], v[26:27], v[12:13]
	ds_read_b128 v[12:15], v33 offset:64
	ds_read_b128 v[16:19], v32 offset:2048
	s_waitcnt lgkmcnt(0)
	v_mul_f64 v[20:21], v[14:15], v[18:19]
	v_mul_f64 v[22:23], v[12:13], v[18:19]
	v_fma_f64 v[20:21], v[12:13], v[16:17], -v[20:21]
	v_fma_f64 v[22:23], v[14:15], v[16:17], v[22:23]
	v_add_f64 v[3:4], v[3:4], v[20:21]
	v_add_f64 v[42:43], v[22:23], v[42:43]
	ds_read_b128 v[20:23], v32 offset:2304
	s_waitcnt lgkmcnt(0)
	v_mul_f64 v[44:45], v[14:15], v[22:23]
	v_fma_f64 v[44:45], v[12:13], v[20:21], -v[44:45]
	v_mul_f64 v[12:13], v[12:13], v[22:23]
	v_add_f64 v[36:37], v[36:37], v[44:45]
	v_fma_f64 v[12:13], v[14:15], v[20:21], v[12:13]
	v_add_f64 v[34:35], v[12:13], v[34:35]
	ds_read_b128 v[12:15], v33 offset:2112
	s_waitcnt lgkmcnt(0)
	v_mul_f64 v[44:45], v[14:15], v[18:19]
	v_mul_f64 v[18:19], v[12:13], v[18:19]
	v_fma_f64 v[44:45], v[12:13], v[16:17], -v[44:45]
	v_fma_f64 v[16:17], v[14:15], v[16:17], v[18:19]
	v_add_f64 v[38:39], v[38:39], v[44:45]
	v_add_f64 v[40:41], v[16:17], v[40:41]
	v_mul_f64 v[16:17], v[14:15], v[22:23]
	v_fma_f64 v[16:17], v[12:13], v[20:21], -v[16:17]
	v_mul_f64 v[12:13], v[12:13], v[22:23]
	v_add_f64 v[26:27], v[26:27], v[16:17]
	v_fma_f64 v[12:13], v[14:15], v[20:21], v[12:13]
	v_add_f64 v[24:25], v[12:13], v[24:25]
	ds_read_b128 v[12:15], v33 offset:80
	ds_read_b128 v[16:19], v32 offset:2560
	s_waitcnt lgkmcnt(0)
	v_mul_f64 v[20:21], v[14:15], v[18:19]
	v_mul_f64 v[22:23], v[12:13], v[18:19]
	v_fma_f64 v[20:21], v[12:13], v[16:17], -v[20:21]
	v_fma_f64 v[22:23], v[14:15], v[16:17], v[22:23]
	v_add_f64 v[3:4], v[3:4], v[20:21]
	v_add_f64 v[42:43], v[22:23], v[42:43]
	ds_read_b128 v[20:23], v32 offset:2816
	s_waitcnt lgkmcnt(0)
	v_mul_f64 v[44:45], v[14:15], v[22:23]
	v_fma_f64 v[44:45], v[12:13], v[20:21], -v[44:45]
	v_mul_f64 v[12:13], v[12:13], v[22:23]
	v_add_f64 v[36:37], v[36:37], v[44:45]
	v_fma_f64 v[12:13], v[14:15], v[20:21], v[12:13]
	v_add_f64 v[34:35], v[12:13], v[34:35]
	ds_read_b128 v[12:15], v33 offset:2128
	s_waitcnt lgkmcnt(0)
	v_mul_f64 v[44:45], v[14:15], v[18:19]
	v_mul_f64 v[18:19], v[12:13], v[18:19]
	v_fma_f64 v[44:45], v[12:13], v[16:17], -v[44:45]
	v_fma_f64 v[16:17], v[14:15], v[16:17], v[18:19]
	v_add_f64 v[38:39], v[38:39], v[44:45]
	v_add_f64 v[40:41], v[16:17], v[40:41]
	v_mul_f64 v[16:17], v[14:15], v[22:23]
	v_fma_f64 v[16:17], v[12:13], v[20:21], -v[16:17]
	v_mul_f64 v[12:13], v[12:13], v[22:23]
	v_add_f64 v[26:27], v[26:27], v[16:17]
	v_fma_f64 v[12:13], v[14:15], v[20:21], v[12:13]
	;; [unrolled: 31-line block ×3, first 2 shown]
	v_add_f64 v[46:47], v[12:13], v[24:25]
	ds_read_b128 v[12:15], v33 offset:112
	ds_read_b128 v[16:19], v32 offset:3584
	;; [unrolled: 1-line block ×3, first 2 shown]
	s_waitcnt lgkmcnt(1)
	v_mul_f64 v[20:21], v[14:15], v[18:19]
	v_mul_f64 v[22:23], v[12:13], v[18:19]
	v_fma_f64 v[20:21], v[12:13], v[16:17], -v[20:21]
	v_fma_f64 v[22:23], v[14:15], v[16:17], v[22:23]
	v_add_f64 v[20:21], v[3:4], v[20:21]
	s_waitcnt lgkmcnt(0)
	v_mul_f64 v[3:4], v[14:15], v[26:27]
	v_add_f64 v[22:23], v[22:23], v[42:43]
	v_fma_f64 v[3:4], v[12:13], v[24:25], -v[3:4]
	v_mul_f64 v[12:13], v[12:13], v[26:27]
	v_fma_f64 v[14:15], v[14:15], v[24:25], v[12:13]
	v_add_f64 v[12:13], v[36:37], v[3:4]
	v_add_f64 v[14:15], v[14:15], v[34:35]
	ds_read_b128 v[34:37], v33 offset:2160
	s_waitcnt lgkmcnt(0)
	s_barrier
	v_mul_f64 v[3:4], v[36:37], v[18:19]
	v_mul_f64 v[18:19], v[34:35], v[18:19]
	v_fma_f64 v[3:4], v[34:35], v[16:17], -v[3:4]
	v_fma_f64 v[18:19], v[36:37], v[16:17], v[18:19]
	v_add_f64 v[16:17], v[38:39], v[3:4]
	v_mul_f64 v[3:4], v[36:37], v[26:27]
	v_mul_f64 v[26:27], v[34:35], v[26:27]
	v_add_f64 v[18:19], v[18:19], v[40:41]
	v_fma_f64 v[3:4], v[34:35], v[24:25], -v[3:4]
	v_fma_f64 v[24:25], v[36:37], v[24:25], v[26:27]
	v_add_f64 v[26:27], v[44:45], v[3:4]
	v_add_f64 v[24:25], v[24:25], v[46:47]
	s_cbranch_vccnz .LBB1842_12
.LBB1842_3:                             ; =>This Inner Loop Header: Depth=1
	v_mov_b32_e32 v4, s3
	v_add_co_u32_e32 v3, vcc, s2, v28
	v_addc_co_u32_e32 v4, vcc, 0, v4, vcc
	v_cmp_le_i64_e32 vcc, s[20:21], v[3:4]
	s_or_b64 s[6:7], s[4:5], vcc
	s_and_saveexec_b64 s[8:9], s[6:7]
	s_xor_b64 s[6:7], exec, s[8:9]
; %bb.4:                                ;   in Loop: Header=BB1842_3 Depth=1
	v_mov_b32_e32 v3, v2
	v_mov_b32_e32 v4, v2
	;; [unrolled: 1-line block ×3, first 2 shown]
	ds_write_b128 v30, v[2:5]
; %bb.5:                                ;   in Loop: Header=BB1842_3 Depth=1
	s_andn2_saveexec_b64 s[6:7], s[6:7]
	s_cbranch_execz .LBB1842_7
; %bb.6:                                ;   in Loop: Header=BB1842_3 Depth=1
	flat_load_dwordx4 v[34:37], v[6:7]
	s_waitcnt vmcnt(0) lgkmcnt(0)
	ds_write2_b64 v30, v[34:35], v[36:37] offset1:1
.LBB1842_7:                             ;   in Loop: Header=BB1842_3 Depth=1
	s_or_b64 exec, exec, s[6:7]
	v_mov_b32_e32 v4, s3
	v_add_co_u32_e32 v3, vcc, s2, v29
	v_addc_co_u32_e32 v4, vcc, 0, v4, vcc
	v_cmp_le_i64_e32 vcc, s[20:21], v[3:4]
	s_or_b64 s[6:7], vcc, s[0:1]
	s_and_saveexec_b64 s[8:9], s[6:7]
	s_xor_b64 s[6:7], exec, s[8:9]
; %bb.8:                                ;   in Loop: Header=BB1842_3 Depth=1
	v_mov_b32_e32 v3, v2
	v_mov_b32_e32 v4, v2
	;; [unrolled: 1-line block ×3, first 2 shown]
	ds_write_b128 v31, v[2:5]
; %bb.9:                                ;   in Loop: Header=BB1842_3 Depth=1
	s_andn2_saveexec_b64 s[6:7], s[6:7]
	s_cbranch_execz .LBB1842_2
; %bb.10:                               ;   in Loop: Header=BB1842_3 Depth=1
	flat_load_dwordx4 v[34:37], v[8:9]
	s_waitcnt vmcnt(0) lgkmcnt(0)
	ds_write2_b64 v31, v[34:35], v[36:37] offset1:1
	s_branch .LBB1842_2
.LBB1842_11:
	v_mov_b32_e32 v20, 0
	v_mov_b32_e32 v22, 0
	;; [unrolled: 1-line block ×16, first 2 shown]
.LBB1842_12:
	v_add_u32_e32 v4, s30, v1
	v_ashrrev_i32_e32 v1, 31, v4
	v_mul_lo_u32 v3, s18, v1
	v_mul_lo_u32 v5, s19, v4
	v_mad_u64_u32 v[1:2], s[0:1], s18, v4, 0
	v_add_u32_e32 v0, s29, v0
	v_cmp_gt_i32_e32 vcc, s28, v4
	v_add3_u32 v2, v2, v3, v5
	v_lshlrev_b64 v[1:2], 4, v[1:2]
	s_waitcnt lgkmcnt(0)
	v_mov_b32_e32 v3, s17
	v_add_co_u32_e64 v5, s[0:1], s16, v1
	v_addc_co_u32_e64 v6, s[0:1], v3, v2, s[0:1]
	v_cmp_le_i32_e64 s[0:1], v0, v4
	s_and_b64 s[0:1], vcc, s[0:1]
	s_and_saveexec_b64 s[2:3], s[0:1]
	s_cbranch_execz .LBB1842_14
; %bb.13:
	v_ashrrev_i32_e32 v1, 31, v0
	v_lshlrev_b64 v[1:2], 4, v[0:1]
	v_mul_f64 v[28:29], s[22:23], v[22:23]
	v_add_co_u32_e64 v1, s[0:1], v5, v1
	v_addc_co_u32_e64 v2, s[0:1], v6, v2, s[0:1]
	flat_load_dwordx4 v[7:10], v[1:2]
	v_mul_f64 v[22:23], s[24:25], v[22:23]
	v_cmp_ne_u32_e64 s[0:1], v4, v0
	v_fma_f64 v[28:29], s[24:25], v[20:21], v[28:29]
	v_fma_f64 v[20:21], s[22:23], v[20:21], -v[22:23]
	s_waitcnt vmcnt(0) lgkmcnt(0)
	v_mul_f64 v[30:31], s[12:13], v[9:10]
	v_mul_f64 v[9:10], s[14:15], v[9:10]
	v_fma_f64 v[30:31], s[14:15], v[7:8], v[30:31]
	v_fma_f64 v[7:8], s[12:13], v[7:8], -v[9:10]
	v_add_f64 v[9:10], v[28:29], v[30:31]
	v_add_f64 v[7:8], v[20:21], v[7:8]
	v_cndmask_b32_e64 v10, 0, v10, s[0:1]
	v_cndmask_b32_e64 v9, 0, v9, s[0:1]
	flat_store_dwordx4 v[1:2], v[7:10]
.LBB1842_14:
	s_or_b64 exec, exec, s[2:3]
	v_add_u32_e32 v2, 16, v0
	v_cmp_le_i32_e64 s[0:1], v2, v4
	s_and_b64 s[2:3], vcc, s[0:1]
	s_and_saveexec_b64 s[0:1], s[2:3]
	s_cbranch_execz .LBB1842_16
; %bb.15:
	v_ashrrev_i32_e32 v3, 31, v2
	v_lshlrev_b64 v[7:8], 4, v[2:3]
	v_mul_f64 v[20:21], s[22:23], v[14:15]
	v_add_co_u32_e32 v9, vcc, v5, v7
	v_addc_co_u32_e32 v10, vcc, v6, v8, vcc
	flat_load_dwordx4 v[5:8], v[9:10]
	v_mul_f64 v[14:15], s[24:25], v[14:15]
	v_cmp_ne_u32_e32 vcc, v4, v2
	v_fma_f64 v[20:21], s[24:25], v[12:13], v[20:21]
	v_fma_f64 v[11:12], s[22:23], v[12:13], -v[14:15]
	s_waitcnt vmcnt(0) lgkmcnt(0)
	v_mul_f64 v[22:23], s[12:13], v[7:8]
	v_mul_f64 v[7:8], s[14:15], v[7:8]
	v_fma_f64 v[22:23], s[14:15], v[5:6], v[22:23]
	v_fma_f64 v[5:6], s[12:13], v[5:6], -v[7:8]
	v_add_f64 v[7:8], v[20:21], v[22:23]
	v_add_f64 v[5:6], v[11:12], v[5:6]
	v_cndmask_b32_e32 v8, 0, v8, vcc
	v_cndmask_b32_e32 v7, 0, v7, vcc
	flat_store_dwordx4 v[9:10], v[5:8]
.LBB1842_16:
	s_or_b64 exec, exec, s[0:1]
	v_add_u32_e32 v3, 16, v4
	v_ashrrev_i32_e32 v1, 31, v3
	v_mul_lo_u32 v1, s18, v1
	v_mul_lo_u32 v7, s19, v3
	v_mad_u64_u32 v[5:6], s[0:1], s18, v3, 0
	v_cmp_gt_i32_e32 vcc, s28, v3
	v_add3_u32 v6, v6, v1, v7
	v_lshlrev_b64 v[5:6], 4, v[5:6]
	v_mov_b32_e32 v1, s17
	v_add_co_u32_e64 v5, s[0:1], s16, v5
	v_addc_co_u32_e64 v6, s[0:1], v1, v6, s[0:1]
	v_cmp_le_i32_e64 s[0:1], v0, v3
	s_and_b64 s[0:1], vcc, s[0:1]
	s_and_saveexec_b64 s[2:3], s[0:1]
	s_cbranch_execz .LBB1842_18
; %bb.17:
	v_ashrrev_i32_e32 v1, 31, v0
	v_lshlrev_b64 v[7:8], 4, v[0:1]
	v_mul_f64 v[13:14], s[22:23], v[18:19]
	v_add_co_u32_e64 v11, s[0:1], v5, v7
	v_addc_co_u32_e64 v12, s[0:1], v6, v8, s[0:1]
	flat_load_dwordx4 v[7:10], v[11:12]
	v_mul_f64 v[18:19], s[24:25], v[18:19]
	v_cmp_ne_u32_e64 s[0:1], v3, v0
	v_fma_f64 v[13:14], s[24:25], v[16:17], v[13:14]
	v_fma_f64 v[15:16], s[22:23], v[16:17], -v[18:19]
	s_waitcnt vmcnt(0) lgkmcnt(0)
	v_mul_f64 v[20:21], s[12:13], v[9:10]
	v_mul_f64 v[9:10], s[14:15], v[9:10]
	v_fma_f64 v[20:21], s[14:15], v[7:8], v[20:21]
	v_fma_f64 v[7:8], s[12:13], v[7:8], -v[9:10]
	v_add_f64 v[9:10], v[13:14], v[20:21]
	v_add_f64 v[7:8], v[15:16], v[7:8]
	v_cndmask_b32_e64 v10, 0, v10, s[0:1]
	v_cndmask_b32_e64 v9, 0, v9, s[0:1]
	flat_store_dwordx4 v[11:12], v[7:10]
.LBB1842_18:
	s_or_b64 exec, exec, s[2:3]
	v_cmp_le_i32_e64 s[0:1], v2, v3
	s_and_b64 s[0:1], vcc, s[0:1]
	s_and_saveexec_b64 s[2:3], s[0:1]
	s_cbranch_execz .LBB1842_20
; %bb.19:
	v_ashrrev_i32_e32 v3, 31, v2
	v_lshlrev_b64 v[1:2], 4, v[2:3]
	v_mul_f64 v[13:14], s[24:25], v[24:25]
	v_add_co_u32_e32 v9, vcc, v5, v1
	v_addc_co_u32_e32 v10, vcc, v6, v2, vcc
	flat_load_dwordx4 v[5:8], v[9:10]
	v_mul_f64 v[1:2], s[22:23], v[24:25]
	v_cmp_ne_u32_e32 vcc, v4, v0
	v_fma_f64 v[13:14], s[22:23], v[26:27], -v[13:14]
	v_fma_f64 v[1:2], s[24:25], v[26:27], v[1:2]
	s_waitcnt vmcnt(0) lgkmcnt(0)
	v_mul_f64 v[11:12], s[12:13], v[7:8]
	v_mul_f64 v[7:8], s[14:15], v[7:8]
	v_fma_f64 v[11:12], s[14:15], v[5:6], v[11:12]
	v_fma_f64 v[5:6], s[12:13], v[5:6], -v[7:8]
	v_add_f64 v[7:8], v[1:2], v[11:12]
	v_add_f64 v[1:2], v[13:14], v[5:6]
	v_cndmask_b32_e32 v4, 0, v8, vcc
	v_cndmask_b32_e32 v3, 0, v7, vcc
	flat_store_dwordx4 v[9:10], v[1:4]
.LBB1842_20:
	s_endpgm
	.section	.rodata,"a",@progbits
	.p2align	6, 0x0
	.amdhsa_kernel _ZL34rocblas_syrkx_herkx_general_kernelIl19rocblas_complex_numIdELi16ELi32ELi8ELb0ELb1ELc84ELc85EKPKS1_KPS1_EviT_T0_PT8_S7_lSA_S7_lS8_PT9_S7_li
		.amdhsa_group_segment_fixed_size 8192
		.amdhsa_private_segment_fixed_size 0
		.amdhsa_kernarg_size 124
		.amdhsa_user_sgpr_count 6
		.amdhsa_user_sgpr_private_segment_buffer 1
		.amdhsa_user_sgpr_dispatch_ptr 0
		.amdhsa_user_sgpr_queue_ptr 0
		.amdhsa_user_sgpr_kernarg_segment_ptr 1
		.amdhsa_user_sgpr_dispatch_id 0
		.amdhsa_user_sgpr_flat_scratch_init 0
		.amdhsa_user_sgpr_private_segment_size 0
		.amdhsa_uses_dynamic_stack 0
		.amdhsa_system_sgpr_private_segment_wavefront_offset 0
		.amdhsa_system_sgpr_workgroup_id_x 1
		.amdhsa_system_sgpr_workgroup_id_y 1
		.amdhsa_system_sgpr_workgroup_id_z 1
		.amdhsa_system_sgpr_workgroup_info 0
		.amdhsa_system_vgpr_workitem_id 1
		.amdhsa_next_free_vgpr 58
		.amdhsa_next_free_sgpr 61
		.amdhsa_reserve_vcc 1
		.amdhsa_reserve_flat_scratch 0
		.amdhsa_float_round_mode_32 0
		.amdhsa_float_round_mode_16_64 0
		.amdhsa_float_denorm_mode_32 3
		.amdhsa_float_denorm_mode_16_64 3
		.amdhsa_dx10_clamp 1
		.amdhsa_ieee_mode 1
		.amdhsa_fp16_overflow 0
		.amdhsa_exception_fp_ieee_invalid_op 0
		.amdhsa_exception_fp_denorm_src 0
		.amdhsa_exception_fp_ieee_div_zero 0
		.amdhsa_exception_fp_ieee_overflow 0
		.amdhsa_exception_fp_ieee_underflow 0
		.amdhsa_exception_fp_ieee_inexact 0
		.amdhsa_exception_int_div_zero 0
	.end_amdhsa_kernel
	.section	.text._ZL34rocblas_syrkx_herkx_general_kernelIl19rocblas_complex_numIdELi16ELi32ELi8ELb0ELb1ELc84ELc85EKPKS1_KPS1_EviT_T0_PT8_S7_lSA_S7_lS8_PT9_S7_li,"axG",@progbits,_ZL34rocblas_syrkx_herkx_general_kernelIl19rocblas_complex_numIdELi16ELi32ELi8ELb0ELb1ELc84ELc85EKPKS1_KPS1_EviT_T0_PT8_S7_lSA_S7_lS8_PT9_S7_li,comdat
.Lfunc_end1842:
	.size	_ZL34rocblas_syrkx_herkx_general_kernelIl19rocblas_complex_numIdELi16ELi32ELi8ELb0ELb1ELc84ELc85EKPKS1_KPS1_EviT_T0_PT8_S7_lSA_S7_lS8_PT9_S7_li, .Lfunc_end1842-_ZL34rocblas_syrkx_herkx_general_kernelIl19rocblas_complex_numIdELi16ELi32ELi8ELb0ELb1ELc84ELc85EKPKS1_KPS1_EviT_T0_PT8_S7_lSA_S7_lS8_PT9_S7_li
                                        ; -- End function
	.set _ZL34rocblas_syrkx_herkx_general_kernelIl19rocblas_complex_numIdELi16ELi32ELi8ELb0ELb1ELc84ELc85EKPKS1_KPS1_EviT_T0_PT8_S7_lSA_S7_lS8_PT9_S7_li.num_vgpr, 58
	.set _ZL34rocblas_syrkx_herkx_general_kernelIl19rocblas_complex_numIdELi16ELi32ELi8ELb0ELb1ELc84ELc85EKPKS1_KPS1_EviT_T0_PT8_S7_lSA_S7_lS8_PT9_S7_li.num_agpr, 0
	.set _ZL34rocblas_syrkx_herkx_general_kernelIl19rocblas_complex_numIdELi16ELi32ELi8ELb0ELb1ELc84ELc85EKPKS1_KPS1_EviT_T0_PT8_S7_lSA_S7_lS8_PT9_S7_li.numbered_sgpr, 31
	.set _ZL34rocblas_syrkx_herkx_general_kernelIl19rocblas_complex_numIdELi16ELi32ELi8ELb0ELb1ELc84ELc85EKPKS1_KPS1_EviT_T0_PT8_S7_lSA_S7_lS8_PT9_S7_li.num_named_barrier, 0
	.set _ZL34rocblas_syrkx_herkx_general_kernelIl19rocblas_complex_numIdELi16ELi32ELi8ELb0ELb1ELc84ELc85EKPKS1_KPS1_EviT_T0_PT8_S7_lSA_S7_lS8_PT9_S7_li.private_seg_size, 0
	.set _ZL34rocblas_syrkx_herkx_general_kernelIl19rocblas_complex_numIdELi16ELi32ELi8ELb0ELb1ELc84ELc85EKPKS1_KPS1_EviT_T0_PT8_S7_lSA_S7_lS8_PT9_S7_li.uses_vcc, 1
	.set _ZL34rocblas_syrkx_herkx_general_kernelIl19rocblas_complex_numIdELi16ELi32ELi8ELb0ELb1ELc84ELc85EKPKS1_KPS1_EviT_T0_PT8_S7_lSA_S7_lS8_PT9_S7_li.uses_flat_scratch, 0
	.set _ZL34rocblas_syrkx_herkx_general_kernelIl19rocblas_complex_numIdELi16ELi32ELi8ELb0ELb1ELc84ELc85EKPKS1_KPS1_EviT_T0_PT8_S7_lSA_S7_lS8_PT9_S7_li.has_dyn_sized_stack, 0
	.set _ZL34rocblas_syrkx_herkx_general_kernelIl19rocblas_complex_numIdELi16ELi32ELi8ELb0ELb1ELc84ELc85EKPKS1_KPS1_EviT_T0_PT8_S7_lSA_S7_lS8_PT9_S7_li.has_recursion, 0
	.set _ZL34rocblas_syrkx_herkx_general_kernelIl19rocblas_complex_numIdELi16ELi32ELi8ELb0ELb1ELc84ELc85EKPKS1_KPS1_EviT_T0_PT8_S7_lSA_S7_lS8_PT9_S7_li.has_indirect_call, 0
	.section	.AMDGPU.csdata,"",@progbits
; Kernel info:
; codeLenInByte = 3480
; TotalNumSgprs: 35
; NumVgprs: 58
; ScratchSize: 0
; MemoryBound: 0
; FloatMode: 240
; IeeeMode: 1
; LDSByteSize: 8192 bytes/workgroup (compile time only)
; SGPRBlocks: 8
; VGPRBlocks: 14
; NumSGPRsForWavesPerEU: 65
; NumVGPRsForWavesPerEU: 58
; Occupancy: 4
; WaveLimiterHint : 1
; COMPUTE_PGM_RSRC2:SCRATCH_EN: 0
; COMPUTE_PGM_RSRC2:USER_SGPR: 6
; COMPUTE_PGM_RSRC2:TRAP_HANDLER: 0
; COMPUTE_PGM_RSRC2:TGID_X_EN: 1
; COMPUTE_PGM_RSRC2:TGID_Y_EN: 1
; COMPUTE_PGM_RSRC2:TGID_Z_EN: 1
; COMPUTE_PGM_RSRC2:TIDIG_COMP_CNT: 1
	.section	.text._ZL34rocblas_syrkx_herkx_general_kernelIl19rocblas_complex_numIdELi16ELi32ELi8ELb0ELb1ELc67ELc85EKPKS1_KPS1_EviT_T0_PT8_S7_lSA_S7_lS8_PT9_S7_li,"axG",@progbits,_ZL34rocblas_syrkx_herkx_general_kernelIl19rocblas_complex_numIdELi16ELi32ELi8ELb0ELb1ELc67ELc85EKPKS1_KPS1_EviT_T0_PT8_S7_lSA_S7_lS8_PT9_S7_li,comdat
	.globl	_ZL34rocblas_syrkx_herkx_general_kernelIl19rocblas_complex_numIdELi16ELi32ELi8ELb0ELb1ELc67ELc85EKPKS1_KPS1_EviT_T0_PT8_S7_lSA_S7_lS8_PT9_S7_li ; -- Begin function _ZL34rocblas_syrkx_herkx_general_kernelIl19rocblas_complex_numIdELi16ELi32ELi8ELb0ELb1ELc67ELc85EKPKS1_KPS1_EviT_T0_PT8_S7_lSA_S7_lS8_PT9_S7_li
	.p2align	8
	.type	_ZL34rocblas_syrkx_herkx_general_kernelIl19rocblas_complex_numIdELi16ELi32ELi8ELb0ELb1ELc67ELc85EKPKS1_KPS1_EviT_T0_PT8_S7_lSA_S7_lS8_PT9_S7_li,@function
_ZL34rocblas_syrkx_herkx_general_kernelIl19rocblas_complex_numIdELi16ELi32ELi8ELb0ELb1ELc67ELc85EKPKS1_KPS1_EviT_T0_PT8_S7_lSA_S7_lS8_PT9_S7_li: ; @_ZL34rocblas_syrkx_herkx_general_kernelIl19rocblas_complex_numIdELi16ELi32ELi8ELb0ELb1ELc67ELc85EKPKS1_KPS1_EviT_T0_PT8_S7_lSA_S7_lS8_PT9_S7_li
; %bb.0:
	s_load_dword s28, s[4:5], 0x0
	s_load_dwordx8 s[12:19], s[4:5], 0x50
	s_load_dwordx8 s[20:27], s[4:5], 0x8
	s_load_dwordx2 s[2:3], s[4:5], 0x28
	s_mov_b32 s9, 0
	s_lshl_b64 s[0:1], s[8:9], 3
	s_waitcnt lgkmcnt(0)
	s_add_u32 s8, s16, s0
	s_addc_u32 s9, s17, s1
	s_load_dwordx2 s[16:17], s[8:9], 0x0
	v_cmp_lt_i64_e64 s[8:9], s[20:21], 1
	s_lshl_b32 s29, s6, 5
	s_lshl_b32 s30, s7, 5
	s_and_b64 vcc, exec, s[8:9]
	s_cbranch_vccnz .LBB1843_9
; %bb.1:
	s_load_dwordx4 s[8:11], s[4:5], 0x38
	v_lshl_add_u32 v2, v1, 4, v0
	v_and_b32_e32 v5, 31, v2
	v_or_b32_e32 v6, s29, v5
	v_and_b32_e32 v30, 7, v0
	s_waitcnt lgkmcnt(0)
	s_add_u32 s4, s8, s0
	s_addc_u32 s5, s9, s1
	s_add_u32 s0, s26, s0
	s_addc_u32 s1, s27, s1
	v_lshrrev_b32_e32 v3, 3, v2
	v_lshrrev_b32_e32 v29, 5, v2
	s_load_dwordx2 s[6:7], s[0:1], 0x0
	v_cmp_gt_i32_e64 s[0:1], s28, v6
	v_lshlrev_b32_e32 v2, 4, v5
	v_lshlrev_b32_e32 v6, 4, v30
	v_lshl_or_b32 v31, v29, 9, v2
	v_lshl_or_b32 v2, v3, 7, v6
	v_add_u32_e32 v32, 0x1000, v2
	v_add_u32_e32 v2, s29, v5
	;; [unrolled: 1-line block ×3, first 2 shown]
	v_ashrrev_i32_e32 v3, 31, v2
	v_mul_lo_u32 v5, s2, v3
	v_mul_lo_u32 v8, s3, v2
	v_mad_u64_u32 v[2:3], s[2:3], s2, v2, 0
	v_ashrrev_i32_e32 v7, 31, v4
	v_mul_lo_u32 v10, s10, v7
	v_add3_u32 v3, v3, v5, v8
	v_lshlrev_b64 v[2:3], 4, v[2:3]
	v_lshlrev_b32_e32 v5, 4, v29
	v_add_co_u32_e64 v5, s[2:3], v2, v5
	v_addc_co_u32_e64 v8, s[2:3], 0, v3, s[2:3]
	v_mul_lo_u32 v11, s11, v4
	v_mad_u64_u32 v[2:3], s[2:3], s10, v4, 0
	s_load_dwordx2 s[4:5], s[4:5], 0x0
	v_mov_b32_e32 v9, 0x1000
	v_add3_u32 v3, v3, v10, v11
	v_lshl_add_u32 v34, v1, 7, v9
	s_waitcnt lgkmcnt(0)
	v_mov_b32_e32 v9, s7
	v_add_co_u32_e64 v7, s[2:3], s6, v5
	v_lshlrev_b64 v[2:3], 4, v[2:3]
	v_addc_co_u32_e64 v8, s[2:3], v9, v8, s[2:3]
	v_add_co_u32_e64 v2, s[2:3], v2, v6
	v_addc_co_u32_e64 v3, s[2:3], 0, v3, s[2:3]
	v_cmp_gt_i32_e32 vcc, s28, v4
	v_mov_b32_e32 v4, s5
	v_add_co_u32_e64 v9, s[2:3], s4, v2
	v_addc_co_u32_e64 v10, s[2:3], v4, v3, s[2:3]
	v_mov_b32_e32 v25, 0
	v_mov_b32_e32 v11, s20
	;; [unrolled: 1-line block ×9, first 2 shown]
	v_lshlrev_b32_e32 v33, 4, v0
	s_mov_b64 s[2:3], 0
	v_mov_b32_e32 v26, 0
	s_xor_b64 s[4:5], vcc, -1
	v_mov_b32_e32 v12, s21
	v_mov_b32_e32 v28, 0
	;; [unrolled: 1-line block ×9, first 2 shown]
	s_branch .LBB1843_3
.LBB1843_2:                             ;   in Loop: Header=BB1843_3 Depth=1
	s_or_b64 exec, exec, s[6:7]
	s_waitcnt lgkmcnt(0)
	s_barrier
	ds_read_b128 v[3:6], v34
	ds_read_b128 v[35:38], v34 offset:16
	ds_read_b128 v[39:42], v34 offset:32
	ds_read_b128 v[43:46], v34 offset:48
	ds_read_b128 v[47:50], v33
	v_add_co_u32_e32 v7, vcc, 0x80, v7
	v_addc_co_u32_e32 v8, vcc, 0, v8, vcc
	s_waitcnt lgkmcnt(0)
	v_mul_f64 v[51:52], v[5:6], v[49:50]
	v_mul_f64 v[53:54], v[3:4], v[49:50]
	s_add_u32 s2, s2, 8
	v_add_co_u32_e32 v9, vcc, 0x80, v9
	s_addc_u32 s3, s3, 0
	v_addc_co_u32_e32 v10, vcc, 0, v10, vcc
	v_fma_f64 v[51:52], v[3:4], v[47:48], -v[51:52]
	v_fma_f64 v[53:54], v[5:6], v[47:48], v[53:54]
	v_cmp_ge_i64_e32 vcc, s[2:3], v[11:12]
	s_and_b64 vcc, exec, vcc
	v_add_f64 v[51:52], v[21:22], v[51:52]
	v_add_f64 v[53:54], v[53:54], v[23:24]
	ds_read_b128 v[21:24], v33 offset:256
	s_waitcnt lgkmcnt(0)
	v_mul_f64 v[55:56], v[5:6], v[23:24]
	v_fma_f64 v[55:56], v[3:4], v[21:22], -v[55:56]
	v_mul_f64 v[3:4], v[3:4], v[23:24]
	v_add_f64 v[55:56], v[13:14], v[55:56]
	v_fma_f64 v[3:4], v[5:6], v[21:22], v[3:4]
	v_add_f64 v[57:58], v[3:4], v[15:16]
	ds_read_b128 v[3:6], v34 offset:2048
	s_waitcnt lgkmcnt(0)
	v_mul_f64 v[13:14], v[5:6], v[49:50]
	v_mul_f64 v[15:16], v[3:4], v[49:50]
	v_fma_f64 v[13:14], v[3:4], v[47:48], -v[13:14]
	v_fma_f64 v[15:16], v[5:6], v[47:48], v[15:16]
	v_add_f64 v[47:48], v[17:18], v[13:14]
	v_mul_f64 v[13:14], v[5:6], v[23:24]
	v_add_f64 v[49:50], v[15:16], v[19:20]
	v_fma_f64 v[13:14], v[3:4], v[21:22], -v[13:14]
	v_mul_f64 v[3:4], v[3:4], v[23:24]
	v_fma_f64 v[3:4], v[5:6], v[21:22], v[3:4]
	v_add_f64 v[21:22], v[27:28], v[13:14]
	v_add_f64 v[23:24], v[3:4], v[25:26]
	ds_read_b128 v[3:6], v33 offset:512
	s_waitcnt lgkmcnt(0)
	v_mul_f64 v[13:14], v[37:38], v[5:6]
	v_mul_f64 v[15:16], v[35:36], v[5:6]
	v_fma_f64 v[13:14], v[35:36], v[3:4], -v[13:14]
	v_fma_f64 v[15:16], v[37:38], v[3:4], v[15:16]
	v_add_f64 v[25:26], v[51:52], v[13:14]
	v_add_f64 v[27:28], v[15:16], v[53:54]
	ds_read_b128 v[13:16], v33 offset:768
	s_waitcnt lgkmcnt(0)
	v_mul_f64 v[17:18], v[37:38], v[15:16]
	v_mul_f64 v[19:20], v[35:36], v[15:16]
	v_fma_f64 v[17:18], v[35:36], v[13:14], -v[17:18]
	;; [unrolled: 8-line block ×3, first 2 shown]
	v_fma_f64 v[3:4], v[19:20], v[3:4], v[5:6]
	v_mul_f64 v[5:6], v[17:18], v[15:16]
	v_add_f64 v[47:48], v[47:48], v[51:52]
	v_add_f64 v[49:50], v[3:4], v[49:50]
	v_mul_f64 v[3:4], v[19:20], v[15:16]
	v_fma_f64 v[5:6], v[19:20], v[13:14], v[5:6]
	v_fma_f64 v[3:4], v[17:18], v[13:14], -v[3:4]
	v_add_f64 v[23:24], v[5:6], v[23:24]
	v_add_f64 v[21:22], v[21:22], v[3:4]
	ds_read_b128 v[3:6], v33 offset:1024
	s_waitcnt lgkmcnt(0)
	v_mul_f64 v[13:14], v[41:42], v[5:6]
	v_mul_f64 v[15:16], v[39:40], v[5:6]
	v_fma_f64 v[13:14], v[39:40], v[3:4], -v[13:14]
	v_fma_f64 v[15:16], v[41:42], v[3:4], v[15:16]
	v_add_f64 v[25:26], v[25:26], v[13:14]
	v_add_f64 v[27:28], v[15:16], v[27:28]
	ds_read_b128 v[13:16], v33 offset:1280
	s_waitcnt lgkmcnt(0)
	v_mul_f64 v[17:18], v[41:42], v[15:16]
	v_mul_f64 v[19:20], v[39:40], v[15:16]
	v_fma_f64 v[17:18], v[39:40], v[13:14], -v[17:18]
	v_fma_f64 v[19:20], v[41:42], v[13:14], v[19:20]
	;; [unrolled: 8-line block ×3, first 2 shown]
	v_mul_f64 v[5:6], v[17:18], v[15:16]
	v_add_f64 v[39:40], v[47:48], v[39:40]
	v_add_f64 v[41:42], v[3:4], v[49:50]
	v_mul_f64 v[3:4], v[19:20], v[15:16]
	v_fma_f64 v[5:6], v[19:20], v[13:14], v[5:6]
	v_fma_f64 v[3:4], v[17:18], v[13:14], -v[3:4]
	v_add_f64 v[23:24], v[5:6], v[23:24]
	v_add_f64 v[21:22], v[21:22], v[3:4]
	ds_read_b128 v[3:6], v33 offset:1536
	s_waitcnt lgkmcnt(0)
	v_mul_f64 v[13:14], v[45:46], v[5:6]
	v_mul_f64 v[15:16], v[43:44], v[5:6]
	v_fma_f64 v[13:14], v[43:44], v[3:4], -v[13:14]
	v_fma_f64 v[15:16], v[45:46], v[3:4], v[15:16]
	v_add_f64 v[25:26], v[25:26], v[13:14]
	v_add_f64 v[27:28], v[15:16], v[27:28]
	ds_read_b128 v[13:16], v33 offset:1792
	s_waitcnt lgkmcnt(0)
	v_mul_f64 v[17:18], v[45:46], v[15:16]
	v_mul_f64 v[19:20], v[43:44], v[15:16]
	v_fma_f64 v[17:18], v[43:44], v[13:14], -v[17:18]
	v_fma_f64 v[19:20], v[45:46], v[13:14], v[19:20]
	;; [unrolled: 8-line block ×3, first 2 shown]
	v_mul_f64 v[5:6], v[17:18], v[15:16]
	v_add_f64 v[39:40], v[39:40], v[43:44]
	v_add_f64 v[41:42], v[3:4], v[41:42]
	v_mul_f64 v[3:4], v[19:20], v[15:16]
	v_fma_f64 v[5:6], v[19:20], v[13:14], v[5:6]
	v_fma_f64 v[3:4], v[17:18], v[13:14], -v[3:4]
	v_add_f64 v[23:24], v[5:6], v[23:24]
	v_add_f64 v[21:22], v[21:22], v[3:4]
	ds_read_b128 v[3:6], v34 offset:64
	ds_read_b128 v[13:16], v33 offset:2048
	s_waitcnt lgkmcnt(0)
	v_mul_f64 v[17:18], v[5:6], v[15:16]
	v_mul_f64 v[19:20], v[3:4], v[15:16]
	v_fma_f64 v[17:18], v[3:4], v[13:14], -v[17:18]
	v_fma_f64 v[19:20], v[5:6], v[13:14], v[19:20]
	v_add_f64 v[25:26], v[25:26], v[17:18]
	v_add_f64 v[27:28], v[19:20], v[27:28]
	ds_read_b128 v[17:20], v33 offset:2304
	s_waitcnt lgkmcnt(0)
	v_mul_f64 v[43:44], v[5:6], v[19:20]
	v_fma_f64 v[43:44], v[3:4], v[17:18], -v[43:44]
	v_mul_f64 v[3:4], v[3:4], v[19:20]
	v_add_f64 v[35:36], v[35:36], v[43:44]
	v_fma_f64 v[3:4], v[5:6], v[17:18], v[3:4]
	v_add_f64 v[37:38], v[3:4], v[37:38]
	ds_read_b128 v[3:6], v34 offset:2112
	s_waitcnt lgkmcnt(0)
	v_mul_f64 v[43:44], v[5:6], v[15:16]
	v_mul_f64 v[15:16], v[3:4], v[15:16]
	v_fma_f64 v[43:44], v[3:4], v[13:14], -v[43:44]
	v_fma_f64 v[13:14], v[5:6], v[13:14], v[15:16]
	v_add_f64 v[39:40], v[39:40], v[43:44]
	v_add_f64 v[41:42], v[13:14], v[41:42]
	v_mul_f64 v[13:14], v[5:6], v[19:20]
	v_fma_f64 v[13:14], v[3:4], v[17:18], -v[13:14]
	v_mul_f64 v[3:4], v[3:4], v[19:20]
	v_add_f64 v[21:22], v[21:22], v[13:14]
	v_fma_f64 v[3:4], v[5:6], v[17:18], v[3:4]
	v_add_f64 v[23:24], v[3:4], v[23:24]
	ds_read_b128 v[3:6], v34 offset:80
	ds_read_b128 v[13:16], v33 offset:2560
	s_waitcnt lgkmcnt(0)
	v_mul_f64 v[17:18], v[5:6], v[15:16]
	v_mul_f64 v[19:20], v[3:4], v[15:16]
	v_fma_f64 v[17:18], v[3:4], v[13:14], -v[17:18]
	v_fma_f64 v[19:20], v[5:6], v[13:14], v[19:20]
	v_add_f64 v[25:26], v[25:26], v[17:18]
	v_add_f64 v[27:28], v[19:20], v[27:28]
	ds_read_b128 v[17:20], v33 offset:2816
	s_waitcnt lgkmcnt(0)
	v_mul_f64 v[43:44], v[5:6], v[19:20]
	v_fma_f64 v[43:44], v[3:4], v[17:18], -v[43:44]
	v_mul_f64 v[3:4], v[3:4], v[19:20]
	v_add_f64 v[35:36], v[35:36], v[43:44]
	v_fma_f64 v[3:4], v[5:6], v[17:18], v[3:4]
	v_add_f64 v[37:38], v[3:4], v[37:38]
	ds_read_b128 v[3:6], v34 offset:2128
	s_waitcnt lgkmcnt(0)
	v_mul_f64 v[43:44], v[5:6], v[15:16]
	v_mul_f64 v[15:16], v[3:4], v[15:16]
	v_fma_f64 v[43:44], v[3:4], v[13:14], -v[43:44]
	v_fma_f64 v[13:14], v[5:6], v[13:14], v[15:16]
	v_add_f64 v[39:40], v[39:40], v[43:44]
	v_add_f64 v[41:42], v[13:14], v[41:42]
	v_mul_f64 v[13:14], v[5:6], v[19:20]
	v_fma_f64 v[13:14], v[3:4], v[17:18], -v[13:14]
	v_mul_f64 v[3:4], v[3:4], v[19:20]
	v_add_f64 v[21:22], v[21:22], v[13:14]
	v_fma_f64 v[3:4], v[5:6], v[17:18], v[3:4]
	;; [unrolled: 31-line block ×3, first 2 shown]
	v_add_f64 v[45:46], v[3:4], v[23:24]
	ds_read_b128 v[3:6], v34 offset:112
	ds_read_b128 v[17:20], v33 offset:3584
	s_waitcnt lgkmcnt(0)
	v_mul_f64 v[13:14], v[5:6], v[19:20]
	v_mul_f64 v[15:16], v[3:4], v[19:20]
	v_fma_f64 v[13:14], v[3:4], v[17:18], -v[13:14]
	v_fma_f64 v[15:16], v[5:6], v[17:18], v[15:16]
	v_add_f64 v[21:22], v[25:26], v[13:14]
	v_add_f64 v[23:24], v[15:16], v[27:28]
	ds_read_b128 v[25:28], v33 offset:3840
	s_waitcnt lgkmcnt(0)
	v_mul_f64 v[13:14], v[5:6], v[27:28]
	v_fma_f64 v[13:14], v[3:4], v[25:26], -v[13:14]
	v_mul_f64 v[3:4], v[3:4], v[27:28]
	v_add_f64 v[13:14], v[35:36], v[13:14]
	v_fma_f64 v[3:4], v[5:6], v[25:26], v[3:4]
	v_add_f64 v[15:16], v[3:4], v[37:38]
	ds_read_b128 v[3:6], v34 offset:2160
	s_waitcnt lgkmcnt(0)
	s_barrier
	v_mul_f64 v[35:36], v[5:6], v[19:20]
	v_mul_f64 v[19:20], v[3:4], v[19:20]
	v_fma_f64 v[35:36], v[3:4], v[17:18], -v[35:36]
	v_fma_f64 v[19:20], v[5:6], v[17:18], v[19:20]
	v_add_f64 v[17:18], v[39:40], v[35:36]
	v_mul_f64 v[35:36], v[5:6], v[27:28]
	v_add_f64 v[19:20], v[19:20], v[41:42]
	v_fma_f64 v[35:36], v[3:4], v[25:26], -v[35:36]
	v_mul_f64 v[3:4], v[3:4], v[27:28]
	v_add_f64 v[27:28], v[43:44], v[35:36]
	v_fma_f64 v[3:4], v[5:6], v[25:26], v[3:4]
	v_add_f64 v[25:26], v[3:4], v[45:46]
	s_cbranch_vccnz .LBB1843_10
.LBB1843_3:                             ; =>This Inner Loop Header: Depth=1
	v_mov_b32_e32 v4, s3
	v_add_co_u32_e32 v3, vcc, s2, v29
	v_addc_co_u32_e32 v4, vcc, 0, v4, vcc
	v_cmp_gt_i64_e32 vcc, s[20:21], v[3:4]
	v_mov_b32_e32 v3, 0
	v_mov_b32_e32 v5, 0
	;; [unrolled: 1-line block ×4, first 2 shown]
	s_and_b64 s[8:9], s[0:1], vcc
	s_and_saveexec_b64 s[6:7], s[8:9]
	s_cbranch_execz .LBB1843_5
; %bb.4:                                ;   in Loop: Header=BB1843_3 Depth=1
	flat_load_dwordx4 v[3:6], v[7:8]
	s_waitcnt vmcnt(0) lgkmcnt(0)
	v_xor_b32_e32 v6, 0x80000000, v6
.LBB1843_5:                             ;   in Loop: Header=BB1843_3 Depth=1
	s_or_b64 exec, exec, s[6:7]
	v_mov_b32_e32 v36, s3
	v_add_co_u32_e32 v35, vcc, s2, v30
	v_addc_co_u32_e32 v36, vcc, 0, v36, vcc
	v_cmp_le_i64_e32 vcc, s[20:21], v[35:36]
	ds_write_b128 v31, v[3:6]
	s_or_b64 s[6:7], vcc, s[4:5]
	s_and_saveexec_b64 s[8:9], s[6:7]
	s_xor_b64 s[6:7], exec, s[8:9]
; %bb.6:                                ;   in Loop: Header=BB1843_3 Depth=1
	v_mov_b32_e32 v3, v2
	v_mov_b32_e32 v4, v2
	;; [unrolled: 1-line block ×3, first 2 shown]
	ds_write_b128 v32, v[2:5]
; %bb.7:                                ;   in Loop: Header=BB1843_3 Depth=1
	s_andn2_saveexec_b64 s[6:7], s[6:7]
	s_cbranch_execz .LBB1843_2
; %bb.8:                                ;   in Loop: Header=BB1843_3 Depth=1
	flat_load_dwordx4 v[3:6], v[9:10]
	s_waitcnt vmcnt(0) lgkmcnt(0)
	ds_write2_b64 v32, v[3:4], v[5:6] offset1:1
	s_branch .LBB1843_2
.LBB1843_9:
	v_mov_b32_e32 v21, 0
	v_mov_b32_e32 v23, 0
	;; [unrolled: 1-line block ×16, first 2 shown]
.LBB1843_10:
	v_add_u32_e32 v4, s30, v1
	v_ashrrev_i32_e32 v1, 31, v4
	v_mul_lo_u32 v3, s18, v1
	v_mul_lo_u32 v5, s19, v4
	v_mad_u64_u32 v[1:2], s[0:1], s18, v4, 0
	v_add_u32_e32 v0, s29, v0
	v_cmp_gt_i32_e32 vcc, s28, v4
	v_add3_u32 v2, v2, v3, v5
	v_lshlrev_b64 v[1:2], 4, v[1:2]
	s_waitcnt lgkmcnt(0)
	v_mov_b32_e32 v3, s17
	v_add_co_u32_e64 v5, s[0:1], s16, v1
	v_addc_co_u32_e64 v6, s[0:1], v3, v2, s[0:1]
	v_cmp_le_i32_e64 s[0:1], v0, v4
	s_and_b64 s[0:1], vcc, s[0:1]
	s_and_saveexec_b64 s[2:3], s[0:1]
	s_cbranch_execz .LBB1843_12
; %bb.11:
	v_ashrrev_i32_e32 v1, 31, v0
	v_lshlrev_b64 v[1:2], 4, v[0:1]
	v_mul_f64 v[11:12], s[22:23], v[23:24]
	v_add_co_u32_e64 v1, s[0:1], v5, v1
	v_addc_co_u32_e64 v2, s[0:1], v6, v2, s[0:1]
	flat_load_dwordx4 v[7:10], v[1:2]
	v_mul_f64 v[23:24], s[24:25], v[23:24]
	v_cmp_ne_u32_e64 s[0:1], v4, v0
	v_fma_f64 v[11:12], s[24:25], v[21:22], v[11:12]
	v_fma_f64 v[21:22], s[22:23], v[21:22], -v[23:24]
	s_waitcnt vmcnt(0) lgkmcnt(0)
	v_mul_f64 v[29:30], s[12:13], v[9:10]
	v_mul_f64 v[9:10], s[14:15], v[9:10]
	v_fma_f64 v[29:30], s[14:15], v[7:8], v[29:30]
	v_fma_f64 v[7:8], s[12:13], v[7:8], -v[9:10]
	v_add_f64 v[9:10], v[11:12], v[29:30]
	v_add_f64 v[7:8], v[21:22], v[7:8]
	v_cndmask_b32_e64 v10, 0, v10, s[0:1]
	v_cndmask_b32_e64 v9, 0, v9, s[0:1]
	flat_store_dwordx4 v[1:2], v[7:10]
.LBB1843_12:
	s_or_b64 exec, exec, s[2:3]
	v_add_u32_e32 v2, 16, v0
	v_cmp_le_i32_e64 s[0:1], v2, v4
	s_and_b64 s[2:3], vcc, s[0:1]
	s_and_saveexec_b64 s[0:1], s[2:3]
	s_cbranch_execz .LBB1843_14
; %bb.13:
	v_ashrrev_i32_e32 v3, 31, v2
	v_lshlrev_b64 v[7:8], 4, v[2:3]
	v_mul_f64 v[11:12], s[22:23], v[15:16]
	v_add_co_u32_e32 v9, vcc, v5, v7
	v_addc_co_u32_e32 v10, vcc, v6, v8, vcc
	flat_load_dwordx4 v[5:8], v[9:10]
	v_mul_f64 v[15:16], s[24:25], v[15:16]
	v_cmp_ne_u32_e32 vcc, v4, v2
	v_fma_f64 v[11:12], s[24:25], v[13:14], v[11:12]
	v_fma_f64 v[13:14], s[22:23], v[13:14], -v[15:16]
	s_waitcnt vmcnt(0) lgkmcnt(0)
	v_mul_f64 v[21:22], s[12:13], v[7:8]
	v_mul_f64 v[7:8], s[14:15], v[7:8]
	v_fma_f64 v[21:22], s[14:15], v[5:6], v[21:22]
	v_fma_f64 v[5:6], s[12:13], v[5:6], -v[7:8]
	v_add_f64 v[7:8], v[11:12], v[21:22]
	v_add_f64 v[5:6], v[13:14], v[5:6]
	v_cndmask_b32_e32 v8, 0, v8, vcc
	v_cndmask_b32_e32 v7, 0, v7, vcc
	flat_store_dwordx4 v[9:10], v[5:8]
.LBB1843_14:
	s_or_b64 exec, exec, s[0:1]
	v_add_u32_e32 v3, 16, v4
	v_ashrrev_i32_e32 v1, 31, v3
	v_mul_lo_u32 v1, s18, v1
	v_mul_lo_u32 v7, s19, v3
	v_mad_u64_u32 v[5:6], s[0:1], s18, v3, 0
	v_cmp_gt_i32_e32 vcc, s28, v3
	v_add3_u32 v6, v6, v1, v7
	v_lshlrev_b64 v[5:6], 4, v[5:6]
	v_mov_b32_e32 v1, s17
	v_add_co_u32_e64 v5, s[0:1], s16, v5
	v_addc_co_u32_e64 v6, s[0:1], v1, v6, s[0:1]
	v_cmp_le_i32_e64 s[0:1], v0, v3
	s_and_b64 s[0:1], vcc, s[0:1]
	s_and_saveexec_b64 s[2:3], s[0:1]
	s_cbranch_execz .LBB1843_16
; %bb.15:
	v_ashrrev_i32_e32 v1, 31, v0
	v_lshlrev_b64 v[7:8], 4, v[0:1]
	v_mul_f64 v[13:14], s[22:23], v[19:20]
	v_add_co_u32_e64 v11, s[0:1], v5, v7
	v_addc_co_u32_e64 v12, s[0:1], v6, v8, s[0:1]
	flat_load_dwordx4 v[7:10], v[11:12]
	v_mul_f64 v[19:20], s[24:25], v[19:20]
	v_cmp_ne_u32_e64 s[0:1], v3, v0
	v_fma_f64 v[13:14], s[24:25], v[17:18], v[13:14]
	v_fma_f64 v[17:18], s[22:23], v[17:18], -v[19:20]
	s_waitcnt vmcnt(0) lgkmcnt(0)
	v_mul_f64 v[15:16], s[12:13], v[9:10]
	v_mul_f64 v[9:10], s[14:15], v[9:10]
	v_fma_f64 v[15:16], s[14:15], v[7:8], v[15:16]
	v_fma_f64 v[7:8], s[12:13], v[7:8], -v[9:10]
	v_add_f64 v[9:10], v[13:14], v[15:16]
	v_add_f64 v[7:8], v[17:18], v[7:8]
	v_cndmask_b32_e64 v10, 0, v10, s[0:1]
	v_cndmask_b32_e64 v9, 0, v9, s[0:1]
	flat_store_dwordx4 v[11:12], v[7:10]
.LBB1843_16:
	s_or_b64 exec, exec, s[2:3]
	v_cmp_le_i32_e64 s[0:1], v2, v3
	s_and_b64 s[0:1], vcc, s[0:1]
	s_and_saveexec_b64 s[2:3], s[0:1]
	s_cbranch_execz .LBB1843_18
; %bb.17:
	v_ashrrev_i32_e32 v3, 31, v2
	v_lshlrev_b64 v[1:2], 4, v[2:3]
	v_mul_f64 v[13:14], s[24:25], v[25:26]
	v_add_co_u32_e32 v9, vcc, v5, v1
	v_addc_co_u32_e32 v10, vcc, v6, v2, vcc
	flat_load_dwordx4 v[5:8], v[9:10]
	v_mul_f64 v[1:2], s[22:23], v[25:26]
	v_cmp_ne_u32_e32 vcc, v4, v0
	v_fma_f64 v[13:14], s[22:23], v[27:28], -v[13:14]
	v_fma_f64 v[1:2], s[24:25], v[27:28], v[1:2]
	s_waitcnt vmcnt(0) lgkmcnt(0)
	v_mul_f64 v[11:12], s[12:13], v[7:8]
	v_mul_f64 v[7:8], s[14:15], v[7:8]
	v_fma_f64 v[11:12], s[14:15], v[5:6], v[11:12]
	v_fma_f64 v[5:6], s[12:13], v[5:6], -v[7:8]
	v_add_f64 v[7:8], v[1:2], v[11:12]
	v_add_f64 v[1:2], v[13:14], v[5:6]
	v_cndmask_b32_e32 v4, 0, v8, vcc
	v_cndmask_b32_e32 v3, 0, v7, vcc
	flat_store_dwordx4 v[9:10], v[1:4]
.LBB1843_18:
	s_endpgm
	.section	.rodata,"a",@progbits
	.p2align	6, 0x0
	.amdhsa_kernel _ZL34rocblas_syrkx_herkx_general_kernelIl19rocblas_complex_numIdELi16ELi32ELi8ELb0ELb1ELc67ELc85EKPKS1_KPS1_EviT_T0_PT8_S7_lSA_S7_lS8_PT9_S7_li
		.amdhsa_group_segment_fixed_size 8192
		.amdhsa_private_segment_fixed_size 0
		.amdhsa_kernarg_size 124
		.amdhsa_user_sgpr_count 6
		.amdhsa_user_sgpr_private_segment_buffer 1
		.amdhsa_user_sgpr_dispatch_ptr 0
		.amdhsa_user_sgpr_queue_ptr 0
		.amdhsa_user_sgpr_kernarg_segment_ptr 1
		.amdhsa_user_sgpr_dispatch_id 0
		.amdhsa_user_sgpr_flat_scratch_init 0
		.amdhsa_user_sgpr_private_segment_size 0
		.amdhsa_uses_dynamic_stack 0
		.amdhsa_system_sgpr_private_segment_wavefront_offset 0
		.amdhsa_system_sgpr_workgroup_id_x 1
		.amdhsa_system_sgpr_workgroup_id_y 1
		.amdhsa_system_sgpr_workgroup_id_z 1
		.amdhsa_system_sgpr_workgroup_info 0
		.amdhsa_system_vgpr_workitem_id 1
		.amdhsa_next_free_vgpr 59
		.amdhsa_next_free_sgpr 61
		.amdhsa_reserve_vcc 1
		.amdhsa_reserve_flat_scratch 0
		.amdhsa_float_round_mode_32 0
		.amdhsa_float_round_mode_16_64 0
		.amdhsa_float_denorm_mode_32 3
		.amdhsa_float_denorm_mode_16_64 3
		.amdhsa_dx10_clamp 1
		.amdhsa_ieee_mode 1
		.amdhsa_fp16_overflow 0
		.amdhsa_exception_fp_ieee_invalid_op 0
		.amdhsa_exception_fp_denorm_src 0
		.amdhsa_exception_fp_ieee_div_zero 0
		.amdhsa_exception_fp_ieee_overflow 0
		.amdhsa_exception_fp_ieee_underflow 0
		.amdhsa_exception_fp_ieee_inexact 0
		.amdhsa_exception_int_div_zero 0
	.end_amdhsa_kernel
	.section	.text._ZL34rocblas_syrkx_herkx_general_kernelIl19rocblas_complex_numIdELi16ELi32ELi8ELb0ELb1ELc67ELc85EKPKS1_KPS1_EviT_T0_PT8_S7_lSA_S7_lS8_PT9_S7_li,"axG",@progbits,_ZL34rocblas_syrkx_herkx_general_kernelIl19rocblas_complex_numIdELi16ELi32ELi8ELb0ELb1ELc67ELc85EKPKS1_KPS1_EviT_T0_PT8_S7_lSA_S7_lS8_PT9_S7_li,comdat
.Lfunc_end1843:
	.size	_ZL34rocblas_syrkx_herkx_general_kernelIl19rocblas_complex_numIdELi16ELi32ELi8ELb0ELb1ELc67ELc85EKPKS1_KPS1_EviT_T0_PT8_S7_lSA_S7_lS8_PT9_S7_li, .Lfunc_end1843-_ZL34rocblas_syrkx_herkx_general_kernelIl19rocblas_complex_numIdELi16ELi32ELi8ELb0ELb1ELc67ELc85EKPKS1_KPS1_EviT_T0_PT8_S7_lSA_S7_lS8_PT9_S7_li
                                        ; -- End function
	.set _ZL34rocblas_syrkx_herkx_general_kernelIl19rocblas_complex_numIdELi16ELi32ELi8ELb0ELb1ELc67ELc85EKPKS1_KPS1_EviT_T0_PT8_S7_lSA_S7_lS8_PT9_S7_li.num_vgpr, 59
	.set _ZL34rocblas_syrkx_herkx_general_kernelIl19rocblas_complex_numIdELi16ELi32ELi8ELb0ELb1ELc67ELc85EKPKS1_KPS1_EviT_T0_PT8_S7_lSA_S7_lS8_PT9_S7_li.num_agpr, 0
	.set _ZL34rocblas_syrkx_herkx_general_kernelIl19rocblas_complex_numIdELi16ELi32ELi8ELb0ELb1ELc67ELc85EKPKS1_KPS1_EviT_T0_PT8_S7_lSA_S7_lS8_PT9_S7_li.numbered_sgpr, 31
	.set _ZL34rocblas_syrkx_herkx_general_kernelIl19rocblas_complex_numIdELi16ELi32ELi8ELb0ELb1ELc67ELc85EKPKS1_KPS1_EviT_T0_PT8_S7_lSA_S7_lS8_PT9_S7_li.num_named_barrier, 0
	.set _ZL34rocblas_syrkx_herkx_general_kernelIl19rocblas_complex_numIdELi16ELi32ELi8ELb0ELb1ELc67ELc85EKPKS1_KPS1_EviT_T0_PT8_S7_lSA_S7_lS8_PT9_S7_li.private_seg_size, 0
	.set _ZL34rocblas_syrkx_herkx_general_kernelIl19rocblas_complex_numIdELi16ELi32ELi8ELb0ELb1ELc67ELc85EKPKS1_KPS1_EviT_T0_PT8_S7_lSA_S7_lS8_PT9_S7_li.uses_vcc, 1
	.set _ZL34rocblas_syrkx_herkx_general_kernelIl19rocblas_complex_numIdELi16ELi32ELi8ELb0ELb1ELc67ELc85EKPKS1_KPS1_EviT_T0_PT8_S7_lSA_S7_lS8_PT9_S7_li.uses_flat_scratch, 0
	.set _ZL34rocblas_syrkx_herkx_general_kernelIl19rocblas_complex_numIdELi16ELi32ELi8ELb0ELb1ELc67ELc85EKPKS1_KPS1_EviT_T0_PT8_S7_lSA_S7_lS8_PT9_S7_li.has_dyn_sized_stack, 0
	.set _ZL34rocblas_syrkx_herkx_general_kernelIl19rocblas_complex_numIdELi16ELi32ELi8ELb0ELb1ELc67ELc85EKPKS1_KPS1_EviT_T0_PT8_S7_lSA_S7_lS8_PT9_S7_li.has_recursion, 0
	.set _ZL34rocblas_syrkx_herkx_general_kernelIl19rocblas_complex_numIdELi16ELi32ELi8ELb0ELb1ELc67ELc85EKPKS1_KPS1_EviT_T0_PT8_S7_lSA_S7_lS8_PT9_S7_li.has_indirect_call, 0
	.section	.AMDGPU.csdata,"",@progbits
; Kernel info:
; codeLenInByte = 3472
; TotalNumSgprs: 35
; NumVgprs: 59
; ScratchSize: 0
; MemoryBound: 1
; FloatMode: 240
; IeeeMode: 1
; LDSByteSize: 8192 bytes/workgroup (compile time only)
; SGPRBlocks: 8
; VGPRBlocks: 14
; NumSGPRsForWavesPerEU: 65
; NumVGPRsForWavesPerEU: 59
; Occupancy: 4
; WaveLimiterHint : 1
; COMPUTE_PGM_RSRC2:SCRATCH_EN: 0
; COMPUTE_PGM_RSRC2:USER_SGPR: 6
; COMPUTE_PGM_RSRC2:TRAP_HANDLER: 0
; COMPUTE_PGM_RSRC2:TGID_X_EN: 1
; COMPUTE_PGM_RSRC2:TGID_Y_EN: 1
; COMPUTE_PGM_RSRC2:TGID_Z_EN: 1
; COMPUTE_PGM_RSRC2:TIDIG_COMP_CNT: 1
	.section	.text._ZL34rocblas_syrkx_herkx_general_kernelIl19rocblas_complex_numIdELi16ELi32ELi8ELb0ELb1ELc78ELc85EKPKS1_KPS1_EviT_T0_PT8_S7_lSA_S7_lS8_PT9_S7_li,"axG",@progbits,_ZL34rocblas_syrkx_herkx_general_kernelIl19rocblas_complex_numIdELi16ELi32ELi8ELb0ELb1ELc78ELc85EKPKS1_KPS1_EviT_T0_PT8_S7_lSA_S7_lS8_PT9_S7_li,comdat
	.globl	_ZL34rocblas_syrkx_herkx_general_kernelIl19rocblas_complex_numIdELi16ELi32ELi8ELb0ELb1ELc78ELc85EKPKS1_KPS1_EviT_T0_PT8_S7_lSA_S7_lS8_PT9_S7_li ; -- Begin function _ZL34rocblas_syrkx_herkx_general_kernelIl19rocblas_complex_numIdELi16ELi32ELi8ELb0ELb1ELc78ELc85EKPKS1_KPS1_EviT_T0_PT8_S7_lSA_S7_lS8_PT9_S7_li
	.p2align	8
	.type	_ZL34rocblas_syrkx_herkx_general_kernelIl19rocblas_complex_numIdELi16ELi32ELi8ELb0ELb1ELc78ELc85EKPKS1_KPS1_EviT_T0_PT8_S7_lSA_S7_lS8_PT9_S7_li,@function
_ZL34rocblas_syrkx_herkx_general_kernelIl19rocblas_complex_numIdELi16ELi32ELi8ELb0ELb1ELc78ELc85EKPKS1_KPS1_EviT_T0_PT8_S7_lSA_S7_lS8_PT9_S7_li: ; @_ZL34rocblas_syrkx_herkx_general_kernelIl19rocblas_complex_numIdELi16ELi32ELi8ELb0ELb1ELc78ELc85EKPKS1_KPS1_EviT_T0_PT8_S7_lSA_S7_lS8_PT9_S7_li
; %bb.0:
	s_load_dword s30, s[4:5], 0x0
	s_load_dwordx8 s[12:19], s[4:5], 0x50
	s_load_dwordx8 s[20:27], s[4:5], 0x8
	s_load_dwordx2 s[28:29], s[4:5], 0x28
	s_mov_b32 s9, 0
	s_lshl_b64 s[0:1], s[8:9], 3
	s_waitcnt lgkmcnt(0)
	s_add_u32 s2, s16, s0
	s_addc_u32 s3, s17, s1
	s_load_dwordx2 s[16:17], s[2:3], 0x0
	v_cmp_lt_i64_e64 s[2:3], s[20:21], 1
	s_lshl_b32 s31, s6, 5
	s_lshl_b32 s33, s7, 5
	s_and_b64 vcc, exec, s[2:3]
	s_cbranch_vccnz .LBB1844_9
; %bb.1:
	s_load_dwordx4 s[8:11], s[4:5], 0x38
	v_lshl_add_u32 v3, v1, 4, v0
	v_and_b32_e32 v7, 31, v3
	v_or_b32_e32 v4, s31, v7
	v_lshrrev_b32_e32 v29, 5, v3
	s_waitcnt lgkmcnt(0)
	s_add_u32 s2, s8, s0
	s_addc_u32 s3, s9, s1
	s_load_dwordx2 s[6:7], s[2:3], 0x0
	v_cmp_gt_i32_e32 vcc, s30, v4
	v_mad_u64_u32 v[4:5], s[2:3], s28, v29, 0
	v_lshrrev_b32_e32 v6, 3, v3
	v_and_b32_e32 v30, 7, v0
	v_lshlrev_b32_e32 v3, 4, v7
	v_lshl_or_b32 v31, v29, 9, v3
	v_lshlrev_b32_e32 v3, 4, v30
	v_add_u32_e32 v2, s33, v6
	v_lshl_or_b32 v3, v6, 7, v3
	v_mad_u64_u32 v[5:6], s[2:3], s29, v29, v[5:6]
	v_mov_b32_e32 v6, 0x1000
	v_lshl_add_u32 v34, v1, 7, v6
	v_add_u32_e32 v6, s31, v7
	v_mad_u64_u32 v[9:10], s[2:3], s10, v30, 0
	v_ashrrev_i32_e32 v7, 31, v6
	v_lshlrev_b64 v[4:5], 4, v[4:5]
	v_lshlrev_b64 v[6:7], 4, v[6:7]
	s_add_u32 s0, s26, s0
	s_addc_u32 s1, s27, s1
	v_add_co_u32_e64 v6, s[2:3], v4, v6
	v_mov_b32_e32 v4, v10
	s_load_dwordx2 s[4:5], s[0:1], 0x0
	v_addc_co_u32_e64 v8, s[2:3], v5, v7, s[2:3]
	v_mad_u64_u32 v[4:5], s[2:3], s11, v30, v[4:5]
	v_add_u32_e32 v32, 0x1000, v3
	v_ashrrev_i32_e32 v3, 31, v2
	v_mov_b32_e32 v10, v4
	v_cmp_gt_i32_e64 s[0:1], s30, v2
	s_waitcnt lgkmcnt(0)
	v_mov_b32_e32 v11, s5
	v_add_co_u32_e64 v7, s[2:3], s4, v6
	v_lshlrev_b64 v[4:5], 4, v[9:10]
	v_lshlrev_b64 v[2:3], 4, v[2:3]
	v_addc_co_u32_e64 v8, s[2:3], v11, v8, s[2:3]
	v_add_co_u32_e64 v2, s[2:3], v4, v2
	v_addc_co_u32_e64 v3, s[2:3], v5, v3, s[2:3]
	v_mov_b32_e32 v4, s7
	v_add_co_u32_e64 v9, s[2:3], s6, v2
	v_addc_co_u32_e64 v10, s[2:3], v4, v3, s[2:3]
	s_lshl_b64 s[4:5], s[28:29], 7
	s_lshl_b64 s[2:3], s[10:11], 7
	v_mov_b32_e32 v25, 0
	v_mov_b32_e32 v11, s20
	v_mov_b32_e32 v27, 0
	v_mov_b32_e32 v19, 0
	v_mov_b32_e32 v17, 0
	v_mov_b32_e32 v15, 0
	v_mov_b32_e32 v13, 0
	v_mov_b32_e32 v23, 0
	v_mov_b32_e32 v21, 0
	v_lshlrev_b32_e32 v33, 4, v0
	s_mov_b64 s[6:7], 0
	v_mov_b32_e32 v26, 0
	s_xor_b64 s[8:9], vcc, -1
	v_mov_b32_e32 v35, s5
	v_mov_b32_e32 v36, s3
	;; [unrolled: 1-line block ×11, first 2 shown]
	s_branch .LBB1844_3
.LBB1844_2:                             ;   in Loop: Header=BB1844_3 Depth=1
	s_or_b64 exec, exec, s[10:11]
	ds_write_b128 v32, v[3:6]
	s_waitcnt lgkmcnt(0)
	s_barrier
	ds_read_b128 v[3:6], v34
	ds_read_b128 v[37:40], v34 offset:16
	ds_read_b128 v[41:44], v34 offset:32
	;; [unrolled: 1-line block ×3, first 2 shown]
	ds_read_b128 v[49:52], v33
	v_add_co_u32_e32 v7, vcc, s4, v7
	v_addc_co_u32_e32 v8, vcc, v8, v35, vcc
	s_waitcnt lgkmcnt(0)
	v_mul_f64 v[53:54], v[5:6], v[51:52]
	v_mul_f64 v[55:56], v[3:4], v[51:52]
	s_add_u32 s6, s6, 8
	v_add_co_u32_e32 v9, vcc, s2, v9
	s_addc_u32 s7, s7, 0
	v_addc_co_u32_e32 v10, vcc, v10, v36, vcc
	v_fma_f64 v[53:54], v[3:4], v[49:50], -v[53:54]
	v_fma_f64 v[55:56], v[5:6], v[49:50], v[55:56]
	v_cmp_ge_i64_e32 vcc, s[6:7], v[11:12]
	s_and_b64 vcc, exec, vcc
	v_add_f64 v[53:54], v[21:22], v[53:54]
	v_add_f64 v[55:56], v[55:56], v[23:24]
	ds_read_b128 v[21:24], v33 offset:256
	s_waitcnt lgkmcnt(0)
	v_mul_f64 v[57:58], v[5:6], v[23:24]
	v_fma_f64 v[57:58], v[3:4], v[21:22], -v[57:58]
	v_mul_f64 v[3:4], v[3:4], v[23:24]
	v_add_f64 v[57:58], v[13:14], v[57:58]
	v_fma_f64 v[3:4], v[5:6], v[21:22], v[3:4]
	v_add_f64 v[59:60], v[3:4], v[15:16]
	ds_read_b128 v[3:6], v34 offset:2048
	s_waitcnt lgkmcnt(0)
	v_mul_f64 v[13:14], v[5:6], v[51:52]
	v_mul_f64 v[15:16], v[3:4], v[51:52]
	v_fma_f64 v[13:14], v[3:4], v[49:50], -v[13:14]
	v_fma_f64 v[15:16], v[5:6], v[49:50], v[15:16]
	v_add_f64 v[49:50], v[17:18], v[13:14]
	v_mul_f64 v[13:14], v[5:6], v[23:24]
	v_add_f64 v[51:52], v[15:16], v[19:20]
	v_fma_f64 v[13:14], v[3:4], v[21:22], -v[13:14]
	v_mul_f64 v[3:4], v[3:4], v[23:24]
	v_fma_f64 v[3:4], v[5:6], v[21:22], v[3:4]
	v_add_f64 v[21:22], v[27:28], v[13:14]
	v_add_f64 v[23:24], v[3:4], v[25:26]
	ds_read_b128 v[3:6], v33 offset:512
	s_waitcnt lgkmcnt(0)
	v_mul_f64 v[13:14], v[39:40], v[5:6]
	v_mul_f64 v[15:16], v[37:38], v[5:6]
	v_fma_f64 v[13:14], v[37:38], v[3:4], -v[13:14]
	v_fma_f64 v[15:16], v[39:40], v[3:4], v[15:16]
	v_add_f64 v[25:26], v[53:54], v[13:14]
	v_add_f64 v[27:28], v[15:16], v[55:56]
	ds_read_b128 v[13:16], v33 offset:768
	s_waitcnt lgkmcnt(0)
	v_mul_f64 v[17:18], v[39:40], v[15:16]
	v_mul_f64 v[19:20], v[37:38], v[15:16]
	v_fma_f64 v[17:18], v[37:38], v[13:14], -v[17:18]
	;; [unrolled: 8-line block ×3, first 2 shown]
	v_fma_f64 v[3:4], v[19:20], v[3:4], v[5:6]
	v_mul_f64 v[5:6], v[17:18], v[15:16]
	v_add_f64 v[49:50], v[49:50], v[53:54]
	v_add_f64 v[51:52], v[3:4], v[51:52]
	v_mul_f64 v[3:4], v[19:20], v[15:16]
	v_fma_f64 v[5:6], v[19:20], v[13:14], v[5:6]
	v_fma_f64 v[3:4], v[17:18], v[13:14], -v[3:4]
	v_add_f64 v[23:24], v[5:6], v[23:24]
	v_add_f64 v[21:22], v[21:22], v[3:4]
	ds_read_b128 v[3:6], v33 offset:1024
	s_waitcnt lgkmcnt(0)
	v_mul_f64 v[13:14], v[43:44], v[5:6]
	v_mul_f64 v[15:16], v[41:42], v[5:6]
	v_fma_f64 v[13:14], v[41:42], v[3:4], -v[13:14]
	v_fma_f64 v[15:16], v[43:44], v[3:4], v[15:16]
	v_add_f64 v[25:26], v[25:26], v[13:14]
	v_add_f64 v[27:28], v[15:16], v[27:28]
	ds_read_b128 v[13:16], v33 offset:1280
	s_waitcnt lgkmcnt(0)
	v_mul_f64 v[17:18], v[43:44], v[15:16]
	v_mul_f64 v[19:20], v[41:42], v[15:16]
	v_fma_f64 v[17:18], v[41:42], v[13:14], -v[17:18]
	v_fma_f64 v[19:20], v[43:44], v[13:14], v[19:20]
	;; [unrolled: 8-line block ×3, first 2 shown]
	v_mul_f64 v[5:6], v[17:18], v[15:16]
	v_add_f64 v[41:42], v[49:50], v[41:42]
	v_add_f64 v[43:44], v[3:4], v[51:52]
	v_mul_f64 v[3:4], v[19:20], v[15:16]
	v_fma_f64 v[5:6], v[19:20], v[13:14], v[5:6]
	v_fma_f64 v[3:4], v[17:18], v[13:14], -v[3:4]
	v_add_f64 v[23:24], v[5:6], v[23:24]
	v_add_f64 v[21:22], v[21:22], v[3:4]
	ds_read_b128 v[3:6], v33 offset:1536
	s_waitcnt lgkmcnt(0)
	v_mul_f64 v[13:14], v[47:48], v[5:6]
	v_mul_f64 v[15:16], v[45:46], v[5:6]
	v_fma_f64 v[13:14], v[45:46], v[3:4], -v[13:14]
	v_fma_f64 v[15:16], v[47:48], v[3:4], v[15:16]
	v_add_f64 v[25:26], v[25:26], v[13:14]
	v_add_f64 v[27:28], v[15:16], v[27:28]
	ds_read_b128 v[13:16], v33 offset:1792
	s_waitcnt lgkmcnt(0)
	v_mul_f64 v[17:18], v[47:48], v[15:16]
	v_mul_f64 v[19:20], v[45:46], v[15:16]
	v_fma_f64 v[17:18], v[45:46], v[13:14], -v[17:18]
	v_fma_f64 v[19:20], v[47:48], v[13:14], v[19:20]
	;; [unrolled: 8-line block ×3, first 2 shown]
	v_mul_f64 v[5:6], v[17:18], v[15:16]
	v_add_f64 v[41:42], v[41:42], v[45:46]
	v_add_f64 v[43:44], v[3:4], v[43:44]
	v_mul_f64 v[3:4], v[19:20], v[15:16]
	v_fma_f64 v[5:6], v[19:20], v[13:14], v[5:6]
	v_fma_f64 v[3:4], v[17:18], v[13:14], -v[3:4]
	v_add_f64 v[23:24], v[5:6], v[23:24]
	v_add_f64 v[21:22], v[21:22], v[3:4]
	ds_read_b128 v[3:6], v34 offset:64
	ds_read_b128 v[13:16], v33 offset:2048
	s_waitcnt lgkmcnt(0)
	v_mul_f64 v[17:18], v[5:6], v[15:16]
	v_mul_f64 v[19:20], v[3:4], v[15:16]
	v_fma_f64 v[17:18], v[3:4], v[13:14], -v[17:18]
	v_fma_f64 v[19:20], v[5:6], v[13:14], v[19:20]
	v_add_f64 v[25:26], v[25:26], v[17:18]
	v_add_f64 v[27:28], v[19:20], v[27:28]
	ds_read_b128 v[17:20], v33 offset:2304
	s_waitcnt lgkmcnt(0)
	v_mul_f64 v[45:46], v[5:6], v[19:20]
	v_fma_f64 v[45:46], v[3:4], v[17:18], -v[45:46]
	v_mul_f64 v[3:4], v[3:4], v[19:20]
	v_add_f64 v[37:38], v[37:38], v[45:46]
	v_fma_f64 v[3:4], v[5:6], v[17:18], v[3:4]
	v_add_f64 v[39:40], v[3:4], v[39:40]
	ds_read_b128 v[3:6], v34 offset:2112
	s_waitcnt lgkmcnt(0)
	v_mul_f64 v[45:46], v[5:6], v[15:16]
	v_mul_f64 v[15:16], v[3:4], v[15:16]
	v_fma_f64 v[45:46], v[3:4], v[13:14], -v[45:46]
	v_fma_f64 v[13:14], v[5:6], v[13:14], v[15:16]
	v_add_f64 v[41:42], v[41:42], v[45:46]
	v_add_f64 v[43:44], v[13:14], v[43:44]
	v_mul_f64 v[13:14], v[5:6], v[19:20]
	v_fma_f64 v[13:14], v[3:4], v[17:18], -v[13:14]
	v_mul_f64 v[3:4], v[3:4], v[19:20]
	v_add_f64 v[21:22], v[21:22], v[13:14]
	v_fma_f64 v[3:4], v[5:6], v[17:18], v[3:4]
	v_add_f64 v[23:24], v[3:4], v[23:24]
	ds_read_b128 v[3:6], v34 offset:80
	ds_read_b128 v[13:16], v33 offset:2560
	s_waitcnt lgkmcnt(0)
	v_mul_f64 v[17:18], v[5:6], v[15:16]
	v_mul_f64 v[19:20], v[3:4], v[15:16]
	v_fma_f64 v[17:18], v[3:4], v[13:14], -v[17:18]
	v_fma_f64 v[19:20], v[5:6], v[13:14], v[19:20]
	v_add_f64 v[25:26], v[25:26], v[17:18]
	v_add_f64 v[27:28], v[19:20], v[27:28]
	ds_read_b128 v[17:20], v33 offset:2816
	s_waitcnt lgkmcnt(0)
	v_mul_f64 v[45:46], v[5:6], v[19:20]
	v_fma_f64 v[45:46], v[3:4], v[17:18], -v[45:46]
	v_mul_f64 v[3:4], v[3:4], v[19:20]
	v_add_f64 v[37:38], v[37:38], v[45:46]
	v_fma_f64 v[3:4], v[5:6], v[17:18], v[3:4]
	v_add_f64 v[39:40], v[3:4], v[39:40]
	ds_read_b128 v[3:6], v34 offset:2128
	s_waitcnt lgkmcnt(0)
	v_mul_f64 v[45:46], v[5:6], v[15:16]
	v_mul_f64 v[15:16], v[3:4], v[15:16]
	v_fma_f64 v[45:46], v[3:4], v[13:14], -v[45:46]
	v_fma_f64 v[13:14], v[5:6], v[13:14], v[15:16]
	v_add_f64 v[41:42], v[41:42], v[45:46]
	v_add_f64 v[43:44], v[13:14], v[43:44]
	v_mul_f64 v[13:14], v[5:6], v[19:20]
	v_fma_f64 v[13:14], v[3:4], v[17:18], -v[13:14]
	v_mul_f64 v[3:4], v[3:4], v[19:20]
	v_add_f64 v[21:22], v[21:22], v[13:14]
	v_fma_f64 v[3:4], v[5:6], v[17:18], v[3:4]
	;; [unrolled: 31-line block ×3, first 2 shown]
	v_add_f64 v[47:48], v[3:4], v[23:24]
	ds_read_b128 v[3:6], v34 offset:112
	ds_read_b128 v[17:20], v33 offset:3584
	s_waitcnt lgkmcnt(0)
	v_mul_f64 v[13:14], v[5:6], v[19:20]
	v_mul_f64 v[15:16], v[3:4], v[19:20]
	v_fma_f64 v[13:14], v[3:4], v[17:18], -v[13:14]
	v_fma_f64 v[15:16], v[5:6], v[17:18], v[15:16]
	v_add_f64 v[21:22], v[25:26], v[13:14]
	v_add_f64 v[23:24], v[15:16], v[27:28]
	ds_read_b128 v[25:28], v33 offset:3840
	s_waitcnt lgkmcnt(0)
	v_mul_f64 v[13:14], v[5:6], v[27:28]
	v_fma_f64 v[13:14], v[3:4], v[25:26], -v[13:14]
	v_mul_f64 v[3:4], v[3:4], v[27:28]
	v_add_f64 v[13:14], v[37:38], v[13:14]
	v_fma_f64 v[3:4], v[5:6], v[25:26], v[3:4]
	v_add_f64 v[15:16], v[3:4], v[39:40]
	ds_read_b128 v[3:6], v34 offset:2160
	s_waitcnt lgkmcnt(0)
	s_barrier
	v_mul_f64 v[37:38], v[5:6], v[19:20]
	v_mul_f64 v[19:20], v[3:4], v[19:20]
	v_fma_f64 v[37:38], v[3:4], v[17:18], -v[37:38]
	v_fma_f64 v[19:20], v[5:6], v[17:18], v[19:20]
	v_add_f64 v[17:18], v[41:42], v[37:38]
	v_mul_f64 v[37:38], v[5:6], v[27:28]
	v_add_f64 v[19:20], v[19:20], v[43:44]
	v_fma_f64 v[37:38], v[3:4], v[25:26], -v[37:38]
	v_mul_f64 v[3:4], v[3:4], v[27:28]
	v_add_f64 v[27:28], v[45:46], v[37:38]
	v_fma_f64 v[3:4], v[5:6], v[25:26], v[3:4]
	v_add_f64 v[25:26], v[3:4], v[47:48]
	s_cbranch_vccnz .LBB1844_10
.LBB1844_3:                             ; =>This Inner Loop Header: Depth=1
	v_mov_b32_e32 v4, s7
	v_add_co_u32_e32 v3, vcc, s6, v29
	v_addc_co_u32_e32 v4, vcc, 0, v4, vcc
	v_cmp_le_i64_e32 vcc, s[20:21], v[3:4]
	s_or_b64 s[10:11], s[8:9], vcc
	s_and_saveexec_b64 s[26:27], s[10:11]
	s_xor_b64 s[10:11], exec, s[26:27]
; %bb.4:                                ;   in Loop: Header=BB1844_3 Depth=1
	v_mov_b32_e32 v3, v2
	v_mov_b32_e32 v4, v2
	;; [unrolled: 1-line block ×3, first 2 shown]
	ds_write_b128 v31, v[2:5]
; %bb.5:                                ;   in Loop: Header=BB1844_3 Depth=1
	s_andn2_saveexec_b64 s[10:11], s[10:11]
	s_cbranch_execz .LBB1844_7
; %bb.6:                                ;   in Loop: Header=BB1844_3 Depth=1
	flat_load_dwordx4 v[3:6], v[7:8]
	s_waitcnt vmcnt(0) lgkmcnt(0)
	ds_write2_b64 v31, v[3:4], v[5:6] offset1:1
.LBB1844_7:                             ;   in Loop: Header=BB1844_3 Depth=1
	s_or_b64 exec, exec, s[10:11]
	v_mov_b32_e32 v4, s7
	v_add_co_u32_e32 v3, vcc, s6, v30
	v_addc_co_u32_e32 v4, vcc, 0, v4, vcc
	v_cmp_gt_i64_e32 vcc, s[20:21], v[3:4]
	v_mov_b32_e32 v3, 0
	v_mov_b32_e32 v5, 0
	;; [unrolled: 1-line block ×4, first 2 shown]
	s_and_b64 s[26:27], vcc, s[0:1]
	s_and_saveexec_b64 s[10:11], s[26:27]
	s_cbranch_execz .LBB1844_2
; %bb.8:                                ;   in Loop: Header=BB1844_3 Depth=1
	flat_load_dwordx4 v[3:6], v[9:10]
	s_waitcnt vmcnt(0) lgkmcnt(0)
	v_xor_b32_e32 v6, 0x80000000, v6
	s_branch .LBB1844_2
.LBB1844_9:
	v_mov_b32_e32 v21, 0
	v_mov_b32_e32 v23, 0
	;; [unrolled: 1-line block ×16, first 2 shown]
.LBB1844_10:
	v_add_u32_e32 v4, s33, v1
	v_ashrrev_i32_e32 v1, 31, v4
	v_mul_lo_u32 v3, s18, v1
	v_mul_lo_u32 v5, s19, v4
	v_mad_u64_u32 v[1:2], s[0:1], s18, v4, 0
	v_add_u32_e32 v0, s31, v0
	v_cmp_gt_i32_e32 vcc, s30, v4
	v_add3_u32 v2, v2, v3, v5
	v_lshlrev_b64 v[1:2], 4, v[1:2]
	s_waitcnt lgkmcnt(0)
	v_mov_b32_e32 v3, s17
	v_add_co_u32_e64 v5, s[0:1], s16, v1
	v_addc_co_u32_e64 v6, s[0:1], v3, v2, s[0:1]
	v_cmp_le_i32_e64 s[0:1], v0, v4
	s_and_b64 s[0:1], vcc, s[0:1]
	s_and_saveexec_b64 s[2:3], s[0:1]
	s_cbranch_execz .LBB1844_12
; %bb.11:
	v_ashrrev_i32_e32 v1, 31, v0
	v_lshlrev_b64 v[1:2], 4, v[0:1]
	v_mul_f64 v[11:12], s[22:23], v[23:24]
	v_add_co_u32_e64 v1, s[0:1], v5, v1
	v_addc_co_u32_e64 v2, s[0:1], v6, v2, s[0:1]
	flat_load_dwordx4 v[7:10], v[1:2]
	v_mul_f64 v[23:24], s[24:25], v[23:24]
	v_cmp_ne_u32_e64 s[0:1], v4, v0
	v_fma_f64 v[11:12], s[24:25], v[21:22], v[11:12]
	v_fma_f64 v[21:22], s[22:23], v[21:22], -v[23:24]
	s_waitcnt vmcnt(0) lgkmcnt(0)
	v_mul_f64 v[29:30], s[12:13], v[9:10]
	v_mul_f64 v[9:10], s[14:15], v[9:10]
	v_fma_f64 v[29:30], s[14:15], v[7:8], v[29:30]
	v_fma_f64 v[7:8], s[12:13], v[7:8], -v[9:10]
	v_add_f64 v[9:10], v[11:12], v[29:30]
	v_add_f64 v[7:8], v[21:22], v[7:8]
	v_cndmask_b32_e64 v10, 0, v10, s[0:1]
	v_cndmask_b32_e64 v9, 0, v9, s[0:1]
	flat_store_dwordx4 v[1:2], v[7:10]
.LBB1844_12:
	s_or_b64 exec, exec, s[2:3]
	v_add_u32_e32 v2, 16, v0
	v_cmp_le_i32_e64 s[0:1], v2, v4
	s_and_b64 s[2:3], vcc, s[0:1]
	s_and_saveexec_b64 s[0:1], s[2:3]
	s_cbranch_execz .LBB1844_14
; %bb.13:
	v_ashrrev_i32_e32 v3, 31, v2
	v_lshlrev_b64 v[7:8], 4, v[2:3]
	v_mul_f64 v[11:12], s[22:23], v[15:16]
	v_add_co_u32_e32 v9, vcc, v5, v7
	v_addc_co_u32_e32 v10, vcc, v6, v8, vcc
	flat_load_dwordx4 v[5:8], v[9:10]
	v_mul_f64 v[15:16], s[24:25], v[15:16]
	v_cmp_ne_u32_e32 vcc, v4, v2
	v_fma_f64 v[11:12], s[24:25], v[13:14], v[11:12]
	v_fma_f64 v[13:14], s[22:23], v[13:14], -v[15:16]
	s_waitcnt vmcnt(0) lgkmcnt(0)
	v_mul_f64 v[21:22], s[12:13], v[7:8]
	v_mul_f64 v[7:8], s[14:15], v[7:8]
	v_fma_f64 v[21:22], s[14:15], v[5:6], v[21:22]
	v_fma_f64 v[5:6], s[12:13], v[5:6], -v[7:8]
	v_add_f64 v[7:8], v[11:12], v[21:22]
	v_add_f64 v[5:6], v[13:14], v[5:6]
	v_cndmask_b32_e32 v8, 0, v8, vcc
	v_cndmask_b32_e32 v7, 0, v7, vcc
	flat_store_dwordx4 v[9:10], v[5:8]
.LBB1844_14:
	s_or_b64 exec, exec, s[0:1]
	v_add_u32_e32 v3, 16, v4
	v_ashrrev_i32_e32 v1, 31, v3
	v_mul_lo_u32 v1, s18, v1
	v_mul_lo_u32 v7, s19, v3
	v_mad_u64_u32 v[5:6], s[0:1], s18, v3, 0
	v_cmp_gt_i32_e32 vcc, s30, v3
	v_add3_u32 v6, v6, v1, v7
	v_lshlrev_b64 v[5:6], 4, v[5:6]
	v_mov_b32_e32 v1, s17
	v_add_co_u32_e64 v5, s[0:1], s16, v5
	v_addc_co_u32_e64 v6, s[0:1], v1, v6, s[0:1]
	v_cmp_le_i32_e64 s[0:1], v0, v3
	s_and_b64 s[0:1], vcc, s[0:1]
	s_and_saveexec_b64 s[2:3], s[0:1]
	s_cbranch_execz .LBB1844_16
; %bb.15:
	v_ashrrev_i32_e32 v1, 31, v0
	v_lshlrev_b64 v[7:8], 4, v[0:1]
	v_mul_f64 v[13:14], s[22:23], v[19:20]
	v_add_co_u32_e64 v11, s[0:1], v5, v7
	v_addc_co_u32_e64 v12, s[0:1], v6, v8, s[0:1]
	flat_load_dwordx4 v[7:10], v[11:12]
	v_mul_f64 v[19:20], s[24:25], v[19:20]
	v_cmp_ne_u32_e64 s[0:1], v3, v0
	v_fma_f64 v[13:14], s[24:25], v[17:18], v[13:14]
	v_fma_f64 v[17:18], s[22:23], v[17:18], -v[19:20]
	s_waitcnt vmcnt(0) lgkmcnt(0)
	v_mul_f64 v[15:16], s[12:13], v[9:10]
	v_mul_f64 v[9:10], s[14:15], v[9:10]
	v_fma_f64 v[15:16], s[14:15], v[7:8], v[15:16]
	v_fma_f64 v[7:8], s[12:13], v[7:8], -v[9:10]
	v_add_f64 v[9:10], v[13:14], v[15:16]
	v_add_f64 v[7:8], v[17:18], v[7:8]
	v_cndmask_b32_e64 v10, 0, v10, s[0:1]
	v_cndmask_b32_e64 v9, 0, v9, s[0:1]
	flat_store_dwordx4 v[11:12], v[7:10]
.LBB1844_16:
	s_or_b64 exec, exec, s[2:3]
	v_cmp_le_i32_e64 s[0:1], v2, v3
	s_and_b64 s[0:1], vcc, s[0:1]
	s_and_saveexec_b64 s[2:3], s[0:1]
	s_cbranch_execz .LBB1844_18
; %bb.17:
	v_ashrrev_i32_e32 v3, 31, v2
	v_lshlrev_b64 v[1:2], 4, v[2:3]
	v_mul_f64 v[13:14], s[24:25], v[25:26]
	v_add_co_u32_e32 v9, vcc, v5, v1
	v_addc_co_u32_e32 v10, vcc, v6, v2, vcc
	flat_load_dwordx4 v[5:8], v[9:10]
	v_mul_f64 v[1:2], s[22:23], v[25:26]
	v_cmp_ne_u32_e32 vcc, v4, v0
	v_fma_f64 v[13:14], s[22:23], v[27:28], -v[13:14]
	v_fma_f64 v[1:2], s[24:25], v[27:28], v[1:2]
	s_waitcnt vmcnt(0) lgkmcnt(0)
	v_mul_f64 v[11:12], s[12:13], v[7:8]
	v_mul_f64 v[7:8], s[14:15], v[7:8]
	v_fma_f64 v[11:12], s[14:15], v[5:6], v[11:12]
	v_fma_f64 v[5:6], s[12:13], v[5:6], -v[7:8]
	v_add_f64 v[7:8], v[1:2], v[11:12]
	v_add_f64 v[1:2], v[13:14], v[5:6]
	v_cndmask_b32_e32 v4, 0, v8, vcc
	v_cndmask_b32_e32 v3, 0, v7, vcc
	flat_store_dwordx4 v[9:10], v[1:4]
.LBB1844_18:
	s_endpgm
	.section	.rodata,"a",@progbits
	.p2align	6, 0x0
	.amdhsa_kernel _ZL34rocblas_syrkx_herkx_general_kernelIl19rocblas_complex_numIdELi16ELi32ELi8ELb0ELb1ELc78ELc85EKPKS1_KPS1_EviT_T0_PT8_S7_lSA_S7_lS8_PT9_S7_li
		.amdhsa_group_segment_fixed_size 8192
		.amdhsa_private_segment_fixed_size 0
		.amdhsa_kernarg_size 124
		.amdhsa_user_sgpr_count 6
		.amdhsa_user_sgpr_private_segment_buffer 1
		.amdhsa_user_sgpr_dispatch_ptr 0
		.amdhsa_user_sgpr_queue_ptr 0
		.amdhsa_user_sgpr_kernarg_segment_ptr 1
		.amdhsa_user_sgpr_dispatch_id 0
		.amdhsa_user_sgpr_flat_scratch_init 0
		.amdhsa_user_sgpr_private_segment_size 0
		.amdhsa_uses_dynamic_stack 0
		.amdhsa_system_sgpr_private_segment_wavefront_offset 0
		.amdhsa_system_sgpr_workgroup_id_x 1
		.amdhsa_system_sgpr_workgroup_id_y 1
		.amdhsa_system_sgpr_workgroup_id_z 1
		.amdhsa_system_sgpr_workgroup_info 0
		.amdhsa_system_vgpr_workitem_id 1
		.amdhsa_next_free_vgpr 61
		.amdhsa_next_free_sgpr 61
		.amdhsa_reserve_vcc 1
		.amdhsa_reserve_flat_scratch 0
		.amdhsa_float_round_mode_32 0
		.amdhsa_float_round_mode_16_64 0
		.amdhsa_float_denorm_mode_32 3
		.amdhsa_float_denorm_mode_16_64 3
		.amdhsa_dx10_clamp 1
		.amdhsa_ieee_mode 1
		.amdhsa_fp16_overflow 0
		.amdhsa_exception_fp_ieee_invalid_op 0
		.amdhsa_exception_fp_denorm_src 0
		.amdhsa_exception_fp_ieee_div_zero 0
		.amdhsa_exception_fp_ieee_overflow 0
		.amdhsa_exception_fp_ieee_underflow 0
		.amdhsa_exception_fp_ieee_inexact 0
		.amdhsa_exception_int_div_zero 0
	.end_amdhsa_kernel
	.section	.text._ZL34rocblas_syrkx_herkx_general_kernelIl19rocblas_complex_numIdELi16ELi32ELi8ELb0ELb1ELc78ELc85EKPKS1_KPS1_EviT_T0_PT8_S7_lSA_S7_lS8_PT9_S7_li,"axG",@progbits,_ZL34rocblas_syrkx_herkx_general_kernelIl19rocblas_complex_numIdELi16ELi32ELi8ELb0ELb1ELc78ELc85EKPKS1_KPS1_EviT_T0_PT8_S7_lSA_S7_lS8_PT9_S7_li,comdat
.Lfunc_end1844:
	.size	_ZL34rocblas_syrkx_herkx_general_kernelIl19rocblas_complex_numIdELi16ELi32ELi8ELb0ELb1ELc78ELc85EKPKS1_KPS1_EviT_T0_PT8_S7_lSA_S7_lS8_PT9_S7_li, .Lfunc_end1844-_ZL34rocblas_syrkx_herkx_general_kernelIl19rocblas_complex_numIdELi16ELi32ELi8ELb0ELb1ELc78ELc85EKPKS1_KPS1_EviT_T0_PT8_S7_lSA_S7_lS8_PT9_S7_li
                                        ; -- End function
	.set _ZL34rocblas_syrkx_herkx_general_kernelIl19rocblas_complex_numIdELi16ELi32ELi8ELb0ELb1ELc78ELc85EKPKS1_KPS1_EviT_T0_PT8_S7_lSA_S7_lS8_PT9_S7_li.num_vgpr, 61
	.set _ZL34rocblas_syrkx_herkx_general_kernelIl19rocblas_complex_numIdELi16ELi32ELi8ELb0ELb1ELc78ELc85EKPKS1_KPS1_EviT_T0_PT8_S7_lSA_S7_lS8_PT9_S7_li.num_agpr, 0
	.set _ZL34rocblas_syrkx_herkx_general_kernelIl19rocblas_complex_numIdELi16ELi32ELi8ELb0ELb1ELc78ELc85EKPKS1_KPS1_EviT_T0_PT8_S7_lSA_S7_lS8_PT9_S7_li.numbered_sgpr, 34
	.set _ZL34rocblas_syrkx_herkx_general_kernelIl19rocblas_complex_numIdELi16ELi32ELi8ELb0ELb1ELc78ELc85EKPKS1_KPS1_EviT_T0_PT8_S7_lSA_S7_lS8_PT9_S7_li.num_named_barrier, 0
	.set _ZL34rocblas_syrkx_herkx_general_kernelIl19rocblas_complex_numIdELi16ELi32ELi8ELb0ELb1ELc78ELc85EKPKS1_KPS1_EviT_T0_PT8_S7_lSA_S7_lS8_PT9_S7_li.private_seg_size, 0
	.set _ZL34rocblas_syrkx_herkx_general_kernelIl19rocblas_complex_numIdELi16ELi32ELi8ELb0ELb1ELc78ELc85EKPKS1_KPS1_EviT_T0_PT8_S7_lSA_S7_lS8_PT9_S7_li.uses_vcc, 1
	.set _ZL34rocblas_syrkx_herkx_general_kernelIl19rocblas_complex_numIdELi16ELi32ELi8ELb0ELb1ELc78ELc85EKPKS1_KPS1_EviT_T0_PT8_S7_lSA_S7_lS8_PT9_S7_li.uses_flat_scratch, 0
	.set _ZL34rocblas_syrkx_herkx_general_kernelIl19rocblas_complex_numIdELi16ELi32ELi8ELb0ELb1ELc78ELc85EKPKS1_KPS1_EviT_T0_PT8_S7_lSA_S7_lS8_PT9_S7_li.has_dyn_sized_stack, 0
	.set _ZL34rocblas_syrkx_herkx_general_kernelIl19rocblas_complex_numIdELi16ELi32ELi8ELb0ELb1ELc78ELc85EKPKS1_KPS1_EviT_T0_PT8_S7_lSA_S7_lS8_PT9_S7_li.has_recursion, 0
	.set _ZL34rocblas_syrkx_herkx_general_kernelIl19rocblas_complex_numIdELi16ELi32ELi8ELb0ELb1ELc78ELc85EKPKS1_KPS1_EviT_T0_PT8_S7_lSA_S7_lS8_PT9_S7_li.has_indirect_call, 0
	.section	.AMDGPU.csdata,"",@progbits
; Kernel info:
; codeLenInByte = 3468
; TotalNumSgprs: 38
; NumVgprs: 61
; ScratchSize: 0
; MemoryBound: 1
; FloatMode: 240
; IeeeMode: 1
; LDSByteSize: 8192 bytes/workgroup (compile time only)
; SGPRBlocks: 8
; VGPRBlocks: 15
; NumSGPRsForWavesPerEU: 65
; NumVGPRsForWavesPerEU: 61
; Occupancy: 4
; WaveLimiterHint : 1
; COMPUTE_PGM_RSRC2:SCRATCH_EN: 0
; COMPUTE_PGM_RSRC2:USER_SGPR: 6
; COMPUTE_PGM_RSRC2:TRAP_HANDLER: 0
; COMPUTE_PGM_RSRC2:TGID_X_EN: 1
; COMPUTE_PGM_RSRC2:TGID_Y_EN: 1
; COMPUTE_PGM_RSRC2:TGID_Z_EN: 1
; COMPUTE_PGM_RSRC2:TIDIG_COMP_CNT: 1
	.section	.text._ZL26rocblas_syr2k_scale_kernelIlLi128ELi8ELb1E19rocblas_complex_numIdES1_PKPS1_EvbiT_T3_T4_T5_S5_li,"axG",@progbits,_ZL26rocblas_syr2k_scale_kernelIlLi128ELi8ELb1E19rocblas_complex_numIdES1_PKPS1_EvbiT_T3_T4_T5_S5_li,comdat
	.globl	_ZL26rocblas_syr2k_scale_kernelIlLi128ELi8ELb1E19rocblas_complex_numIdES1_PKPS1_EvbiT_T3_T4_T5_S5_li ; -- Begin function _ZL26rocblas_syr2k_scale_kernelIlLi128ELi8ELb1E19rocblas_complex_numIdES1_PKPS1_EvbiT_T3_T4_T5_S5_li
	.p2align	8
	.type	_ZL26rocblas_syr2k_scale_kernelIlLi128ELi8ELb1E19rocblas_complex_numIdES1_PKPS1_EvbiT_T3_T4_T5_S5_li,@function
_ZL26rocblas_syr2k_scale_kernelIlLi128ELi8ELb1E19rocblas_complex_numIdES1_PKPS1_EvbiT_T3_T4_T5_S5_li: ; @_ZL26rocblas_syr2k_scale_kernelIlLi128ELi8ELb1E19rocblas_complex_numIdES1_PKPS1_EvbiT_T3_T4_T5_S5_li
; %bb.0:
	s_load_dwordx16 s[12:27], s[4:5], 0x8
	s_mov_b64 s[0:1], 0
	s_waitcnt lgkmcnt(0)
	v_cmp_eq_f64_e64 s[2:3], s[18:19], 1.0
	v_cmp_eq_f64_e64 s[10:11], s[20:21], 0
	s_and_b64 s[2:3], s[2:3], s[10:11]
	s_andn2_b64 vcc, exec, s[2:3]
	s_mov_b64 s[2:3], -1
	s_cbranch_vccnz .LBB1845_4
; %bb.1:
	s_cmp_lg_u64 s[12:13], 0
	s_cbranch_scc0 .LBB1845_3
; %bb.2:
	v_cmp_neq_f64_e64 s[0:1], s[14:15], 0
	v_cmp_neq_f64_e64 s[2:3], s[16:17], 0
	s_or_b64 s[0:1], s[0:1], s[2:3]
.LBB1845_3:
	s_mov_b64 s[2:3], s[0:1]
.LBB1845_4:
	s_and_b64 vcc, exec, s[2:3]
	s_cbranch_vccz .LBB1845_9
; %bb.5:
	s_load_dwordx2 s[0:1], s[4:5], 0x0
	s_load_dword s2, s[4:5], 0x5c
	s_waitcnt lgkmcnt(0)
	s_bitcmp1_b32 s0, 0
	s_cselect_b64 vcc, -1, 0
	s_lshr_b32 s0, s2, 16
	s_and_b32 s2, s2, 0xffff
	s_mul_i32 s6, s6, s2
	s_mul_i32 s7, s7, s0
	v_add_u32_e32 v2, s6, v0
	v_add_u32_e32 v8, s7, v1
	v_cndmask_b32_e32 v0, v8, v2, vcc
	v_cndmask_b32_e32 v1, v2, v8, vcc
	v_max_u32_e32 v3, v2, v8
	v_cmp_gt_u32_e32 vcc, s1, v3
	v_cmp_le_i32_e64 s[0:1], v0, v1
	s_and_b64 s[0:1], vcc, s[0:1]
	s_and_saveexec_b64 s[2:3], s[0:1]
	s_cbranch_execz .LBB1845_9
; %bb.6:
	s_mov_b32 s9, 0
	s_lshl_b64 s[0:1], s[8:9], 3
	s_add_u32 s0, s22, s0
	v_mad_u64_u32 v[0:1], s[2:3], s24, v8, 0
	s_addc_u32 s1, s23, s1
	s_load_dwordx2 s[0:1], s[0:1], 0x0
	v_mad_u64_u32 v[3:4], s[2:3], s25, v8, v[1:2]
	s_lshl_b64 s[2:3], s[26:27], 4
	v_mov_b32_e32 v6, 0
	s_waitcnt lgkmcnt(0)
	s_add_u32 s4, s0, s2
	s_addc_u32 s5, s1, s3
	v_cmp_neq_f64_e64 s[0:1], s[18:19], 0
	v_cmp_neq_f64_e64 s[2:3], s[20:21], 0
	v_mov_b32_e32 v1, v3
	v_lshlrev_b64 v[0:1], 4, v[0:1]
	v_mov_b32_e32 v3, 0
	v_mov_b32_e32 v4, s5
	v_add_co_u32_e32 v9, vcc, s4, v0
	v_addc_co_u32_e32 v10, vcc, v4, v1, vcc
	v_lshlrev_b64 v[4:5], 4, v[2:3]
	s_or_b64 s[0:1], s[0:1], s[2:3]
	v_mov_b32_e32 v0, 0
	s_andn2_b64 vcc, exec, s[0:1]
	v_add_co_u32_e64 v4, s[0:1], v9, v4
	v_mov_b32_e32 v1, 0
	v_mov_b32_e32 v7, 0
	v_addc_co_u32_e64 v5, s[0:1], v10, v5, s[0:1]
	s_cbranch_vccnz .LBB1845_8
; %bb.7:
	flat_load_dwordx4 v[9:12], v[4:5]
	s_waitcnt vmcnt(0) lgkmcnt(0)
	v_mul_f64 v[0:1], s[20:21], v[11:12]
	v_mul_f64 v[6:7], s[18:19], v[11:12]
	v_fma_f64 v[0:1], s[18:19], v[9:10], -v[0:1]
	v_fma_f64 v[6:7], s[20:21], v[9:10], v[6:7]
.LBB1845_8:
	v_cmp_ne_u32_e32 vcc, v2, v8
	v_cndmask_b32_e32 v3, 0, v7, vcc
	v_cndmask_b32_e32 v2, 0, v6, vcc
	flat_store_dwordx4 v[4:5], v[0:3]
.LBB1845_9:
	s_endpgm
	.section	.rodata,"a",@progbits
	.p2align	6, 0x0
	.amdhsa_kernel _ZL26rocblas_syr2k_scale_kernelIlLi128ELi8ELb1E19rocblas_complex_numIdES1_PKPS1_EvbiT_T3_T4_T5_S5_li
		.amdhsa_group_segment_fixed_size 0
		.amdhsa_private_segment_fixed_size 0
		.amdhsa_kernarg_size 336
		.amdhsa_user_sgpr_count 6
		.amdhsa_user_sgpr_private_segment_buffer 1
		.amdhsa_user_sgpr_dispatch_ptr 0
		.amdhsa_user_sgpr_queue_ptr 0
		.amdhsa_user_sgpr_kernarg_segment_ptr 1
		.amdhsa_user_sgpr_dispatch_id 0
		.amdhsa_user_sgpr_flat_scratch_init 0
		.amdhsa_user_sgpr_private_segment_size 0
		.amdhsa_uses_dynamic_stack 0
		.amdhsa_system_sgpr_private_segment_wavefront_offset 0
		.amdhsa_system_sgpr_workgroup_id_x 1
		.amdhsa_system_sgpr_workgroup_id_y 1
		.amdhsa_system_sgpr_workgroup_id_z 1
		.amdhsa_system_sgpr_workgroup_info 0
		.amdhsa_system_vgpr_workitem_id 1
		.amdhsa_next_free_vgpr 13
		.amdhsa_next_free_sgpr 28
		.amdhsa_reserve_vcc 1
		.amdhsa_reserve_flat_scratch 0
		.amdhsa_float_round_mode_32 0
		.amdhsa_float_round_mode_16_64 0
		.amdhsa_float_denorm_mode_32 3
		.amdhsa_float_denorm_mode_16_64 3
		.amdhsa_dx10_clamp 1
		.amdhsa_ieee_mode 1
		.amdhsa_fp16_overflow 0
		.amdhsa_exception_fp_ieee_invalid_op 0
		.amdhsa_exception_fp_denorm_src 0
		.amdhsa_exception_fp_ieee_div_zero 0
		.amdhsa_exception_fp_ieee_overflow 0
		.amdhsa_exception_fp_ieee_underflow 0
		.amdhsa_exception_fp_ieee_inexact 0
		.amdhsa_exception_int_div_zero 0
	.end_amdhsa_kernel
	.section	.text._ZL26rocblas_syr2k_scale_kernelIlLi128ELi8ELb1E19rocblas_complex_numIdES1_PKPS1_EvbiT_T3_T4_T5_S5_li,"axG",@progbits,_ZL26rocblas_syr2k_scale_kernelIlLi128ELi8ELb1E19rocblas_complex_numIdES1_PKPS1_EvbiT_T3_T4_T5_S5_li,comdat
.Lfunc_end1845:
	.size	_ZL26rocblas_syr2k_scale_kernelIlLi128ELi8ELb1E19rocblas_complex_numIdES1_PKPS1_EvbiT_T3_T4_T5_S5_li, .Lfunc_end1845-_ZL26rocblas_syr2k_scale_kernelIlLi128ELi8ELb1E19rocblas_complex_numIdES1_PKPS1_EvbiT_T3_T4_T5_S5_li
                                        ; -- End function
	.set _ZL26rocblas_syr2k_scale_kernelIlLi128ELi8ELb1E19rocblas_complex_numIdES1_PKPS1_EvbiT_T3_T4_T5_S5_li.num_vgpr, 13
	.set _ZL26rocblas_syr2k_scale_kernelIlLi128ELi8ELb1E19rocblas_complex_numIdES1_PKPS1_EvbiT_T3_T4_T5_S5_li.num_agpr, 0
	.set _ZL26rocblas_syr2k_scale_kernelIlLi128ELi8ELb1E19rocblas_complex_numIdES1_PKPS1_EvbiT_T3_T4_T5_S5_li.numbered_sgpr, 28
	.set _ZL26rocblas_syr2k_scale_kernelIlLi128ELi8ELb1E19rocblas_complex_numIdES1_PKPS1_EvbiT_T3_T4_T5_S5_li.num_named_barrier, 0
	.set _ZL26rocblas_syr2k_scale_kernelIlLi128ELi8ELb1E19rocblas_complex_numIdES1_PKPS1_EvbiT_T3_T4_T5_S5_li.private_seg_size, 0
	.set _ZL26rocblas_syr2k_scale_kernelIlLi128ELi8ELb1E19rocblas_complex_numIdES1_PKPS1_EvbiT_T3_T4_T5_S5_li.uses_vcc, 1
	.set _ZL26rocblas_syr2k_scale_kernelIlLi128ELi8ELb1E19rocblas_complex_numIdES1_PKPS1_EvbiT_T3_T4_T5_S5_li.uses_flat_scratch, 0
	.set _ZL26rocblas_syr2k_scale_kernelIlLi128ELi8ELb1E19rocblas_complex_numIdES1_PKPS1_EvbiT_T3_T4_T5_S5_li.has_dyn_sized_stack, 0
	.set _ZL26rocblas_syr2k_scale_kernelIlLi128ELi8ELb1E19rocblas_complex_numIdES1_PKPS1_EvbiT_T3_T4_T5_S5_li.has_recursion, 0
	.set _ZL26rocblas_syr2k_scale_kernelIlLi128ELi8ELb1E19rocblas_complex_numIdES1_PKPS1_EvbiT_T3_T4_T5_S5_li.has_indirect_call, 0
	.section	.AMDGPU.csdata,"",@progbits
; Kernel info:
; codeLenInByte = 400
; TotalNumSgprs: 32
; NumVgprs: 13
; ScratchSize: 0
; MemoryBound: 0
; FloatMode: 240
; IeeeMode: 1
; LDSByteSize: 0 bytes/workgroup (compile time only)
; SGPRBlocks: 3
; VGPRBlocks: 3
; NumSGPRsForWavesPerEU: 32
; NumVGPRsForWavesPerEU: 13
; Occupancy: 10
; WaveLimiterHint : 1
; COMPUTE_PGM_RSRC2:SCRATCH_EN: 0
; COMPUTE_PGM_RSRC2:USER_SGPR: 6
; COMPUTE_PGM_RSRC2:TRAP_HANDLER: 0
; COMPUTE_PGM_RSRC2:TGID_X_EN: 1
; COMPUTE_PGM_RSRC2:TGID_Y_EN: 1
; COMPUTE_PGM_RSRC2:TGID_Z_EN: 1
; COMPUTE_PGM_RSRC2:TIDIG_COMP_CNT: 1
	.section	.text._ZL26rocblas_syr2k_her2k_kernelIlLb0ELb1ELb0ELi32EPK19rocblas_complex_numIdEPKS3_PKPS1_EvbiT_T4_T5_S9_lSB_S9_lT6_S9_li,"axG",@progbits,_ZL26rocblas_syr2k_her2k_kernelIlLb0ELb1ELb0ELi32EPK19rocblas_complex_numIdEPKS3_PKPS1_EvbiT_T4_T5_S9_lSB_S9_lT6_S9_li,comdat
	.globl	_ZL26rocblas_syr2k_her2k_kernelIlLb0ELb1ELb0ELi32EPK19rocblas_complex_numIdEPKS3_PKPS1_EvbiT_T4_T5_S9_lSB_S9_lT6_S9_li ; -- Begin function _ZL26rocblas_syr2k_her2k_kernelIlLb0ELb1ELb0ELi32EPK19rocblas_complex_numIdEPKS3_PKPS1_EvbiT_T4_T5_S9_lSB_S9_lT6_S9_li
	.p2align	8
	.type	_ZL26rocblas_syr2k_her2k_kernelIlLb0ELb1ELb0ELi32EPK19rocblas_complex_numIdEPKS3_PKPS1_EvbiT_T4_T5_S9_lSB_S9_lT6_S9_li,@function
_ZL26rocblas_syr2k_her2k_kernelIlLb0ELb1ELb0ELi32EPK19rocblas_complex_numIdEPKS3_PKPS1_EvbiT_T4_T5_S9_lSB_S9_lT6_S9_li: ; @_ZL26rocblas_syr2k_her2k_kernelIlLb0ELb1ELb0ELi32EPK19rocblas_complex_numIdEPKS3_PKPS1_EvbiT_T4_T5_S9_lSB_S9_lT6_S9_li
; %bb.0:
	s_load_dwordx16 s[12:27], s[4:5], 0x8
	s_waitcnt lgkmcnt(0)
	s_load_dwordx4 s[28:31], s[14:15], 0x0
	s_waitcnt lgkmcnt(0)
	v_cmp_eq_f64_e64 s[0:1], s[28:29], 0
	v_cmp_eq_f64_e64 s[2:3], s[30:31], 0
	s_and_b64 s[0:1], s[0:1], s[2:3]
	s_and_b64 vcc, exec, s[0:1]
	s_cbranch_vccnz .LBB1846_13
; %bb.1:
	s_load_dwordx2 s[10:11], s[4:5], 0x0
	s_lshl_b32 s7, s7, 5
	s_lshl_b32 s6, s6, 5
	s_waitcnt lgkmcnt(0)
	s_and_b32 s0, 1, s10
	s_cmp_eq_u32 s0, 1
	s_cselect_b64 s[0:1], -1, 0
	s_and_b64 s[2:3], s[0:1], exec
	s_cselect_b32 s2, s6, s7
	s_cselect_b32 s3, s7, s6
	s_cmp_gt_i32 s2, s3
	s_cbranch_scc1 .LBB1846_13
; %bb.2:
	s_load_dwordx4 s[36:39], s[4:5], 0x48
	s_load_dwordx2 s[14:15], s[4:5], 0x58
	s_mov_b32 s9, 0
	s_lshl_b64 s[2:3], s[8:9], 3
	v_add_u32_e32 v8, s6, v0
	s_waitcnt lgkmcnt(0)
	s_add_u32 s4, s36, s2
	s_addc_u32 s5, s37, s3
	s_load_dwordx2 s[4:5], s[4:5], 0x0
	v_add_u32_e32 v12, s7, v1
	v_cmp_lt_i64_e64 s[6:7], s[12:13], 1
	s_lshl_b64 s[8:9], s[14:15], 4
	v_ashrrev_i32_e32 v11, 31, v8
	s_waitcnt lgkmcnt(0)
	s_add_u32 s10, s4, s8
	s_addc_u32 s33, s5, s9
	s_and_b64 vcc, exec, s[6:7]
	s_cbranch_vccnz .LBB1846_11
; %bb.3:
	s_add_u32 s4, s16, s2
	v_lshlrev_b32_e32 v18, 9, v0
	v_lshlrev_b32_e32 v2, 4, v1
	s_addc_u32 s5, s17, s3
	v_add_u32_e32 v19, v18, v2
	v_or_b32_e32 v20, 0x4000, v2
	v_ashrrev_i32_e32 v2, 31, v12
	s_load_dwordx2 s[14:15], s[4:5], 0x0
	v_mul_lo_u32 v7, s39, v12
	v_mul_lo_u32 v10, s38, v2
	v_mad_u64_u32 v[2:3], s[4:5], s38, v12, 0
	v_cndmask_b32_e64 v4, v8, v12, s[0:1]
	v_cndmask_b32_e64 v5, v12, v8, s[0:1]
	v_max_i32_e32 v6, v8, v12
	s_add_u32 s2, s22, s2
	v_cmp_gt_i32_e32 vcc, s11, v6
	v_cmp_le_i32_e64 s[4:5], v5, v4
	s_addc_u32 s3, s23, s3
	s_and_b64 s[6:7], s[4:5], vcc
	v_add3_u32 v3, v3, v10, v7
	v_mad_u64_u32 v[4:5], s[4:5], s24, v0, 0
	v_lshlrev_b64 v[2:3], 4, v[2:3]
	v_mov_b32_e32 v6, s33
	v_add_co_u32_e32 v7, vcc, s10, v2
	v_mov_b32_e32 v10, v8
	v_addc_co_u32_e32 v15, vcc, v6, v3, vcc
	v_mad_u64_u32 v[5:6], s[4:5], s25, v0, v[5:6]
	v_lshlrev_b64 v[2:3], 4, v[10:11]
	s_lshl_b64 s[4:5], s[26:27], 4
	v_add_co_u32_e32 v14, vcc, v7, v2
	v_addc_co_u32_e32 v15, vcc, v15, v3, vcc
	v_lshlrev_b64 v[2:3], 4, v[4:5]
	v_mov_b32_e32 v4, s5
	v_add_co_u32_e32 v6, vcc, s4, v2
	v_mov_b32_e32 v9, 0
	v_addc_co_u32_e32 v7, vcc, v3, v4, vcc
	v_mad_u64_u32 v[4:5], s[4:5], s18, v1, 0
	v_mov_b32_e32 v13, v9
	v_lshlrev_b64 v[2:3], 4, v[12:13]
	s_load_dwordx2 s[8:9], s[2:3], 0x0
	v_add_co_u32_e32 v6, vcc, v6, v2
	v_mov_b32_e32 v2, v5
	v_addc_co_u32_e32 v7, vcc, v7, v3, vcc
	v_mad_u64_u32 v[2:3], s[4:5], s19, v1, v[2:3]
	s_waitcnt lgkmcnt(0)
	v_mov_b32_e32 v10, s9
	v_add_co_u32_e32 v16, vcc, s8, v6
	v_mov_b32_e32 v5, v2
	v_lshlrev_b64 v[2:3], 4, v[4:5]
	v_addc_co_u32_e32 v17, vcc, v10, v7, vcc
	s_lshl_b64 s[4:5], s[20:21], 4
	v_mov_b32_e32 v4, s5
	v_add_co_u32_e32 v5, vcc, s4, v2
	v_addc_co_u32_e32 v4, vcc, v3, v4, vcc
	v_lshlrev_b64 v[2:3], 4, v[8:9]
	s_ashr_i32 s3, s11, 31
	v_add_co_u32_e32 v2, vcc, v5, v2
	s_mov_b32 s2, s11
	v_addc_co_u32_e32 v3, vcc, v4, v3, vcc
	v_cmp_gt_i64_e64 s[0:1], s[2:3], v[8:9]
	v_cmp_gt_i64_e64 s[2:3], s[2:3], v[12:13]
	v_mov_b32_e32 v4, s15
	v_add_co_u32_e32 v9, vcc, s14, v2
	v_add_u32_e32 v21, v20, v18
	s_lshl_b64 s[8:9], s[24:25], 9
	v_addc_co_u32_e32 v10, vcc, v4, v3, vcc
	s_lshl_b64 s[14:15], s[18:19], 9
	s_mov_b64 s[16:17], 0
	s_branch .LBB1846_5
.LBB1846_4:                             ;   in Loop: Header=BB1846_5 Depth=1
	s_or_b64 exec, exec, s[4:5]
	v_mov_b32_e32 v2, s9
	v_add_co_u32_e32 v16, vcc, s8, v16
	s_add_u32 s16, s16, 32
	v_addc_co_u32_e32 v17, vcc, v17, v2, vcc
	v_mov_b32_e32 v2, s12
	s_addc_u32 s17, s17, 0
	v_mov_b32_e32 v3, s13
	v_cmp_ge_i64_e32 vcc, s[16:17], v[2:3]
	v_mov_b32_e32 v4, s15
	v_add_co_u32_e64 v9, s[4:5], s14, v9
	v_addc_co_u32_e64 v10, s[4:5], v10, v4, s[4:5]
	s_waitcnt vmcnt(0) lgkmcnt(0)
	s_barrier
	s_cbranch_vccnz .LBB1846_11
.LBB1846_5:                             ; =>This Inner Loop Header: Depth=1
	v_mov_b32_e32 v3, s17
	v_add_co_u32_e32 v2, vcc, s16, v1
	v_addc_co_u32_e32 v3, vcc, 0, v3, vcc
	v_cmp_gt_i64_e32 vcc, s[12:13], v[2:3]
	v_mov_b32_e32 v2, 0
	v_mov_b32_e32 v4, 0
	v_mov_b32_e32 v6, 0
	v_mov_b32_e32 v3, 0
	v_mov_b32_e32 v5, 0
	v_mov_b32_e32 v7, 0
	s_and_b64 s[18:19], s[0:1], vcc
	s_and_saveexec_b64 s[4:5], s[18:19]
	s_cbranch_execz .LBB1846_7
; %bb.6:                                ;   in Loop: Header=BB1846_5 Depth=1
	flat_load_dwordx4 v[4:7], v[9:10]
.LBB1846_7:                             ;   in Loop: Header=BB1846_5 Depth=1
	s_or_b64 exec, exec, s[4:5]
	s_waitcnt vmcnt(0) lgkmcnt(0)
	ds_write_b128 v19, v[4:7]
	v_mov_b32_e32 v5, s17
	v_add_co_u32_e32 v4, vcc, s16, v0
	v_addc_co_u32_e32 v5, vcc, 0, v5, vcc
	v_cmp_gt_i64_e32 vcc, s[12:13], v[4:5]
	v_mov_b32_e32 v4, 0
	v_mov_b32_e32 v5, 0
	s_and_b64 s[18:19], s[2:3], vcc
	s_and_saveexec_b64 s[4:5], s[18:19]
	s_cbranch_execz .LBB1846_9
; %bb.8:                                ;   in Loop: Header=BB1846_5 Depth=1
	flat_load_dwordx4 v[2:5], v[16:17]
	s_waitcnt vmcnt(0) lgkmcnt(0)
	v_xor_b32_e32 v5, 0x80000000, v5
.LBB1846_9:                             ;   in Loop: Header=BB1846_5 Depth=1
	s_or_b64 exec, exec, s[4:5]
	ds_write_b128 v21, v[2:5]
	s_waitcnt lgkmcnt(0)
	s_barrier
	s_and_saveexec_b64 s[4:5], s[6:7]
	s_cbranch_execz .LBB1846_4
; %bb.10:                               ;   in Loop: Header=BB1846_5 Depth=1
	ds_read_b128 v[22:25], v20
	ds_read_b128 v[26:29], v18
	ds_read_b128 v[30:33], v18 offset:16
	ds_read_b128 v[34:37], v18 offset:32
	;; [unrolled: 1-line block ×3, first 2 shown]
	s_waitcnt lgkmcnt(3)
	v_mul_f64 v[6:7], v[24:25], v[28:29]
	v_fma_f64 v[6:7], v[22:23], v[26:27], -v[6:7]
	v_mul_f64 v[22:23], v[22:23], v[28:29]
	v_add_f64 v[6:7], v[6:7], 0
	v_fma_f64 v[22:23], v[24:25], v[26:27], v[22:23]
	v_add_f64 v[26:27], v[22:23], 0
	ds_read_b128 v[22:25], v20 offset:512
	s_waitcnt lgkmcnt(0)
	v_mul_f64 v[28:29], v[24:25], v[32:33]
	v_fma_f64 v[28:29], v[22:23], v[30:31], -v[28:29]
	v_mul_f64 v[22:23], v[22:23], v[32:33]
	v_add_f64 v[6:7], v[6:7], v[28:29]
	v_fma_f64 v[22:23], v[24:25], v[30:31], v[22:23]
	v_add_f64 v[26:27], v[26:27], v[22:23]
	ds_read_b128 v[22:25], v20 offset:1024
	;; [unrolled: 8-line block ×3, first 2 shown]
	s_waitcnt lgkmcnt(0)
	v_mul_f64 v[28:29], v[24:25], v[4:5]
	v_mul_f64 v[4:5], v[22:23], v[4:5]
	v_fma_f64 v[28:29], v[22:23], v[2:3], -v[28:29]
	v_fma_f64 v[2:3], v[24:25], v[2:3], v[4:5]
	v_add_f64 v[6:7], v[6:7], v[28:29]
	v_add_f64 v[26:27], v[26:27], v[2:3]
	ds_read_b128 v[2:5], v20 offset:2048
	ds_read_b128 v[22:25], v18 offset:64
	s_waitcnt lgkmcnt(0)
	v_mul_f64 v[28:29], v[4:5], v[24:25]
	v_fma_f64 v[28:29], v[2:3], v[22:23], -v[28:29]
	v_mul_f64 v[2:3], v[2:3], v[24:25]
	v_add_f64 v[6:7], v[6:7], v[28:29]
	v_fma_f64 v[2:3], v[4:5], v[22:23], v[2:3]
	v_add_f64 v[26:27], v[26:27], v[2:3]
	ds_read_b128 v[2:5], v20 offset:2560
	ds_read_b128 v[22:25], v18 offset:80
	s_waitcnt lgkmcnt(0)
	v_mul_f64 v[28:29], v[4:5], v[24:25]
	v_fma_f64 v[28:29], v[2:3], v[22:23], -v[28:29]
	v_mul_f64 v[2:3], v[2:3], v[24:25]
	v_add_f64 v[6:7], v[6:7], v[28:29]
	v_fma_f64 v[2:3], v[4:5], v[22:23], v[2:3]
	v_add_f64 v[26:27], v[26:27], v[2:3]
	ds_read_b128 v[2:5], v20 offset:3072
	ds_read_b128 v[22:25], v18 offset:96
	s_waitcnt lgkmcnt(0)
	v_mul_f64 v[28:29], v[4:5], v[24:25]
	v_fma_f64 v[28:29], v[2:3], v[22:23], -v[28:29]
	v_mul_f64 v[2:3], v[2:3], v[24:25]
	v_add_f64 v[6:7], v[6:7], v[28:29]
	v_fma_f64 v[2:3], v[4:5], v[22:23], v[2:3]
	v_add_f64 v[26:27], v[26:27], v[2:3]
	ds_read_b128 v[2:5], v20 offset:3584
	ds_read_b128 v[22:25], v18 offset:112
	s_waitcnt lgkmcnt(0)
	v_mul_f64 v[28:29], v[4:5], v[24:25]
	v_fma_f64 v[28:29], v[2:3], v[22:23], -v[28:29]
	v_mul_f64 v[2:3], v[2:3], v[24:25]
	v_add_f64 v[6:7], v[6:7], v[28:29]
	v_fma_f64 v[2:3], v[4:5], v[22:23], v[2:3]
	v_add_f64 v[26:27], v[26:27], v[2:3]
	ds_read_b128 v[2:5], v20 offset:4096
	ds_read_b128 v[22:25], v18 offset:128
	s_waitcnt lgkmcnt(0)
	v_mul_f64 v[28:29], v[4:5], v[24:25]
	v_fma_f64 v[28:29], v[2:3], v[22:23], -v[28:29]
	v_mul_f64 v[2:3], v[2:3], v[24:25]
	v_add_f64 v[6:7], v[6:7], v[28:29]
	v_fma_f64 v[2:3], v[4:5], v[22:23], v[2:3]
	v_add_f64 v[26:27], v[26:27], v[2:3]
	ds_read_b128 v[2:5], v20 offset:4608
	ds_read_b128 v[22:25], v18 offset:144
	s_waitcnt lgkmcnt(0)
	v_mul_f64 v[28:29], v[4:5], v[24:25]
	v_fma_f64 v[28:29], v[2:3], v[22:23], -v[28:29]
	v_mul_f64 v[2:3], v[2:3], v[24:25]
	v_add_f64 v[6:7], v[6:7], v[28:29]
	v_fma_f64 v[2:3], v[4:5], v[22:23], v[2:3]
	v_add_f64 v[26:27], v[26:27], v[2:3]
	ds_read_b128 v[2:5], v20 offset:5120
	ds_read_b128 v[22:25], v18 offset:160
	s_waitcnt lgkmcnt(0)
	v_mul_f64 v[28:29], v[4:5], v[24:25]
	v_fma_f64 v[28:29], v[2:3], v[22:23], -v[28:29]
	v_mul_f64 v[2:3], v[2:3], v[24:25]
	v_add_f64 v[6:7], v[6:7], v[28:29]
	v_fma_f64 v[2:3], v[4:5], v[22:23], v[2:3]
	v_add_f64 v[26:27], v[26:27], v[2:3]
	ds_read_b128 v[2:5], v20 offset:5632
	ds_read_b128 v[22:25], v18 offset:176
	s_waitcnt lgkmcnt(0)
	v_mul_f64 v[28:29], v[4:5], v[24:25]
	v_fma_f64 v[28:29], v[2:3], v[22:23], -v[28:29]
	v_mul_f64 v[2:3], v[2:3], v[24:25]
	v_add_f64 v[6:7], v[6:7], v[28:29]
	v_fma_f64 v[2:3], v[4:5], v[22:23], v[2:3]
	v_add_f64 v[26:27], v[26:27], v[2:3]
	ds_read_b128 v[2:5], v20 offset:6144
	ds_read_b128 v[22:25], v18 offset:192
	s_waitcnt lgkmcnt(0)
	v_mul_f64 v[28:29], v[4:5], v[24:25]
	v_fma_f64 v[28:29], v[2:3], v[22:23], -v[28:29]
	v_mul_f64 v[2:3], v[2:3], v[24:25]
	v_add_f64 v[6:7], v[6:7], v[28:29]
	v_fma_f64 v[2:3], v[4:5], v[22:23], v[2:3]
	v_add_f64 v[26:27], v[26:27], v[2:3]
	ds_read_b128 v[2:5], v20 offset:6656
	ds_read_b128 v[22:25], v18 offset:208
	s_waitcnt lgkmcnt(0)
	v_mul_f64 v[28:29], v[4:5], v[24:25]
	v_fma_f64 v[28:29], v[2:3], v[22:23], -v[28:29]
	v_mul_f64 v[2:3], v[2:3], v[24:25]
	v_add_f64 v[6:7], v[6:7], v[28:29]
	v_fma_f64 v[2:3], v[4:5], v[22:23], v[2:3]
	v_add_f64 v[26:27], v[26:27], v[2:3]
	ds_read_b128 v[2:5], v20 offset:7168
	ds_read_b128 v[22:25], v18 offset:224
	s_waitcnt lgkmcnt(0)
	v_mul_f64 v[28:29], v[4:5], v[24:25]
	v_fma_f64 v[28:29], v[2:3], v[22:23], -v[28:29]
	v_mul_f64 v[2:3], v[2:3], v[24:25]
	v_add_f64 v[6:7], v[6:7], v[28:29]
	v_fma_f64 v[2:3], v[4:5], v[22:23], v[2:3]
	v_add_f64 v[26:27], v[26:27], v[2:3]
	ds_read_b128 v[2:5], v20 offset:7680
	ds_read_b128 v[22:25], v18 offset:240
	s_waitcnt lgkmcnt(0)
	v_mul_f64 v[28:29], v[4:5], v[24:25]
	v_fma_f64 v[28:29], v[2:3], v[22:23], -v[28:29]
	v_mul_f64 v[2:3], v[2:3], v[24:25]
	v_add_f64 v[6:7], v[6:7], v[28:29]
	v_fma_f64 v[2:3], v[4:5], v[22:23], v[2:3]
	v_add_f64 v[26:27], v[26:27], v[2:3]
	ds_read_b128 v[2:5], v20 offset:8192
	ds_read_b128 v[22:25], v18 offset:256
	s_waitcnt lgkmcnt(0)
	v_mul_f64 v[28:29], v[4:5], v[24:25]
	v_fma_f64 v[28:29], v[2:3], v[22:23], -v[28:29]
	v_mul_f64 v[2:3], v[2:3], v[24:25]
	v_add_f64 v[6:7], v[6:7], v[28:29]
	v_fma_f64 v[2:3], v[4:5], v[22:23], v[2:3]
	v_add_f64 v[26:27], v[26:27], v[2:3]
	ds_read_b128 v[2:5], v20 offset:8704
	ds_read_b128 v[22:25], v18 offset:272
	s_waitcnt lgkmcnt(0)
	v_mul_f64 v[28:29], v[4:5], v[24:25]
	v_fma_f64 v[28:29], v[2:3], v[22:23], -v[28:29]
	v_mul_f64 v[2:3], v[2:3], v[24:25]
	v_add_f64 v[6:7], v[6:7], v[28:29]
	v_fma_f64 v[2:3], v[4:5], v[22:23], v[2:3]
	v_add_f64 v[26:27], v[26:27], v[2:3]
	ds_read_b128 v[2:5], v20 offset:9216
	ds_read_b128 v[22:25], v18 offset:288
	s_waitcnt lgkmcnt(0)
	v_mul_f64 v[28:29], v[4:5], v[24:25]
	v_fma_f64 v[28:29], v[2:3], v[22:23], -v[28:29]
	v_mul_f64 v[2:3], v[2:3], v[24:25]
	v_add_f64 v[6:7], v[6:7], v[28:29]
	v_fma_f64 v[2:3], v[4:5], v[22:23], v[2:3]
	v_add_f64 v[26:27], v[26:27], v[2:3]
	ds_read_b128 v[2:5], v20 offset:9728
	ds_read_b128 v[22:25], v18 offset:304
	s_waitcnt lgkmcnt(0)
	v_mul_f64 v[28:29], v[4:5], v[24:25]
	v_fma_f64 v[28:29], v[2:3], v[22:23], -v[28:29]
	v_mul_f64 v[2:3], v[2:3], v[24:25]
	v_add_f64 v[6:7], v[6:7], v[28:29]
	v_fma_f64 v[2:3], v[4:5], v[22:23], v[2:3]
	v_add_f64 v[26:27], v[26:27], v[2:3]
	ds_read_b128 v[2:5], v20 offset:10240
	ds_read_b128 v[22:25], v18 offset:320
	s_waitcnt lgkmcnt(0)
	v_mul_f64 v[28:29], v[4:5], v[24:25]
	v_fma_f64 v[28:29], v[2:3], v[22:23], -v[28:29]
	v_mul_f64 v[2:3], v[2:3], v[24:25]
	v_add_f64 v[6:7], v[6:7], v[28:29]
	v_fma_f64 v[2:3], v[4:5], v[22:23], v[2:3]
	v_add_f64 v[26:27], v[26:27], v[2:3]
	ds_read_b128 v[2:5], v20 offset:10752
	ds_read_b128 v[22:25], v18 offset:336
	s_waitcnt lgkmcnt(0)
	v_mul_f64 v[28:29], v[4:5], v[24:25]
	v_fma_f64 v[28:29], v[2:3], v[22:23], -v[28:29]
	v_mul_f64 v[2:3], v[2:3], v[24:25]
	v_add_f64 v[6:7], v[6:7], v[28:29]
	v_fma_f64 v[2:3], v[4:5], v[22:23], v[2:3]
	v_add_f64 v[26:27], v[26:27], v[2:3]
	ds_read_b128 v[2:5], v20 offset:11264
	ds_read_b128 v[22:25], v18 offset:352
	s_waitcnt lgkmcnt(0)
	v_mul_f64 v[28:29], v[4:5], v[24:25]
	v_fma_f64 v[28:29], v[2:3], v[22:23], -v[28:29]
	v_mul_f64 v[2:3], v[2:3], v[24:25]
	v_add_f64 v[6:7], v[6:7], v[28:29]
	v_fma_f64 v[2:3], v[4:5], v[22:23], v[2:3]
	v_add_f64 v[26:27], v[26:27], v[2:3]
	ds_read_b128 v[2:5], v20 offset:11776
	ds_read_b128 v[22:25], v18 offset:368
	s_waitcnt lgkmcnt(0)
	v_mul_f64 v[28:29], v[4:5], v[24:25]
	v_fma_f64 v[28:29], v[2:3], v[22:23], -v[28:29]
	v_mul_f64 v[2:3], v[2:3], v[24:25]
	v_add_f64 v[6:7], v[6:7], v[28:29]
	v_fma_f64 v[2:3], v[4:5], v[22:23], v[2:3]
	v_add_f64 v[26:27], v[26:27], v[2:3]
	ds_read_b128 v[2:5], v20 offset:12288
	ds_read_b128 v[22:25], v18 offset:384
	s_waitcnt lgkmcnt(0)
	v_mul_f64 v[28:29], v[4:5], v[24:25]
	v_fma_f64 v[28:29], v[2:3], v[22:23], -v[28:29]
	v_mul_f64 v[2:3], v[2:3], v[24:25]
	v_add_f64 v[6:7], v[6:7], v[28:29]
	v_fma_f64 v[2:3], v[4:5], v[22:23], v[2:3]
	v_add_f64 v[26:27], v[26:27], v[2:3]
	ds_read_b128 v[2:5], v20 offset:12800
	ds_read_b128 v[22:25], v18 offset:400
	s_waitcnt lgkmcnt(0)
	v_mul_f64 v[28:29], v[4:5], v[24:25]
	v_fma_f64 v[28:29], v[2:3], v[22:23], -v[28:29]
	v_mul_f64 v[2:3], v[2:3], v[24:25]
	v_add_f64 v[6:7], v[6:7], v[28:29]
	v_fma_f64 v[2:3], v[4:5], v[22:23], v[2:3]
	v_add_f64 v[26:27], v[26:27], v[2:3]
	ds_read_b128 v[2:5], v20 offset:13312
	ds_read_b128 v[22:25], v18 offset:416
	s_waitcnt lgkmcnt(0)
	v_mul_f64 v[28:29], v[4:5], v[24:25]
	v_fma_f64 v[28:29], v[2:3], v[22:23], -v[28:29]
	v_mul_f64 v[2:3], v[2:3], v[24:25]
	v_add_f64 v[6:7], v[6:7], v[28:29]
	v_fma_f64 v[2:3], v[4:5], v[22:23], v[2:3]
	v_add_f64 v[26:27], v[26:27], v[2:3]
	ds_read_b128 v[2:5], v20 offset:13824
	ds_read_b128 v[22:25], v18 offset:432
	s_waitcnt lgkmcnt(0)
	v_mul_f64 v[28:29], v[4:5], v[24:25]
	v_fma_f64 v[28:29], v[2:3], v[22:23], -v[28:29]
	v_mul_f64 v[2:3], v[2:3], v[24:25]
	v_add_f64 v[6:7], v[6:7], v[28:29]
	v_fma_f64 v[2:3], v[4:5], v[22:23], v[2:3]
	v_add_f64 v[26:27], v[26:27], v[2:3]
	ds_read_b128 v[2:5], v20 offset:14336
	ds_read_b128 v[22:25], v18 offset:448
	s_waitcnt lgkmcnt(0)
	v_mul_f64 v[28:29], v[4:5], v[24:25]
	v_fma_f64 v[28:29], v[2:3], v[22:23], -v[28:29]
	v_mul_f64 v[2:3], v[2:3], v[24:25]
	v_add_f64 v[6:7], v[6:7], v[28:29]
	v_fma_f64 v[2:3], v[4:5], v[22:23], v[2:3]
	v_add_f64 v[26:27], v[26:27], v[2:3]
	ds_read_b128 v[2:5], v20 offset:14848
	ds_read_b128 v[22:25], v18 offset:464
	s_waitcnt lgkmcnt(0)
	v_mul_f64 v[28:29], v[4:5], v[24:25]
	v_fma_f64 v[28:29], v[2:3], v[22:23], -v[28:29]
	v_mul_f64 v[2:3], v[2:3], v[24:25]
	v_add_f64 v[6:7], v[6:7], v[28:29]
	v_fma_f64 v[2:3], v[4:5], v[22:23], v[2:3]
	v_add_f64 v[26:27], v[26:27], v[2:3]
	ds_read_b128 v[2:5], v20 offset:15360
	ds_read_b128 v[22:25], v18 offset:480
	s_waitcnt lgkmcnt(0)
	v_mul_f64 v[28:29], v[4:5], v[24:25]
	v_fma_f64 v[28:29], v[2:3], v[22:23], -v[28:29]
	v_mul_f64 v[2:3], v[2:3], v[24:25]
	v_add_f64 v[6:7], v[6:7], v[28:29]
	v_fma_f64 v[2:3], v[4:5], v[22:23], v[2:3]
	v_add_f64 v[26:27], v[26:27], v[2:3]
	ds_read_b128 v[2:5], v20 offset:15872
	ds_read_b128 v[22:25], v18 offset:496
	s_waitcnt lgkmcnt(0)
	v_mul_f64 v[28:29], v[4:5], v[24:25]
	v_fma_f64 v[28:29], v[2:3], v[22:23], -v[28:29]
	v_mul_f64 v[2:3], v[2:3], v[24:25]
	v_fma_f64 v[2:3], v[4:5], v[22:23], v[2:3]
	flat_load_dwordx4 v[22:25], v[14:15]
	v_add_f64 v[4:5], v[6:7], v[28:29]
	v_add_f64 v[6:7], v[26:27], v[2:3]
	v_mul_f64 v[2:3], s[30:31], v[6:7]
	v_mul_f64 v[6:7], s[28:29], v[6:7]
	v_fma_f64 v[2:3], s[28:29], v[4:5], -v[2:3]
	v_fma_f64 v[4:5], s[30:31], v[4:5], v[6:7]
	s_waitcnt vmcnt(0) lgkmcnt(0)
	v_add_f64 v[2:3], v[22:23], v[2:3]
	v_add_f64 v[4:5], v[24:25], v[4:5]
	flat_store_dwordx4 v[14:15], v[2:5]
	s_branch .LBB1846_4
.LBB1846_11:
	v_cmp_eq_u32_e32 vcc, v8, v12
	v_cmp_gt_i32_e64 s[0:1], s11, v8
	s_and_b64 s[0:1], vcc, s[0:1]
	s_and_saveexec_b64 s[2:3], s[0:1]
	s_cbranch_execz .LBB1846_13
; %bb.12:
	v_mul_lo_u32 v2, s39, v8
	v_mul_lo_u32 v3, s38, v11
	v_mad_u64_u32 v[0:1], s[0:1], s38, v8, 0
	v_mov_b32_e32 v9, v11
	v_add3_u32 v1, v1, v3, v2
	v_lshlrev_b64 v[0:1], 4, v[0:1]
	v_mov_b32_e32 v2, s33
	v_add_co_u32_e32 v3, vcc, s10, v0
	v_addc_co_u32_e32 v2, vcc, v2, v1, vcc
	v_lshlrev_b64 v[0:1], 4, v[8:9]
	v_add_co_u32_e32 v0, vcc, v3, v0
	v_addc_co_u32_e32 v1, vcc, v2, v1, vcc
	v_mov_b32_e32 v2, 0
	v_mov_b32_e32 v3, v2
	flat_store_dwordx2 v[0:1], v[2:3] offset:8
.LBB1846_13:
	s_endpgm
	.section	.rodata,"a",@progbits
	.p2align	6, 0x0
	.amdhsa_kernel _ZL26rocblas_syr2k_her2k_kernelIlLb0ELb1ELb0ELi32EPK19rocblas_complex_numIdEPKS3_PKPS1_EvbiT_T4_T5_S9_lSB_S9_lT6_S9_li
		.amdhsa_group_segment_fixed_size 32768
		.amdhsa_private_segment_fixed_size 0
		.amdhsa_kernarg_size 100
		.amdhsa_user_sgpr_count 6
		.amdhsa_user_sgpr_private_segment_buffer 1
		.amdhsa_user_sgpr_dispatch_ptr 0
		.amdhsa_user_sgpr_queue_ptr 0
		.amdhsa_user_sgpr_kernarg_segment_ptr 1
		.amdhsa_user_sgpr_dispatch_id 0
		.amdhsa_user_sgpr_flat_scratch_init 0
		.amdhsa_user_sgpr_private_segment_size 0
		.amdhsa_uses_dynamic_stack 0
		.amdhsa_system_sgpr_private_segment_wavefront_offset 0
		.amdhsa_system_sgpr_workgroup_id_x 1
		.amdhsa_system_sgpr_workgroup_id_y 1
		.amdhsa_system_sgpr_workgroup_id_z 1
		.amdhsa_system_sgpr_workgroup_info 0
		.amdhsa_system_vgpr_workitem_id 1
		.amdhsa_next_free_vgpr 38
		.amdhsa_next_free_sgpr 61
		.amdhsa_reserve_vcc 1
		.amdhsa_reserve_flat_scratch 0
		.amdhsa_float_round_mode_32 0
		.amdhsa_float_round_mode_16_64 0
		.amdhsa_float_denorm_mode_32 3
		.amdhsa_float_denorm_mode_16_64 3
		.amdhsa_dx10_clamp 1
		.amdhsa_ieee_mode 1
		.amdhsa_fp16_overflow 0
		.amdhsa_exception_fp_ieee_invalid_op 0
		.amdhsa_exception_fp_denorm_src 0
		.amdhsa_exception_fp_ieee_div_zero 0
		.amdhsa_exception_fp_ieee_overflow 0
		.amdhsa_exception_fp_ieee_underflow 0
		.amdhsa_exception_fp_ieee_inexact 0
		.amdhsa_exception_int_div_zero 0
	.end_amdhsa_kernel
	.section	.text._ZL26rocblas_syr2k_her2k_kernelIlLb0ELb1ELb0ELi32EPK19rocblas_complex_numIdEPKS3_PKPS1_EvbiT_T4_T5_S9_lSB_S9_lT6_S9_li,"axG",@progbits,_ZL26rocblas_syr2k_her2k_kernelIlLb0ELb1ELb0ELi32EPK19rocblas_complex_numIdEPKS3_PKPS1_EvbiT_T4_T5_S9_lSB_S9_lT6_S9_li,comdat
.Lfunc_end1846:
	.size	_ZL26rocblas_syr2k_her2k_kernelIlLb0ELb1ELb0ELi32EPK19rocblas_complex_numIdEPKS3_PKPS1_EvbiT_T4_T5_S9_lSB_S9_lT6_S9_li, .Lfunc_end1846-_ZL26rocblas_syr2k_her2k_kernelIlLb0ELb1ELb0ELi32EPK19rocblas_complex_numIdEPKS3_PKPS1_EvbiT_T4_T5_S9_lSB_S9_lT6_S9_li
                                        ; -- End function
	.set _ZL26rocblas_syr2k_her2k_kernelIlLb0ELb1ELb0ELi32EPK19rocblas_complex_numIdEPKS3_PKPS1_EvbiT_T4_T5_S9_lSB_S9_lT6_S9_li.num_vgpr, 38
	.set _ZL26rocblas_syr2k_her2k_kernelIlLb0ELb1ELb0ELi32EPK19rocblas_complex_numIdEPKS3_PKPS1_EvbiT_T4_T5_S9_lSB_S9_lT6_S9_li.num_agpr, 0
	.set _ZL26rocblas_syr2k_her2k_kernelIlLb0ELb1ELb0ELi32EPK19rocblas_complex_numIdEPKS3_PKPS1_EvbiT_T4_T5_S9_lSB_S9_lT6_S9_li.numbered_sgpr, 40
	.set _ZL26rocblas_syr2k_her2k_kernelIlLb0ELb1ELb0ELi32EPK19rocblas_complex_numIdEPKS3_PKPS1_EvbiT_T4_T5_S9_lSB_S9_lT6_S9_li.num_named_barrier, 0
	.set _ZL26rocblas_syr2k_her2k_kernelIlLb0ELb1ELb0ELi32EPK19rocblas_complex_numIdEPKS3_PKPS1_EvbiT_T4_T5_S9_lSB_S9_lT6_S9_li.private_seg_size, 0
	.set _ZL26rocblas_syr2k_her2k_kernelIlLb0ELb1ELb0ELi32EPK19rocblas_complex_numIdEPKS3_PKPS1_EvbiT_T4_T5_S9_lSB_S9_lT6_S9_li.uses_vcc, 1
	.set _ZL26rocblas_syr2k_her2k_kernelIlLb0ELb1ELb0ELi32EPK19rocblas_complex_numIdEPKS3_PKPS1_EvbiT_T4_T5_S9_lSB_S9_lT6_S9_li.uses_flat_scratch, 0
	.set _ZL26rocblas_syr2k_her2k_kernelIlLb0ELb1ELb0ELi32EPK19rocblas_complex_numIdEPKS3_PKPS1_EvbiT_T4_T5_S9_lSB_S9_lT6_S9_li.has_dyn_sized_stack, 0
	.set _ZL26rocblas_syr2k_her2k_kernelIlLb0ELb1ELb0ELi32EPK19rocblas_complex_numIdEPKS3_PKPS1_EvbiT_T4_T5_S9_lSB_S9_lT6_S9_li.has_recursion, 0
	.set _ZL26rocblas_syr2k_her2k_kernelIlLb0ELb1ELb0ELi32EPK19rocblas_complex_numIdEPKS3_PKPS1_EvbiT_T4_T5_S9_lSB_S9_lT6_S9_li.has_indirect_call, 0
	.section	.AMDGPU.csdata,"",@progbits
; Kernel info:
; codeLenInByte = 3148
; TotalNumSgprs: 44
; NumVgprs: 38
; ScratchSize: 0
; MemoryBound: 1
; FloatMode: 240
; IeeeMode: 1
; LDSByteSize: 32768 bytes/workgroup (compile time only)
; SGPRBlocks: 8
; VGPRBlocks: 9
; NumSGPRsForWavesPerEU: 65
; NumVGPRsForWavesPerEU: 38
; Occupancy: 6
; WaveLimiterHint : 1
; COMPUTE_PGM_RSRC2:SCRATCH_EN: 0
; COMPUTE_PGM_RSRC2:USER_SGPR: 6
; COMPUTE_PGM_RSRC2:TRAP_HANDLER: 0
; COMPUTE_PGM_RSRC2:TGID_X_EN: 1
; COMPUTE_PGM_RSRC2:TGID_Y_EN: 1
; COMPUTE_PGM_RSRC2:TGID_Z_EN: 1
; COMPUTE_PGM_RSRC2:TIDIG_COMP_CNT: 1
	.section	.text._ZL26rocblas_syr2k_her2k_kernelIlLb0ELb1ELb1ELi32EPK19rocblas_complex_numIdEPKS3_PKPS1_EvbiT_T4_T5_S9_lSB_S9_lT6_S9_li,"axG",@progbits,_ZL26rocblas_syr2k_her2k_kernelIlLb0ELb1ELb1ELi32EPK19rocblas_complex_numIdEPKS3_PKPS1_EvbiT_T4_T5_S9_lSB_S9_lT6_S9_li,comdat
	.globl	_ZL26rocblas_syr2k_her2k_kernelIlLb0ELb1ELb1ELi32EPK19rocblas_complex_numIdEPKS3_PKPS1_EvbiT_T4_T5_S9_lSB_S9_lT6_S9_li ; -- Begin function _ZL26rocblas_syr2k_her2k_kernelIlLb0ELb1ELb1ELi32EPK19rocblas_complex_numIdEPKS3_PKPS1_EvbiT_T4_T5_S9_lSB_S9_lT6_S9_li
	.p2align	8
	.type	_ZL26rocblas_syr2k_her2k_kernelIlLb0ELb1ELb1ELi32EPK19rocblas_complex_numIdEPKS3_PKPS1_EvbiT_T4_T5_S9_lSB_S9_lT6_S9_li,@function
_ZL26rocblas_syr2k_her2k_kernelIlLb0ELb1ELb1ELi32EPK19rocblas_complex_numIdEPKS3_PKPS1_EvbiT_T4_T5_S9_lSB_S9_lT6_S9_li: ; @_ZL26rocblas_syr2k_her2k_kernelIlLb0ELb1ELb1ELi32EPK19rocblas_complex_numIdEPKS3_PKPS1_EvbiT_T4_T5_S9_lSB_S9_lT6_S9_li
; %bb.0:
	s_load_dwordx16 s[12:27], s[4:5], 0x8
	s_waitcnt lgkmcnt(0)
	s_load_dwordx4 s[28:31], s[14:15], 0x0
	s_waitcnt lgkmcnt(0)
	v_cmp_eq_f64_e64 s[0:1], s[28:29], 0
	v_cmp_eq_f64_e64 s[2:3], s[30:31], 0
	s_and_b64 s[0:1], s[0:1], s[2:3]
	s_and_b64 vcc, exec, s[0:1]
	s_cbranch_vccnz .LBB1847_13
; %bb.1:
	s_load_dwordx2 s[10:11], s[4:5], 0x0
	s_lshl_b32 s7, s7, 5
	s_lshl_b32 s6, s6, 5
	s_waitcnt lgkmcnt(0)
	s_and_b32 s0, 1, s10
	s_cmp_eq_u32 s0, 1
	s_cselect_b64 s[0:1], -1, 0
	s_and_b64 s[2:3], s[0:1], exec
	s_cselect_b32 s2, s6, s7
	s_cselect_b32 s3, s7, s6
	s_cmp_gt_i32 s2, s3
	s_cbranch_scc1 .LBB1847_13
; %bb.2:
	s_load_dwordx4 s[36:39], s[4:5], 0x48
	s_load_dwordx2 s[14:15], s[4:5], 0x58
	s_mov_b32 s9, 0
	s_lshl_b64 s[2:3], s[8:9], 3
	v_add_u32_e32 v8, s6, v0
	s_waitcnt lgkmcnt(0)
	s_add_u32 s4, s36, s2
	s_addc_u32 s5, s37, s3
	s_load_dwordx2 s[4:5], s[4:5], 0x0
	v_add_u32_e32 v10, s7, v1
	v_cmp_lt_i64_e64 s[6:7], s[12:13], 1
	s_lshl_b64 s[8:9], s[14:15], 4
	v_ashrrev_i32_e32 v17, 31, v8
	s_waitcnt lgkmcnt(0)
	s_add_u32 s10, s4, s8
	s_addc_u32 s14, s5, s9
	s_and_b64 vcc, exec, s[6:7]
	s_cbranch_vccnz .LBB1847_11
; %bb.3:
	s_add_u32 s4, s16, s2
	s_addc_u32 s5, s17, s3
	s_add_u32 s2, s22, s2
	s_addc_u32 s3, s23, s3
	v_mov_b32_e32 v9, 0
	s_load_dwordx2 s[16:17], s[2:3], 0x0
	s_ashr_i32 s3, s11, 31
	s_mov_b32 s2, s11
	v_mov_b32_e32 v11, v9
	v_ashrrev_i32_e32 v2, 31, v10
	s_load_dwordx2 s[8:9], s[4:5], 0x0
	v_cndmask_b32_e64 v4, v8, v10, s[0:1]
	v_cndmask_b32_e64 v5, v10, v8, s[0:1]
	v_cmp_gt_i64_e64 s[0:1], s[2:3], v[8:9]
	v_cmp_gt_i64_e64 s[2:3], s[2:3], v[10:11]
	v_mul_lo_u32 v9, s39, v10
	v_mul_lo_u32 v11, s38, v2
	v_mad_u64_u32 v[2:3], s[4:5], s38, v10, 0
	v_max_i32_e32 v6, v8, v10
	v_cmp_gt_i32_e32 vcc, s11, v6
	v_cmp_le_i32_e64 s[4:5], v5, v4
	s_and_b64 s[6:7], s[4:5], vcc
	v_add3_u32 v3, v3, v11, v9
	v_mad_u64_u32 v[4:5], s[4:5], s24, v10, 0
	v_lshlrev_b64 v[2:3], 4, v[2:3]
	v_mov_b32_e32 v6, s14
	v_add_co_u32_e32 v11, vcc, s10, v2
	v_mov_b32_e32 v9, v17
	v_addc_co_u32_e32 v12, vcc, v6, v3, vcc
	v_mad_u64_u32 v[5:6], s[4:5], s25, v10, v[5:6]
	v_lshlrev_b64 v[2:3], 4, v[8:9]
	s_lshl_b64 s[4:5], s[26:27], 4
	v_add_co_u32_e32 v11, vcc, v11, v2
	v_addc_co_u32_e32 v12, vcc, v12, v3, vcc
	v_lshlrev_b64 v[2:3], 4, v[4:5]
	v_mov_b32_e32 v4, s5
	v_add_co_u32_e32 v5, vcc, s4, v2
	v_addc_co_u32_e32 v4, vcc, v3, v4, vcc
	v_mad_u64_u32 v[2:3], s[4:5], s18, v8, 0
	v_lshlrev_b32_e32 v6, 4, v0
	v_add_co_u32_e32 v5, vcc, v5, v6
	v_addc_co_u32_e32 v6, vcc, 0, v4, vcc
	v_mad_u64_u32 v[3:4], s[4:5], s19, v8, v[3:4]
	s_waitcnt lgkmcnt(0)
	v_mov_b32_e32 v9, s17
	v_add_co_u32_e32 v13, vcc, s16, v5
	v_lshlrev_b64 v[2:3], 4, v[2:3]
	v_addc_co_u32_e32 v14, vcc, v9, v6, vcc
	s_lshl_b64 s[4:5], s[20:21], 4
	v_mov_b32_e32 v4, s5
	v_add_co_u32_e32 v2, vcc, s4, v2
	v_lshlrev_b32_e32 v7, 4, v1
	v_addc_co_u32_e32 v3, vcc, v3, v4, vcc
	v_add_co_u32_e32 v2, vcc, v2, v7
	v_addc_co_u32_e32 v3, vcc, 0, v3, vcc
	v_lshlrev_b32_e32 v18, 9, v0
	v_or_b32_e32 v20, 0x4000, v7
	v_mov_b32_e32 v4, s9
	v_add_co_u32_e32 v15, vcc, s8, v2
	v_add_u32_e32 v19, v18, v7
	v_add_u32_e32 v21, v20, v18
	v_addc_co_u32_e32 v16, vcc, v4, v3, vcc
	s_mov_b64 s[8:9], 0
	s_branch .LBB1847_5
.LBB1847_4:                             ;   in Loop: Header=BB1847_5 Depth=1
	s_or_b64 exec, exec, s[4:5]
	s_add_u32 s8, s8, 32
	v_add_co_u32_e32 v13, vcc, 0x200, v13
	v_mov_b32_e32 v2, s12
	s_addc_u32 s9, s9, 0
	v_addc_co_u32_e32 v14, vcc, 0, v14, vcc
	v_mov_b32_e32 v3, s13
	v_add_co_u32_e32 v15, vcc, 0x200, v15
	v_cmp_ge_i64_e64 s[4:5], s[8:9], v[2:3]
	v_addc_co_u32_e32 v16, vcc, 0, v16, vcc
	s_and_b64 vcc, exec, s[4:5]
	s_waitcnt vmcnt(0) lgkmcnt(0)
	s_barrier
	s_cbranch_vccnz .LBB1847_11
.LBB1847_5:                             ; =>This Inner Loop Header: Depth=1
	v_mov_b32_e32 v3, s9
	v_add_co_u32_e32 v2, vcc, s8, v1
	v_addc_co_u32_e32 v3, vcc, 0, v3, vcc
	v_cmp_gt_i64_e32 vcc, s[12:13], v[2:3]
	v_mov_b32_e32 v2, 0
	v_mov_b32_e32 v4, 0
	;; [unrolled: 1-line block ×6, first 2 shown]
	s_and_b64 s[16:17], s[0:1], vcc
	s_and_saveexec_b64 s[4:5], s[16:17]
	s_cbranch_execz .LBB1847_7
; %bb.6:                                ;   in Loop: Header=BB1847_5 Depth=1
	flat_load_dwordx4 v[4:7], v[15:16]
	s_waitcnt vmcnt(0) lgkmcnt(0)
	v_xor_b32_e32 v7, 0x80000000, v7
.LBB1847_7:                             ;   in Loop: Header=BB1847_5 Depth=1
	s_or_b64 exec, exec, s[4:5]
	ds_write_b128 v19, v[4:7]
	v_mov_b32_e32 v5, s9
	v_add_co_u32_e32 v4, vcc, s8, v0
	v_addc_co_u32_e32 v5, vcc, 0, v5, vcc
	v_cmp_gt_i64_e32 vcc, s[12:13], v[4:5]
	v_mov_b32_e32 v4, 0
	v_mov_b32_e32 v5, 0
	s_and_b64 s[16:17], s[2:3], vcc
	s_and_saveexec_b64 s[4:5], s[16:17]
	s_cbranch_execz .LBB1847_9
; %bb.8:                                ;   in Loop: Header=BB1847_5 Depth=1
	flat_load_dwordx4 v[2:5], v[13:14]
.LBB1847_9:                             ;   in Loop: Header=BB1847_5 Depth=1
	s_or_b64 exec, exec, s[4:5]
	s_waitcnt vmcnt(0) lgkmcnt(0)
	ds_write_b128 v21, v[2:5]
	s_waitcnt lgkmcnt(0)
	s_barrier
	s_and_saveexec_b64 s[4:5], s[6:7]
	s_cbranch_execz .LBB1847_4
; %bb.10:                               ;   in Loop: Header=BB1847_5 Depth=1
	ds_read_b128 v[22:25], v20
	ds_read_b128 v[26:29], v18
	ds_read_b128 v[30:33], v18 offset:16
	ds_read_b128 v[34:37], v18 offset:32
	;; [unrolled: 1-line block ×3, first 2 shown]
	s_waitcnt lgkmcnt(3)
	v_mul_f64 v[6:7], v[24:25], v[28:29]
	v_fma_f64 v[6:7], v[22:23], v[26:27], -v[6:7]
	v_mul_f64 v[22:23], v[22:23], v[28:29]
	v_add_f64 v[6:7], v[6:7], 0
	v_fma_f64 v[22:23], v[24:25], v[26:27], v[22:23]
	v_add_f64 v[26:27], v[22:23], 0
	ds_read_b128 v[22:25], v20 offset:512
	s_waitcnt lgkmcnt(0)
	v_mul_f64 v[28:29], v[24:25], v[32:33]
	v_fma_f64 v[28:29], v[22:23], v[30:31], -v[28:29]
	v_mul_f64 v[22:23], v[22:23], v[32:33]
	v_add_f64 v[6:7], v[6:7], v[28:29]
	v_fma_f64 v[22:23], v[24:25], v[30:31], v[22:23]
	v_add_f64 v[26:27], v[26:27], v[22:23]
	ds_read_b128 v[22:25], v20 offset:1024
	;; [unrolled: 8-line block ×3, first 2 shown]
	s_waitcnt lgkmcnt(0)
	v_mul_f64 v[28:29], v[24:25], v[4:5]
	v_mul_f64 v[4:5], v[22:23], v[4:5]
	v_fma_f64 v[28:29], v[22:23], v[2:3], -v[28:29]
	v_fma_f64 v[2:3], v[24:25], v[2:3], v[4:5]
	v_add_f64 v[6:7], v[6:7], v[28:29]
	v_add_f64 v[26:27], v[26:27], v[2:3]
	ds_read_b128 v[2:5], v20 offset:2048
	ds_read_b128 v[22:25], v18 offset:64
	s_waitcnt lgkmcnt(0)
	v_mul_f64 v[28:29], v[4:5], v[24:25]
	v_fma_f64 v[28:29], v[2:3], v[22:23], -v[28:29]
	v_mul_f64 v[2:3], v[2:3], v[24:25]
	v_add_f64 v[6:7], v[6:7], v[28:29]
	v_fma_f64 v[2:3], v[4:5], v[22:23], v[2:3]
	v_add_f64 v[26:27], v[26:27], v[2:3]
	ds_read_b128 v[2:5], v20 offset:2560
	ds_read_b128 v[22:25], v18 offset:80
	s_waitcnt lgkmcnt(0)
	v_mul_f64 v[28:29], v[4:5], v[24:25]
	v_fma_f64 v[28:29], v[2:3], v[22:23], -v[28:29]
	v_mul_f64 v[2:3], v[2:3], v[24:25]
	v_add_f64 v[6:7], v[6:7], v[28:29]
	v_fma_f64 v[2:3], v[4:5], v[22:23], v[2:3]
	;; [unrolled: 9-line block ×27, first 2 shown]
	v_add_f64 v[26:27], v[26:27], v[2:3]
	ds_read_b128 v[2:5], v20 offset:15872
	ds_read_b128 v[22:25], v18 offset:496
	s_waitcnt lgkmcnt(0)
	v_mul_f64 v[28:29], v[4:5], v[24:25]
	v_fma_f64 v[28:29], v[2:3], v[22:23], -v[28:29]
	v_mul_f64 v[2:3], v[2:3], v[24:25]
	v_fma_f64 v[2:3], v[4:5], v[22:23], v[2:3]
	flat_load_dwordx4 v[22:25], v[11:12]
	v_add_f64 v[4:5], v[6:7], v[28:29]
	v_add_f64 v[6:7], v[26:27], v[2:3]
	v_mul_f64 v[2:3], s[30:31], v[6:7]
	v_mul_f64 v[6:7], s[28:29], v[6:7]
	v_fma_f64 v[2:3], s[28:29], v[4:5], -v[2:3]
	v_fma_f64 v[4:5], s[30:31], v[4:5], v[6:7]
	s_waitcnt vmcnt(0) lgkmcnt(0)
	v_add_f64 v[2:3], v[22:23], v[2:3]
	v_add_f64 v[4:5], v[24:25], v[4:5]
	flat_store_dwordx4 v[11:12], v[2:5]
	s_branch .LBB1847_4
.LBB1847_11:
	v_cmp_eq_u32_e32 vcc, v8, v10
	v_cmp_gt_i32_e64 s[0:1], s11, v8
	s_and_b64 s[0:1], vcc, s[0:1]
	s_and_saveexec_b64 s[2:3], s[0:1]
	s_cbranch_execz .LBB1847_13
; %bb.12:
	v_mul_lo_u32 v2, s39, v8
	v_mul_lo_u32 v3, s38, v17
	v_mad_u64_u32 v[0:1], s[0:1], s38, v8, 0
	v_mov_b32_e32 v9, v17
	v_add3_u32 v1, v1, v3, v2
	v_lshlrev_b64 v[0:1], 4, v[0:1]
	v_mov_b32_e32 v2, s14
	v_add_co_u32_e32 v3, vcc, s10, v0
	v_addc_co_u32_e32 v2, vcc, v2, v1, vcc
	v_lshlrev_b64 v[0:1], 4, v[8:9]
	v_add_co_u32_e32 v0, vcc, v3, v0
	v_addc_co_u32_e32 v1, vcc, v2, v1, vcc
	v_mov_b32_e32 v2, 0
	v_mov_b32_e32 v3, v2
	flat_store_dwordx2 v[0:1], v[2:3] offset:8
.LBB1847_13:
	s_endpgm
	.section	.rodata,"a",@progbits
	.p2align	6, 0x0
	.amdhsa_kernel _ZL26rocblas_syr2k_her2k_kernelIlLb0ELb1ELb1ELi32EPK19rocblas_complex_numIdEPKS3_PKPS1_EvbiT_T4_T5_S9_lSB_S9_lT6_S9_li
		.amdhsa_group_segment_fixed_size 32768
		.amdhsa_private_segment_fixed_size 0
		.amdhsa_kernarg_size 100
		.amdhsa_user_sgpr_count 6
		.amdhsa_user_sgpr_private_segment_buffer 1
		.amdhsa_user_sgpr_dispatch_ptr 0
		.amdhsa_user_sgpr_queue_ptr 0
		.amdhsa_user_sgpr_kernarg_segment_ptr 1
		.amdhsa_user_sgpr_dispatch_id 0
		.amdhsa_user_sgpr_flat_scratch_init 0
		.amdhsa_user_sgpr_private_segment_size 0
		.amdhsa_uses_dynamic_stack 0
		.amdhsa_system_sgpr_private_segment_wavefront_offset 0
		.amdhsa_system_sgpr_workgroup_id_x 1
		.amdhsa_system_sgpr_workgroup_id_y 1
		.amdhsa_system_sgpr_workgroup_id_z 1
		.amdhsa_system_sgpr_workgroup_info 0
		.amdhsa_system_vgpr_workitem_id 1
		.amdhsa_next_free_vgpr 38
		.amdhsa_next_free_sgpr 61
		.amdhsa_reserve_vcc 1
		.amdhsa_reserve_flat_scratch 0
		.amdhsa_float_round_mode_32 0
		.amdhsa_float_round_mode_16_64 0
		.amdhsa_float_denorm_mode_32 3
		.amdhsa_float_denorm_mode_16_64 3
		.amdhsa_dx10_clamp 1
		.amdhsa_ieee_mode 1
		.amdhsa_fp16_overflow 0
		.amdhsa_exception_fp_ieee_invalid_op 0
		.amdhsa_exception_fp_denorm_src 0
		.amdhsa_exception_fp_ieee_div_zero 0
		.amdhsa_exception_fp_ieee_overflow 0
		.amdhsa_exception_fp_ieee_underflow 0
		.amdhsa_exception_fp_ieee_inexact 0
		.amdhsa_exception_int_div_zero 0
	.end_amdhsa_kernel
	.section	.text._ZL26rocblas_syr2k_her2k_kernelIlLb0ELb1ELb1ELi32EPK19rocblas_complex_numIdEPKS3_PKPS1_EvbiT_T4_T5_S9_lSB_S9_lT6_S9_li,"axG",@progbits,_ZL26rocblas_syr2k_her2k_kernelIlLb0ELb1ELb1ELi32EPK19rocblas_complex_numIdEPKS3_PKPS1_EvbiT_T4_T5_S9_lSB_S9_lT6_S9_li,comdat
.Lfunc_end1847:
	.size	_ZL26rocblas_syr2k_her2k_kernelIlLb0ELb1ELb1ELi32EPK19rocblas_complex_numIdEPKS3_PKPS1_EvbiT_T4_T5_S9_lSB_S9_lT6_S9_li, .Lfunc_end1847-_ZL26rocblas_syr2k_her2k_kernelIlLb0ELb1ELb1ELi32EPK19rocblas_complex_numIdEPKS3_PKPS1_EvbiT_T4_T5_S9_lSB_S9_lT6_S9_li
                                        ; -- End function
	.set _ZL26rocblas_syr2k_her2k_kernelIlLb0ELb1ELb1ELi32EPK19rocblas_complex_numIdEPKS3_PKPS1_EvbiT_T4_T5_S9_lSB_S9_lT6_S9_li.num_vgpr, 38
	.set _ZL26rocblas_syr2k_her2k_kernelIlLb0ELb1ELb1ELi32EPK19rocblas_complex_numIdEPKS3_PKPS1_EvbiT_T4_T5_S9_lSB_S9_lT6_S9_li.num_agpr, 0
	.set _ZL26rocblas_syr2k_her2k_kernelIlLb0ELb1ELb1ELi32EPK19rocblas_complex_numIdEPKS3_PKPS1_EvbiT_T4_T5_S9_lSB_S9_lT6_S9_li.numbered_sgpr, 40
	.set _ZL26rocblas_syr2k_her2k_kernelIlLb0ELb1ELb1ELi32EPK19rocblas_complex_numIdEPKS3_PKPS1_EvbiT_T4_T5_S9_lSB_S9_lT6_S9_li.num_named_barrier, 0
	.set _ZL26rocblas_syr2k_her2k_kernelIlLb0ELb1ELb1ELi32EPK19rocblas_complex_numIdEPKS3_PKPS1_EvbiT_T4_T5_S9_lSB_S9_lT6_S9_li.private_seg_size, 0
	.set _ZL26rocblas_syr2k_her2k_kernelIlLb0ELb1ELb1ELi32EPK19rocblas_complex_numIdEPKS3_PKPS1_EvbiT_T4_T5_S9_lSB_S9_lT6_S9_li.uses_vcc, 1
	.set _ZL26rocblas_syr2k_her2k_kernelIlLb0ELb1ELb1ELi32EPK19rocblas_complex_numIdEPKS3_PKPS1_EvbiT_T4_T5_S9_lSB_S9_lT6_S9_li.uses_flat_scratch, 0
	.set _ZL26rocblas_syr2k_her2k_kernelIlLb0ELb1ELb1ELi32EPK19rocblas_complex_numIdEPKS3_PKPS1_EvbiT_T4_T5_S9_lSB_S9_lT6_S9_li.has_dyn_sized_stack, 0
	.set _ZL26rocblas_syr2k_her2k_kernelIlLb0ELb1ELb1ELi32EPK19rocblas_complex_numIdEPKS3_PKPS1_EvbiT_T4_T5_S9_lSB_S9_lT6_S9_li.has_recursion, 0
	.set _ZL26rocblas_syr2k_her2k_kernelIlLb0ELb1ELb1ELi32EPK19rocblas_complex_numIdEPKS3_PKPS1_EvbiT_T4_T5_S9_lSB_S9_lT6_S9_li.has_indirect_call, 0
	.section	.AMDGPU.csdata,"",@progbits
; Kernel info:
; codeLenInByte = 3120
; TotalNumSgprs: 44
; NumVgprs: 38
; ScratchSize: 0
; MemoryBound: 1
; FloatMode: 240
; IeeeMode: 1
; LDSByteSize: 32768 bytes/workgroup (compile time only)
; SGPRBlocks: 8
; VGPRBlocks: 9
; NumSGPRsForWavesPerEU: 65
; NumVGPRsForWavesPerEU: 38
; Occupancy: 6
; WaveLimiterHint : 1
; COMPUTE_PGM_RSRC2:SCRATCH_EN: 0
; COMPUTE_PGM_RSRC2:USER_SGPR: 6
; COMPUTE_PGM_RSRC2:TRAP_HANDLER: 0
; COMPUTE_PGM_RSRC2:TGID_X_EN: 1
; COMPUTE_PGM_RSRC2:TGID_Y_EN: 1
; COMPUTE_PGM_RSRC2:TGID_Z_EN: 1
; COMPUTE_PGM_RSRC2:TIDIG_COMP_CNT: 1
	.section	.text._ZL26rocblas_syr2k_her2k_kernelIlLb1ELb0ELb0ELi32EfPKfPfEvbiT_T4_T5_S3_lS5_S3_lT6_S3_li,"axG",@progbits,_ZL26rocblas_syr2k_her2k_kernelIlLb1ELb0ELb0ELi32EfPKfPfEvbiT_T4_T5_S3_lS5_S3_lT6_S3_li,comdat
	.globl	_ZL26rocblas_syr2k_her2k_kernelIlLb1ELb0ELb0ELi32EfPKfPfEvbiT_T4_T5_S3_lS5_S3_lT6_S3_li ; -- Begin function _ZL26rocblas_syr2k_her2k_kernelIlLb1ELb0ELb0ELi32EfPKfPfEvbiT_T4_T5_S3_lS5_S3_lT6_S3_li
	.p2align	8
	.type	_ZL26rocblas_syr2k_her2k_kernelIlLb1ELb0ELb0ELi32EfPKfPfEvbiT_T4_T5_S3_lS5_S3_lT6_S3_li,@function
_ZL26rocblas_syr2k_her2k_kernelIlLb1ELb0ELb0ELi32EfPKfPfEvbiT_T4_T5_S3_lS5_S3_lT6_S3_li: ; @_ZL26rocblas_syr2k_her2k_kernelIlLb1ELb0ELb0ELi32EfPKfPfEvbiT_T4_T5_S3_lS5_S3_lT6_S3_li
; %bb.0:
	s_load_dword s33, s[4:5], 0x10
	s_waitcnt lgkmcnt(0)
	v_cmp_eq_f32_e64 s[0:1], s33, 0
	s_and_b64 vcc, exec, s[0:1]
	s_cbranch_vccnz .LBB1848_16
; %bb.1:
	s_load_dwordx4 s[28:31], s[4:5], 0x0
	s_lshl_b32 s2, s7, 5
	s_lshl_b32 s3, s6, 5
	s_waitcnt lgkmcnt(0)
	s_and_b32 s0, 1, s28
	s_cmp_eq_u32 s0, 1
	s_cselect_b64 s[0:1], -1, 0
	s_and_b64 s[6:7], s[0:1], exec
	s_cselect_b32 s6, s3, s2
	s_cselect_b32 s7, s2, s3
	s_cmp_gt_i32 s6, s7
	v_cmp_lt_i64_e64 s[6:7], s[30:31], 1
	s_cselect_b64 s[10:11], -1, 0
	s_or_b64 s[6:7], s[10:11], s[6:7]
	s_and_b64 vcc, exec, s[6:7]
	s_cbranch_vccnz .LBB1848_16
; %bb.2:
	s_load_dwordx2 s[6:7], s[4:5], 0x58
	s_load_dwordx16 s[12:27], s[4:5], 0x18
	v_add_u32_e32 v8, s2, v1
	v_lshlrev_b32_e32 v4, 7, v0
	v_lshlrev_b32_e32 v2, 2, v1
	s_waitcnt lgkmcnt(0)
	s_mul_i32 s5, s7, s8
	s_mul_hi_u32 s7, s6, s8
	s_mul_i32 s4, s6, s8
	s_add_i32 s5, s7, s5
	s_lshl_b64 s[4:5], s[4:5], 2
	s_mul_i32 s6, s23, s8
	s_add_u32 s9, s24, s4
	s_mul_hi_u32 s4, s22, s8
	s_addc_u32 s7, s25, s5
	s_add_i32 s5, s4, s6
	s_mul_i32 s4, s22, s8
	s_lshl_b64 s[4:5], s[4:5], 2
	s_add_u32 s18, s18, s4
	s_addc_u32 s19, s19, s5
	s_mul_i32 s4, s17, s8
	s_mul_hi_u32 s5, s16, s8
	s_add_i32 s5, s5, s4
	s_mul_i32 s4, s16, s8
	s_lshl_b64 s[4:5], s[4:5], 2
	s_add_u32 s22, s12, s4
	v_add_u32_e32 v5, v4, v2
	v_or_b32_e32 v6, 0x1000, v2
	v_ashrrev_i32_e32 v2, 31, v8
	s_addc_u32 s23, s13, s5
	v_mul_lo_u32 v15, s26, v2
	v_mul_lo_u32 v16, s27, v8
	v_mad_u64_u32 v[2:3], s[4:5], s26, v8, 0
	v_add_u32_e32 v12, s3, v0
	v_max_i32_e32 v14, v12, v8
	v_add3_u32 v3, v3, v15, v16
	v_cndmask_b32_e64 v10, v12, v8, s[0:1]
	v_cndmask_b32_e64 v11, v8, v12, s[0:1]
	v_cmp_gt_i32_e32 vcc, s29, v14
	v_lshlrev_b64 v[2:3], 2, v[2:3]
	v_mov_b32_e32 v16, s7
	v_mad_u64_u32 v[14:15], s[6:7], s14, v0, 0
	v_cmp_le_i32_e64 s[4:5], v11, v10
	s_and_b64 s[4:5], s[4:5], vcc
	v_ashrrev_i32_e32 v11, 31, v12
	v_mov_b32_e32 v10, v12
	v_add_co_u32_e32 v17, vcc, s9, v2
	v_addc_co_u32_e32 v16, vcc, v16, v3, vcc
	v_lshlrev_b64 v[2:3], 2, v[10:11]
	v_mov_b32_e32 v10, v15
	v_mad_u64_u32 v[10:11], s[6:7], s15, v0, v[10:11]
	v_add_co_u32_e32 v2, vcc, v17, v2
	v_addc_co_u32_e32 v3, vcc, v16, v3, vcc
	v_mad_u64_u32 v[16:17], s[6:7], s20, v0, 0
	v_mov_b32_e32 v13, 0
	s_ashr_i32 s3, s29, 31
	s_mov_b32 s2, s29
	v_mov_b32_e32 v9, v13
	v_mov_b32_e32 v15, v10
	v_cmp_gt_i64_e64 s[0:1], s[2:3], v[12:13]
	v_cmp_gt_i64_e64 s[2:3], s[2:3], v[8:9]
	v_lshlrev_b64 v[10:11], 2, v[14:15]
	v_lshlrev_b64 v[14:15], 2, v[8:9]
	v_mov_b32_e32 v8, v17
	v_mad_u64_u32 v[17:18], s[6:7], s21, v0, v[8:9]
	v_add_co_u32_e32 v8, vcc, v10, v14
	v_addc_co_u32_e32 v9, vcc, v11, v15, vcc
	v_lshlrev_b64 v[10:11], 2, v[16:17]
	v_mad_u64_u32 v[16:17], s[8:9], s20, v1, 0
	v_add_co_u32_e32 v10, vcc, v10, v14
	v_mov_b32_e32 v14, v17
	v_addc_co_u32_e32 v11, vcc, v11, v15, vcc
	v_mad_u64_u32 v[14:15], s[8:9], s21, v1, v[14:15]
	v_mad_u64_u32 v[18:19], s[10:11], s14, v1, 0
	v_mov_b32_e32 v17, v14
	v_lshlrev_b64 v[14:15], 2, v[16:17]
	v_lshlrev_b64 v[16:17], 2, v[12:13]
	v_mov_b32_e32 v12, v19
	v_mad_u64_u32 v[19:20], s[10:11], s15, v1, v[12:13]
	v_add_co_u32_e32 v12, vcc, v14, v16
	v_addc_co_u32_e32 v13, vcc, v15, v17, vcc
	v_lshlrev_b64 v[14:15], 2, v[18:19]
	v_add_u32_e32 v7, v6, v4
	v_add_co_u32_e32 v14, vcc, v14, v16
	s_lshl_b64 s[6:7], s[14:15], 7
	s_lshl_b64 s[8:9], s[20:21], 7
	v_addc_co_u32_e32 v15, vcc, v15, v17, vcc
	s_mov_b64 s[10:11], 0
	s_branch .LBB1848_4
.LBB1848_3:                             ;   in Loop: Header=BB1848_4 Depth=1
	s_or_b64 exec, exec, s[12:13]
	s_add_u32 s10, s10, 32
	s_addc_u32 s11, s11, 0
	v_mov_b32_e32 v16, s30
	s_add_u32 s22, s22, s6
	v_mov_b32_e32 v17, s31
	s_addc_u32 s23, s23, s7
	v_cmp_lt_i64_e32 vcc, s[10:11], v[16:17]
	s_add_u32 s18, s18, s8
	s_addc_u32 s19, s19, s9
	s_waitcnt vmcnt(0)
	s_barrier
	s_cbranch_vccz .LBB1848_16
.LBB1848_4:                             ; =>This Inner Loop Header: Depth=1
	v_mov_b32_e32 v17, s11
	v_add_co_u32_e32 v16, vcc, s10, v1
	v_addc_co_u32_e32 v17, vcc, 0, v17, vcc
	v_cmp_gt_i64_e32 vcc, s[30:31], v[16:17]
	v_mov_b32_e32 v16, 0
	s_and_b64 s[12:13], s[0:1], vcc
	s_and_saveexec_b64 s[14:15], s[12:13]
	s_cbranch_execz .LBB1848_6
; %bb.5:                                ;   in Loop: Header=BB1848_4 Depth=1
	v_mov_b32_e32 v17, s23
	v_add_co_u32_e32 v16, vcc, s22, v14
	v_addc_co_u32_e32 v17, vcc, v17, v15, vcc
	global_load_dword v16, v[16:17], off
.LBB1848_6:                             ;   in Loop: Header=BB1848_4 Depth=1
	s_or_b64 exec, exec, s[14:15]
	v_mov_b32_e32 v18, s11
	v_add_co_u32_e32 v17, vcc, s10, v0
	v_addc_co_u32_e32 v18, vcc, 0, v18, vcc
	v_cmp_gt_i64_e32 vcc, s[30:31], v[17:18]
	s_waitcnt vmcnt(0)
	ds_write_b32 v5, v16
	s_and_b64 s[14:15], s[2:3], vcc
	v_mov_b32_e32 v16, 0
	s_and_saveexec_b64 s[16:17], s[14:15]
	s_cbranch_execz .LBB1848_8
; %bb.7:                                ;   in Loop: Header=BB1848_4 Depth=1
	v_mov_b32_e32 v17, s19
	v_add_co_u32_e32 v16, vcc, s18, v10
	v_addc_co_u32_e32 v17, vcc, v17, v11, vcc
	global_load_dword v16, v[16:17], off
.LBB1848_8:                             ;   in Loop: Header=BB1848_4 Depth=1
	s_or_b64 exec, exec, s[16:17]
	s_waitcnt vmcnt(0)
	ds_write_b32 v7, v16
	s_waitcnt lgkmcnt(0)
	s_barrier
	s_and_saveexec_b64 s[16:17], s[4:5]
	s_cbranch_execz .LBB1848_10
; %bb.9:                                ;   in Loop: Header=BB1848_4 Depth=1
	ds_read_b128 v[16:19], v4
	ds_read_b128 v[20:23], v4 offset:16
	ds_read_b128 v[24:27], v4 offset:32
	;; [unrolled: 1-line block ×3, first 2 shown]
	ds_read2_b32 v[32:33], v6 offset1:32
	s_waitcnt lgkmcnt(0)
	v_fma_f32 v16, v16, v32, 0
	v_fmac_f32_e32 v16, v17, v33
	ds_read2_b32 v[32:33], v6 offset0:64 offset1:96
	s_waitcnt lgkmcnt(0)
	v_fmac_f32_e32 v16, v18, v32
	ds_read2_b32 v[17:18], v6 offset0:128 offset1:160
	v_fmac_f32_e32 v16, v19, v33
	v_add_u32_e32 v19, 0x400, v6
	s_waitcnt lgkmcnt(0)
	v_fmac_f32_e32 v16, v20, v17
	v_fmac_f32_e32 v16, v21, v18
	ds_read2_b32 v[17:18], v6 offset0:192 offset1:224
	s_waitcnt lgkmcnt(0)
	v_fmac_f32_e32 v16, v22, v17
	v_fmac_f32_e32 v16, v23, v18
	ds_read2_b32 v[17:18], v19 offset1:32
	v_add_u32_e32 v23, 0x800, v6
	ds_read2_b32 v[21:22], v23 offset1:32
	s_waitcnt lgkmcnt(1)
	v_fmac_f32_e32 v16, v24, v17
	v_fmac_f32_e32 v16, v25, v18
	ds_read2_b32 v[17:18], v19 offset0:64 offset1:96
	s_waitcnt lgkmcnt(0)
	v_fmac_f32_e32 v16, v26, v17
	v_fmac_f32_e32 v16, v27, v18
	ds_read2_b32 v[17:18], v19 offset0:128 offset1:160
	s_waitcnt lgkmcnt(0)
	v_fmac_f32_e32 v16, v28, v17
	v_fmac_f32_e32 v16, v29, v18
	ds_read2_b32 v[17:18], v19 offset0:192 offset1:224
	s_waitcnt lgkmcnt(0)
	v_fmac_f32_e32 v16, v30, v17
	v_fmac_f32_e32 v16, v31, v18
	ds_read_b128 v[17:20], v4 offset:64
	s_waitcnt lgkmcnt(0)
	v_fmac_f32_e32 v16, v17, v21
	v_fmac_f32_e32 v16, v18, v22
	ds_read2_b32 v[17:18], v23 offset0:64 offset1:96
	s_waitcnt lgkmcnt(0)
	v_fmac_f32_e32 v16, v19, v17
	v_fmac_f32_e32 v16, v20, v18
	ds_read_b128 v[17:20], v4 offset:80
	ds_read2_b32 v[21:22], v23 offset0:128 offset1:160
	s_waitcnt lgkmcnt(0)
	v_fmac_f32_e32 v16, v17, v21
	v_fmac_f32_e32 v16, v18, v22
	ds_read2_b32 v[17:18], v23 offset0:192 offset1:224
	v_add_u32_e32 v23, 0xc00, v6
	ds_read2_b32 v[21:22], v23 offset1:32
	s_waitcnt lgkmcnt(1)
	v_fmac_f32_e32 v16, v19, v17
	v_fmac_f32_e32 v16, v20, v18
	ds_read_b128 v[17:20], v4 offset:96
	s_waitcnt lgkmcnt(0)
	v_fmac_f32_e32 v16, v17, v21
	v_fmac_f32_e32 v16, v18, v22
	ds_read2_b32 v[17:18], v23 offset0:64 offset1:96
	s_waitcnt lgkmcnt(0)
	v_fmac_f32_e32 v16, v19, v17
	v_fmac_f32_e32 v16, v20, v18
	ds_read_b128 v[17:20], v4 offset:112
	ds_read2_b32 v[21:22], v23 offset0:128 offset1:160
	s_waitcnt lgkmcnt(0)
	v_fmac_f32_e32 v16, v17, v21
	v_fmac_f32_e32 v16, v18, v22
	ds_read2_b32 v[17:18], v23 offset0:192 offset1:224
	s_waitcnt lgkmcnt(0)
	v_fmac_f32_e32 v16, v19, v17
	global_load_dword v17, v[2:3], off
	v_fmac_f32_e32 v16, v20, v18
	s_waitcnt vmcnt(0)
	v_fmac_f32_e32 v17, s33, v16
	global_store_dword v[2:3], v17, off
.LBB1848_10:                            ;   in Loop: Header=BB1848_4 Depth=1
	s_or_b64 exec, exec, s[16:17]
	v_mov_b32_e32 v16, 0
	v_mov_b32_e32 v17, 0
	s_waitcnt vmcnt(0)
	s_barrier
	s_and_saveexec_b64 s[16:17], s[12:13]
	s_cbranch_execz .LBB1848_12
; %bb.11:                               ;   in Loop: Header=BB1848_4 Depth=1
	v_mov_b32_e32 v18, s19
	v_add_co_u32_e32 v17, vcc, s18, v12
	v_addc_co_u32_e32 v18, vcc, v18, v13, vcc
	global_load_dword v17, v[17:18], off
.LBB1848_12:                            ;   in Loop: Header=BB1848_4 Depth=1
	s_or_b64 exec, exec, s[16:17]
	s_waitcnt vmcnt(0)
	ds_write_b32 v5, v17
	s_and_saveexec_b64 s[12:13], s[14:15]
	s_cbranch_execz .LBB1848_14
; %bb.13:                               ;   in Loop: Header=BB1848_4 Depth=1
	v_mov_b32_e32 v17, s23
	v_add_co_u32_e32 v16, vcc, s22, v8
	v_addc_co_u32_e32 v17, vcc, v17, v9, vcc
	global_load_dword v16, v[16:17], off
.LBB1848_14:                            ;   in Loop: Header=BB1848_4 Depth=1
	s_or_b64 exec, exec, s[12:13]
	s_waitcnt vmcnt(0)
	ds_write_b32 v7, v16
	s_waitcnt lgkmcnt(0)
	s_barrier
	s_and_saveexec_b64 s[12:13], s[4:5]
	s_cbranch_execz .LBB1848_3
; %bb.15:                               ;   in Loop: Header=BB1848_4 Depth=1
	ds_read_b128 v[16:19], v4
	ds_read_b128 v[20:23], v4 offset:16
	ds_read_b128 v[24:27], v4 offset:32
	;; [unrolled: 1-line block ×3, first 2 shown]
	ds_read2_b32 v[32:33], v6 offset1:32
	s_waitcnt lgkmcnt(0)
	v_fma_f32 v16, v16, v32, 0
	v_fmac_f32_e32 v16, v17, v33
	ds_read2_b32 v[32:33], v6 offset0:64 offset1:96
	s_waitcnt lgkmcnt(0)
	v_fmac_f32_e32 v16, v18, v32
	ds_read2_b32 v[17:18], v6 offset0:128 offset1:160
	v_fmac_f32_e32 v16, v19, v33
	v_add_u32_e32 v19, 0x400, v6
	s_waitcnt lgkmcnt(0)
	v_fmac_f32_e32 v16, v20, v17
	v_fmac_f32_e32 v16, v21, v18
	ds_read2_b32 v[17:18], v6 offset0:192 offset1:224
	s_waitcnt lgkmcnt(0)
	v_fmac_f32_e32 v16, v22, v17
	v_fmac_f32_e32 v16, v23, v18
	ds_read2_b32 v[17:18], v19 offset1:32
	v_add_u32_e32 v23, 0x800, v6
	ds_read2_b32 v[21:22], v23 offset1:32
	s_waitcnt lgkmcnt(1)
	v_fmac_f32_e32 v16, v24, v17
	v_fmac_f32_e32 v16, v25, v18
	ds_read2_b32 v[17:18], v19 offset0:64 offset1:96
	s_waitcnt lgkmcnt(0)
	v_fmac_f32_e32 v16, v26, v17
	v_fmac_f32_e32 v16, v27, v18
	ds_read2_b32 v[17:18], v19 offset0:128 offset1:160
	;; [unrolled: 4-line block ×3, first 2 shown]
	s_waitcnt lgkmcnt(0)
	v_fmac_f32_e32 v16, v30, v17
	v_fmac_f32_e32 v16, v31, v18
	ds_read_b128 v[17:20], v4 offset:64
	s_waitcnt lgkmcnt(0)
	v_fmac_f32_e32 v16, v17, v21
	v_fmac_f32_e32 v16, v18, v22
	ds_read2_b32 v[17:18], v23 offset0:64 offset1:96
	s_waitcnt lgkmcnt(0)
	v_fmac_f32_e32 v16, v19, v17
	v_fmac_f32_e32 v16, v20, v18
	ds_read_b128 v[17:20], v4 offset:80
	ds_read2_b32 v[21:22], v23 offset0:128 offset1:160
	s_waitcnt lgkmcnt(0)
	v_fmac_f32_e32 v16, v17, v21
	v_fmac_f32_e32 v16, v18, v22
	ds_read2_b32 v[17:18], v23 offset0:192 offset1:224
	v_add_u32_e32 v23, 0xc00, v6
	ds_read2_b32 v[21:22], v23 offset1:32
	s_waitcnt lgkmcnt(1)
	v_fmac_f32_e32 v16, v19, v17
	v_fmac_f32_e32 v16, v20, v18
	ds_read_b128 v[17:20], v4 offset:96
	s_waitcnt lgkmcnt(0)
	v_fmac_f32_e32 v16, v17, v21
	v_fmac_f32_e32 v16, v18, v22
	ds_read2_b32 v[17:18], v23 offset0:64 offset1:96
	s_waitcnt lgkmcnt(0)
	v_fmac_f32_e32 v16, v19, v17
	v_fmac_f32_e32 v16, v20, v18
	ds_read_b128 v[17:20], v4 offset:112
	ds_read2_b32 v[21:22], v23 offset0:128 offset1:160
	s_waitcnt lgkmcnt(0)
	v_fmac_f32_e32 v16, v17, v21
	v_fmac_f32_e32 v16, v18, v22
	ds_read2_b32 v[17:18], v23 offset0:192 offset1:224
	s_waitcnt lgkmcnt(0)
	v_fmac_f32_e32 v16, v19, v17
	global_load_dword v17, v[2:3], off
	v_fmac_f32_e32 v16, v20, v18
	s_waitcnt vmcnt(0)
	v_fmac_f32_e32 v17, s33, v16
	global_store_dword v[2:3], v17, off
	s_branch .LBB1848_3
.LBB1848_16:
	s_endpgm
	.section	.rodata,"a",@progbits
	.p2align	6, 0x0
	.amdhsa_kernel _ZL26rocblas_syr2k_her2k_kernelIlLb1ELb0ELb0ELi32EfPKfPfEvbiT_T4_T5_S3_lS5_S3_lT6_S3_li
		.amdhsa_group_segment_fixed_size 8192
		.amdhsa_private_segment_fixed_size 0
		.amdhsa_kernarg_size 100
		.amdhsa_user_sgpr_count 6
		.amdhsa_user_sgpr_private_segment_buffer 1
		.amdhsa_user_sgpr_dispatch_ptr 0
		.amdhsa_user_sgpr_queue_ptr 0
		.amdhsa_user_sgpr_kernarg_segment_ptr 1
		.amdhsa_user_sgpr_dispatch_id 0
		.amdhsa_user_sgpr_flat_scratch_init 0
		.amdhsa_user_sgpr_private_segment_size 0
		.amdhsa_uses_dynamic_stack 0
		.amdhsa_system_sgpr_private_segment_wavefront_offset 0
		.amdhsa_system_sgpr_workgroup_id_x 1
		.amdhsa_system_sgpr_workgroup_id_y 1
		.amdhsa_system_sgpr_workgroup_id_z 1
		.amdhsa_system_sgpr_workgroup_info 0
		.amdhsa_system_vgpr_workitem_id 1
		.amdhsa_next_free_vgpr 34
		.amdhsa_next_free_sgpr 61
		.amdhsa_reserve_vcc 1
		.amdhsa_reserve_flat_scratch 0
		.amdhsa_float_round_mode_32 0
		.amdhsa_float_round_mode_16_64 0
		.amdhsa_float_denorm_mode_32 3
		.amdhsa_float_denorm_mode_16_64 3
		.amdhsa_dx10_clamp 1
		.amdhsa_ieee_mode 1
		.amdhsa_fp16_overflow 0
		.amdhsa_exception_fp_ieee_invalid_op 0
		.amdhsa_exception_fp_denorm_src 0
		.amdhsa_exception_fp_ieee_div_zero 0
		.amdhsa_exception_fp_ieee_overflow 0
		.amdhsa_exception_fp_ieee_underflow 0
		.amdhsa_exception_fp_ieee_inexact 0
		.amdhsa_exception_int_div_zero 0
	.end_amdhsa_kernel
	.section	.text._ZL26rocblas_syr2k_her2k_kernelIlLb1ELb0ELb0ELi32EfPKfPfEvbiT_T4_T5_S3_lS5_S3_lT6_S3_li,"axG",@progbits,_ZL26rocblas_syr2k_her2k_kernelIlLb1ELb0ELb0ELi32EfPKfPfEvbiT_T4_T5_S3_lS5_S3_lT6_S3_li,comdat
.Lfunc_end1848:
	.size	_ZL26rocblas_syr2k_her2k_kernelIlLb1ELb0ELb0ELi32EfPKfPfEvbiT_T4_T5_S3_lS5_S3_lT6_S3_li, .Lfunc_end1848-_ZL26rocblas_syr2k_her2k_kernelIlLb1ELb0ELb0ELi32EfPKfPfEvbiT_T4_T5_S3_lS5_S3_lT6_S3_li
                                        ; -- End function
	.set _ZL26rocblas_syr2k_her2k_kernelIlLb1ELb0ELb0ELi32EfPKfPfEvbiT_T4_T5_S3_lS5_S3_lT6_S3_li.num_vgpr, 34
	.set _ZL26rocblas_syr2k_her2k_kernelIlLb1ELb0ELb0ELi32EfPKfPfEvbiT_T4_T5_S3_lS5_S3_lT6_S3_li.num_agpr, 0
	.set _ZL26rocblas_syr2k_her2k_kernelIlLb1ELb0ELb0ELi32EfPKfPfEvbiT_T4_T5_S3_lS5_S3_lT6_S3_li.numbered_sgpr, 34
	.set _ZL26rocblas_syr2k_her2k_kernelIlLb1ELb0ELb0ELi32EfPKfPfEvbiT_T4_T5_S3_lS5_S3_lT6_S3_li.num_named_barrier, 0
	.set _ZL26rocblas_syr2k_her2k_kernelIlLb1ELb0ELb0ELi32EfPKfPfEvbiT_T4_T5_S3_lS5_S3_lT6_S3_li.private_seg_size, 0
	.set _ZL26rocblas_syr2k_her2k_kernelIlLb1ELb0ELb0ELi32EfPKfPfEvbiT_T4_T5_S3_lS5_S3_lT6_S3_li.uses_vcc, 1
	.set _ZL26rocblas_syr2k_her2k_kernelIlLb1ELb0ELb0ELi32EfPKfPfEvbiT_T4_T5_S3_lS5_S3_lT6_S3_li.uses_flat_scratch, 0
	.set _ZL26rocblas_syr2k_her2k_kernelIlLb1ELb0ELb0ELi32EfPKfPfEvbiT_T4_T5_S3_lS5_S3_lT6_S3_li.has_dyn_sized_stack, 0
	.set _ZL26rocblas_syr2k_her2k_kernelIlLb1ELb0ELb0ELi32EfPKfPfEvbiT_T4_T5_S3_lS5_S3_lT6_S3_li.has_recursion, 0
	.set _ZL26rocblas_syr2k_her2k_kernelIlLb1ELb0ELb0ELi32EfPKfPfEvbiT_T4_T5_S3_lS5_S3_lT6_S3_li.has_indirect_call, 0
	.section	.AMDGPU.csdata,"",@progbits
; Kernel info:
; codeLenInByte = 1776
; TotalNumSgprs: 38
; NumVgprs: 34
; ScratchSize: 0
; MemoryBound: 0
; FloatMode: 240
; IeeeMode: 1
; LDSByteSize: 8192 bytes/workgroup (compile time only)
; SGPRBlocks: 8
; VGPRBlocks: 8
; NumSGPRsForWavesPerEU: 65
; NumVGPRsForWavesPerEU: 34
; Occupancy: 7
; WaveLimiterHint : 0
; COMPUTE_PGM_RSRC2:SCRATCH_EN: 0
; COMPUTE_PGM_RSRC2:USER_SGPR: 6
; COMPUTE_PGM_RSRC2:TRAP_HANDLER: 0
; COMPUTE_PGM_RSRC2:TGID_X_EN: 1
; COMPUTE_PGM_RSRC2:TGID_Y_EN: 1
; COMPUTE_PGM_RSRC2:TGID_Z_EN: 1
; COMPUTE_PGM_RSRC2:TIDIG_COMP_CNT: 1
	.section	.text._ZL26rocblas_syr2k_her2k_kernelIlLb1ELb0ELb1ELi32EfPKfPfEvbiT_T4_T5_S3_lS5_S3_lT6_S3_li,"axG",@progbits,_ZL26rocblas_syr2k_her2k_kernelIlLb1ELb0ELb1ELi32EfPKfPfEvbiT_T4_T5_S3_lS5_S3_lT6_S3_li,comdat
	.globl	_ZL26rocblas_syr2k_her2k_kernelIlLb1ELb0ELb1ELi32EfPKfPfEvbiT_T4_T5_S3_lS5_S3_lT6_S3_li ; -- Begin function _ZL26rocblas_syr2k_her2k_kernelIlLb1ELb0ELb1ELi32EfPKfPfEvbiT_T4_T5_S3_lS5_S3_lT6_S3_li
	.p2align	8
	.type	_ZL26rocblas_syr2k_her2k_kernelIlLb1ELb0ELb1ELi32EfPKfPfEvbiT_T4_T5_S3_lS5_S3_lT6_S3_li,@function
_ZL26rocblas_syr2k_her2k_kernelIlLb1ELb0ELb1ELi32EfPKfPfEvbiT_T4_T5_S3_lS5_S3_lT6_S3_li: ; @_ZL26rocblas_syr2k_her2k_kernelIlLb1ELb0ELb1ELi32EfPKfPfEvbiT_T4_T5_S3_lS5_S3_lT6_S3_li
; %bb.0:
	s_load_dword s33, s[4:5], 0x10
	s_waitcnt lgkmcnt(0)
	v_cmp_eq_f32_e64 s[0:1], s33, 0
	s_and_b64 vcc, exec, s[0:1]
	s_cbranch_vccnz .LBB1849_16
; %bb.1:
	s_load_dwordx4 s[28:31], s[4:5], 0x0
	s_lshl_b32 s3, s7, 5
	s_lshl_b32 s2, s6, 5
	s_waitcnt lgkmcnt(0)
	s_and_b32 s0, 1, s28
	s_cmp_eq_u32 s0, 1
	s_cselect_b64 s[0:1], -1, 0
	s_and_b64 s[6:7], s[0:1], exec
	s_cselect_b32 s6, s2, s3
	s_cselect_b32 s7, s3, s2
	s_cmp_gt_i32 s6, s7
	v_cmp_lt_i64_e64 s[6:7], s[30:31], 1
	s_cselect_b64 s[10:11], -1, 0
	s_or_b64 s[6:7], s[10:11], s[6:7]
	s_and_b64 vcc, exec, s[6:7]
	s_cbranch_vccnz .LBB1849_16
; %bb.2:
	s_load_dwordx2 s[6:7], s[4:5], 0x58
	s_load_dwordx16 s[12:27], s[4:5], 0x18
	v_add_u32_e32 v11, s3, v1
	v_mov_b32_e32 v5, 0
	v_add_u32_e32 v4, s2, v0
	s_waitcnt lgkmcnt(0)
	s_mul_i32 s3, s7, s8
	s_mul_hi_u32 s5, s6, s8
	s_mul_i32 s4, s6, s8
	s_add_i32 s5, s5, s3
	s_lshl_b64 s[4:5], s[4:5], 2
	s_add_u32 s6, s24, s4
	s_addc_u32 s7, s25, s5
	s_ashr_i32 s3, s29, 31
	s_mov_b32 s2, s29
	v_mov_b32_e32 v12, v5
	v_ashrrev_i32_e32 v2, 31, v11
	v_cndmask_b32_e64 v10, v4, v11, s[0:1]
	v_cndmask_b32_e64 v13, v11, v4, s[0:1]
	v_cmp_gt_i64_e64 s[0:1], s[2:3], v[4:5]
	v_cmp_gt_i64_e64 s[2:3], s[2:3], v[11:12]
	v_mul_lo_u32 v12, s26, v2
	v_mul_lo_u32 v14, s27, v11
	v_mad_u64_u32 v[2:3], s[4:5], s26, v11, 0
	v_max_i32_e32 v5, v4, v11
	v_cmp_gt_i32_e32 vcc, s29, v5
	v_add3_u32 v3, v3, v12, v14
	v_lshlrev_b64 v[2:3], 2, v[2:3]
	v_cmp_le_i32_e64 s[4:5], v13, v10
	s_and_b64 s[4:5], s[4:5], vcc
	v_mov_b32_e32 v10, s7
	v_add_co_u32_e32 v14, vcc, s6, v2
	v_mad_u64_u32 v[12:13], s[6:7], s14, v11, 0
	v_ashrrev_i32_e32 v5, 31, v4
	v_addc_co_u32_e32 v10, vcc, v10, v3, vcc
	v_lshlrev_b64 v[2:3], 2, v[4:5]
	v_lshlrev_b32_e32 v6, 7, v0
	v_mov_b32_e32 v5, v13
	v_add_co_u32_e32 v2, vcc, v14, v2
	v_mad_u64_u32 v[13:14], s[6:7], s15, v11, v[5:6]
	s_mul_i32 s9, s17, s8
	s_mul_hi_u32 s10, s16, s8
	s_add_i32 s7, s10, s9
	s_mul_i32 s6, s16, s8
	v_lshlrev_b64 v[12:13], 2, v[12:13]
	v_addc_co_u32_e32 v3, vcc, v10, v3, vcc
	s_lshl_b64 s[6:7], s[6:7], 2
	v_mov_b32_e32 v18, s7
	v_add_co_u32_e32 v5, vcc, s6, v12
	v_addc_co_u32_e32 v10, vcc, v18, v13, vcc
	v_lshlrev_b32_e32 v15, 2, v0
	v_mad_u64_u32 v[12:13], s[10:11], s20, v11, 0
	v_add_co_u32_e32 v5, vcc, v5, v15
	v_addc_co_u32_e32 v10, vcc, 0, v10, vcc
	v_mov_b32_e32 v14, s13
	v_add_co_u32_e32 v5, vcc, s12, v5
	v_addc_co_u32_e32 v10, vcc, v14, v10, vcc
	v_mad_u64_u32 v[13:14], s[10:11], s21, v11, v[13:14]
	s_mul_i32 s7, s23, s8
	s_mul_hi_u32 s9, s22, s8
	s_add_i32 s9, s9, s7
	s_mul_i32 s8, s22, s8
	v_lshlrev_b64 v[11:12], 2, v[12:13]
	s_lshl_b64 s[8:9], s[8:9], 2
	v_mad_u64_u32 v[13:14], s[10:11], s20, v4, 0
	v_mov_b32_e32 v16, s9
	v_add_co_u32_e32 v11, vcc, s8, v11
	v_addc_co_u32_e32 v12, vcc, v16, v12, vcc
	v_add_co_u32_e32 v19, vcc, v11, v15
	v_addc_co_u32_e32 v12, vcc, 0, v12, vcc
	v_mov_b32_e32 v11, v14
	v_mad_u64_u32 v[14:15], s[10:11], s21, v4, v[11:12]
	v_mov_b32_e32 v20, s19
	v_add_co_u32_e32 v11, vcc, s18, v19
	v_lshlrev_b64 v[13:14], 2, v[13:14]
	v_addc_co_u32_e32 v12, vcc, v20, v12, vcc
	v_add_co_u32_e32 v13, vcc, s8, v13
	v_addc_co_u32_e32 v16, vcc, v16, v14, vcc
	v_mad_u64_u32 v[14:15], s[8:9], s14, v4, 0
	v_lshlrev_b32_e32 v17, 2, v1
	v_add_co_u32_e32 v19, vcc, v13, v17
	v_mov_b32_e32 v13, v15
	v_addc_co_u32_e32 v20, vcc, 0, v16, vcc
	v_mad_u64_u32 v[15:16], s[8:9], s15, v4, v[13:14]
	v_mov_b32_e32 v21, s19
	v_add_co_u32_e32 v4, vcc, s18, v19
	v_lshlrev_b64 v[14:15], 2, v[14:15]
	v_addc_co_u32_e32 v13, vcc, v21, v20, vcc
	v_add_co_u32_e32 v14, vcc, s6, v14
	v_addc_co_u32_e32 v15, vcc, v18, v15, vcc
	v_add_co_u32_e32 v14, vcc, v14, v17
	v_addc_co_u32_e32 v15, vcc, 0, v15, vcc
	v_or_b32_e32 v8, 0x1000, v17
	v_mov_b32_e32 v16, s13
	v_add_co_u32_e32 v14, vcc, s12, v14
	v_add_u32_e32 v7, v6, v17
	v_add_u32_e32 v9, v8, v6
	v_addc_co_u32_e32 v15, vcc, v16, v15, vcc
	s_mov_b64 s[6:7], 0
	s_mov_b64 s[8:9], 0
	s_branch .LBB1849_4
.LBB1849_3:                             ;   in Loop: Header=BB1849_4 Depth=1
	s_or_b64 exec, exec, s[10:11]
	s_add_u32 s8, s8, 32
	v_mov_b32_e32 v16, s30
	s_addc_u32 s9, s9, 0
	v_mov_b32_e32 v17, s31
	v_cmp_lt_i64_e32 vcc, s[8:9], v[16:17]
	s_add_u32 s6, s6, 0x80
	s_addc_u32 s7, s7, 0
	s_waitcnt vmcnt(0)
	s_barrier
	s_cbranch_vccz .LBB1849_16
.LBB1849_4:                             ; =>This Inner Loop Header: Depth=1
	v_mov_b32_e32 v17, s9
	v_add_co_u32_e32 v16, vcc, s8, v1
	v_addc_co_u32_e32 v17, vcc, 0, v17, vcc
	v_cmp_gt_i64_e32 vcc, s[30:31], v[16:17]
	v_mov_b32_e32 v16, 0
	s_and_b64 s[10:11], s[0:1], vcc
	s_and_saveexec_b64 s[12:13], s[10:11]
	s_cbranch_execz .LBB1849_6
; %bb.5:                                ;   in Loop: Header=BB1849_4 Depth=1
	v_mov_b32_e32 v17, s7
	v_add_co_u32_e32 v16, vcc, s6, v14
	v_addc_co_u32_e32 v17, vcc, v15, v17, vcc
	global_load_dword v16, v[16:17], off
.LBB1849_6:                             ;   in Loop: Header=BB1849_4 Depth=1
	s_or_b64 exec, exec, s[12:13]
	v_mov_b32_e32 v18, s9
	v_add_co_u32_e32 v17, vcc, s8, v0
	v_addc_co_u32_e32 v18, vcc, 0, v18, vcc
	v_cmp_gt_i64_e32 vcc, s[30:31], v[17:18]
	s_waitcnt vmcnt(0)
	ds_write_b32 v7, v16
	s_and_b64 s[12:13], s[2:3], vcc
	v_mov_b32_e32 v16, 0
	s_and_saveexec_b64 s[14:15], s[12:13]
	s_cbranch_execz .LBB1849_8
; %bb.7:                                ;   in Loop: Header=BB1849_4 Depth=1
	v_mov_b32_e32 v17, s7
	v_add_co_u32_e32 v16, vcc, s6, v11
	v_addc_co_u32_e32 v17, vcc, v12, v17, vcc
	global_load_dword v16, v[16:17], off
.LBB1849_8:                             ;   in Loop: Header=BB1849_4 Depth=1
	s_or_b64 exec, exec, s[14:15]
	s_waitcnt vmcnt(0)
	ds_write_b32 v9, v16
	s_waitcnt lgkmcnt(0)
	s_barrier
	s_and_saveexec_b64 s[14:15], s[4:5]
	s_cbranch_execz .LBB1849_10
; %bb.9:                                ;   in Loop: Header=BB1849_4 Depth=1
	ds_read_b128 v[16:19], v6
	ds_read_b128 v[20:23], v6 offset:16
	ds_read_b128 v[24:27], v6 offset:32
	ds_read_b128 v[28:31], v6 offset:48
	ds_read2_b32 v[32:33], v8 offset1:32
	s_waitcnt lgkmcnt(0)
	v_fma_f32 v16, v16, v32, 0
	v_fmac_f32_e32 v16, v17, v33
	ds_read2_b32 v[32:33], v8 offset0:64 offset1:96
	s_waitcnt lgkmcnt(0)
	v_fmac_f32_e32 v16, v18, v32
	ds_read2_b32 v[17:18], v8 offset0:128 offset1:160
	v_fmac_f32_e32 v16, v19, v33
	v_add_u32_e32 v19, 0x400, v8
	s_waitcnt lgkmcnt(0)
	v_fmac_f32_e32 v16, v20, v17
	v_fmac_f32_e32 v16, v21, v18
	ds_read2_b32 v[17:18], v8 offset0:192 offset1:224
	s_waitcnt lgkmcnt(0)
	v_fmac_f32_e32 v16, v22, v17
	v_fmac_f32_e32 v16, v23, v18
	ds_read2_b32 v[17:18], v19 offset1:32
	v_add_u32_e32 v23, 0x800, v8
	ds_read2_b32 v[21:22], v23 offset1:32
	s_waitcnt lgkmcnt(1)
	v_fmac_f32_e32 v16, v24, v17
	v_fmac_f32_e32 v16, v25, v18
	ds_read2_b32 v[17:18], v19 offset0:64 offset1:96
	s_waitcnt lgkmcnt(0)
	v_fmac_f32_e32 v16, v26, v17
	v_fmac_f32_e32 v16, v27, v18
	ds_read2_b32 v[17:18], v19 offset0:128 offset1:160
	;; [unrolled: 4-line block ×3, first 2 shown]
	s_waitcnt lgkmcnt(0)
	v_fmac_f32_e32 v16, v30, v17
	v_fmac_f32_e32 v16, v31, v18
	ds_read_b128 v[17:20], v6 offset:64
	s_waitcnt lgkmcnt(0)
	v_fmac_f32_e32 v16, v17, v21
	v_fmac_f32_e32 v16, v18, v22
	ds_read2_b32 v[17:18], v23 offset0:64 offset1:96
	s_waitcnt lgkmcnt(0)
	v_fmac_f32_e32 v16, v19, v17
	v_fmac_f32_e32 v16, v20, v18
	ds_read_b128 v[17:20], v6 offset:80
	ds_read2_b32 v[21:22], v23 offset0:128 offset1:160
	s_waitcnt lgkmcnt(0)
	v_fmac_f32_e32 v16, v17, v21
	v_fmac_f32_e32 v16, v18, v22
	ds_read2_b32 v[17:18], v23 offset0:192 offset1:224
	v_add_u32_e32 v23, 0xc00, v8
	ds_read2_b32 v[21:22], v23 offset1:32
	s_waitcnt lgkmcnt(1)
	v_fmac_f32_e32 v16, v19, v17
	v_fmac_f32_e32 v16, v20, v18
	ds_read_b128 v[17:20], v6 offset:96
	s_waitcnt lgkmcnt(0)
	v_fmac_f32_e32 v16, v17, v21
	v_fmac_f32_e32 v16, v18, v22
	ds_read2_b32 v[17:18], v23 offset0:64 offset1:96
	s_waitcnt lgkmcnt(0)
	v_fmac_f32_e32 v16, v19, v17
	v_fmac_f32_e32 v16, v20, v18
	ds_read_b128 v[17:20], v6 offset:112
	ds_read2_b32 v[21:22], v23 offset0:128 offset1:160
	s_waitcnt lgkmcnt(0)
	v_fmac_f32_e32 v16, v17, v21
	v_fmac_f32_e32 v16, v18, v22
	ds_read2_b32 v[17:18], v23 offset0:192 offset1:224
	s_waitcnt lgkmcnt(0)
	v_fmac_f32_e32 v16, v19, v17
	global_load_dword v17, v[2:3], off
	v_fmac_f32_e32 v16, v20, v18
	s_waitcnt vmcnt(0)
	v_fmac_f32_e32 v17, s33, v16
	global_store_dword v[2:3], v17, off
.LBB1849_10:                            ;   in Loop: Header=BB1849_4 Depth=1
	s_or_b64 exec, exec, s[14:15]
	v_mov_b32_e32 v16, 0
	v_mov_b32_e32 v17, 0
	s_waitcnt vmcnt(0)
	s_barrier
	s_and_saveexec_b64 s[14:15], s[10:11]
	s_cbranch_execz .LBB1849_12
; %bb.11:                               ;   in Loop: Header=BB1849_4 Depth=1
	v_mov_b32_e32 v18, s7
	v_add_co_u32_e32 v17, vcc, s6, v4
	v_addc_co_u32_e32 v18, vcc, v13, v18, vcc
	global_load_dword v17, v[17:18], off
.LBB1849_12:                            ;   in Loop: Header=BB1849_4 Depth=1
	s_or_b64 exec, exec, s[14:15]
	s_waitcnt vmcnt(0)
	ds_write_b32 v7, v17
	s_and_saveexec_b64 s[10:11], s[12:13]
	s_cbranch_execz .LBB1849_14
; %bb.13:                               ;   in Loop: Header=BB1849_4 Depth=1
	v_mov_b32_e32 v17, s7
	v_add_co_u32_e32 v16, vcc, s6, v5
	v_addc_co_u32_e32 v17, vcc, v10, v17, vcc
	global_load_dword v16, v[16:17], off
.LBB1849_14:                            ;   in Loop: Header=BB1849_4 Depth=1
	s_or_b64 exec, exec, s[10:11]
	s_waitcnt vmcnt(0)
	ds_write_b32 v9, v16
	s_waitcnt lgkmcnt(0)
	s_barrier
	s_and_saveexec_b64 s[10:11], s[4:5]
	s_cbranch_execz .LBB1849_3
; %bb.15:                               ;   in Loop: Header=BB1849_4 Depth=1
	ds_read_b128 v[16:19], v6
	ds_read_b128 v[20:23], v6 offset:16
	ds_read_b128 v[24:27], v6 offset:32
	;; [unrolled: 1-line block ×3, first 2 shown]
	ds_read2_b32 v[32:33], v8 offset1:32
	s_waitcnt lgkmcnt(0)
	v_fma_f32 v16, v16, v32, 0
	v_fmac_f32_e32 v16, v17, v33
	ds_read2_b32 v[32:33], v8 offset0:64 offset1:96
	s_waitcnt lgkmcnt(0)
	v_fmac_f32_e32 v16, v18, v32
	ds_read2_b32 v[17:18], v8 offset0:128 offset1:160
	v_fmac_f32_e32 v16, v19, v33
	v_add_u32_e32 v19, 0x400, v8
	s_waitcnt lgkmcnt(0)
	v_fmac_f32_e32 v16, v20, v17
	v_fmac_f32_e32 v16, v21, v18
	ds_read2_b32 v[17:18], v8 offset0:192 offset1:224
	s_waitcnt lgkmcnt(0)
	v_fmac_f32_e32 v16, v22, v17
	v_fmac_f32_e32 v16, v23, v18
	ds_read2_b32 v[17:18], v19 offset1:32
	v_add_u32_e32 v23, 0x800, v8
	ds_read2_b32 v[21:22], v23 offset1:32
	s_waitcnt lgkmcnt(1)
	v_fmac_f32_e32 v16, v24, v17
	v_fmac_f32_e32 v16, v25, v18
	ds_read2_b32 v[17:18], v19 offset0:64 offset1:96
	s_waitcnt lgkmcnt(0)
	v_fmac_f32_e32 v16, v26, v17
	v_fmac_f32_e32 v16, v27, v18
	ds_read2_b32 v[17:18], v19 offset0:128 offset1:160
	;; [unrolled: 4-line block ×3, first 2 shown]
	s_waitcnt lgkmcnt(0)
	v_fmac_f32_e32 v16, v30, v17
	v_fmac_f32_e32 v16, v31, v18
	ds_read_b128 v[17:20], v6 offset:64
	s_waitcnt lgkmcnt(0)
	v_fmac_f32_e32 v16, v17, v21
	v_fmac_f32_e32 v16, v18, v22
	ds_read2_b32 v[17:18], v23 offset0:64 offset1:96
	s_waitcnt lgkmcnt(0)
	v_fmac_f32_e32 v16, v19, v17
	v_fmac_f32_e32 v16, v20, v18
	ds_read_b128 v[17:20], v6 offset:80
	ds_read2_b32 v[21:22], v23 offset0:128 offset1:160
	s_waitcnt lgkmcnt(0)
	v_fmac_f32_e32 v16, v17, v21
	v_fmac_f32_e32 v16, v18, v22
	ds_read2_b32 v[17:18], v23 offset0:192 offset1:224
	v_add_u32_e32 v23, 0xc00, v8
	ds_read2_b32 v[21:22], v23 offset1:32
	s_waitcnt lgkmcnt(1)
	v_fmac_f32_e32 v16, v19, v17
	v_fmac_f32_e32 v16, v20, v18
	ds_read_b128 v[17:20], v6 offset:96
	s_waitcnt lgkmcnt(0)
	v_fmac_f32_e32 v16, v17, v21
	v_fmac_f32_e32 v16, v18, v22
	ds_read2_b32 v[17:18], v23 offset0:64 offset1:96
	s_waitcnt lgkmcnt(0)
	v_fmac_f32_e32 v16, v19, v17
	v_fmac_f32_e32 v16, v20, v18
	ds_read_b128 v[17:20], v6 offset:112
	ds_read2_b32 v[21:22], v23 offset0:128 offset1:160
	s_waitcnt lgkmcnt(0)
	v_fmac_f32_e32 v16, v17, v21
	v_fmac_f32_e32 v16, v18, v22
	ds_read2_b32 v[17:18], v23 offset0:192 offset1:224
	s_waitcnt lgkmcnt(0)
	v_fmac_f32_e32 v16, v19, v17
	global_load_dword v17, v[2:3], off
	v_fmac_f32_e32 v16, v20, v18
	s_waitcnt vmcnt(0)
	v_fmac_f32_e32 v17, s33, v16
	global_store_dword v[2:3], v17, off
	s_branch .LBB1849_3
.LBB1849_16:
	s_endpgm
	.section	.rodata,"a",@progbits
	.p2align	6, 0x0
	.amdhsa_kernel _ZL26rocblas_syr2k_her2k_kernelIlLb1ELb0ELb1ELi32EfPKfPfEvbiT_T4_T5_S3_lS5_S3_lT6_S3_li
		.amdhsa_group_segment_fixed_size 8192
		.amdhsa_private_segment_fixed_size 0
		.amdhsa_kernarg_size 100
		.amdhsa_user_sgpr_count 6
		.amdhsa_user_sgpr_private_segment_buffer 1
		.amdhsa_user_sgpr_dispatch_ptr 0
		.amdhsa_user_sgpr_queue_ptr 0
		.amdhsa_user_sgpr_kernarg_segment_ptr 1
		.amdhsa_user_sgpr_dispatch_id 0
		.amdhsa_user_sgpr_flat_scratch_init 0
		.amdhsa_user_sgpr_private_segment_size 0
		.amdhsa_uses_dynamic_stack 0
		.amdhsa_system_sgpr_private_segment_wavefront_offset 0
		.amdhsa_system_sgpr_workgroup_id_x 1
		.amdhsa_system_sgpr_workgroup_id_y 1
		.amdhsa_system_sgpr_workgroup_id_z 1
		.amdhsa_system_sgpr_workgroup_info 0
		.amdhsa_system_vgpr_workitem_id 1
		.amdhsa_next_free_vgpr 34
		.amdhsa_next_free_sgpr 61
		.amdhsa_reserve_vcc 1
		.amdhsa_reserve_flat_scratch 0
		.amdhsa_float_round_mode_32 0
		.amdhsa_float_round_mode_16_64 0
		.amdhsa_float_denorm_mode_32 3
		.amdhsa_float_denorm_mode_16_64 3
		.amdhsa_dx10_clamp 1
		.amdhsa_ieee_mode 1
		.amdhsa_fp16_overflow 0
		.amdhsa_exception_fp_ieee_invalid_op 0
		.amdhsa_exception_fp_denorm_src 0
		.amdhsa_exception_fp_ieee_div_zero 0
		.amdhsa_exception_fp_ieee_overflow 0
		.amdhsa_exception_fp_ieee_underflow 0
		.amdhsa_exception_fp_ieee_inexact 0
		.amdhsa_exception_int_div_zero 0
	.end_amdhsa_kernel
	.section	.text._ZL26rocblas_syr2k_her2k_kernelIlLb1ELb0ELb1ELi32EfPKfPfEvbiT_T4_T5_S3_lS5_S3_lT6_S3_li,"axG",@progbits,_ZL26rocblas_syr2k_her2k_kernelIlLb1ELb0ELb1ELi32EfPKfPfEvbiT_T4_T5_S3_lS5_S3_lT6_S3_li,comdat
.Lfunc_end1849:
	.size	_ZL26rocblas_syr2k_her2k_kernelIlLb1ELb0ELb1ELi32EfPKfPfEvbiT_T4_T5_S3_lS5_S3_lT6_S3_li, .Lfunc_end1849-_ZL26rocblas_syr2k_her2k_kernelIlLb1ELb0ELb1ELi32EfPKfPfEvbiT_T4_T5_S3_lS5_S3_lT6_S3_li
                                        ; -- End function
	.set _ZL26rocblas_syr2k_her2k_kernelIlLb1ELb0ELb1ELi32EfPKfPfEvbiT_T4_T5_S3_lS5_S3_lT6_S3_li.num_vgpr, 34
	.set _ZL26rocblas_syr2k_her2k_kernelIlLb1ELb0ELb1ELi32EfPKfPfEvbiT_T4_T5_S3_lS5_S3_lT6_S3_li.num_agpr, 0
	.set _ZL26rocblas_syr2k_her2k_kernelIlLb1ELb0ELb1ELi32EfPKfPfEvbiT_T4_T5_S3_lS5_S3_lT6_S3_li.numbered_sgpr, 34
	.set _ZL26rocblas_syr2k_her2k_kernelIlLb1ELb0ELb1ELi32EfPKfPfEvbiT_T4_T5_S3_lS5_S3_lT6_S3_li.num_named_barrier, 0
	.set _ZL26rocblas_syr2k_her2k_kernelIlLb1ELb0ELb1ELi32EfPKfPfEvbiT_T4_T5_S3_lS5_S3_lT6_S3_li.private_seg_size, 0
	.set _ZL26rocblas_syr2k_her2k_kernelIlLb1ELb0ELb1ELi32EfPKfPfEvbiT_T4_T5_S3_lS5_S3_lT6_S3_li.uses_vcc, 1
	.set _ZL26rocblas_syr2k_her2k_kernelIlLb1ELb0ELb1ELi32EfPKfPfEvbiT_T4_T5_S3_lS5_S3_lT6_S3_li.uses_flat_scratch, 0
	.set _ZL26rocblas_syr2k_her2k_kernelIlLb1ELb0ELb1ELi32EfPKfPfEvbiT_T4_T5_S3_lS5_S3_lT6_S3_li.has_dyn_sized_stack, 0
	.set _ZL26rocblas_syr2k_her2k_kernelIlLb1ELb0ELb1ELi32EfPKfPfEvbiT_T4_T5_S3_lS5_S3_lT6_S3_li.has_recursion, 0
	.set _ZL26rocblas_syr2k_her2k_kernelIlLb1ELb0ELb1ELi32EfPKfPfEvbiT_T4_T5_S3_lS5_S3_lT6_S3_li.has_indirect_call, 0
	.section	.AMDGPU.csdata,"",@progbits
; Kernel info:
; codeLenInByte = 1812
; TotalNumSgprs: 38
; NumVgprs: 34
; ScratchSize: 0
; MemoryBound: 0
; FloatMode: 240
; IeeeMode: 1
; LDSByteSize: 8192 bytes/workgroup (compile time only)
; SGPRBlocks: 8
; VGPRBlocks: 8
; NumSGPRsForWavesPerEU: 65
; NumVGPRsForWavesPerEU: 34
; Occupancy: 7
; WaveLimiterHint : 0
; COMPUTE_PGM_RSRC2:SCRATCH_EN: 0
; COMPUTE_PGM_RSRC2:USER_SGPR: 6
; COMPUTE_PGM_RSRC2:TRAP_HANDLER: 0
; COMPUTE_PGM_RSRC2:TGID_X_EN: 1
; COMPUTE_PGM_RSRC2:TGID_Y_EN: 1
; COMPUTE_PGM_RSRC2:TGID_Z_EN: 1
; COMPUTE_PGM_RSRC2:TIDIG_COMP_CNT: 1
	.section	.text._ZL26rocblas_syr2k_her2k_kernelIlLb1ELb0ELb0ELi32EPKfS1_PfEvbiT_T4_T5_S3_lS5_S3_lT6_S3_li,"axG",@progbits,_ZL26rocblas_syr2k_her2k_kernelIlLb1ELb0ELb0ELi32EPKfS1_PfEvbiT_T4_T5_S3_lS5_S3_lT6_S3_li,comdat
	.globl	_ZL26rocblas_syr2k_her2k_kernelIlLb1ELb0ELb0ELi32EPKfS1_PfEvbiT_T4_T5_S3_lS5_S3_lT6_S3_li ; -- Begin function _ZL26rocblas_syr2k_her2k_kernelIlLb1ELb0ELb0ELi32EPKfS1_PfEvbiT_T4_T5_S3_lS5_S3_lT6_S3_li
	.p2align	8
	.type	_ZL26rocblas_syr2k_her2k_kernelIlLb1ELb0ELb0ELi32EPKfS1_PfEvbiT_T4_T5_S3_lS5_S3_lT6_S3_li,@function
_ZL26rocblas_syr2k_her2k_kernelIlLb1ELb0ELb0ELi32EPKfS1_PfEvbiT_T4_T5_S3_lS5_S3_lT6_S3_li: ; @_ZL26rocblas_syr2k_her2k_kernelIlLb1ELb0ELb0ELi32EPKfS1_PfEvbiT_T4_T5_S3_lS5_S3_lT6_S3_li
; %bb.0:
	s_load_dwordx16 s[12:27], s[4:5], 0x8
	s_waitcnt lgkmcnt(0)
	s_load_dword s33, s[14:15], 0x0
	s_waitcnt lgkmcnt(0)
	v_cmp_eq_f32_e64 s[0:1], s33, 0
	s_and_b64 vcc, exec, s[0:1]
	s_cbranch_vccnz .LBB1850_16
; %bb.1:
	s_load_dwordx2 s[10:11], s[4:5], 0x0
	s_lshl_b32 s2, s7, 5
	s_lshl_b32 s3, s6, 5
	s_waitcnt lgkmcnt(0)
	s_and_b32 s0, 1, s10
	s_cmp_eq_u32 s0, 1
	s_cselect_b64 s[0:1], -1, 0
	s_and_b64 s[6:7], s[0:1], exec
	s_cselect_b32 s6, s3, s2
	s_cselect_b32 s7, s2, s3
	s_cmp_gt_i32 s6, s7
	v_cmp_lt_i64_e64 s[6:7], s[12:13], 1
	s_cselect_b64 s[14:15], -1, 0
	s_or_b64 s[6:7], s[14:15], s[6:7]
	s_and_b64 vcc, exec, s[6:7]
	s_cbranch_vccnz .LBB1850_16
; %bb.2:
	s_load_dwordx2 s[6:7], s[4:5], 0x58
	s_load_dwordx4 s[28:31], s[4:5], 0x48
	s_mul_i32 s9, s27, s8
	v_add_u32_e32 v8, s2, v1
	v_lshlrev_b32_e32 v4, 7, v0
	s_waitcnt lgkmcnt(0)
	s_mul_i32 s5, s7, s8
	s_mul_hi_u32 s7, s6, s8
	s_mul_i32 s4, s6, s8
	s_add_i32 s5, s7, s5
	s_lshl_b64 s[4:5], s[4:5], 2
	s_add_u32 s10, s28, s4
	s_mul_hi_u32 s4, s26, s8
	s_addc_u32 s6, s29, s5
	s_add_i32 s5, s4, s9
	s_mul_i32 s4, s26, s8
	s_lshl_b64 s[4:5], s[4:5], 2
	s_add_u32 s22, s22, s4
	s_addc_u32 s23, s23, s5
	s_mul_i32 s4, s21, s8
	s_mul_hi_u32 s5, s20, s8
	s_add_i32 s5, s5, s4
	s_mul_i32 s4, s20, s8
	s_lshl_b64 s[4:5], s[4:5], 2
	v_lshlrev_b32_e32 v2, 2, v1
	s_add_u32 s20, s16, s4
	v_add_u32_e32 v5, v4, v2
	v_or_b32_e32 v6, 0x1000, v2
	v_ashrrev_i32_e32 v2, 31, v8
	s_addc_u32 s21, s17, s5
	v_mul_lo_u32 v15, s30, v2
	v_mul_lo_u32 v16, s31, v8
	v_mad_u64_u32 v[2:3], s[4:5], s30, v8, 0
	v_add_u32_e32 v12, s3, v0
	v_max_i32_e32 v14, v12, v8
	v_add3_u32 v3, v3, v15, v16
	v_cndmask_b32_e64 v10, v12, v8, s[0:1]
	v_cndmask_b32_e64 v11, v8, v12, s[0:1]
	v_cmp_gt_i32_e32 vcc, s11, v14
	v_lshlrev_b64 v[2:3], 2, v[2:3]
	v_mov_b32_e32 v16, s6
	v_mad_u64_u32 v[14:15], s[6:7], s18, v0, 0
	v_cmp_le_i32_e64 s[4:5], v11, v10
	s_and_b64 s[4:5], s[4:5], vcc
	v_ashrrev_i32_e32 v11, 31, v12
	v_mov_b32_e32 v10, v12
	v_add_co_u32_e32 v17, vcc, s10, v2
	v_addc_co_u32_e32 v16, vcc, v16, v3, vcc
	v_lshlrev_b64 v[2:3], 2, v[10:11]
	v_mov_b32_e32 v10, v15
	v_mad_u64_u32 v[10:11], s[6:7], s19, v0, v[10:11]
	v_add_co_u32_e32 v2, vcc, v17, v2
	v_addc_co_u32_e32 v3, vcc, v16, v3, vcc
	v_mad_u64_u32 v[16:17], s[6:7], s24, v0, 0
	v_mov_b32_e32 v13, 0
	s_ashr_i32 s3, s11, 31
	s_mov_b32 s2, s11
	v_mov_b32_e32 v9, v13
	v_mov_b32_e32 v15, v10
	v_cmp_gt_i64_e64 s[0:1], s[2:3], v[12:13]
	v_cmp_gt_i64_e64 s[2:3], s[2:3], v[8:9]
	v_lshlrev_b64 v[10:11], 2, v[14:15]
	v_lshlrev_b64 v[14:15], 2, v[8:9]
	v_mov_b32_e32 v8, v17
	v_mad_u64_u32 v[17:18], s[6:7], s25, v0, v[8:9]
	v_add_co_u32_e32 v8, vcc, v10, v14
	v_addc_co_u32_e32 v9, vcc, v11, v15, vcc
	v_lshlrev_b64 v[10:11], 2, v[16:17]
	v_mad_u64_u32 v[16:17], s[8:9], s24, v1, 0
	v_add_co_u32_e32 v10, vcc, v10, v14
	v_mov_b32_e32 v14, v17
	v_addc_co_u32_e32 v11, vcc, v11, v15, vcc
	v_mad_u64_u32 v[14:15], s[8:9], s25, v1, v[14:15]
	v_mad_u64_u32 v[18:19], s[10:11], s18, v1, 0
	v_mov_b32_e32 v17, v14
	v_lshlrev_b64 v[14:15], 2, v[16:17]
	v_lshlrev_b64 v[16:17], 2, v[12:13]
	v_mov_b32_e32 v12, v19
	v_mad_u64_u32 v[19:20], s[10:11], s19, v1, v[12:13]
	v_add_co_u32_e32 v12, vcc, v14, v16
	v_addc_co_u32_e32 v13, vcc, v15, v17, vcc
	v_lshlrev_b64 v[14:15], 2, v[18:19]
	v_add_u32_e32 v7, v6, v4
	v_add_co_u32_e32 v14, vcc, v14, v16
	s_lshl_b64 s[6:7], s[18:19], 7
	s_lshl_b64 s[8:9], s[24:25], 7
	v_addc_co_u32_e32 v15, vcc, v15, v17, vcc
	s_mov_b64 s[10:11], 0
	s_branch .LBB1850_4
.LBB1850_3:                             ;   in Loop: Header=BB1850_4 Depth=1
	s_or_b64 exec, exec, s[14:15]
	s_add_u32 s10, s10, 32
	s_addc_u32 s11, s11, 0
	v_mov_b32_e32 v17, s13
	s_add_u32 s20, s20, s6
	v_mov_b32_e32 v16, s12
	s_addc_u32 s21, s21, s7
	v_cmp_lt_i64_e32 vcc, s[10:11], v[16:17]
	s_add_u32 s22, s22, s8
	s_addc_u32 s23, s23, s9
	s_waitcnt vmcnt(0)
	s_barrier
	s_cbranch_vccz .LBB1850_16
.LBB1850_4:                             ; =>This Inner Loop Header: Depth=1
	v_mov_b32_e32 v17, s11
	v_add_co_u32_e32 v16, vcc, s10, v1
	v_addc_co_u32_e32 v17, vcc, 0, v17, vcc
	v_cmp_gt_i64_e32 vcc, s[12:13], v[16:17]
	v_mov_b32_e32 v16, 0
	s_and_b64 s[14:15], s[0:1], vcc
	s_and_saveexec_b64 s[16:17], s[14:15]
	s_cbranch_execz .LBB1850_6
; %bb.5:                                ;   in Loop: Header=BB1850_4 Depth=1
	v_mov_b32_e32 v17, s21
	v_add_co_u32_e32 v16, vcc, s20, v14
	v_addc_co_u32_e32 v17, vcc, v17, v15, vcc
	global_load_dword v16, v[16:17], off
.LBB1850_6:                             ;   in Loop: Header=BB1850_4 Depth=1
	s_or_b64 exec, exec, s[16:17]
	v_mov_b32_e32 v18, s11
	v_add_co_u32_e32 v17, vcc, s10, v0
	v_addc_co_u32_e32 v18, vcc, 0, v18, vcc
	v_cmp_gt_i64_e32 vcc, s[12:13], v[17:18]
	s_waitcnt vmcnt(0)
	ds_write_b32 v5, v16
	s_and_b64 s[16:17], s[2:3], vcc
	v_mov_b32_e32 v16, 0
	s_and_saveexec_b64 s[18:19], s[16:17]
	s_cbranch_execz .LBB1850_8
; %bb.7:                                ;   in Loop: Header=BB1850_4 Depth=1
	v_mov_b32_e32 v17, s23
	v_add_co_u32_e32 v16, vcc, s22, v10
	v_addc_co_u32_e32 v17, vcc, v17, v11, vcc
	global_load_dword v16, v[16:17], off
.LBB1850_8:                             ;   in Loop: Header=BB1850_4 Depth=1
	s_or_b64 exec, exec, s[18:19]
	s_waitcnt vmcnt(0)
	ds_write_b32 v7, v16
	s_waitcnt lgkmcnt(0)
	s_barrier
	s_and_saveexec_b64 s[18:19], s[4:5]
	s_cbranch_execz .LBB1850_10
; %bb.9:                                ;   in Loop: Header=BB1850_4 Depth=1
	ds_read_b128 v[16:19], v4
	ds_read_b128 v[20:23], v4 offset:16
	ds_read_b128 v[24:27], v4 offset:32
	;; [unrolled: 1-line block ×3, first 2 shown]
	ds_read2_b32 v[32:33], v6 offset1:32
	s_waitcnt lgkmcnt(0)
	v_fma_f32 v16, v16, v32, 0
	v_fmac_f32_e32 v16, v17, v33
	ds_read2_b32 v[32:33], v6 offset0:64 offset1:96
	s_waitcnt lgkmcnt(0)
	v_fmac_f32_e32 v16, v18, v32
	ds_read2_b32 v[17:18], v6 offset0:128 offset1:160
	v_fmac_f32_e32 v16, v19, v33
	v_add_u32_e32 v19, 0x400, v6
	s_waitcnt lgkmcnt(0)
	v_fmac_f32_e32 v16, v20, v17
	v_fmac_f32_e32 v16, v21, v18
	ds_read2_b32 v[17:18], v6 offset0:192 offset1:224
	s_waitcnt lgkmcnt(0)
	v_fmac_f32_e32 v16, v22, v17
	v_fmac_f32_e32 v16, v23, v18
	ds_read2_b32 v[17:18], v19 offset1:32
	v_add_u32_e32 v23, 0x800, v6
	ds_read2_b32 v[21:22], v23 offset1:32
	s_waitcnt lgkmcnt(1)
	v_fmac_f32_e32 v16, v24, v17
	v_fmac_f32_e32 v16, v25, v18
	ds_read2_b32 v[17:18], v19 offset0:64 offset1:96
	s_waitcnt lgkmcnt(0)
	v_fmac_f32_e32 v16, v26, v17
	v_fmac_f32_e32 v16, v27, v18
	ds_read2_b32 v[17:18], v19 offset0:128 offset1:160
	s_waitcnt lgkmcnt(0)
	v_fmac_f32_e32 v16, v28, v17
	v_fmac_f32_e32 v16, v29, v18
	ds_read2_b32 v[17:18], v19 offset0:192 offset1:224
	s_waitcnt lgkmcnt(0)
	v_fmac_f32_e32 v16, v30, v17
	v_fmac_f32_e32 v16, v31, v18
	ds_read_b128 v[17:20], v4 offset:64
	s_waitcnt lgkmcnt(0)
	v_fmac_f32_e32 v16, v17, v21
	v_fmac_f32_e32 v16, v18, v22
	ds_read2_b32 v[17:18], v23 offset0:64 offset1:96
	s_waitcnt lgkmcnt(0)
	v_fmac_f32_e32 v16, v19, v17
	v_fmac_f32_e32 v16, v20, v18
	ds_read_b128 v[17:20], v4 offset:80
	ds_read2_b32 v[21:22], v23 offset0:128 offset1:160
	s_waitcnt lgkmcnt(0)
	v_fmac_f32_e32 v16, v17, v21
	v_fmac_f32_e32 v16, v18, v22
	ds_read2_b32 v[17:18], v23 offset0:192 offset1:224
	v_add_u32_e32 v23, 0xc00, v6
	ds_read2_b32 v[21:22], v23 offset1:32
	s_waitcnt lgkmcnt(1)
	v_fmac_f32_e32 v16, v19, v17
	v_fmac_f32_e32 v16, v20, v18
	ds_read_b128 v[17:20], v4 offset:96
	s_waitcnt lgkmcnt(0)
	v_fmac_f32_e32 v16, v17, v21
	v_fmac_f32_e32 v16, v18, v22
	ds_read2_b32 v[17:18], v23 offset0:64 offset1:96
	s_waitcnt lgkmcnt(0)
	v_fmac_f32_e32 v16, v19, v17
	v_fmac_f32_e32 v16, v20, v18
	ds_read_b128 v[17:20], v4 offset:112
	ds_read2_b32 v[21:22], v23 offset0:128 offset1:160
	s_waitcnt lgkmcnt(0)
	v_fmac_f32_e32 v16, v17, v21
	v_fmac_f32_e32 v16, v18, v22
	ds_read2_b32 v[17:18], v23 offset0:192 offset1:224
	s_waitcnt lgkmcnt(0)
	v_fmac_f32_e32 v16, v19, v17
	global_load_dword v17, v[2:3], off
	v_fmac_f32_e32 v16, v20, v18
	s_waitcnt vmcnt(0)
	v_fmac_f32_e32 v17, s33, v16
	global_store_dword v[2:3], v17, off
.LBB1850_10:                            ;   in Loop: Header=BB1850_4 Depth=1
	s_or_b64 exec, exec, s[18:19]
	v_mov_b32_e32 v16, 0
	v_mov_b32_e32 v17, 0
	s_waitcnt vmcnt(0)
	s_barrier
	s_and_saveexec_b64 s[18:19], s[14:15]
	s_cbranch_execz .LBB1850_12
; %bb.11:                               ;   in Loop: Header=BB1850_4 Depth=1
	v_mov_b32_e32 v18, s23
	v_add_co_u32_e32 v17, vcc, s22, v12
	v_addc_co_u32_e32 v18, vcc, v18, v13, vcc
	global_load_dword v17, v[17:18], off
.LBB1850_12:                            ;   in Loop: Header=BB1850_4 Depth=1
	s_or_b64 exec, exec, s[18:19]
	s_waitcnt vmcnt(0)
	ds_write_b32 v5, v17
	s_and_saveexec_b64 s[14:15], s[16:17]
	s_cbranch_execz .LBB1850_14
; %bb.13:                               ;   in Loop: Header=BB1850_4 Depth=1
	v_mov_b32_e32 v17, s21
	v_add_co_u32_e32 v16, vcc, s20, v8
	v_addc_co_u32_e32 v17, vcc, v17, v9, vcc
	global_load_dword v16, v[16:17], off
.LBB1850_14:                            ;   in Loop: Header=BB1850_4 Depth=1
	s_or_b64 exec, exec, s[14:15]
	s_waitcnt vmcnt(0)
	ds_write_b32 v7, v16
	s_waitcnt lgkmcnt(0)
	s_barrier
	s_and_saveexec_b64 s[14:15], s[4:5]
	s_cbranch_execz .LBB1850_3
; %bb.15:                               ;   in Loop: Header=BB1850_4 Depth=1
	ds_read_b128 v[16:19], v4
	ds_read_b128 v[20:23], v4 offset:16
	ds_read_b128 v[24:27], v4 offset:32
	ds_read_b128 v[28:31], v4 offset:48
	ds_read2_b32 v[32:33], v6 offset1:32
	s_waitcnt lgkmcnt(0)
	v_fma_f32 v16, v16, v32, 0
	v_fmac_f32_e32 v16, v17, v33
	ds_read2_b32 v[32:33], v6 offset0:64 offset1:96
	s_waitcnt lgkmcnt(0)
	v_fmac_f32_e32 v16, v18, v32
	ds_read2_b32 v[17:18], v6 offset0:128 offset1:160
	v_fmac_f32_e32 v16, v19, v33
	v_add_u32_e32 v19, 0x400, v6
	s_waitcnt lgkmcnt(0)
	v_fmac_f32_e32 v16, v20, v17
	v_fmac_f32_e32 v16, v21, v18
	ds_read2_b32 v[17:18], v6 offset0:192 offset1:224
	s_waitcnt lgkmcnt(0)
	v_fmac_f32_e32 v16, v22, v17
	v_fmac_f32_e32 v16, v23, v18
	ds_read2_b32 v[17:18], v19 offset1:32
	v_add_u32_e32 v23, 0x800, v6
	ds_read2_b32 v[21:22], v23 offset1:32
	s_waitcnt lgkmcnt(1)
	v_fmac_f32_e32 v16, v24, v17
	v_fmac_f32_e32 v16, v25, v18
	ds_read2_b32 v[17:18], v19 offset0:64 offset1:96
	s_waitcnt lgkmcnt(0)
	v_fmac_f32_e32 v16, v26, v17
	v_fmac_f32_e32 v16, v27, v18
	ds_read2_b32 v[17:18], v19 offset0:128 offset1:160
	s_waitcnt lgkmcnt(0)
	v_fmac_f32_e32 v16, v28, v17
	v_fmac_f32_e32 v16, v29, v18
	ds_read2_b32 v[17:18], v19 offset0:192 offset1:224
	s_waitcnt lgkmcnt(0)
	v_fmac_f32_e32 v16, v30, v17
	v_fmac_f32_e32 v16, v31, v18
	ds_read_b128 v[17:20], v4 offset:64
	s_waitcnt lgkmcnt(0)
	v_fmac_f32_e32 v16, v17, v21
	v_fmac_f32_e32 v16, v18, v22
	ds_read2_b32 v[17:18], v23 offset0:64 offset1:96
	s_waitcnt lgkmcnt(0)
	v_fmac_f32_e32 v16, v19, v17
	v_fmac_f32_e32 v16, v20, v18
	ds_read_b128 v[17:20], v4 offset:80
	ds_read2_b32 v[21:22], v23 offset0:128 offset1:160
	s_waitcnt lgkmcnt(0)
	v_fmac_f32_e32 v16, v17, v21
	v_fmac_f32_e32 v16, v18, v22
	ds_read2_b32 v[17:18], v23 offset0:192 offset1:224
	v_add_u32_e32 v23, 0xc00, v6
	ds_read2_b32 v[21:22], v23 offset1:32
	s_waitcnt lgkmcnt(1)
	v_fmac_f32_e32 v16, v19, v17
	v_fmac_f32_e32 v16, v20, v18
	ds_read_b128 v[17:20], v4 offset:96
	s_waitcnt lgkmcnt(0)
	v_fmac_f32_e32 v16, v17, v21
	v_fmac_f32_e32 v16, v18, v22
	ds_read2_b32 v[17:18], v23 offset0:64 offset1:96
	s_waitcnt lgkmcnt(0)
	v_fmac_f32_e32 v16, v19, v17
	v_fmac_f32_e32 v16, v20, v18
	ds_read_b128 v[17:20], v4 offset:112
	ds_read2_b32 v[21:22], v23 offset0:128 offset1:160
	s_waitcnt lgkmcnt(0)
	v_fmac_f32_e32 v16, v17, v21
	v_fmac_f32_e32 v16, v18, v22
	ds_read2_b32 v[17:18], v23 offset0:192 offset1:224
	s_waitcnt lgkmcnt(0)
	v_fmac_f32_e32 v16, v19, v17
	global_load_dword v17, v[2:3], off
	v_fmac_f32_e32 v16, v20, v18
	s_waitcnt vmcnt(0)
	v_fmac_f32_e32 v17, s33, v16
	global_store_dword v[2:3], v17, off
	s_branch .LBB1850_3
.LBB1850_16:
	s_endpgm
	.section	.rodata,"a",@progbits
	.p2align	6, 0x0
	.amdhsa_kernel _ZL26rocblas_syr2k_her2k_kernelIlLb1ELb0ELb0ELi32EPKfS1_PfEvbiT_T4_T5_S3_lS5_S3_lT6_S3_li
		.amdhsa_group_segment_fixed_size 8192
		.amdhsa_private_segment_fixed_size 0
		.amdhsa_kernarg_size 100
		.amdhsa_user_sgpr_count 6
		.amdhsa_user_sgpr_private_segment_buffer 1
		.amdhsa_user_sgpr_dispatch_ptr 0
		.amdhsa_user_sgpr_queue_ptr 0
		.amdhsa_user_sgpr_kernarg_segment_ptr 1
		.amdhsa_user_sgpr_dispatch_id 0
		.amdhsa_user_sgpr_flat_scratch_init 0
		.amdhsa_user_sgpr_private_segment_size 0
		.amdhsa_uses_dynamic_stack 0
		.amdhsa_system_sgpr_private_segment_wavefront_offset 0
		.amdhsa_system_sgpr_workgroup_id_x 1
		.amdhsa_system_sgpr_workgroup_id_y 1
		.amdhsa_system_sgpr_workgroup_id_z 1
		.amdhsa_system_sgpr_workgroup_info 0
		.amdhsa_system_vgpr_workitem_id 1
		.amdhsa_next_free_vgpr 34
		.amdhsa_next_free_sgpr 61
		.amdhsa_reserve_vcc 1
		.amdhsa_reserve_flat_scratch 0
		.amdhsa_float_round_mode_32 0
		.amdhsa_float_round_mode_16_64 0
		.amdhsa_float_denorm_mode_32 3
		.amdhsa_float_denorm_mode_16_64 3
		.amdhsa_dx10_clamp 1
		.amdhsa_ieee_mode 1
		.amdhsa_fp16_overflow 0
		.amdhsa_exception_fp_ieee_invalid_op 0
		.amdhsa_exception_fp_denorm_src 0
		.amdhsa_exception_fp_ieee_div_zero 0
		.amdhsa_exception_fp_ieee_overflow 0
		.amdhsa_exception_fp_ieee_underflow 0
		.amdhsa_exception_fp_ieee_inexact 0
		.amdhsa_exception_int_div_zero 0
	.end_amdhsa_kernel
	.section	.text._ZL26rocblas_syr2k_her2k_kernelIlLb1ELb0ELb0ELi32EPKfS1_PfEvbiT_T4_T5_S3_lS5_S3_lT6_S3_li,"axG",@progbits,_ZL26rocblas_syr2k_her2k_kernelIlLb1ELb0ELb0ELi32EPKfS1_PfEvbiT_T4_T5_S3_lS5_S3_lT6_S3_li,comdat
.Lfunc_end1850:
	.size	_ZL26rocblas_syr2k_her2k_kernelIlLb1ELb0ELb0ELi32EPKfS1_PfEvbiT_T4_T5_S3_lS5_S3_lT6_S3_li, .Lfunc_end1850-_ZL26rocblas_syr2k_her2k_kernelIlLb1ELb0ELb0ELi32EPKfS1_PfEvbiT_T4_T5_S3_lS5_S3_lT6_S3_li
                                        ; -- End function
	.set _ZL26rocblas_syr2k_her2k_kernelIlLb1ELb0ELb0ELi32EPKfS1_PfEvbiT_T4_T5_S3_lS5_S3_lT6_S3_li.num_vgpr, 34
	.set _ZL26rocblas_syr2k_her2k_kernelIlLb1ELb0ELb0ELi32EPKfS1_PfEvbiT_T4_T5_S3_lS5_S3_lT6_S3_li.num_agpr, 0
	.set _ZL26rocblas_syr2k_her2k_kernelIlLb1ELb0ELb0ELi32EPKfS1_PfEvbiT_T4_T5_S3_lS5_S3_lT6_S3_li.numbered_sgpr, 34
	.set _ZL26rocblas_syr2k_her2k_kernelIlLb1ELb0ELb0ELi32EPKfS1_PfEvbiT_T4_T5_S3_lS5_S3_lT6_S3_li.num_named_barrier, 0
	.set _ZL26rocblas_syr2k_her2k_kernelIlLb1ELb0ELb0ELi32EPKfS1_PfEvbiT_T4_T5_S3_lS5_S3_lT6_S3_li.private_seg_size, 0
	.set _ZL26rocblas_syr2k_her2k_kernelIlLb1ELb0ELb0ELi32EPKfS1_PfEvbiT_T4_T5_S3_lS5_S3_lT6_S3_li.uses_vcc, 1
	.set _ZL26rocblas_syr2k_her2k_kernelIlLb1ELb0ELb0ELi32EPKfS1_PfEvbiT_T4_T5_S3_lS5_S3_lT6_S3_li.uses_flat_scratch, 0
	.set _ZL26rocblas_syr2k_her2k_kernelIlLb1ELb0ELb0ELi32EPKfS1_PfEvbiT_T4_T5_S3_lS5_S3_lT6_S3_li.has_dyn_sized_stack, 0
	.set _ZL26rocblas_syr2k_her2k_kernelIlLb1ELb0ELb0ELi32EPKfS1_PfEvbiT_T4_T5_S3_lS5_S3_lT6_S3_li.has_recursion, 0
	.set _ZL26rocblas_syr2k_her2k_kernelIlLb1ELb0ELb0ELi32EPKfS1_PfEvbiT_T4_T5_S3_lS5_S3_lT6_S3_li.has_indirect_call, 0
	.section	.AMDGPU.csdata,"",@progbits
; Kernel info:
; codeLenInByte = 1788
; TotalNumSgprs: 38
; NumVgprs: 34
; ScratchSize: 0
; MemoryBound: 0
; FloatMode: 240
; IeeeMode: 1
; LDSByteSize: 8192 bytes/workgroup (compile time only)
; SGPRBlocks: 8
; VGPRBlocks: 8
; NumSGPRsForWavesPerEU: 65
; NumVGPRsForWavesPerEU: 34
; Occupancy: 7
; WaveLimiterHint : 0
; COMPUTE_PGM_RSRC2:SCRATCH_EN: 0
; COMPUTE_PGM_RSRC2:USER_SGPR: 6
; COMPUTE_PGM_RSRC2:TRAP_HANDLER: 0
; COMPUTE_PGM_RSRC2:TGID_X_EN: 1
; COMPUTE_PGM_RSRC2:TGID_Y_EN: 1
; COMPUTE_PGM_RSRC2:TGID_Z_EN: 1
; COMPUTE_PGM_RSRC2:TIDIG_COMP_CNT: 1
	.section	.text._ZL26rocblas_syr2k_her2k_kernelIlLb1ELb0ELb1ELi32EPKfS1_PfEvbiT_T4_T5_S3_lS5_S3_lT6_S3_li,"axG",@progbits,_ZL26rocblas_syr2k_her2k_kernelIlLb1ELb0ELb1ELi32EPKfS1_PfEvbiT_T4_T5_S3_lS5_S3_lT6_S3_li,comdat
	.globl	_ZL26rocblas_syr2k_her2k_kernelIlLb1ELb0ELb1ELi32EPKfS1_PfEvbiT_T4_T5_S3_lS5_S3_lT6_S3_li ; -- Begin function _ZL26rocblas_syr2k_her2k_kernelIlLb1ELb0ELb1ELi32EPKfS1_PfEvbiT_T4_T5_S3_lS5_S3_lT6_S3_li
	.p2align	8
	.type	_ZL26rocblas_syr2k_her2k_kernelIlLb1ELb0ELb1ELi32EPKfS1_PfEvbiT_T4_T5_S3_lS5_S3_lT6_S3_li,@function
_ZL26rocblas_syr2k_her2k_kernelIlLb1ELb0ELb1ELi32EPKfS1_PfEvbiT_T4_T5_S3_lS5_S3_lT6_S3_li: ; @_ZL26rocblas_syr2k_her2k_kernelIlLb1ELb0ELb1ELi32EPKfS1_PfEvbiT_T4_T5_S3_lS5_S3_lT6_S3_li
; %bb.0:
	s_load_dwordx16 s[12:27], s[4:5], 0x8
	s_waitcnt lgkmcnt(0)
	s_load_dword s28, s[14:15], 0x0
	s_waitcnt lgkmcnt(0)
	v_cmp_eq_f32_e64 s[0:1], s28, 0
	s_and_b64 vcc, exec, s[0:1]
	s_cbranch_vccnz .LBB1851_16
; %bb.1:
	s_load_dwordx2 s[10:11], s[4:5], 0x0
	s_lshl_b32 s3, s7, 5
	s_lshl_b32 s2, s6, 5
	s_waitcnt lgkmcnt(0)
	s_and_b32 s0, 1, s10
	s_cmp_eq_u32 s0, 1
	s_cselect_b64 s[0:1], -1, 0
	s_and_b64 s[6:7], s[0:1], exec
	s_cselect_b32 s6, s2, s3
	s_cselect_b32 s7, s3, s2
	s_cmp_gt_i32 s6, s7
	v_cmp_lt_i64_e64 s[6:7], s[12:13], 1
	s_cselect_b64 s[14:15], -1, 0
	s_or_b64 s[6:7], s[14:15], s[6:7]
	s_and_b64 vcc, exec, s[6:7]
	s_cbranch_vccnz .LBB1851_16
; %bb.2:
	s_load_dwordx2 s[6:7], s[4:5], 0x58
	s_load_dwordx4 s[36:39], s[4:5], 0x48
	v_add_u32_e32 v11, s3, v1
	v_mov_b32_e32 v5, 0
	v_add_u32_e32 v4, s2, v0
	s_waitcnt lgkmcnt(0)
	s_mul_i32 s3, s7, s8
	s_mul_hi_u32 s5, s6, s8
	s_mul_i32 s4, s6, s8
	s_add_i32 s5, s5, s3
	s_lshl_b64 s[4:5], s[4:5], 2
	s_add_u32 s6, s36, s4
	s_addc_u32 s7, s37, s5
	s_ashr_i32 s3, s11, 31
	s_mov_b32 s2, s11
	v_mov_b32_e32 v12, v5
	v_ashrrev_i32_e32 v2, 31, v11
	v_cndmask_b32_e64 v10, v4, v11, s[0:1]
	v_cndmask_b32_e64 v13, v11, v4, s[0:1]
	v_cmp_gt_i64_e64 s[0:1], s[2:3], v[4:5]
	v_cmp_gt_i64_e64 s[2:3], s[2:3], v[11:12]
	v_mul_lo_u32 v12, s38, v2
	v_mul_lo_u32 v14, s39, v11
	v_mad_u64_u32 v[2:3], s[4:5], s38, v11, 0
	v_max_i32_e32 v5, v4, v11
	v_cmp_gt_i32_e32 vcc, s11, v5
	v_add3_u32 v3, v3, v12, v14
	v_lshlrev_b64 v[2:3], 2, v[2:3]
	v_cmp_le_i32_e64 s[4:5], v13, v10
	s_and_b64 s[4:5], s[4:5], vcc
	v_mov_b32_e32 v10, s7
	v_add_co_u32_e32 v14, vcc, s6, v2
	v_mad_u64_u32 v[12:13], s[6:7], s18, v11, 0
	v_ashrrev_i32_e32 v5, 31, v4
	v_addc_co_u32_e32 v10, vcc, v10, v3, vcc
	v_lshlrev_b64 v[2:3], 2, v[4:5]
	v_lshlrev_b32_e32 v6, 7, v0
	v_mov_b32_e32 v5, v13
	v_add_co_u32_e32 v2, vcc, v14, v2
	v_mad_u64_u32 v[13:14], s[6:7], s19, v11, v[5:6]
	s_mul_i32 s9, s21, s8
	s_mul_hi_u32 s10, s20, s8
	s_add_i32 s7, s10, s9
	s_mul_i32 s6, s20, s8
	v_lshlrev_b64 v[12:13], 2, v[12:13]
	v_addc_co_u32_e32 v3, vcc, v10, v3, vcc
	s_lshl_b64 s[6:7], s[6:7], 2
	v_mov_b32_e32 v18, s7
	v_add_co_u32_e32 v5, vcc, s6, v12
	v_addc_co_u32_e32 v10, vcc, v18, v13, vcc
	v_lshlrev_b32_e32 v15, 2, v0
	v_mad_u64_u32 v[12:13], s[10:11], s24, v11, 0
	v_add_co_u32_e32 v5, vcc, v5, v15
	v_addc_co_u32_e32 v10, vcc, 0, v10, vcc
	v_mov_b32_e32 v14, s17
	v_add_co_u32_e32 v5, vcc, s16, v5
	v_addc_co_u32_e32 v10, vcc, v14, v10, vcc
	v_mad_u64_u32 v[13:14], s[10:11], s25, v11, v[13:14]
	s_mul_i32 s7, s27, s8
	s_mul_hi_u32 s9, s26, s8
	s_add_i32 s9, s9, s7
	s_mul_i32 s8, s26, s8
	v_lshlrev_b64 v[11:12], 2, v[12:13]
	s_lshl_b64 s[8:9], s[8:9], 2
	v_mad_u64_u32 v[13:14], s[10:11], s24, v4, 0
	v_mov_b32_e32 v16, s9
	v_add_co_u32_e32 v11, vcc, s8, v11
	v_addc_co_u32_e32 v12, vcc, v16, v12, vcc
	v_add_co_u32_e32 v19, vcc, v11, v15
	v_addc_co_u32_e32 v12, vcc, 0, v12, vcc
	v_mov_b32_e32 v11, v14
	v_mad_u64_u32 v[14:15], s[10:11], s25, v4, v[11:12]
	v_mov_b32_e32 v20, s23
	v_add_co_u32_e32 v11, vcc, s22, v19
	v_lshlrev_b64 v[13:14], 2, v[13:14]
	v_addc_co_u32_e32 v12, vcc, v20, v12, vcc
	v_add_co_u32_e32 v13, vcc, s8, v13
	v_addc_co_u32_e32 v16, vcc, v16, v14, vcc
	v_mad_u64_u32 v[14:15], s[8:9], s18, v4, 0
	v_lshlrev_b32_e32 v17, 2, v1
	v_add_co_u32_e32 v19, vcc, v13, v17
	v_mov_b32_e32 v13, v15
	v_addc_co_u32_e32 v20, vcc, 0, v16, vcc
	v_mad_u64_u32 v[15:16], s[8:9], s19, v4, v[13:14]
	v_mov_b32_e32 v21, s23
	v_add_co_u32_e32 v4, vcc, s22, v19
	v_lshlrev_b64 v[14:15], 2, v[14:15]
	v_addc_co_u32_e32 v13, vcc, v21, v20, vcc
	v_add_co_u32_e32 v14, vcc, s6, v14
	v_addc_co_u32_e32 v15, vcc, v18, v15, vcc
	v_add_co_u32_e32 v14, vcc, v14, v17
	v_addc_co_u32_e32 v15, vcc, 0, v15, vcc
	v_or_b32_e32 v8, 0x1000, v17
	v_mov_b32_e32 v16, s17
	v_add_co_u32_e32 v14, vcc, s16, v14
	v_add_u32_e32 v7, v6, v17
	v_add_u32_e32 v9, v8, v6
	v_addc_co_u32_e32 v15, vcc, v16, v15, vcc
	s_mov_b64 s[6:7], 0
	s_mov_b64 s[8:9], 0
	s_branch .LBB1851_4
.LBB1851_3:                             ;   in Loop: Header=BB1851_4 Depth=1
	s_or_b64 exec, exec, s[10:11]
	s_add_u32 s8, s8, 32
	v_mov_b32_e32 v17, s13
	s_addc_u32 s9, s9, 0
	v_mov_b32_e32 v16, s12
	v_cmp_lt_i64_e32 vcc, s[8:9], v[16:17]
	s_add_u32 s6, s6, 0x80
	s_addc_u32 s7, s7, 0
	s_waitcnt vmcnt(0)
	s_barrier
	s_cbranch_vccz .LBB1851_16
.LBB1851_4:                             ; =>This Inner Loop Header: Depth=1
	v_mov_b32_e32 v17, s9
	v_add_co_u32_e32 v16, vcc, s8, v1
	v_addc_co_u32_e32 v17, vcc, 0, v17, vcc
	v_cmp_gt_i64_e32 vcc, s[12:13], v[16:17]
	v_mov_b32_e32 v16, 0
	s_and_b64 s[10:11], s[0:1], vcc
	s_and_saveexec_b64 s[14:15], s[10:11]
	s_cbranch_execz .LBB1851_6
; %bb.5:                                ;   in Loop: Header=BB1851_4 Depth=1
	v_mov_b32_e32 v17, s7
	v_add_co_u32_e32 v16, vcc, s6, v14
	v_addc_co_u32_e32 v17, vcc, v15, v17, vcc
	global_load_dword v16, v[16:17], off
.LBB1851_6:                             ;   in Loop: Header=BB1851_4 Depth=1
	s_or_b64 exec, exec, s[14:15]
	v_mov_b32_e32 v18, s9
	v_add_co_u32_e32 v17, vcc, s8, v0
	v_addc_co_u32_e32 v18, vcc, 0, v18, vcc
	v_cmp_gt_i64_e32 vcc, s[12:13], v[17:18]
	s_waitcnt vmcnt(0)
	ds_write_b32 v7, v16
	s_and_b64 s[14:15], s[2:3], vcc
	v_mov_b32_e32 v16, 0
	s_and_saveexec_b64 s[16:17], s[14:15]
	s_cbranch_execz .LBB1851_8
; %bb.7:                                ;   in Loop: Header=BB1851_4 Depth=1
	v_mov_b32_e32 v17, s7
	v_add_co_u32_e32 v16, vcc, s6, v11
	v_addc_co_u32_e32 v17, vcc, v12, v17, vcc
	global_load_dword v16, v[16:17], off
.LBB1851_8:                             ;   in Loop: Header=BB1851_4 Depth=1
	s_or_b64 exec, exec, s[16:17]
	s_waitcnt vmcnt(0)
	ds_write_b32 v9, v16
	s_waitcnt lgkmcnt(0)
	s_barrier
	s_and_saveexec_b64 s[16:17], s[4:5]
	s_cbranch_execz .LBB1851_10
; %bb.9:                                ;   in Loop: Header=BB1851_4 Depth=1
	ds_read_b128 v[16:19], v6
	ds_read_b128 v[20:23], v6 offset:16
	ds_read_b128 v[24:27], v6 offset:32
	ds_read_b128 v[28:31], v6 offset:48
	ds_read2_b32 v[32:33], v8 offset1:32
	s_waitcnt lgkmcnt(0)
	v_fma_f32 v16, v16, v32, 0
	v_fmac_f32_e32 v16, v17, v33
	ds_read2_b32 v[32:33], v8 offset0:64 offset1:96
	s_waitcnt lgkmcnt(0)
	v_fmac_f32_e32 v16, v18, v32
	ds_read2_b32 v[17:18], v8 offset0:128 offset1:160
	v_fmac_f32_e32 v16, v19, v33
	v_add_u32_e32 v19, 0x400, v8
	s_waitcnt lgkmcnt(0)
	v_fmac_f32_e32 v16, v20, v17
	v_fmac_f32_e32 v16, v21, v18
	ds_read2_b32 v[17:18], v8 offset0:192 offset1:224
	s_waitcnt lgkmcnt(0)
	v_fmac_f32_e32 v16, v22, v17
	v_fmac_f32_e32 v16, v23, v18
	ds_read2_b32 v[17:18], v19 offset1:32
	v_add_u32_e32 v23, 0x800, v8
	ds_read2_b32 v[21:22], v23 offset1:32
	s_waitcnt lgkmcnt(1)
	v_fmac_f32_e32 v16, v24, v17
	v_fmac_f32_e32 v16, v25, v18
	ds_read2_b32 v[17:18], v19 offset0:64 offset1:96
	s_waitcnt lgkmcnt(0)
	v_fmac_f32_e32 v16, v26, v17
	v_fmac_f32_e32 v16, v27, v18
	ds_read2_b32 v[17:18], v19 offset0:128 offset1:160
	;; [unrolled: 4-line block ×3, first 2 shown]
	s_waitcnt lgkmcnt(0)
	v_fmac_f32_e32 v16, v30, v17
	v_fmac_f32_e32 v16, v31, v18
	ds_read_b128 v[17:20], v6 offset:64
	s_waitcnt lgkmcnt(0)
	v_fmac_f32_e32 v16, v17, v21
	v_fmac_f32_e32 v16, v18, v22
	ds_read2_b32 v[17:18], v23 offset0:64 offset1:96
	s_waitcnt lgkmcnt(0)
	v_fmac_f32_e32 v16, v19, v17
	v_fmac_f32_e32 v16, v20, v18
	ds_read_b128 v[17:20], v6 offset:80
	ds_read2_b32 v[21:22], v23 offset0:128 offset1:160
	s_waitcnt lgkmcnt(0)
	v_fmac_f32_e32 v16, v17, v21
	v_fmac_f32_e32 v16, v18, v22
	ds_read2_b32 v[17:18], v23 offset0:192 offset1:224
	v_add_u32_e32 v23, 0xc00, v8
	ds_read2_b32 v[21:22], v23 offset1:32
	s_waitcnt lgkmcnt(1)
	v_fmac_f32_e32 v16, v19, v17
	v_fmac_f32_e32 v16, v20, v18
	ds_read_b128 v[17:20], v6 offset:96
	s_waitcnt lgkmcnt(0)
	v_fmac_f32_e32 v16, v17, v21
	v_fmac_f32_e32 v16, v18, v22
	ds_read2_b32 v[17:18], v23 offset0:64 offset1:96
	s_waitcnt lgkmcnt(0)
	v_fmac_f32_e32 v16, v19, v17
	v_fmac_f32_e32 v16, v20, v18
	ds_read_b128 v[17:20], v6 offset:112
	ds_read2_b32 v[21:22], v23 offset0:128 offset1:160
	s_waitcnt lgkmcnt(0)
	v_fmac_f32_e32 v16, v17, v21
	v_fmac_f32_e32 v16, v18, v22
	ds_read2_b32 v[17:18], v23 offset0:192 offset1:224
	s_waitcnt lgkmcnt(0)
	v_fmac_f32_e32 v16, v19, v17
	global_load_dword v17, v[2:3], off
	v_fmac_f32_e32 v16, v20, v18
	s_waitcnt vmcnt(0)
	v_fmac_f32_e32 v17, s28, v16
	global_store_dword v[2:3], v17, off
.LBB1851_10:                            ;   in Loop: Header=BB1851_4 Depth=1
	s_or_b64 exec, exec, s[16:17]
	v_mov_b32_e32 v16, 0
	v_mov_b32_e32 v17, 0
	s_waitcnt vmcnt(0)
	s_barrier
	s_and_saveexec_b64 s[16:17], s[10:11]
	s_cbranch_execz .LBB1851_12
; %bb.11:                               ;   in Loop: Header=BB1851_4 Depth=1
	v_mov_b32_e32 v18, s7
	v_add_co_u32_e32 v17, vcc, s6, v4
	v_addc_co_u32_e32 v18, vcc, v13, v18, vcc
	global_load_dword v17, v[17:18], off
.LBB1851_12:                            ;   in Loop: Header=BB1851_4 Depth=1
	s_or_b64 exec, exec, s[16:17]
	s_waitcnt vmcnt(0)
	ds_write_b32 v7, v17
	s_and_saveexec_b64 s[10:11], s[14:15]
	s_cbranch_execz .LBB1851_14
; %bb.13:                               ;   in Loop: Header=BB1851_4 Depth=1
	v_mov_b32_e32 v17, s7
	v_add_co_u32_e32 v16, vcc, s6, v5
	v_addc_co_u32_e32 v17, vcc, v10, v17, vcc
	global_load_dword v16, v[16:17], off
.LBB1851_14:                            ;   in Loop: Header=BB1851_4 Depth=1
	s_or_b64 exec, exec, s[10:11]
	s_waitcnt vmcnt(0)
	ds_write_b32 v9, v16
	s_waitcnt lgkmcnt(0)
	s_barrier
	s_and_saveexec_b64 s[10:11], s[4:5]
	s_cbranch_execz .LBB1851_3
; %bb.15:                               ;   in Loop: Header=BB1851_4 Depth=1
	ds_read_b128 v[16:19], v6
	ds_read_b128 v[20:23], v6 offset:16
	ds_read_b128 v[24:27], v6 offset:32
	;; [unrolled: 1-line block ×3, first 2 shown]
	ds_read2_b32 v[32:33], v8 offset1:32
	s_waitcnt lgkmcnt(0)
	v_fma_f32 v16, v16, v32, 0
	v_fmac_f32_e32 v16, v17, v33
	ds_read2_b32 v[32:33], v8 offset0:64 offset1:96
	s_waitcnt lgkmcnt(0)
	v_fmac_f32_e32 v16, v18, v32
	ds_read2_b32 v[17:18], v8 offset0:128 offset1:160
	v_fmac_f32_e32 v16, v19, v33
	v_add_u32_e32 v19, 0x400, v8
	s_waitcnt lgkmcnt(0)
	v_fmac_f32_e32 v16, v20, v17
	v_fmac_f32_e32 v16, v21, v18
	ds_read2_b32 v[17:18], v8 offset0:192 offset1:224
	s_waitcnt lgkmcnt(0)
	v_fmac_f32_e32 v16, v22, v17
	v_fmac_f32_e32 v16, v23, v18
	ds_read2_b32 v[17:18], v19 offset1:32
	v_add_u32_e32 v23, 0x800, v8
	ds_read2_b32 v[21:22], v23 offset1:32
	s_waitcnt lgkmcnt(1)
	v_fmac_f32_e32 v16, v24, v17
	v_fmac_f32_e32 v16, v25, v18
	ds_read2_b32 v[17:18], v19 offset0:64 offset1:96
	s_waitcnt lgkmcnt(0)
	v_fmac_f32_e32 v16, v26, v17
	v_fmac_f32_e32 v16, v27, v18
	ds_read2_b32 v[17:18], v19 offset0:128 offset1:160
	;; [unrolled: 4-line block ×3, first 2 shown]
	s_waitcnt lgkmcnt(0)
	v_fmac_f32_e32 v16, v30, v17
	v_fmac_f32_e32 v16, v31, v18
	ds_read_b128 v[17:20], v6 offset:64
	s_waitcnt lgkmcnt(0)
	v_fmac_f32_e32 v16, v17, v21
	v_fmac_f32_e32 v16, v18, v22
	ds_read2_b32 v[17:18], v23 offset0:64 offset1:96
	s_waitcnt lgkmcnt(0)
	v_fmac_f32_e32 v16, v19, v17
	v_fmac_f32_e32 v16, v20, v18
	ds_read_b128 v[17:20], v6 offset:80
	ds_read2_b32 v[21:22], v23 offset0:128 offset1:160
	s_waitcnt lgkmcnt(0)
	v_fmac_f32_e32 v16, v17, v21
	v_fmac_f32_e32 v16, v18, v22
	ds_read2_b32 v[17:18], v23 offset0:192 offset1:224
	v_add_u32_e32 v23, 0xc00, v8
	ds_read2_b32 v[21:22], v23 offset1:32
	s_waitcnt lgkmcnt(1)
	v_fmac_f32_e32 v16, v19, v17
	v_fmac_f32_e32 v16, v20, v18
	ds_read_b128 v[17:20], v6 offset:96
	s_waitcnt lgkmcnt(0)
	v_fmac_f32_e32 v16, v17, v21
	v_fmac_f32_e32 v16, v18, v22
	ds_read2_b32 v[17:18], v23 offset0:64 offset1:96
	s_waitcnt lgkmcnt(0)
	v_fmac_f32_e32 v16, v19, v17
	v_fmac_f32_e32 v16, v20, v18
	ds_read_b128 v[17:20], v6 offset:112
	ds_read2_b32 v[21:22], v23 offset0:128 offset1:160
	s_waitcnt lgkmcnt(0)
	v_fmac_f32_e32 v16, v17, v21
	v_fmac_f32_e32 v16, v18, v22
	ds_read2_b32 v[17:18], v23 offset0:192 offset1:224
	s_waitcnt lgkmcnt(0)
	v_fmac_f32_e32 v16, v19, v17
	global_load_dword v17, v[2:3], off
	v_fmac_f32_e32 v16, v20, v18
	s_waitcnt vmcnt(0)
	v_fmac_f32_e32 v17, s28, v16
	global_store_dword v[2:3], v17, off
	s_branch .LBB1851_3
.LBB1851_16:
	s_endpgm
	.section	.rodata,"a",@progbits
	.p2align	6, 0x0
	.amdhsa_kernel _ZL26rocblas_syr2k_her2k_kernelIlLb1ELb0ELb1ELi32EPKfS1_PfEvbiT_T4_T5_S3_lS5_S3_lT6_S3_li
		.amdhsa_group_segment_fixed_size 8192
		.amdhsa_private_segment_fixed_size 0
		.amdhsa_kernarg_size 100
		.amdhsa_user_sgpr_count 6
		.amdhsa_user_sgpr_private_segment_buffer 1
		.amdhsa_user_sgpr_dispatch_ptr 0
		.amdhsa_user_sgpr_queue_ptr 0
		.amdhsa_user_sgpr_kernarg_segment_ptr 1
		.amdhsa_user_sgpr_dispatch_id 0
		.amdhsa_user_sgpr_flat_scratch_init 0
		.amdhsa_user_sgpr_private_segment_size 0
		.amdhsa_uses_dynamic_stack 0
		.amdhsa_system_sgpr_private_segment_wavefront_offset 0
		.amdhsa_system_sgpr_workgroup_id_x 1
		.amdhsa_system_sgpr_workgroup_id_y 1
		.amdhsa_system_sgpr_workgroup_id_z 1
		.amdhsa_system_sgpr_workgroup_info 0
		.amdhsa_system_vgpr_workitem_id 1
		.amdhsa_next_free_vgpr 34
		.amdhsa_next_free_sgpr 61
		.amdhsa_reserve_vcc 1
		.amdhsa_reserve_flat_scratch 0
		.amdhsa_float_round_mode_32 0
		.amdhsa_float_round_mode_16_64 0
		.amdhsa_float_denorm_mode_32 3
		.amdhsa_float_denorm_mode_16_64 3
		.amdhsa_dx10_clamp 1
		.amdhsa_ieee_mode 1
		.amdhsa_fp16_overflow 0
		.amdhsa_exception_fp_ieee_invalid_op 0
		.amdhsa_exception_fp_denorm_src 0
		.amdhsa_exception_fp_ieee_div_zero 0
		.amdhsa_exception_fp_ieee_overflow 0
		.amdhsa_exception_fp_ieee_underflow 0
		.amdhsa_exception_fp_ieee_inexact 0
		.amdhsa_exception_int_div_zero 0
	.end_amdhsa_kernel
	.section	.text._ZL26rocblas_syr2k_her2k_kernelIlLb1ELb0ELb1ELi32EPKfS1_PfEvbiT_T4_T5_S3_lS5_S3_lT6_S3_li,"axG",@progbits,_ZL26rocblas_syr2k_her2k_kernelIlLb1ELb0ELb1ELi32EPKfS1_PfEvbiT_T4_T5_S3_lS5_S3_lT6_S3_li,comdat
.Lfunc_end1851:
	.size	_ZL26rocblas_syr2k_her2k_kernelIlLb1ELb0ELb1ELi32EPKfS1_PfEvbiT_T4_T5_S3_lS5_S3_lT6_S3_li, .Lfunc_end1851-_ZL26rocblas_syr2k_her2k_kernelIlLb1ELb0ELb1ELi32EPKfS1_PfEvbiT_T4_T5_S3_lS5_S3_lT6_S3_li
                                        ; -- End function
	.set _ZL26rocblas_syr2k_her2k_kernelIlLb1ELb0ELb1ELi32EPKfS1_PfEvbiT_T4_T5_S3_lS5_S3_lT6_S3_li.num_vgpr, 34
	.set _ZL26rocblas_syr2k_her2k_kernelIlLb1ELb0ELb1ELi32EPKfS1_PfEvbiT_T4_T5_S3_lS5_S3_lT6_S3_li.num_agpr, 0
	.set _ZL26rocblas_syr2k_her2k_kernelIlLb1ELb0ELb1ELi32EPKfS1_PfEvbiT_T4_T5_S3_lS5_S3_lT6_S3_li.numbered_sgpr, 40
	.set _ZL26rocblas_syr2k_her2k_kernelIlLb1ELb0ELb1ELi32EPKfS1_PfEvbiT_T4_T5_S3_lS5_S3_lT6_S3_li.num_named_barrier, 0
	.set _ZL26rocblas_syr2k_her2k_kernelIlLb1ELb0ELb1ELi32EPKfS1_PfEvbiT_T4_T5_S3_lS5_S3_lT6_S3_li.private_seg_size, 0
	.set _ZL26rocblas_syr2k_her2k_kernelIlLb1ELb0ELb1ELi32EPKfS1_PfEvbiT_T4_T5_S3_lS5_S3_lT6_S3_li.uses_vcc, 1
	.set _ZL26rocblas_syr2k_her2k_kernelIlLb1ELb0ELb1ELi32EPKfS1_PfEvbiT_T4_T5_S3_lS5_S3_lT6_S3_li.uses_flat_scratch, 0
	.set _ZL26rocblas_syr2k_her2k_kernelIlLb1ELb0ELb1ELi32EPKfS1_PfEvbiT_T4_T5_S3_lS5_S3_lT6_S3_li.has_dyn_sized_stack, 0
	.set _ZL26rocblas_syr2k_her2k_kernelIlLb1ELb0ELb1ELi32EPKfS1_PfEvbiT_T4_T5_S3_lS5_S3_lT6_S3_li.has_recursion, 0
	.set _ZL26rocblas_syr2k_her2k_kernelIlLb1ELb0ELb1ELi32EPKfS1_PfEvbiT_T4_T5_S3_lS5_S3_lT6_S3_li.has_indirect_call, 0
	.section	.AMDGPU.csdata,"",@progbits
; Kernel info:
; codeLenInByte = 1824
; TotalNumSgprs: 44
; NumVgprs: 34
; ScratchSize: 0
; MemoryBound: 0
; FloatMode: 240
; IeeeMode: 1
; LDSByteSize: 8192 bytes/workgroup (compile time only)
; SGPRBlocks: 8
; VGPRBlocks: 8
; NumSGPRsForWavesPerEU: 65
; NumVGPRsForWavesPerEU: 34
; Occupancy: 7
; WaveLimiterHint : 0
; COMPUTE_PGM_RSRC2:SCRATCH_EN: 0
; COMPUTE_PGM_RSRC2:USER_SGPR: 6
; COMPUTE_PGM_RSRC2:TRAP_HANDLER: 0
; COMPUTE_PGM_RSRC2:TGID_X_EN: 1
; COMPUTE_PGM_RSRC2:TGID_Y_EN: 1
; COMPUTE_PGM_RSRC2:TGID_Z_EN: 1
; COMPUTE_PGM_RSRC2:TIDIG_COMP_CNT: 1
	.section	.text._ZL26rocblas_syr2k_her2k_kernelIlLb1ELb0ELb0ELi32EdPKdPdEvbiT_T4_T5_S3_lS5_S3_lT6_S3_li,"axG",@progbits,_ZL26rocblas_syr2k_her2k_kernelIlLb1ELb0ELb0ELi32EdPKdPdEvbiT_T4_T5_S3_lS5_S3_lT6_S3_li,comdat
	.globl	_ZL26rocblas_syr2k_her2k_kernelIlLb1ELb0ELb0ELi32EdPKdPdEvbiT_T4_T5_S3_lS5_S3_lT6_S3_li ; -- Begin function _ZL26rocblas_syr2k_her2k_kernelIlLb1ELb0ELb0ELi32EdPKdPdEvbiT_T4_T5_S3_lS5_S3_lT6_S3_li
	.p2align	8
	.type	_ZL26rocblas_syr2k_her2k_kernelIlLb1ELb0ELb0ELi32EdPKdPdEvbiT_T4_T5_S3_lS5_S3_lT6_S3_li,@function
_ZL26rocblas_syr2k_her2k_kernelIlLb1ELb0ELb0ELi32EdPKdPdEvbiT_T4_T5_S3_lS5_S3_lT6_S3_li: ; @_ZL26rocblas_syr2k_her2k_kernelIlLb1ELb0ELb0ELi32EdPKdPdEvbiT_T4_T5_S3_lS5_S3_lT6_S3_li
; %bb.0:
	s_load_dwordx16 s[12:27], s[4:5], 0x8
	s_waitcnt lgkmcnt(0)
	v_cmp_eq_f64_e64 s[0:1], s[14:15], 0
	s_and_b64 vcc, exec, s[0:1]
	s_cbranch_vccnz .LBB1852_16
; %bb.1:
	s_load_dwordx2 s[10:11], s[4:5], 0x0
	s_lshl_b32 s2, s7, 5
	s_lshl_b32 s3, s6, 5
	s_waitcnt lgkmcnt(0)
	s_and_b32 s0, 1, s10
	s_cmp_eq_u32 s0, 1
	s_cselect_b64 s[0:1], -1, 0
	s_and_b64 s[6:7], s[0:1], exec
	s_cselect_b32 s6, s3, s2
	s_cselect_b32 s7, s2, s3
	s_cmp_gt_i32 s6, s7
	v_cmp_lt_i64_e64 s[6:7], s[12:13], 1
	s_cselect_b64 s[28:29], -1, 0
	s_or_b64 s[6:7], s[28:29], s[6:7]
	s_and_b64 vcc, exec, s[6:7]
	s_cbranch_vccnz .LBB1852_16
; %bb.2:
	s_load_dwordx2 s[6:7], s[4:5], 0x58
	s_load_dwordx4 s[28:31], s[4:5], 0x48
	s_mul_i32 s9, s27, s8
	v_add_u32_e32 v4, s2, v1
	v_lshlrev_b32_e32 v8, 8, v0
	s_waitcnt lgkmcnt(0)
	s_mul_i32 s5, s7, s8
	s_mul_hi_u32 s7, s6, s8
	s_mul_i32 s4, s6, s8
	s_add_i32 s5, s7, s5
	s_lshl_b64 s[4:5], s[4:5], 3
	s_add_u32 s10, s28, s4
	s_mul_hi_u32 s4, s26, s8
	s_addc_u32 s6, s29, s5
	s_add_i32 s5, s4, s9
	s_mul_i32 s4, s26, s8
	s_lshl_b64 s[4:5], s[4:5], 3
	s_add_u32 s22, s22, s4
	s_addc_u32 s23, s23, s5
	s_mul_i32 s4, s21, s8
	s_mul_hi_u32 s5, s20, s8
	s_add_i32 s5, s5, s4
	s_mul_i32 s4, s20, s8
	s_lshl_b64 s[4:5], s[4:5], 3
	v_lshlrev_b32_e32 v2, 3, v1
	s_add_u32 s26, s16, s4
	v_add_u32_e32 v9, v8, v2
	v_or_b32_e32 v10, 0x2000, v2
	v_ashrrev_i32_e32 v2, 31, v4
	s_addc_u32 s27, s17, s5
	v_mul_lo_u32 v15, s30, v2
	v_mul_lo_u32 v16, s31, v4
	v_mad_u64_u32 v[2:3], s[4:5], s30, v4, 0
	v_add_u32_e32 v6, s3, v0
	v_max_i32_e32 v14, v6, v4
	v_add3_u32 v3, v3, v15, v16
	v_cndmask_b32_e64 v12, v6, v4, s[0:1]
	v_cndmask_b32_e64 v13, v4, v6, s[0:1]
	v_cmp_gt_i32_e32 vcc, s11, v14
	v_lshlrev_b64 v[2:3], 3, v[2:3]
	v_mov_b32_e32 v16, s6
	v_mad_u64_u32 v[14:15], s[6:7], s18, v0, 0
	v_cmp_le_i32_e64 s[4:5], v13, v12
	s_and_b64 s[4:5], s[4:5], vcc
	v_ashrrev_i32_e32 v13, 31, v6
	v_mov_b32_e32 v12, v6
	v_add_co_u32_e32 v17, vcc, s10, v2
	v_addc_co_u32_e32 v16, vcc, v16, v3, vcc
	v_lshlrev_b64 v[2:3], 3, v[12:13]
	v_mov_b32_e32 v12, v15
	v_mad_u64_u32 v[12:13], s[6:7], s19, v0, v[12:13]
	v_add_co_u32_e32 v2, vcc, v17, v2
	v_addc_co_u32_e32 v3, vcc, v16, v3, vcc
	v_mad_u64_u32 v[16:17], s[6:7], s24, v0, 0
	v_mov_b32_e32 v15, v12
	v_lshlrev_b64 v[12:13], 3, v[14:15]
	v_mov_b32_e32 v14, v17
	v_mad_u64_u32 v[14:15], s[6:7], s25, v0, v[14:15]
	v_mov_b32_e32 v7, 0
	s_ashr_i32 s3, s11, 31
	s_mov_b32 s2, s11
	v_mov_b32_e32 v5, v7
	v_mov_b32_e32 v17, v14
	v_cmp_gt_i64_e64 s[0:1], s[2:3], v[6:7]
	v_cmp_gt_i64_e64 s[2:3], s[2:3], v[4:5]
	v_lshlrev_b64 v[4:5], 3, v[4:5]
	v_lshlrev_b64 v[14:15], 3, v[16:17]
	v_mad_u64_u32 v[16:17], s[8:9], s24, v1, 0
	v_add_co_u32_e32 v12, vcc, v12, v4
	v_addc_co_u32_e32 v13, vcc, v13, v5, vcc
	v_add_co_u32_e32 v14, vcc, v14, v4
	v_mov_b32_e32 v4, v17
	v_addc_co_u32_e32 v15, vcc, v15, v5, vcc
	v_mad_u64_u32 v[4:5], s[8:9], s25, v1, v[4:5]
	v_mad_u64_u32 v[18:19], s[10:11], s18, v1, 0
	v_mov_b32_e32 v17, v4
	v_lshlrev_b64 v[4:5], 3, v[16:17]
	v_mov_b32_e32 v16, v19
	v_mad_u64_u32 v[19:20], s[10:11], s19, v1, v[16:17]
	v_lshlrev_b64 v[6:7], 3, v[6:7]
	v_add_u32_e32 v11, v10, v8
	v_add_co_u32_e32 v16, vcc, v4, v6
	v_addc_co_u32_e32 v17, vcc, v5, v7, vcc
	v_lshlrev_b64 v[4:5], 3, v[18:19]
	s_lshl_b64 s[6:7], s[18:19], 8
	v_add_co_u32_e32 v18, vcc, v4, v6
	s_lshl_b64 s[8:9], s[24:25], 8
	v_addc_co_u32_e32 v19, vcc, v5, v7, vcc
	s_mov_b64 s[10:11], 0
	s_branch .LBB1852_4
.LBB1852_3:                             ;   in Loop: Header=BB1852_4 Depth=1
	s_or_b64 exec, exec, s[16:17]
	s_add_u32 s10, s10, 32
	s_addc_u32 s11, s11, 0
	v_mov_b32_e32 v4, s12
	s_add_u32 s26, s26, s6
	v_mov_b32_e32 v5, s13
	s_addc_u32 s27, s27, s7
	v_cmp_lt_i64_e32 vcc, s[10:11], v[4:5]
	s_add_u32 s22, s22, s8
	s_addc_u32 s23, s23, s9
	s_waitcnt vmcnt(0)
	s_barrier
	s_cbranch_vccz .LBB1852_16
.LBB1852_4:                             ; =>This Inner Loop Header: Depth=1
	v_mov_b32_e32 v5, s11
	v_add_co_u32_e32 v4, vcc, s10, v1
	v_addc_co_u32_e32 v5, vcc, 0, v5, vcc
	v_cmp_gt_i64_e32 vcc, s[12:13], v[4:5]
	v_mov_b32_e32 v4, 0
	v_mov_b32_e32 v6, 0
	;; [unrolled: 1-line block ×4, first 2 shown]
	s_and_b64 s[16:17], s[0:1], vcc
	s_and_saveexec_b64 s[18:19], s[16:17]
	s_cbranch_execz .LBB1852_6
; %bb.5:                                ;   in Loop: Header=BB1852_4 Depth=1
	v_mov_b32_e32 v7, s27
	v_add_co_u32_e32 v6, vcc, s26, v18
	v_addc_co_u32_e32 v7, vcc, v7, v19, vcc
	global_load_dwordx2 v[6:7], v[6:7], off
.LBB1852_6:                             ;   in Loop: Header=BB1852_4 Depth=1
	s_or_b64 exec, exec, s[18:19]
	v_mov_b32_e32 v21, s11
	v_add_co_u32_e32 v20, vcc, s10, v0
	v_addc_co_u32_e32 v21, vcc, 0, v21, vcc
	v_cmp_gt_i64_e32 vcc, s[12:13], v[20:21]
	s_waitcnt vmcnt(0)
	ds_write_b64 v9, v[6:7]
	s_and_b64 s[18:19], s[2:3], vcc
	s_and_saveexec_b64 s[20:21], s[18:19]
	s_cbranch_execz .LBB1852_8
; %bb.7:                                ;   in Loop: Header=BB1852_4 Depth=1
	v_mov_b32_e32 v5, s23
	v_add_co_u32_e32 v4, vcc, s22, v14
	v_addc_co_u32_e32 v5, vcc, v5, v15, vcc
	global_load_dwordx2 v[4:5], v[4:5], off
.LBB1852_8:                             ;   in Loop: Header=BB1852_4 Depth=1
	s_or_b64 exec, exec, s[20:21]
	s_waitcnt vmcnt(0)
	ds_write_b64 v11, v[4:5]
	s_waitcnt lgkmcnt(0)
	s_barrier
	s_and_saveexec_b64 s[20:21], s[4:5]
	s_cbranch_execz .LBB1852_10
; %bb.9:                                ;   in Loop: Header=BB1852_4 Depth=1
	ds_read2_b64 v[4:7], v10 offset1:32
	ds_read_b128 v[20:23], v8
	v_add_u32_e32 v26, 0x800, v10
	v_add_u32_e32 v28, 0x1800, v10
	s_waitcnt lgkmcnt(0)
	v_fma_f64 v[4:5], v[20:21], v[4:5], 0
	v_fma_f64 v[24:25], v[22:23], v[6:7], v[4:5]
	ds_read_b128 v[4:7], v8 offset:16
	ds_read2_b64 v[20:23], v10 offset0:64 offset1:96
	s_waitcnt lgkmcnt(0)
	v_fma_f64 v[4:5], v[4:5], v[20:21], v[24:25]
	v_fma_f64 v[24:25], v[6:7], v[22:23], v[4:5]
	ds_read2_b64 v[4:7], v10 offset0:128 offset1:160
	ds_read_b128 v[20:23], v8 offset:32
	s_waitcnt lgkmcnt(0)
	v_fma_f64 v[4:5], v[20:21], v[4:5], v[24:25]
	v_fma_f64 v[24:25], v[22:23], v[6:7], v[4:5]
	ds_read_b128 v[4:7], v8 offset:48
	ds_read2_b64 v[20:23], v10 offset0:192 offset1:224
	s_waitcnt lgkmcnt(0)
	v_fma_f64 v[4:5], v[4:5], v[20:21], v[24:25]
	v_fma_f64 v[24:25], v[6:7], v[22:23], v[4:5]
	ds_read_b128 v[4:7], v8 offset:64
	ds_read2_b64 v[20:23], v26 offset1:32
	s_waitcnt lgkmcnt(0)
	v_fma_f64 v[4:5], v[4:5], v[20:21], v[24:25]
	v_fma_f64 v[24:25], v[6:7], v[22:23], v[4:5]
	ds_read_b128 v[4:7], v8 offset:80
	ds_read2_b64 v[20:23], v26 offset0:64 offset1:96
	s_waitcnt lgkmcnt(0)
	v_fma_f64 v[4:5], v[4:5], v[20:21], v[24:25]
	v_fma_f64 v[24:25], v[6:7], v[22:23], v[4:5]
	ds_read_b128 v[4:7], v8 offset:96
	ds_read2_b64 v[20:23], v26 offset0:128 offset1:160
	;; [unrolled: 5-line block ×3, first 2 shown]
	v_add_u32_e32 v26, 0x1000, v10
	s_waitcnt lgkmcnt(0)
	v_fma_f64 v[4:5], v[4:5], v[20:21], v[24:25]
	v_fma_f64 v[24:25], v[6:7], v[22:23], v[4:5]
	ds_read_b128 v[4:7], v8 offset:128
	ds_read2_b64 v[20:23], v26 offset1:32
	s_waitcnt lgkmcnt(0)
	v_fma_f64 v[4:5], v[4:5], v[20:21], v[24:25]
	v_fma_f64 v[24:25], v[6:7], v[22:23], v[4:5]
	ds_read_b128 v[4:7], v8 offset:144
	ds_read2_b64 v[20:23], v26 offset0:64 offset1:96
	s_waitcnt lgkmcnt(0)
	v_fma_f64 v[4:5], v[4:5], v[20:21], v[24:25]
	v_fma_f64 v[24:25], v[6:7], v[22:23], v[4:5]
	ds_read_b128 v[4:7], v8 offset:160
	ds_read2_b64 v[20:23], v26 offset0:128 offset1:160
	;; [unrolled: 5-line block ×3, first 2 shown]
	s_waitcnt lgkmcnt(0)
	v_fma_f64 v[4:5], v[4:5], v[20:21], v[24:25]
	global_load_dwordx2 v[24:25], v[2:3], off
	v_fma_f64 v[26:27], v[6:7], v[22:23], v[4:5]
	ds_read2_b64 v[4:7], v28 offset1:32
	ds_read_b128 v[20:23], v8 offset:192
	s_waitcnt lgkmcnt(0)
	v_fma_f64 v[4:5], v[20:21], v[4:5], v[26:27]
	v_fma_f64 v[26:27], v[22:23], v[6:7], v[4:5]
	ds_read_b128 v[4:7], v8 offset:208
	ds_read2_b64 v[20:23], v28 offset0:64 offset1:96
	s_waitcnt lgkmcnt(0)
	v_fma_f64 v[4:5], v[4:5], v[20:21], v[26:27]
	v_fma_f64 v[26:27], v[6:7], v[22:23], v[4:5]
	ds_read2_b64 v[4:7], v28 offset0:128 offset1:160
	ds_read_b128 v[20:23], v8 offset:224
	s_waitcnt lgkmcnt(0)
	v_fma_f64 v[4:5], v[20:21], v[4:5], v[26:27]
	v_fma_f64 v[26:27], v[22:23], v[6:7], v[4:5]
	ds_read_b128 v[4:7], v8 offset:240
	ds_read2_b64 v[20:23], v28 offset0:192 offset1:224
	s_waitcnt lgkmcnt(0)
	v_fma_f64 v[4:5], v[4:5], v[20:21], v[26:27]
	v_fma_f64 v[4:5], v[6:7], v[22:23], v[4:5]
	s_waitcnt vmcnt(0)
	v_fma_f64 v[4:5], s[14:15], v[4:5], v[24:25]
	global_store_dwordx2 v[2:3], v[4:5], off
.LBB1852_10:                            ;   in Loop: Header=BB1852_4 Depth=1
	s_or_b64 exec, exec, s[20:21]
	v_mov_b32_e32 v4, 0
	v_mov_b32_e32 v6, 0
	v_mov_b32_e32 v5, 0
	v_mov_b32_e32 v7, 0
	s_waitcnt vmcnt(0)
	s_barrier
	s_and_saveexec_b64 s[20:21], s[16:17]
	s_cbranch_execz .LBB1852_12
; %bb.11:                               ;   in Loop: Header=BB1852_4 Depth=1
	v_mov_b32_e32 v7, s23
	v_add_co_u32_e32 v6, vcc, s22, v16
	v_addc_co_u32_e32 v7, vcc, v7, v17, vcc
	global_load_dwordx2 v[6:7], v[6:7], off
.LBB1852_12:                            ;   in Loop: Header=BB1852_4 Depth=1
	s_or_b64 exec, exec, s[20:21]
	s_waitcnt vmcnt(0)
	ds_write_b64 v9, v[6:7]
	s_and_saveexec_b64 s[16:17], s[18:19]
	s_cbranch_execz .LBB1852_14
; %bb.13:                               ;   in Loop: Header=BB1852_4 Depth=1
	v_mov_b32_e32 v5, s27
	v_add_co_u32_e32 v4, vcc, s26, v12
	v_addc_co_u32_e32 v5, vcc, v5, v13, vcc
	global_load_dwordx2 v[4:5], v[4:5], off
.LBB1852_14:                            ;   in Loop: Header=BB1852_4 Depth=1
	s_or_b64 exec, exec, s[16:17]
	s_waitcnt vmcnt(0)
	ds_write_b64 v11, v[4:5]
	s_waitcnt lgkmcnt(0)
	s_barrier
	s_and_saveexec_b64 s[16:17], s[4:5]
	s_cbranch_execz .LBB1852_3
; %bb.15:                               ;   in Loop: Header=BB1852_4 Depth=1
	ds_read2_b64 v[4:7], v10 offset1:32
	ds_read_b128 v[20:23], v8
	v_add_u32_e32 v26, 0x800, v10
	v_add_u32_e32 v28, 0x1800, v10
	s_waitcnt lgkmcnt(0)
	v_fma_f64 v[4:5], v[20:21], v[4:5], 0
	v_fma_f64 v[24:25], v[22:23], v[6:7], v[4:5]
	ds_read_b128 v[4:7], v8 offset:16
	ds_read2_b64 v[20:23], v10 offset0:64 offset1:96
	s_waitcnt lgkmcnt(0)
	v_fma_f64 v[4:5], v[4:5], v[20:21], v[24:25]
	v_fma_f64 v[24:25], v[6:7], v[22:23], v[4:5]
	ds_read2_b64 v[4:7], v10 offset0:128 offset1:160
	ds_read_b128 v[20:23], v8 offset:32
	s_waitcnt lgkmcnt(0)
	v_fma_f64 v[4:5], v[20:21], v[4:5], v[24:25]
	v_fma_f64 v[24:25], v[22:23], v[6:7], v[4:5]
	ds_read_b128 v[4:7], v8 offset:48
	ds_read2_b64 v[20:23], v10 offset0:192 offset1:224
	s_waitcnt lgkmcnt(0)
	v_fma_f64 v[4:5], v[4:5], v[20:21], v[24:25]
	v_fma_f64 v[24:25], v[6:7], v[22:23], v[4:5]
	ds_read_b128 v[4:7], v8 offset:64
	ds_read2_b64 v[20:23], v26 offset1:32
	s_waitcnt lgkmcnt(0)
	v_fma_f64 v[4:5], v[4:5], v[20:21], v[24:25]
	v_fma_f64 v[24:25], v[6:7], v[22:23], v[4:5]
	ds_read_b128 v[4:7], v8 offset:80
	ds_read2_b64 v[20:23], v26 offset0:64 offset1:96
	s_waitcnt lgkmcnt(0)
	v_fma_f64 v[4:5], v[4:5], v[20:21], v[24:25]
	v_fma_f64 v[24:25], v[6:7], v[22:23], v[4:5]
	ds_read_b128 v[4:7], v8 offset:96
	ds_read2_b64 v[20:23], v26 offset0:128 offset1:160
	;; [unrolled: 5-line block ×3, first 2 shown]
	v_add_u32_e32 v26, 0x1000, v10
	s_waitcnt lgkmcnt(0)
	v_fma_f64 v[4:5], v[4:5], v[20:21], v[24:25]
	v_fma_f64 v[24:25], v[6:7], v[22:23], v[4:5]
	ds_read_b128 v[4:7], v8 offset:128
	ds_read2_b64 v[20:23], v26 offset1:32
	s_waitcnt lgkmcnt(0)
	v_fma_f64 v[4:5], v[4:5], v[20:21], v[24:25]
	v_fma_f64 v[24:25], v[6:7], v[22:23], v[4:5]
	ds_read_b128 v[4:7], v8 offset:144
	ds_read2_b64 v[20:23], v26 offset0:64 offset1:96
	s_waitcnt lgkmcnt(0)
	v_fma_f64 v[4:5], v[4:5], v[20:21], v[24:25]
	v_fma_f64 v[24:25], v[6:7], v[22:23], v[4:5]
	ds_read_b128 v[4:7], v8 offset:160
	ds_read2_b64 v[20:23], v26 offset0:128 offset1:160
	;; [unrolled: 5-line block ×3, first 2 shown]
	s_waitcnt lgkmcnt(0)
	v_fma_f64 v[4:5], v[4:5], v[20:21], v[24:25]
	global_load_dwordx2 v[24:25], v[2:3], off
	v_fma_f64 v[26:27], v[6:7], v[22:23], v[4:5]
	ds_read2_b64 v[4:7], v28 offset1:32
	ds_read_b128 v[20:23], v8 offset:192
	s_waitcnt lgkmcnt(0)
	v_fma_f64 v[4:5], v[20:21], v[4:5], v[26:27]
	v_fma_f64 v[26:27], v[22:23], v[6:7], v[4:5]
	ds_read_b128 v[4:7], v8 offset:208
	ds_read2_b64 v[20:23], v28 offset0:64 offset1:96
	s_waitcnt lgkmcnt(0)
	v_fma_f64 v[4:5], v[4:5], v[20:21], v[26:27]
	v_fma_f64 v[26:27], v[6:7], v[22:23], v[4:5]
	ds_read2_b64 v[4:7], v28 offset0:128 offset1:160
	ds_read_b128 v[20:23], v8 offset:224
	s_waitcnt lgkmcnt(0)
	v_fma_f64 v[4:5], v[20:21], v[4:5], v[26:27]
	v_fma_f64 v[26:27], v[22:23], v[6:7], v[4:5]
	ds_read_b128 v[4:7], v8 offset:240
	ds_read2_b64 v[20:23], v28 offset0:192 offset1:224
	s_waitcnt lgkmcnt(0)
	v_fma_f64 v[4:5], v[4:5], v[20:21], v[26:27]
	v_fma_f64 v[4:5], v[6:7], v[22:23], v[4:5]
	s_waitcnt vmcnt(0)
	v_fma_f64 v[4:5], s[14:15], v[4:5], v[24:25]
	global_store_dwordx2 v[2:3], v[4:5], off
	s_branch .LBB1852_3
.LBB1852_16:
	s_endpgm
	.section	.rodata,"a",@progbits
	.p2align	6, 0x0
	.amdhsa_kernel _ZL26rocblas_syr2k_her2k_kernelIlLb1ELb0ELb0ELi32EdPKdPdEvbiT_T4_T5_S3_lS5_S3_lT6_S3_li
		.amdhsa_group_segment_fixed_size 16384
		.amdhsa_private_segment_fixed_size 0
		.amdhsa_kernarg_size 100
		.amdhsa_user_sgpr_count 6
		.amdhsa_user_sgpr_private_segment_buffer 1
		.amdhsa_user_sgpr_dispatch_ptr 0
		.amdhsa_user_sgpr_queue_ptr 0
		.amdhsa_user_sgpr_kernarg_segment_ptr 1
		.amdhsa_user_sgpr_dispatch_id 0
		.amdhsa_user_sgpr_flat_scratch_init 0
		.amdhsa_user_sgpr_private_segment_size 0
		.amdhsa_uses_dynamic_stack 0
		.amdhsa_system_sgpr_private_segment_wavefront_offset 0
		.amdhsa_system_sgpr_workgroup_id_x 1
		.amdhsa_system_sgpr_workgroup_id_y 1
		.amdhsa_system_sgpr_workgroup_id_z 1
		.amdhsa_system_sgpr_workgroup_info 0
		.amdhsa_system_vgpr_workitem_id 1
		.amdhsa_next_free_vgpr 29
		.amdhsa_next_free_sgpr 61
		.amdhsa_reserve_vcc 1
		.amdhsa_reserve_flat_scratch 0
		.amdhsa_float_round_mode_32 0
		.amdhsa_float_round_mode_16_64 0
		.amdhsa_float_denorm_mode_32 3
		.amdhsa_float_denorm_mode_16_64 3
		.amdhsa_dx10_clamp 1
		.amdhsa_ieee_mode 1
		.amdhsa_fp16_overflow 0
		.amdhsa_exception_fp_ieee_invalid_op 0
		.amdhsa_exception_fp_denorm_src 0
		.amdhsa_exception_fp_ieee_div_zero 0
		.amdhsa_exception_fp_ieee_overflow 0
		.amdhsa_exception_fp_ieee_underflow 0
		.amdhsa_exception_fp_ieee_inexact 0
		.amdhsa_exception_int_div_zero 0
	.end_amdhsa_kernel
	.section	.text._ZL26rocblas_syr2k_her2k_kernelIlLb1ELb0ELb0ELi32EdPKdPdEvbiT_T4_T5_S3_lS5_S3_lT6_S3_li,"axG",@progbits,_ZL26rocblas_syr2k_her2k_kernelIlLb1ELb0ELb0ELi32EdPKdPdEvbiT_T4_T5_S3_lS5_S3_lT6_S3_li,comdat
.Lfunc_end1852:
	.size	_ZL26rocblas_syr2k_her2k_kernelIlLb1ELb0ELb0ELi32EdPKdPdEvbiT_T4_T5_S3_lS5_S3_lT6_S3_li, .Lfunc_end1852-_ZL26rocblas_syr2k_her2k_kernelIlLb1ELb0ELb0ELi32EdPKdPdEvbiT_T4_T5_S3_lS5_S3_lT6_S3_li
                                        ; -- End function
	.set _ZL26rocblas_syr2k_her2k_kernelIlLb1ELb0ELb0ELi32EdPKdPdEvbiT_T4_T5_S3_lS5_S3_lT6_S3_li.num_vgpr, 29
	.set _ZL26rocblas_syr2k_her2k_kernelIlLb1ELb0ELb0ELi32EdPKdPdEvbiT_T4_T5_S3_lS5_S3_lT6_S3_li.num_agpr, 0
	.set _ZL26rocblas_syr2k_her2k_kernelIlLb1ELb0ELb0ELi32EdPKdPdEvbiT_T4_T5_S3_lS5_S3_lT6_S3_li.numbered_sgpr, 32
	.set _ZL26rocblas_syr2k_her2k_kernelIlLb1ELb0ELb0ELi32EdPKdPdEvbiT_T4_T5_S3_lS5_S3_lT6_S3_li.num_named_barrier, 0
	.set _ZL26rocblas_syr2k_her2k_kernelIlLb1ELb0ELb0ELi32EdPKdPdEvbiT_T4_T5_S3_lS5_S3_lT6_S3_li.private_seg_size, 0
	.set _ZL26rocblas_syr2k_her2k_kernelIlLb1ELb0ELb0ELi32EdPKdPdEvbiT_T4_T5_S3_lS5_S3_lT6_S3_li.uses_vcc, 1
	.set _ZL26rocblas_syr2k_her2k_kernelIlLb1ELb0ELb0ELi32EdPKdPdEvbiT_T4_T5_S3_lS5_S3_lT6_S3_li.uses_flat_scratch, 0
	.set _ZL26rocblas_syr2k_her2k_kernelIlLb1ELb0ELb0ELi32EdPKdPdEvbiT_T4_T5_S3_lS5_S3_lT6_S3_li.has_dyn_sized_stack, 0
	.set _ZL26rocblas_syr2k_her2k_kernelIlLb1ELb0ELb0ELi32EdPKdPdEvbiT_T4_T5_S3_lS5_S3_lT6_S3_li.has_recursion, 0
	.set _ZL26rocblas_syr2k_her2k_kernelIlLb1ELb0ELb0ELi32EdPKdPdEvbiT_T4_T5_S3_lS5_S3_lT6_S3_li.has_indirect_call, 0
	.section	.AMDGPU.csdata,"",@progbits
; Kernel info:
; codeLenInByte = 2180
; TotalNumSgprs: 36
; NumVgprs: 29
; ScratchSize: 0
; MemoryBound: 0
; FloatMode: 240
; IeeeMode: 1
; LDSByteSize: 16384 bytes/workgroup (compile time only)
; SGPRBlocks: 8
; VGPRBlocks: 7
; NumSGPRsForWavesPerEU: 65
; NumVGPRsForWavesPerEU: 29
; Occupancy: 8
; WaveLimiterHint : 0
; COMPUTE_PGM_RSRC2:SCRATCH_EN: 0
; COMPUTE_PGM_RSRC2:USER_SGPR: 6
; COMPUTE_PGM_RSRC2:TRAP_HANDLER: 0
; COMPUTE_PGM_RSRC2:TGID_X_EN: 1
; COMPUTE_PGM_RSRC2:TGID_Y_EN: 1
; COMPUTE_PGM_RSRC2:TGID_Z_EN: 1
; COMPUTE_PGM_RSRC2:TIDIG_COMP_CNT: 1
	.section	.text._ZL26rocblas_syr2k_her2k_kernelIlLb1ELb0ELb1ELi32EdPKdPdEvbiT_T4_T5_S3_lS5_S3_lT6_S3_li,"axG",@progbits,_ZL26rocblas_syr2k_her2k_kernelIlLb1ELb0ELb1ELi32EdPKdPdEvbiT_T4_T5_S3_lS5_S3_lT6_S3_li,comdat
	.globl	_ZL26rocblas_syr2k_her2k_kernelIlLb1ELb0ELb1ELi32EdPKdPdEvbiT_T4_T5_S3_lS5_S3_lT6_S3_li ; -- Begin function _ZL26rocblas_syr2k_her2k_kernelIlLb1ELb0ELb1ELi32EdPKdPdEvbiT_T4_T5_S3_lS5_S3_lT6_S3_li
	.p2align	8
	.type	_ZL26rocblas_syr2k_her2k_kernelIlLb1ELb0ELb1ELi32EdPKdPdEvbiT_T4_T5_S3_lS5_S3_lT6_S3_li,@function
_ZL26rocblas_syr2k_her2k_kernelIlLb1ELb0ELb1ELi32EdPKdPdEvbiT_T4_T5_S3_lS5_S3_lT6_S3_li: ; @_ZL26rocblas_syr2k_her2k_kernelIlLb1ELb0ELb1ELi32EdPKdPdEvbiT_T4_T5_S3_lS5_S3_lT6_S3_li
; %bb.0:
	s_load_dwordx16 s[12:27], s[4:5], 0x8
	s_waitcnt lgkmcnt(0)
	v_cmp_eq_f64_e64 s[0:1], s[14:15], 0
	s_and_b64 vcc, exec, s[0:1]
	s_cbranch_vccnz .LBB1853_16
; %bb.1:
	s_load_dwordx2 s[10:11], s[4:5], 0x0
	s_lshl_b32 s3, s7, 5
	s_lshl_b32 s2, s6, 5
	s_waitcnt lgkmcnt(0)
	s_and_b32 s0, 1, s10
	s_cmp_eq_u32 s0, 1
	s_cselect_b64 s[0:1], -1, 0
	s_and_b64 s[6:7], s[0:1], exec
	s_cselect_b32 s6, s2, s3
	s_cselect_b32 s7, s3, s2
	s_cmp_gt_i32 s6, s7
	v_cmp_lt_i64_e64 s[6:7], s[12:13], 1
	s_cselect_b64 s[28:29], -1, 0
	s_or_b64 s[6:7], s[28:29], s[6:7]
	s_and_b64 vcc, exec, s[6:7]
	s_cbranch_vccnz .LBB1853_16
; %bb.2:
	s_load_dwordx2 s[6:7], s[4:5], 0x58
	s_load_dwordx4 s[28:31], s[4:5], 0x48
	v_add_u32_e32 v6, s3, v1
	v_mov_b32_e32 v5, 0
	v_add_u32_e32 v4, s2, v0
	s_waitcnt lgkmcnt(0)
	s_mul_i32 s3, s7, s8
	s_mul_hi_u32 s5, s6, s8
	s_mul_i32 s4, s6, s8
	s_add_i32 s5, s5, s3
	s_lshl_b64 s[4:5], s[4:5], 3
	s_add_u32 s6, s28, s4
	s_addc_u32 s7, s29, s5
	s_ashr_i32 s3, s11, 31
	s_mov_b32 s2, s11
	v_mov_b32_e32 v7, v5
	v_ashrrev_i32_e32 v2, 31, v6
	v_cndmask_b32_e64 v12, v4, v6, s[0:1]
	v_cndmask_b32_e64 v13, v6, v4, s[0:1]
	v_cmp_gt_i64_e64 s[0:1], s[2:3], v[4:5]
	v_cmp_gt_i64_e64 s[2:3], s[2:3], v[6:7]
	v_mul_lo_u32 v7, s30, v2
	v_mul_lo_u32 v14, s31, v6
	v_mad_u64_u32 v[2:3], s[4:5], s30, v6, 0
	v_max_i32_e32 v5, v4, v6
	v_cmp_gt_i32_e32 vcc, s11, v5
	v_add3_u32 v3, v3, v7, v14
	v_lshlrev_b64 v[2:3], 3, v[2:3]
	v_cmp_le_i32_e64 s[4:5], v13, v12
	s_and_b64 s[4:5], s[4:5], vcc
	v_mov_b32_e32 v7, s7
	v_add_co_u32_e32 v14, vcc, s6, v2
	v_mad_u64_u32 v[12:13], s[6:7], s18, v6, 0
	v_ashrrev_i32_e32 v5, 31, v4
	v_addc_co_u32_e32 v7, vcc, v7, v3, vcc
	v_lshlrev_b64 v[2:3], 3, v[4:5]
	v_mov_b32_e32 v5, v13
	v_add_co_u32_e32 v2, vcc, v14, v2
	v_mad_u64_u32 v[13:14], s[6:7], s19, v6, v[5:6]
	s_mul_i32 s9, s21, s8
	s_mul_hi_u32 s10, s20, s8
	s_add_i32 s7, s10, s9
	s_mul_i32 s6, s20, s8
	v_lshlrev_b64 v[12:13], 3, v[12:13]
	v_addc_co_u32_e32 v3, vcc, v7, v3, vcc
	s_lshl_b64 s[6:7], s[6:7], 3
	v_mov_b32_e32 v19, s7
	v_add_co_u32_e32 v5, vcc, s6, v12
	v_mad_u64_u32 v[14:15], s[10:11], s24, v6, 0
	v_addc_co_u32_e32 v7, vcc, v19, v13, vcc
	v_lshlrev_b32_e32 v16, 3, v0
	v_add_co_u32_e32 v5, vcc, v5, v16
	v_addc_co_u32_e32 v7, vcc, 0, v7, vcc
	v_add_co_u32_e32 v12, vcc, s16, v5
	v_mov_b32_e32 v5, v15
	v_mad_u64_u32 v[5:6], s[10:11], s25, v6, v[5:6]
	s_mul_i32 s7, s27, s8
	s_mul_hi_u32 s9, s26, s8
	v_mov_b32_e32 v15, v5
	v_mov_b32_e32 v13, s17
	s_add_i32 s9, s9, s7
	s_mul_i32 s8, s26, s8
	v_lshlrev_b64 v[5:6], 3, v[14:15]
	v_addc_co_u32_e32 v13, vcc, v13, v7, vcc
	s_lshl_b64 s[8:9], s[8:9], 3
	v_mov_b32_e32 v17, s9
	v_add_co_u32_e32 v7, vcc, s8, v5
	v_addc_co_u32_e32 v14, vcc, v17, v6, vcc
	v_mad_u64_u32 v[5:6], s[10:11], s24, v4, 0
	v_add_co_u32_e32 v15, vcc, v7, v16
	v_mad_u64_u32 v[6:7], s[10:11], s25, v4, v[6:7]
	v_addc_co_u32_e32 v16, vcc, 0, v14, vcc
	v_mov_b32_e32 v20, s23
	v_add_co_u32_e32 v14, vcc, s22, v15
	v_lshlrev_b64 v[5:6], 3, v[5:6]
	v_addc_co_u32_e32 v15, vcc, v20, v16, vcc
	v_add_co_u32_e32 v7, vcc, s8, v5
	v_addc_co_u32_e32 v16, vcc, v17, v6, vcc
	v_mad_u64_u32 v[5:6], s[8:9], s18, v4, 0
	v_lshlrev_b32_e32 v18, 3, v1
	v_add_co_u32_e32 v17, vcc, v7, v18
	v_mad_u64_u32 v[6:7], s[8:9], s19, v4, v[6:7]
	v_addc_co_u32_e32 v20, vcc, 0, v16, vcc
	v_mov_b32_e32 v21, s23
	v_add_co_u32_e32 v16, vcc, s22, v17
	v_lshlrev_b64 v[4:5], 3, v[5:6]
	v_addc_co_u32_e32 v17, vcc, v21, v20, vcc
	v_add_co_u32_e32 v4, vcc, s6, v4
	v_addc_co_u32_e32 v5, vcc, v19, v5, vcc
	v_add_co_u32_e32 v4, vcc, v4, v18
	v_lshlrev_b32_e32 v8, 8, v0
	v_addc_co_u32_e32 v5, vcc, 0, v5, vcc
	v_add_u32_e32 v9, v8, v18
	v_or_b32_e32 v10, 0x2000, v18
	v_mov_b32_e32 v6, s17
	v_add_co_u32_e32 v18, vcc, s16, v4
	v_add_u32_e32 v11, v10, v8
	v_addc_co_u32_e32 v19, vcc, v6, v5, vcc
	s_mov_b64 s[6:7], 0
	s_mov_b64 s[8:9], 0
	s_branch .LBB1853_4
.LBB1853_3:                             ;   in Loop: Header=BB1853_4 Depth=1
	s_or_b64 exec, exec, s[10:11]
	s_add_u32 s8, s8, 32
	v_mov_b32_e32 v4, s12
	s_addc_u32 s9, s9, 0
	v_mov_b32_e32 v5, s13
	v_cmp_lt_i64_e32 vcc, s[8:9], v[4:5]
	s_add_u32 s6, s6, 0x100
	s_addc_u32 s7, s7, 0
	s_waitcnt vmcnt(0)
	s_barrier
	s_cbranch_vccz .LBB1853_16
.LBB1853_4:                             ; =>This Inner Loop Header: Depth=1
	v_mov_b32_e32 v5, s9
	v_add_co_u32_e32 v4, vcc, s8, v1
	v_addc_co_u32_e32 v5, vcc, 0, v5, vcc
	v_cmp_gt_i64_e32 vcc, s[12:13], v[4:5]
	v_mov_b32_e32 v4, 0
	v_mov_b32_e32 v6, 0
	;; [unrolled: 1-line block ×4, first 2 shown]
	s_and_b64 s[10:11], s[0:1], vcc
	s_and_saveexec_b64 s[16:17], s[10:11]
	s_cbranch_execz .LBB1853_6
; %bb.5:                                ;   in Loop: Header=BB1853_4 Depth=1
	v_mov_b32_e32 v7, s7
	v_add_co_u32_e32 v6, vcc, s6, v18
	v_addc_co_u32_e32 v7, vcc, v19, v7, vcc
	global_load_dwordx2 v[6:7], v[6:7], off
.LBB1853_6:                             ;   in Loop: Header=BB1853_4 Depth=1
	s_or_b64 exec, exec, s[16:17]
	v_mov_b32_e32 v21, s9
	v_add_co_u32_e32 v20, vcc, s8, v0
	v_addc_co_u32_e32 v21, vcc, 0, v21, vcc
	v_cmp_gt_i64_e32 vcc, s[12:13], v[20:21]
	s_waitcnt vmcnt(0)
	ds_write_b64 v9, v[6:7]
	s_and_b64 s[16:17], s[2:3], vcc
	s_and_saveexec_b64 s[18:19], s[16:17]
	s_cbranch_execz .LBB1853_8
; %bb.7:                                ;   in Loop: Header=BB1853_4 Depth=1
	v_mov_b32_e32 v5, s7
	v_add_co_u32_e32 v4, vcc, s6, v14
	v_addc_co_u32_e32 v5, vcc, v15, v5, vcc
	global_load_dwordx2 v[4:5], v[4:5], off
.LBB1853_8:                             ;   in Loop: Header=BB1853_4 Depth=1
	s_or_b64 exec, exec, s[18:19]
	s_waitcnt vmcnt(0)
	ds_write_b64 v11, v[4:5]
	s_waitcnt lgkmcnt(0)
	s_barrier
	s_and_saveexec_b64 s[18:19], s[4:5]
	s_cbranch_execz .LBB1853_10
; %bb.9:                                ;   in Loop: Header=BB1853_4 Depth=1
	ds_read2_b64 v[4:7], v10 offset1:32
	ds_read_b128 v[20:23], v8
	v_add_u32_e32 v26, 0x800, v10
	v_add_u32_e32 v28, 0x1800, v10
	s_waitcnt lgkmcnt(0)
	v_fma_f64 v[4:5], v[20:21], v[4:5], 0
	v_fma_f64 v[24:25], v[22:23], v[6:7], v[4:5]
	ds_read_b128 v[4:7], v8 offset:16
	ds_read2_b64 v[20:23], v10 offset0:64 offset1:96
	s_waitcnt lgkmcnt(0)
	v_fma_f64 v[4:5], v[4:5], v[20:21], v[24:25]
	v_fma_f64 v[24:25], v[6:7], v[22:23], v[4:5]
	ds_read2_b64 v[4:7], v10 offset0:128 offset1:160
	ds_read_b128 v[20:23], v8 offset:32
	s_waitcnt lgkmcnt(0)
	v_fma_f64 v[4:5], v[20:21], v[4:5], v[24:25]
	v_fma_f64 v[24:25], v[22:23], v[6:7], v[4:5]
	ds_read_b128 v[4:7], v8 offset:48
	ds_read2_b64 v[20:23], v10 offset0:192 offset1:224
	s_waitcnt lgkmcnt(0)
	v_fma_f64 v[4:5], v[4:5], v[20:21], v[24:25]
	v_fma_f64 v[24:25], v[6:7], v[22:23], v[4:5]
	ds_read_b128 v[4:7], v8 offset:64
	ds_read2_b64 v[20:23], v26 offset1:32
	s_waitcnt lgkmcnt(0)
	v_fma_f64 v[4:5], v[4:5], v[20:21], v[24:25]
	v_fma_f64 v[24:25], v[6:7], v[22:23], v[4:5]
	ds_read_b128 v[4:7], v8 offset:80
	ds_read2_b64 v[20:23], v26 offset0:64 offset1:96
	s_waitcnt lgkmcnt(0)
	v_fma_f64 v[4:5], v[4:5], v[20:21], v[24:25]
	v_fma_f64 v[24:25], v[6:7], v[22:23], v[4:5]
	ds_read_b128 v[4:7], v8 offset:96
	ds_read2_b64 v[20:23], v26 offset0:128 offset1:160
	;; [unrolled: 5-line block ×3, first 2 shown]
	v_add_u32_e32 v26, 0x1000, v10
	s_waitcnt lgkmcnt(0)
	v_fma_f64 v[4:5], v[4:5], v[20:21], v[24:25]
	v_fma_f64 v[24:25], v[6:7], v[22:23], v[4:5]
	ds_read_b128 v[4:7], v8 offset:128
	ds_read2_b64 v[20:23], v26 offset1:32
	s_waitcnt lgkmcnt(0)
	v_fma_f64 v[4:5], v[4:5], v[20:21], v[24:25]
	v_fma_f64 v[24:25], v[6:7], v[22:23], v[4:5]
	ds_read_b128 v[4:7], v8 offset:144
	ds_read2_b64 v[20:23], v26 offset0:64 offset1:96
	s_waitcnt lgkmcnt(0)
	v_fma_f64 v[4:5], v[4:5], v[20:21], v[24:25]
	v_fma_f64 v[24:25], v[6:7], v[22:23], v[4:5]
	ds_read_b128 v[4:7], v8 offset:160
	ds_read2_b64 v[20:23], v26 offset0:128 offset1:160
	;; [unrolled: 5-line block ×3, first 2 shown]
	s_waitcnt lgkmcnt(0)
	v_fma_f64 v[4:5], v[4:5], v[20:21], v[24:25]
	global_load_dwordx2 v[24:25], v[2:3], off
	v_fma_f64 v[26:27], v[6:7], v[22:23], v[4:5]
	ds_read2_b64 v[4:7], v28 offset1:32
	ds_read_b128 v[20:23], v8 offset:192
	s_waitcnt lgkmcnt(0)
	v_fma_f64 v[4:5], v[20:21], v[4:5], v[26:27]
	v_fma_f64 v[26:27], v[22:23], v[6:7], v[4:5]
	ds_read_b128 v[4:7], v8 offset:208
	ds_read2_b64 v[20:23], v28 offset0:64 offset1:96
	s_waitcnt lgkmcnt(0)
	v_fma_f64 v[4:5], v[4:5], v[20:21], v[26:27]
	v_fma_f64 v[26:27], v[6:7], v[22:23], v[4:5]
	ds_read2_b64 v[4:7], v28 offset0:128 offset1:160
	ds_read_b128 v[20:23], v8 offset:224
	s_waitcnt lgkmcnt(0)
	v_fma_f64 v[4:5], v[20:21], v[4:5], v[26:27]
	v_fma_f64 v[26:27], v[22:23], v[6:7], v[4:5]
	ds_read_b128 v[4:7], v8 offset:240
	ds_read2_b64 v[20:23], v28 offset0:192 offset1:224
	s_waitcnt lgkmcnt(0)
	v_fma_f64 v[4:5], v[4:5], v[20:21], v[26:27]
	v_fma_f64 v[4:5], v[6:7], v[22:23], v[4:5]
	s_waitcnt vmcnt(0)
	v_fma_f64 v[4:5], s[14:15], v[4:5], v[24:25]
	global_store_dwordx2 v[2:3], v[4:5], off
.LBB1853_10:                            ;   in Loop: Header=BB1853_4 Depth=1
	s_or_b64 exec, exec, s[18:19]
	v_mov_b32_e32 v4, 0
	v_mov_b32_e32 v6, 0
	;; [unrolled: 1-line block ×4, first 2 shown]
	s_waitcnt vmcnt(0)
	s_barrier
	s_and_saveexec_b64 s[18:19], s[10:11]
	s_cbranch_execz .LBB1853_12
; %bb.11:                               ;   in Loop: Header=BB1853_4 Depth=1
	v_mov_b32_e32 v7, s7
	v_add_co_u32_e32 v6, vcc, s6, v16
	v_addc_co_u32_e32 v7, vcc, v17, v7, vcc
	global_load_dwordx2 v[6:7], v[6:7], off
.LBB1853_12:                            ;   in Loop: Header=BB1853_4 Depth=1
	s_or_b64 exec, exec, s[18:19]
	s_waitcnt vmcnt(0)
	ds_write_b64 v9, v[6:7]
	s_and_saveexec_b64 s[10:11], s[16:17]
	s_cbranch_execz .LBB1853_14
; %bb.13:                               ;   in Loop: Header=BB1853_4 Depth=1
	v_mov_b32_e32 v5, s7
	v_add_co_u32_e32 v4, vcc, s6, v12
	v_addc_co_u32_e32 v5, vcc, v13, v5, vcc
	global_load_dwordx2 v[4:5], v[4:5], off
.LBB1853_14:                            ;   in Loop: Header=BB1853_4 Depth=1
	s_or_b64 exec, exec, s[10:11]
	s_waitcnt vmcnt(0)
	ds_write_b64 v11, v[4:5]
	s_waitcnt lgkmcnt(0)
	s_barrier
	s_and_saveexec_b64 s[10:11], s[4:5]
	s_cbranch_execz .LBB1853_3
; %bb.15:                               ;   in Loop: Header=BB1853_4 Depth=1
	ds_read2_b64 v[4:7], v10 offset1:32
	ds_read_b128 v[20:23], v8
	v_add_u32_e32 v26, 0x800, v10
	v_add_u32_e32 v28, 0x1800, v10
	s_waitcnt lgkmcnt(0)
	v_fma_f64 v[4:5], v[20:21], v[4:5], 0
	v_fma_f64 v[24:25], v[22:23], v[6:7], v[4:5]
	ds_read_b128 v[4:7], v8 offset:16
	ds_read2_b64 v[20:23], v10 offset0:64 offset1:96
	s_waitcnt lgkmcnt(0)
	v_fma_f64 v[4:5], v[4:5], v[20:21], v[24:25]
	v_fma_f64 v[24:25], v[6:7], v[22:23], v[4:5]
	ds_read2_b64 v[4:7], v10 offset0:128 offset1:160
	ds_read_b128 v[20:23], v8 offset:32
	s_waitcnt lgkmcnt(0)
	v_fma_f64 v[4:5], v[20:21], v[4:5], v[24:25]
	v_fma_f64 v[24:25], v[22:23], v[6:7], v[4:5]
	ds_read_b128 v[4:7], v8 offset:48
	ds_read2_b64 v[20:23], v10 offset0:192 offset1:224
	s_waitcnt lgkmcnt(0)
	v_fma_f64 v[4:5], v[4:5], v[20:21], v[24:25]
	v_fma_f64 v[24:25], v[6:7], v[22:23], v[4:5]
	ds_read_b128 v[4:7], v8 offset:64
	ds_read2_b64 v[20:23], v26 offset1:32
	s_waitcnt lgkmcnt(0)
	v_fma_f64 v[4:5], v[4:5], v[20:21], v[24:25]
	v_fma_f64 v[24:25], v[6:7], v[22:23], v[4:5]
	ds_read_b128 v[4:7], v8 offset:80
	ds_read2_b64 v[20:23], v26 offset0:64 offset1:96
	s_waitcnt lgkmcnt(0)
	v_fma_f64 v[4:5], v[4:5], v[20:21], v[24:25]
	v_fma_f64 v[24:25], v[6:7], v[22:23], v[4:5]
	ds_read_b128 v[4:7], v8 offset:96
	ds_read2_b64 v[20:23], v26 offset0:128 offset1:160
	s_waitcnt lgkmcnt(0)
	v_fma_f64 v[4:5], v[4:5], v[20:21], v[24:25]
	v_fma_f64 v[24:25], v[6:7], v[22:23], v[4:5]
	ds_read_b128 v[4:7], v8 offset:112
	ds_read2_b64 v[20:23], v26 offset0:192 offset1:224
	v_add_u32_e32 v26, 0x1000, v10
	s_waitcnt lgkmcnt(0)
	v_fma_f64 v[4:5], v[4:5], v[20:21], v[24:25]
	v_fma_f64 v[24:25], v[6:7], v[22:23], v[4:5]
	ds_read_b128 v[4:7], v8 offset:128
	ds_read2_b64 v[20:23], v26 offset1:32
	s_waitcnt lgkmcnt(0)
	v_fma_f64 v[4:5], v[4:5], v[20:21], v[24:25]
	v_fma_f64 v[24:25], v[6:7], v[22:23], v[4:5]
	ds_read_b128 v[4:7], v8 offset:144
	ds_read2_b64 v[20:23], v26 offset0:64 offset1:96
	s_waitcnt lgkmcnt(0)
	v_fma_f64 v[4:5], v[4:5], v[20:21], v[24:25]
	v_fma_f64 v[24:25], v[6:7], v[22:23], v[4:5]
	ds_read_b128 v[4:7], v8 offset:160
	ds_read2_b64 v[20:23], v26 offset0:128 offset1:160
	;; [unrolled: 5-line block ×3, first 2 shown]
	s_waitcnt lgkmcnt(0)
	v_fma_f64 v[4:5], v[4:5], v[20:21], v[24:25]
	global_load_dwordx2 v[24:25], v[2:3], off
	v_fma_f64 v[26:27], v[6:7], v[22:23], v[4:5]
	ds_read2_b64 v[4:7], v28 offset1:32
	ds_read_b128 v[20:23], v8 offset:192
	s_waitcnt lgkmcnt(0)
	v_fma_f64 v[4:5], v[20:21], v[4:5], v[26:27]
	v_fma_f64 v[26:27], v[22:23], v[6:7], v[4:5]
	ds_read_b128 v[4:7], v8 offset:208
	ds_read2_b64 v[20:23], v28 offset0:64 offset1:96
	s_waitcnt lgkmcnt(0)
	v_fma_f64 v[4:5], v[4:5], v[20:21], v[26:27]
	v_fma_f64 v[26:27], v[6:7], v[22:23], v[4:5]
	ds_read2_b64 v[4:7], v28 offset0:128 offset1:160
	ds_read_b128 v[20:23], v8 offset:224
	s_waitcnt lgkmcnt(0)
	v_fma_f64 v[4:5], v[20:21], v[4:5], v[26:27]
	v_fma_f64 v[26:27], v[22:23], v[6:7], v[4:5]
	ds_read_b128 v[4:7], v8 offset:240
	ds_read2_b64 v[20:23], v28 offset0:192 offset1:224
	s_waitcnt lgkmcnt(0)
	v_fma_f64 v[4:5], v[4:5], v[20:21], v[26:27]
	v_fma_f64 v[4:5], v[6:7], v[22:23], v[4:5]
	s_waitcnt vmcnt(0)
	v_fma_f64 v[4:5], s[14:15], v[4:5], v[24:25]
	global_store_dwordx2 v[2:3], v[4:5], off
	s_branch .LBB1853_3
.LBB1853_16:
	s_endpgm
	.section	.rodata,"a",@progbits
	.p2align	6, 0x0
	.amdhsa_kernel _ZL26rocblas_syr2k_her2k_kernelIlLb1ELb0ELb1ELi32EdPKdPdEvbiT_T4_T5_S3_lS5_S3_lT6_S3_li
		.amdhsa_group_segment_fixed_size 16384
		.amdhsa_private_segment_fixed_size 0
		.amdhsa_kernarg_size 100
		.amdhsa_user_sgpr_count 6
		.amdhsa_user_sgpr_private_segment_buffer 1
		.amdhsa_user_sgpr_dispatch_ptr 0
		.amdhsa_user_sgpr_queue_ptr 0
		.amdhsa_user_sgpr_kernarg_segment_ptr 1
		.amdhsa_user_sgpr_dispatch_id 0
		.amdhsa_user_sgpr_flat_scratch_init 0
		.amdhsa_user_sgpr_private_segment_size 0
		.amdhsa_uses_dynamic_stack 0
		.amdhsa_system_sgpr_private_segment_wavefront_offset 0
		.amdhsa_system_sgpr_workgroup_id_x 1
		.amdhsa_system_sgpr_workgroup_id_y 1
		.amdhsa_system_sgpr_workgroup_id_z 1
		.amdhsa_system_sgpr_workgroup_info 0
		.amdhsa_system_vgpr_workitem_id 1
		.amdhsa_next_free_vgpr 29
		.amdhsa_next_free_sgpr 61
		.amdhsa_reserve_vcc 1
		.amdhsa_reserve_flat_scratch 0
		.amdhsa_float_round_mode_32 0
		.amdhsa_float_round_mode_16_64 0
		.amdhsa_float_denorm_mode_32 3
		.amdhsa_float_denorm_mode_16_64 3
		.amdhsa_dx10_clamp 1
		.amdhsa_ieee_mode 1
		.amdhsa_fp16_overflow 0
		.amdhsa_exception_fp_ieee_invalid_op 0
		.amdhsa_exception_fp_denorm_src 0
		.amdhsa_exception_fp_ieee_div_zero 0
		.amdhsa_exception_fp_ieee_overflow 0
		.amdhsa_exception_fp_ieee_underflow 0
		.amdhsa_exception_fp_ieee_inexact 0
		.amdhsa_exception_int_div_zero 0
	.end_amdhsa_kernel
	.section	.text._ZL26rocblas_syr2k_her2k_kernelIlLb1ELb0ELb1ELi32EdPKdPdEvbiT_T4_T5_S3_lS5_S3_lT6_S3_li,"axG",@progbits,_ZL26rocblas_syr2k_her2k_kernelIlLb1ELb0ELb1ELi32EdPKdPdEvbiT_T4_T5_S3_lS5_S3_lT6_S3_li,comdat
.Lfunc_end1853:
	.size	_ZL26rocblas_syr2k_her2k_kernelIlLb1ELb0ELb1ELi32EdPKdPdEvbiT_T4_T5_S3_lS5_S3_lT6_S3_li, .Lfunc_end1853-_ZL26rocblas_syr2k_her2k_kernelIlLb1ELb0ELb1ELi32EdPKdPdEvbiT_T4_T5_S3_lS5_S3_lT6_S3_li
                                        ; -- End function
	.set _ZL26rocblas_syr2k_her2k_kernelIlLb1ELb0ELb1ELi32EdPKdPdEvbiT_T4_T5_S3_lS5_S3_lT6_S3_li.num_vgpr, 29
	.set _ZL26rocblas_syr2k_her2k_kernelIlLb1ELb0ELb1ELi32EdPKdPdEvbiT_T4_T5_S3_lS5_S3_lT6_S3_li.num_agpr, 0
	.set _ZL26rocblas_syr2k_her2k_kernelIlLb1ELb0ELb1ELi32EdPKdPdEvbiT_T4_T5_S3_lS5_S3_lT6_S3_li.numbered_sgpr, 32
	.set _ZL26rocblas_syr2k_her2k_kernelIlLb1ELb0ELb1ELi32EdPKdPdEvbiT_T4_T5_S3_lS5_S3_lT6_S3_li.num_named_barrier, 0
	.set _ZL26rocblas_syr2k_her2k_kernelIlLb1ELb0ELb1ELi32EdPKdPdEvbiT_T4_T5_S3_lS5_S3_lT6_S3_li.private_seg_size, 0
	.set _ZL26rocblas_syr2k_her2k_kernelIlLb1ELb0ELb1ELi32EdPKdPdEvbiT_T4_T5_S3_lS5_S3_lT6_S3_li.uses_vcc, 1
	.set _ZL26rocblas_syr2k_her2k_kernelIlLb1ELb0ELb1ELi32EdPKdPdEvbiT_T4_T5_S3_lS5_S3_lT6_S3_li.uses_flat_scratch, 0
	.set _ZL26rocblas_syr2k_her2k_kernelIlLb1ELb0ELb1ELi32EdPKdPdEvbiT_T4_T5_S3_lS5_S3_lT6_S3_li.has_dyn_sized_stack, 0
	.set _ZL26rocblas_syr2k_her2k_kernelIlLb1ELb0ELb1ELi32EdPKdPdEvbiT_T4_T5_S3_lS5_S3_lT6_S3_li.has_recursion, 0
	.set _ZL26rocblas_syr2k_her2k_kernelIlLb1ELb0ELb1ELi32EdPKdPdEvbiT_T4_T5_S3_lS5_S3_lT6_S3_li.has_indirect_call, 0
	.section	.AMDGPU.csdata,"",@progbits
; Kernel info:
; codeLenInByte = 2212
; TotalNumSgprs: 36
; NumVgprs: 29
; ScratchSize: 0
; MemoryBound: 0
; FloatMode: 240
; IeeeMode: 1
; LDSByteSize: 16384 bytes/workgroup (compile time only)
; SGPRBlocks: 8
; VGPRBlocks: 7
; NumSGPRsForWavesPerEU: 65
; NumVGPRsForWavesPerEU: 29
; Occupancy: 8
; WaveLimiterHint : 0
; COMPUTE_PGM_RSRC2:SCRATCH_EN: 0
; COMPUTE_PGM_RSRC2:USER_SGPR: 6
; COMPUTE_PGM_RSRC2:TRAP_HANDLER: 0
; COMPUTE_PGM_RSRC2:TGID_X_EN: 1
; COMPUTE_PGM_RSRC2:TGID_Y_EN: 1
; COMPUTE_PGM_RSRC2:TGID_Z_EN: 1
; COMPUTE_PGM_RSRC2:TIDIG_COMP_CNT: 1
	.section	.text._ZL26rocblas_syr2k_her2k_kernelIlLb1ELb0ELb0ELi32EPKdS1_PdEvbiT_T4_T5_S3_lS5_S3_lT6_S3_li,"axG",@progbits,_ZL26rocblas_syr2k_her2k_kernelIlLb1ELb0ELb0ELi32EPKdS1_PdEvbiT_T4_T5_S3_lS5_S3_lT6_S3_li,comdat
	.globl	_ZL26rocblas_syr2k_her2k_kernelIlLb1ELb0ELb0ELi32EPKdS1_PdEvbiT_T4_T5_S3_lS5_S3_lT6_S3_li ; -- Begin function _ZL26rocblas_syr2k_her2k_kernelIlLb1ELb0ELb0ELi32EPKdS1_PdEvbiT_T4_T5_S3_lS5_S3_lT6_S3_li
	.p2align	8
	.type	_ZL26rocblas_syr2k_her2k_kernelIlLb1ELb0ELb0ELi32EPKdS1_PdEvbiT_T4_T5_S3_lS5_S3_lT6_S3_li,@function
_ZL26rocblas_syr2k_her2k_kernelIlLb1ELb0ELb0ELi32EPKdS1_PdEvbiT_T4_T5_S3_lS5_S3_lT6_S3_li: ; @_ZL26rocblas_syr2k_her2k_kernelIlLb1ELb0ELb0ELi32EPKdS1_PdEvbiT_T4_T5_S3_lS5_S3_lT6_S3_li
; %bb.0:
	s_load_dwordx16 s[12:27], s[4:5], 0x8
	s_waitcnt lgkmcnt(0)
	s_load_dwordx2 s[10:11], s[14:15], 0x0
	s_waitcnt lgkmcnt(0)
	v_cmp_eq_f64_e64 s[0:1], s[10:11], 0
	s_and_b64 vcc, exec, s[0:1]
	s_cbranch_vccnz .LBB1854_16
; %bb.1:
	s_load_dwordx2 s[14:15], s[4:5], 0x0
	s_lshl_b32 s2, s7, 5
	s_lshl_b32 s3, s6, 5
	s_waitcnt lgkmcnt(0)
	s_and_b32 s0, 1, s14
	s_cmp_eq_u32 s0, 1
	s_cselect_b64 s[0:1], -1, 0
	s_and_b64 s[6:7], s[0:1], exec
	s_cselect_b32 s6, s3, s2
	s_cselect_b32 s7, s2, s3
	s_cmp_gt_i32 s6, s7
	v_cmp_lt_i64_e64 s[6:7], s[12:13], 1
	s_cselect_b64 s[28:29], -1, 0
	s_or_b64 s[6:7], s[28:29], s[6:7]
	s_and_b64 vcc, exec, s[6:7]
	s_cbranch_vccnz .LBB1854_16
; %bb.2:
	s_load_dwordx2 s[6:7], s[4:5], 0x58
	s_load_dwordx4 s[28:31], s[4:5], 0x48
	s_mul_i32 s9, s27, s8
	v_add_u32_e32 v4, s2, v1
	v_lshlrev_b32_e32 v8, 8, v0
	s_waitcnt lgkmcnt(0)
	s_mul_i32 s5, s7, s8
	s_mul_hi_u32 s7, s6, s8
	s_mul_i32 s4, s6, s8
	s_add_i32 s5, s7, s5
	s_lshl_b64 s[4:5], s[4:5], 3
	s_add_u32 s14, s28, s4
	s_mul_hi_u32 s4, s26, s8
	s_addc_u32 s6, s29, s5
	s_add_i32 s5, s4, s9
	s_mul_i32 s4, s26, s8
	s_lshl_b64 s[4:5], s[4:5], 3
	s_add_u32 s22, s22, s4
	s_addc_u32 s23, s23, s5
	s_mul_i32 s4, s21, s8
	s_mul_hi_u32 s5, s20, s8
	s_add_i32 s5, s5, s4
	s_mul_i32 s4, s20, s8
	s_lshl_b64 s[4:5], s[4:5], 3
	v_lshlrev_b32_e32 v2, 3, v1
	s_add_u32 s26, s16, s4
	v_add_u32_e32 v9, v8, v2
	v_or_b32_e32 v10, 0x2000, v2
	v_ashrrev_i32_e32 v2, 31, v4
	s_addc_u32 s27, s17, s5
	v_mul_lo_u32 v15, s30, v2
	v_mul_lo_u32 v16, s31, v4
	v_mad_u64_u32 v[2:3], s[4:5], s30, v4, 0
	v_add_u32_e32 v6, s3, v0
	v_max_i32_e32 v14, v6, v4
	v_add3_u32 v3, v3, v15, v16
	v_cndmask_b32_e64 v12, v6, v4, s[0:1]
	v_cndmask_b32_e64 v13, v4, v6, s[0:1]
	v_cmp_gt_i32_e32 vcc, s15, v14
	v_lshlrev_b64 v[2:3], 3, v[2:3]
	v_mov_b32_e32 v16, s6
	v_mad_u64_u32 v[14:15], s[6:7], s18, v0, 0
	v_cmp_le_i32_e64 s[4:5], v13, v12
	s_and_b64 s[4:5], s[4:5], vcc
	v_ashrrev_i32_e32 v13, 31, v6
	v_mov_b32_e32 v12, v6
	v_add_co_u32_e32 v17, vcc, s14, v2
	v_addc_co_u32_e32 v16, vcc, v16, v3, vcc
	v_lshlrev_b64 v[2:3], 3, v[12:13]
	v_mov_b32_e32 v12, v15
	v_mad_u64_u32 v[12:13], s[6:7], s19, v0, v[12:13]
	v_add_co_u32_e32 v2, vcc, v17, v2
	v_addc_co_u32_e32 v3, vcc, v16, v3, vcc
	v_mad_u64_u32 v[16:17], s[6:7], s24, v0, 0
	v_mov_b32_e32 v15, v12
	v_lshlrev_b64 v[12:13], 3, v[14:15]
	v_mov_b32_e32 v14, v17
	v_mad_u64_u32 v[14:15], s[6:7], s25, v0, v[14:15]
	v_mov_b32_e32 v7, 0
	s_ashr_i32 s3, s15, 31
	s_mov_b32 s2, s15
	v_mov_b32_e32 v5, v7
	v_mov_b32_e32 v17, v14
	v_cmp_gt_i64_e64 s[0:1], s[2:3], v[6:7]
	v_cmp_gt_i64_e64 s[2:3], s[2:3], v[4:5]
	v_lshlrev_b64 v[4:5], 3, v[4:5]
	v_lshlrev_b64 v[14:15], 3, v[16:17]
	v_mad_u64_u32 v[16:17], s[8:9], s24, v1, 0
	v_add_co_u32_e32 v12, vcc, v12, v4
	v_addc_co_u32_e32 v13, vcc, v13, v5, vcc
	v_add_co_u32_e32 v14, vcc, v14, v4
	v_mov_b32_e32 v4, v17
	v_addc_co_u32_e32 v15, vcc, v15, v5, vcc
	v_mad_u64_u32 v[4:5], s[8:9], s25, v1, v[4:5]
	v_mad_u64_u32 v[18:19], s[14:15], s18, v1, 0
	v_mov_b32_e32 v17, v4
	v_lshlrev_b64 v[4:5], 3, v[16:17]
	v_mov_b32_e32 v16, v19
	v_mad_u64_u32 v[19:20], s[14:15], s19, v1, v[16:17]
	v_lshlrev_b64 v[6:7], 3, v[6:7]
	v_add_u32_e32 v11, v10, v8
	v_add_co_u32_e32 v16, vcc, v4, v6
	v_addc_co_u32_e32 v17, vcc, v5, v7, vcc
	v_lshlrev_b64 v[4:5], 3, v[18:19]
	s_lshl_b64 s[6:7], s[18:19], 8
	v_add_co_u32_e32 v18, vcc, v4, v6
	s_lshl_b64 s[8:9], s[24:25], 8
	v_addc_co_u32_e32 v19, vcc, v5, v7, vcc
	s_mov_b64 s[14:15], 0
	s_branch .LBB1854_4
.LBB1854_3:                             ;   in Loop: Header=BB1854_4 Depth=1
	s_or_b64 exec, exec, s[16:17]
	s_add_u32 s14, s14, 32
	s_addc_u32 s15, s15, 0
	v_mov_b32_e32 v4, s12
	s_add_u32 s26, s26, s6
	v_mov_b32_e32 v5, s13
	s_addc_u32 s27, s27, s7
	v_cmp_lt_i64_e32 vcc, s[14:15], v[4:5]
	s_add_u32 s22, s22, s8
	s_addc_u32 s23, s23, s9
	s_waitcnt vmcnt(0)
	s_barrier
	s_cbranch_vccz .LBB1854_16
.LBB1854_4:                             ; =>This Inner Loop Header: Depth=1
	v_mov_b32_e32 v5, s15
	v_add_co_u32_e32 v4, vcc, s14, v1
	v_addc_co_u32_e32 v5, vcc, 0, v5, vcc
	v_cmp_gt_i64_e32 vcc, s[12:13], v[4:5]
	v_mov_b32_e32 v4, 0
	v_mov_b32_e32 v6, 0
	;; [unrolled: 1-line block ×4, first 2 shown]
	s_and_b64 s[16:17], s[0:1], vcc
	s_and_saveexec_b64 s[18:19], s[16:17]
	s_cbranch_execz .LBB1854_6
; %bb.5:                                ;   in Loop: Header=BB1854_4 Depth=1
	v_mov_b32_e32 v7, s27
	v_add_co_u32_e32 v6, vcc, s26, v18
	v_addc_co_u32_e32 v7, vcc, v7, v19, vcc
	global_load_dwordx2 v[6:7], v[6:7], off
.LBB1854_6:                             ;   in Loop: Header=BB1854_4 Depth=1
	s_or_b64 exec, exec, s[18:19]
	v_mov_b32_e32 v21, s15
	v_add_co_u32_e32 v20, vcc, s14, v0
	v_addc_co_u32_e32 v21, vcc, 0, v21, vcc
	v_cmp_gt_i64_e32 vcc, s[12:13], v[20:21]
	s_waitcnt vmcnt(0)
	ds_write_b64 v9, v[6:7]
	s_and_b64 s[18:19], s[2:3], vcc
	s_and_saveexec_b64 s[20:21], s[18:19]
	s_cbranch_execz .LBB1854_8
; %bb.7:                                ;   in Loop: Header=BB1854_4 Depth=1
	v_mov_b32_e32 v5, s23
	v_add_co_u32_e32 v4, vcc, s22, v14
	v_addc_co_u32_e32 v5, vcc, v5, v15, vcc
	global_load_dwordx2 v[4:5], v[4:5], off
.LBB1854_8:                             ;   in Loop: Header=BB1854_4 Depth=1
	s_or_b64 exec, exec, s[20:21]
	s_waitcnt vmcnt(0)
	ds_write_b64 v11, v[4:5]
	s_waitcnt lgkmcnt(0)
	s_barrier
	s_and_saveexec_b64 s[20:21], s[4:5]
	s_cbranch_execz .LBB1854_10
; %bb.9:                                ;   in Loop: Header=BB1854_4 Depth=1
	ds_read2_b64 v[4:7], v10 offset1:32
	ds_read_b128 v[20:23], v8
	v_add_u32_e32 v26, 0x800, v10
	v_add_u32_e32 v28, 0x1800, v10
	s_waitcnt lgkmcnt(0)
	v_fma_f64 v[4:5], v[20:21], v[4:5], 0
	v_fma_f64 v[24:25], v[22:23], v[6:7], v[4:5]
	ds_read_b128 v[4:7], v8 offset:16
	ds_read2_b64 v[20:23], v10 offset0:64 offset1:96
	s_waitcnt lgkmcnt(0)
	v_fma_f64 v[4:5], v[4:5], v[20:21], v[24:25]
	v_fma_f64 v[24:25], v[6:7], v[22:23], v[4:5]
	ds_read2_b64 v[4:7], v10 offset0:128 offset1:160
	ds_read_b128 v[20:23], v8 offset:32
	s_waitcnt lgkmcnt(0)
	v_fma_f64 v[4:5], v[20:21], v[4:5], v[24:25]
	v_fma_f64 v[24:25], v[22:23], v[6:7], v[4:5]
	ds_read_b128 v[4:7], v8 offset:48
	ds_read2_b64 v[20:23], v10 offset0:192 offset1:224
	s_waitcnt lgkmcnt(0)
	v_fma_f64 v[4:5], v[4:5], v[20:21], v[24:25]
	v_fma_f64 v[24:25], v[6:7], v[22:23], v[4:5]
	ds_read_b128 v[4:7], v8 offset:64
	ds_read2_b64 v[20:23], v26 offset1:32
	s_waitcnt lgkmcnt(0)
	v_fma_f64 v[4:5], v[4:5], v[20:21], v[24:25]
	v_fma_f64 v[24:25], v[6:7], v[22:23], v[4:5]
	ds_read_b128 v[4:7], v8 offset:80
	ds_read2_b64 v[20:23], v26 offset0:64 offset1:96
	s_waitcnt lgkmcnt(0)
	v_fma_f64 v[4:5], v[4:5], v[20:21], v[24:25]
	v_fma_f64 v[24:25], v[6:7], v[22:23], v[4:5]
	ds_read_b128 v[4:7], v8 offset:96
	ds_read2_b64 v[20:23], v26 offset0:128 offset1:160
	;; [unrolled: 5-line block ×3, first 2 shown]
	v_add_u32_e32 v26, 0x1000, v10
	s_waitcnt lgkmcnt(0)
	v_fma_f64 v[4:5], v[4:5], v[20:21], v[24:25]
	v_fma_f64 v[24:25], v[6:7], v[22:23], v[4:5]
	ds_read_b128 v[4:7], v8 offset:128
	ds_read2_b64 v[20:23], v26 offset1:32
	s_waitcnt lgkmcnt(0)
	v_fma_f64 v[4:5], v[4:5], v[20:21], v[24:25]
	v_fma_f64 v[24:25], v[6:7], v[22:23], v[4:5]
	ds_read_b128 v[4:7], v8 offset:144
	ds_read2_b64 v[20:23], v26 offset0:64 offset1:96
	s_waitcnt lgkmcnt(0)
	v_fma_f64 v[4:5], v[4:5], v[20:21], v[24:25]
	v_fma_f64 v[24:25], v[6:7], v[22:23], v[4:5]
	ds_read_b128 v[4:7], v8 offset:160
	ds_read2_b64 v[20:23], v26 offset0:128 offset1:160
	s_waitcnt lgkmcnt(0)
	v_fma_f64 v[4:5], v[4:5], v[20:21], v[24:25]
	v_fma_f64 v[24:25], v[6:7], v[22:23], v[4:5]
	ds_read_b128 v[4:7], v8 offset:176
	ds_read2_b64 v[20:23], v26 offset0:192 offset1:224
	s_waitcnt lgkmcnt(0)
	v_fma_f64 v[4:5], v[4:5], v[20:21], v[24:25]
	global_load_dwordx2 v[24:25], v[2:3], off
	v_fma_f64 v[26:27], v[6:7], v[22:23], v[4:5]
	ds_read2_b64 v[4:7], v28 offset1:32
	ds_read_b128 v[20:23], v8 offset:192
	s_waitcnt lgkmcnt(0)
	v_fma_f64 v[4:5], v[20:21], v[4:5], v[26:27]
	v_fma_f64 v[26:27], v[22:23], v[6:7], v[4:5]
	ds_read_b128 v[4:7], v8 offset:208
	ds_read2_b64 v[20:23], v28 offset0:64 offset1:96
	s_waitcnt lgkmcnt(0)
	v_fma_f64 v[4:5], v[4:5], v[20:21], v[26:27]
	v_fma_f64 v[26:27], v[6:7], v[22:23], v[4:5]
	ds_read2_b64 v[4:7], v28 offset0:128 offset1:160
	ds_read_b128 v[20:23], v8 offset:224
	s_waitcnt lgkmcnt(0)
	v_fma_f64 v[4:5], v[20:21], v[4:5], v[26:27]
	v_fma_f64 v[26:27], v[22:23], v[6:7], v[4:5]
	ds_read_b128 v[4:7], v8 offset:240
	ds_read2_b64 v[20:23], v28 offset0:192 offset1:224
	s_waitcnt lgkmcnt(0)
	v_fma_f64 v[4:5], v[4:5], v[20:21], v[26:27]
	v_fma_f64 v[4:5], v[6:7], v[22:23], v[4:5]
	s_waitcnt vmcnt(0)
	v_fma_f64 v[4:5], s[10:11], v[4:5], v[24:25]
	global_store_dwordx2 v[2:3], v[4:5], off
.LBB1854_10:                            ;   in Loop: Header=BB1854_4 Depth=1
	s_or_b64 exec, exec, s[20:21]
	v_mov_b32_e32 v4, 0
	v_mov_b32_e32 v6, 0
	v_mov_b32_e32 v5, 0
	v_mov_b32_e32 v7, 0
	s_waitcnt vmcnt(0)
	s_barrier
	s_and_saveexec_b64 s[20:21], s[16:17]
	s_cbranch_execz .LBB1854_12
; %bb.11:                               ;   in Loop: Header=BB1854_4 Depth=1
	v_mov_b32_e32 v7, s23
	v_add_co_u32_e32 v6, vcc, s22, v16
	v_addc_co_u32_e32 v7, vcc, v7, v17, vcc
	global_load_dwordx2 v[6:7], v[6:7], off
.LBB1854_12:                            ;   in Loop: Header=BB1854_4 Depth=1
	s_or_b64 exec, exec, s[20:21]
	s_waitcnt vmcnt(0)
	ds_write_b64 v9, v[6:7]
	s_and_saveexec_b64 s[16:17], s[18:19]
	s_cbranch_execz .LBB1854_14
; %bb.13:                               ;   in Loop: Header=BB1854_4 Depth=1
	v_mov_b32_e32 v5, s27
	v_add_co_u32_e32 v4, vcc, s26, v12
	v_addc_co_u32_e32 v5, vcc, v5, v13, vcc
	global_load_dwordx2 v[4:5], v[4:5], off
.LBB1854_14:                            ;   in Loop: Header=BB1854_4 Depth=1
	s_or_b64 exec, exec, s[16:17]
	s_waitcnt vmcnt(0)
	ds_write_b64 v11, v[4:5]
	s_waitcnt lgkmcnt(0)
	s_barrier
	s_and_saveexec_b64 s[16:17], s[4:5]
	s_cbranch_execz .LBB1854_3
; %bb.15:                               ;   in Loop: Header=BB1854_4 Depth=1
	ds_read2_b64 v[4:7], v10 offset1:32
	ds_read_b128 v[20:23], v8
	v_add_u32_e32 v26, 0x800, v10
	v_add_u32_e32 v28, 0x1800, v10
	s_waitcnt lgkmcnt(0)
	v_fma_f64 v[4:5], v[20:21], v[4:5], 0
	v_fma_f64 v[24:25], v[22:23], v[6:7], v[4:5]
	ds_read_b128 v[4:7], v8 offset:16
	ds_read2_b64 v[20:23], v10 offset0:64 offset1:96
	s_waitcnt lgkmcnt(0)
	v_fma_f64 v[4:5], v[4:5], v[20:21], v[24:25]
	v_fma_f64 v[24:25], v[6:7], v[22:23], v[4:5]
	ds_read2_b64 v[4:7], v10 offset0:128 offset1:160
	ds_read_b128 v[20:23], v8 offset:32
	s_waitcnt lgkmcnt(0)
	v_fma_f64 v[4:5], v[20:21], v[4:5], v[24:25]
	v_fma_f64 v[24:25], v[22:23], v[6:7], v[4:5]
	ds_read_b128 v[4:7], v8 offset:48
	ds_read2_b64 v[20:23], v10 offset0:192 offset1:224
	s_waitcnt lgkmcnt(0)
	v_fma_f64 v[4:5], v[4:5], v[20:21], v[24:25]
	v_fma_f64 v[24:25], v[6:7], v[22:23], v[4:5]
	ds_read_b128 v[4:7], v8 offset:64
	ds_read2_b64 v[20:23], v26 offset1:32
	s_waitcnt lgkmcnt(0)
	v_fma_f64 v[4:5], v[4:5], v[20:21], v[24:25]
	v_fma_f64 v[24:25], v[6:7], v[22:23], v[4:5]
	ds_read_b128 v[4:7], v8 offset:80
	ds_read2_b64 v[20:23], v26 offset0:64 offset1:96
	s_waitcnt lgkmcnt(0)
	v_fma_f64 v[4:5], v[4:5], v[20:21], v[24:25]
	v_fma_f64 v[24:25], v[6:7], v[22:23], v[4:5]
	ds_read_b128 v[4:7], v8 offset:96
	ds_read2_b64 v[20:23], v26 offset0:128 offset1:160
	;; [unrolled: 5-line block ×3, first 2 shown]
	v_add_u32_e32 v26, 0x1000, v10
	s_waitcnt lgkmcnt(0)
	v_fma_f64 v[4:5], v[4:5], v[20:21], v[24:25]
	v_fma_f64 v[24:25], v[6:7], v[22:23], v[4:5]
	ds_read_b128 v[4:7], v8 offset:128
	ds_read2_b64 v[20:23], v26 offset1:32
	s_waitcnt lgkmcnt(0)
	v_fma_f64 v[4:5], v[4:5], v[20:21], v[24:25]
	v_fma_f64 v[24:25], v[6:7], v[22:23], v[4:5]
	ds_read_b128 v[4:7], v8 offset:144
	ds_read2_b64 v[20:23], v26 offset0:64 offset1:96
	s_waitcnt lgkmcnt(0)
	v_fma_f64 v[4:5], v[4:5], v[20:21], v[24:25]
	v_fma_f64 v[24:25], v[6:7], v[22:23], v[4:5]
	ds_read_b128 v[4:7], v8 offset:160
	ds_read2_b64 v[20:23], v26 offset0:128 offset1:160
	;; [unrolled: 5-line block ×3, first 2 shown]
	s_waitcnt lgkmcnt(0)
	v_fma_f64 v[4:5], v[4:5], v[20:21], v[24:25]
	global_load_dwordx2 v[24:25], v[2:3], off
	v_fma_f64 v[26:27], v[6:7], v[22:23], v[4:5]
	ds_read2_b64 v[4:7], v28 offset1:32
	ds_read_b128 v[20:23], v8 offset:192
	s_waitcnt lgkmcnt(0)
	v_fma_f64 v[4:5], v[20:21], v[4:5], v[26:27]
	v_fma_f64 v[26:27], v[22:23], v[6:7], v[4:5]
	ds_read_b128 v[4:7], v8 offset:208
	ds_read2_b64 v[20:23], v28 offset0:64 offset1:96
	s_waitcnt lgkmcnt(0)
	v_fma_f64 v[4:5], v[4:5], v[20:21], v[26:27]
	v_fma_f64 v[26:27], v[6:7], v[22:23], v[4:5]
	ds_read2_b64 v[4:7], v28 offset0:128 offset1:160
	ds_read_b128 v[20:23], v8 offset:224
	s_waitcnt lgkmcnt(0)
	v_fma_f64 v[4:5], v[20:21], v[4:5], v[26:27]
	v_fma_f64 v[26:27], v[22:23], v[6:7], v[4:5]
	ds_read_b128 v[4:7], v8 offset:240
	ds_read2_b64 v[20:23], v28 offset0:192 offset1:224
	s_waitcnt lgkmcnt(0)
	v_fma_f64 v[4:5], v[4:5], v[20:21], v[26:27]
	v_fma_f64 v[4:5], v[6:7], v[22:23], v[4:5]
	s_waitcnt vmcnt(0)
	v_fma_f64 v[4:5], s[10:11], v[4:5], v[24:25]
	global_store_dwordx2 v[2:3], v[4:5], off
	s_branch .LBB1854_3
.LBB1854_16:
	s_endpgm
	.section	.rodata,"a",@progbits
	.p2align	6, 0x0
	.amdhsa_kernel _ZL26rocblas_syr2k_her2k_kernelIlLb1ELb0ELb0ELi32EPKdS1_PdEvbiT_T4_T5_S3_lS5_S3_lT6_S3_li
		.amdhsa_group_segment_fixed_size 16384
		.amdhsa_private_segment_fixed_size 0
		.amdhsa_kernarg_size 100
		.amdhsa_user_sgpr_count 6
		.amdhsa_user_sgpr_private_segment_buffer 1
		.amdhsa_user_sgpr_dispatch_ptr 0
		.amdhsa_user_sgpr_queue_ptr 0
		.amdhsa_user_sgpr_kernarg_segment_ptr 1
		.amdhsa_user_sgpr_dispatch_id 0
		.amdhsa_user_sgpr_flat_scratch_init 0
		.amdhsa_user_sgpr_private_segment_size 0
		.amdhsa_uses_dynamic_stack 0
		.amdhsa_system_sgpr_private_segment_wavefront_offset 0
		.amdhsa_system_sgpr_workgroup_id_x 1
		.amdhsa_system_sgpr_workgroup_id_y 1
		.amdhsa_system_sgpr_workgroup_id_z 1
		.amdhsa_system_sgpr_workgroup_info 0
		.amdhsa_system_vgpr_workitem_id 1
		.amdhsa_next_free_vgpr 29
		.amdhsa_next_free_sgpr 61
		.amdhsa_reserve_vcc 1
		.amdhsa_reserve_flat_scratch 0
		.amdhsa_float_round_mode_32 0
		.amdhsa_float_round_mode_16_64 0
		.amdhsa_float_denorm_mode_32 3
		.amdhsa_float_denorm_mode_16_64 3
		.amdhsa_dx10_clamp 1
		.amdhsa_ieee_mode 1
		.amdhsa_fp16_overflow 0
		.amdhsa_exception_fp_ieee_invalid_op 0
		.amdhsa_exception_fp_denorm_src 0
		.amdhsa_exception_fp_ieee_div_zero 0
		.amdhsa_exception_fp_ieee_overflow 0
		.amdhsa_exception_fp_ieee_underflow 0
		.amdhsa_exception_fp_ieee_inexact 0
		.amdhsa_exception_int_div_zero 0
	.end_amdhsa_kernel
	.section	.text._ZL26rocblas_syr2k_her2k_kernelIlLb1ELb0ELb0ELi32EPKdS1_PdEvbiT_T4_T5_S3_lS5_S3_lT6_S3_li,"axG",@progbits,_ZL26rocblas_syr2k_her2k_kernelIlLb1ELb0ELb0ELi32EPKdS1_PdEvbiT_T4_T5_S3_lS5_S3_lT6_S3_li,comdat
.Lfunc_end1854:
	.size	_ZL26rocblas_syr2k_her2k_kernelIlLb1ELb0ELb0ELi32EPKdS1_PdEvbiT_T4_T5_S3_lS5_S3_lT6_S3_li, .Lfunc_end1854-_ZL26rocblas_syr2k_her2k_kernelIlLb1ELb0ELb0ELi32EPKdS1_PdEvbiT_T4_T5_S3_lS5_S3_lT6_S3_li
                                        ; -- End function
	.set _ZL26rocblas_syr2k_her2k_kernelIlLb1ELb0ELb0ELi32EPKdS1_PdEvbiT_T4_T5_S3_lS5_S3_lT6_S3_li.num_vgpr, 29
	.set _ZL26rocblas_syr2k_her2k_kernelIlLb1ELb0ELb0ELi32EPKdS1_PdEvbiT_T4_T5_S3_lS5_S3_lT6_S3_li.num_agpr, 0
	.set _ZL26rocblas_syr2k_her2k_kernelIlLb1ELb0ELb0ELi32EPKdS1_PdEvbiT_T4_T5_S3_lS5_S3_lT6_S3_li.numbered_sgpr, 32
	.set _ZL26rocblas_syr2k_her2k_kernelIlLb1ELb0ELb0ELi32EPKdS1_PdEvbiT_T4_T5_S3_lS5_S3_lT6_S3_li.num_named_barrier, 0
	.set _ZL26rocblas_syr2k_her2k_kernelIlLb1ELb0ELb0ELi32EPKdS1_PdEvbiT_T4_T5_S3_lS5_S3_lT6_S3_li.private_seg_size, 0
	.set _ZL26rocblas_syr2k_her2k_kernelIlLb1ELb0ELb0ELi32EPKdS1_PdEvbiT_T4_T5_S3_lS5_S3_lT6_S3_li.uses_vcc, 1
	.set _ZL26rocblas_syr2k_her2k_kernelIlLb1ELb0ELb0ELi32EPKdS1_PdEvbiT_T4_T5_S3_lS5_S3_lT6_S3_li.uses_flat_scratch, 0
	.set _ZL26rocblas_syr2k_her2k_kernelIlLb1ELb0ELb0ELi32EPKdS1_PdEvbiT_T4_T5_S3_lS5_S3_lT6_S3_li.has_dyn_sized_stack, 0
	.set _ZL26rocblas_syr2k_her2k_kernelIlLb1ELb0ELb0ELi32EPKdS1_PdEvbiT_T4_T5_S3_lS5_S3_lT6_S3_li.has_recursion, 0
	.set _ZL26rocblas_syr2k_her2k_kernelIlLb1ELb0ELb0ELi32EPKdS1_PdEvbiT_T4_T5_S3_lS5_S3_lT6_S3_li.has_indirect_call, 0
	.section	.AMDGPU.csdata,"",@progbits
; Kernel info:
; codeLenInByte = 2192
; TotalNumSgprs: 36
; NumVgprs: 29
; ScratchSize: 0
; MemoryBound: 0
; FloatMode: 240
; IeeeMode: 1
; LDSByteSize: 16384 bytes/workgroup (compile time only)
; SGPRBlocks: 8
; VGPRBlocks: 7
; NumSGPRsForWavesPerEU: 65
; NumVGPRsForWavesPerEU: 29
; Occupancy: 8
; WaveLimiterHint : 0
; COMPUTE_PGM_RSRC2:SCRATCH_EN: 0
; COMPUTE_PGM_RSRC2:USER_SGPR: 6
; COMPUTE_PGM_RSRC2:TRAP_HANDLER: 0
; COMPUTE_PGM_RSRC2:TGID_X_EN: 1
; COMPUTE_PGM_RSRC2:TGID_Y_EN: 1
; COMPUTE_PGM_RSRC2:TGID_Z_EN: 1
; COMPUTE_PGM_RSRC2:TIDIG_COMP_CNT: 1
	.section	.text._ZL26rocblas_syr2k_her2k_kernelIlLb1ELb0ELb1ELi32EPKdS1_PdEvbiT_T4_T5_S3_lS5_S3_lT6_S3_li,"axG",@progbits,_ZL26rocblas_syr2k_her2k_kernelIlLb1ELb0ELb1ELi32EPKdS1_PdEvbiT_T4_T5_S3_lS5_S3_lT6_S3_li,comdat
	.globl	_ZL26rocblas_syr2k_her2k_kernelIlLb1ELb0ELb1ELi32EPKdS1_PdEvbiT_T4_T5_S3_lS5_S3_lT6_S3_li ; -- Begin function _ZL26rocblas_syr2k_her2k_kernelIlLb1ELb0ELb1ELi32EPKdS1_PdEvbiT_T4_T5_S3_lS5_S3_lT6_S3_li
	.p2align	8
	.type	_ZL26rocblas_syr2k_her2k_kernelIlLb1ELb0ELb1ELi32EPKdS1_PdEvbiT_T4_T5_S3_lS5_S3_lT6_S3_li,@function
_ZL26rocblas_syr2k_her2k_kernelIlLb1ELb0ELb1ELi32EPKdS1_PdEvbiT_T4_T5_S3_lS5_S3_lT6_S3_li: ; @_ZL26rocblas_syr2k_her2k_kernelIlLb1ELb0ELb1ELi32EPKdS1_PdEvbiT_T4_T5_S3_lS5_S3_lT6_S3_li
; %bb.0:
	s_load_dwordx16 s[12:27], s[4:5], 0x8
	s_waitcnt lgkmcnt(0)
	s_load_dwordx2 s[10:11], s[14:15], 0x0
	s_waitcnt lgkmcnt(0)
	v_cmp_eq_f64_e64 s[0:1], s[10:11], 0
	s_and_b64 vcc, exec, s[0:1]
	s_cbranch_vccnz .LBB1855_16
; %bb.1:
	s_load_dwordx2 s[14:15], s[4:5], 0x0
	s_lshl_b32 s3, s7, 5
	s_lshl_b32 s2, s6, 5
	s_waitcnt lgkmcnt(0)
	s_and_b32 s0, 1, s14
	s_cmp_eq_u32 s0, 1
	s_cselect_b64 s[0:1], -1, 0
	s_and_b64 s[6:7], s[0:1], exec
	s_cselect_b32 s6, s2, s3
	s_cselect_b32 s7, s3, s2
	s_cmp_gt_i32 s6, s7
	v_cmp_lt_i64_e64 s[6:7], s[12:13], 1
	s_cselect_b64 s[28:29], -1, 0
	s_or_b64 s[6:7], s[28:29], s[6:7]
	s_and_b64 vcc, exec, s[6:7]
	s_cbranch_vccnz .LBB1855_16
; %bb.2:
	s_load_dwordx2 s[6:7], s[4:5], 0x58
	s_load_dwordx4 s[28:31], s[4:5], 0x48
	v_add_u32_e32 v6, s3, v1
	v_mov_b32_e32 v5, 0
	v_add_u32_e32 v4, s2, v0
	s_waitcnt lgkmcnt(0)
	s_mul_i32 s3, s7, s8
	s_mul_hi_u32 s5, s6, s8
	s_mul_i32 s4, s6, s8
	s_add_i32 s5, s5, s3
	s_lshl_b64 s[4:5], s[4:5], 3
	s_add_u32 s6, s28, s4
	s_addc_u32 s7, s29, s5
	s_ashr_i32 s3, s15, 31
	s_mov_b32 s2, s15
	v_mov_b32_e32 v7, v5
	v_ashrrev_i32_e32 v2, 31, v6
	v_cndmask_b32_e64 v12, v4, v6, s[0:1]
	v_cndmask_b32_e64 v13, v6, v4, s[0:1]
	v_cmp_gt_i64_e64 s[0:1], s[2:3], v[4:5]
	v_cmp_gt_i64_e64 s[2:3], s[2:3], v[6:7]
	v_mul_lo_u32 v7, s30, v2
	v_mul_lo_u32 v14, s31, v6
	v_mad_u64_u32 v[2:3], s[4:5], s30, v6, 0
	v_max_i32_e32 v5, v4, v6
	v_cmp_gt_i32_e32 vcc, s15, v5
	v_add3_u32 v3, v3, v7, v14
	v_lshlrev_b64 v[2:3], 3, v[2:3]
	v_cmp_le_i32_e64 s[4:5], v13, v12
	s_and_b64 s[4:5], s[4:5], vcc
	v_mov_b32_e32 v7, s7
	v_add_co_u32_e32 v14, vcc, s6, v2
	v_mad_u64_u32 v[12:13], s[6:7], s18, v6, 0
	v_ashrrev_i32_e32 v5, 31, v4
	v_addc_co_u32_e32 v7, vcc, v7, v3, vcc
	v_lshlrev_b64 v[2:3], 3, v[4:5]
	v_mov_b32_e32 v5, v13
	v_add_co_u32_e32 v2, vcc, v14, v2
	v_mad_u64_u32 v[13:14], s[6:7], s19, v6, v[5:6]
	s_mul_i32 s9, s21, s8
	s_mul_hi_u32 s14, s20, s8
	s_add_i32 s7, s14, s9
	s_mul_i32 s6, s20, s8
	v_lshlrev_b64 v[12:13], 3, v[12:13]
	v_addc_co_u32_e32 v3, vcc, v7, v3, vcc
	s_lshl_b64 s[6:7], s[6:7], 3
	v_mov_b32_e32 v19, s7
	v_add_co_u32_e32 v5, vcc, s6, v12
	v_mad_u64_u32 v[14:15], s[14:15], s24, v6, 0
	v_addc_co_u32_e32 v7, vcc, v19, v13, vcc
	v_lshlrev_b32_e32 v16, 3, v0
	v_add_co_u32_e32 v5, vcc, v5, v16
	v_addc_co_u32_e32 v7, vcc, 0, v7, vcc
	v_add_co_u32_e32 v12, vcc, s16, v5
	v_mov_b32_e32 v5, v15
	v_mad_u64_u32 v[5:6], s[14:15], s25, v6, v[5:6]
	s_mul_i32 s7, s27, s8
	s_mul_hi_u32 s9, s26, s8
	v_mov_b32_e32 v15, v5
	v_mov_b32_e32 v13, s17
	s_add_i32 s9, s9, s7
	s_mul_i32 s8, s26, s8
	v_lshlrev_b64 v[5:6], 3, v[14:15]
	v_addc_co_u32_e32 v13, vcc, v13, v7, vcc
	s_lshl_b64 s[8:9], s[8:9], 3
	v_mov_b32_e32 v17, s9
	v_add_co_u32_e32 v7, vcc, s8, v5
	v_addc_co_u32_e32 v14, vcc, v17, v6, vcc
	v_mad_u64_u32 v[5:6], s[14:15], s24, v4, 0
	v_add_co_u32_e32 v15, vcc, v7, v16
	v_mad_u64_u32 v[6:7], s[14:15], s25, v4, v[6:7]
	v_addc_co_u32_e32 v16, vcc, 0, v14, vcc
	v_mov_b32_e32 v20, s23
	v_add_co_u32_e32 v14, vcc, s22, v15
	v_lshlrev_b64 v[5:6], 3, v[5:6]
	v_addc_co_u32_e32 v15, vcc, v20, v16, vcc
	v_add_co_u32_e32 v7, vcc, s8, v5
	v_addc_co_u32_e32 v16, vcc, v17, v6, vcc
	v_mad_u64_u32 v[5:6], s[8:9], s18, v4, 0
	v_lshlrev_b32_e32 v18, 3, v1
	v_add_co_u32_e32 v17, vcc, v7, v18
	v_mad_u64_u32 v[6:7], s[8:9], s19, v4, v[6:7]
	v_addc_co_u32_e32 v20, vcc, 0, v16, vcc
	v_mov_b32_e32 v21, s23
	v_add_co_u32_e32 v16, vcc, s22, v17
	v_lshlrev_b64 v[4:5], 3, v[5:6]
	v_addc_co_u32_e32 v17, vcc, v21, v20, vcc
	v_add_co_u32_e32 v4, vcc, s6, v4
	v_addc_co_u32_e32 v5, vcc, v19, v5, vcc
	v_add_co_u32_e32 v4, vcc, v4, v18
	v_lshlrev_b32_e32 v8, 8, v0
	v_addc_co_u32_e32 v5, vcc, 0, v5, vcc
	v_add_u32_e32 v9, v8, v18
	v_or_b32_e32 v10, 0x2000, v18
	v_mov_b32_e32 v6, s17
	v_add_co_u32_e32 v18, vcc, s16, v4
	v_add_u32_e32 v11, v10, v8
	v_addc_co_u32_e32 v19, vcc, v6, v5, vcc
	s_mov_b64 s[6:7], 0
	s_mov_b64 s[8:9], 0
	s_branch .LBB1855_4
.LBB1855_3:                             ;   in Loop: Header=BB1855_4 Depth=1
	s_or_b64 exec, exec, s[14:15]
	s_add_u32 s8, s8, 32
	v_mov_b32_e32 v4, s12
	s_addc_u32 s9, s9, 0
	v_mov_b32_e32 v5, s13
	v_cmp_lt_i64_e32 vcc, s[8:9], v[4:5]
	s_add_u32 s6, s6, 0x100
	s_addc_u32 s7, s7, 0
	s_waitcnt vmcnt(0)
	s_barrier
	s_cbranch_vccz .LBB1855_16
.LBB1855_4:                             ; =>This Inner Loop Header: Depth=1
	v_mov_b32_e32 v5, s9
	v_add_co_u32_e32 v4, vcc, s8, v1
	v_addc_co_u32_e32 v5, vcc, 0, v5, vcc
	v_cmp_gt_i64_e32 vcc, s[12:13], v[4:5]
	v_mov_b32_e32 v4, 0
	v_mov_b32_e32 v6, 0
	;; [unrolled: 1-line block ×4, first 2 shown]
	s_and_b64 s[14:15], s[0:1], vcc
	s_and_saveexec_b64 s[16:17], s[14:15]
	s_cbranch_execz .LBB1855_6
; %bb.5:                                ;   in Loop: Header=BB1855_4 Depth=1
	v_mov_b32_e32 v7, s7
	v_add_co_u32_e32 v6, vcc, s6, v18
	v_addc_co_u32_e32 v7, vcc, v19, v7, vcc
	global_load_dwordx2 v[6:7], v[6:7], off
.LBB1855_6:                             ;   in Loop: Header=BB1855_4 Depth=1
	s_or_b64 exec, exec, s[16:17]
	v_mov_b32_e32 v21, s9
	v_add_co_u32_e32 v20, vcc, s8, v0
	v_addc_co_u32_e32 v21, vcc, 0, v21, vcc
	v_cmp_gt_i64_e32 vcc, s[12:13], v[20:21]
	s_waitcnt vmcnt(0)
	ds_write_b64 v9, v[6:7]
	s_and_b64 s[16:17], s[2:3], vcc
	s_and_saveexec_b64 s[18:19], s[16:17]
	s_cbranch_execz .LBB1855_8
; %bb.7:                                ;   in Loop: Header=BB1855_4 Depth=1
	v_mov_b32_e32 v5, s7
	v_add_co_u32_e32 v4, vcc, s6, v14
	v_addc_co_u32_e32 v5, vcc, v15, v5, vcc
	global_load_dwordx2 v[4:5], v[4:5], off
.LBB1855_8:                             ;   in Loop: Header=BB1855_4 Depth=1
	s_or_b64 exec, exec, s[18:19]
	s_waitcnt vmcnt(0)
	ds_write_b64 v11, v[4:5]
	s_waitcnt lgkmcnt(0)
	s_barrier
	s_and_saveexec_b64 s[18:19], s[4:5]
	s_cbranch_execz .LBB1855_10
; %bb.9:                                ;   in Loop: Header=BB1855_4 Depth=1
	ds_read2_b64 v[4:7], v10 offset1:32
	ds_read_b128 v[20:23], v8
	v_add_u32_e32 v26, 0x800, v10
	v_add_u32_e32 v28, 0x1800, v10
	s_waitcnt lgkmcnt(0)
	v_fma_f64 v[4:5], v[20:21], v[4:5], 0
	v_fma_f64 v[24:25], v[22:23], v[6:7], v[4:5]
	ds_read_b128 v[4:7], v8 offset:16
	ds_read2_b64 v[20:23], v10 offset0:64 offset1:96
	s_waitcnt lgkmcnt(0)
	v_fma_f64 v[4:5], v[4:5], v[20:21], v[24:25]
	v_fma_f64 v[24:25], v[6:7], v[22:23], v[4:5]
	ds_read2_b64 v[4:7], v10 offset0:128 offset1:160
	ds_read_b128 v[20:23], v8 offset:32
	s_waitcnt lgkmcnt(0)
	v_fma_f64 v[4:5], v[20:21], v[4:5], v[24:25]
	v_fma_f64 v[24:25], v[22:23], v[6:7], v[4:5]
	ds_read_b128 v[4:7], v8 offset:48
	ds_read2_b64 v[20:23], v10 offset0:192 offset1:224
	s_waitcnt lgkmcnt(0)
	v_fma_f64 v[4:5], v[4:5], v[20:21], v[24:25]
	v_fma_f64 v[24:25], v[6:7], v[22:23], v[4:5]
	ds_read_b128 v[4:7], v8 offset:64
	ds_read2_b64 v[20:23], v26 offset1:32
	s_waitcnt lgkmcnt(0)
	v_fma_f64 v[4:5], v[4:5], v[20:21], v[24:25]
	v_fma_f64 v[24:25], v[6:7], v[22:23], v[4:5]
	ds_read_b128 v[4:7], v8 offset:80
	ds_read2_b64 v[20:23], v26 offset0:64 offset1:96
	s_waitcnt lgkmcnt(0)
	v_fma_f64 v[4:5], v[4:5], v[20:21], v[24:25]
	v_fma_f64 v[24:25], v[6:7], v[22:23], v[4:5]
	ds_read_b128 v[4:7], v8 offset:96
	ds_read2_b64 v[20:23], v26 offset0:128 offset1:160
	;; [unrolled: 5-line block ×3, first 2 shown]
	v_add_u32_e32 v26, 0x1000, v10
	s_waitcnt lgkmcnt(0)
	v_fma_f64 v[4:5], v[4:5], v[20:21], v[24:25]
	v_fma_f64 v[24:25], v[6:7], v[22:23], v[4:5]
	ds_read_b128 v[4:7], v8 offset:128
	ds_read2_b64 v[20:23], v26 offset1:32
	s_waitcnt lgkmcnt(0)
	v_fma_f64 v[4:5], v[4:5], v[20:21], v[24:25]
	v_fma_f64 v[24:25], v[6:7], v[22:23], v[4:5]
	ds_read_b128 v[4:7], v8 offset:144
	ds_read2_b64 v[20:23], v26 offset0:64 offset1:96
	s_waitcnt lgkmcnt(0)
	v_fma_f64 v[4:5], v[4:5], v[20:21], v[24:25]
	v_fma_f64 v[24:25], v[6:7], v[22:23], v[4:5]
	ds_read_b128 v[4:7], v8 offset:160
	ds_read2_b64 v[20:23], v26 offset0:128 offset1:160
	;; [unrolled: 5-line block ×3, first 2 shown]
	s_waitcnt lgkmcnt(0)
	v_fma_f64 v[4:5], v[4:5], v[20:21], v[24:25]
	global_load_dwordx2 v[24:25], v[2:3], off
	v_fma_f64 v[26:27], v[6:7], v[22:23], v[4:5]
	ds_read2_b64 v[4:7], v28 offset1:32
	ds_read_b128 v[20:23], v8 offset:192
	s_waitcnt lgkmcnt(0)
	v_fma_f64 v[4:5], v[20:21], v[4:5], v[26:27]
	v_fma_f64 v[26:27], v[22:23], v[6:7], v[4:5]
	ds_read_b128 v[4:7], v8 offset:208
	ds_read2_b64 v[20:23], v28 offset0:64 offset1:96
	s_waitcnt lgkmcnt(0)
	v_fma_f64 v[4:5], v[4:5], v[20:21], v[26:27]
	v_fma_f64 v[26:27], v[6:7], v[22:23], v[4:5]
	ds_read2_b64 v[4:7], v28 offset0:128 offset1:160
	ds_read_b128 v[20:23], v8 offset:224
	s_waitcnt lgkmcnt(0)
	v_fma_f64 v[4:5], v[20:21], v[4:5], v[26:27]
	v_fma_f64 v[26:27], v[22:23], v[6:7], v[4:5]
	ds_read_b128 v[4:7], v8 offset:240
	ds_read2_b64 v[20:23], v28 offset0:192 offset1:224
	s_waitcnt lgkmcnt(0)
	v_fma_f64 v[4:5], v[4:5], v[20:21], v[26:27]
	v_fma_f64 v[4:5], v[6:7], v[22:23], v[4:5]
	s_waitcnt vmcnt(0)
	v_fma_f64 v[4:5], s[10:11], v[4:5], v[24:25]
	global_store_dwordx2 v[2:3], v[4:5], off
.LBB1855_10:                            ;   in Loop: Header=BB1855_4 Depth=1
	s_or_b64 exec, exec, s[18:19]
	v_mov_b32_e32 v4, 0
	v_mov_b32_e32 v6, 0
	;; [unrolled: 1-line block ×4, first 2 shown]
	s_waitcnt vmcnt(0)
	s_barrier
	s_and_saveexec_b64 s[18:19], s[14:15]
	s_cbranch_execz .LBB1855_12
; %bb.11:                               ;   in Loop: Header=BB1855_4 Depth=1
	v_mov_b32_e32 v7, s7
	v_add_co_u32_e32 v6, vcc, s6, v16
	v_addc_co_u32_e32 v7, vcc, v17, v7, vcc
	global_load_dwordx2 v[6:7], v[6:7], off
.LBB1855_12:                            ;   in Loop: Header=BB1855_4 Depth=1
	s_or_b64 exec, exec, s[18:19]
	s_waitcnt vmcnt(0)
	ds_write_b64 v9, v[6:7]
	s_and_saveexec_b64 s[14:15], s[16:17]
	s_cbranch_execz .LBB1855_14
; %bb.13:                               ;   in Loop: Header=BB1855_4 Depth=1
	v_mov_b32_e32 v5, s7
	v_add_co_u32_e32 v4, vcc, s6, v12
	v_addc_co_u32_e32 v5, vcc, v13, v5, vcc
	global_load_dwordx2 v[4:5], v[4:5], off
.LBB1855_14:                            ;   in Loop: Header=BB1855_4 Depth=1
	s_or_b64 exec, exec, s[14:15]
	s_waitcnt vmcnt(0)
	ds_write_b64 v11, v[4:5]
	s_waitcnt lgkmcnt(0)
	s_barrier
	s_and_saveexec_b64 s[14:15], s[4:5]
	s_cbranch_execz .LBB1855_3
; %bb.15:                               ;   in Loop: Header=BB1855_4 Depth=1
	ds_read2_b64 v[4:7], v10 offset1:32
	ds_read_b128 v[20:23], v8
	v_add_u32_e32 v26, 0x800, v10
	v_add_u32_e32 v28, 0x1800, v10
	s_waitcnt lgkmcnt(0)
	v_fma_f64 v[4:5], v[20:21], v[4:5], 0
	v_fma_f64 v[24:25], v[22:23], v[6:7], v[4:5]
	ds_read_b128 v[4:7], v8 offset:16
	ds_read2_b64 v[20:23], v10 offset0:64 offset1:96
	s_waitcnt lgkmcnt(0)
	v_fma_f64 v[4:5], v[4:5], v[20:21], v[24:25]
	v_fma_f64 v[24:25], v[6:7], v[22:23], v[4:5]
	ds_read2_b64 v[4:7], v10 offset0:128 offset1:160
	ds_read_b128 v[20:23], v8 offset:32
	s_waitcnt lgkmcnt(0)
	v_fma_f64 v[4:5], v[20:21], v[4:5], v[24:25]
	v_fma_f64 v[24:25], v[22:23], v[6:7], v[4:5]
	ds_read_b128 v[4:7], v8 offset:48
	ds_read2_b64 v[20:23], v10 offset0:192 offset1:224
	s_waitcnt lgkmcnt(0)
	v_fma_f64 v[4:5], v[4:5], v[20:21], v[24:25]
	v_fma_f64 v[24:25], v[6:7], v[22:23], v[4:5]
	ds_read_b128 v[4:7], v8 offset:64
	ds_read2_b64 v[20:23], v26 offset1:32
	s_waitcnt lgkmcnt(0)
	v_fma_f64 v[4:5], v[4:5], v[20:21], v[24:25]
	v_fma_f64 v[24:25], v[6:7], v[22:23], v[4:5]
	ds_read_b128 v[4:7], v8 offset:80
	ds_read2_b64 v[20:23], v26 offset0:64 offset1:96
	s_waitcnt lgkmcnt(0)
	v_fma_f64 v[4:5], v[4:5], v[20:21], v[24:25]
	v_fma_f64 v[24:25], v[6:7], v[22:23], v[4:5]
	ds_read_b128 v[4:7], v8 offset:96
	ds_read2_b64 v[20:23], v26 offset0:128 offset1:160
	;; [unrolled: 5-line block ×3, first 2 shown]
	v_add_u32_e32 v26, 0x1000, v10
	s_waitcnt lgkmcnt(0)
	v_fma_f64 v[4:5], v[4:5], v[20:21], v[24:25]
	v_fma_f64 v[24:25], v[6:7], v[22:23], v[4:5]
	ds_read_b128 v[4:7], v8 offset:128
	ds_read2_b64 v[20:23], v26 offset1:32
	s_waitcnt lgkmcnt(0)
	v_fma_f64 v[4:5], v[4:5], v[20:21], v[24:25]
	v_fma_f64 v[24:25], v[6:7], v[22:23], v[4:5]
	ds_read_b128 v[4:7], v8 offset:144
	ds_read2_b64 v[20:23], v26 offset0:64 offset1:96
	s_waitcnt lgkmcnt(0)
	v_fma_f64 v[4:5], v[4:5], v[20:21], v[24:25]
	v_fma_f64 v[24:25], v[6:7], v[22:23], v[4:5]
	ds_read_b128 v[4:7], v8 offset:160
	ds_read2_b64 v[20:23], v26 offset0:128 offset1:160
	;; [unrolled: 5-line block ×3, first 2 shown]
	s_waitcnt lgkmcnt(0)
	v_fma_f64 v[4:5], v[4:5], v[20:21], v[24:25]
	global_load_dwordx2 v[24:25], v[2:3], off
	v_fma_f64 v[26:27], v[6:7], v[22:23], v[4:5]
	ds_read2_b64 v[4:7], v28 offset1:32
	ds_read_b128 v[20:23], v8 offset:192
	s_waitcnt lgkmcnt(0)
	v_fma_f64 v[4:5], v[20:21], v[4:5], v[26:27]
	v_fma_f64 v[26:27], v[22:23], v[6:7], v[4:5]
	ds_read_b128 v[4:7], v8 offset:208
	ds_read2_b64 v[20:23], v28 offset0:64 offset1:96
	s_waitcnt lgkmcnt(0)
	v_fma_f64 v[4:5], v[4:5], v[20:21], v[26:27]
	v_fma_f64 v[26:27], v[6:7], v[22:23], v[4:5]
	ds_read2_b64 v[4:7], v28 offset0:128 offset1:160
	ds_read_b128 v[20:23], v8 offset:224
	s_waitcnt lgkmcnt(0)
	v_fma_f64 v[4:5], v[20:21], v[4:5], v[26:27]
	v_fma_f64 v[26:27], v[22:23], v[6:7], v[4:5]
	ds_read_b128 v[4:7], v8 offset:240
	ds_read2_b64 v[20:23], v28 offset0:192 offset1:224
	s_waitcnt lgkmcnt(0)
	v_fma_f64 v[4:5], v[4:5], v[20:21], v[26:27]
	v_fma_f64 v[4:5], v[6:7], v[22:23], v[4:5]
	s_waitcnt vmcnt(0)
	v_fma_f64 v[4:5], s[10:11], v[4:5], v[24:25]
	global_store_dwordx2 v[2:3], v[4:5], off
	s_branch .LBB1855_3
.LBB1855_16:
	s_endpgm
	.section	.rodata,"a",@progbits
	.p2align	6, 0x0
	.amdhsa_kernel _ZL26rocblas_syr2k_her2k_kernelIlLb1ELb0ELb1ELi32EPKdS1_PdEvbiT_T4_T5_S3_lS5_S3_lT6_S3_li
		.amdhsa_group_segment_fixed_size 16384
		.amdhsa_private_segment_fixed_size 0
		.amdhsa_kernarg_size 100
		.amdhsa_user_sgpr_count 6
		.amdhsa_user_sgpr_private_segment_buffer 1
		.amdhsa_user_sgpr_dispatch_ptr 0
		.amdhsa_user_sgpr_queue_ptr 0
		.amdhsa_user_sgpr_kernarg_segment_ptr 1
		.amdhsa_user_sgpr_dispatch_id 0
		.amdhsa_user_sgpr_flat_scratch_init 0
		.amdhsa_user_sgpr_private_segment_size 0
		.amdhsa_uses_dynamic_stack 0
		.amdhsa_system_sgpr_private_segment_wavefront_offset 0
		.amdhsa_system_sgpr_workgroup_id_x 1
		.amdhsa_system_sgpr_workgroup_id_y 1
		.amdhsa_system_sgpr_workgroup_id_z 1
		.amdhsa_system_sgpr_workgroup_info 0
		.amdhsa_system_vgpr_workitem_id 1
		.amdhsa_next_free_vgpr 29
		.amdhsa_next_free_sgpr 61
		.amdhsa_reserve_vcc 1
		.amdhsa_reserve_flat_scratch 0
		.amdhsa_float_round_mode_32 0
		.amdhsa_float_round_mode_16_64 0
		.amdhsa_float_denorm_mode_32 3
		.amdhsa_float_denorm_mode_16_64 3
		.amdhsa_dx10_clamp 1
		.amdhsa_ieee_mode 1
		.amdhsa_fp16_overflow 0
		.amdhsa_exception_fp_ieee_invalid_op 0
		.amdhsa_exception_fp_denorm_src 0
		.amdhsa_exception_fp_ieee_div_zero 0
		.amdhsa_exception_fp_ieee_overflow 0
		.amdhsa_exception_fp_ieee_underflow 0
		.amdhsa_exception_fp_ieee_inexact 0
		.amdhsa_exception_int_div_zero 0
	.end_amdhsa_kernel
	.section	.text._ZL26rocblas_syr2k_her2k_kernelIlLb1ELb0ELb1ELi32EPKdS1_PdEvbiT_T4_T5_S3_lS5_S3_lT6_S3_li,"axG",@progbits,_ZL26rocblas_syr2k_her2k_kernelIlLb1ELb0ELb1ELi32EPKdS1_PdEvbiT_T4_T5_S3_lS5_S3_lT6_S3_li,comdat
.Lfunc_end1855:
	.size	_ZL26rocblas_syr2k_her2k_kernelIlLb1ELb0ELb1ELi32EPKdS1_PdEvbiT_T4_T5_S3_lS5_S3_lT6_S3_li, .Lfunc_end1855-_ZL26rocblas_syr2k_her2k_kernelIlLb1ELb0ELb1ELi32EPKdS1_PdEvbiT_T4_T5_S3_lS5_S3_lT6_S3_li
                                        ; -- End function
	.set _ZL26rocblas_syr2k_her2k_kernelIlLb1ELb0ELb1ELi32EPKdS1_PdEvbiT_T4_T5_S3_lS5_S3_lT6_S3_li.num_vgpr, 29
	.set _ZL26rocblas_syr2k_her2k_kernelIlLb1ELb0ELb1ELi32EPKdS1_PdEvbiT_T4_T5_S3_lS5_S3_lT6_S3_li.num_agpr, 0
	.set _ZL26rocblas_syr2k_her2k_kernelIlLb1ELb0ELb1ELi32EPKdS1_PdEvbiT_T4_T5_S3_lS5_S3_lT6_S3_li.numbered_sgpr, 32
	.set _ZL26rocblas_syr2k_her2k_kernelIlLb1ELb0ELb1ELi32EPKdS1_PdEvbiT_T4_T5_S3_lS5_S3_lT6_S3_li.num_named_barrier, 0
	.set _ZL26rocblas_syr2k_her2k_kernelIlLb1ELb0ELb1ELi32EPKdS1_PdEvbiT_T4_T5_S3_lS5_S3_lT6_S3_li.private_seg_size, 0
	.set _ZL26rocblas_syr2k_her2k_kernelIlLb1ELb0ELb1ELi32EPKdS1_PdEvbiT_T4_T5_S3_lS5_S3_lT6_S3_li.uses_vcc, 1
	.set _ZL26rocblas_syr2k_her2k_kernelIlLb1ELb0ELb1ELi32EPKdS1_PdEvbiT_T4_T5_S3_lS5_S3_lT6_S3_li.uses_flat_scratch, 0
	.set _ZL26rocblas_syr2k_her2k_kernelIlLb1ELb0ELb1ELi32EPKdS1_PdEvbiT_T4_T5_S3_lS5_S3_lT6_S3_li.has_dyn_sized_stack, 0
	.set _ZL26rocblas_syr2k_her2k_kernelIlLb1ELb0ELb1ELi32EPKdS1_PdEvbiT_T4_T5_S3_lS5_S3_lT6_S3_li.has_recursion, 0
	.set _ZL26rocblas_syr2k_her2k_kernelIlLb1ELb0ELb1ELi32EPKdS1_PdEvbiT_T4_T5_S3_lS5_S3_lT6_S3_li.has_indirect_call, 0
	.section	.AMDGPU.csdata,"",@progbits
; Kernel info:
; codeLenInByte = 2224
; TotalNumSgprs: 36
; NumVgprs: 29
; ScratchSize: 0
; MemoryBound: 0
; FloatMode: 240
; IeeeMode: 1
; LDSByteSize: 16384 bytes/workgroup (compile time only)
; SGPRBlocks: 8
; VGPRBlocks: 7
; NumSGPRsForWavesPerEU: 65
; NumVGPRsForWavesPerEU: 29
; Occupancy: 8
; WaveLimiterHint : 0
; COMPUTE_PGM_RSRC2:SCRATCH_EN: 0
; COMPUTE_PGM_RSRC2:USER_SGPR: 6
; COMPUTE_PGM_RSRC2:TRAP_HANDLER: 0
; COMPUTE_PGM_RSRC2:TGID_X_EN: 1
; COMPUTE_PGM_RSRC2:TGID_Y_EN: 1
; COMPUTE_PGM_RSRC2:TGID_Z_EN: 1
; COMPUTE_PGM_RSRC2:TIDIG_COMP_CNT: 1
	.section	.text._ZL26rocblas_syr2k_her2k_kernelIlLb1ELb0ELb0ELi32E19rocblas_complex_numIfEPKS1_PS1_EvbiT_T4_T5_S5_lS7_S5_lT6_S5_li,"axG",@progbits,_ZL26rocblas_syr2k_her2k_kernelIlLb1ELb0ELb0ELi32E19rocblas_complex_numIfEPKS1_PS1_EvbiT_T4_T5_S5_lS7_S5_lT6_S5_li,comdat
	.globl	_ZL26rocblas_syr2k_her2k_kernelIlLb1ELb0ELb0ELi32E19rocblas_complex_numIfEPKS1_PS1_EvbiT_T4_T5_S5_lS7_S5_lT6_S5_li ; -- Begin function _ZL26rocblas_syr2k_her2k_kernelIlLb1ELb0ELb0ELi32E19rocblas_complex_numIfEPKS1_PS1_EvbiT_T4_T5_S5_lS7_S5_lT6_S5_li
	.p2align	8
	.type	_ZL26rocblas_syr2k_her2k_kernelIlLb1ELb0ELb0ELi32E19rocblas_complex_numIfEPKS1_PS1_EvbiT_T4_T5_S5_lS7_S5_lT6_S5_li,@function
_ZL26rocblas_syr2k_her2k_kernelIlLb1ELb0ELb0ELi32E19rocblas_complex_numIfEPKS1_PS1_EvbiT_T4_T5_S5_lS7_S5_lT6_S5_li: ; @_ZL26rocblas_syr2k_her2k_kernelIlLb1ELb0ELb0ELi32E19rocblas_complex_numIfEPKS1_PS1_EvbiT_T4_T5_S5_lS7_S5_lT6_S5_li
; %bb.0:
	s_load_dwordx2 s[10:11], s[4:5], 0x10
	s_waitcnt lgkmcnt(0)
	v_cmp_eq_f32_e64 s[0:1], s10, 0
	v_cmp_eq_f32_e64 s[2:3], s11, 0
	s_and_b64 s[0:1], s[0:1], s[2:3]
	s_and_b64 vcc, exec, s[0:1]
	s_cbranch_vccnz .LBB1856_16
; %bb.1:
	s_load_dwordx4 s[28:31], s[4:5], 0x0
	s_lshl_b32 s2, s7, 5
	s_lshl_b32 s3, s6, 5
	s_waitcnt lgkmcnt(0)
	s_and_b32 s0, 1, s28
	s_cmp_eq_u32 s0, 1
	s_cselect_b64 s[0:1], -1, 0
	s_and_b64 s[6:7], s[0:1], exec
	s_cselect_b32 s6, s3, s2
	s_cselect_b32 s7, s2, s3
	s_cmp_gt_i32 s6, s7
	v_cmp_lt_i64_e64 s[6:7], s[30:31], 1
	s_cselect_b64 s[12:13], -1, 0
	s_or_b64 s[6:7], s[12:13], s[6:7]
	s_and_b64 vcc, exec, s[6:7]
	s_cbranch_vccnz .LBB1856_16
; %bb.2:
	s_load_dwordx2 s[6:7], s[4:5], 0x58
	s_load_dwordx16 s[12:27], s[4:5], 0x18
	v_add_u32_e32 v2, s2, v1
	v_lshlrev_b32_e32 v12, 8, v0
	v_lshlrev_b32_e32 v6, 3, v1
	s_waitcnt lgkmcnt(0)
	s_mul_i32 s5, s7, s8
	s_mul_hi_u32 s7, s6, s8
	s_mul_i32 s4, s6, s8
	s_add_i32 s5, s7, s5
	s_lshl_b64 s[4:5], s[4:5], 3
	s_mul_i32 s6, s17, s8
	s_add_u32 s9, s24, s4
	s_mul_hi_u32 s4, s16, s8
	s_addc_u32 s7, s25, s5
	s_add_i32 s5, s4, s6
	s_mul_i32 s4, s16, s8
	s_lshl_b64 s[4:5], s[4:5], 3
	s_add_u32 s24, s12, s4
	v_add_u32_e32 v13, v12, v6
	v_or_b32_e32 v14, 0x2000, v6
	v_ashrrev_i32_e32 v6, 31, v2
	s_addc_u32 s25, s13, s5
	v_mul_lo_u32 v11, s26, v6
	v_mul_lo_u32 v16, s27, v2
	v_mad_u64_u32 v[6:7], s[4:5], s26, v2, 0
	v_add_u32_e32 v4, s3, v0
	v_max_i32_e32 v10, v4, v2
	v_cmp_gt_i32_e32 vcc, s29, v10
	v_add3_u32 v7, v7, v11, v16
	v_mov_b32_e32 v10, s7
	v_mad_u64_u32 v[16:17], s[6:7], s14, v0, 0
	v_cndmask_b32_e64 v8, v4, v2, s[0:1]
	v_cndmask_b32_e64 v9, v2, v4, s[0:1]
	v_lshlrev_b64 v[6:7], 3, v[6:7]
	v_cmp_le_i32_e64 s[4:5], v9, v8
	s_and_b64 s[4:5], s[4:5], vcc
	v_ashrrev_i32_e32 v9, 31, v4
	v_mov_b32_e32 v8, v4
	v_add_co_u32_e32 v11, vcc, s9, v6
	v_addc_co_u32_e32 v18, vcc, v10, v7, vcc
	v_lshlrev_b64 v[6:7], 3, v[8:9]
	v_mov_b32_e32 v8, v17
	v_mad_u64_u32 v[8:9], s[6:7], s15, v0, v[8:9]
	v_mov_b32_e32 v5, 0
	s_ashr_i32 s3, s29, 31
	s_mov_b32 s2, s29
	v_mov_b32_e32 v3, v5
	v_add_co_u32_e32 v10, vcc, v11, v6
	v_mov_b32_e32 v17, v8
	v_mad_u64_u32 v[8:9], s[6:7], s14, v1, 0
	v_cmp_gt_i64_e64 s[0:1], s[2:3], v[4:5]
	v_cmp_gt_i64_e64 s[2:3], s[2:3], v[2:3]
	v_addc_co_u32_e32 v11, vcc, v18, v7, vcc
	v_lshlrev_b64 v[6:7], 3, v[16:17]
	v_lshlrev_b64 v[2:3], 3, v[2:3]
	v_mad_u64_u32 v[20:21], s[12:13], s20, v0, 0
	v_add_co_u32_e32 v6, vcc, v6, v2
	v_or_b32_e32 v17, 4, v6
	v_mov_b32_e32 v6, v9
	v_addc_co_u32_e32 v16, vcc, v7, v3, vcc
	v_mad_u64_u32 v[6:7], s[6:7], s15, v1, v[6:7]
	v_lshlrev_b64 v[4:5], 3, v[4:5]
	s_mul_i32 s9, s23, s8
	v_mov_b32_e32 v9, v6
	v_lshlrev_b64 v[6:7], 3, v[8:9]
	v_mov_b32_e32 v8, v21
	v_mad_u64_u32 v[8:9], s[12:13], s21, v0, v[8:9]
	v_add_co_u32_e32 v18, vcc, v6, v4
	v_mov_b32_e32 v21, v8
	v_addc_co_u32_e32 v19, vcc, v7, v5, vcc
	v_lshlrev_b64 v[6:7], 3, v[20:21]
	s_mul_hi_u32 s12, s22, s8
	v_add_co_u32_e32 v20, vcc, v6, v2
	v_addc_co_u32_e32 v21, vcc, v7, v3, vcc
	s_add_i32 s9, s12, s9
	v_mad_u64_u32 v[2:3], s[12:13], s20, v1, 0
	s_mul_i32 s8, s22, s8
	s_lshl_b64 s[6:7], s[14:15], 8
	s_lshl_b64 s[8:9], s[8:9], 3
	s_add_u32 s12, s18, s8
	s_addc_u32 s13, s19, s9
	v_mad_u64_u32 v[6:7], s[8:9], s21, v1, v[3:4]
	s_add_u32 s22, s12, 4
	v_add_u32_e32 v15, v14, v12
	v_mov_b32_e32 v3, v6
	v_lshlrev_b64 v[2:3], 3, v[2:3]
	s_addc_u32 s23, s13, 0
	v_add_co_u32_e32 v22, vcc, v2, v4
	s_lshl_b64 s[8:9], s[20:21], 8
	v_addc_co_u32_e32 v23, vcc, v3, v5, vcc
	s_mov_b64 s[12:13], 0
	s_branch .LBB1856_4
.LBB1856_3:                             ;   in Loop: Header=BB1856_4 Depth=1
	s_or_b64 exec, exec, s[14:15]
	s_add_u32 s12, s12, 32
	s_addc_u32 s13, s13, 0
	v_mov_b32_e32 v2, s30
	s_add_u32 s24, s24, s6
	v_mov_b32_e32 v3, s31
	s_addc_u32 s25, s25, s7
	v_cmp_lt_i64_e32 vcc, s[12:13], v[2:3]
	s_add_u32 s22, s22, s8
	s_addc_u32 s23, s23, s9
	s_waitcnt vmcnt(0)
	s_barrier
	s_cbranch_vccz .LBB1856_16
.LBB1856_4:                             ; =>This Inner Loop Header: Depth=1
	v_mov_b32_e32 v3, s13
	v_add_co_u32_e32 v2, vcc, s12, v1
	v_addc_co_u32_e32 v3, vcc, 0, v3, vcc
	v_cmp_gt_i64_e32 vcc, s[30:31], v[2:3]
	v_mov_b32_e32 v2, 0
	s_and_b64 s[14:15], s[0:1], vcc
	v_mov_b32_e32 v3, 0
	s_and_saveexec_b64 s[16:17], s[14:15]
	s_cbranch_execz .LBB1856_6
; %bb.5:                                ;   in Loop: Header=BB1856_4 Depth=1
	v_mov_b32_e32 v3, s25
	v_add_co_u32_e32 v2, vcc, s24, v18
	v_addc_co_u32_e32 v3, vcc, v3, v19, vcc
	global_load_dwordx2 v[2:3], v[2:3], off
.LBB1856_6:                             ;   in Loop: Header=BB1856_4 Depth=1
	s_or_b64 exec, exec, s[16:17]
	v_mov_b32_e32 v5, s13
	v_add_co_u32_e32 v4, vcc, s12, v0
	v_addc_co_u32_e32 v5, vcc, 0, v5, vcc
	v_cmp_gt_i64_e32 vcc, s[30:31], v[4:5]
	s_waitcnt vmcnt(0)
	ds_write_b64 v13, v[2:3]
	s_and_b64 s[16:17], s[2:3], vcc
	v_mov_b32_e32 v2, 0
	v_mov_b32_e32 v3, 0
	s_and_saveexec_b64 s[18:19], s[16:17]
	s_cbranch_execz .LBB1856_8
; %bb.7:                                ;   in Loop: Header=BB1856_4 Depth=1
	v_mov_b32_e32 v3, s23
	v_add_co_u32_e32 v2, vcc, s22, v20
	v_addc_co_u32_e32 v3, vcc, v3, v21, vcc
	global_load_dwordx2 v[2:3], v[2:3], off offset:-4
.LBB1856_8:                             ;   in Loop: Header=BB1856_4 Depth=1
	s_or_b64 exec, exec, s[18:19]
	v_add_u32_e32 v26, 0x800, v14
	v_add_u32_e32 v25, 0x1000, v14
	;; [unrolled: 1-line block ×3, first 2 shown]
	s_waitcnt vmcnt(0)
	ds_write_b64 v15, v[2:3]
	s_waitcnt lgkmcnt(0)
	s_barrier
	s_and_saveexec_b64 s[18:19], s[4:5]
	s_cbranch_execz .LBB1856_10
; %bb.9:                                ;   in Loop: Header=BB1856_4 Depth=1
	ds_read2_b64 v[2:5], v14 offset1:32
	ds_read_b128 v[6:9], v12
	ds_read_b128 v[27:30], v12 offset:16
	s_waitcnt lgkmcnt(1)
	v_mul_f32_e32 v31, v3, v7
	v_fma_f32 v36, v2, v6, -v31
	ds_read2_b64 v[31:34], v14 offset0:64 offset1:96
	v_mul_f32_e32 v35, v2, v7
	v_mul_f32_e32 v2, v5, v9
	v_fma_f32 v37, v4, v8, -v2
	v_fmac_f32_e32 v35, v3, v6
	s_waitcnt lgkmcnt(0)
	v_mul_f32_e32 v2, v32, v28
	v_mul_f32_e32 v38, v4, v9
	v_fma_f32 v39, v31, v27, -v2
	v_mul_f32_e32 v31, v31, v28
	v_mul_f32_e32 v2, v34, v30
	v_fmac_f32_e32 v38, v5, v8
	v_fmac_f32_e32 v31, v32, v27
	v_fma_f32 v32, v33, v29, -v2
	v_mul_f32_e32 v33, v33, v30
	v_add_f32_e32 v27, 0, v36
	v_add_f32_e32 v28, 0, v35
	v_fmac_f32_e32 v33, v34, v29
	ds_read_b128 v[2:5], v12 offset:32
	ds_read_b128 v[6:9], v12 offset:48
	v_add_f32_e32 v34, v27, v37
	v_add_f32_e32 v35, v28, v38
	ds_read2_b64 v[27:30], v14 offset0:128 offset1:160
	v_add_f32_e32 v31, v35, v31
	v_add_f32_e32 v34, v34, v39
	;; [unrolled: 1-line block ×4, first 2 shown]
	s_waitcnt lgkmcnt(0)
	v_mul_f32_e32 v33, v28, v3
	v_mul_f32_e32 v3, v27, v3
	v_fma_f32 v33, v27, v2, -v33
	v_fmac_f32_e32 v3, v28, v2
	v_add_f32_e32 v2, v32, v33
	v_add_f32_e32 v3, v31, v3
	ds_read2_b64 v[31:34], v14 offset0:192 offset1:224
	v_mul_f32_e32 v27, v30, v5
	v_mul_f32_e32 v5, v29, v5
	v_fma_f32 v27, v29, v4, -v27
	v_fmac_f32_e32 v5, v30, v4
	s_waitcnt lgkmcnt(0)
	v_mul_f32_e32 v4, v32, v7
	v_add_f32_e32 v2, v2, v27
	v_add_f32_e32 v3, v3, v5
	v_fma_f32 v4, v31, v6, -v4
	v_mul_f32_e32 v5, v31, v7
	v_fmac_f32_e32 v5, v32, v6
	v_add_f32_e32 v6, v2, v4
	v_mul_f32_e32 v2, v34, v9
	v_add_f32_e32 v7, v3, v5
	v_fma_f32 v31, v33, v8, -v2
	ds_read_b128 v[2:5], v12 offset:64
	ds_read2_b64 v[27:30], v26 offset1:32
	v_mul_f32_e32 v9, v33, v9
	v_fmac_f32_e32 v9, v34, v8
	v_add_f32_e32 v31, v6, v31
	v_add_f32_e32 v32, v7, v9
	s_waitcnt lgkmcnt(0)
	v_mul_f32_e32 v33, v28, v3
	v_mul_f32_e32 v3, v27, v3
	v_fma_f32 v33, v27, v2, -v33
	v_fmac_f32_e32 v3, v28, v2
	ds_read_b128 v[6:9], v12 offset:80
	v_add_f32_e32 v2, v31, v33
	v_add_f32_e32 v3, v32, v3
	ds_read2_b64 v[31:34], v26 offset0:64 offset1:96
	v_mul_f32_e32 v27, v30, v5
	v_mul_f32_e32 v5, v29, v5
	v_fma_f32 v27, v29, v4, -v27
	v_fmac_f32_e32 v5, v30, v4
	s_waitcnt lgkmcnt(0)
	v_mul_f32_e32 v4, v32, v7
	v_add_f32_e32 v2, v2, v27
	v_add_f32_e32 v3, v3, v5
	v_fma_f32 v4, v31, v6, -v4
	v_mul_f32_e32 v5, v31, v7
	v_fmac_f32_e32 v5, v32, v6
	v_add_f32_e32 v6, v2, v4
	v_mul_f32_e32 v2, v34, v9
	v_add_f32_e32 v7, v3, v5
	v_fma_f32 v31, v33, v8, -v2
	ds_read_b128 v[2:5], v12 offset:96
	ds_read2_b64 v[27:30], v26 offset0:128 offset1:160
	v_mul_f32_e32 v9, v33, v9
	v_fmac_f32_e32 v9, v34, v8
	v_add_f32_e32 v31, v6, v31
	v_add_f32_e32 v32, v7, v9
	s_waitcnt lgkmcnt(0)
	v_mul_f32_e32 v33, v28, v3
	v_mul_f32_e32 v3, v27, v3
	v_fma_f32 v33, v27, v2, -v33
	v_fmac_f32_e32 v3, v28, v2
	ds_read_b128 v[6:9], v12 offset:112
	v_add_f32_e32 v2, v31, v33
	v_add_f32_e32 v3, v32, v3
	ds_read2_b64 v[31:34], v26 offset0:192 offset1:224
	v_mul_f32_e32 v27, v30, v5
	v_mul_f32_e32 v5, v29, v5
	v_fma_f32 v27, v29, v4, -v27
	v_fmac_f32_e32 v5, v30, v4
	s_waitcnt lgkmcnt(0)
	v_mul_f32_e32 v4, v32, v7
	v_add_f32_e32 v2, v2, v27
	v_add_f32_e32 v3, v3, v5
	v_fma_f32 v4, v31, v6, -v4
	v_mul_f32_e32 v5, v31, v7
	v_fmac_f32_e32 v5, v32, v6
	v_add_f32_e32 v6, v2, v4
	v_mul_f32_e32 v2, v34, v9
	v_add_f32_e32 v7, v3, v5
	v_fma_f32 v31, v33, v8, -v2
	ds_read_b128 v[2:5], v12 offset:128
	ds_read2_b64 v[27:30], v25 offset1:32
	v_mul_f32_e32 v9, v33, v9
	v_fmac_f32_e32 v9, v34, v8
	v_add_f32_e32 v6, v6, v31
	ds_read_b128 v[31:34], v12 offset:144
	ds_read2_b64 v[35:38], v25 offset0:64 offset1:96
	s_waitcnt lgkmcnt(2)
	v_mul_f32_e32 v8, v28, v3
	v_fma_f32 v8, v27, v2, -v8
	v_mul_f32_e32 v3, v27, v3
	v_add_f32_e32 v7, v7, v9
	v_fmac_f32_e32 v3, v28, v2
	v_add_f32_e32 v2, v6, v8
	v_mul_f32_e32 v6, v30, v5
	v_mul_f32_e32 v5, v29, v5
	v_add_f32_e32 v3, v7, v3
	v_fma_f32 v6, v29, v4, -v6
	v_fmac_f32_e32 v5, v30, v4
	s_waitcnt lgkmcnt(0)
	v_mul_f32_e32 v4, v36, v32
	v_add_f32_e32 v2, v2, v6
	v_add_f32_e32 v3, v3, v5
	v_fma_f32 v4, v35, v31, -v4
	v_mul_f32_e32 v5, v35, v32
	v_fmac_f32_e32 v5, v36, v31
	v_add_f32_e32 v27, v2, v4
	v_mul_f32_e32 v2, v38, v34
	v_add_f32_e32 v28, v3, v5
	v_fma_f32 v29, v37, v33, -v2
	ds_read_b128 v[2:5], v12 offset:160
	ds_read2_b64 v[6:9], v25 offset0:128 offset1:160
	v_mul_f32_e32 v30, v37, v34
	v_fmac_f32_e32 v30, v38, v33
	v_add_f32_e32 v33, v27, v29
	v_add_f32_e32 v34, v28, v30
	s_waitcnt lgkmcnt(0)
	v_mul_f32_e32 v31, v7, v3
	v_fma_f32 v35, v6, v2, -v31
	global_load_dwordx2 v[31:32], v[10:11], off
	v_mul_f32_e32 v6, v6, v3
	v_fmac_f32_e32 v6, v7, v2
	v_mul_f32_e32 v2, v9, v5
	v_fma_f32 v7, v8, v4, -v2
	v_mul_f32_e32 v8, v8, v5
	ds_read_b128 v[27:30], v12 offset:176
	v_fmac_f32_e32 v8, v9, v4
	ds_read2_b64 v[2:5], v25 offset0:192 offset1:224
	v_add_f32_e32 v6, v34, v6
	v_add_f32_e32 v9, v33, v35
	;; [unrolled: 1-line block ×4, first 2 shown]
	s_waitcnt lgkmcnt(0)
	v_mul_f32_e32 v6, v3, v28
	v_fma_f32 v6, v2, v27, -v6
	v_mul_f32_e32 v28, v2, v28
	v_mul_f32_e32 v2, v5, v30
	;; [unrolled: 1-line block ×3, first 2 shown]
	v_fmac_f32_e32 v28, v3, v27
	v_add_f32_e32 v27, v7, v6
	v_fma_f32 v34, v4, v29, -v2
	v_fmac_f32_e32 v30, v5, v29
	ds_read_b128 v[2:5], v12 offset:192
	ds_read2_b64 v[6:9], v24 offset1:32
	v_add_f32_e32 v28, v33, v28
	v_add_f32_e32 v33, v27, v34
	;; [unrolled: 1-line block ×3, first 2 shown]
	ds_read_b128 v[27:30], v12 offset:208
	s_waitcnt lgkmcnt(1)
	v_mul_f32_e32 v35, v7, v3
	v_fma_f32 v35, v6, v2, -v35
	v_mul_f32_e32 v6, v6, v3
	v_fmac_f32_e32 v6, v7, v2
	v_mul_f32_e32 v2, v9, v5
	v_fma_f32 v7, v8, v4, -v2
	v_mul_f32_e32 v8, v8, v5
	v_fmac_f32_e32 v8, v9, v4
	ds_read2_b64 v[2:5], v24 offset0:64 offset1:96
	v_add_f32_e32 v6, v34, v6
	v_add_f32_e32 v9, v33, v35
	;; [unrolled: 1-line block ×4, first 2 shown]
	s_waitcnt lgkmcnt(0)
	v_mul_f32_e32 v6, v3, v28
	v_fma_f32 v6, v2, v27, -v6
	v_mul_f32_e32 v28, v2, v28
	v_mul_f32_e32 v2, v5, v30
	;; [unrolled: 1-line block ×3, first 2 shown]
	v_fmac_f32_e32 v28, v3, v27
	v_add_f32_e32 v27, v7, v6
	v_fma_f32 v34, v4, v29, -v2
	v_fmac_f32_e32 v30, v5, v29
	ds_read_b128 v[2:5], v12 offset:224
	ds_read2_b64 v[6:9], v24 offset0:128 offset1:160
	v_add_f32_e32 v28, v33, v28
	v_add_f32_e32 v33, v27, v34
	v_add_f32_e32 v34, v28, v30
	ds_read_b128 v[27:30], v12 offset:240
	s_waitcnt lgkmcnt(1)
	v_mul_f32_e32 v35, v7, v3
	v_fma_f32 v35, v6, v2, -v35
	v_mul_f32_e32 v6, v6, v3
	v_fmac_f32_e32 v6, v7, v2
	v_mul_f32_e32 v2, v9, v5
	v_fma_f32 v7, v8, v4, -v2
	v_mul_f32_e32 v8, v8, v5
	v_fmac_f32_e32 v8, v9, v4
	ds_read2_b64 v[2:5], v24 offset0:192 offset1:224
	v_add_f32_e32 v6, v34, v6
	v_add_f32_e32 v6, v6, v8
	;; [unrolled: 1-line block ×4, first 2 shown]
	s_waitcnt lgkmcnt(0)
	v_mul_f32_e32 v8, v3, v28
	v_fma_f32 v8, v2, v27, -v8
	v_mul_f32_e32 v2, v2, v28
	v_fmac_f32_e32 v2, v3, v27
	v_add_f32_e32 v2, v6, v2
	v_mul_f32_e32 v6, v5, v30
	v_fma_f32 v6, v4, v29, -v6
	v_mul_f32_e32 v4, v4, v30
	v_fmac_f32_e32 v4, v5, v29
	v_add_f32_e32 v3, v7, v8
	v_add_f32_e32 v2, v2, v4
	;; [unrolled: 1-line block ×3, first 2 shown]
	v_mul_f32_e32 v4, s11, v2
	v_mul_f32_e32 v5, s10, v2
	v_fma_f32 v4, s10, v3, -v4
	v_fmac_f32_e32 v5, s11, v3
	s_waitcnt vmcnt(0)
	v_add_f32_e32 v2, v31, v4
	v_add_f32_e32 v3, v32, v5
	global_store_dwordx2 v[10:11], v[2:3], off
.LBB1856_10:                            ;   in Loop: Header=BB1856_4 Depth=1
	s_or_b64 exec, exec, s[18:19]
	v_mov_b32_e32 v3, 0
	v_mov_b32_e32 v5, 0
	;; [unrolled: 1-line block ×3, first 2 shown]
	s_waitcnt vmcnt(0)
	s_barrier
	s_and_saveexec_b64 s[18:19], s[14:15]
	s_cbranch_execz .LBB1856_12
; %bb.11:                               ;   in Loop: Header=BB1856_4 Depth=1
	v_mov_b32_e32 v2, s23
	v_add_co_u32_e32 v4, vcc, s22, v22
	v_addc_co_u32_e32 v5, vcc, v2, v23, vcc
	global_load_dwordx2 v[4:5], v[4:5], off offset:-4
.LBB1856_12:                            ;   in Loop: Header=BB1856_4 Depth=1
	s_or_b64 exec, exec, s[18:19]
	v_mov_b32_e32 v2, 0
	s_waitcnt vmcnt(0)
	ds_write_b64 v13, v[4:5]
	s_and_saveexec_b64 s[14:15], s[16:17]
	s_cbranch_execz .LBB1856_14
; %bb.13:                               ;   in Loop: Header=BB1856_4 Depth=1
	v_mov_b32_e32 v3, s25
	v_add_co_u32_e32 v2, vcc, s24, v17
	v_addc_co_u32_e32 v3, vcc, v3, v16, vcc
	global_load_dwordx2 v[2:3], v[2:3], off offset:-4
.LBB1856_14:                            ;   in Loop: Header=BB1856_4 Depth=1
	s_or_b64 exec, exec, s[14:15]
	s_waitcnt vmcnt(0)
	ds_write_b64 v15, v[2:3]
	s_waitcnt lgkmcnt(0)
	s_barrier
	s_and_saveexec_b64 s[14:15], s[4:5]
	s_cbranch_execz .LBB1856_3
; %bb.15:                               ;   in Loop: Header=BB1856_4 Depth=1
	ds_read2_b64 v[2:5], v14 offset1:32
	ds_read_b128 v[6:9], v12
	ds_read_b128 v[27:30], v12 offset:16
	s_waitcnt lgkmcnt(1)
	v_mul_f32_e32 v31, v3, v7
	v_mul_f32_e32 v35, v2, v7
	v_fma_f32 v36, v2, v6, -v31
	v_mul_f32_e32 v2, v5, v9
	v_mul_f32_e32 v38, v4, v9
	v_fmac_f32_e32 v35, v3, v6
	v_fma_f32 v37, v4, v8, -v2
	v_fmac_f32_e32 v38, v5, v8
	ds_read_b128 v[2:5], v12 offset:32
	ds_read_b128 v[6:9], v12 offset:48
	ds_read2_b64 v[31:34], v14 offset0:64 offset1:96
	v_add_f32_e32 v36, 0, v36
	v_add_f32_e32 v36, v36, v37
	v_add_f32_e32 v35, 0, v35
	v_add_f32_e32 v35, v35, v38
	s_waitcnt lgkmcnt(0)
	v_mul_f32_e32 v37, v32, v28
	v_fma_f32 v37, v31, v27, -v37
	v_mul_f32_e32 v31, v31, v28
	v_fmac_f32_e32 v31, v32, v27
	v_mul_f32_e32 v27, v34, v30
	v_fma_f32 v32, v33, v29, -v27
	v_mul_f32_e32 v33, v33, v30
	v_fmac_f32_e32 v33, v34, v29
	ds_read2_b64 v[27:30], v14 offset0:128 offset1:160
	v_add_f32_e32 v31, v35, v31
	v_add_f32_e32 v34, v36, v37
	v_add_f32_e32 v31, v31, v33
	v_add_f32_e32 v32, v34, v32
	s_waitcnt lgkmcnt(0)
	v_mul_f32_e32 v33, v28, v3
	v_mul_f32_e32 v3, v27, v3
	v_fma_f32 v33, v27, v2, -v33
	v_fmac_f32_e32 v3, v28, v2
	v_add_f32_e32 v2, v32, v33
	v_add_f32_e32 v3, v31, v3
	ds_read2_b64 v[31:34], v14 offset0:192 offset1:224
	v_mul_f32_e32 v27, v30, v5
	v_mul_f32_e32 v5, v29, v5
	v_fma_f32 v27, v29, v4, -v27
	v_fmac_f32_e32 v5, v30, v4
	s_waitcnt lgkmcnt(0)
	v_mul_f32_e32 v4, v32, v7
	v_add_f32_e32 v2, v2, v27
	v_add_f32_e32 v3, v3, v5
	v_fma_f32 v4, v31, v6, -v4
	v_mul_f32_e32 v5, v31, v7
	v_fmac_f32_e32 v5, v32, v6
	v_add_f32_e32 v6, v2, v4
	v_mul_f32_e32 v2, v34, v9
	v_add_f32_e32 v7, v3, v5
	v_fma_f32 v31, v33, v8, -v2
	ds_read_b128 v[2:5], v12 offset:64
	ds_read2_b64 v[27:30], v26 offset1:32
	v_mul_f32_e32 v9, v33, v9
	v_fmac_f32_e32 v9, v34, v8
	v_add_f32_e32 v31, v6, v31
	v_add_f32_e32 v32, v7, v9
	s_waitcnt lgkmcnt(0)
	v_mul_f32_e32 v33, v28, v3
	v_mul_f32_e32 v3, v27, v3
	v_fma_f32 v33, v27, v2, -v33
	v_fmac_f32_e32 v3, v28, v2
	ds_read_b128 v[6:9], v12 offset:80
	v_add_f32_e32 v2, v31, v33
	v_add_f32_e32 v3, v32, v3
	ds_read2_b64 v[31:34], v26 offset0:64 offset1:96
	v_mul_f32_e32 v27, v30, v5
	v_mul_f32_e32 v5, v29, v5
	v_fma_f32 v27, v29, v4, -v27
	v_fmac_f32_e32 v5, v30, v4
	s_waitcnt lgkmcnt(0)
	v_mul_f32_e32 v4, v32, v7
	v_add_f32_e32 v2, v2, v27
	v_add_f32_e32 v3, v3, v5
	v_fma_f32 v4, v31, v6, -v4
	v_mul_f32_e32 v5, v31, v7
	v_fmac_f32_e32 v5, v32, v6
	v_add_f32_e32 v6, v2, v4
	v_mul_f32_e32 v2, v34, v9
	v_add_f32_e32 v7, v3, v5
	v_fma_f32 v31, v33, v8, -v2
	ds_read_b128 v[2:5], v12 offset:96
	ds_read2_b64 v[27:30], v26 offset0:128 offset1:160
	v_mul_f32_e32 v9, v33, v9
	v_fmac_f32_e32 v9, v34, v8
	v_add_f32_e32 v31, v6, v31
	v_add_f32_e32 v32, v7, v9
	s_waitcnt lgkmcnt(0)
	v_mul_f32_e32 v33, v28, v3
	v_mul_f32_e32 v3, v27, v3
	v_fma_f32 v33, v27, v2, -v33
	v_fmac_f32_e32 v3, v28, v2
	ds_read_b128 v[6:9], v12 offset:112
	v_add_f32_e32 v2, v31, v33
	v_add_f32_e32 v3, v32, v3
	ds_read2_b64 v[31:34], v26 offset0:192 offset1:224
	v_mul_f32_e32 v27, v30, v5
	v_mul_f32_e32 v5, v29, v5
	v_fma_f32 v27, v29, v4, -v27
	v_fmac_f32_e32 v5, v30, v4
	s_waitcnt lgkmcnt(0)
	v_mul_f32_e32 v4, v32, v7
	v_add_f32_e32 v2, v2, v27
	v_add_f32_e32 v3, v3, v5
	v_fma_f32 v4, v31, v6, -v4
	v_mul_f32_e32 v5, v31, v7
	v_fmac_f32_e32 v5, v32, v6
	v_add_f32_e32 v6, v2, v4
	v_mul_f32_e32 v2, v34, v9
	v_add_f32_e32 v7, v3, v5
	v_fma_f32 v30, v33, v8, -v2
	ds_read_b128 v[2:5], v12 offset:128
	ds_read2_b64 v[26:29], v25 offset1:32
	v_mul_f32_e32 v9, v33, v9
	v_fmac_f32_e32 v9, v34, v8
	v_add_f32_e32 v6, v6, v30
	ds_read_b128 v[30:33], v12 offset:144
	ds_read2_b64 v[34:37], v25 offset0:64 offset1:96
	s_waitcnt lgkmcnt(2)
	v_mul_f32_e32 v8, v27, v3
	v_fma_f32 v8, v26, v2, -v8
	v_mul_f32_e32 v3, v26, v3
	v_add_f32_e32 v7, v7, v9
	v_fmac_f32_e32 v3, v27, v2
	v_add_f32_e32 v2, v6, v8
	v_mul_f32_e32 v6, v29, v5
	v_mul_f32_e32 v5, v28, v5
	v_add_f32_e32 v3, v7, v3
	v_fma_f32 v6, v28, v4, -v6
	v_fmac_f32_e32 v5, v29, v4
	s_waitcnt lgkmcnt(0)
	v_mul_f32_e32 v4, v35, v31
	v_add_f32_e32 v2, v2, v6
	v_add_f32_e32 v3, v3, v5
	v_fma_f32 v4, v34, v30, -v4
	v_mul_f32_e32 v5, v34, v31
	v_fmac_f32_e32 v5, v35, v30
	v_add_f32_e32 v26, v2, v4
	v_mul_f32_e32 v2, v37, v33
	v_add_f32_e32 v27, v3, v5
	v_fma_f32 v28, v36, v32, -v2
	ds_read_b128 v[2:5], v12 offset:160
	ds_read2_b64 v[6:9], v25 offset0:128 offset1:160
	global_load_dwordx2 v[34:35], v[10:11], off
	v_mul_f32_e32 v29, v36, v33
	v_fmac_f32_e32 v29, v37, v32
	v_add_f32_e32 v30, v26, v28
	s_waitcnt lgkmcnt(0)
	v_mul_f32_e32 v32, v7, v3
	v_mul_f32_e32 v3, v6, v3
	v_add_f32_e32 v31, v27, v29
	v_fma_f32 v32, v6, v2, -v32
	v_fmac_f32_e32 v3, v7, v2
	ds_read_b128 v[26:29], v12 offset:176
	v_add_f32_e32 v2, v30, v32
	v_add_f32_e32 v3, v31, v3
	ds_read2_b64 v[30:33], v25 offset0:192 offset1:224
	v_mul_f32_e32 v6, v9, v5
	v_mul_f32_e32 v5, v8, v5
	v_fma_f32 v6, v8, v4, -v6
	v_fmac_f32_e32 v5, v9, v4
	s_waitcnt lgkmcnt(0)
	v_mul_f32_e32 v4, v31, v27
	v_add_f32_e32 v2, v2, v6
	v_add_f32_e32 v3, v3, v5
	v_fma_f32 v4, v30, v26, -v4
	v_mul_f32_e32 v5, v30, v27
	v_fmac_f32_e32 v5, v31, v26
	v_add_f32_e32 v25, v2, v4
	v_mul_f32_e32 v2, v33, v29
	v_add_f32_e32 v26, v3, v5
	v_fma_f32 v27, v32, v28, -v2
	ds_read_b128 v[2:5], v12 offset:192
	ds_read2_b64 v[6:9], v24 offset1:32
	v_mul_f32_e32 v29, v32, v29
	v_fmac_f32_e32 v29, v33, v28
	v_add_f32_e32 v30, v25, v27
	v_add_f32_e32 v29, v26, v29
	s_waitcnt lgkmcnt(0)
	v_mul_f32_e32 v31, v7, v3
	v_mul_f32_e32 v3, v6, v3
	v_fma_f32 v31, v6, v2, -v31
	v_fmac_f32_e32 v3, v7, v2
	ds_read_b128 v[25:28], v12 offset:208
	v_add_f32_e32 v2, v30, v31
	v_add_f32_e32 v3, v29, v3
	ds_read2_b64 v[29:32], v24 offset0:64 offset1:96
	v_mul_f32_e32 v6, v9, v5
	v_mul_f32_e32 v5, v8, v5
	v_fma_f32 v6, v8, v4, -v6
	v_fmac_f32_e32 v5, v9, v4
	s_waitcnt lgkmcnt(0)
	v_mul_f32_e32 v4, v30, v26
	v_add_f32_e32 v2, v2, v6
	v_add_f32_e32 v3, v3, v5
	v_fma_f32 v4, v29, v25, -v4
	v_mul_f32_e32 v5, v29, v26
	v_fmac_f32_e32 v5, v30, v25
	v_add_f32_e32 v25, v2, v4
	v_mul_f32_e32 v2, v32, v28
	v_add_f32_e32 v26, v3, v5
	v_fma_f32 v29, v31, v27, -v2
	ds_read_b128 v[2:5], v12 offset:224
	ds_read2_b64 v[6:9], v24 offset0:128 offset1:160
	v_mul_f32_e32 v28, v31, v28
	v_fmac_f32_e32 v28, v32, v27
	v_add_f32_e32 v29, v25, v29
	v_add_f32_e32 v30, v26, v28
	s_waitcnt lgkmcnt(0)
	v_mul_f32_e32 v31, v7, v3
	v_mul_f32_e32 v3, v6, v3
	v_fma_f32 v31, v6, v2, -v31
	v_fmac_f32_e32 v3, v7, v2
	ds_read_b128 v[25:28], v12 offset:240
	v_add_f32_e32 v2, v29, v31
	v_add_f32_e32 v3, v30, v3
	ds_read2_b64 v[29:32], v24 offset0:192 offset1:224
	v_mul_f32_e32 v6, v9, v5
	v_mul_f32_e32 v5, v8, v5
	v_fmac_f32_e32 v5, v9, v4
	v_fma_f32 v6, v8, v4, -v6
	v_add_f32_e32 v3, v3, v5
	s_waitcnt lgkmcnt(0)
	v_mul_f32_e32 v4, v30, v26
	v_mul_f32_e32 v5, v29, v26
	v_add_f32_e32 v2, v2, v6
	v_fma_f32 v4, v29, v25, -v4
	v_fmac_f32_e32 v5, v30, v25
	v_add_f32_e32 v2, v2, v4
	v_add_f32_e32 v3, v3, v5
	v_mul_f32_e32 v4, v32, v28
	v_mul_f32_e32 v5, v31, v28
	v_fma_f32 v4, v31, v27, -v4
	v_fmac_f32_e32 v5, v32, v27
	v_add_f32_e32 v2, v2, v4
	v_add_f32_e32 v3, v3, v5
	v_mul_f32_e32 v4, s11, v3
	v_mul_f32_e32 v5, s11, v2
	v_fma_f32 v4, s10, v2, -v4
	v_fmac_f32_e32 v5, s10, v3
	s_waitcnt vmcnt(0)
	v_add_f32_e32 v2, v34, v4
	v_add_f32_e32 v3, v35, v5
	global_store_dwordx2 v[10:11], v[2:3], off
	s_branch .LBB1856_3
.LBB1856_16:
	s_endpgm
	.section	.rodata,"a",@progbits
	.p2align	6, 0x0
	.amdhsa_kernel _ZL26rocblas_syr2k_her2k_kernelIlLb1ELb0ELb0ELi32E19rocblas_complex_numIfEPKS1_PS1_EvbiT_T4_T5_S5_lS7_S5_lT6_S5_li
		.amdhsa_group_segment_fixed_size 16384
		.amdhsa_private_segment_fixed_size 0
		.amdhsa_kernarg_size 100
		.amdhsa_user_sgpr_count 6
		.amdhsa_user_sgpr_private_segment_buffer 1
		.amdhsa_user_sgpr_dispatch_ptr 0
		.amdhsa_user_sgpr_queue_ptr 0
		.amdhsa_user_sgpr_kernarg_segment_ptr 1
		.amdhsa_user_sgpr_dispatch_id 0
		.amdhsa_user_sgpr_flat_scratch_init 0
		.amdhsa_user_sgpr_private_segment_size 0
		.amdhsa_uses_dynamic_stack 0
		.amdhsa_system_sgpr_private_segment_wavefront_offset 0
		.amdhsa_system_sgpr_workgroup_id_x 1
		.amdhsa_system_sgpr_workgroup_id_y 1
		.amdhsa_system_sgpr_workgroup_id_z 1
		.amdhsa_system_sgpr_workgroup_info 0
		.amdhsa_system_vgpr_workitem_id 1
		.amdhsa_next_free_vgpr 40
		.amdhsa_next_free_sgpr 61
		.amdhsa_reserve_vcc 1
		.amdhsa_reserve_flat_scratch 0
		.amdhsa_float_round_mode_32 0
		.amdhsa_float_round_mode_16_64 0
		.amdhsa_float_denorm_mode_32 3
		.amdhsa_float_denorm_mode_16_64 3
		.amdhsa_dx10_clamp 1
		.amdhsa_ieee_mode 1
		.amdhsa_fp16_overflow 0
		.amdhsa_exception_fp_ieee_invalid_op 0
		.amdhsa_exception_fp_denorm_src 0
		.amdhsa_exception_fp_ieee_div_zero 0
		.amdhsa_exception_fp_ieee_overflow 0
		.amdhsa_exception_fp_ieee_underflow 0
		.amdhsa_exception_fp_ieee_inexact 0
		.amdhsa_exception_int_div_zero 0
	.end_amdhsa_kernel
	.section	.text._ZL26rocblas_syr2k_her2k_kernelIlLb1ELb0ELb0ELi32E19rocblas_complex_numIfEPKS1_PS1_EvbiT_T4_T5_S5_lS7_S5_lT6_S5_li,"axG",@progbits,_ZL26rocblas_syr2k_her2k_kernelIlLb1ELb0ELb0ELi32E19rocblas_complex_numIfEPKS1_PS1_EvbiT_T4_T5_S5_lS7_S5_lT6_S5_li,comdat
.Lfunc_end1856:
	.size	_ZL26rocblas_syr2k_her2k_kernelIlLb1ELb0ELb0ELi32E19rocblas_complex_numIfEPKS1_PS1_EvbiT_T4_T5_S5_lS7_S5_lT6_S5_li, .Lfunc_end1856-_ZL26rocblas_syr2k_her2k_kernelIlLb1ELb0ELb0ELi32E19rocblas_complex_numIfEPKS1_PS1_EvbiT_T4_T5_S5_lS7_S5_lT6_S5_li
                                        ; -- End function
	.set _ZL26rocblas_syr2k_her2k_kernelIlLb1ELb0ELb0ELi32E19rocblas_complex_numIfEPKS1_PS1_EvbiT_T4_T5_S5_lS7_S5_lT6_S5_li.num_vgpr, 40
	.set _ZL26rocblas_syr2k_her2k_kernelIlLb1ELb0ELb0ELi32E19rocblas_complex_numIfEPKS1_PS1_EvbiT_T4_T5_S5_lS7_S5_lT6_S5_li.num_agpr, 0
	.set _ZL26rocblas_syr2k_her2k_kernelIlLb1ELb0ELb0ELi32E19rocblas_complex_numIfEPKS1_PS1_EvbiT_T4_T5_S5_lS7_S5_lT6_S5_li.numbered_sgpr, 32
	.set _ZL26rocblas_syr2k_her2k_kernelIlLb1ELb0ELb0ELi32E19rocblas_complex_numIfEPKS1_PS1_EvbiT_T4_T5_S5_lS7_S5_lT6_S5_li.num_named_barrier, 0
	.set _ZL26rocblas_syr2k_her2k_kernelIlLb1ELb0ELb0ELi32E19rocblas_complex_numIfEPKS1_PS1_EvbiT_T4_T5_S5_lS7_S5_lT6_S5_li.private_seg_size, 0
	.set _ZL26rocblas_syr2k_her2k_kernelIlLb1ELb0ELb0ELi32E19rocblas_complex_numIfEPKS1_PS1_EvbiT_T4_T5_S5_lS7_S5_lT6_S5_li.uses_vcc, 1
	.set _ZL26rocblas_syr2k_her2k_kernelIlLb1ELb0ELb0ELi32E19rocblas_complex_numIfEPKS1_PS1_EvbiT_T4_T5_S5_lS7_S5_lT6_S5_li.uses_flat_scratch, 0
	.set _ZL26rocblas_syr2k_her2k_kernelIlLb1ELb0ELb0ELi32E19rocblas_complex_numIfEPKS1_PS1_EvbiT_T4_T5_S5_lS7_S5_lT6_S5_li.has_dyn_sized_stack, 0
	.set _ZL26rocblas_syr2k_her2k_kernelIlLb1ELb0ELb0ELi32E19rocblas_complex_numIfEPKS1_PS1_EvbiT_T4_T5_S5_lS7_S5_lT6_S5_li.has_recursion, 0
	.set _ZL26rocblas_syr2k_her2k_kernelIlLb1ELb0ELb0ELi32E19rocblas_complex_numIfEPKS1_PS1_EvbiT_T4_T5_S5_lS7_S5_lT6_S5_li.has_indirect_call, 0
	.section	.AMDGPU.csdata,"",@progbits
; Kernel info:
; codeLenInByte = 3500
; TotalNumSgprs: 36
; NumVgprs: 40
; ScratchSize: 0
; MemoryBound: 0
; FloatMode: 240
; IeeeMode: 1
; LDSByteSize: 16384 bytes/workgroup (compile time only)
; SGPRBlocks: 8
; VGPRBlocks: 9
; NumSGPRsForWavesPerEU: 65
; NumVGPRsForWavesPerEU: 40
; Occupancy: 6
; WaveLimiterHint : 0
; COMPUTE_PGM_RSRC2:SCRATCH_EN: 0
; COMPUTE_PGM_RSRC2:USER_SGPR: 6
; COMPUTE_PGM_RSRC2:TRAP_HANDLER: 0
; COMPUTE_PGM_RSRC2:TGID_X_EN: 1
; COMPUTE_PGM_RSRC2:TGID_Y_EN: 1
; COMPUTE_PGM_RSRC2:TGID_Z_EN: 1
; COMPUTE_PGM_RSRC2:TIDIG_COMP_CNT: 1
	.section	.text._ZL26rocblas_syr2k_her2k_kernelIlLb1ELb0ELb1ELi32E19rocblas_complex_numIfEPKS1_PS1_EvbiT_T4_T5_S5_lS7_S5_lT6_S5_li,"axG",@progbits,_ZL26rocblas_syr2k_her2k_kernelIlLb1ELb0ELb1ELi32E19rocblas_complex_numIfEPKS1_PS1_EvbiT_T4_T5_S5_lS7_S5_lT6_S5_li,comdat
	.globl	_ZL26rocblas_syr2k_her2k_kernelIlLb1ELb0ELb1ELi32E19rocblas_complex_numIfEPKS1_PS1_EvbiT_T4_T5_S5_lS7_S5_lT6_S5_li ; -- Begin function _ZL26rocblas_syr2k_her2k_kernelIlLb1ELb0ELb1ELi32E19rocblas_complex_numIfEPKS1_PS1_EvbiT_T4_T5_S5_lS7_S5_lT6_S5_li
	.p2align	8
	.type	_ZL26rocblas_syr2k_her2k_kernelIlLb1ELb0ELb1ELi32E19rocblas_complex_numIfEPKS1_PS1_EvbiT_T4_T5_S5_lS7_S5_lT6_S5_li,@function
_ZL26rocblas_syr2k_her2k_kernelIlLb1ELb0ELb1ELi32E19rocblas_complex_numIfEPKS1_PS1_EvbiT_T4_T5_S5_lS7_S5_lT6_S5_li: ; @_ZL26rocblas_syr2k_her2k_kernelIlLb1ELb0ELb1ELi32E19rocblas_complex_numIfEPKS1_PS1_EvbiT_T4_T5_S5_lS7_S5_lT6_S5_li
; %bb.0:
	s_load_dwordx2 s[10:11], s[4:5], 0x10
	s_waitcnt lgkmcnt(0)
	v_cmp_eq_f32_e64 s[0:1], s10, 0
	v_cmp_eq_f32_e64 s[2:3], s11, 0
	s_and_b64 s[0:1], s[0:1], s[2:3]
	s_and_b64 vcc, exec, s[0:1]
	s_cbranch_vccnz .LBB1857_16
; %bb.1:
	s_load_dwordx4 s[28:31], s[4:5], 0x0
	s_lshl_b32 s3, s7, 5
	s_lshl_b32 s2, s6, 5
	s_waitcnt lgkmcnt(0)
	s_and_b32 s0, 1, s28
	s_cmp_eq_u32 s0, 1
	s_cselect_b64 s[0:1], -1, 0
	s_and_b64 s[6:7], s[0:1], exec
	s_cselect_b32 s6, s2, s3
	s_cselect_b32 s7, s3, s2
	s_cmp_gt_i32 s6, s7
	v_cmp_lt_i64_e64 s[6:7], s[30:31], 1
	s_cselect_b64 s[12:13], -1, 0
	s_or_b64 s[6:7], s[12:13], s[6:7]
	s_and_b64 vcc, exec, s[6:7]
	s_cbranch_vccnz .LBB1857_16
; %bb.2:
	s_load_dwordx2 s[6:7], s[4:5], 0x58
	s_load_dwordx16 s[12:27], s[4:5], 0x18
	v_add_u32_e32 v4, s3, v1
	v_mov_b32_e32 v3, 0
	v_add_u32_e32 v2, s2, v0
	s_waitcnt lgkmcnt(0)
	s_mul_i32 s3, s7, s8
	s_mul_hi_u32 s5, s6, s8
	s_mul_i32 s4, s6, s8
	s_add_i32 s5, s5, s3
	s_lshl_b64 s[4:5], s[4:5], 3
	s_add_u32 s6, s24, s4
	s_addc_u32 s7, s25, s5
	s_ashr_i32 s3, s29, 31
	s_mov_b32 s2, s29
	v_mov_b32_e32 v5, v3
	v_cndmask_b32_e64 v7, v2, v4, s[0:1]
	v_cndmask_b32_e64 v8, v4, v2, s[0:1]
	v_cmp_gt_i64_e64 s[0:1], s[2:3], v[2:3]
	v_cmp_gt_i64_e64 s[2:3], s[2:3], v[4:5]
	v_ashrrev_i32_e32 v5, 31, v4
	v_mul_lo_u32 v10, s26, v5
	v_mul_lo_u32 v11, s27, v4
	v_mad_u64_u32 v[5:6], s[4:5], s26, v4, 0
	v_max_i32_e32 v3, v2, v4
	v_cmp_gt_i32_e32 vcc, s29, v3
	v_add3_u32 v6, v6, v10, v11
	v_lshlrev_b64 v[5:6], 3, v[5:6]
	v_cmp_le_i32_e64 s[4:5], v8, v7
	s_and_b64 s[4:5], s[4:5], vcc
	v_mov_b32_e32 v7, s7
	v_add_co_u32_e32 v10, vcc, s6, v5
	v_addc_co_u32_e32 v11, vcc, v7, v6, vcc
	v_mad_u64_u32 v[7:8], s[6:7], s14, v4, 0
	v_ashrrev_i32_e32 v3, 31, v2
	v_lshlrev_b64 v[5:6], 3, v[2:3]
	v_mov_b32_e32 v3, v8
	v_add_co_u32_e32 v10, vcc, v10, v5
	v_addc_co_u32_e32 v11, vcc, v11, v6, vcc
	v_mad_u64_u32 v[5:6], s[6:7], s15, v4, v[3:4]
	s_mul_i32 s9, s17, s8
	s_mul_hi_u32 s17, s16, s8
	v_mov_b32_e32 v8, v5
	s_add_i32 s7, s17, s9
	s_mul_i32 s6, s16, s8
	v_lshlrev_b64 v[5:6], 3, v[7:8]
	s_lshl_b64 s[6:7], s[6:7], 3
	v_mov_b32_e32 v8, s7
	v_add_co_u32_e32 v3, vcc, s6, v5
	v_addc_co_u32_e32 v5, vcc, v8, v6, vcc
	v_lshlrev_b32_e32 v20, 3, v0
	v_add_co_u32_e32 v3, vcc, v3, v20
	v_addc_co_u32_e32 v7, vcc, 0, v5, vcc
	v_mad_u64_u32 v[5:6], s[16:17], s14, v2, 0
	v_mov_b32_e32 v16, s13
	v_add_co_u32_e32 v17, vcc, s12, v3
	v_mov_b32_e32 v3, v6
	v_addc_co_u32_e32 v18, vcc, v16, v7, vcc
	v_mad_u64_u32 v[6:7], s[14:15], s15, v2, v[3:4]
	v_add_co_u32_e32 v16, vcc, 4, v17
	v_lshlrev_b64 v[5:6], 3, v[5:6]
	v_addc_co_u32_e32 v17, vcc, 0, v18, vcc
	v_add_co_u32_e32 v3, vcc, s6, v5
	v_lshlrev_b32_e32 v9, 3, v1
	v_addc_co_u32_e32 v5, vcc, v8, v6, vcc
	v_add_co_u32_e32 v3, vcc, v3, v9
	v_addc_co_u32_e32 v7, vcc, 0, v5, vcc
	v_mad_u64_u32 v[5:6], s[6:7], s20, v4, 0
	v_add_co_u32_e32 v18, vcc, s12, v3
	v_mov_b32_e32 v3, v6
	v_mad_u64_u32 v[3:4], s[6:7], s21, v4, v[3:4]
	s_mul_i32 s9, s23, s8
	s_mul_hi_u32 s12, s22, s8
	v_mov_b32_e32 v6, v3
	v_mov_b32_e32 v8, s13
	s_add_i32 s7, s12, s9
	s_mul_i32 s6, s22, s8
	v_lshlrev_b64 v[3:4], 3, v[5:6]
	v_addc_co_u32_e32 v19, vcc, v8, v7, vcc
	s_lshl_b64 s[6:7], s[6:7], 3
	v_mov_b32_e32 v6, s7
	v_add_co_u32_e32 v3, vcc, s6, v3
	v_addc_co_u32_e32 v4, vcc, v6, v4, vcc
	v_add_co_u32_e32 v5, vcc, v3, v20
	v_addc_co_u32_e32 v7, vcc, 0, v4, vcc
	v_mad_u64_u32 v[3:4], s[8:9], s20, v2, 0
	v_add_co_u32_e32 v20, vcc, s18, v5
	v_mad_u64_u32 v[4:5], s[8:9], s21, v2, v[4:5]
	v_mov_b32_e32 v8, s19
	v_addc_co_u32_e32 v7, vcc, v8, v7, vcc
	v_add_co_u32_e32 v20, vcc, 4, v20
	v_lshlrev_b64 v[2:3], 3, v[3:4]
	v_addc_co_u32_e32 v21, vcc, 0, v7, vcc
	v_add_co_u32_e32 v2, vcc, s6, v2
	v_addc_co_u32_e32 v3, vcc, v6, v3, vcc
	v_add_co_u32_e32 v2, vcc, v2, v9
	v_addc_co_u32_e32 v3, vcc, 0, v3, vcc
	v_mov_b32_e32 v4, s19
	v_add_co_u32_e32 v2, vcc, s18, v2
	v_addc_co_u32_e32 v3, vcc, v4, v3, vcc
	v_lshlrev_b32_e32 v12, 8, v0
	v_or_b32_e32 v14, 0x2000, v9
	v_add_co_u32_e32 v22, vcc, 4, v2
	v_add_u32_e32 v13, v12, v9
	v_add_u32_e32 v15, v14, v12
	v_addc_co_u32_e32 v23, vcc, 0, v3, vcc
	s_mov_b64 s[6:7], 0
	s_mov_b64 s[8:9], 0
	s_branch .LBB1857_4
.LBB1857_3:                             ;   in Loop: Header=BB1857_4 Depth=1
	s_or_b64 exec, exec, s[12:13]
	s_add_u32 s8, s8, 32
	v_mov_b32_e32 v2, s30
	s_addc_u32 s9, s9, 0
	v_mov_b32_e32 v3, s31
	v_cmp_lt_i64_e32 vcc, s[8:9], v[2:3]
	s_add_u32 s6, s6, 0x100
	s_addc_u32 s7, s7, 0
	s_waitcnt vmcnt(0)
	s_barrier
	s_cbranch_vccz .LBB1857_16
.LBB1857_4:                             ; =>This Inner Loop Header: Depth=1
	v_mov_b32_e32 v3, s9
	v_add_co_u32_e32 v2, vcc, s8, v1
	v_addc_co_u32_e32 v3, vcc, 0, v3, vcc
	v_cmp_gt_i64_e32 vcc, s[30:31], v[2:3]
	v_mov_b32_e32 v2, 0
	s_and_b64 s[12:13], s[0:1], vcc
	v_mov_b32_e32 v3, 0
	s_and_saveexec_b64 s[14:15], s[12:13]
	s_cbranch_execz .LBB1857_6
; %bb.5:                                ;   in Loop: Header=BB1857_4 Depth=1
	v_mov_b32_e32 v3, s7
	v_add_co_u32_e32 v2, vcc, s6, v18
	v_addc_co_u32_e32 v3, vcc, v19, v3, vcc
	global_load_dwordx2 v[2:3], v[2:3], off
.LBB1857_6:                             ;   in Loop: Header=BB1857_4 Depth=1
	s_or_b64 exec, exec, s[14:15]
	v_mov_b32_e32 v5, s9
	v_add_co_u32_e32 v4, vcc, s8, v0
	v_addc_co_u32_e32 v5, vcc, 0, v5, vcc
	v_cmp_gt_i64_e32 vcc, s[30:31], v[4:5]
	s_waitcnt vmcnt(0)
	ds_write_b64 v13, v[2:3]
	s_and_b64 s[14:15], s[2:3], vcc
	v_mov_b32_e32 v2, 0
	v_mov_b32_e32 v3, 0
	s_and_saveexec_b64 s[16:17], s[14:15]
	s_cbranch_execz .LBB1857_8
; %bb.7:                                ;   in Loop: Header=BB1857_4 Depth=1
	v_mov_b32_e32 v3, s7
	v_add_co_u32_e32 v2, vcc, s6, v20
	v_addc_co_u32_e32 v3, vcc, v21, v3, vcc
	global_load_dwordx2 v[2:3], v[2:3], off offset:-4
.LBB1857_8:                             ;   in Loop: Header=BB1857_4 Depth=1
	s_or_b64 exec, exec, s[16:17]
	v_add_u32_e32 v26, 0x800, v14
	v_add_u32_e32 v25, 0x1000, v14
	;; [unrolled: 1-line block ×3, first 2 shown]
	s_waitcnt vmcnt(0)
	ds_write_b64 v15, v[2:3]
	s_waitcnt lgkmcnt(0)
	s_barrier
	s_and_saveexec_b64 s[16:17], s[4:5]
	s_cbranch_execz .LBB1857_10
; %bb.9:                                ;   in Loop: Header=BB1857_4 Depth=1
	ds_read2_b64 v[2:5], v14 offset1:32
	ds_read_b128 v[6:9], v12
	ds_read_b128 v[27:30], v12 offset:16
	s_waitcnt lgkmcnt(1)
	v_mul_f32_e32 v31, v3, v7
	v_fma_f32 v36, v2, v6, -v31
	ds_read2_b64 v[31:34], v14 offset0:64 offset1:96
	v_mul_f32_e32 v35, v2, v7
	v_mul_f32_e32 v2, v5, v9
	v_fma_f32 v37, v4, v8, -v2
	v_fmac_f32_e32 v35, v3, v6
	s_waitcnt lgkmcnt(0)
	v_mul_f32_e32 v2, v32, v28
	v_mul_f32_e32 v38, v4, v9
	v_fma_f32 v39, v31, v27, -v2
	v_mul_f32_e32 v31, v31, v28
	v_mul_f32_e32 v2, v34, v30
	v_fmac_f32_e32 v38, v5, v8
	v_fmac_f32_e32 v31, v32, v27
	v_fma_f32 v32, v33, v29, -v2
	v_mul_f32_e32 v33, v33, v30
	v_add_f32_e32 v27, 0, v36
	v_add_f32_e32 v28, 0, v35
	v_fmac_f32_e32 v33, v34, v29
	ds_read_b128 v[2:5], v12 offset:32
	ds_read_b128 v[6:9], v12 offset:48
	v_add_f32_e32 v34, v27, v37
	v_add_f32_e32 v35, v28, v38
	ds_read2_b64 v[27:30], v14 offset0:128 offset1:160
	v_add_f32_e32 v31, v35, v31
	v_add_f32_e32 v34, v34, v39
	;; [unrolled: 1-line block ×4, first 2 shown]
	s_waitcnt lgkmcnt(0)
	v_mul_f32_e32 v33, v28, v3
	v_mul_f32_e32 v3, v27, v3
	v_fma_f32 v33, v27, v2, -v33
	v_fmac_f32_e32 v3, v28, v2
	v_add_f32_e32 v2, v32, v33
	v_add_f32_e32 v3, v31, v3
	ds_read2_b64 v[31:34], v14 offset0:192 offset1:224
	v_mul_f32_e32 v27, v30, v5
	v_mul_f32_e32 v5, v29, v5
	v_fma_f32 v27, v29, v4, -v27
	v_fmac_f32_e32 v5, v30, v4
	s_waitcnt lgkmcnt(0)
	v_mul_f32_e32 v4, v32, v7
	v_add_f32_e32 v2, v2, v27
	v_add_f32_e32 v3, v3, v5
	v_fma_f32 v4, v31, v6, -v4
	v_mul_f32_e32 v5, v31, v7
	v_fmac_f32_e32 v5, v32, v6
	v_add_f32_e32 v6, v2, v4
	v_mul_f32_e32 v2, v34, v9
	v_add_f32_e32 v7, v3, v5
	v_fma_f32 v31, v33, v8, -v2
	ds_read_b128 v[2:5], v12 offset:64
	ds_read2_b64 v[27:30], v26 offset1:32
	v_mul_f32_e32 v9, v33, v9
	v_fmac_f32_e32 v9, v34, v8
	v_add_f32_e32 v31, v6, v31
	v_add_f32_e32 v32, v7, v9
	s_waitcnt lgkmcnt(0)
	v_mul_f32_e32 v33, v28, v3
	v_mul_f32_e32 v3, v27, v3
	v_fma_f32 v33, v27, v2, -v33
	v_fmac_f32_e32 v3, v28, v2
	ds_read_b128 v[6:9], v12 offset:80
	v_add_f32_e32 v2, v31, v33
	v_add_f32_e32 v3, v32, v3
	ds_read2_b64 v[31:34], v26 offset0:64 offset1:96
	v_mul_f32_e32 v27, v30, v5
	v_mul_f32_e32 v5, v29, v5
	v_fma_f32 v27, v29, v4, -v27
	v_fmac_f32_e32 v5, v30, v4
	s_waitcnt lgkmcnt(0)
	v_mul_f32_e32 v4, v32, v7
	v_add_f32_e32 v2, v2, v27
	v_add_f32_e32 v3, v3, v5
	v_fma_f32 v4, v31, v6, -v4
	v_mul_f32_e32 v5, v31, v7
	v_fmac_f32_e32 v5, v32, v6
	v_add_f32_e32 v6, v2, v4
	v_mul_f32_e32 v2, v34, v9
	v_add_f32_e32 v7, v3, v5
	v_fma_f32 v31, v33, v8, -v2
	ds_read_b128 v[2:5], v12 offset:96
	ds_read2_b64 v[27:30], v26 offset0:128 offset1:160
	v_mul_f32_e32 v9, v33, v9
	v_fmac_f32_e32 v9, v34, v8
	v_add_f32_e32 v31, v6, v31
	v_add_f32_e32 v32, v7, v9
	s_waitcnt lgkmcnt(0)
	v_mul_f32_e32 v33, v28, v3
	v_mul_f32_e32 v3, v27, v3
	v_fma_f32 v33, v27, v2, -v33
	v_fmac_f32_e32 v3, v28, v2
	ds_read_b128 v[6:9], v12 offset:112
	v_add_f32_e32 v2, v31, v33
	v_add_f32_e32 v3, v32, v3
	ds_read2_b64 v[31:34], v26 offset0:192 offset1:224
	v_mul_f32_e32 v27, v30, v5
	v_mul_f32_e32 v5, v29, v5
	v_fma_f32 v27, v29, v4, -v27
	v_fmac_f32_e32 v5, v30, v4
	s_waitcnt lgkmcnt(0)
	v_mul_f32_e32 v4, v32, v7
	v_add_f32_e32 v2, v2, v27
	v_add_f32_e32 v3, v3, v5
	v_fma_f32 v4, v31, v6, -v4
	v_mul_f32_e32 v5, v31, v7
	v_fmac_f32_e32 v5, v32, v6
	v_add_f32_e32 v6, v2, v4
	v_mul_f32_e32 v2, v34, v9
	v_add_f32_e32 v7, v3, v5
	v_fma_f32 v31, v33, v8, -v2
	ds_read_b128 v[2:5], v12 offset:128
	ds_read2_b64 v[27:30], v25 offset1:32
	v_mul_f32_e32 v9, v33, v9
	v_fmac_f32_e32 v9, v34, v8
	v_add_f32_e32 v6, v6, v31
	ds_read_b128 v[31:34], v12 offset:144
	ds_read2_b64 v[35:38], v25 offset0:64 offset1:96
	s_waitcnt lgkmcnt(2)
	v_mul_f32_e32 v8, v28, v3
	v_fma_f32 v8, v27, v2, -v8
	v_mul_f32_e32 v3, v27, v3
	v_add_f32_e32 v7, v7, v9
	v_fmac_f32_e32 v3, v28, v2
	v_add_f32_e32 v2, v6, v8
	v_mul_f32_e32 v6, v30, v5
	v_mul_f32_e32 v5, v29, v5
	v_add_f32_e32 v3, v7, v3
	v_fma_f32 v6, v29, v4, -v6
	v_fmac_f32_e32 v5, v30, v4
	s_waitcnt lgkmcnt(0)
	v_mul_f32_e32 v4, v36, v32
	v_add_f32_e32 v2, v2, v6
	v_add_f32_e32 v3, v3, v5
	v_fma_f32 v4, v35, v31, -v4
	v_mul_f32_e32 v5, v35, v32
	v_fmac_f32_e32 v5, v36, v31
	v_add_f32_e32 v27, v2, v4
	v_mul_f32_e32 v2, v38, v34
	v_add_f32_e32 v28, v3, v5
	v_fma_f32 v29, v37, v33, -v2
	ds_read_b128 v[2:5], v12 offset:160
	ds_read2_b64 v[6:9], v25 offset0:128 offset1:160
	v_mul_f32_e32 v30, v37, v34
	v_fmac_f32_e32 v30, v38, v33
	v_add_f32_e32 v33, v27, v29
	v_add_f32_e32 v34, v28, v30
	s_waitcnt lgkmcnt(0)
	v_mul_f32_e32 v31, v7, v3
	v_fma_f32 v35, v6, v2, -v31
	global_load_dwordx2 v[31:32], v[10:11], off
	v_mul_f32_e32 v6, v6, v3
	v_fmac_f32_e32 v6, v7, v2
	v_mul_f32_e32 v2, v9, v5
	v_fma_f32 v7, v8, v4, -v2
	v_mul_f32_e32 v8, v8, v5
	ds_read_b128 v[27:30], v12 offset:176
	v_fmac_f32_e32 v8, v9, v4
	ds_read2_b64 v[2:5], v25 offset0:192 offset1:224
	v_add_f32_e32 v6, v34, v6
	v_add_f32_e32 v9, v33, v35
	;; [unrolled: 1-line block ×4, first 2 shown]
	s_waitcnt lgkmcnt(0)
	v_mul_f32_e32 v6, v3, v28
	v_fma_f32 v6, v2, v27, -v6
	v_mul_f32_e32 v28, v2, v28
	v_mul_f32_e32 v2, v5, v30
	;; [unrolled: 1-line block ×3, first 2 shown]
	v_fmac_f32_e32 v28, v3, v27
	v_add_f32_e32 v27, v7, v6
	v_fma_f32 v34, v4, v29, -v2
	v_fmac_f32_e32 v30, v5, v29
	ds_read_b128 v[2:5], v12 offset:192
	ds_read2_b64 v[6:9], v24 offset1:32
	v_add_f32_e32 v28, v33, v28
	v_add_f32_e32 v33, v27, v34
	;; [unrolled: 1-line block ×3, first 2 shown]
	ds_read_b128 v[27:30], v12 offset:208
	s_waitcnt lgkmcnt(1)
	v_mul_f32_e32 v35, v7, v3
	v_fma_f32 v35, v6, v2, -v35
	v_mul_f32_e32 v6, v6, v3
	v_fmac_f32_e32 v6, v7, v2
	v_mul_f32_e32 v2, v9, v5
	v_fma_f32 v7, v8, v4, -v2
	v_mul_f32_e32 v8, v8, v5
	v_fmac_f32_e32 v8, v9, v4
	ds_read2_b64 v[2:5], v24 offset0:64 offset1:96
	v_add_f32_e32 v6, v34, v6
	v_add_f32_e32 v9, v33, v35
	v_add_f32_e32 v33, v6, v8
	v_add_f32_e32 v7, v9, v7
	s_waitcnt lgkmcnt(0)
	v_mul_f32_e32 v6, v3, v28
	v_fma_f32 v6, v2, v27, -v6
	v_mul_f32_e32 v28, v2, v28
	v_mul_f32_e32 v2, v5, v30
	;; [unrolled: 1-line block ×3, first 2 shown]
	v_fmac_f32_e32 v28, v3, v27
	v_add_f32_e32 v27, v7, v6
	v_fma_f32 v34, v4, v29, -v2
	v_fmac_f32_e32 v30, v5, v29
	ds_read_b128 v[2:5], v12 offset:224
	ds_read2_b64 v[6:9], v24 offset0:128 offset1:160
	v_add_f32_e32 v28, v33, v28
	v_add_f32_e32 v33, v27, v34
	;; [unrolled: 1-line block ×3, first 2 shown]
	ds_read_b128 v[27:30], v12 offset:240
	s_waitcnt lgkmcnt(1)
	v_mul_f32_e32 v35, v7, v3
	v_fma_f32 v35, v6, v2, -v35
	v_mul_f32_e32 v6, v6, v3
	v_fmac_f32_e32 v6, v7, v2
	v_mul_f32_e32 v2, v9, v5
	v_fma_f32 v7, v8, v4, -v2
	v_mul_f32_e32 v8, v8, v5
	v_fmac_f32_e32 v8, v9, v4
	ds_read2_b64 v[2:5], v24 offset0:192 offset1:224
	v_add_f32_e32 v6, v34, v6
	v_add_f32_e32 v6, v6, v8
	;; [unrolled: 1-line block ×4, first 2 shown]
	s_waitcnt lgkmcnt(0)
	v_mul_f32_e32 v8, v3, v28
	v_fma_f32 v8, v2, v27, -v8
	v_mul_f32_e32 v2, v2, v28
	v_fmac_f32_e32 v2, v3, v27
	v_add_f32_e32 v2, v6, v2
	v_mul_f32_e32 v6, v5, v30
	v_fma_f32 v6, v4, v29, -v6
	v_mul_f32_e32 v4, v4, v30
	v_fmac_f32_e32 v4, v5, v29
	v_add_f32_e32 v3, v7, v8
	v_add_f32_e32 v2, v2, v4
	;; [unrolled: 1-line block ×3, first 2 shown]
	v_mul_f32_e32 v4, s11, v2
	v_mul_f32_e32 v5, s10, v2
	v_fma_f32 v4, s10, v3, -v4
	v_fmac_f32_e32 v5, s11, v3
	s_waitcnt vmcnt(0)
	v_add_f32_e32 v2, v31, v4
	v_add_f32_e32 v3, v32, v5
	global_store_dwordx2 v[10:11], v[2:3], off
.LBB1857_10:                            ;   in Loop: Header=BB1857_4 Depth=1
	s_or_b64 exec, exec, s[16:17]
	v_mov_b32_e32 v3, 0
	v_mov_b32_e32 v5, 0
	;; [unrolled: 1-line block ×3, first 2 shown]
	s_waitcnt vmcnt(0)
	s_barrier
	s_and_saveexec_b64 s[16:17], s[12:13]
	s_cbranch_execz .LBB1857_12
; %bb.11:                               ;   in Loop: Header=BB1857_4 Depth=1
	v_mov_b32_e32 v2, s7
	v_add_co_u32_e32 v4, vcc, s6, v22
	v_addc_co_u32_e32 v5, vcc, v23, v2, vcc
	global_load_dwordx2 v[4:5], v[4:5], off offset:-4
.LBB1857_12:                            ;   in Loop: Header=BB1857_4 Depth=1
	s_or_b64 exec, exec, s[16:17]
	v_mov_b32_e32 v2, 0
	s_waitcnt vmcnt(0)
	ds_write_b64 v13, v[4:5]
	s_and_saveexec_b64 s[12:13], s[14:15]
	s_cbranch_execz .LBB1857_14
; %bb.13:                               ;   in Loop: Header=BB1857_4 Depth=1
	v_mov_b32_e32 v3, s7
	v_add_co_u32_e32 v2, vcc, s6, v16
	v_addc_co_u32_e32 v3, vcc, v17, v3, vcc
	global_load_dwordx2 v[2:3], v[2:3], off offset:-4
.LBB1857_14:                            ;   in Loop: Header=BB1857_4 Depth=1
	s_or_b64 exec, exec, s[12:13]
	s_waitcnt vmcnt(0)
	ds_write_b64 v15, v[2:3]
	s_waitcnt lgkmcnt(0)
	s_barrier
	s_and_saveexec_b64 s[12:13], s[4:5]
	s_cbranch_execz .LBB1857_3
; %bb.15:                               ;   in Loop: Header=BB1857_4 Depth=1
	ds_read2_b64 v[2:5], v14 offset1:32
	ds_read_b128 v[6:9], v12
	ds_read_b128 v[27:30], v12 offset:16
	s_waitcnt lgkmcnt(1)
	v_mul_f32_e32 v31, v3, v7
	v_mul_f32_e32 v35, v2, v7
	v_fma_f32 v36, v2, v6, -v31
	v_mul_f32_e32 v2, v5, v9
	v_mul_f32_e32 v38, v4, v9
	v_fmac_f32_e32 v35, v3, v6
	v_fma_f32 v37, v4, v8, -v2
	v_fmac_f32_e32 v38, v5, v8
	ds_read_b128 v[2:5], v12 offset:32
	ds_read_b128 v[6:9], v12 offset:48
	ds_read2_b64 v[31:34], v14 offset0:64 offset1:96
	v_add_f32_e32 v36, 0, v36
	v_add_f32_e32 v36, v36, v37
	;; [unrolled: 1-line block ×4, first 2 shown]
	s_waitcnt lgkmcnt(0)
	v_mul_f32_e32 v37, v32, v28
	v_fma_f32 v37, v31, v27, -v37
	v_mul_f32_e32 v31, v31, v28
	v_fmac_f32_e32 v31, v32, v27
	v_mul_f32_e32 v27, v34, v30
	v_fma_f32 v32, v33, v29, -v27
	v_mul_f32_e32 v33, v33, v30
	v_fmac_f32_e32 v33, v34, v29
	ds_read2_b64 v[27:30], v14 offset0:128 offset1:160
	v_add_f32_e32 v31, v35, v31
	v_add_f32_e32 v34, v36, v37
	;; [unrolled: 1-line block ×4, first 2 shown]
	s_waitcnt lgkmcnt(0)
	v_mul_f32_e32 v33, v28, v3
	v_mul_f32_e32 v3, v27, v3
	v_fma_f32 v33, v27, v2, -v33
	v_fmac_f32_e32 v3, v28, v2
	v_add_f32_e32 v2, v32, v33
	v_add_f32_e32 v3, v31, v3
	ds_read2_b64 v[31:34], v14 offset0:192 offset1:224
	v_mul_f32_e32 v27, v30, v5
	v_mul_f32_e32 v5, v29, v5
	v_fma_f32 v27, v29, v4, -v27
	v_fmac_f32_e32 v5, v30, v4
	s_waitcnt lgkmcnt(0)
	v_mul_f32_e32 v4, v32, v7
	v_add_f32_e32 v2, v2, v27
	v_add_f32_e32 v3, v3, v5
	v_fma_f32 v4, v31, v6, -v4
	v_mul_f32_e32 v5, v31, v7
	v_fmac_f32_e32 v5, v32, v6
	v_add_f32_e32 v6, v2, v4
	v_mul_f32_e32 v2, v34, v9
	v_add_f32_e32 v7, v3, v5
	v_fma_f32 v31, v33, v8, -v2
	ds_read_b128 v[2:5], v12 offset:64
	ds_read2_b64 v[27:30], v26 offset1:32
	v_mul_f32_e32 v9, v33, v9
	v_fmac_f32_e32 v9, v34, v8
	v_add_f32_e32 v31, v6, v31
	v_add_f32_e32 v32, v7, v9
	s_waitcnt lgkmcnt(0)
	v_mul_f32_e32 v33, v28, v3
	v_mul_f32_e32 v3, v27, v3
	v_fma_f32 v33, v27, v2, -v33
	v_fmac_f32_e32 v3, v28, v2
	ds_read_b128 v[6:9], v12 offset:80
	v_add_f32_e32 v2, v31, v33
	v_add_f32_e32 v3, v32, v3
	ds_read2_b64 v[31:34], v26 offset0:64 offset1:96
	v_mul_f32_e32 v27, v30, v5
	v_mul_f32_e32 v5, v29, v5
	v_fma_f32 v27, v29, v4, -v27
	v_fmac_f32_e32 v5, v30, v4
	s_waitcnt lgkmcnt(0)
	v_mul_f32_e32 v4, v32, v7
	v_add_f32_e32 v2, v2, v27
	v_add_f32_e32 v3, v3, v5
	v_fma_f32 v4, v31, v6, -v4
	v_mul_f32_e32 v5, v31, v7
	v_fmac_f32_e32 v5, v32, v6
	v_add_f32_e32 v6, v2, v4
	v_mul_f32_e32 v2, v34, v9
	v_add_f32_e32 v7, v3, v5
	v_fma_f32 v31, v33, v8, -v2
	ds_read_b128 v[2:5], v12 offset:96
	ds_read2_b64 v[27:30], v26 offset0:128 offset1:160
	v_mul_f32_e32 v9, v33, v9
	v_fmac_f32_e32 v9, v34, v8
	v_add_f32_e32 v31, v6, v31
	v_add_f32_e32 v32, v7, v9
	s_waitcnt lgkmcnt(0)
	v_mul_f32_e32 v33, v28, v3
	v_mul_f32_e32 v3, v27, v3
	v_fma_f32 v33, v27, v2, -v33
	v_fmac_f32_e32 v3, v28, v2
	ds_read_b128 v[6:9], v12 offset:112
	v_add_f32_e32 v2, v31, v33
	v_add_f32_e32 v3, v32, v3
	ds_read2_b64 v[31:34], v26 offset0:192 offset1:224
	v_mul_f32_e32 v27, v30, v5
	v_mul_f32_e32 v5, v29, v5
	v_fma_f32 v27, v29, v4, -v27
	v_fmac_f32_e32 v5, v30, v4
	s_waitcnt lgkmcnt(0)
	v_mul_f32_e32 v4, v32, v7
	v_add_f32_e32 v2, v2, v27
	v_add_f32_e32 v3, v3, v5
	v_fma_f32 v4, v31, v6, -v4
	v_mul_f32_e32 v5, v31, v7
	v_fmac_f32_e32 v5, v32, v6
	v_add_f32_e32 v6, v2, v4
	v_mul_f32_e32 v2, v34, v9
	v_add_f32_e32 v7, v3, v5
	v_fma_f32 v30, v33, v8, -v2
	ds_read_b128 v[2:5], v12 offset:128
	ds_read2_b64 v[26:29], v25 offset1:32
	v_mul_f32_e32 v9, v33, v9
	v_fmac_f32_e32 v9, v34, v8
	v_add_f32_e32 v6, v6, v30
	ds_read_b128 v[30:33], v12 offset:144
	ds_read2_b64 v[34:37], v25 offset0:64 offset1:96
	s_waitcnt lgkmcnt(2)
	v_mul_f32_e32 v8, v27, v3
	v_fma_f32 v8, v26, v2, -v8
	v_mul_f32_e32 v3, v26, v3
	v_add_f32_e32 v7, v7, v9
	v_fmac_f32_e32 v3, v27, v2
	v_add_f32_e32 v2, v6, v8
	v_mul_f32_e32 v6, v29, v5
	v_mul_f32_e32 v5, v28, v5
	v_add_f32_e32 v3, v7, v3
	v_fma_f32 v6, v28, v4, -v6
	v_fmac_f32_e32 v5, v29, v4
	s_waitcnt lgkmcnt(0)
	v_mul_f32_e32 v4, v35, v31
	v_add_f32_e32 v2, v2, v6
	v_add_f32_e32 v3, v3, v5
	v_fma_f32 v4, v34, v30, -v4
	v_mul_f32_e32 v5, v34, v31
	v_fmac_f32_e32 v5, v35, v30
	v_add_f32_e32 v26, v2, v4
	v_mul_f32_e32 v2, v37, v33
	v_add_f32_e32 v27, v3, v5
	v_fma_f32 v28, v36, v32, -v2
	ds_read_b128 v[2:5], v12 offset:160
	ds_read2_b64 v[6:9], v25 offset0:128 offset1:160
	global_load_dwordx2 v[34:35], v[10:11], off
	v_mul_f32_e32 v29, v36, v33
	v_fmac_f32_e32 v29, v37, v32
	v_add_f32_e32 v30, v26, v28
	s_waitcnt lgkmcnt(0)
	v_mul_f32_e32 v32, v7, v3
	v_mul_f32_e32 v3, v6, v3
	v_add_f32_e32 v31, v27, v29
	v_fma_f32 v32, v6, v2, -v32
	v_fmac_f32_e32 v3, v7, v2
	ds_read_b128 v[26:29], v12 offset:176
	v_add_f32_e32 v2, v30, v32
	v_add_f32_e32 v3, v31, v3
	ds_read2_b64 v[30:33], v25 offset0:192 offset1:224
	v_mul_f32_e32 v6, v9, v5
	v_mul_f32_e32 v5, v8, v5
	v_fma_f32 v6, v8, v4, -v6
	v_fmac_f32_e32 v5, v9, v4
	s_waitcnt lgkmcnt(0)
	v_mul_f32_e32 v4, v31, v27
	v_add_f32_e32 v2, v2, v6
	v_add_f32_e32 v3, v3, v5
	v_fma_f32 v4, v30, v26, -v4
	v_mul_f32_e32 v5, v30, v27
	v_fmac_f32_e32 v5, v31, v26
	v_add_f32_e32 v25, v2, v4
	v_mul_f32_e32 v2, v33, v29
	v_add_f32_e32 v26, v3, v5
	v_fma_f32 v27, v32, v28, -v2
	ds_read_b128 v[2:5], v12 offset:192
	ds_read2_b64 v[6:9], v24 offset1:32
	v_mul_f32_e32 v29, v32, v29
	v_fmac_f32_e32 v29, v33, v28
	v_add_f32_e32 v30, v25, v27
	v_add_f32_e32 v29, v26, v29
	s_waitcnt lgkmcnt(0)
	v_mul_f32_e32 v31, v7, v3
	v_mul_f32_e32 v3, v6, v3
	v_fma_f32 v31, v6, v2, -v31
	v_fmac_f32_e32 v3, v7, v2
	ds_read_b128 v[25:28], v12 offset:208
	v_add_f32_e32 v2, v30, v31
	v_add_f32_e32 v3, v29, v3
	ds_read2_b64 v[29:32], v24 offset0:64 offset1:96
	v_mul_f32_e32 v6, v9, v5
	v_mul_f32_e32 v5, v8, v5
	v_fma_f32 v6, v8, v4, -v6
	v_fmac_f32_e32 v5, v9, v4
	s_waitcnt lgkmcnt(0)
	v_mul_f32_e32 v4, v30, v26
	v_add_f32_e32 v2, v2, v6
	v_add_f32_e32 v3, v3, v5
	v_fma_f32 v4, v29, v25, -v4
	v_mul_f32_e32 v5, v29, v26
	v_fmac_f32_e32 v5, v30, v25
	v_add_f32_e32 v25, v2, v4
	v_mul_f32_e32 v2, v32, v28
	v_add_f32_e32 v26, v3, v5
	v_fma_f32 v29, v31, v27, -v2
	ds_read_b128 v[2:5], v12 offset:224
	ds_read2_b64 v[6:9], v24 offset0:128 offset1:160
	v_mul_f32_e32 v28, v31, v28
	v_fmac_f32_e32 v28, v32, v27
	v_add_f32_e32 v29, v25, v29
	v_add_f32_e32 v30, v26, v28
	s_waitcnt lgkmcnt(0)
	v_mul_f32_e32 v31, v7, v3
	v_mul_f32_e32 v3, v6, v3
	v_fma_f32 v31, v6, v2, -v31
	v_fmac_f32_e32 v3, v7, v2
	ds_read_b128 v[25:28], v12 offset:240
	v_add_f32_e32 v2, v29, v31
	v_add_f32_e32 v3, v30, v3
	ds_read2_b64 v[29:32], v24 offset0:192 offset1:224
	v_mul_f32_e32 v6, v9, v5
	v_mul_f32_e32 v5, v8, v5
	v_fmac_f32_e32 v5, v9, v4
	v_fma_f32 v6, v8, v4, -v6
	v_add_f32_e32 v3, v3, v5
	s_waitcnt lgkmcnt(0)
	v_mul_f32_e32 v4, v30, v26
	v_mul_f32_e32 v5, v29, v26
	v_add_f32_e32 v2, v2, v6
	v_fma_f32 v4, v29, v25, -v4
	v_fmac_f32_e32 v5, v30, v25
	v_add_f32_e32 v2, v2, v4
	v_add_f32_e32 v3, v3, v5
	v_mul_f32_e32 v4, v32, v28
	v_mul_f32_e32 v5, v31, v28
	v_fma_f32 v4, v31, v27, -v4
	v_fmac_f32_e32 v5, v32, v27
	v_add_f32_e32 v2, v2, v4
	v_add_f32_e32 v3, v3, v5
	v_mul_f32_e32 v4, s11, v3
	v_mul_f32_e32 v5, s11, v2
	v_fma_f32 v4, s10, v2, -v4
	v_fmac_f32_e32 v5, s10, v3
	s_waitcnt vmcnt(0)
	v_add_f32_e32 v2, v34, v4
	v_add_f32_e32 v3, v35, v5
	global_store_dwordx2 v[10:11], v[2:3], off
	s_branch .LBB1857_3
.LBB1857_16:
	s_endpgm
	.section	.rodata,"a",@progbits
	.p2align	6, 0x0
	.amdhsa_kernel _ZL26rocblas_syr2k_her2k_kernelIlLb1ELb0ELb1ELi32E19rocblas_complex_numIfEPKS1_PS1_EvbiT_T4_T5_S5_lS7_S5_lT6_S5_li
		.amdhsa_group_segment_fixed_size 16384
		.amdhsa_private_segment_fixed_size 0
		.amdhsa_kernarg_size 100
		.amdhsa_user_sgpr_count 6
		.amdhsa_user_sgpr_private_segment_buffer 1
		.amdhsa_user_sgpr_dispatch_ptr 0
		.amdhsa_user_sgpr_queue_ptr 0
		.amdhsa_user_sgpr_kernarg_segment_ptr 1
		.amdhsa_user_sgpr_dispatch_id 0
		.amdhsa_user_sgpr_flat_scratch_init 0
		.amdhsa_user_sgpr_private_segment_size 0
		.amdhsa_uses_dynamic_stack 0
		.amdhsa_system_sgpr_private_segment_wavefront_offset 0
		.amdhsa_system_sgpr_workgroup_id_x 1
		.amdhsa_system_sgpr_workgroup_id_y 1
		.amdhsa_system_sgpr_workgroup_id_z 1
		.amdhsa_system_sgpr_workgroup_info 0
		.amdhsa_system_vgpr_workitem_id 1
		.amdhsa_next_free_vgpr 40
		.amdhsa_next_free_sgpr 61
		.amdhsa_reserve_vcc 1
		.amdhsa_reserve_flat_scratch 0
		.amdhsa_float_round_mode_32 0
		.amdhsa_float_round_mode_16_64 0
		.amdhsa_float_denorm_mode_32 3
		.amdhsa_float_denorm_mode_16_64 3
		.amdhsa_dx10_clamp 1
		.amdhsa_ieee_mode 1
		.amdhsa_fp16_overflow 0
		.amdhsa_exception_fp_ieee_invalid_op 0
		.amdhsa_exception_fp_denorm_src 0
		.amdhsa_exception_fp_ieee_div_zero 0
		.amdhsa_exception_fp_ieee_overflow 0
		.amdhsa_exception_fp_ieee_underflow 0
		.amdhsa_exception_fp_ieee_inexact 0
		.amdhsa_exception_int_div_zero 0
	.end_amdhsa_kernel
	.section	.text._ZL26rocblas_syr2k_her2k_kernelIlLb1ELb0ELb1ELi32E19rocblas_complex_numIfEPKS1_PS1_EvbiT_T4_T5_S5_lS7_S5_lT6_S5_li,"axG",@progbits,_ZL26rocblas_syr2k_her2k_kernelIlLb1ELb0ELb1ELi32E19rocblas_complex_numIfEPKS1_PS1_EvbiT_T4_T5_S5_lS7_S5_lT6_S5_li,comdat
.Lfunc_end1857:
	.size	_ZL26rocblas_syr2k_her2k_kernelIlLb1ELb0ELb1ELi32E19rocblas_complex_numIfEPKS1_PS1_EvbiT_T4_T5_S5_lS7_S5_lT6_S5_li, .Lfunc_end1857-_ZL26rocblas_syr2k_her2k_kernelIlLb1ELb0ELb1ELi32E19rocblas_complex_numIfEPKS1_PS1_EvbiT_T4_T5_S5_lS7_S5_lT6_S5_li
                                        ; -- End function
	.set _ZL26rocblas_syr2k_her2k_kernelIlLb1ELb0ELb1ELi32E19rocblas_complex_numIfEPKS1_PS1_EvbiT_T4_T5_S5_lS7_S5_lT6_S5_li.num_vgpr, 40
	.set _ZL26rocblas_syr2k_her2k_kernelIlLb1ELb0ELb1ELi32E19rocblas_complex_numIfEPKS1_PS1_EvbiT_T4_T5_S5_lS7_S5_lT6_S5_li.num_agpr, 0
	.set _ZL26rocblas_syr2k_her2k_kernelIlLb1ELb0ELb1ELi32E19rocblas_complex_numIfEPKS1_PS1_EvbiT_T4_T5_S5_lS7_S5_lT6_S5_li.numbered_sgpr, 32
	.set _ZL26rocblas_syr2k_her2k_kernelIlLb1ELb0ELb1ELi32E19rocblas_complex_numIfEPKS1_PS1_EvbiT_T4_T5_S5_lS7_S5_lT6_S5_li.num_named_barrier, 0
	.set _ZL26rocblas_syr2k_her2k_kernelIlLb1ELb0ELb1ELi32E19rocblas_complex_numIfEPKS1_PS1_EvbiT_T4_T5_S5_lS7_S5_lT6_S5_li.private_seg_size, 0
	.set _ZL26rocblas_syr2k_her2k_kernelIlLb1ELb0ELb1ELi32E19rocblas_complex_numIfEPKS1_PS1_EvbiT_T4_T5_S5_lS7_S5_lT6_S5_li.uses_vcc, 1
	.set _ZL26rocblas_syr2k_her2k_kernelIlLb1ELb0ELb1ELi32E19rocblas_complex_numIfEPKS1_PS1_EvbiT_T4_T5_S5_lS7_S5_lT6_S5_li.uses_flat_scratch, 0
	.set _ZL26rocblas_syr2k_her2k_kernelIlLb1ELb0ELb1ELi32E19rocblas_complex_numIfEPKS1_PS1_EvbiT_T4_T5_S5_lS7_S5_lT6_S5_li.has_dyn_sized_stack, 0
	.set _ZL26rocblas_syr2k_her2k_kernelIlLb1ELb0ELb1ELi32E19rocblas_complex_numIfEPKS1_PS1_EvbiT_T4_T5_S5_lS7_S5_lT6_S5_li.has_recursion, 0
	.set _ZL26rocblas_syr2k_her2k_kernelIlLb1ELb0ELb1ELi32E19rocblas_complex_numIfEPKS1_PS1_EvbiT_T4_T5_S5_lS7_S5_lT6_S5_li.has_indirect_call, 0
	.section	.AMDGPU.csdata,"",@progbits
; Kernel info:
; codeLenInByte = 3552
; TotalNumSgprs: 36
; NumVgprs: 40
; ScratchSize: 0
; MemoryBound: 0
; FloatMode: 240
; IeeeMode: 1
; LDSByteSize: 16384 bytes/workgroup (compile time only)
; SGPRBlocks: 8
; VGPRBlocks: 9
; NumSGPRsForWavesPerEU: 65
; NumVGPRsForWavesPerEU: 40
; Occupancy: 6
; WaveLimiterHint : 0
; COMPUTE_PGM_RSRC2:SCRATCH_EN: 0
; COMPUTE_PGM_RSRC2:USER_SGPR: 6
; COMPUTE_PGM_RSRC2:TRAP_HANDLER: 0
; COMPUTE_PGM_RSRC2:TGID_X_EN: 1
; COMPUTE_PGM_RSRC2:TGID_Y_EN: 1
; COMPUTE_PGM_RSRC2:TGID_Z_EN: 1
; COMPUTE_PGM_RSRC2:TIDIG_COMP_CNT: 1
	.section	.text._ZL26rocblas_syr2k_her2k_kernelIlLb1ELb0ELb0ELi32EPK19rocblas_complex_numIfES3_PS1_EvbiT_T4_T5_S5_lS7_S5_lT6_S5_li,"axG",@progbits,_ZL26rocblas_syr2k_her2k_kernelIlLb1ELb0ELb0ELi32EPK19rocblas_complex_numIfES3_PS1_EvbiT_T4_T5_S5_lS7_S5_lT6_S5_li,comdat
	.globl	_ZL26rocblas_syr2k_her2k_kernelIlLb1ELb0ELb0ELi32EPK19rocblas_complex_numIfES3_PS1_EvbiT_T4_T5_S5_lS7_S5_lT6_S5_li ; -- Begin function _ZL26rocblas_syr2k_her2k_kernelIlLb1ELb0ELb0ELi32EPK19rocblas_complex_numIfES3_PS1_EvbiT_T4_T5_S5_lS7_S5_lT6_S5_li
	.p2align	8
	.type	_ZL26rocblas_syr2k_her2k_kernelIlLb1ELb0ELb0ELi32EPK19rocblas_complex_numIfES3_PS1_EvbiT_T4_T5_S5_lS7_S5_lT6_S5_li,@function
_ZL26rocblas_syr2k_her2k_kernelIlLb1ELb0ELb0ELi32EPK19rocblas_complex_numIfES3_PS1_EvbiT_T4_T5_S5_lS7_S5_lT6_S5_li: ; @_ZL26rocblas_syr2k_her2k_kernelIlLb1ELb0ELb0ELi32EPK19rocblas_complex_numIfES3_PS1_EvbiT_T4_T5_S5_lS7_S5_lT6_S5_li
; %bb.0:
	s_load_dwordx16 s[12:27], s[4:5], 0x8
	s_waitcnt lgkmcnt(0)
	s_load_dwordx2 s[10:11], s[14:15], 0x0
	s_waitcnt lgkmcnt(0)
	v_cmp_eq_f32_e64 s[0:1], s10, 0
	v_cmp_eq_f32_e64 s[2:3], s11, 0
	s_and_b64 s[0:1], s[0:1], s[2:3]
	s_and_b64 vcc, exec, s[0:1]
	s_cbranch_vccnz .LBB1858_16
; %bb.1:
	s_load_dwordx2 s[14:15], s[4:5], 0x0
	s_lshl_b32 s2, s7, 5
	s_lshl_b32 s3, s6, 5
	s_waitcnt lgkmcnt(0)
	s_and_b32 s0, 1, s14
	s_cmp_eq_u32 s0, 1
	s_cselect_b64 s[0:1], -1, 0
	s_and_b64 s[6:7], s[0:1], exec
	s_cselect_b32 s6, s3, s2
	s_cselect_b32 s7, s2, s3
	s_cmp_gt_i32 s6, s7
	v_cmp_lt_i64_e64 s[6:7], s[12:13], 1
	s_cselect_b64 s[28:29], -1, 0
	s_or_b64 s[6:7], s[28:29], s[6:7]
	s_and_b64 vcc, exec, s[6:7]
	s_cbranch_vccnz .LBB1858_16
; %bb.2:
	s_load_dwordx2 s[6:7], s[4:5], 0x58
	s_load_dwordx4 s[28:31], s[4:5], 0x48
	s_mul_i32 s9, s21, s8
	v_add_u32_e32 v2, s2, v1
	v_lshlrev_b32_e32 v12, 8, v0
	s_waitcnt lgkmcnt(0)
	s_mul_i32 s5, s7, s8
	s_mul_hi_u32 s7, s6, s8
	s_mul_i32 s4, s6, s8
	s_add_i32 s5, s7, s5
	s_lshl_b64 s[4:5], s[4:5], 3
	s_add_u32 s14, s28, s4
	s_mul_hi_u32 s4, s20, s8
	s_addc_u32 s6, s29, s5
	s_add_i32 s5, s4, s9
	s_mul_i32 s4, s20, s8
	s_lshl_b64 s[4:5], s[4:5], 3
	v_lshlrev_b32_e32 v6, 3, v1
	s_add_u32 s28, s16, s4
	v_add_u32_e32 v13, v12, v6
	v_or_b32_e32 v14, 0x2000, v6
	v_ashrrev_i32_e32 v6, 31, v2
	s_addc_u32 s29, s17, s5
	v_mul_lo_u32 v11, s30, v6
	v_mul_lo_u32 v16, s31, v2
	v_mad_u64_u32 v[6:7], s[4:5], s30, v2, 0
	v_add_u32_e32 v4, s3, v0
	v_max_i32_e32 v10, v4, v2
	v_cmp_gt_i32_e32 vcc, s15, v10
	v_add3_u32 v7, v7, v11, v16
	v_mov_b32_e32 v10, s6
	v_mad_u64_u32 v[16:17], s[6:7], s18, v0, 0
	v_cndmask_b32_e64 v8, v4, v2, s[0:1]
	v_cndmask_b32_e64 v9, v2, v4, s[0:1]
	v_lshlrev_b64 v[6:7], 3, v[6:7]
	v_cmp_le_i32_e64 s[4:5], v9, v8
	s_and_b64 s[4:5], s[4:5], vcc
	v_ashrrev_i32_e32 v9, 31, v4
	v_mov_b32_e32 v8, v4
	v_add_co_u32_e32 v11, vcc, s14, v6
	v_addc_co_u32_e32 v18, vcc, v10, v7, vcc
	v_lshlrev_b64 v[6:7], 3, v[8:9]
	v_mov_b32_e32 v8, v17
	v_mad_u64_u32 v[8:9], s[6:7], s19, v0, v[8:9]
	v_mov_b32_e32 v5, 0
	s_ashr_i32 s3, s15, 31
	s_mov_b32 s2, s15
	v_mov_b32_e32 v3, v5
	v_add_co_u32_e32 v10, vcc, v11, v6
	v_mov_b32_e32 v17, v8
	v_mad_u64_u32 v[8:9], s[6:7], s18, v1, 0
	v_cmp_gt_i64_e64 s[0:1], s[2:3], v[4:5]
	v_cmp_gt_i64_e64 s[2:3], s[2:3], v[2:3]
	v_addc_co_u32_e32 v11, vcc, v18, v7, vcc
	v_lshlrev_b64 v[6:7], 3, v[16:17]
	v_lshlrev_b64 v[2:3], 3, v[2:3]
	v_mad_u64_u32 v[20:21], s[14:15], s24, v0, 0
	v_add_co_u32_e32 v6, vcc, v6, v2
	v_or_b32_e32 v17, 4, v6
	v_mov_b32_e32 v6, v9
	v_addc_co_u32_e32 v16, vcc, v7, v3, vcc
	v_mad_u64_u32 v[6:7], s[6:7], s19, v1, v[6:7]
	v_lshlrev_b64 v[4:5], 3, v[4:5]
	s_mul_i32 s9, s27, s8
	v_mov_b32_e32 v9, v6
	v_lshlrev_b64 v[6:7], 3, v[8:9]
	v_mov_b32_e32 v8, v21
	v_mad_u64_u32 v[8:9], s[14:15], s25, v0, v[8:9]
	v_add_co_u32_e32 v18, vcc, v6, v4
	v_mov_b32_e32 v21, v8
	v_addc_co_u32_e32 v19, vcc, v7, v5, vcc
	v_lshlrev_b64 v[6:7], 3, v[20:21]
	s_mul_hi_u32 s14, s26, s8
	v_add_co_u32_e32 v20, vcc, v6, v2
	v_addc_co_u32_e32 v21, vcc, v7, v3, vcc
	s_add_i32 s9, s14, s9
	v_mad_u64_u32 v[2:3], s[14:15], s24, v1, 0
	s_mul_i32 s8, s26, s8
	s_lshl_b64 s[6:7], s[18:19], 8
	s_lshl_b64 s[8:9], s[8:9], 3
	s_add_u32 s14, s22, s8
	s_addc_u32 s15, s23, s9
	v_mad_u64_u32 v[6:7], s[8:9], s25, v1, v[3:4]
	s_add_u32 s22, s14, 4
	v_add_u32_e32 v15, v14, v12
	v_mov_b32_e32 v3, v6
	v_lshlrev_b64 v[2:3], 3, v[2:3]
	s_addc_u32 s23, s15, 0
	v_add_co_u32_e32 v22, vcc, v2, v4
	s_lshl_b64 s[8:9], s[24:25], 8
	v_addc_co_u32_e32 v23, vcc, v3, v5, vcc
	s_mov_b64 s[14:15], 0
	s_branch .LBB1858_4
.LBB1858_3:                             ;   in Loop: Header=BB1858_4 Depth=1
	s_or_b64 exec, exec, s[16:17]
	s_add_u32 s14, s14, 32
	s_addc_u32 s15, s15, 0
	v_mov_b32_e32 v2, s12
	s_add_u32 s28, s28, s6
	v_mov_b32_e32 v3, s13
	s_addc_u32 s29, s29, s7
	v_cmp_lt_i64_e32 vcc, s[14:15], v[2:3]
	s_add_u32 s22, s22, s8
	s_addc_u32 s23, s23, s9
	s_waitcnt vmcnt(0)
	s_barrier
	s_cbranch_vccz .LBB1858_16
.LBB1858_4:                             ; =>This Inner Loop Header: Depth=1
	v_mov_b32_e32 v3, s15
	v_add_co_u32_e32 v2, vcc, s14, v1
	v_addc_co_u32_e32 v3, vcc, 0, v3, vcc
	v_cmp_gt_i64_e32 vcc, s[12:13], v[2:3]
	v_mov_b32_e32 v2, 0
	s_and_b64 s[16:17], s[0:1], vcc
	v_mov_b32_e32 v3, 0
	s_and_saveexec_b64 s[18:19], s[16:17]
	s_cbranch_execz .LBB1858_6
; %bb.5:                                ;   in Loop: Header=BB1858_4 Depth=1
	v_mov_b32_e32 v3, s29
	v_add_co_u32_e32 v2, vcc, s28, v18
	v_addc_co_u32_e32 v3, vcc, v3, v19, vcc
	global_load_dwordx2 v[2:3], v[2:3], off
.LBB1858_6:                             ;   in Loop: Header=BB1858_4 Depth=1
	s_or_b64 exec, exec, s[18:19]
	v_mov_b32_e32 v5, s15
	v_add_co_u32_e32 v4, vcc, s14, v0
	v_addc_co_u32_e32 v5, vcc, 0, v5, vcc
	v_cmp_gt_i64_e32 vcc, s[12:13], v[4:5]
	s_waitcnt vmcnt(0)
	ds_write_b64 v13, v[2:3]
	s_and_b64 s[18:19], s[2:3], vcc
	v_mov_b32_e32 v2, 0
	v_mov_b32_e32 v3, 0
	s_and_saveexec_b64 s[20:21], s[18:19]
	s_cbranch_execz .LBB1858_8
; %bb.7:                                ;   in Loop: Header=BB1858_4 Depth=1
	v_mov_b32_e32 v3, s23
	v_add_co_u32_e32 v2, vcc, s22, v20
	v_addc_co_u32_e32 v3, vcc, v3, v21, vcc
	global_load_dwordx2 v[2:3], v[2:3], off offset:-4
.LBB1858_8:                             ;   in Loop: Header=BB1858_4 Depth=1
	s_or_b64 exec, exec, s[20:21]
	v_add_u32_e32 v26, 0x800, v14
	v_add_u32_e32 v25, 0x1000, v14
	;; [unrolled: 1-line block ×3, first 2 shown]
	s_waitcnt vmcnt(0)
	ds_write_b64 v15, v[2:3]
	s_waitcnt lgkmcnt(0)
	s_barrier
	s_and_saveexec_b64 s[20:21], s[4:5]
	s_cbranch_execz .LBB1858_10
; %bb.9:                                ;   in Loop: Header=BB1858_4 Depth=1
	ds_read2_b64 v[2:5], v14 offset1:32
	ds_read_b128 v[6:9], v12
	ds_read_b128 v[27:30], v12 offset:16
	s_waitcnt lgkmcnt(1)
	v_mul_f32_e32 v31, v3, v7
	v_fma_f32 v36, v2, v6, -v31
	ds_read2_b64 v[31:34], v14 offset0:64 offset1:96
	v_mul_f32_e32 v35, v2, v7
	v_mul_f32_e32 v2, v5, v9
	v_fma_f32 v37, v4, v8, -v2
	v_fmac_f32_e32 v35, v3, v6
	s_waitcnt lgkmcnt(0)
	v_mul_f32_e32 v2, v32, v28
	v_mul_f32_e32 v38, v4, v9
	v_fma_f32 v39, v31, v27, -v2
	v_mul_f32_e32 v31, v31, v28
	v_mul_f32_e32 v2, v34, v30
	v_fmac_f32_e32 v38, v5, v8
	v_fmac_f32_e32 v31, v32, v27
	v_fma_f32 v32, v33, v29, -v2
	v_mul_f32_e32 v33, v33, v30
	v_add_f32_e32 v27, 0, v36
	v_add_f32_e32 v28, 0, v35
	v_fmac_f32_e32 v33, v34, v29
	ds_read_b128 v[2:5], v12 offset:32
	ds_read_b128 v[6:9], v12 offset:48
	v_add_f32_e32 v34, v27, v37
	v_add_f32_e32 v35, v28, v38
	ds_read2_b64 v[27:30], v14 offset0:128 offset1:160
	v_add_f32_e32 v31, v35, v31
	v_add_f32_e32 v34, v34, v39
	;; [unrolled: 1-line block ×4, first 2 shown]
	s_waitcnt lgkmcnt(0)
	v_mul_f32_e32 v33, v28, v3
	v_mul_f32_e32 v3, v27, v3
	v_fma_f32 v33, v27, v2, -v33
	v_fmac_f32_e32 v3, v28, v2
	v_add_f32_e32 v2, v32, v33
	v_add_f32_e32 v3, v31, v3
	ds_read2_b64 v[31:34], v14 offset0:192 offset1:224
	v_mul_f32_e32 v27, v30, v5
	v_mul_f32_e32 v5, v29, v5
	v_fma_f32 v27, v29, v4, -v27
	v_fmac_f32_e32 v5, v30, v4
	s_waitcnt lgkmcnt(0)
	v_mul_f32_e32 v4, v32, v7
	v_add_f32_e32 v2, v2, v27
	v_add_f32_e32 v3, v3, v5
	v_fma_f32 v4, v31, v6, -v4
	v_mul_f32_e32 v5, v31, v7
	v_fmac_f32_e32 v5, v32, v6
	v_add_f32_e32 v6, v2, v4
	v_mul_f32_e32 v2, v34, v9
	v_add_f32_e32 v7, v3, v5
	v_fma_f32 v31, v33, v8, -v2
	ds_read_b128 v[2:5], v12 offset:64
	ds_read2_b64 v[27:30], v26 offset1:32
	v_mul_f32_e32 v9, v33, v9
	v_fmac_f32_e32 v9, v34, v8
	v_add_f32_e32 v31, v6, v31
	v_add_f32_e32 v32, v7, v9
	s_waitcnt lgkmcnt(0)
	v_mul_f32_e32 v33, v28, v3
	v_mul_f32_e32 v3, v27, v3
	v_fma_f32 v33, v27, v2, -v33
	v_fmac_f32_e32 v3, v28, v2
	ds_read_b128 v[6:9], v12 offset:80
	v_add_f32_e32 v2, v31, v33
	v_add_f32_e32 v3, v32, v3
	ds_read2_b64 v[31:34], v26 offset0:64 offset1:96
	v_mul_f32_e32 v27, v30, v5
	v_mul_f32_e32 v5, v29, v5
	v_fma_f32 v27, v29, v4, -v27
	v_fmac_f32_e32 v5, v30, v4
	s_waitcnt lgkmcnt(0)
	v_mul_f32_e32 v4, v32, v7
	v_add_f32_e32 v2, v2, v27
	v_add_f32_e32 v3, v3, v5
	v_fma_f32 v4, v31, v6, -v4
	v_mul_f32_e32 v5, v31, v7
	v_fmac_f32_e32 v5, v32, v6
	v_add_f32_e32 v6, v2, v4
	v_mul_f32_e32 v2, v34, v9
	v_add_f32_e32 v7, v3, v5
	v_fma_f32 v31, v33, v8, -v2
	ds_read_b128 v[2:5], v12 offset:96
	ds_read2_b64 v[27:30], v26 offset0:128 offset1:160
	v_mul_f32_e32 v9, v33, v9
	v_fmac_f32_e32 v9, v34, v8
	v_add_f32_e32 v31, v6, v31
	v_add_f32_e32 v32, v7, v9
	s_waitcnt lgkmcnt(0)
	v_mul_f32_e32 v33, v28, v3
	v_mul_f32_e32 v3, v27, v3
	v_fma_f32 v33, v27, v2, -v33
	v_fmac_f32_e32 v3, v28, v2
	ds_read_b128 v[6:9], v12 offset:112
	v_add_f32_e32 v2, v31, v33
	v_add_f32_e32 v3, v32, v3
	ds_read2_b64 v[31:34], v26 offset0:192 offset1:224
	v_mul_f32_e32 v27, v30, v5
	v_mul_f32_e32 v5, v29, v5
	v_fma_f32 v27, v29, v4, -v27
	v_fmac_f32_e32 v5, v30, v4
	s_waitcnt lgkmcnt(0)
	v_mul_f32_e32 v4, v32, v7
	v_add_f32_e32 v2, v2, v27
	v_add_f32_e32 v3, v3, v5
	v_fma_f32 v4, v31, v6, -v4
	v_mul_f32_e32 v5, v31, v7
	v_fmac_f32_e32 v5, v32, v6
	v_add_f32_e32 v6, v2, v4
	v_mul_f32_e32 v2, v34, v9
	v_add_f32_e32 v7, v3, v5
	v_fma_f32 v31, v33, v8, -v2
	ds_read_b128 v[2:5], v12 offset:128
	ds_read2_b64 v[27:30], v25 offset1:32
	v_mul_f32_e32 v9, v33, v9
	v_fmac_f32_e32 v9, v34, v8
	v_add_f32_e32 v6, v6, v31
	ds_read_b128 v[31:34], v12 offset:144
	ds_read2_b64 v[35:38], v25 offset0:64 offset1:96
	s_waitcnt lgkmcnt(2)
	v_mul_f32_e32 v8, v28, v3
	v_fma_f32 v8, v27, v2, -v8
	v_mul_f32_e32 v3, v27, v3
	v_add_f32_e32 v7, v7, v9
	v_fmac_f32_e32 v3, v28, v2
	v_add_f32_e32 v2, v6, v8
	v_mul_f32_e32 v6, v30, v5
	v_mul_f32_e32 v5, v29, v5
	v_add_f32_e32 v3, v7, v3
	v_fma_f32 v6, v29, v4, -v6
	v_fmac_f32_e32 v5, v30, v4
	s_waitcnt lgkmcnt(0)
	v_mul_f32_e32 v4, v36, v32
	v_add_f32_e32 v2, v2, v6
	v_add_f32_e32 v3, v3, v5
	v_fma_f32 v4, v35, v31, -v4
	v_mul_f32_e32 v5, v35, v32
	v_fmac_f32_e32 v5, v36, v31
	v_add_f32_e32 v27, v2, v4
	v_mul_f32_e32 v2, v38, v34
	v_add_f32_e32 v28, v3, v5
	v_fma_f32 v29, v37, v33, -v2
	ds_read_b128 v[2:5], v12 offset:160
	ds_read2_b64 v[6:9], v25 offset0:128 offset1:160
	v_mul_f32_e32 v30, v37, v34
	v_fmac_f32_e32 v30, v38, v33
	v_add_f32_e32 v33, v27, v29
	v_add_f32_e32 v34, v28, v30
	s_waitcnt lgkmcnt(0)
	v_mul_f32_e32 v31, v7, v3
	v_fma_f32 v35, v6, v2, -v31
	global_load_dwordx2 v[31:32], v[10:11], off
	v_mul_f32_e32 v6, v6, v3
	v_fmac_f32_e32 v6, v7, v2
	v_mul_f32_e32 v2, v9, v5
	v_fma_f32 v7, v8, v4, -v2
	v_mul_f32_e32 v8, v8, v5
	ds_read_b128 v[27:30], v12 offset:176
	v_fmac_f32_e32 v8, v9, v4
	ds_read2_b64 v[2:5], v25 offset0:192 offset1:224
	v_add_f32_e32 v6, v34, v6
	v_add_f32_e32 v9, v33, v35
	v_add_f32_e32 v33, v6, v8
	v_add_f32_e32 v7, v9, v7
	s_waitcnt lgkmcnt(0)
	v_mul_f32_e32 v6, v3, v28
	v_fma_f32 v6, v2, v27, -v6
	v_mul_f32_e32 v28, v2, v28
	v_mul_f32_e32 v2, v5, v30
	;; [unrolled: 1-line block ×3, first 2 shown]
	v_fmac_f32_e32 v28, v3, v27
	v_add_f32_e32 v27, v7, v6
	v_fma_f32 v34, v4, v29, -v2
	v_fmac_f32_e32 v30, v5, v29
	ds_read_b128 v[2:5], v12 offset:192
	ds_read2_b64 v[6:9], v24 offset1:32
	v_add_f32_e32 v28, v33, v28
	v_add_f32_e32 v33, v27, v34
	;; [unrolled: 1-line block ×3, first 2 shown]
	ds_read_b128 v[27:30], v12 offset:208
	s_waitcnt lgkmcnt(1)
	v_mul_f32_e32 v35, v7, v3
	v_fma_f32 v35, v6, v2, -v35
	v_mul_f32_e32 v6, v6, v3
	v_fmac_f32_e32 v6, v7, v2
	v_mul_f32_e32 v2, v9, v5
	v_fma_f32 v7, v8, v4, -v2
	v_mul_f32_e32 v8, v8, v5
	v_fmac_f32_e32 v8, v9, v4
	ds_read2_b64 v[2:5], v24 offset0:64 offset1:96
	v_add_f32_e32 v6, v34, v6
	v_add_f32_e32 v9, v33, v35
	;; [unrolled: 1-line block ×4, first 2 shown]
	s_waitcnt lgkmcnt(0)
	v_mul_f32_e32 v6, v3, v28
	v_fma_f32 v6, v2, v27, -v6
	v_mul_f32_e32 v28, v2, v28
	v_mul_f32_e32 v2, v5, v30
	;; [unrolled: 1-line block ×3, first 2 shown]
	v_fmac_f32_e32 v28, v3, v27
	v_add_f32_e32 v27, v7, v6
	v_fma_f32 v34, v4, v29, -v2
	v_fmac_f32_e32 v30, v5, v29
	ds_read_b128 v[2:5], v12 offset:224
	ds_read2_b64 v[6:9], v24 offset0:128 offset1:160
	v_add_f32_e32 v28, v33, v28
	v_add_f32_e32 v33, v27, v34
	;; [unrolled: 1-line block ×3, first 2 shown]
	ds_read_b128 v[27:30], v12 offset:240
	s_waitcnt lgkmcnt(1)
	v_mul_f32_e32 v35, v7, v3
	v_fma_f32 v35, v6, v2, -v35
	v_mul_f32_e32 v6, v6, v3
	v_fmac_f32_e32 v6, v7, v2
	v_mul_f32_e32 v2, v9, v5
	v_fma_f32 v7, v8, v4, -v2
	v_mul_f32_e32 v8, v8, v5
	v_fmac_f32_e32 v8, v9, v4
	ds_read2_b64 v[2:5], v24 offset0:192 offset1:224
	v_add_f32_e32 v6, v34, v6
	v_add_f32_e32 v6, v6, v8
	;; [unrolled: 1-line block ×4, first 2 shown]
	s_waitcnt lgkmcnt(0)
	v_mul_f32_e32 v8, v3, v28
	v_fma_f32 v8, v2, v27, -v8
	v_mul_f32_e32 v2, v2, v28
	v_fmac_f32_e32 v2, v3, v27
	v_add_f32_e32 v2, v6, v2
	v_mul_f32_e32 v6, v5, v30
	v_fma_f32 v6, v4, v29, -v6
	v_mul_f32_e32 v4, v4, v30
	v_fmac_f32_e32 v4, v5, v29
	v_add_f32_e32 v3, v7, v8
	v_add_f32_e32 v2, v2, v4
	;; [unrolled: 1-line block ×3, first 2 shown]
	v_mul_f32_e32 v4, s11, v2
	v_mul_f32_e32 v5, s10, v2
	v_fma_f32 v4, s10, v3, -v4
	v_fmac_f32_e32 v5, s11, v3
	s_waitcnt vmcnt(0)
	v_add_f32_e32 v2, v31, v4
	v_add_f32_e32 v3, v32, v5
	global_store_dwordx2 v[10:11], v[2:3], off
.LBB1858_10:                            ;   in Loop: Header=BB1858_4 Depth=1
	s_or_b64 exec, exec, s[20:21]
	v_mov_b32_e32 v3, 0
	v_mov_b32_e32 v5, 0
	;; [unrolled: 1-line block ×3, first 2 shown]
	s_waitcnt vmcnt(0)
	s_barrier
	s_and_saveexec_b64 s[20:21], s[16:17]
	s_cbranch_execz .LBB1858_12
; %bb.11:                               ;   in Loop: Header=BB1858_4 Depth=1
	v_mov_b32_e32 v2, s23
	v_add_co_u32_e32 v4, vcc, s22, v22
	v_addc_co_u32_e32 v5, vcc, v2, v23, vcc
	global_load_dwordx2 v[4:5], v[4:5], off offset:-4
.LBB1858_12:                            ;   in Loop: Header=BB1858_4 Depth=1
	s_or_b64 exec, exec, s[20:21]
	v_mov_b32_e32 v2, 0
	s_waitcnt vmcnt(0)
	ds_write_b64 v13, v[4:5]
	s_and_saveexec_b64 s[16:17], s[18:19]
	s_cbranch_execz .LBB1858_14
; %bb.13:                               ;   in Loop: Header=BB1858_4 Depth=1
	v_mov_b32_e32 v3, s29
	v_add_co_u32_e32 v2, vcc, s28, v17
	v_addc_co_u32_e32 v3, vcc, v3, v16, vcc
	global_load_dwordx2 v[2:3], v[2:3], off offset:-4
.LBB1858_14:                            ;   in Loop: Header=BB1858_4 Depth=1
	s_or_b64 exec, exec, s[16:17]
	s_waitcnt vmcnt(0)
	ds_write_b64 v15, v[2:3]
	s_waitcnt lgkmcnt(0)
	s_barrier
	s_and_saveexec_b64 s[16:17], s[4:5]
	s_cbranch_execz .LBB1858_3
; %bb.15:                               ;   in Loop: Header=BB1858_4 Depth=1
	ds_read2_b64 v[2:5], v14 offset1:32
	ds_read_b128 v[6:9], v12
	ds_read_b128 v[27:30], v12 offset:16
	s_waitcnt lgkmcnt(1)
	v_mul_f32_e32 v31, v3, v7
	v_mul_f32_e32 v35, v2, v7
	v_fma_f32 v36, v2, v6, -v31
	v_mul_f32_e32 v2, v5, v9
	v_mul_f32_e32 v38, v4, v9
	v_fmac_f32_e32 v35, v3, v6
	v_fma_f32 v37, v4, v8, -v2
	v_fmac_f32_e32 v38, v5, v8
	ds_read_b128 v[2:5], v12 offset:32
	ds_read_b128 v[6:9], v12 offset:48
	ds_read2_b64 v[31:34], v14 offset0:64 offset1:96
	v_add_f32_e32 v36, 0, v36
	v_add_f32_e32 v36, v36, v37
	;; [unrolled: 1-line block ×4, first 2 shown]
	s_waitcnt lgkmcnt(0)
	v_mul_f32_e32 v37, v32, v28
	v_fma_f32 v37, v31, v27, -v37
	v_mul_f32_e32 v31, v31, v28
	v_fmac_f32_e32 v31, v32, v27
	v_mul_f32_e32 v27, v34, v30
	v_fma_f32 v32, v33, v29, -v27
	v_mul_f32_e32 v33, v33, v30
	v_fmac_f32_e32 v33, v34, v29
	ds_read2_b64 v[27:30], v14 offset0:128 offset1:160
	v_add_f32_e32 v31, v35, v31
	v_add_f32_e32 v34, v36, v37
	;; [unrolled: 1-line block ×4, first 2 shown]
	s_waitcnt lgkmcnt(0)
	v_mul_f32_e32 v33, v28, v3
	v_mul_f32_e32 v3, v27, v3
	v_fma_f32 v33, v27, v2, -v33
	v_fmac_f32_e32 v3, v28, v2
	v_add_f32_e32 v2, v32, v33
	v_add_f32_e32 v3, v31, v3
	ds_read2_b64 v[31:34], v14 offset0:192 offset1:224
	v_mul_f32_e32 v27, v30, v5
	v_mul_f32_e32 v5, v29, v5
	v_fma_f32 v27, v29, v4, -v27
	v_fmac_f32_e32 v5, v30, v4
	s_waitcnt lgkmcnt(0)
	v_mul_f32_e32 v4, v32, v7
	v_add_f32_e32 v2, v2, v27
	v_add_f32_e32 v3, v3, v5
	v_fma_f32 v4, v31, v6, -v4
	v_mul_f32_e32 v5, v31, v7
	v_fmac_f32_e32 v5, v32, v6
	v_add_f32_e32 v6, v2, v4
	v_mul_f32_e32 v2, v34, v9
	v_add_f32_e32 v7, v3, v5
	v_fma_f32 v31, v33, v8, -v2
	ds_read_b128 v[2:5], v12 offset:64
	ds_read2_b64 v[27:30], v26 offset1:32
	v_mul_f32_e32 v9, v33, v9
	v_fmac_f32_e32 v9, v34, v8
	v_add_f32_e32 v31, v6, v31
	v_add_f32_e32 v32, v7, v9
	s_waitcnt lgkmcnt(0)
	v_mul_f32_e32 v33, v28, v3
	v_mul_f32_e32 v3, v27, v3
	v_fma_f32 v33, v27, v2, -v33
	v_fmac_f32_e32 v3, v28, v2
	ds_read_b128 v[6:9], v12 offset:80
	v_add_f32_e32 v2, v31, v33
	v_add_f32_e32 v3, v32, v3
	ds_read2_b64 v[31:34], v26 offset0:64 offset1:96
	v_mul_f32_e32 v27, v30, v5
	v_mul_f32_e32 v5, v29, v5
	v_fma_f32 v27, v29, v4, -v27
	v_fmac_f32_e32 v5, v30, v4
	s_waitcnt lgkmcnt(0)
	v_mul_f32_e32 v4, v32, v7
	v_add_f32_e32 v2, v2, v27
	v_add_f32_e32 v3, v3, v5
	v_fma_f32 v4, v31, v6, -v4
	v_mul_f32_e32 v5, v31, v7
	v_fmac_f32_e32 v5, v32, v6
	v_add_f32_e32 v6, v2, v4
	v_mul_f32_e32 v2, v34, v9
	v_add_f32_e32 v7, v3, v5
	v_fma_f32 v31, v33, v8, -v2
	ds_read_b128 v[2:5], v12 offset:96
	ds_read2_b64 v[27:30], v26 offset0:128 offset1:160
	v_mul_f32_e32 v9, v33, v9
	v_fmac_f32_e32 v9, v34, v8
	v_add_f32_e32 v31, v6, v31
	v_add_f32_e32 v32, v7, v9
	s_waitcnt lgkmcnt(0)
	v_mul_f32_e32 v33, v28, v3
	v_mul_f32_e32 v3, v27, v3
	v_fma_f32 v33, v27, v2, -v33
	v_fmac_f32_e32 v3, v28, v2
	ds_read_b128 v[6:9], v12 offset:112
	v_add_f32_e32 v2, v31, v33
	v_add_f32_e32 v3, v32, v3
	ds_read2_b64 v[31:34], v26 offset0:192 offset1:224
	v_mul_f32_e32 v27, v30, v5
	v_mul_f32_e32 v5, v29, v5
	v_fma_f32 v27, v29, v4, -v27
	v_fmac_f32_e32 v5, v30, v4
	s_waitcnt lgkmcnt(0)
	v_mul_f32_e32 v4, v32, v7
	v_add_f32_e32 v2, v2, v27
	v_add_f32_e32 v3, v3, v5
	v_fma_f32 v4, v31, v6, -v4
	v_mul_f32_e32 v5, v31, v7
	v_fmac_f32_e32 v5, v32, v6
	v_add_f32_e32 v6, v2, v4
	v_mul_f32_e32 v2, v34, v9
	v_add_f32_e32 v7, v3, v5
	v_fma_f32 v30, v33, v8, -v2
	ds_read_b128 v[2:5], v12 offset:128
	ds_read2_b64 v[26:29], v25 offset1:32
	v_mul_f32_e32 v9, v33, v9
	v_fmac_f32_e32 v9, v34, v8
	v_add_f32_e32 v6, v6, v30
	ds_read_b128 v[30:33], v12 offset:144
	ds_read2_b64 v[34:37], v25 offset0:64 offset1:96
	s_waitcnt lgkmcnt(2)
	v_mul_f32_e32 v8, v27, v3
	v_fma_f32 v8, v26, v2, -v8
	v_mul_f32_e32 v3, v26, v3
	v_add_f32_e32 v7, v7, v9
	v_fmac_f32_e32 v3, v27, v2
	v_add_f32_e32 v2, v6, v8
	v_mul_f32_e32 v6, v29, v5
	v_mul_f32_e32 v5, v28, v5
	v_add_f32_e32 v3, v7, v3
	v_fma_f32 v6, v28, v4, -v6
	v_fmac_f32_e32 v5, v29, v4
	s_waitcnt lgkmcnt(0)
	v_mul_f32_e32 v4, v35, v31
	v_add_f32_e32 v2, v2, v6
	v_add_f32_e32 v3, v3, v5
	v_fma_f32 v4, v34, v30, -v4
	v_mul_f32_e32 v5, v34, v31
	v_fmac_f32_e32 v5, v35, v30
	v_add_f32_e32 v26, v2, v4
	v_mul_f32_e32 v2, v37, v33
	v_add_f32_e32 v27, v3, v5
	v_fma_f32 v28, v36, v32, -v2
	ds_read_b128 v[2:5], v12 offset:160
	ds_read2_b64 v[6:9], v25 offset0:128 offset1:160
	global_load_dwordx2 v[34:35], v[10:11], off
	v_mul_f32_e32 v29, v36, v33
	v_fmac_f32_e32 v29, v37, v32
	v_add_f32_e32 v30, v26, v28
	s_waitcnt lgkmcnt(0)
	v_mul_f32_e32 v32, v7, v3
	v_mul_f32_e32 v3, v6, v3
	v_add_f32_e32 v31, v27, v29
	v_fma_f32 v32, v6, v2, -v32
	v_fmac_f32_e32 v3, v7, v2
	ds_read_b128 v[26:29], v12 offset:176
	v_add_f32_e32 v2, v30, v32
	v_add_f32_e32 v3, v31, v3
	ds_read2_b64 v[30:33], v25 offset0:192 offset1:224
	v_mul_f32_e32 v6, v9, v5
	v_mul_f32_e32 v5, v8, v5
	v_fma_f32 v6, v8, v4, -v6
	v_fmac_f32_e32 v5, v9, v4
	s_waitcnt lgkmcnt(0)
	v_mul_f32_e32 v4, v31, v27
	v_add_f32_e32 v2, v2, v6
	v_add_f32_e32 v3, v3, v5
	v_fma_f32 v4, v30, v26, -v4
	v_mul_f32_e32 v5, v30, v27
	v_fmac_f32_e32 v5, v31, v26
	v_add_f32_e32 v25, v2, v4
	v_mul_f32_e32 v2, v33, v29
	v_add_f32_e32 v26, v3, v5
	v_fma_f32 v27, v32, v28, -v2
	ds_read_b128 v[2:5], v12 offset:192
	ds_read2_b64 v[6:9], v24 offset1:32
	v_mul_f32_e32 v29, v32, v29
	v_fmac_f32_e32 v29, v33, v28
	v_add_f32_e32 v30, v25, v27
	v_add_f32_e32 v29, v26, v29
	s_waitcnt lgkmcnt(0)
	v_mul_f32_e32 v31, v7, v3
	v_mul_f32_e32 v3, v6, v3
	v_fma_f32 v31, v6, v2, -v31
	v_fmac_f32_e32 v3, v7, v2
	ds_read_b128 v[25:28], v12 offset:208
	v_add_f32_e32 v2, v30, v31
	v_add_f32_e32 v3, v29, v3
	ds_read2_b64 v[29:32], v24 offset0:64 offset1:96
	v_mul_f32_e32 v6, v9, v5
	v_mul_f32_e32 v5, v8, v5
	v_fma_f32 v6, v8, v4, -v6
	v_fmac_f32_e32 v5, v9, v4
	s_waitcnt lgkmcnt(0)
	v_mul_f32_e32 v4, v30, v26
	v_add_f32_e32 v2, v2, v6
	v_add_f32_e32 v3, v3, v5
	v_fma_f32 v4, v29, v25, -v4
	v_mul_f32_e32 v5, v29, v26
	v_fmac_f32_e32 v5, v30, v25
	v_add_f32_e32 v25, v2, v4
	v_mul_f32_e32 v2, v32, v28
	v_add_f32_e32 v26, v3, v5
	v_fma_f32 v29, v31, v27, -v2
	ds_read_b128 v[2:5], v12 offset:224
	ds_read2_b64 v[6:9], v24 offset0:128 offset1:160
	v_mul_f32_e32 v28, v31, v28
	v_fmac_f32_e32 v28, v32, v27
	v_add_f32_e32 v29, v25, v29
	v_add_f32_e32 v30, v26, v28
	s_waitcnt lgkmcnt(0)
	v_mul_f32_e32 v31, v7, v3
	v_mul_f32_e32 v3, v6, v3
	v_fma_f32 v31, v6, v2, -v31
	v_fmac_f32_e32 v3, v7, v2
	ds_read_b128 v[25:28], v12 offset:240
	v_add_f32_e32 v2, v29, v31
	v_add_f32_e32 v3, v30, v3
	ds_read2_b64 v[29:32], v24 offset0:192 offset1:224
	v_mul_f32_e32 v6, v9, v5
	v_mul_f32_e32 v5, v8, v5
	v_fmac_f32_e32 v5, v9, v4
	v_fma_f32 v6, v8, v4, -v6
	v_add_f32_e32 v3, v3, v5
	s_waitcnt lgkmcnt(0)
	v_mul_f32_e32 v4, v30, v26
	v_mul_f32_e32 v5, v29, v26
	v_add_f32_e32 v2, v2, v6
	v_fma_f32 v4, v29, v25, -v4
	v_fmac_f32_e32 v5, v30, v25
	v_add_f32_e32 v2, v2, v4
	v_add_f32_e32 v3, v3, v5
	v_mul_f32_e32 v4, v32, v28
	v_mul_f32_e32 v5, v31, v28
	v_fma_f32 v4, v31, v27, -v4
	v_fmac_f32_e32 v5, v32, v27
	v_add_f32_e32 v2, v2, v4
	v_add_f32_e32 v3, v3, v5
	v_mul_f32_e32 v4, s11, v3
	v_mul_f32_e32 v5, s11, v2
	v_fma_f32 v4, s10, v2, -v4
	v_fmac_f32_e32 v5, s10, v3
	s_waitcnt vmcnt(0)
	v_add_f32_e32 v2, v34, v4
	v_add_f32_e32 v3, v35, v5
	global_store_dwordx2 v[10:11], v[2:3], off
	s_branch .LBB1858_3
.LBB1858_16:
	s_endpgm
	.section	.rodata,"a",@progbits
	.p2align	6, 0x0
	.amdhsa_kernel _ZL26rocblas_syr2k_her2k_kernelIlLb1ELb0ELb0ELi32EPK19rocblas_complex_numIfES3_PS1_EvbiT_T4_T5_S5_lS7_S5_lT6_S5_li
		.amdhsa_group_segment_fixed_size 16384
		.amdhsa_private_segment_fixed_size 0
		.amdhsa_kernarg_size 100
		.amdhsa_user_sgpr_count 6
		.amdhsa_user_sgpr_private_segment_buffer 1
		.amdhsa_user_sgpr_dispatch_ptr 0
		.amdhsa_user_sgpr_queue_ptr 0
		.amdhsa_user_sgpr_kernarg_segment_ptr 1
		.amdhsa_user_sgpr_dispatch_id 0
		.amdhsa_user_sgpr_flat_scratch_init 0
		.amdhsa_user_sgpr_private_segment_size 0
		.amdhsa_uses_dynamic_stack 0
		.amdhsa_system_sgpr_private_segment_wavefront_offset 0
		.amdhsa_system_sgpr_workgroup_id_x 1
		.amdhsa_system_sgpr_workgroup_id_y 1
		.amdhsa_system_sgpr_workgroup_id_z 1
		.amdhsa_system_sgpr_workgroup_info 0
		.amdhsa_system_vgpr_workitem_id 1
		.amdhsa_next_free_vgpr 40
		.amdhsa_next_free_sgpr 61
		.amdhsa_reserve_vcc 1
		.amdhsa_reserve_flat_scratch 0
		.amdhsa_float_round_mode_32 0
		.amdhsa_float_round_mode_16_64 0
		.amdhsa_float_denorm_mode_32 3
		.amdhsa_float_denorm_mode_16_64 3
		.amdhsa_dx10_clamp 1
		.amdhsa_ieee_mode 1
		.amdhsa_fp16_overflow 0
		.amdhsa_exception_fp_ieee_invalid_op 0
		.amdhsa_exception_fp_denorm_src 0
		.amdhsa_exception_fp_ieee_div_zero 0
		.amdhsa_exception_fp_ieee_overflow 0
		.amdhsa_exception_fp_ieee_underflow 0
		.amdhsa_exception_fp_ieee_inexact 0
		.amdhsa_exception_int_div_zero 0
	.end_amdhsa_kernel
	.section	.text._ZL26rocblas_syr2k_her2k_kernelIlLb1ELb0ELb0ELi32EPK19rocblas_complex_numIfES3_PS1_EvbiT_T4_T5_S5_lS7_S5_lT6_S5_li,"axG",@progbits,_ZL26rocblas_syr2k_her2k_kernelIlLb1ELb0ELb0ELi32EPK19rocblas_complex_numIfES3_PS1_EvbiT_T4_T5_S5_lS7_S5_lT6_S5_li,comdat
.Lfunc_end1858:
	.size	_ZL26rocblas_syr2k_her2k_kernelIlLb1ELb0ELb0ELi32EPK19rocblas_complex_numIfES3_PS1_EvbiT_T4_T5_S5_lS7_S5_lT6_S5_li, .Lfunc_end1858-_ZL26rocblas_syr2k_her2k_kernelIlLb1ELb0ELb0ELi32EPK19rocblas_complex_numIfES3_PS1_EvbiT_T4_T5_S5_lS7_S5_lT6_S5_li
                                        ; -- End function
	.set _ZL26rocblas_syr2k_her2k_kernelIlLb1ELb0ELb0ELi32EPK19rocblas_complex_numIfES3_PS1_EvbiT_T4_T5_S5_lS7_S5_lT6_S5_li.num_vgpr, 40
	.set _ZL26rocblas_syr2k_her2k_kernelIlLb1ELb0ELb0ELi32EPK19rocblas_complex_numIfES3_PS1_EvbiT_T4_T5_S5_lS7_S5_lT6_S5_li.num_agpr, 0
	.set _ZL26rocblas_syr2k_her2k_kernelIlLb1ELb0ELb0ELi32EPK19rocblas_complex_numIfES3_PS1_EvbiT_T4_T5_S5_lS7_S5_lT6_S5_li.numbered_sgpr, 32
	.set _ZL26rocblas_syr2k_her2k_kernelIlLb1ELb0ELb0ELi32EPK19rocblas_complex_numIfES3_PS1_EvbiT_T4_T5_S5_lS7_S5_lT6_S5_li.num_named_barrier, 0
	.set _ZL26rocblas_syr2k_her2k_kernelIlLb1ELb0ELb0ELi32EPK19rocblas_complex_numIfES3_PS1_EvbiT_T4_T5_S5_lS7_S5_lT6_S5_li.private_seg_size, 0
	.set _ZL26rocblas_syr2k_her2k_kernelIlLb1ELb0ELb0ELi32EPK19rocblas_complex_numIfES3_PS1_EvbiT_T4_T5_S5_lS7_S5_lT6_S5_li.uses_vcc, 1
	.set _ZL26rocblas_syr2k_her2k_kernelIlLb1ELb0ELb0ELi32EPK19rocblas_complex_numIfES3_PS1_EvbiT_T4_T5_S5_lS7_S5_lT6_S5_li.uses_flat_scratch, 0
	.set _ZL26rocblas_syr2k_her2k_kernelIlLb1ELb0ELb0ELi32EPK19rocblas_complex_numIfES3_PS1_EvbiT_T4_T5_S5_lS7_S5_lT6_S5_li.has_dyn_sized_stack, 0
	.set _ZL26rocblas_syr2k_her2k_kernelIlLb1ELb0ELb0ELi32EPK19rocblas_complex_numIfES3_PS1_EvbiT_T4_T5_S5_lS7_S5_lT6_S5_li.has_recursion, 0
	.set _ZL26rocblas_syr2k_her2k_kernelIlLb1ELb0ELb0ELi32EPK19rocblas_complex_numIfES3_PS1_EvbiT_T4_T5_S5_lS7_S5_lT6_S5_li.has_indirect_call, 0
	.section	.AMDGPU.csdata,"",@progbits
; Kernel info:
; codeLenInByte = 3512
; TotalNumSgprs: 36
; NumVgprs: 40
; ScratchSize: 0
; MemoryBound: 0
; FloatMode: 240
; IeeeMode: 1
; LDSByteSize: 16384 bytes/workgroup (compile time only)
; SGPRBlocks: 8
; VGPRBlocks: 9
; NumSGPRsForWavesPerEU: 65
; NumVGPRsForWavesPerEU: 40
; Occupancy: 6
; WaveLimiterHint : 0
; COMPUTE_PGM_RSRC2:SCRATCH_EN: 0
; COMPUTE_PGM_RSRC2:USER_SGPR: 6
; COMPUTE_PGM_RSRC2:TRAP_HANDLER: 0
; COMPUTE_PGM_RSRC2:TGID_X_EN: 1
; COMPUTE_PGM_RSRC2:TGID_Y_EN: 1
; COMPUTE_PGM_RSRC2:TGID_Z_EN: 1
; COMPUTE_PGM_RSRC2:TIDIG_COMP_CNT: 1
	.section	.text._ZL26rocblas_syr2k_her2k_kernelIlLb1ELb0ELb1ELi32EPK19rocblas_complex_numIfES3_PS1_EvbiT_T4_T5_S5_lS7_S5_lT6_S5_li,"axG",@progbits,_ZL26rocblas_syr2k_her2k_kernelIlLb1ELb0ELb1ELi32EPK19rocblas_complex_numIfES3_PS1_EvbiT_T4_T5_S5_lS7_S5_lT6_S5_li,comdat
	.globl	_ZL26rocblas_syr2k_her2k_kernelIlLb1ELb0ELb1ELi32EPK19rocblas_complex_numIfES3_PS1_EvbiT_T4_T5_S5_lS7_S5_lT6_S5_li ; -- Begin function _ZL26rocblas_syr2k_her2k_kernelIlLb1ELb0ELb1ELi32EPK19rocblas_complex_numIfES3_PS1_EvbiT_T4_T5_S5_lS7_S5_lT6_S5_li
	.p2align	8
	.type	_ZL26rocblas_syr2k_her2k_kernelIlLb1ELb0ELb1ELi32EPK19rocblas_complex_numIfES3_PS1_EvbiT_T4_T5_S5_lS7_S5_lT6_S5_li,@function
_ZL26rocblas_syr2k_her2k_kernelIlLb1ELb0ELb1ELi32EPK19rocblas_complex_numIfES3_PS1_EvbiT_T4_T5_S5_lS7_S5_lT6_S5_li: ; @_ZL26rocblas_syr2k_her2k_kernelIlLb1ELb0ELb1ELi32EPK19rocblas_complex_numIfES3_PS1_EvbiT_T4_T5_S5_lS7_S5_lT6_S5_li
; %bb.0:
	s_load_dwordx16 s[12:27], s[4:5], 0x8
	s_waitcnt lgkmcnt(0)
	s_load_dwordx2 s[10:11], s[14:15], 0x0
	s_waitcnt lgkmcnt(0)
	v_cmp_eq_f32_e64 s[0:1], s10, 0
	v_cmp_eq_f32_e64 s[2:3], s11, 0
	s_and_b64 s[0:1], s[0:1], s[2:3]
	s_and_b64 vcc, exec, s[0:1]
	s_cbranch_vccnz .LBB1859_16
; %bb.1:
	s_load_dwordx2 s[14:15], s[4:5], 0x0
	s_lshl_b32 s3, s7, 5
	s_lshl_b32 s2, s6, 5
	s_waitcnt lgkmcnt(0)
	s_and_b32 s0, 1, s14
	s_cmp_eq_u32 s0, 1
	s_cselect_b64 s[0:1], -1, 0
	s_and_b64 s[6:7], s[0:1], exec
	s_cselect_b32 s6, s2, s3
	s_cselect_b32 s7, s3, s2
	s_cmp_gt_i32 s6, s7
	v_cmp_lt_i64_e64 s[6:7], s[12:13], 1
	s_cselect_b64 s[28:29], -1, 0
	s_or_b64 s[6:7], s[28:29], s[6:7]
	s_and_b64 vcc, exec, s[6:7]
	s_cbranch_vccnz .LBB1859_16
; %bb.2:
	s_load_dwordx2 s[6:7], s[4:5], 0x58
	s_load_dwordx4 s[28:31], s[4:5], 0x48
	v_add_u32_e32 v4, s3, v1
	v_mov_b32_e32 v3, 0
	v_add_u32_e32 v2, s2, v0
	s_waitcnt lgkmcnt(0)
	s_mul_i32 s3, s7, s8
	s_mul_hi_u32 s5, s6, s8
	s_mul_i32 s4, s6, s8
	s_add_i32 s5, s5, s3
	s_lshl_b64 s[4:5], s[4:5], 3
	s_add_u32 s6, s28, s4
	s_addc_u32 s7, s29, s5
	s_ashr_i32 s3, s15, 31
	s_mov_b32 s2, s15
	v_mov_b32_e32 v5, v3
	v_cndmask_b32_e64 v7, v2, v4, s[0:1]
	v_cndmask_b32_e64 v8, v4, v2, s[0:1]
	v_cmp_gt_i64_e64 s[0:1], s[2:3], v[2:3]
	v_cmp_gt_i64_e64 s[2:3], s[2:3], v[4:5]
	v_ashrrev_i32_e32 v5, 31, v4
	v_mul_lo_u32 v10, s30, v5
	v_mul_lo_u32 v11, s31, v4
	v_mad_u64_u32 v[5:6], s[4:5], s30, v4, 0
	v_max_i32_e32 v3, v2, v4
	v_cmp_gt_i32_e32 vcc, s15, v3
	v_add3_u32 v6, v6, v10, v11
	v_lshlrev_b64 v[5:6], 3, v[5:6]
	v_cmp_le_i32_e64 s[4:5], v8, v7
	s_and_b64 s[4:5], s[4:5], vcc
	v_mov_b32_e32 v7, s7
	v_add_co_u32_e32 v10, vcc, s6, v5
	v_addc_co_u32_e32 v11, vcc, v7, v6, vcc
	v_mad_u64_u32 v[7:8], s[6:7], s18, v4, 0
	v_ashrrev_i32_e32 v3, 31, v2
	v_lshlrev_b64 v[5:6], 3, v[2:3]
	v_mov_b32_e32 v3, v8
	v_add_co_u32_e32 v10, vcc, v10, v5
	v_addc_co_u32_e32 v11, vcc, v11, v6, vcc
	v_mad_u64_u32 v[5:6], s[6:7], s19, v4, v[3:4]
	s_mul_i32 s9, s21, s8
	s_mul_hi_u32 s14, s20, s8
	v_mov_b32_e32 v8, v5
	s_add_i32 s7, s14, s9
	s_mul_i32 s6, s20, s8
	v_lshlrev_b64 v[5:6], 3, v[7:8]
	s_lshl_b64 s[6:7], s[6:7], 3
	v_mov_b32_e32 v8, s7
	v_add_co_u32_e32 v3, vcc, s6, v5
	v_addc_co_u32_e32 v5, vcc, v8, v6, vcc
	v_lshlrev_b32_e32 v20, 3, v0
	v_add_co_u32_e32 v3, vcc, v3, v20
	v_addc_co_u32_e32 v7, vcc, 0, v5, vcc
	v_mad_u64_u32 v[5:6], s[14:15], s18, v2, 0
	v_mov_b32_e32 v16, s17
	v_add_co_u32_e32 v17, vcc, s16, v3
	v_mov_b32_e32 v3, v6
	v_addc_co_u32_e32 v18, vcc, v16, v7, vcc
	v_mad_u64_u32 v[6:7], s[14:15], s19, v2, v[3:4]
	v_add_co_u32_e32 v16, vcc, 4, v17
	v_lshlrev_b64 v[5:6], 3, v[5:6]
	v_addc_co_u32_e32 v17, vcc, 0, v18, vcc
	v_add_co_u32_e32 v3, vcc, s6, v5
	v_lshlrev_b32_e32 v9, 3, v1
	v_addc_co_u32_e32 v5, vcc, v8, v6, vcc
	v_add_co_u32_e32 v3, vcc, v3, v9
	v_addc_co_u32_e32 v7, vcc, 0, v5, vcc
	v_mad_u64_u32 v[5:6], s[6:7], s24, v4, 0
	v_add_co_u32_e32 v18, vcc, s16, v3
	v_mov_b32_e32 v3, v6
	v_mad_u64_u32 v[3:4], s[6:7], s25, v4, v[3:4]
	s_mul_i32 s9, s27, s8
	s_mul_hi_u32 s14, s26, s8
	v_mov_b32_e32 v6, v3
	v_mov_b32_e32 v8, s17
	s_add_i32 s7, s14, s9
	s_mul_i32 s6, s26, s8
	v_lshlrev_b64 v[3:4], 3, v[5:6]
	v_addc_co_u32_e32 v19, vcc, v8, v7, vcc
	s_lshl_b64 s[6:7], s[6:7], 3
	v_mov_b32_e32 v6, s7
	v_add_co_u32_e32 v3, vcc, s6, v3
	v_addc_co_u32_e32 v4, vcc, v6, v4, vcc
	v_add_co_u32_e32 v5, vcc, v3, v20
	v_addc_co_u32_e32 v7, vcc, 0, v4, vcc
	v_mad_u64_u32 v[3:4], s[8:9], s24, v2, 0
	v_add_co_u32_e32 v20, vcc, s22, v5
	v_mad_u64_u32 v[4:5], s[8:9], s25, v2, v[4:5]
	v_mov_b32_e32 v8, s23
	v_addc_co_u32_e32 v7, vcc, v8, v7, vcc
	v_add_co_u32_e32 v20, vcc, 4, v20
	v_lshlrev_b64 v[2:3], 3, v[3:4]
	v_addc_co_u32_e32 v21, vcc, 0, v7, vcc
	v_add_co_u32_e32 v2, vcc, s6, v2
	v_addc_co_u32_e32 v3, vcc, v6, v3, vcc
	v_add_co_u32_e32 v2, vcc, v2, v9
	v_addc_co_u32_e32 v3, vcc, 0, v3, vcc
	v_mov_b32_e32 v4, s23
	v_add_co_u32_e32 v2, vcc, s22, v2
	v_addc_co_u32_e32 v3, vcc, v4, v3, vcc
	v_lshlrev_b32_e32 v12, 8, v0
	v_or_b32_e32 v14, 0x2000, v9
	v_add_co_u32_e32 v22, vcc, 4, v2
	v_add_u32_e32 v13, v12, v9
	v_add_u32_e32 v15, v14, v12
	v_addc_co_u32_e32 v23, vcc, 0, v3, vcc
	s_mov_b64 s[6:7], 0
	s_mov_b64 s[8:9], 0
	s_branch .LBB1859_4
.LBB1859_3:                             ;   in Loop: Header=BB1859_4 Depth=1
	s_or_b64 exec, exec, s[14:15]
	s_add_u32 s8, s8, 32
	v_mov_b32_e32 v2, s12
	s_addc_u32 s9, s9, 0
	v_mov_b32_e32 v3, s13
	v_cmp_lt_i64_e32 vcc, s[8:9], v[2:3]
	s_add_u32 s6, s6, 0x100
	s_addc_u32 s7, s7, 0
	s_waitcnt vmcnt(0)
	s_barrier
	s_cbranch_vccz .LBB1859_16
.LBB1859_4:                             ; =>This Inner Loop Header: Depth=1
	v_mov_b32_e32 v3, s9
	v_add_co_u32_e32 v2, vcc, s8, v1
	v_addc_co_u32_e32 v3, vcc, 0, v3, vcc
	v_cmp_gt_i64_e32 vcc, s[12:13], v[2:3]
	v_mov_b32_e32 v2, 0
	s_and_b64 s[14:15], s[0:1], vcc
	v_mov_b32_e32 v3, 0
	s_and_saveexec_b64 s[16:17], s[14:15]
	s_cbranch_execz .LBB1859_6
; %bb.5:                                ;   in Loop: Header=BB1859_4 Depth=1
	v_mov_b32_e32 v3, s7
	v_add_co_u32_e32 v2, vcc, s6, v18
	v_addc_co_u32_e32 v3, vcc, v19, v3, vcc
	global_load_dwordx2 v[2:3], v[2:3], off
.LBB1859_6:                             ;   in Loop: Header=BB1859_4 Depth=1
	s_or_b64 exec, exec, s[16:17]
	v_mov_b32_e32 v5, s9
	v_add_co_u32_e32 v4, vcc, s8, v0
	v_addc_co_u32_e32 v5, vcc, 0, v5, vcc
	v_cmp_gt_i64_e32 vcc, s[12:13], v[4:5]
	s_waitcnt vmcnt(0)
	ds_write_b64 v13, v[2:3]
	s_and_b64 s[16:17], s[2:3], vcc
	v_mov_b32_e32 v2, 0
	v_mov_b32_e32 v3, 0
	s_and_saveexec_b64 s[18:19], s[16:17]
	s_cbranch_execz .LBB1859_8
; %bb.7:                                ;   in Loop: Header=BB1859_4 Depth=1
	v_mov_b32_e32 v3, s7
	v_add_co_u32_e32 v2, vcc, s6, v20
	v_addc_co_u32_e32 v3, vcc, v21, v3, vcc
	global_load_dwordx2 v[2:3], v[2:3], off offset:-4
.LBB1859_8:                             ;   in Loop: Header=BB1859_4 Depth=1
	s_or_b64 exec, exec, s[18:19]
	v_add_u32_e32 v26, 0x800, v14
	v_add_u32_e32 v25, 0x1000, v14
	v_add_u32_e32 v24, 0x1800, v14
	s_waitcnt vmcnt(0)
	ds_write_b64 v15, v[2:3]
	s_waitcnt lgkmcnt(0)
	s_barrier
	s_and_saveexec_b64 s[18:19], s[4:5]
	s_cbranch_execz .LBB1859_10
; %bb.9:                                ;   in Loop: Header=BB1859_4 Depth=1
	ds_read2_b64 v[2:5], v14 offset1:32
	ds_read_b128 v[6:9], v12
	ds_read_b128 v[27:30], v12 offset:16
	s_waitcnt lgkmcnt(1)
	v_mul_f32_e32 v31, v3, v7
	v_fma_f32 v36, v2, v6, -v31
	ds_read2_b64 v[31:34], v14 offset0:64 offset1:96
	v_mul_f32_e32 v35, v2, v7
	v_mul_f32_e32 v2, v5, v9
	v_fma_f32 v37, v4, v8, -v2
	v_fmac_f32_e32 v35, v3, v6
	s_waitcnt lgkmcnt(0)
	v_mul_f32_e32 v2, v32, v28
	v_mul_f32_e32 v38, v4, v9
	v_fma_f32 v39, v31, v27, -v2
	v_mul_f32_e32 v31, v31, v28
	v_mul_f32_e32 v2, v34, v30
	v_fmac_f32_e32 v38, v5, v8
	v_fmac_f32_e32 v31, v32, v27
	v_fma_f32 v32, v33, v29, -v2
	v_mul_f32_e32 v33, v33, v30
	v_add_f32_e32 v27, 0, v36
	v_add_f32_e32 v28, 0, v35
	v_fmac_f32_e32 v33, v34, v29
	ds_read_b128 v[2:5], v12 offset:32
	ds_read_b128 v[6:9], v12 offset:48
	v_add_f32_e32 v34, v27, v37
	v_add_f32_e32 v35, v28, v38
	ds_read2_b64 v[27:30], v14 offset0:128 offset1:160
	v_add_f32_e32 v31, v35, v31
	v_add_f32_e32 v34, v34, v39
	;; [unrolled: 1-line block ×4, first 2 shown]
	s_waitcnt lgkmcnt(0)
	v_mul_f32_e32 v33, v28, v3
	v_mul_f32_e32 v3, v27, v3
	v_fma_f32 v33, v27, v2, -v33
	v_fmac_f32_e32 v3, v28, v2
	v_add_f32_e32 v2, v32, v33
	v_add_f32_e32 v3, v31, v3
	ds_read2_b64 v[31:34], v14 offset0:192 offset1:224
	v_mul_f32_e32 v27, v30, v5
	v_mul_f32_e32 v5, v29, v5
	v_fma_f32 v27, v29, v4, -v27
	v_fmac_f32_e32 v5, v30, v4
	s_waitcnt lgkmcnt(0)
	v_mul_f32_e32 v4, v32, v7
	v_add_f32_e32 v2, v2, v27
	v_add_f32_e32 v3, v3, v5
	v_fma_f32 v4, v31, v6, -v4
	v_mul_f32_e32 v5, v31, v7
	v_fmac_f32_e32 v5, v32, v6
	v_add_f32_e32 v6, v2, v4
	v_mul_f32_e32 v2, v34, v9
	v_add_f32_e32 v7, v3, v5
	v_fma_f32 v31, v33, v8, -v2
	ds_read_b128 v[2:5], v12 offset:64
	ds_read2_b64 v[27:30], v26 offset1:32
	v_mul_f32_e32 v9, v33, v9
	v_fmac_f32_e32 v9, v34, v8
	v_add_f32_e32 v31, v6, v31
	v_add_f32_e32 v32, v7, v9
	s_waitcnt lgkmcnt(0)
	v_mul_f32_e32 v33, v28, v3
	v_mul_f32_e32 v3, v27, v3
	v_fma_f32 v33, v27, v2, -v33
	v_fmac_f32_e32 v3, v28, v2
	ds_read_b128 v[6:9], v12 offset:80
	v_add_f32_e32 v2, v31, v33
	v_add_f32_e32 v3, v32, v3
	ds_read2_b64 v[31:34], v26 offset0:64 offset1:96
	v_mul_f32_e32 v27, v30, v5
	v_mul_f32_e32 v5, v29, v5
	v_fma_f32 v27, v29, v4, -v27
	v_fmac_f32_e32 v5, v30, v4
	s_waitcnt lgkmcnt(0)
	v_mul_f32_e32 v4, v32, v7
	v_add_f32_e32 v2, v2, v27
	v_add_f32_e32 v3, v3, v5
	v_fma_f32 v4, v31, v6, -v4
	v_mul_f32_e32 v5, v31, v7
	v_fmac_f32_e32 v5, v32, v6
	v_add_f32_e32 v6, v2, v4
	v_mul_f32_e32 v2, v34, v9
	v_add_f32_e32 v7, v3, v5
	v_fma_f32 v31, v33, v8, -v2
	ds_read_b128 v[2:5], v12 offset:96
	ds_read2_b64 v[27:30], v26 offset0:128 offset1:160
	v_mul_f32_e32 v9, v33, v9
	v_fmac_f32_e32 v9, v34, v8
	v_add_f32_e32 v31, v6, v31
	v_add_f32_e32 v32, v7, v9
	s_waitcnt lgkmcnt(0)
	v_mul_f32_e32 v33, v28, v3
	v_mul_f32_e32 v3, v27, v3
	v_fma_f32 v33, v27, v2, -v33
	v_fmac_f32_e32 v3, v28, v2
	ds_read_b128 v[6:9], v12 offset:112
	v_add_f32_e32 v2, v31, v33
	v_add_f32_e32 v3, v32, v3
	ds_read2_b64 v[31:34], v26 offset0:192 offset1:224
	v_mul_f32_e32 v27, v30, v5
	v_mul_f32_e32 v5, v29, v5
	v_fma_f32 v27, v29, v4, -v27
	v_fmac_f32_e32 v5, v30, v4
	s_waitcnt lgkmcnt(0)
	v_mul_f32_e32 v4, v32, v7
	v_add_f32_e32 v2, v2, v27
	v_add_f32_e32 v3, v3, v5
	v_fma_f32 v4, v31, v6, -v4
	v_mul_f32_e32 v5, v31, v7
	v_fmac_f32_e32 v5, v32, v6
	v_add_f32_e32 v6, v2, v4
	v_mul_f32_e32 v2, v34, v9
	v_add_f32_e32 v7, v3, v5
	v_fma_f32 v31, v33, v8, -v2
	ds_read_b128 v[2:5], v12 offset:128
	ds_read2_b64 v[27:30], v25 offset1:32
	v_mul_f32_e32 v9, v33, v9
	v_fmac_f32_e32 v9, v34, v8
	v_add_f32_e32 v6, v6, v31
	ds_read_b128 v[31:34], v12 offset:144
	ds_read2_b64 v[35:38], v25 offset0:64 offset1:96
	s_waitcnt lgkmcnt(2)
	v_mul_f32_e32 v8, v28, v3
	v_fma_f32 v8, v27, v2, -v8
	v_mul_f32_e32 v3, v27, v3
	v_add_f32_e32 v7, v7, v9
	v_fmac_f32_e32 v3, v28, v2
	v_add_f32_e32 v2, v6, v8
	v_mul_f32_e32 v6, v30, v5
	v_mul_f32_e32 v5, v29, v5
	v_add_f32_e32 v3, v7, v3
	v_fma_f32 v6, v29, v4, -v6
	v_fmac_f32_e32 v5, v30, v4
	s_waitcnt lgkmcnt(0)
	v_mul_f32_e32 v4, v36, v32
	v_add_f32_e32 v2, v2, v6
	v_add_f32_e32 v3, v3, v5
	v_fma_f32 v4, v35, v31, -v4
	v_mul_f32_e32 v5, v35, v32
	v_fmac_f32_e32 v5, v36, v31
	v_add_f32_e32 v27, v2, v4
	v_mul_f32_e32 v2, v38, v34
	v_add_f32_e32 v28, v3, v5
	v_fma_f32 v29, v37, v33, -v2
	ds_read_b128 v[2:5], v12 offset:160
	ds_read2_b64 v[6:9], v25 offset0:128 offset1:160
	v_mul_f32_e32 v30, v37, v34
	v_fmac_f32_e32 v30, v38, v33
	v_add_f32_e32 v33, v27, v29
	v_add_f32_e32 v34, v28, v30
	s_waitcnt lgkmcnt(0)
	v_mul_f32_e32 v31, v7, v3
	v_fma_f32 v35, v6, v2, -v31
	global_load_dwordx2 v[31:32], v[10:11], off
	v_mul_f32_e32 v6, v6, v3
	v_fmac_f32_e32 v6, v7, v2
	v_mul_f32_e32 v2, v9, v5
	v_fma_f32 v7, v8, v4, -v2
	v_mul_f32_e32 v8, v8, v5
	ds_read_b128 v[27:30], v12 offset:176
	v_fmac_f32_e32 v8, v9, v4
	ds_read2_b64 v[2:5], v25 offset0:192 offset1:224
	v_add_f32_e32 v6, v34, v6
	v_add_f32_e32 v9, v33, v35
	;; [unrolled: 1-line block ×4, first 2 shown]
	s_waitcnt lgkmcnt(0)
	v_mul_f32_e32 v6, v3, v28
	v_fma_f32 v6, v2, v27, -v6
	v_mul_f32_e32 v28, v2, v28
	v_mul_f32_e32 v2, v5, v30
	;; [unrolled: 1-line block ×3, first 2 shown]
	v_fmac_f32_e32 v28, v3, v27
	v_add_f32_e32 v27, v7, v6
	v_fma_f32 v34, v4, v29, -v2
	v_fmac_f32_e32 v30, v5, v29
	ds_read_b128 v[2:5], v12 offset:192
	ds_read2_b64 v[6:9], v24 offset1:32
	v_add_f32_e32 v28, v33, v28
	v_add_f32_e32 v33, v27, v34
	v_add_f32_e32 v34, v28, v30
	ds_read_b128 v[27:30], v12 offset:208
	s_waitcnt lgkmcnt(1)
	v_mul_f32_e32 v35, v7, v3
	v_fma_f32 v35, v6, v2, -v35
	v_mul_f32_e32 v6, v6, v3
	v_fmac_f32_e32 v6, v7, v2
	v_mul_f32_e32 v2, v9, v5
	v_fma_f32 v7, v8, v4, -v2
	v_mul_f32_e32 v8, v8, v5
	v_fmac_f32_e32 v8, v9, v4
	ds_read2_b64 v[2:5], v24 offset0:64 offset1:96
	v_add_f32_e32 v6, v34, v6
	v_add_f32_e32 v9, v33, v35
	v_add_f32_e32 v33, v6, v8
	v_add_f32_e32 v7, v9, v7
	s_waitcnt lgkmcnt(0)
	v_mul_f32_e32 v6, v3, v28
	v_fma_f32 v6, v2, v27, -v6
	v_mul_f32_e32 v28, v2, v28
	v_mul_f32_e32 v2, v5, v30
	;; [unrolled: 1-line block ×3, first 2 shown]
	v_fmac_f32_e32 v28, v3, v27
	v_add_f32_e32 v27, v7, v6
	v_fma_f32 v34, v4, v29, -v2
	v_fmac_f32_e32 v30, v5, v29
	ds_read_b128 v[2:5], v12 offset:224
	ds_read2_b64 v[6:9], v24 offset0:128 offset1:160
	v_add_f32_e32 v28, v33, v28
	v_add_f32_e32 v33, v27, v34
	;; [unrolled: 1-line block ×3, first 2 shown]
	ds_read_b128 v[27:30], v12 offset:240
	s_waitcnt lgkmcnt(1)
	v_mul_f32_e32 v35, v7, v3
	v_fma_f32 v35, v6, v2, -v35
	v_mul_f32_e32 v6, v6, v3
	v_fmac_f32_e32 v6, v7, v2
	v_mul_f32_e32 v2, v9, v5
	v_fma_f32 v7, v8, v4, -v2
	v_mul_f32_e32 v8, v8, v5
	v_fmac_f32_e32 v8, v9, v4
	ds_read2_b64 v[2:5], v24 offset0:192 offset1:224
	v_add_f32_e32 v6, v34, v6
	v_add_f32_e32 v6, v6, v8
	;; [unrolled: 1-line block ×4, first 2 shown]
	s_waitcnt lgkmcnt(0)
	v_mul_f32_e32 v8, v3, v28
	v_fma_f32 v8, v2, v27, -v8
	v_mul_f32_e32 v2, v2, v28
	v_fmac_f32_e32 v2, v3, v27
	v_add_f32_e32 v2, v6, v2
	v_mul_f32_e32 v6, v5, v30
	v_fma_f32 v6, v4, v29, -v6
	v_mul_f32_e32 v4, v4, v30
	v_fmac_f32_e32 v4, v5, v29
	v_add_f32_e32 v3, v7, v8
	v_add_f32_e32 v2, v2, v4
	;; [unrolled: 1-line block ×3, first 2 shown]
	v_mul_f32_e32 v4, s11, v2
	v_mul_f32_e32 v5, s10, v2
	v_fma_f32 v4, s10, v3, -v4
	v_fmac_f32_e32 v5, s11, v3
	s_waitcnt vmcnt(0)
	v_add_f32_e32 v2, v31, v4
	v_add_f32_e32 v3, v32, v5
	global_store_dwordx2 v[10:11], v[2:3], off
.LBB1859_10:                            ;   in Loop: Header=BB1859_4 Depth=1
	s_or_b64 exec, exec, s[18:19]
	v_mov_b32_e32 v3, 0
	v_mov_b32_e32 v5, 0
	;; [unrolled: 1-line block ×3, first 2 shown]
	s_waitcnt vmcnt(0)
	s_barrier
	s_and_saveexec_b64 s[18:19], s[14:15]
	s_cbranch_execz .LBB1859_12
; %bb.11:                               ;   in Loop: Header=BB1859_4 Depth=1
	v_mov_b32_e32 v2, s7
	v_add_co_u32_e32 v4, vcc, s6, v22
	v_addc_co_u32_e32 v5, vcc, v23, v2, vcc
	global_load_dwordx2 v[4:5], v[4:5], off offset:-4
.LBB1859_12:                            ;   in Loop: Header=BB1859_4 Depth=1
	s_or_b64 exec, exec, s[18:19]
	v_mov_b32_e32 v2, 0
	s_waitcnt vmcnt(0)
	ds_write_b64 v13, v[4:5]
	s_and_saveexec_b64 s[14:15], s[16:17]
	s_cbranch_execz .LBB1859_14
; %bb.13:                               ;   in Loop: Header=BB1859_4 Depth=1
	v_mov_b32_e32 v3, s7
	v_add_co_u32_e32 v2, vcc, s6, v16
	v_addc_co_u32_e32 v3, vcc, v17, v3, vcc
	global_load_dwordx2 v[2:3], v[2:3], off offset:-4
.LBB1859_14:                            ;   in Loop: Header=BB1859_4 Depth=1
	s_or_b64 exec, exec, s[14:15]
	s_waitcnt vmcnt(0)
	ds_write_b64 v15, v[2:3]
	s_waitcnt lgkmcnt(0)
	s_barrier
	s_and_saveexec_b64 s[14:15], s[4:5]
	s_cbranch_execz .LBB1859_3
; %bb.15:                               ;   in Loop: Header=BB1859_4 Depth=1
	ds_read2_b64 v[2:5], v14 offset1:32
	ds_read_b128 v[6:9], v12
	ds_read_b128 v[27:30], v12 offset:16
	s_waitcnt lgkmcnt(1)
	v_mul_f32_e32 v31, v3, v7
	v_mul_f32_e32 v35, v2, v7
	v_fma_f32 v36, v2, v6, -v31
	v_mul_f32_e32 v2, v5, v9
	v_mul_f32_e32 v38, v4, v9
	v_fmac_f32_e32 v35, v3, v6
	v_fma_f32 v37, v4, v8, -v2
	v_fmac_f32_e32 v38, v5, v8
	ds_read_b128 v[2:5], v12 offset:32
	ds_read_b128 v[6:9], v12 offset:48
	ds_read2_b64 v[31:34], v14 offset0:64 offset1:96
	v_add_f32_e32 v36, 0, v36
	v_add_f32_e32 v36, v36, v37
	v_add_f32_e32 v35, 0, v35
	v_add_f32_e32 v35, v35, v38
	s_waitcnt lgkmcnt(0)
	v_mul_f32_e32 v37, v32, v28
	v_fma_f32 v37, v31, v27, -v37
	v_mul_f32_e32 v31, v31, v28
	v_fmac_f32_e32 v31, v32, v27
	v_mul_f32_e32 v27, v34, v30
	v_fma_f32 v32, v33, v29, -v27
	v_mul_f32_e32 v33, v33, v30
	v_fmac_f32_e32 v33, v34, v29
	ds_read2_b64 v[27:30], v14 offset0:128 offset1:160
	v_add_f32_e32 v31, v35, v31
	v_add_f32_e32 v34, v36, v37
	;; [unrolled: 1-line block ×4, first 2 shown]
	s_waitcnt lgkmcnt(0)
	v_mul_f32_e32 v33, v28, v3
	v_mul_f32_e32 v3, v27, v3
	v_fma_f32 v33, v27, v2, -v33
	v_fmac_f32_e32 v3, v28, v2
	v_add_f32_e32 v2, v32, v33
	v_add_f32_e32 v3, v31, v3
	ds_read2_b64 v[31:34], v14 offset0:192 offset1:224
	v_mul_f32_e32 v27, v30, v5
	v_mul_f32_e32 v5, v29, v5
	v_fma_f32 v27, v29, v4, -v27
	v_fmac_f32_e32 v5, v30, v4
	s_waitcnt lgkmcnt(0)
	v_mul_f32_e32 v4, v32, v7
	v_add_f32_e32 v2, v2, v27
	v_add_f32_e32 v3, v3, v5
	v_fma_f32 v4, v31, v6, -v4
	v_mul_f32_e32 v5, v31, v7
	v_fmac_f32_e32 v5, v32, v6
	v_add_f32_e32 v6, v2, v4
	v_mul_f32_e32 v2, v34, v9
	v_add_f32_e32 v7, v3, v5
	v_fma_f32 v31, v33, v8, -v2
	ds_read_b128 v[2:5], v12 offset:64
	ds_read2_b64 v[27:30], v26 offset1:32
	v_mul_f32_e32 v9, v33, v9
	v_fmac_f32_e32 v9, v34, v8
	v_add_f32_e32 v31, v6, v31
	v_add_f32_e32 v32, v7, v9
	s_waitcnt lgkmcnt(0)
	v_mul_f32_e32 v33, v28, v3
	v_mul_f32_e32 v3, v27, v3
	v_fma_f32 v33, v27, v2, -v33
	v_fmac_f32_e32 v3, v28, v2
	ds_read_b128 v[6:9], v12 offset:80
	v_add_f32_e32 v2, v31, v33
	v_add_f32_e32 v3, v32, v3
	ds_read2_b64 v[31:34], v26 offset0:64 offset1:96
	v_mul_f32_e32 v27, v30, v5
	v_mul_f32_e32 v5, v29, v5
	v_fma_f32 v27, v29, v4, -v27
	v_fmac_f32_e32 v5, v30, v4
	s_waitcnt lgkmcnt(0)
	v_mul_f32_e32 v4, v32, v7
	v_add_f32_e32 v2, v2, v27
	v_add_f32_e32 v3, v3, v5
	v_fma_f32 v4, v31, v6, -v4
	v_mul_f32_e32 v5, v31, v7
	v_fmac_f32_e32 v5, v32, v6
	v_add_f32_e32 v6, v2, v4
	v_mul_f32_e32 v2, v34, v9
	v_add_f32_e32 v7, v3, v5
	v_fma_f32 v31, v33, v8, -v2
	ds_read_b128 v[2:5], v12 offset:96
	ds_read2_b64 v[27:30], v26 offset0:128 offset1:160
	v_mul_f32_e32 v9, v33, v9
	v_fmac_f32_e32 v9, v34, v8
	v_add_f32_e32 v31, v6, v31
	v_add_f32_e32 v32, v7, v9
	s_waitcnt lgkmcnt(0)
	v_mul_f32_e32 v33, v28, v3
	v_mul_f32_e32 v3, v27, v3
	v_fma_f32 v33, v27, v2, -v33
	v_fmac_f32_e32 v3, v28, v2
	ds_read_b128 v[6:9], v12 offset:112
	v_add_f32_e32 v2, v31, v33
	v_add_f32_e32 v3, v32, v3
	ds_read2_b64 v[31:34], v26 offset0:192 offset1:224
	v_mul_f32_e32 v27, v30, v5
	v_mul_f32_e32 v5, v29, v5
	v_fma_f32 v27, v29, v4, -v27
	v_fmac_f32_e32 v5, v30, v4
	s_waitcnt lgkmcnt(0)
	v_mul_f32_e32 v4, v32, v7
	v_add_f32_e32 v2, v2, v27
	v_add_f32_e32 v3, v3, v5
	v_fma_f32 v4, v31, v6, -v4
	v_mul_f32_e32 v5, v31, v7
	v_fmac_f32_e32 v5, v32, v6
	v_add_f32_e32 v6, v2, v4
	v_mul_f32_e32 v2, v34, v9
	v_add_f32_e32 v7, v3, v5
	v_fma_f32 v30, v33, v8, -v2
	ds_read_b128 v[2:5], v12 offset:128
	ds_read2_b64 v[26:29], v25 offset1:32
	v_mul_f32_e32 v9, v33, v9
	v_fmac_f32_e32 v9, v34, v8
	v_add_f32_e32 v6, v6, v30
	ds_read_b128 v[30:33], v12 offset:144
	ds_read2_b64 v[34:37], v25 offset0:64 offset1:96
	s_waitcnt lgkmcnt(2)
	v_mul_f32_e32 v8, v27, v3
	v_fma_f32 v8, v26, v2, -v8
	v_mul_f32_e32 v3, v26, v3
	v_add_f32_e32 v7, v7, v9
	v_fmac_f32_e32 v3, v27, v2
	v_add_f32_e32 v2, v6, v8
	v_mul_f32_e32 v6, v29, v5
	v_mul_f32_e32 v5, v28, v5
	v_add_f32_e32 v3, v7, v3
	v_fma_f32 v6, v28, v4, -v6
	v_fmac_f32_e32 v5, v29, v4
	s_waitcnt lgkmcnt(0)
	v_mul_f32_e32 v4, v35, v31
	v_add_f32_e32 v2, v2, v6
	v_add_f32_e32 v3, v3, v5
	v_fma_f32 v4, v34, v30, -v4
	v_mul_f32_e32 v5, v34, v31
	v_fmac_f32_e32 v5, v35, v30
	v_add_f32_e32 v26, v2, v4
	v_mul_f32_e32 v2, v37, v33
	v_add_f32_e32 v27, v3, v5
	v_fma_f32 v28, v36, v32, -v2
	ds_read_b128 v[2:5], v12 offset:160
	ds_read2_b64 v[6:9], v25 offset0:128 offset1:160
	global_load_dwordx2 v[34:35], v[10:11], off
	v_mul_f32_e32 v29, v36, v33
	v_fmac_f32_e32 v29, v37, v32
	v_add_f32_e32 v30, v26, v28
	s_waitcnt lgkmcnt(0)
	v_mul_f32_e32 v32, v7, v3
	v_mul_f32_e32 v3, v6, v3
	v_add_f32_e32 v31, v27, v29
	v_fma_f32 v32, v6, v2, -v32
	v_fmac_f32_e32 v3, v7, v2
	ds_read_b128 v[26:29], v12 offset:176
	v_add_f32_e32 v2, v30, v32
	v_add_f32_e32 v3, v31, v3
	ds_read2_b64 v[30:33], v25 offset0:192 offset1:224
	v_mul_f32_e32 v6, v9, v5
	v_mul_f32_e32 v5, v8, v5
	v_fma_f32 v6, v8, v4, -v6
	v_fmac_f32_e32 v5, v9, v4
	s_waitcnt lgkmcnt(0)
	v_mul_f32_e32 v4, v31, v27
	v_add_f32_e32 v2, v2, v6
	v_add_f32_e32 v3, v3, v5
	v_fma_f32 v4, v30, v26, -v4
	v_mul_f32_e32 v5, v30, v27
	v_fmac_f32_e32 v5, v31, v26
	v_add_f32_e32 v25, v2, v4
	v_mul_f32_e32 v2, v33, v29
	v_add_f32_e32 v26, v3, v5
	v_fma_f32 v27, v32, v28, -v2
	ds_read_b128 v[2:5], v12 offset:192
	ds_read2_b64 v[6:9], v24 offset1:32
	v_mul_f32_e32 v29, v32, v29
	v_fmac_f32_e32 v29, v33, v28
	v_add_f32_e32 v30, v25, v27
	v_add_f32_e32 v29, v26, v29
	s_waitcnt lgkmcnt(0)
	v_mul_f32_e32 v31, v7, v3
	v_mul_f32_e32 v3, v6, v3
	v_fma_f32 v31, v6, v2, -v31
	v_fmac_f32_e32 v3, v7, v2
	ds_read_b128 v[25:28], v12 offset:208
	v_add_f32_e32 v2, v30, v31
	v_add_f32_e32 v3, v29, v3
	ds_read2_b64 v[29:32], v24 offset0:64 offset1:96
	v_mul_f32_e32 v6, v9, v5
	v_mul_f32_e32 v5, v8, v5
	v_fma_f32 v6, v8, v4, -v6
	v_fmac_f32_e32 v5, v9, v4
	s_waitcnt lgkmcnt(0)
	v_mul_f32_e32 v4, v30, v26
	v_add_f32_e32 v2, v2, v6
	v_add_f32_e32 v3, v3, v5
	v_fma_f32 v4, v29, v25, -v4
	v_mul_f32_e32 v5, v29, v26
	v_fmac_f32_e32 v5, v30, v25
	v_add_f32_e32 v25, v2, v4
	v_mul_f32_e32 v2, v32, v28
	v_add_f32_e32 v26, v3, v5
	v_fma_f32 v29, v31, v27, -v2
	ds_read_b128 v[2:5], v12 offset:224
	ds_read2_b64 v[6:9], v24 offset0:128 offset1:160
	v_mul_f32_e32 v28, v31, v28
	v_fmac_f32_e32 v28, v32, v27
	v_add_f32_e32 v29, v25, v29
	v_add_f32_e32 v30, v26, v28
	s_waitcnt lgkmcnt(0)
	v_mul_f32_e32 v31, v7, v3
	v_mul_f32_e32 v3, v6, v3
	v_fma_f32 v31, v6, v2, -v31
	v_fmac_f32_e32 v3, v7, v2
	ds_read_b128 v[25:28], v12 offset:240
	v_add_f32_e32 v2, v29, v31
	v_add_f32_e32 v3, v30, v3
	ds_read2_b64 v[29:32], v24 offset0:192 offset1:224
	v_mul_f32_e32 v6, v9, v5
	v_mul_f32_e32 v5, v8, v5
	v_fmac_f32_e32 v5, v9, v4
	v_fma_f32 v6, v8, v4, -v6
	v_add_f32_e32 v3, v3, v5
	s_waitcnt lgkmcnt(0)
	v_mul_f32_e32 v4, v30, v26
	v_mul_f32_e32 v5, v29, v26
	v_add_f32_e32 v2, v2, v6
	v_fma_f32 v4, v29, v25, -v4
	v_fmac_f32_e32 v5, v30, v25
	v_add_f32_e32 v2, v2, v4
	v_add_f32_e32 v3, v3, v5
	v_mul_f32_e32 v4, v32, v28
	v_mul_f32_e32 v5, v31, v28
	v_fma_f32 v4, v31, v27, -v4
	v_fmac_f32_e32 v5, v32, v27
	v_add_f32_e32 v2, v2, v4
	v_add_f32_e32 v3, v3, v5
	v_mul_f32_e32 v4, s11, v3
	v_mul_f32_e32 v5, s11, v2
	v_fma_f32 v4, s10, v2, -v4
	v_fmac_f32_e32 v5, s10, v3
	s_waitcnt vmcnt(0)
	v_add_f32_e32 v2, v34, v4
	v_add_f32_e32 v3, v35, v5
	global_store_dwordx2 v[10:11], v[2:3], off
	s_branch .LBB1859_3
.LBB1859_16:
	s_endpgm
	.section	.rodata,"a",@progbits
	.p2align	6, 0x0
	.amdhsa_kernel _ZL26rocblas_syr2k_her2k_kernelIlLb1ELb0ELb1ELi32EPK19rocblas_complex_numIfES3_PS1_EvbiT_T4_T5_S5_lS7_S5_lT6_S5_li
		.amdhsa_group_segment_fixed_size 16384
		.amdhsa_private_segment_fixed_size 0
		.amdhsa_kernarg_size 100
		.amdhsa_user_sgpr_count 6
		.amdhsa_user_sgpr_private_segment_buffer 1
		.amdhsa_user_sgpr_dispatch_ptr 0
		.amdhsa_user_sgpr_queue_ptr 0
		.amdhsa_user_sgpr_kernarg_segment_ptr 1
		.amdhsa_user_sgpr_dispatch_id 0
		.amdhsa_user_sgpr_flat_scratch_init 0
		.amdhsa_user_sgpr_private_segment_size 0
		.amdhsa_uses_dynamic_stack 0
		.amdhsa_system_sgpr_private_segment_wavefront_offset 0
		.amdhsa_system_sgpr_workgroup_id_x 1
		.amdhsa_system_sgpr_workgroup_id_y 1
		.amdhsa_system_sgpr_workgroup_id_z 1
		.amdhsa_system_sgpr_workgroup_info 0
		.amdhsa_system_vgpr_workitem_id 1
		.amdhsa_next_free_vgpr 40
		.amdhsa_next_free_sgpr 61
		.amdhsa_reserve_vcc 1
		.amdhsa_reserve_flat_scratch 0
		.amdhsa_float_round_mode_32 0
		.amdhsa_float_round_mode_16_64 0
		.amdhsa_float_denorm_mode_32 3
		.amdhsa_float_denorm_mode_16_64 3
		.amdhsa_dx10_clamp 1
		.amdhsa_ieee_mode 1
		.amdhsa_fp16_overflow 0
		.amdhsa_exception_fp_ieee_invalid_op 0
		.amdhsa_exception_fp_denorm_src 0
		.amdhsa_exception_fp_ieee_div_zero 0
		.amdhsa_exception_fp_ieee_overflow 0
		.amdhsa_exception_fp_ieee_underflow 0
		.amdhsa_exception_fp_ieee_inexact 0
		.amdhsa_exception_int_div_zero 0
	.end_amdhsa_kernel
	.section	.text._ZL26rocblas_syr2k_her2k_kernelIlLb1ELb0ELb1ELi32EPK19rocblas_complex_numIfES3_PS1_EvbiT_T4_T5_S5_lS7_S5_lT6_S5_li,"axG",@progbits,_ZL26rocblas_syr2k_her2k_kernelIlLb1ELb0ELb1ELi32EPK19rocblas_complex_numIfES3_PS1_EvbiT_T4_T5_S5_lS7_S5_lT6_S5_li,comdat
.Lfunc_end1859:
	.size	_ZL26rocblas_syr2k_her2k_kernelIlLb1ELb0ELb1ELi32EPK19rocblas_complex_numIfES3_PS1_EvbiT_T4_T5_S5_lS7_S5_lT6_S5_li, .Lfunc_end1859-_ZL26rocblas_syr2k_her2k_kernelIlLb1ELb0ELb1ELi32EPK19rocblas_complex_numIfES3_PS1_EvbiT_T4_T5_S5_lS7_S5_lT6_S5_li
                                        ; -- End function
	.set _ZL26rocblas_syr2k_her2k_kernelIlLb1ELb0ELb1ELi32EPK19rocblas_complex_numIfES3_PS1_EvbiT_T4_T5_S5_lS7_S5_lT6_S5_li.num_vgpr, 40
	.set _ZL26rocblas_syr2k_her2k_kernelIlLb1ELb0ELb1ELi32EPK19rocblas_complex_numIfES3_PS1_EvbiT_T4_T5_S5_lS7_S5_lT6_S5_li.num_agpr, 0
	.set _ZL26rocblas_syr2k_her2k_kernelIlLb1ELb0ELb1ELi32EPK19rocblas_complex_numIfES3_PS1_EvbiT_T4_T5_S5_lS7_S5_lT6_S5_li.numbered_sgpr, 32
	.set _ZL26rocblas_syr2k_her2k_kernelIlLb1ELb0ELb1ELi32EPK19rocblas_complex_numIfES3_PS1_EvbiT_T4_T5_S5_lS7_S5_lT6_S5_li.num_named_barrier, 0
	.set _ZL26rocblas_syr2k_her2k_kernelIlLb1ELb0ELb1ELi32EPK19rocblas_complex_numIfES3_PS1_EvbiT_T4_T5_S5_lS7_S5_lT6_S5_li.private_seg_size, 0
	.set _ZL26rocblas_syr2k_her2k_kernelIlLb1ELb0ELb1ELi32EPK19rocblas_complex_numIfES3_PS1_EvbiT_T4_T5_S5_lS7_S5_lT6_S5_li.uses_vcc, 1
	.set _ZL26rocblas_syr2k_her2k_kernelIlLb1ELb0ELb1ELi32EPK19rocblas_complex_numIfES3_PS1_EvbiT_T4_T5_S5_lS7_S5_lT6_S5_li.uses_flat_scratch, 0
	.set _ZL26rocblas_syr2k_her2k_kernelIlLb1ELb0ELb1ELi32EPK19rocblas_complex_numIfES3_PS1_EvbiT_T4_T5_S5_lS7_S5_lT6_S5_li.has_dyn_sized_stack, 0
	.set _ZL26rocblas_syr2k_her2k_kernelIlLb1ELb0ELb1ELi32EPK19rocblas_complex_numIfES3_PS1_EvbiT_T4_T5_S5_lS7_S5_lT6_S5_li.has_recursion, 0
	.set _ZL26rocblas_syr2k_her2k_kernelIlLb1ELb0ELb1ELi32EPK19rocblas_complex_numIfES3_PS1_EvbiT_T4_T5_S5_lS7_S5_lT6_S5_li.has_indirect_call, 0
	.section	.AMDGPU.csdata,"",@progbits
; Kernel info:
; codeLenInByte = 3564
; TotalNumSgprs: 36
; NumVgprs: 40
; ScratchSize: 0
; MemoryBound: 0
; FloatMode: 240
; IeeeMode: 1
; LDSByteSize: 16384 bytes/workgroup (compile time only)
; SGPRBlocks: 8
; VGPRBlocks: 9
; NumSGPRsForWavesPerEU: 65
; NumVGPRsForWavesPerEU: 40
; Occupancy: 6
; WaveLimiterHint : 0
; COMPUTE_PGM_RSRC2:SCRATCH_EN: 0
; COMPUTE_PGM_RSRC2:USER_SGPR: 6
; COMPUTE_PGM_RSRC2:TRAP_HANDLER: 0
; COMPUTE_PGM_RSRC2:TGID_X_EN: 1
; COMPUTE_PGM_RSRC2:TGID_Y_EN: 1
; COMPUTE_PGM_RSRC2:TGID_Z_EN: 1
; COMPUTE_PGM_RSRC2:TIDIG_COMP_CNT: 1
	.section	.text._ZL26rocblas_syr2k_her2k_kernelIlLb1ELb0ELb0ELi32E19rocblas_complex_numIdEPKS1_PS1_EvbiT_T4_T5_S5_lS7_S5_lT6_S5_li,"axG",@progbits,_ZL26rocblas_syr2k_her2k_kernelIlLb1ELb0ELb0ELi32E19rocblas_complex_numIdEPKS1_PS1_EvbiT_T4_T5_S5_lS7_S5_lT6_S5_li,comdat
	.globl	_ZL26rocblas_syr2k_her2k_kernelIlLb1ELb0ELb0ELi32E19rocblas_complex_numIdEPKS1_PS1_EvbiT_T4_T5_S5_lS7_S5_lT6_S5_li ; -- Begin function _ZL26rocblas_syr2k_her2k_kernelIlLb1ELb0ELb0ELi32E19rocblas_complex_numIdEPKS1_PS1_EvbiT_T4_T5_S5_lS7_S5_lT6_S5_li
	.p2align	8
	.type	_ZL26rocblas_syr2k_her2k_kernelIlLb1ELb0ELb0ELi32E19rocblas_complex_numIdEPKS1_PS1_EvbiT_T4_T5_S5_lS7_S5_lT6_S5_li,@function
_ZL26rocblas_syr2k_her2k_kernelIlLb1ELb0ELb0ELi32E19rocblas_complex_numIdEPKS1_PS1_EvbiT_T4_T5_S5_lS7_S5_lT6_S5_li: ; @_ZL26rocblas_syr2k_her2k_kernelIlLb1ELb0ELb0ELi32E19rocblas_complex_numIdEPKS1_PS1_EvbiT_T4_T5_S5_lS7_S5_lT6_S5_li
; %bb.0:
	s_load_dwordx16 s[12:27], s[4:5], 0x8
	s_waitcnt lgkmcnt(0)
	v_cmp_eq_f64_e64 s[0:1], s[14:15], 0
	v_cmp_eq_f64_e64 s[2:3], s[16:17], 0
	s_and_b64 s[0:1], s[0:1], s[2:3]
	s_and_b64 vcc, exec, s[0:1]
	s_cbranch_vccnz .LBB1860_16
; %bb.1:
	s_load_dwordx2 s[10:11], s[4:5], 0x0
	s_lshl_b32 s2, s7, 5
	s_lshl_b32 s3, s6, 5
	s_waitcnt lgkmcnt(0)
	s_and_b32 s0, 1, s10
	s_cmp_eq_u32 s0, 1
	s_cselect_b64 s[0:1], -1, 0
	s_and_b64 s[6:7], s[0:1], exec
	s_cselect_b32 s6, s3, s2
	s_cselect_b32 s7, s2, s3
	s_cmp_gt_i32 s6, s7
	v_cmp_lt_i64_e64 s[6:7], s[12:13], 1
	s_cselect_b64 s[28:29], -1, 0
	s_or_b64 s[6:7], s[28:29], s[6:7]
	s_and_b64 vcc, exec, s[6:7]
	s_cbranch_vccnz .LBB1860_16
; %bb.2:
	s_load_dwordx8 s[36:43], s[4:5], 0x48
	s_mul_i32 s6, s23, s8
	s_mul_hi_u32 s7, s22, s8
	v_add_u32_e32 v2, s2, v1
	v_lshlrev_b32_e32 v24, 9, v0
	s_waitcnt lgkmcnt(0)
	s_mul_i32 s5, s43, s8
	s_mul_hi_u32 s9, s42, s8
	s_mul_i32 s4, s42, s8
	s_add_i32 s5, s9, s5
	s_lshl_b64 s[4:5], s[4:5], 4
	s_add_u32 s9, s38, s4
	s_addc_u32 s10, s39, s5
	s_add_i32 s5, s7, s6
	s_mul_i32 s4, s22, s8
	s_lshl_b64 s[4:5], s[4:5], 4
	v_lshlrev_b32_e32 v6, 4, v1
	s_add_u32 s28, s18, s4
	v_add_u32_e32 v25, v24, v6
	v_or_b32_e32 v26, 0x4000, v6
	v_ashrrev_i32_e32 v6, 31, v2
	s_addc_u32 s29, s19, s5
	v_mul_lo_u32 v11, s40, v6
	v_mul_lo_u32 v12, s41, v2
	v_mad_u64_u32 v[6:7], s[4:5], s40, v2, 0
	v_add_u32_e32 v4, s3, v0
	v_max_i32_e32 v10, v4, v2
	v_cmp_gt_i32_e32 vcc, s11, v10
	v_add3_u32 v7, v7, v11, v12
	v_mad_u64_u32 v[10:11], s[6:7], s20, v0, 0
	v_cndmask_b32_e64 v8, v4, v2, s[0:1]
	v_cndmask_b32_e64 v9, v2, v4, s[0:1]
	v_lshlrev_b64 v[6:7], 4, v[6:7]
	v_cmp_le_i32_e64 s[4:5], v9, v8
	s_and_b64 s[4:5], s[4:5], vcc
	v_ashrrev_i32_e32 v9, 31, v4
	v_mov_b32_e32 v8, v4
	v_mov_b32_e32 v12, s10
	v_add_co_u32_e32 v13, vcc, s9, v6
	v_addc_co_u32_e32 v12, vcc, v12, v7, vcc
	v_lshlrev_b64 v[6:7], 4, v[8:9]
	v_mov_b32_e32 v8, v11
	v_mad_u64_u32 v[8:9], s[6:7], s21, v0, v[8:9]
	v_mov_b32_e32 v5, 0
	s_ashr_i32 s3, s11, 31
	s_mov_b32 s2, s11
	v_mov_b32_e32 v3, v5
	v_add_co_u32_e32 v22, vcc, v13, v6
	v_mov_b32_e32 v11, v8
	v_mad_u64_u32 v[8:9], s[6:7], s20, v1, 0
	v_cmp_gt_i64_e64 s[0:1], s[2:3], v[4:5]
	v_cmp_gt_i64_e64 s[2:3], s[2:3], v[2:3]
	v_addc_co_u32_e32 v23, vcc, v12, v7, vcc
	v_lshlrev_b64 v[6:7], 4, v[10:11]
	v_lshlrev_b64 v[2:3], 4, v[2:3]
	v_mad_u64_u32 v[10:11], s[10:11], s26, v0, 0
	v_add_co_u32_e32 v6, vcc, v6, v2
	v_or_b32_e32 v29, 8, v6
	v_mov_b32_e32 v6, v9
	v_addc_co_u32_e32 v28, vcc, v7, v3, vcc
	v_mad_u64_u32 v[6:7], s[6:7], s21, v1, v[6:7]
	v_lshlrev_b64 v[4:5], 4, v[4:5]
	s_mul_i32 s9, s37, s8
	v_mov_b32_e32 v9, v6
	v_lshlrev_b64 v[6:7], 4, v[8:9]
	v_mov_b32_e32 v8, v11
	v_mad_u64_u32 v[8:9], s[10:11], s27, v0, v[8:9]
	v_add_co_u32_e32 v30, vcc, v6, v4
	v_mov_b32_e32 v11, v8
	v_addc_co_u32_e32 v31, vcc, v7, v5, vcc
	v_lshlrev_b64 v[6:7], 4, v[10:11]
	s_mul_hi_u32 s10, s36, s8
	v_add_co_u32_e32 v32, vcc, v6, v2
	v_addc_co_u32_e32 v33, vcc, v7, v3, vcc
	s_add_i32 s9, s10, s9
	v_mad_u64_u32 v[2:3], s[10:11], s26, v1, 0
	s_mul_i32 s8, s36, s8
	s_lshl_b64 s[6:7], s[20:21], 9
	s_lshl_b64 s[8:9], s[8:9], 4
	s_add_u32 s10, s24, s8
	s_addc_u32 s11, s25, s9
	v_mad_u64_u32 v[6:7], s[8:9], s27, v1, v[3:4]
	s_add_u32 s24, s10, 8
	v_add_u32_e32 v27, v26, v24
	v_mov_b32_e32 v3, v6
	v_lshlrev_b64 v[2:3], 4, v[2:3]
	s_addc_u32 s25, s11, 0
	v_add_co_u32_e32 v34, vcc, v2, v4
	s_lshl_b64 s[8:9], s[26:27], 9
	v_addc_co_u32_e32 v35, vcc, v3, v5, vcc
	s_mov_b64 s[10:11], 0
	s_branch .LBB1860_4
.LBB1860_3:                             ;   in Loop: Header=BB1860_4 Depth=1
	s_or_b64 exec, exec, s[18:19]
	s_add_u32 s10, s10, 32
	s_addc_u32 s11, s11, 0
	v_mov_b32_e32 v2, s12
	s_add_u32 s28, s28, s6
	v_mov_b32_e32 v3, s13
	s_addc_u32 s29, s29, s7
	v_cmp_lt_i64_e32 vcc, s[10:11], v[2:3]
	s_add_u32 s24, s24, s8
	s_addc_u32 s25, s25, s9
	s_waitcnt vmcnt(0)
	s_barrier
	s_cbranch_vccz .LBB1860_16
.LBB1860_4:                             ; =>This Inner Loop Header: Depth=1
	v_mov_b32_e32 v3, s11
	v_add_co_u32_e32 v2, vcc, s10, v1
	v_addc_co_u32_e32 v3, vcc, 0, v3, vcc
	v_cmp_gt_i64_e32 vcc, s[12:13], v[2:3]
	v_mov_b32_e32 v2, 0
	v_mov_b32_e32 v4, 0
	;; [unrolled: 1-line block ×6, first 2 shown]
	s_and_b64 s[18:19], s[0:1], vcc
	s_and_saveexec_b64 s[20:21], s[18:19]
	s_cbranch_execz .LBB1860_6
; %bb.5:                                ;   in Loop: Header=BB1860_4 Depth=1
	v_mov_b32_e32 v5, s29
	v_add_co_u32_e32 v4, vcc, s28, v30
	v_addc_co_u32_e32 v5, vcc, v5, v31, vcc
	global_load_dwordx4 v[4:7], v[4:5], off
.LBB1860_6:                             ;   in Loop: Header=BB1860_4 Depth=1
	s_or_b64 exec, exec, s[20:21]
	s_waitcnt vmcnt(0)
	ds_write_b128 v25, v[4:7]
	v_mov_b32_e32 v5, s11
	v_add_co_u32_e32 v4, vcc, s10, v0
	v_addc_co_u32_e32 v5, vcc, 0, v5, vcc
	v_cmp_gt_i64_e32 vcc, s[12:13], v[4:5]
	v_mov_b32_e32 v4, 0
	v_mov_b32_e32 v5, 0
	s_and_b64 s[20:21], s[2:3], vcc
	s_and_saveexec_b64 s[22:23], s[20:21]
	s_cbranch_execz .LBB1860_8
; %bb.7:                                ;   in Loop: Header=BB1860_4 Depth=1
	v_mov_b32_e32 v3, s25
	v_add_co_u32_e32 v2, vcc, s24, v32
	v_addc_co_u32_e32 v3, vcc, v3, v33, vcc
	global_load_dwordx4 v[2:5], v[2:3], off offset:-8
.LBB1860_8:                             ;   in Loop: Header=BB1860_4 Depth=1
	s_or_b64 exec, exec, s[22:23]
	s_waitcnt vmcnt(0)
	ds_write_b128 v27, v[2:5]
	s_waitcnt lgkmcnt(0)
	s_barrier
	s_and_saveexec_b64 s[22:23], s[4:5]
	s_cbranch_execz .LBB1860_10
; %bb.9:                                ;   in Loop: Header=BB1860_4 Depth=1
	ds_read_b128 v[6:9], v26
	ds_read_b128 v[10:13], v24
	ds_read_b128 v[14:17], v24 offset:16
	ds_read_b128 v[18:21], v24 offset:32
	;; [unrolled: 1-line block ×3, first 2 shown]
	s_waitcnt lgkmcnt(3)
	v_mul_f64 v[36:37], v[8:9], v[12:13]
	v_fma_f64 v[36:37], v[6:7], v[10:11], -v[36:37]
	v_mul_f64 v[6:7], v[6:7], v[12:13]
	v_fma_f64 v[6:7], v[8:9], v[10:11], v[6:7]
	v_add_f64 v[10:11], v[36:37], 0
	v_add_f64 v[12:13], v[6:7], 0
	ds_read_b128 v[6:9], v26 offset:512
	s_waitcnt lgkmcnt(0)
	v_mul_f64 v[36:37], v[8:9], v[16:17]
	v_fma_f64 v[36:37], v[6:7], v[14:15], -v[36:37]
	v_mul_f64 v[6:7], v[6:7], v[16:17]
	v_add_f64 v[10:11], v[10:11], v[36:37]
	v_fma_f64 v[6:7], v[8:9], v[14:15], v[6:7]
	v_add_f64 v[12:13], v[12:13], v[6:7]
	ds_read_b128 v[6:9], v26 offset:1024
	s_waitcnt lgkmcnt(0)
	v_mul_f64 v[14:15], v[8:9], v[20:21]
	v_fma_f64 v[14:15], v[6:7], v[18:19], -v[14:15]
	v_mul_f64 v[6:7], v[6:7], v[20:21]
	v_add_f64 v[10:11], v[10:11], v[14:15]
	v_fma_f64 v[6:7], v[8:9], v[18:19], v[6:7]
	v_add_f64 v[12:13], v[12:13], v[6:7]
	ds_read_b128 v[6:9], v26 offset:1536
	s_waitcnt lgkmcnt(0)
	v_mul_f64 v[14:15], v[8:9], v[4:5]
	v_mul_f64 v[4:5], v[6:7], v[4:5]
	v_fma_f64 v[14:15], v[6:7], v[2:3], -v[14:15]
	v_fma_f64 v[2:3], v[8:9], v[2:3], v[4:5]
	v_add_f64 v[10:11], v[10:11], v[14:15]
	v_add_f64 v[12:13], v[12:13], v[2:3]
	ds_read_b128 v[2:5], v26 offset:2048
	ds_read_b128 v[6:9], v24 offset:64
	s_waitcnt lgkmcnt(0)
	v_mul_f64 v[14:15], v[4:5], v[8:9]
	v_fma_f64 v[14:15], v[2:3], v[6:7], -v[14:15]
	v_mul_f64 v[2:3], v[2:3], v[8:9]
	v_add_f64 v[10:11], v[10:11], v[14:15]
	v_fma_f64 v[2:3], v[4:5], v[6:7], v[2:3]
	v_add_f64 v[12:13], v[12:13], v[2:3]
	ds_read_b128 v[2:5], v26 offset:2560
	ds_read_b128 v[6:9], v24 offset:80
	s_waitcnt lgkmcnt(0)
	v_mul_f64 v[14:15], v[4:5], v[8:9]
	v_fma_f64 v[14:15], v[2:3], v[6:7], -v[14:15]
	v_mul_f64 v[2:3], v[2:3], v[8:9]
	v_add_f64 v[10:11], v[10:11], v[14:15]
	v_fma_f64 v[2:3], v[4:5], v[6:7], v[2:3]
	;; [unrolled: 9-line block ×27, first 2 shown]
	v_add_f64 v[12:13], v[12:13], v[2:3]
	ds_read_b128 v[2:5], v26 offset:15872
	ds_read_b128 v[6:9], v24 offset:496
	s_waitcnt lgkmcnt(0)
	v_mul_f64 v[14:15], v[4:5], v[8:9]
	v_fma_f64 v[14:15], v[2:3], v[6:7], -v[14:15]
	v_mul_f64 v[2:3], v[2:3], v[8:9]
	v_fma_f64 v[2:3], v[4:5], v[6:7], v[2:3]
	v_add_f64 v[4:5], v[10:11], v[14:15]
	v_add_f64 v[2:3], v[12:13], v[2:3]
	v_mul_f64 v[6:7], s[16:17], v[2:3]
	v_mul_f64 v[2:3], s[14:15], v[2:3]
	v_fma_f64 v[6:7], s[14:15], v[4:5], -v[6:7]
	v_fma_f64 v[8:9], s[16:17], v[4:5], v[2:3]
	global_load_dwordx4 v[2:5], v[22:23], off
	s_waitcnt vmcnt(0)
	v_add_f64 v[2:3], v[2:3], v[6:7]
	v_add_f64 v[4:5], v[4:5], v[8:9]
	global_store_dwordx4 v[22:23], v[2:5], off
.LBB1860_10:                            ;   in Loop: Header=BB1860_4 Depth=1
	s_or_b64 exec, exec, s[22:23]
	v_mov_b32_e32 v4, 0
	v_mov_b32_e32 v8, 0
	v_mov_b32_e32 v6, 0
	v_mov_b32_e32 v5, 0
	v_mov_b32_e32 v9, 0
	v_mov_b32_e32 v7, 0
	s_waitcnt vmcnt(0)
	s_barrier
	s_and_saveexec_b64 s[22:23], s[18:19]
	s_cbranch_execz .LBB1860_12
; %bb.11:                               ;   in Loop: Header=BB1860_4 Depth=1
	v_mov_b32_e32 v3, s25
	v_add_co_u32_e32 v2, vcc, s24, v34
	v_addc_co_u32_e32 v3, vcc, v3, v35, vcc
	global_load_dwordx4 v[6:9], v[2:3], off offset:-8
.LBB1860_12:                            ;   in Loop: Header=BB1860_4 Depth=1
	s_or_b64 exec, exec, s[22:23]
	v_mov_b32_e32 v2, 0
	v_mov_b32_e32 v3, 0
	s_waitcnt vmcnt(0)
	ds_write_b128 v25, v[6:9]
	s_and_saveexec_b64 s[18:19], s[20:21]
	s_cbranch_execz .LBB1860_14
; %bb.13:                               ;   in Loop: Header=BB1860_4 Depth=1
	v_mov_b32_e32 v3, s29
	v_add_co_u32_e32 v2, vcc, s28, v29
	v_addc_co_u32_e32 v3, vcc, v3, v28, vcc
	global_load_dwordx4 v[2:5], v[2:3], off offset:-8
.LBB1860_14:                            ;   in Loop: Header=BB1860_4 Depth=1
	s_or_b64 exec, exec, s[18:19]
	s_waitcnt vmcnt(0)
	ds_write_b128 v27, v[2:5]
	s_waitcnt lgkmcnt(0)
	s_barrier
	s_and_saveexec_b64 s[18:19], s[4:5]
	s_cbranch_execz .LBB1860_3
; %bb.15:                               ;   in Loop: Header=BB1860_4 Depth=1
	ds_read_b128 v[2:5], v26
	ds_read_b128 v[6:9], v24
	ds_read_b128 v[10:13], v24 offset:16
	ds_read_b128 v[14:17], v26 offset:512
	;; [unrolled: 1-line block ×5, first 2 shown]
	s_waitcnt lgkmcnt(5)
	v_mul_f64 v[44:45], v[2:3], v[8:9]
	v_mul_f64 v[8:9], v[4:5], v[8:9]
	s_waitcnt lgkmcnt(3)
	v_mul_f64 v[46:47], v[16:17], v[12:13]
	v_mul_f64 v[12:13], v[14:15], v[12:13]
	;; [unrolled: 3-line block ×3, first 2 shown]
	v_fma_f64 v[44:45], v[4:5], v[6:7], v[44:45]
	v_fma_f64 v[48:49], v[2:3], v[6:7], -v[8:9]
	v_fma_f64 v[46:47], v[14:15], v[10:11], -v[46:47]
	v_fma_f64 v[52:53], v[16:17], v[10:11], v[12:13]
	ds_read_b128 v[2:5], v26 offset:1536
	ds_read_b128 v[6:9], v24 offset:64
	v_fma_f64 v[50:51], v[18:19], v[36:37], -v[50:51]
	v_fma_f64 v[56:57], v[20:21], v[36:37], v[38:39]
	ds_read_b128 v[10:13], v26 offset:2048
	ds_read_b128 v[14:17], v26 offset:2560
	v_add_f64 v[44:45], v[44:45], 0
	v_add_f64 v[48:49], v[48:49], 0
	s_waitcnt lgkmcnt(3)
	v_mul_f64 v[54:55], v[4:5], v[42:43]
	v_mul_f64 v[42:43], v[2:3], v[42:43]
	ds_read_b128 v[18:21], v24 offset:80
	ds_read_b128 v[36:39], v24 offset:96
	v_add_f64 v[44:45], v[44:45], v[52:53]
	v_add_f64 v[46:47], v[48:49], v[46:47]
	s_waitcnt lgkmcnt(3)
	v_mul_f64 v[48:49], v[12:13], v[8:9]
	v_mul_f64 v[8:9], v[10:11], v[8:9]
	v_fma_f64 v[52:53], v[2:3], v[40:41], -v[54:55]
	v_fma_f64 v[54:55], v[4:5], v[40:41], v[42:43]
	ds_read_b128 v[2:5], v26 offset:3072
	ds_read_b128 v[40:43], v26 offset:3584
	v_add_f64 v[44:45], v[44:45], v[56:57]
	v_add_f64 v[46:47], v[46:47], v[50:51]
	s_waitcnt lgkmcnt(3)
	v_mul_f64 v[50:51], v[16:17], v[20:21]
	v_mul_f64 v[20:21], v[14:15], v[20:21]
	v_fma_f64 v[48:49], v[10:11], v[6:7], -v[48:49]
	v_fma_f64 v[56:57], v[12:13], v[6:7], v[8:9]
	ds_read_b128 v[6:9], v24 offset:112
	ds_read_b128 v[10:13], v24 offset:128
	v_add_f64 v[44:45], v[44:45], v[54:55]
	v_add_f64 v[46:47], v[46:47], v[52:53]
	s_waitcnt lgkmcnt(3)
	v_mul_f64 v[52:53], v[4:5], v[38:39]
	v_mul_f64 v[38:39], v[2:3], v[38:39]
	v_fma_f64 v[50:51], v[14:15], v[18:19], -v[50:51]
	v_fma_f64 v[54:55], v[16:17], v[18:19], v[20:21]
	ds_read_b128 v[14:17], v26 offset:4096
	ds_read_b128 v[18:21], v26 offset:4608
	v_add_f64 v[44:45], v[44:45], v[56:57]
	v_add_f64 v[46:47], v[46:47], v[48:49]
	s_waitcnt lgkmcnt(3)
	v_mul_f64 v[48:49], v[42:43], v[8:9]
	v_mul_f64 v[8:9], v[40:41], v[8:9]
	v_fma_f64 v[52:53], v[2:3], v[36:37], -v[52:53]
	v_fma_f64 v[56:57], v[4:5], v[36:37], v[38:39]
	ds_read_b128 v[2:5], v24 offset:144
	ds_read_b128 v[36:39], v24 offset:160
	v_add_f64 v[44:45], v[44:45], v[54:55]
	v_add_f64 v[46:47], v[46:47], v[50:51]
	s_waitcnt lgkmcnt(3)
	v_mul_f64 v[50:51], v[16:17], v[12:13]
	v_mul_f64 v[12:13], v[14:15], v[12:13]
	v_fma_f64 v[48:49], v[40:41], v[6:7], -v[48:49]
	v_fma_f64 v[54:55], v[42:43], v[6:7], v[8:9]
	ds_read_b128 v[6:9], v26 offset:5120
	ds_read_b128 v[40:43], v26 offset:5632
	v_add_f64 v[44:45], v[44:45], v[56:57]
	v_add_f64 v[46:47], v[46:47], v[52:53]
	s_waitcnt lgkmcnt(3)
	v_mul_f64 v[52:53], v[20:21], v[4:5]
	v_mul_f64 v[4:5], v[18:19], v[4:5]
	v_fma_f64 v[50:51], v[14:15], v[10:11], -v[50:51]
	v_fma_f64 v[56:57], v[16:17], v[10:11], v[12:13]
	ds_read_b128 v[10:13], v24 offset:176
	ds_read_b128 v[14:17], v24 offset:192
	v_add_f64 v[44:45], v[44:45], v[54:55]
	v_add_f64 v[46:47], v[46:47], v[48:49]
	s_waitcnt lgkmcnt(3)
	v_mul_f64 v[48:49], v[8:9], v[38:39]
	v_mul_f64 v[38:39], v[6:7], v[38:39]
	v_fma_f64 v[52:53], v[18:19], v[2:3], -v[52:53]
	v_fma_f64 v[54:55], v[20:21], v[2:3], v[4:5]
	ds_read_b128 v[2:5], v26 offset:6144
	ds_read_b128 v[18:21], v26 offset:6656
	v_add_f64 v[44:45], v[44:45], v[56:57]
	v_add_f64 v[46:47], v[46:47], v[50:51]
	s_waitcnt lgkmcnt(3)
	v_mul_f64 v[50:51], v[42:43], v[12:13]
	v_mul_f64 v[12:13], v[40:41], v[12:13]
	v_fma_f64 v[48:49], v[6:7], v[36:37], -v[48:49]
	v_fma_f64 v[56:57], v[8:9], v[36:37], v[38:39]
	ds_read_b128 v[6:9], v24 offset:208
	ds_read_b128 v[36:39], v24 offset:224
	v_add_f64 v[44:45], v[44:45], v[54:55]
	v_add_f64 v[46:47], v[46:47], v[52:53]
	s_waitcnt lgkmcnt(3)
	v_mul_f64 v[52:53], v[4:5], v[16:17]
	v_mul_f64 v[16:17], v[2:3], v[16:17]
	v_fma_f64 v[50:51], v[40:41], v[10:11], -v[50:51]
	v_fma_f64 v[54:55], v[42:43], v[10:11], v[12:13]
	ds_read_b128 v[10:13], v26 offset:7168
	ds_read_b128 v[40:43], v26 offset:7680
	v_add_f64 v[44:45], v[44:45], v[56:57]
	v_add_f64 v[46:47], v[46:47], v[48:49]
	s_waitcnt lgkmcnt(3)
	v_mul_f64 v[48:49], v[20:21], v[8:9]
	v_mul_f64 v[8:9], v[18:19], v[8:9]
	v_fma_f64 v[52:53], v[2:3], v[14:15], -v[52:53]
	v_fma_f64 v[56:57], v[4:5], v[14:15], v[16:17]
	ds_read_b128 v[2:5], v24 offset:240
	ds_read_b128 v[14:17], v24 offset:256
	v_add_f64 v[44:45], v[44:45], v[54:55]
	v_add_f64 v[46:47], v[46:47], v[50:51]
	s_waitcnt lgkmcnt(3)
	v_mul_f64 v[50:51], v[12:13], v[38:39]
	v_mul_f64 v[38:39], v[10:11], v[38:39]
	v_fma_f64 v[48:49], v[18:19], v[6:7], -v[48:49]
	v_fma_f64 v[54:55], v[20:21], v[6:7], v[8:9]
	ds_read_b128 v[6:9], v26 offset:8192
	ds_read_b128 v[18:21], v26 offset:8704
	v_add_f64 v[44:45], v[44:45], v[56:57]
	v_add_f64 v[46:47], v[46:47], v[52:53]
	s_waitcnt lgkmcnt(3)
	v_mul_f64 v[52:53], v[42:43], v[4:5]
	v_mul_f64 v[4:5], v[40:41], v[4:5]
	v_fma_f64 v[50:51], v[10:11], v[36:37], -v[50:51]
	v_fma_f64 v[56:57], v[12:13], v[36:37], v[38:39]
	ds_read_b128 v[10:13], v24 offset:272
	ds_read_b128 v[36:39], v24 offset:288
	v_add_f64 v[44:45], v[44:45], v[54:55]
	v_add_f64 v[46:47], v[46:47], v[48:49]
	s_waitcnt lgkmcnt(3)
	v_mul_f64 v[48:49], v[8:9], v[16:17]
	v_mul_f64 v[16:17], v[6:7], v[16:17]
	v_fma_f64 v[52:53], v[40:41], v[2:3], -v[52:53]
	v_fma_f64 v[54:55], v[42:43], v[2:3], v[4:5]
	ds_read_b128 v[2:5], v26 offset:9216
	ds_read_b128 v[40:43], v26 offset:9728
	v_add_f64 v[44:45], v[44:45], v[56:57]
	v_add_f64 v[46:47], v[46:47], v[50:51]
	s_waitcnt lgkmcnt(3)
	v_mul_f64 v[50:51], v[20:21], v[12:13]
	v_mul_f64 v[56:57], v[18:19], v[12:13]
	v_fma_f64 v[48:49], v[6:7], v[14:15], -v[48:49]
	v_fma_f64 v[16:17], v[8:9], v[14:15], v[16:17]
	ds_read_b128 v[6:9], v24 offset:304
	ds_read_b128 v[12:15], v24 offset:320
	v_add_f64 v[44:45], v[44:45], v[54:55]
	v_add_f64 v[46:47], v[46:47], v[52:53]
	s_waitcnt lgkmcnt(3)
	v_mul_f64 v[52:53], v[4:5], v[38:39]
	v_mul_f64 v[38:39], v[2:3], v[38:39]
	v_fma_f64 v[50:51], v[18:19], v[10:11], -v[50:51]
	v_fma_f64 v[10:11], v[20:21], v[10:11], v[56:57]
	s_waitcnt lgkmcnt(1)
	v_mul_f64 v[54:55], v[42:43], v[8:9]
	v_mul_f64 v[56:57], v[40:41], v[8:9]
	v_add_f64 v[20:21], v[44:45], v[16:17]
	v_add_f64 v[48:49], v[46:47], v[48:49]
	v_fma_f64 v[52:53], v[2:3], v[36:37], -v[52:53]
	v_fma_f64 v[36:37], v[4:5], v[36:37], v[38:39]
	ds_read_b128 v[16:19], v26 offset:10240
	ds_read_b128 v[44:47], v26 offset:10752
	v_add_f64 v[20:21], v[20:21], v[10:11]
	v_add_f64 v[38:39], v[48:49], v[50:51]
	s_waitcnt lgkmcnt(1)
	v_mul_f64 v[48:49], v[18:19], v[14:15]
	v_mul_f64 v[14:15], v[16:17], v[14:15]
	v_fma_f64 v[50:51], v[40:41], v[6:7], -v[54:55]
	v_fma_f64 v[6:7], v[42:43], v[6:7], v[56:57]
	ds_read_b128 v[2:5], v24 offset:336
	ds_read_b128 v[8:11], v24 offset:352
	v_add_f64 v[20:21], v[20:21], v[36:37]
	v_add_f64 v[52:53], v[38:39], v[52:53]
	s_waitcnt lgkmcnt(1)
	v_mul_f64 v[54:55], v[46:47], v[4:5]
	v_mul_f64 v[4:5], v[44:45], v[4:5]
	;; [unrolled: 9-line block ×3, first 2 shown]
	v_fma_f64 v[52:53], v[44:45], v[2:3], -v[54:55]
	v_fma_f64 v[54:55], v[46:47], v[2:3], v[4:5]
	ds_read_b128 v[14:17], v24 offset:368
	ds_read_b128 v[48:51], v24 offset:384
	;; [unrolled: 1-line block ×4, first 2 shown]
	v_add_f64 v[6:7], v[6:7], v[12:13]
	v_add_f64 v[12:13], v[18:19], v[56:57]
	s_waitcnt lgkmcnt(3)
	v_mul_f64 v[18:19], v[42:43], v[16:17]
	v_mul_f64 v[16:17], v[40:41], v[16:17]
	v_fma_f64 v[20:21], v[36:37], v[8:9], -v[20:21]
	v_fma_f64 v[36:37], v[38:39], v[8:9], v[10:11]
	v_add_f64 v[38:39], v[6:7], v[54:55]
	v_add_f64 v[52:53], v[12:13], v[52:53]
	s_waitcnt lgkmcnt(1)
	v_mul_f64 v[54:55], v[46:47], v[50:51]
	v_mul_f64 v[50:51], v[44:45], v[50:51]
	v_fma_f64 v[40:41], v[40:41], v[14:15], -v[18:19]
	v_fma_f64 v[42:43], v[42:43], v[14:15], v[16:17]
	ds_read_b128 v[6:9], v24 offset:400
	ds_read_b128 v[10:13], v24 offset:416
	v_add_f64 v[36:37], v[38:39], v[36:37]
	v_add_f64 v[38:39], v[52:53], v[20:21]
	s_waitcnt lgkmcnt(1)
	v_mul_f64 v[52:53], v[4:5], v[8:9]
	v_mul_f64 v[8:9], v[2:3], v[8:9]
	v_fma_f64 v[44:45], v[44:45], v[48:49], -v[54:55]
	v_fma_f64 v[46:47], v[46:47], v[48:49], v[50:51]
	ds_read_b128 v[14:17], v26 offset:13312
	ds_read_b128 v[18:21], v26 offset:13824
	v_add_f64 v[48:49], v[36:37], v[42:43]
	v_add_f64 v[50:51], v[38:39], v[40:41]
	global_load_dwordx4 v[40:43], v[22:23], off
	s_waitcnt lgkmcnt(1)
	v_mul_f64 v[54:55], v[16:17], v[12:13]
	v_mul_f64 v[12:13], v[14:15], v[12:13]
	v_fma_f64 v[52:53], v[2:3], v[6:7], -v[52:53]
	v_fma_f64 v[56:57], v[4:5], v[6:7], v[8:9]
	ds_read_b128 v[36:39], v24 offset:432
	v_add_f64 v[46:47], v[48:49], v[46:47]
	v_add_f64 v[44:45], v[50:51], v[44:45]
	ds_read_b128 v[2:5], v24 offset:448
	ds_read_b128 v[6:9], v26 offset:14336
	v_fma_f64 v[50:51], v[14:15], v[10:11], -v[54:55]
	s_waitcnt lgkmcnt(2)
	v_mul_f64 v[48:49], v[20:21], v[38:39]
	v_mul_f64 v[38:39], v[18:19], v[38:39]
	v_fma_f64 v[54:55], v[16:17], v[10:11], v[12:13]
	ds_read_b128 v[10:13], v26 offset:14848
	ds_read_b128 v[14:17], v24 offset:464
	v_add_f64 v[46:47], v[46:47], v[56:57]
	v_add_f64 v[44:45], v[44:45], v[52:53]
	s_waitcnt lgkmcnt(2)
	v_mul_f64 v[52:53], v[8:9], v[4:5]
	v_mul_f64 v[4:5], v[6:7], v[4:5]
	v_fma_f64 v[48:49], v[18:19], v[36:37], -v[48:49]
	v_fma_f64 v[56:57], v[20:21], v[36:37], v[38:39]
	ds_read_b128 v[18:21], v26 offset:15360
	ds_read_b128 v[36:39], v24 offset:480
	v_add_f64 v[46:47], v[46:47], v[54:55]
	v_add_f64 v[44:45], v[44:45], v[50:51]
	s_waitcnt lgkmcnt(2)
	v_mul_f64 v[50:51], v[12:13], v[16:17]
	v_mul_f64 v[16:17], v[10:11], v[16:17]
	v_fma_f64 v[52:53], v[6:7], v[2:3], -v[52:53]
	;; [unrolled: 9-line block ×3, first 2 shown]
	v_fma_f64 v[12:13], v[12:13], v[14:15], v[16:17]
	v_add_f64 v[14:15], v[46:47], v[54:55]
	v_add_f64 v[16:17], v[44:45], v[52:53]
	s_waitcnt lgkmcnt(0)
	v_mul_f64 v[44:45], v[4:5], v[8:9]
	v_mul_f64 v[8:9], v[2:3], v[8:9]
	v_fma_f64 v[18:19], v[18:19], v[36:37], -v[48:49]
	v_fma_f64 v[20:21], v[20:21], v[36:37], v[38:39]
	v_add_f64 v[12:13], v[14:15], v[12:13]
	v_add_f64 v[10:11], v[16:17], v[10:11]
	v_fma_f64 v[2:3], v[2:3], v[6:7], -v[44:45]
	v_fma_f64 v[4:5], v[4:5], v[6:7], v[8:9]
	v_add_f64 v[6:7], v[12:13], v[20:21]
	v_add_f64 v[8:9], v[10:11], v[18:19]
	;; [unrolled: 1-line block ×4, first 2 shown]
	v_mul_f64 v[6:7], s[16:17], v[4:5]
	v_mul_f64 v[8:9], s[16:17], v[2:3]
	v_fma_f64 v[2:3], s[14:15], v[2:3], -v[6:7]
	v_fma_f64 v[4:5], s[14:15], v[4:5], v[8:9]
	s_waitcnt vmcnt(0)
	v_add_f64 v[2:3], v[40:41], v[2:3]
	v_add_f64 v[4:5], v[42:43], v[4:5]
	global_store_dwordx4 v[22:23], v[2:5], off
	s_branch .LBB1860_3
.LBB1860_16:
	s_endpgm
	.section	.rodata,"a",@progbits
	.p2align	6, 0x0
	.amdhsa_kernel _ZL26rocblas_syr2k_her2k_kernelIlLb1ELb0ELb0ELi32E19rocblas_complex_numIdEPKS1_PS1_EvbiT_T4_T5_S5_lS7_S5_lT6_S5_li
		.amdhsa_group_segment_fixed_size 32768
		.amdhsa_private_segment_fixed_size 0
		.amdhsa_kernarg_size 108
		.amdhsa_user_sgpr_count 6
		.amdhsa_user_sgpr_private_segment_buffer 1
		.amdhsa_user_sgpr_dispatch_ptr 0
		.amdhsa_user_sgpr_queue_ptr 0
		.amdhsa_user_sgpr_kernarg_segment_ptr 1
		.amdhsa_user_sgpr_dispatch_id 0
		.amdhsa_user_sgpr_flat_scratch_init 0
		.amdhsa_user_sgpr_private_segment_size 0
		.amdhsa_uses_dynamic_stack 0
		.amdhsa_system_sgpr_private_segment_wavefront_offset 0
		.amdhsa_system_sgpr_workgroup_id_x 1
		.amdhsa_system_sgpr_workgroup_id_y 1
		.amdhsa_system_sgpr_workgroup_id_z 1
		.amdhsa_system_sgpr_workgroup_info 0
		.amdhsa_system_vgpr_workitem_id 1
		.amdhsa_next_free_vgpr 58
		.amdhsa_next_free_sgpr 61
		.amdhsa_reserve_vcc 1
		.amdhsa_reserve_flat_scratch 0
		.amdhsa_float_round_mode_32 0
		.amdhsa_float_round_mode_16_64 0
		.amdhsa_float_denorm_mode_32 3
		.amdhsa_float_denorm_mode_16_64 3
		.amdhsa_dx10_clamp 1
		.amdhsa_ieee_mode 1
		.amdhsa_fp16_overflow 0
		.amdhsa_exception_fp_ieee_invalid_op 0
		.amdhsa_exception_fp_denorm_src 0
		.amdhsa_exception_fp_ieee_div_zero 0
		.amdhsa_exception_fp_ieee_overflow 0
		.amdhsa_exception_fp_ieee_underflow 0
		.amdhsa_exception_fp_ieee_inexact 0
		.amdhsa_exception_int_div_zero 0
	.end_amdhsa_kernel
	.section	.text._ZL26rocblas_syr2k_her2k_kernelIlLb1ELb0ELb0ELi32E19rocblas_complex_numIdEPKS1_PS1_EvbiT_T4_T5_S5_lS7_S5_lT6_S5_li,"axG",@progbits,_ZL26rocblas_syr2k_her2k_kernelIlLb1ELb0ELb0ELi32E19rocblas_complex_numIdEPKS1_PS1_EvbiT_T4_T5_S5_lS7_S5_lT6_S5_li,comdat
.Lfunc_end1860:
	.size	_ZL26rocblas_syr2k_her2k_kernelIlLb1ELb0ELb0ELi32E19rocblas_complex_numIdEPKS1_PS1_EvbiT_T4_T5_S5_lS7_S5_lT6_S5_li, .Lfunc_end1860-_ZL26rocblas_syr2k_her2k_kernelIlLb1ELb0ELb0ELi32E19rocblas_complex_numIdEPKS1_PS1_EvbiT_T4_T5_S5_lS7_S5_lT6_S5_li
                                        ; -- End function
	.set _ZL26rocblas_syr2k_her2k_kernelIlLb1ELb0ELb0ELi32E19rocblas_complex_numIdEPKS1_PS1_EvbiT_T4_T5_S5_lS7_S5_lT6_S5_li.num_vgpr, 58
	.set _ZL26rocblas_syr2k_her2k_kernelIlLb1ELb0ELb0ELi32E19rocblas_complex_numIdEPKS1_PS1_EvbiT_T4_T5_S5_lS7_S5_lT6_S5_li.num_agpr, 0
	.set _ZL26rocblas_syr2k_her2k_kernelIlLb1ELb0ELb0ELi32E19rocblas_complex_numIdEPKS1_PS1_EvbiT_T4_T5_S5_lS7_S5_lT6_S5_li.numbered_sgpr, 44
	.set _ZL26rocblas_syr2k_her2k_kernelIlLb1ELb0ELb0ELi32E19rocblas_complex_numIdEPKS1_PS1_EvbiT_T4_T5_S5_lS7_S5_lT6_S5_li.num_named_barrier, 0
	.set _ZL26rocblas_syr2k_her2k_kernelIlLb1ELb0ELb0ELi32E19rocblas_complex_numIdEPKS1_PS1_EvbiT_T4_T5_S5_lS7_S5_lT6_S5_li.private_seg_size, 0
	.set _ZL26rocblas_syr2k_her2k_kernelIlLb1ELb0ELb0ELi32E19rocblas_complex_numIdEPKS1_PS1_EvbiT_T4_T5_S5_lS7_S5_lT6_S5_li.uses_vcc, 1
	.set _ZL26rocblas_syr2k_her2k_kernelIlLb1ELb0ELb0ELi32E19rocblas_complex_numIdEPKS1_PS1_EvbiT_T4_T5_S5_lS7_S5_lT6_S5_li.uses_flat_scratch, 0
	.set _ZL26rocblas_syr2k_her2k_kernelIlLb1ELb0ELb0ELi32E19rocblas_complex_numIdEPKS1_PS1_EvbiT_T4_T5_S5_lS7_S5_lT6_S5_li.has_dyn_sized_stack, 0
	.set _ZL26rocblas_syr2k_her2k_kernelIlLb1ELb0ELb0ELi32E19rocblas_complex_numIdEPKS1_PS1_EvbiT_T4_T5_S5_lS7_S5_lT6_S5_li.has_recursion, 0
	.set _ZL26rocblas_syr2k_her2k_kernelIlLb1ELb0ELb0ELi32E19rocblas_complex_numIdEPKS1_PS1_EvbiT_T4_T5_S5_lS7_S5_lT6_S5_li.has_indirect_call, 0
	.section	.AMDGPU.csdata,"",@progbits
; Kernel info:
; codeLenInByte = 5460
; TotalNumSgprs: 48
; NumVgprs: 58
; ScratchSize: 0
; MemoryBound: 1
; FloatMode: 240
; IeeeMode: 1
; LDSByteSize: 32768 bytes/workgroup (compile time only)
; SGPRBlocks: 8
; VGPRBlocks: 14
; NumSGPRsForWavesPerEU: 65
; NumVGPRsForWavesPerEU: 58
; Occupancy: 4
; WaveLimiterHint : 0
; COMPUTE_PGM_RSRC2:SCRATCH_EN: 0
; COMPUTE_PGM_RSRC2:USER_SGPR: 6
; COMPUTE_PGM_RSRC2:TRAP_HANDLER: 0
; COMPUTE_PGM_RSRC2:TGID_X_EN: 1
; COMPUTE_PGM_RSRC2:TGID_Y_EN: 1
; COMPUTE_PGM_RSRC2:TGID_Z_EN: 1
; COMPUTE_PGM_RSRC2:TIDIG_COMP_CNT: 1
	.section	.text._ZL26rocblas_syr2k_her2k_kernelIlLb1ELb0ELb1ELi32E19rocblas_complex_numIdEPKS1_PS1_EvbiT_T4_T5_S5_lS7_S5_lT6_S5_li,"axG",@progbits,_ZL26rocblas_syr2k_her2k_kernelIlLb1ELb0ELb1ELi32E19rocblas_complex_numIdEPKS1_PS1_EvbiT_T4_T5_S5_lS7_S5_lT6_S5_li,comdat
	.globl	_ZL26rocblas_syr2k_her2k_kernelIlLb1ELb0ELb1ELi32E19rocblas_complex_numIdEPKS1_PS1_EvbiT_T4_T5_S5_lS7_S5_lT6_S5_li ; -- Begin function _ZL26rocblas_syr2k_her2k_kernelIlLb1ELb0ELb1ELi32E19rocblas_complex_numIdEPKS1_PS1_EvbiT_T4_T5_S5_lS7_S5_lT6_S5_li
	.p2align	8
	.type	_ZL26rocblas_syr2k_her2k_kernelIlLb1ELb0ELb1ELi32E19rocblas_complex_numIdEPKS1_PS1_EvbiT_T4_T5_S5_lS7_S5_lT6_S5_li,@function
_ZL26rocblas_syr2k_her2k_kernelIlLb1ELb0ELb1ELi32E19rocblas_complex_numIdEPKS1_PS1_EvbiT_T4_T5_S5_lS7_S5_lT6_S5_li: ; @_ZL26rocblas_syr2k_her2k_kernelIlLb1ELb0ELb1ELi32E19rocblas_complex_numIdEPKS1_PS1_EvbiT_T4_T5_S5_lS7_S5_lT6_S5_li
; %bb.0:
	s_load_dwordx16 s[12:27], s[4:5], 0x8
	s_waitcnt lgkmcnt(0)
	v_cmp_eq_f64_e64 s[0:1], s[14:15], 0
	v_cmp_eq_f64_e64 s[2:3], s[16:17], 0
	s_and_b64 s[0:1], s[0:1], s[2:3]
	s_and_b64 vcc, exec, s[0:1]
	s_cbranch_vccnz .LBB1861_16
; %bb.1:
	s_load_dwordx2 s[10:11], s[4:5], 0x0
	s_lshl_b32 s2, s7, 5
	s_lshl_b32 s3, s6, 5
	s_waitcnt lgkmcnt(0)
	s_and_b32 s0, 1, s10
	s_cmp_eq_u32 s0, 1
	s_cselect_b64 s[0:1], -1, 0
	s_and_b64 s[6:7], s[0:1], exec
	s_cselect_b32 s6, s3, s2
	s_cselect_b32 s7, s2, s3
	s_cmp_gt_i32 s6, s7
	v_cmp_lt_i64_e64 s[6:7], s[12:13], 1
	s_cselect_b64 s[28:29], -1, 0
	s_or_b64 s[6:7], s[28:29], s[6:7]
	s_and_b64 vcc, exec, s[6:7]
	s_cbranch_vccnz .LBB1861_16
; %bb.2:
	s_load_dwordx8 s[36:43], s[4:5], 0x48
	v_add_u32_e32 v2, s3, v0
	v_add_u32_e32 v4, s2, v1
	v_mov_b32_e32 v3, 0
	v_mov_b32_e32 v5, v3
	s_waitcnt lgkmcnt(0)
	s_mul_i32 s3, s43, s8
	s_mul_hi_u32 s4, s42, s8
	s_mul_i32 s2, s42, s8
	s_add_i32 s3, s4, s3
	s_lshl_b64 s[2:3], s[2:3], 4
	s_add_u32 s6, s38, s2
	s_addc_u32 s7, s39, s3
	s_ashr_i32 s3, s11, 31
	s_mov_b32 s2, s11
	v_cndmask_b32_e64 v7, v2, v4, s[0:1]
	v_cndmask_b32_e64 v8, v4, v2, s[0:1]
	v_cmp_gt_i64_e64 s[0:1], s[2:3], v[2:3]
	v_cmp_gt_i64_e64 s[2:3], s[2:3], v[4:5]
	v_ashrrev_i32_e32 v5, 31, v4
	v_mul_lo_u32 v10, s40, v5
	v_mul_lo_u32 v11, s41, v4
	v_mad_u64_u32 v[5:6], s[4:5], s40, v4, 0
	v_max_i32_e32 v3, v2, v4
	v_cmp_gt_i32_e32 vcc, s11, v3
	v_add3_u32 v6, v6, v10, v11
	v_lshlrev_b64 v[5:6], 4, v[5:6]
	v_cmp_le_i32_e64 s[4:5], v8, v7
	s_and_b64 s[4:5], s[4:5], vcc
	v_mov_b32_e32 v7, s7
	v_add_co_u32_e32 v10, vcc, s6, v5
	v_addc_co_u32_e32 v11, vcc, v7, v6, vcc
	v_mad_u64_u32 v[7:8], s[6:7], s20, v4, 0
	v_ashrrev_i32_e32 v3, 31, v2
	v_lshlrev_b64 v[5:6], 4, v[2:3]
	v_mov_b32_e32 v3, v8
	v_add_co_u32_e32 v22, vcc, v10, v5
	v_addc_co_u32_e32 v23, vcc, v11, v6, vcc
	v_mad_u64_u32 v[5:6], s[6:7], s21, v4, v[3:4]
	s_mul_i32 s9, s23, s8
	s_mul_hi_u32 s10, s22, s8
	v_mov_b32_e32 v8, v5
	s_add_i32 s7, s10, s9
	s_mul_i32 s6, s22, s8
	v_lshlrev_b64 v[5:6], 4, v[7:8]
	s_lshl_b64 s[6:7], s[6:7], 4
	v_mov_b32_e32 v8, s7
	v_add_co_u32_e32 v3, vcc, s6, v5
	v_addc_co_u32_e32 v5, vcc, v8, v6, vcc
	v_lshlrev_b32_e32 v10, 4, v0
	v_add_co_u32_e32 v3, vcc, v3, v10
	v_addc_co_u32_e32 v7, vcc, 0, v5, vcc
	v_mad_u64_u32 v[5:6], s[10:11], s20, v2, 0
	v_mov_b32_e32 v11, s19
	v_add_co_u32_e32 v12, vcc, s18, v3
	v_mov_b32_e32 v3, v6
	v_addc_co_u32_e32 v11, vcc, v11, v7, vcc
	v_mad_u64_u32 v[6:7], s[10:11], s21, v2, v[3:4]
	v_add_co_u32_e32 v28, vcc, 8, v12
	v_lshlrev_b64 v[5:6], 4, v[5:6]
	v_addc_co_u32_e32 v29, vcc, 0, v11, vcc
	v_add_co_u32_e32 v3, vcc, s6, v5
	v_lshlrev_b32_e32 v9, 4, v1
	v_addc_co_u32_e32 v5, vcc, v8, v6, vcc
	v_add_co_u32_e32 v3, vcc, v3, v9
	v_addc_co_u32_e32 v7, vcc, 0, v5, vcc
	v_mad_u64_u32 v[5:6], s[6:7], s26, v4, 0
	v_add_co_u32_e32 v30, vcc, s18, v3
	v_mov_b32_e32 v3, v6
	v_mad_u64_u32 v[3:4], s[6:7], s27, v4, v[3:4]
	s_mul_i32 s9, s37, s8
	s_mul_hi_u32 s10, s36, s8
	v_mov_b32_e32 v6, v3
	v_mov_b32_e32 v8, s19
	s_add_i32 s7, s10, s9
	s_mul_i32 s6, s36, s8
	v_lshlrev_b64 v[3:4], 4, v[5:6]
	v_addc_co_u32_e32 v31, vcc, v8, v7, vcc
	s_lshl_b64 s[6:7], s[6:7], 4
	v_mov_b32_e32 v6, s7
	v_add_co_u32_e32 v3, vcc, s6, v3
	v_addc_co_u32_e32 v4, vcc, v6, v4, vcc
	v_add_co_u32_e32 v5, vcc, v3, v10
	v_addc_co_u32_e32 v7, vcc, 0, v4, vcc
	v_mad_u64_u32 v[3:4], s[8:9], s26, v2, 0
	v_add_co_u32_e32 v10, vcc, s24, v5
	v_mad_u64_u32 v[4:5], s[8:9], s27, v2, v[4:5]
	v_mov_b32_e32 v8, s25
	v_addc_co_u32_e32 v7, vcc, v8, v7, vcc
	v_add_co_u32_e32 v32, vcc, 8, v10
	v_lshlrev_b64 v[2:3], 4, v[3:4]
	v_addc_co_u32_e32 v33, vcc, 0, v7, vcc
	v_add_co_u32_e32 v2, vcc, s6, v2
	v_addc_co_u32_e32 v3, vcc, v6, v3, vcc
	v_add_co_u32_e32 v2, vcc, v2, v9
	v_addc_co_u32_e32 v3, vcc, 0, v3, vcc
	v_mov_b32_e32 v4, s25
	v_add_co_u32_e32 v2, vcc, s24, v2
	v_addc_co_u32_e32 v3, vcc, v4, v3, vcc
	v_lshlrev_b32_e32 v24, 9, v0
	v_or_b32_e32 v26, 0x4000, v9
	v_add_co_u32_e32 v34, vcc, 8, v2
	v_add_u32_e32 v25, v24, v9
	v_add_u32_e32 v27, v26, v24
	v_addc_co_u32_e32 v35, vcc, 0, v3, vcc
	s_mov_b64 s[6:7], 0
	s_mov_b64 s[8:9], 0
	s_branch .LBB1861_4
.LBB1861_3:                             ;   in Loop: Header=BB1861_4 Depth=1
	s_or_b64 exec, exec, s[10:11]
	s_add_u32 s8, s8, 32
	v_mov_b32_e32 v2, s12
	s_addc_u32 s9, s9, 0
	v_mov_b32_e32 v3, s13
	v_cmp_lt_i64_e32 vcc, s[8:9], v[2:3]
	s_add_u32 s6, s6, 0x200
	s_addc_u32 s7, s7, 0
	s_waitcnt vmcnt(0)
	s_barrier
	s_cbranch_vccz .LBB1861_16
.LBB1861_4:                             ; =>This Inner Loop Header: Depth=1
	v_mov_b32_e32 v3, s9
	v_add_co_u32_e32 v2, vcc, s8, v1
	v_addc_co_u32_e32 v3, vcc, 0, v3, vcc
	v_cmp_gt_i64_e32 vcc, s[12:13], v[2:3]
	v_mov_b32_e32 v2, 0
	v_mov_b32_e32 v4, 0
	;; [unrolled: 1-line block ×6, first 2 shown]
	s_and_b64 s[10:11], s[0:1], vcc
	s_and_saveexec_b64 s[18:19], s[10:11]
	s_cbranch_execz .LBB1861_6
; %bb.5:                                ;   in Loop: Header=BB1861_4 Depth=1
	v_mov_b32_e32 v5, s7
	v_add_co_u32_e32 v4, vcc, s6, v30
	v_addc_co_u32_e32 v5, vcc, v31, v5, vcc
	global_load_dwordx4 v[4:7], v[4:5], off
.LBB1861_6:                             ;   in Loop: Header=BB1861_4 Depth=1
	s_or_b64 exec, exec, s[18:19]
	s_waitcnt vmcnt(0)
	ds_write_b128 v25, v[4:7]
	v_mov_b32_e32 v5, s9
	v_add_co_u32_e32 v4, vcc, s8, v0
	v_addc_co_u32_e32 v5, vcc, 0, v5, vcc
	v_cmp_gt_i64_e32 vcc, s[12:13], v[4:5]
	v_mov_b32_e32 v4, 0
	v_mov_b32_e32 v5, 0
	s_and_b64 s[18:19], s[2:3], vcc
	s_and_saveexec_b64 s[20:21], s[18:19]
	s_cbranch_execz .LBB1861_8
; %bb.7:                                ;   in Loop: Header=BB1861_4 Depth=1
	v_mov_b32_e32 v3, s7
	v_add_co_u32_e32 v2, vcc, s6, v32
	v_addc_co_u32_e32 v3, vcc, v33, v3, vcc
	global_load_dwordx4 v[2:5], v[2:3], off offset:-8
.LBB1861_8:                             ;   in Loop: Header=BB1861_4 Depth=1
	s_or_b64 exec, exec, s[20:21]
	s_waitcnt vmcnt(0)
	ds_write_b128 v27, v[2:5]
	s_waitcnt lgkmcnt(0)
	s_barrier
	s_and_saveexec_b64 s[20:21], s[4:5]
	s_cbranch_execz .LBB1861_10
; %bb.9:                                ;   in Loop: Header=BB1861_4 Depth=1
	ds_read_b128 v[6:9], v26
	ds_read_b128 v[10:13], v24
	ds_read_b128 v[14:17], v24 offset:16
	ds_read_b128 v[18:21], v24 offset:32
	;; [unrolled: 1-line block ×3, first 2 shown]
	s_waitcnt lgkmcnt(3)
	v_mul_f64 v[36:37], v[8:9], v[12:13]
	v_fma_f64 v[36:37], v[6:7], v[10:11], -v[36:37]
	v_mul_f64 v[6:7], v[6:7], v[12:13]
	v_fma_f64 v[6:7], v[8:9], v[10:11], v[6:7]
	v_add_f64 v[10:11], v[36:37], 0
	v_add_f64 v[12:13], v[6:7], 0
	ds_read_b128 v[6:9], v26 offset:512
	s_waitcnt lgkmcnt(0)
	v_mul_f64 v[36:37], v[8:9], v[16:17]
	v_fma_f64 v[36:37], v[6:7], v[14:15], -v[36:37]
	v_mul_f64 v[6:7], v[6:7], v[16:17]
	v_add_f64 v[10:11], v[10:11], v[36:37]
	v_fma_f64 v[6:7], v[8:9], v[14:15], v[6:7]
	v_add_f64 v[12:13], v[12:13], v[6:7]
	ds_read_b128 v[6:9], v26 offset:1024
	s_waitcnt lgkmcnt(0)
	v_mul_f64 v[14:15], v[8:9], v[20:21]
	v_fma_f64 v[14:15], v[6:7], v[18:19], -v[14:15]
	v_mul_f64 v[6:7], v[6:7], v[20:21]
	v_add_f64 v[10:11], v[10:11], v[14:15]
	v_fma_f64 v[6:7], v[8:9], v[18:19], v[6:7]
	v_add_f64 v[12:13], v[12:13], v[6:7]
	ds_read_b128 v[6:9], v26 offset:1536
	s_waitcnt lgkmcnt(0)
	v_mul_f64 v[14:15], v[8:9], v[4:5]
	v_mul_f64 v[4:5], v[6:7], v[4:5]
	v_fma_f64 v[14:15], v[6:7], v[2:3], -v[14:15]
	v_fma_f64 v[2:3], v[8:9], v[2:3], v[4:5]
	v_add_f64 v[10:11], v[10:11], v[14:15]
	v_add_f64 v[12:13], v[12:13], v[2:3]
	ds_read_b128 v[2:5], v26 offset:2048
	ds_read_b128 v[6:9], v24 offset:64
	s_waitcnt lgkmcnt(0)
	v_mul_f64 v[14:15], v[4:5], v[8:9]
	v_fma_f64 v[14:15], v[2:3], v[6:7], -v[14:15]
	v_mul_f64 v[2:3], v[2:3], v[8:9]
	v_add_f64 v[10:11], v[10:11], v[14:15]
	v_fma_f64 v[2:3], v[4:5], v[6:7], v[2:3]
	v_add_f64 v[12:13], v[12:13], v[2:3]
	ds_read_b128 v[2:5], v26 offset:2560
	ds_read_b128 v[6:9], v24 offset:80
	s_waitcnt lgkmcnt(0)
	v_mul_f64 v[14:15], v[4:5], v[8:9]
	v_fma_f64 v[14:15], v[2:3], v[6:7], -v[14:15]
	v_mul_f64 v[2:3], v[2:3], v[8:9]
	v_add_f64 v[10:11], v[10:11], v[14:15]
	v_fma_f64 v[2:3], v[4:5], v[6:7], v[2:3]
	;; [unrolled: 9-line block ×27, first 2 shown]
	v_add_f64 v[12:13], v[12:13], v[2:3]
	ds_read_b128 v[2:5], v26 offset:15872
	ds_read_b128 v[6:9], v24 offset:496
	s_waitcnt lgkmcnt(0)
	v_mul_f64 v[14:15], v[4:5], v[8:9]
	v_fma_f64 v[14:15], v[2:3], v[6:7], -v[14:15]
	v_mul_f64 v[2:3], v[2:3], v[8:9]
	v_fma_f64 v[2:3], v[4:5], v[6:7], v[2:3]
	v_add_f64 v[4:5], v[10:11], v[14:15]
	v_add_f64 v[2:3], v[12:13], v[2:3]
	v_mul_f64 v[6:7], s[16:17], v[2:3]
	v_mul_f64 v[2:3], s[14:15], v[2:3]
	v_fma_f64 v[6:7], s[14:15], v[4:5], -v[6:7]
	v_fma_f64 v[8:9], s[16:17], v[4:5], v[2:3]
	global_load_dwordx4 v[2:5], v[22:23], off
	s_waitcnt vmcnt(0)
	v_add_f64 v[2:3], v[2:3], v[6:7]
	v_add_f64 v[4:5], v[4:5], v[8:9]
	global_store_dwordx4 v[22:23], v[2:5], off
.LBB1861_10:                            ;   in Loop: Header=BB1861_4 Depth=1
	s_or_b64 exec, exec, s[20:21]
	v_mov_b32_e32 v4, 0
	v_mov_b32_e32 v8, 0
	;; [unrolled: 1-line block ×6, first 2 shown]
	s_waitcnt vmcnt(0)
	s_barrier
	s_and_saveexec_b64 s[20:21], s[10:11]
	s_cbranch_execz .LBB1861_12
; %bb.11:                               ;   in Loop: Header=BB1861_4 Depth=1
	v_mov_b32_e32 v3, s7
	v_add_co_u32_e32 v2, vcc, s6, v34
	v_addc_co_u32_e32 v3, vcc, v35, v3, vcc
	global_load_dwordx4 v[6:9], v[2:3], off offset:-8
.LBB1861_12:                            ;   in Loop: Header=BB1861_4 Depth=1
	s_or_b64 exec, exec, s[20:21]
	v_mov_b32_e32 v2, 0
	v_mov_b32_e32 v3, 0
	s_waitcnt vmcnt(0)
	ds_write_b128 v25, v[6:9]
	s_and_saveexec_b64 s[10:11], s[18:19]
	s_cbranch_execz .LBB1861_14
; %bb.13:                               ;   in Loop: Header=BB1861_4 Depth=1
	v_mov_b32_e32 v3, s7
	v_add_co_u32_e32 v2, vcc, s6, v28
	v_addc_co_u32_e32 v3, vcc, v29, v3, vcc
	global_load_dwordx4 v[2:5], v[2:3], off offset:-8
.LBB1861_14:                            ;   in Loop: Header=BB1861_4 Depth=1
	s_or_b64 exec, exec, s[10:11]
	s_waitcnt vmcnt(0)
	ds_write_b128 v27, v[2:5]
	s_waitcnt lgkmcnt(0)
	s_barrier
	s_and_saveexec_b64 s[10:11], s[4:5]
	s_cbranch_execz .LBB1861_3
; %bb.15:                               ;   in Loop: Header=BB1861_4 Depth=1
	ds_read_b128 v[2:5], v26
	ds_read_b128 v[6:9], v24
	ds_read_b128 v[10:13], v24 offset:16
	ds_read_b128 v[14:17], v26 offset:512
	;; [unrolled: 1-line block ×5, first 2 shown]
	s_waitcnt lgkmcnt(5)
	v_mul_f64 v[44:45], v[2:3], v[8:9]
	v_mul_f64 v[8:9], v[4:5], v[8:9]
	s_waitcnt lgkmcnt(3)
	v_mul_f64 v[46:47], v[16:17], v[12:13]
	v_mul_f64 v[12:13], v[14:15], v[12:13]
	;; [unrolled: 3-line block ×3, first 2 shown]
	v_fma_f64 v[44:45], v[4:5], v[6:7], v[44:45]
	v_fma_f64 v[48:49], v[2:3], v[6:7], -v[8:9]
	v_fma_f64 v[46:47], v[14:15], v[10:11], -v[46:47]
	v_fma_f64 v[52:53], v[16:17], v[10:11], v[12:13]
	ds_read_b128 v[2:5], v26 offset:1536
	ds_read_b128 v[6:9], v24 offset:64
	v_fma_f64 v[50:51], v[18:19], v[36:37], -v[50:51]
	v_fma_f64 v[56:57], v[20:21], v[36:37], v[38:39]
	ds_read_b128 v[10:13], v26 offset:2048
	ds_read_b128 v[14:17], v26 offset:2560
	v_add_f64 v[44:45], v[44:45], 0
	v_add_f64 v[48:49], v[48:49], 0
	s_waitcnt lgkmcnt(3)
	v_mul_f64 v[54:55], v[4:5], v[42:43]
	v_mul_f64 v[42:43], v[2:3], v[42:43]
	ds_read_b128 v[18:21], v24 offset:80
	ds_read_b128 v[36:39], v24 offset:96
	v_add_f64 v[44:45], v[44:45], v[52:53]
	v_add_f64 v[46:47], v[48:49], v[46:47]
	s_waitcnt lgkmcnt(3)
	v_mul_f64 v[48:49], v[12:13], v[8:9]
	v_mul_f64 v[8:9], v[10:11], v[8:9]
	v_fma_f64 v[52:53], v[2:3], v[40:41], -v[54:55]
	v_fma_f64 v[54:55], v[4:5], v[40:41], v[42:43]
	ds_read_b128 v[2:5], v26 offset:3072
	ds_read_b128 v[40:43], v26 offset:3584
	v_add_f64 v[44:45], v[44:45], v[56:57]
	v_add_f64 v[46:47], v[46:47], v[50:51]
	s_waitcnt lgkmcnt(3)
	v_mul_f64 v[50:51], v[16:17], v[20:21]
	v_mul_f64 v[20:21], v[14:15], v[20:21]
	v_fma_f64 v[48:49], v[10:11], v[6:7], -v[48:49]
	v_fma_f64 v[56:57], v[12:13], v[6:7], v[8:9]
	;; [unrolled: 9-line block ×15, first 2 shown]
	s_waitcnt lgkmcnt(1)
	v_mul_f64 v[54:55], v[42:43], v[8:9]
	v_mul_f64 v[56:57], v[40:41], v[8:9]
	v_add_f64 v[20:21], v[44:45], v[16:17]
	v_add_f64 v[48:49], v[46:47], v[48:49]
	v_fma_f64 v[52:53], v[2:3], v[36:37], -v[52:53]
	v_fma_f64 v[36:37], v[4:5], v[36:37], v[38:39]
	ds_read_b128 v[16:19], v26 offset:10240
	ds_read_b128 v[44:47], v26 offset:10752
	v_add_f64 v[20:21], v[20:21], v[10:11]
	v_add_f64 v[38:39], v[48:49], v[50:51]
	s_waitcnt lgkmcnt(1)
	v_mul_f64 v[48:49], v[18:19], v[14:15]
	v_mul_f64 v[14:15], v[16:17], v[14:15]
	v_fma_f64 v[50:51], v[40:41], v[6:7], -v[54:55]
	v_fma_f64 v[6:7], v[42:43], v[6:7], v[56:57]
	ds_read_b128 v[2:5], v24 offset:336
	ds_read_b128 v[8:11], v24 offset:352
	v_add_f64 v[20:21], v[20:21], v[36:37]
	v_add_f64 v[52:53], v[38:39], v[52:53]
	s_waitcnt lgkmcnt(1)
	v_mul_f64 v[54:55], v[46:47], v[4:5]
	v_mul_f64 v[4:5], v[44:45], v[4:5]
	;; [unrolled: 9-line block ×3, first 2 shown]
	v_fma_f64 v[52:53], v[44:45], v[2:3], -v[54:55]
	v_fma_f64 v[54:55], v[46:47], v[2:3], v[4:5]
	ds_read_b128 v[14:17], v24 offset:368
	ds_read_b128 v[48:51], v24 offset:384
	;; [unrolled: 1-line block ×4, first 2 shown]
	v_add_f64 v[6:7], v[6:7], v[12:13]
	v_add_f64 v[12:13], v[18:19], v[56:57]
	s_waitcnt lgkmcnt(3)
	v_mul_f64 v[18:19], v[42:43], v[16:17]
	v_mul_f64 v[16:17], v[40:41], v[16:17]
	v_fma_f64 v[20:21], v[36:37], v[8:9], -v[20:21]
	v_fma_f64 v[36:37], v[38:39], v[8:9], v[10:11]
	v_add_f64 v[38:39], v[6:7], v[54:55]
	v_add_f64 v[52:53], v[12:13], v[52:53]
	s_waitcnt lgkmcnt(1)
	v_mul_f64 v[54:55], v[46:47], v[50:51]
	v_mul_f64 v[50:51], v[44:45], v[50:51]
	v_fma_f64 v[40:41], v[40:41], v[14:15], -v[18:19]
	v_fma_f64 v[42:43], v[42:43], v[14:15], v[16:17]
	ds_read_b128 v[6:9], v24 offset:400
	ds_read_b128 v[10:13], v24 offset:416
	v_add_f64 v[36:37], v[38:39], v[36:37]
	v_add_f64 v[38:39], v[52:53], v[20:21]
	s_waitcnt lgkmcnt(1)
	v_mul_f64 v[52:53], v[4:5], v[8:9]
	v_mul_f64 v[8:9], v[2:3], v[8:9]
	v_fma_f64 v[44:45], v[44:45], v[48:49], -v[54:55]
	v_fma_f64 v[46:47], v[46:47], v[48:49], v[50:51]
	ds_read_b128 v[14:17], v26 offset:13312
	ds_read_b128 v[18:21], v26 offset:13824
	v_add_f64 v[48:49], v[36:37], v[42:43]
	v_add_f64 v[50:51], v[38:39], v[40:41]
	global_load_dwordx4 v[40:43], v[22:23], off
	s_waitcnt lgkmcnt(1)
	v_mul_f64 v[54:55], v[16:17], v[12:13]
	v_mul_f64 v[12:13], v[14:15], v[12:13]
	v_fma_f64 v[52:53], v[2:3], v[6:7], -v[52:53]
	v_fma_f64 v[56:57], v[4:5], v[6:7], v[8:9]
	ds_read_b128 v[36:39], v24 offset:432
	v_add_f64 v[46:47], v[48:49], v[46:47]
	v_add_f64 v[44:45], v[50:51], v[44:45]
	ds_read_b128 v[2:5], v24 offset:448
	ds_read_b128 v[6:9], v26 offset:14336
	v_fma_f64 v[50:51], v[14:15], v[10:11], -v[54:55]
	s_waitcnt lgkmcnt(2)
	v_mul_f64 v[48:49], v[20:21], v[38:39]
	v_mul_f64 v[38:39], v[18:19], v[38:39]
	v_fma_f64 v[54:55], v[16:17], v[10:11], v[12:13]
	ds_read_b128 v[10:13], v26 offset:14848
	ds_read_b128 v[14:17], v24 offset:464
	v_add_f64 v[46:47], v[46:47], v[56:57]
	v_add_f64 v[44:45], v[44:45], v[52:53]
	s_waitcnt lgkmcnt(2)
	v_mul_f64 v[52:53], v[8:9], v[4:5]
	v_mul_f64 v[4:5], v[6:7], v[4:5]
	v_fma_f64 v[48:49], v[18:19], v[36:37], -v[48:49]
	v_fma_f64 v[56:57], v[20:21], v[36:37], v[38:39]
	ds_read_b128 v[18:21], v26 offset:15360
	ds_read_b128 v[36:39], v24 offset:480
	v_add_f64 v[46:47], v[46:47], v[54:55]
	v_add_f64 v[44:45], v[44:45], v[50:51]
	s_waitcnt lgkmcnt(2)
	v_mul_f64 v[50:51], v[12:13], v[16:17]
	v_mul_f64 v[16:17], v[10:11], v[16:17]
	v_fma_f64 v[52:53], v[6:7], v[2:3], -v[52:53]
	;; [unrolled: 9-line block ×3, first 2 shown]
	v_fma_f64 v[12:13], v[12:13], v[14:15], v[16:17]
	v_add_f64 v[14:15], v[46:47], v[54:55]
	v_add_f64 v[16:17], v[44:45], v[52:53]
	s_waitcnt lgkmcnt(0)
	v_mul_f64 v[44:45], v[4:5], v[8:9]
	v_mul_f64 v[8:9], v[2:3], v[8:9]
	v_fma_f64 v[18:19], v[18:19], v[36:37], -v[48:49]
	v_fma_f64 v[20:21], v[20:21], v[36:37], v[38:39]
	v_add_f64 v[12:13], v[14:15], v[12:13]
	v_add_f64 v[10:11], v[16:17], v[10:11]
	v_fma_f64 v[2:3], v[2:3], v[6:7], -v[44:45]
	v_fma_f64 v[4:5], v[4:5], v[6:7], v[8:9]
	v_add_f64 v[6:7], v[12:13], v[20:21]
	v_add_f64 v[8:9], v[10:11], v[18:19]
	v_add_f64 v[4:5], v[6:7], v[4:5]
	v_add_f64 v[2:3], v[8:9], v[2:3]
	v_mul_f64 v[6:7], s[16:17], v[4:5]
	v_mul_f64 v[8:9], s[16:17], v[2:3]
	v_fma_f64 v[2:3], s[14:15], v[2:3], -v[6:7]
	v_fma_f64 v[4:5], s[14:15], v[4:5], v[8:9]
	s_waitcnt vmcnt(0)
	v_add_f64 v[2:3], v[40:41], v[2:3]
	v_add_f64 v[4:5], v[42:43], v[4:5]
	global_store_dwordx4 v[22:23], v[2:5], off
	s_branch .LBB1861_3
.LBB1861_16:
	s_endpgm
	.section	.rodata,"a",@progbits
	.p2align	6, 0x0
	.amdhsa_kernel _ZL26rocblas_syr2k_her2k_kernelIlLb1ELb0ELb1ELi32E19rocblas_complex_numIdEPKS1_PS1_EvbiT_T4_T5_S5_lS7_S5_lT6_S5_li
		.amdhsa_group_segment_fixed_size 32768
		.amdhsa_private_segment_fixed_size 0
		.amdhsa_kernarg_size 108
		.amdhsa_user_sgpr_count 6
		.amdhsa_user_sgpr_private_segment_buffer 1
		.amdhsa_user_sgpr_dispatch_ptr 0
		.amdhsa_user_sgpr_queue_ptr 0
		.amdhsa_user_sgpr_kernarg_segment_ptr 1
		.amdhsa_user_sgpr_dispatch_id 0
		.amdhsa_user_sgpr_flat_scratch_init 0
		.amdhsa_user_sgpr_private_segment_size 0
		.amdhsa_uses_dynamic_stack 0
		.amdhsa_system_sgpr_private_segment_wavefront_offset 0
		.amdhsa_system_sgpr_workgroup_id_x 1
		.amdhsa_system_sgpr_workgroup_id_y 1
		.amdhsa_system_sgpr_workgroup_id_z 1
		.amdhsa_system_sgpr_workgroup_info 0
		.amdhsa_system_vgpr_workitem_id 1
		.amdhsa_next_free_vgpr 58
		.amdhsa_next_free_sgpr 61
		.amdhsa_reserve_vcc 1
		.amdhsa_reserve_flat_scratch 0
		.amdhsa_float_round_mode_32 0
		.amdhsa_float_round_mode_16_64 0
		.amdhsa_float_denorm_mode_32 3
		.amdhsa_float_denorm_mode_16_64 3
		.amdhsa_dx10_clamp 1
		.amdhsa_ieee_mode 1
		.amdhsa_fp16_overflow 0
		.amdhsa_exception_fp_ieee_invalid_op 0
		.amdhsa_exception_fp_denorm_src 0
		.amdhsa_exception_fp_ieee_div_zero 0
		.amdhsa_exception_fp_ieee_overflow 0
		.amdhsa_exception_fp_ieee_underflow 0
		.amdhsa_exception_fp_ieee_inexact 0
		.amdhsa_exception_int_div_zero 0
	.end_amdhsa_kernel
	.section	.text._ZL26rocblas_syr2k_her2k_kernelIlLb1ELb0ELb1ELi32E19rocblas_complex_numIdEPKS1_PS1_EvbiT_T4_T5_S5_lS7_S5_lT6_S5_li,"axG",@progbits,_ZL26rocblas_syr2k_her2k_kernelIlLb1ELb0ELb1ELi32E19rocblas_complex_numIdEPKS1_PS1_EvbiT_T4_T5_S5_lS7_S5_lT6_S5_li,comdat
.Lfunc_end1861:
	.size	_ZL26rocblas_syr2k_her2k_kernelIlLb1ELb0ELb1ELi32E19rocblas_complex_numIdEPKS1_PS1_EvbiT_T4_T5_S5_lS7_S5_lT6_S5_li, .Lfunc_end1861-_ZL26rocblas_syr2k_her2k_kernelIlLb1ELb0ELb1ELi32E19rocblas_complex_numIdEPKS1_PS1_EvbiT_T4_T5_S5_lS7_S5_lT6_S5_li
                                        ; -- End function
	.set _ZL26rocblas_syr2k_her2k_kernelIlLb1ELb0ELb1ELi32E19rocblas_complex_numIdEPKS1_PS1_EvbiT_T4_T5_S5_lS7_S5_lT6_S5_li.num_vgpr, 58
	.set _ZL26rocblas_syr2k_her2k_kernelIlLb1ELb0ELb1ELi32E19rocblas_complex_numIdEPKS1_PS1_EvbiT_T4_T5_S5_lS7_S5_lT6_S5_li.num_agpr, 0
	.set _ZL26rocblas_syr2k_her2k_kernelIlLb1ELb0ELb1ELi32E19rocblas_complex_numIdEPKS1_PS1_EvbiT_T4_T5_S5_lS7_S5_lT6_S5_li.numbered_sgpr, 44
	.set _ZL26rocblas_syr2k_her2k_kernelIlLb1ELb0ELb1ELi32E19rocblas_complex_numIdEPKS1_PS1_EvbiT_T4_T5_S5_lS7_S5_lT6_S5_li.num_named_barrier, 0
	.set _ZL26rocblas_syr2k_her2k_kernelIlLb1ELb0ELb1ELi32E19rocblas_complex_numIdEPKS1_PS1_EvbiT_T4_T5_S5_lS7_S5_lT6_S5_li.private_seg_size, 0
	.set _ZL26rocblas_syr2k_her2k_kernelIlLb1ELb0ELb1ELi32E19rocblas_complex_numIdEPKS1_PS1_EvbiT_T4_T5_S5_lS7_S5_lT6_S5_li.uses_vcc, 1
	.set _ZL26rocblas_syr2k_her2k_kernelIlLb1ELb0ELb1ELi32E19rocblas_complex_numIdEPKS1_PS1_EvbiT_T4_T5_S5_lS7_S5_lT6_S5_li.uses_flat_scratch, 0
	.set _ZL26rocblas_syr2k_her2k_kernelIlLb1ELb0ELb1ELi32E19rocblas_complex_numIdEPKS1_PS1_EvbiT_T4_T5_S5_lS7_S5_lT6_S5_li.has_dyn_sized_stack, 0
	.set _ZL26rocblas_syr2k_her2k_kernelIlLb1ELb0ELb1ELi32E19rocblas_complex_numIdEPKS1_PS1_EvbiT_T4_T5_S5_lS7_S5_lT6_S5_li.has_recursion, 0
	.set _ZL26rocblas_syr2k_her2k_kernelIlLb1ELb0ELb1ELi32E19rocblas_complex_numIdEPKS1_PS1_EvbiT_T4_T5_S5_lS7_S5_lT6_S5_li.has_indirect_call, 0
	.section	.AMDGPU.csdata,"",@progbits
; Kernel info:
; codeLenInByte = 5512
; TotalNumSgprs: 48
; NumVgprs: 58
; ScratchSize: 0
; MemoryBound: 1
; FloatMode: 240
; IeeeMode: 1
; LDSByteSize: 32768 bytes/workgroup (compile time only)
; SGPRBlocks: 8
; VGPRBlocks: 14
; NumSGPRsForWavesPerEU: 65
; NumVGPRsForWavesPerEU: 58
; Occupancy: 4
; WaveLimiterHint : 0
; COMPUTE_PGM_RSRC2:SCRATCH_EN: 0
; COMPUTE_PGM_RSRC2:USER_SGPR: 6
; COMPUTE_PGM_RSRC2:TRAP_HANDLER: 0
; COMPUTE_PGM_RSRC2:TGID_X_EN: 1
; COMPUTE_PGM_RSRC2:TGID_Y_EN: 1
; COMPUTE_PGM_RSRC2:TGID_Z_EN: 1
; COMPUTE_PGM_RSRC2:TIDIG_COMP_CNT: 1
	.section	.text._ZL26rocblas_syr2k_her2k_kernelIlLb1ELb0ELb0ELi32EPK19rocblas_complex_numIdES3_PS1_EvbiT_T4_T5_S5_lS7_S5_lT6_S5_li,"axG",@progbits,_ZL26rocblas_syr2k_her2k_kernelIlLb1ELb0ELb0ELi32EPK19rocblas_complex_numIdES3_PS1_EvbiT_T4_T5_S5_lS7_S5_lT6_S5_li,comdat
	.globl	_ZL26rocblas_syr2k_her2k_kernelIlLb1ELb0ELb0ELi32EPK19rocblas_complex_numIdES3_PS1_EvbiT_T4_T5_S5_lS7_S5_lT6_S5_li ; -- Begin function _ZL26rocblas_syr2k_her2k_kernelIlLb1ELb0ELb0ELi32EPK19rocblas_complex_numIdES3_PS1_EvbiT_T4_T5_S5_lS7_S5_lT6_S5_li
	.p2align	8
	.type	_ZL26rocblas_syr2k_her2k_kernelIlLb1ELb0ELb0ELi32EPK19rocblas_complex_numIdES3_PS1_EvbiT_T4_T5_S5_lS7_S5_lT6_S5_li,@function
_ZL26rocblas_syr2k_her2k_kernelIlLb1ELb0ELb0ELi32EPK19rocblas_complex_numIdES3_PS1_EvbiT_T4_T5_S5_lS7_S5_lT6_S5_li: ; @_ZL26rocblas_syr2k_her2k_kernelIlLb1ELb0ELb0ELi32EPK19rocblas_complex_numIdES3_PS1_EvbiT_T4_T5_S5_lS7_S5_lT6_S5_li
; %bb.0:
	s_load_dwordx16 s[12:27], s[4:5], 0x8
	s_waitcnt lgkmcnt(0)
	s_load_dwordx4 s[28:31], s[14:15], 0x0
	s_waitcnt lgkmcnt(0)
	v_cmp_eq_f64_e64 s[0:1], s[28:29], 0
	v_cmp_eq_f64_e64 s[2:3], s[30:31], 0
	s_and_b64 s[0:1], s[0:1], s[2:3]
	s_and_b64 vcc, exec, s[0:1]
	s_cbranch_vccnz .LBB1862_16
; %bb.1:
	s_load_dwordx2 s[10:11], s[4:5], 0x0
	s_lshl_b32 s2, s7, 5
	s_lshl_b32 s3, s6, 5
	s_waitcnt lgkmcnt(0)
	s_and_b32 s0, 1, s10
	s_cmp_eq_u32 s0, 1
	s_cselect_b64 s[0:1], -1, 0
	s_and_b64 s[6:7], s[0:1], exec
	s_cselect_b32 s6, s3, s2
	s_cselect_b32 s7, s2, s3
	s_cmp_gt_i32 s6, s7
	v_cmp_lt_i64_e64 s[6:7], s[12:13], 1
	s_cselect_b64 s[14:15], -1, 0
	s_or_b64 s[6:7], s[14:15], s[6:7]
	s_and_b64 vcc, exec, s[6:7]
	s_cbranch_vccnz .LBB1862_16
; %bb.2:
	s_load_dwordx2 s[6:7], s[4:5], 0x58
	s_load_dwordx4 s[36:39], s[4:5], 0x48
	s_mul_i32 s9, s21, s8
	v_add_u32_e32 v2, s2, v1
	v_lshlrev_b32_e32 v24, 9, v0
	s_waitcnt lgkmcnt(0)
	s_mul_i32 s5, s7, s8
	s_mul_hi_u32 s7, s6, s8
	s_mul_i32 s4, s6, s8
	s_add_i32 s5, s7, s5
	s_lshl_b64 s[4:5], s[4:5], 4
	s_add_u32 s10, s36, s4
	s_mul_hi_u32 s4, s20, s8
	s_addc_u32 s6, s37, s5
	s_add_i32 s5, s4, s9
	s_mul_i32 s4, s20, s8
	s_lshl_b64 s[4:5], s[4:5], 4
	v_lshlrev_b32_e32 v6, 4, v1
	s_add_u32 s20, s16, s4
	v_add_u32_e32 v25, v24, v6
	v_or_b32_e32 v26, 0x4000, v6
	v_ashrrev_i32_e32 v6, 31, v2
	s_addc_u32 s21, s17, s5
	v_mul_lo_u32 v11, s38, v6
	v_mul_lo_u32 v12, s39, v2
	v_mad_u64_u32 v[6:7], s[4:5], s38, v2, 0
	v_add_u32_e32 v4, s3, v0
	v_max_i32_e32 v10, v4, v2
	v_cmp_gt_i32_e32 vcc, s11, v10
	v_add3_u32 v7, v7, v11, v12
	v_mov_b32_e32 v12, s6
	v_mad_u64_u32 v[10:11], s[6:7], s18, v0, 0
	v_cndmask_b32_e64 v8, v4, v2, s[0:1]
	v_cndmask_b32_e64 v9, v2, v4, s[0:1]
	v_lshlrev_b64 v[6:7], 4, v[6:7]
	v_cmp_le_i32_e64 s[4:5], v9, v8
	s_and_b64 s[4:5], s[4:5], vcc
	v_ashrrev_i32_e32 v9, 31, v4
	v_mov_b32_e32 v8, v4
	v_add_co_u32_e32 v13, vcc, s10, v6
	v_addc_co_u32_e32 v12, vcc, v12, v7, vcc
	v_lshlrev_b64 v[6:7], 4, v[8:9]
	v_mov_b32_e32 v8, v11
	v_mad_u64_u32 v[8:9], s[6:7], s19, v0, v[8:9]
	v_mov_b32_e32 v5, 0
	s_ashr_i32 s3, s11, 31
	s_mov_b32 s2, s11
	v_mov_b32_e32 v3, v5
	v_add_co_u32_e32 v22, vcc, v13, v6
	v_mov_b32_e32 v11, v8
	v_mad_u64_u32 v[8:9], s[6:7], s18, v1, 0
	v_cmp_gt_i64_e64 s[0:1], s[2:3], v[4:5]
	v_cmp_gt_i64_e64 s[2:3], s[2:3], v[2:3]
	v_addc_co_u32_e32 v23, vcc, v12, v7, vcc
	v_lshlrev_b64 v[6:7], 4, v[10:11]
	v_lshlrev_b64 v[2:3], 4, v[2:3]
	v_mad_u64_u32 v[10:11], s[10:11], s24, v0, 0
	v_add_co_u32_e32 v6, vcc, v6, v2
	v_or_b32_e32 v29, 8, v6
	v_mov_b32_e32 v6, v9
	v_addc_co_u32_e32 v28, vcc, v7, v3, vcc
	v_mad_u64_u32 v[6:7], s[6:7], s19, v1, v[6:7]
	v_lshlrev_b64 v[4:5], 4, v[4:5]
	s_mul_i32 s9, s27, s8
	v_mov_b32_e32 v9, v6
	v_lshlrev_b64 v[6:7], 4, v[8:9]
	v_mov_b32_e32 v8, v11
	v_mad_u64_u32 v[8:9], s[10:11], s25, v0, v[8:9]
	v_add_co_u32_e32 v30, vcc, v6, v4
	v_mov_b32_e32 v11, v8
	v_addc_co_u32_e32 v31, vcc, v7, v5, vcc
	v_lshlrev_b64 v[6:7], 4, v[10:11]
	s_mul_hi_u32 s10, s26, s8
	v_add_co_u32_e32 v32, vcc, v6, v2
	v_addc_co_u32_e32 v33, vcc, v7, v3, vcc
	s_add_i32 s9, s10, s9
	v_mad_u64_u32 v[2:3], s[10:11], s24, v1, 0
	s_mul_i32 s8, s26, s8
	s_lshl_b64 s[6:7], s[18:19], 9
	s_lshl_b64 s[8:9], s[8:9], 4
	s_add_u32 s10, s22, s8
	s_addc_u32 s11, s23, s9
	v_mad_u64_u32 v[6:7], s[8:9], s25, v1, v[3:4]
	s_add_u32 s22, s10, 8
	v_add_u32_e32 v27, v26, v24
	v_mov_b32_e32 v3, v6
	v_lshlrev_b64 v[2:3], 4, v[2:3]
	s_addc_u32 s23, s11, 0
	v_add_co_u32_e32 v34, vcc, v2, v4
	s_lshl_b64 s[8:9], s[24:25], 9
	v_addc_co_u32_e32 v35, vcc, v3, v5, vcc
	s_mov_b64 s[10:11], 0
	s_branch .LBB1862_4
.LBB1862_3:                             ;   in Loop: Header=BB1862_4 Depth=1
	s_or_b64 exec, exec, s[14:15]
	s_add_u32 s10, s10, 32
	s_addc_u32 s11, s11, 0
	v_mov_b32_e32 v2, s12
	s_add_u32 s20, s20, s6
	v_mov_b32_e32 v3, s13
	s_addc_u32 s21, s21, s7
	v_cmp_lt_i64_e32 vcc, s[10:11], v[2:3]
	s_add_u32 s22, s22, s8
	s_addc_u32 s23, s23, s9
	s_waitcnt vmcnt(0)
	s_barrier
	s_cbranch_vccz .LBB1862_16
.LBB1862_4:                             ; =>This Inner Loop Header: Depth=1
	v_mov_b32_e32 v3, s11
	v_add_co_u32_e32 v2, vcc, s10, v1
	v_addc_co_u32_e32 v3, vcc, 0, v3, vcc
	v_cmp_gt_i64_e32 vcc, s[12:13], v[2:3]
	v_mov_b32_e32 v2, 0
	v_mov_b32_e32 v4, 0
	v_mov_b32_e32 v6, 0
	v_mov_b32_e32 v3, 0
	v_mov_b32_e32 v5, 0
	v_mov_b32_e32 v7, 0
	s_and_b64 s[14:15], s[0:1], vcc
	s_and_saveexec_b64 s[16:17], s[14:15]
	s_cbranch_execz .LBB1862_6
; %bb.5:                                ;   in Loop: Header=BB1862_4 Depth=1
	v_mov_b32_e32 v5, s21
	v_add_co_u32_e32 v4, vcc, s20, v30
	v_addc_co_u32_e32 v5, vcc, v5, v31, vcc
	global_load_dwordx4 v[4:7], v[4:5], off
.LBB1862_6:                             ;   in Loop: Header=BB1862_4 Depth=1
	s_or_b64 exec, exec, s[16:17]
	s_waitcnt vmcnt(0)
	ds_write_b128 v25, v[4:7]
	v_mov_b32_e32 v5, s11
	v_add_co_u32_e32 v4, vcc, s10, v0
	v_addc_co_u32_e32 v5, vcc, 0, v5, vcc
	v_cmp_gt_i64_e32 vcc, s[12:13], v[4:5]
	v_mov_b32_e32 v4, 0
	v_mov_b32_e32 v5, 0
	s_and_b64 s[16:17], s[2:3], vcc
	s_and_saveexec_b64 s[18:19], s[16:17]
	s_cbranch_execz .LBB1862_8
; %bb.7:                                ;   in Loop: Header=BB1862_4 Depth=1
	v_mov_b32_e32 v3, s23
	v_add_co_u32_e32 v2, vcc, s22, v32
	v_addc_co_u32_e32 v3, vcc, v3, v33, vcc
	global_load_dwordx4 v[2:5], v[2:3], off offset:-8
.LBB1862_8:                             ;   in Loop: Header=BB1862_4 Depth=1
	s_or_b64 exec, exec, s[18:19]
	s_waitcnt vmcnt(0)
	ds_write_b128 v27, v[2:5]
	s_waitcnt lgkmcnt(0)
	s_barrier
	s_and_saveexec_b64 s[18:19], s[4:5]
	s_cbranch_execz .LBB1862_10
; %bb.9:                                ;   in Loop: Header=BB1862_4 Depth=1
	ds_read_b128 v[6:9], v26
	ds_read_b128 v[10:13], v24
	ds_read_b128 v[14:17], v24 offset:16
	ds_read_b128 v[18:21], v24 offset:32
	ds_read_b128 v[2:5], v24 offset:48
	s_waitcnt lgkmcnt(3)
	v_mul_f64 v[36:37], v[8:9], v[12:13]
	v_fma_f64 v[36:37], v[6:7], v[10:11], -v[36:37]
	v_mul_f64 v[6:7], v[6:7], v[12:13]
	v_fma_f64 v[6:7], v[8:9], v[10:11], v[6:7]
	v_add_f64 v[10:11], v[36:37], 0
	v_add_f64 v[12:13], v[6:7], 0
	ds_read_b128 v[6:9], v26 offset:512
	s_waitcnt lgkmcnt(0)
	v_mul_f64 v[36:37], v[8:9], v[16:17]
	v_fma_f64 v[36:37], v[6:7], v[14:15], -v[36:37]
	v_mul_f64 v[6:7], v[6:7], v[16:17]
	v_add_f64 v[10:11], v[10:11], v[36:37]
	v_fma_f64 v[6:7], v[8:9], v[14:15], v[6:7]
	v_add_f64 v[12:13], v[12:13], v[6:7]
	ds_read_b128 v[6:9], v26 offset:1024
	s_waitcnt lgkmcnt(0)
	v_mul_f64 v[14:15], v[8:9], v[20:21]
	v_fma_f64 v[14:15], v[6:7], v[18:19], -v[14:15]
	v_mul_f64 v[6:7], v[6:7], v[20:21]
	v_add_f64 v[10:11], v[10:11], v[14:15]
	v_fma_f64 v[6:7], v[8:9], v[18:19], v[6:7]
	v_add_f64 v[12:13], v[12:13], v[6:7]
	ds_read_b128 v[6:9], v26 offset:1536
	s_waitcnt lgkmcnt(0)
	v_mul_f64 v[14:15], v[8:9], v[4:5]
	v_mul_f64 v[4:5], v[6:7], v[4:5]
	v_fma_f64 v[14:15], v[6:7], v[2:3], -v[14:15]
	v_fma_f64 v[2:3], v[8:9], v[2:3], v[4:5]
	v_add_f64 v[10:11], v[10:11], v[14:15]
	v_add_f64 v[12:13], v[12:13], v[2:3]
	ds_read_b128 v[2:5], v26 offset:2048
	ds_read_b128 v[6:9], v24 offset:64
	s_waitcnt lgkmcnt(0)
	v_mul_f64 v[14:15], v[4:5], v[8:9]
	v_fma_f64 v[14:15], v[2:3], v[6:7], -v[14:15]
	v_mul_f64 v[2:3], v[2:3], v[8:9]
	v_add_f64 v[10:11], v[10:11], v[14:15]
	v_fma_f64 v[2:3], v[4:5], v[6:7], v[2:3]
	v_add_f64 v[12:13], v[12:13], v[2:3]
	ds_read_b128 v[2:5], v26 offset:2560
	ds_read_b128 v[6:9], v24 offset:80
	s_waitcnt lgkmcnt(0)
	v_mul_f64 v[14:15], v[4:5], v[8:9]
	v_fma_f64 v[14:15], v[2:3], v[6:7], -v[14:15]
	v_mul_f64 v[2:3], v[2:3], v[8:9]
	v_add_f64 v[10:11], v[10:11], v[14:15]
	v_fma_f64 v[2:3], v[4:5], v[6:7], v[2:3]
	;; [unrolled: 9-line block ×27, first 2 shown]
	v_add_f64 v[12:13], v[12:13], v[2:3]
	ds_read_b128 v[2:5], v26 offset:15872
	ds_read_b128 v[6:9], v24 offset:496
	s_waitcnt lgkmcnt(0)
	v_mul_f64 v[14:15], v[4:5], v[8:9]
	v_fma_f64 v[14:15], v[2:3], v[6:7], -v[14:15]
	v_mul_f64 v[2:3], v[2:3], v[8:9]
	v_fma_f64 v[2:3], v[4:5], v[6:7], v[2:3]
	v_add_f64 v[4:5], v[10:11], v[14:15]
	v_add_f64 v[2:3], v[12:13], v[2:3]
	v_mul_f64 v[6:7], s[30:31], v[2:3]
	v_mul_f64 v[2:3], s[28:29], v[2:3]
	v_fma_f64 v[6:7], s[28:29], v[4:5], -v[6:7]
	v_fma_f64 v[8:9], s[30:31], v[4:5], v[2:3]
	global_load_dwordx4 v[2:5], v[22:23], off
	s_waitcnt vmcnt(0)
	v_add_f64 v[2:3], v[2:3], v[6:7]
	v_add_f64 v[4:5], v[4:5], v[8:9]
	global_store_dwordx4 v[22:23], v[2:5], off
.LBB1862_10:                            ;   in Loop: Header=BB1862_4 Depth=1
	s_or_b64 exec, exec, s[18:19]
	v_mov_b32_e32 v4, 0
	v_mov_b32_e32 v8, 0
	;; [unrolled: 1-line block ×6, first 2 shown]
	s_waitcnt vmcnt(0)
	s_barrier
	s_and_saveexec_b64 s[18:19], s[14:15]
	s_cbranch_execz .LBB1862_12
; %bb.11:                               ;   in Loop: Header=BB1862_4 Depth=1
	v_mov_b32_e32 v3, s23
	v_add_co_u32_e32 v2, vcc, s22, v34
	v_addc_co_u32_e32 v3, vcc, v3, v35, vcc
	global_load_dwordx4 v[6:9], v[2:3], off offset:-8
.LBB1862_12:                            ;   in Loop: Header=BB1862_4 Depth=1
	s_or_b64 exec, exec, s[18:19]
	v_mov_b32_e32 v2, 0
	v_mov_b32_e32 v3, 0
	s_waitcnt vmcnt(0)
	ds_write_b128 v25, v[6:9]
	s_and_saveexec_b64 s[14:15], s[16:17]
	s_cbranch_execz .LBB1862_14
; %bb.13:                               ;   in Loop: Header=BB1862_4 Depth=1
	v_mov_b32_e32 v3, s21
	v_add_co_u32_e32 v2, vcc, s20, v29
	v_addc_co_u32_e32 v3, vcc, v3, v28, vcc
	global_load_dwordx4 v[2:5], v[2:3], off offset:-8
.LBB1862_14:                            ;   in Loop: Header=BB1862_4 Depth=1
	s_or_b64 exec, exec, s[14:15]
	s_waitcnt vmcnt(0)
	ds_write_b128 v27, v[2:5]
	s_waitcnt lgkmcnt(0)
	s_barrier
	s_and_saveexec_b64 s[14:15], s[4:5]
	s_cbranch_execz .LBB1862_3
; %bb.15:                               ;   in Loop: Header=BB1862_4 Depth=1
	ds_read_b128 v[2:5], v26
	ds_read_b128 v[6:9], v24
	ds_read_b128 v[10:13], v24 offset:16
	ds_read_b128 v[14:17], v26 offset:512
	;; [unrolled: 1-line block ×5, first 2 shown]
	s_waitcnt lgkmcnt(5)
	v_mul_f64 v[44:45], v[2:3], v[8:9]
	v_mul_f64 v[8:9], v[4:5], v[8:9]
	s_waitcnt lgkmcnt(3)
	v_mul_f64 v[46:47], v[16:17], v[12:13]
	v_mul_f64 v[12:13], v[14:15], v[12:13]
	;; [unrolled: 3-line block ×3, first 2 shown]
	v_fma_f64 v[44:45], v[4:5], v[6:7], v[44:45]
	v_fma_f64 v[48:49], v[2:3], v[6:7], -v[8:9]
	v_fma_f64 v[46:47], v[14:15], v[10:11], -v[46:47]
	v_fma_f64 v[52:53], v[16:17], v[10:11], v[12:13]
	ds_read_b128 v[2:5], v26 offset:1536
	ds_read_b128 v[6:9], v24 offset:64
	v_fma_f64 v[50:51], v[18:19], v[36:37], -v[50:51]
	v_fma_f64 v[56:57], v[20:21], v[36:37], v[38:39]
	ds_read_b128 v[10:13], v26 offset:2048
	ds_read_b128 v[14:17], v26 offset:2560
	v_add_f64 v[44:45], v[44:45], 0
	v_add_f64 v[48:49], v[48:49], 0
	s_waitcnt lgkmcnt(3)
	v_mul_f64 v[54:55], v[4:5], v[42:43]
	v_mul_f64 v[42:43], v[2:3], v[42:43]
	ds_read_b128 v[18:21], v24 offset:80
	ds_read_b128 v[36:39], v24 offset:96
	v_add_f64 v[44:45], v[44:45], v[52:53]
	v_add_f64 v[46:47], v[48:49], v[46:47]
	s_waitcnt lgkmcnt(3)
	v_mul_f64 v[48:49], v[12:13], v[8:9]
	v_mul_f64 v[8:9], v[10:11], v[8:9]
	v_fma_f64 v[52:53], v[2:3], v[40:41], -v[54:55]
	v_fma_f64 v[54:55], v[4:5], v[40:41], v[42:43]
	ds_read_b128 v[2:5], v26 offset:3072
	ds_read_b128 v[40:43], v26 offset:3584
	v_add_f64 v[44:45], v[44:45], v[56:57]
	v_add_f64 v[46:47], v[46:47], v[50:51]
	s_waitcnt lgkmcnt(3)
	v_mul_f64 v[50:51], v[16:17], v[20:21]
	v_mul_f64 v[20:21], v[14:15], v[20:21]
	v_fma_f64 v[48:49], v[10:11], v[6:7], -v[48:49]
	v_fma_f64 v[56:57], v[12:13], v[6:7], v[8:9]
	;; [unrolled: 9-line block ×15, first 2 shown]
	s_waitcnt lgkmcnt(1)
	v_mul_f64 v[54:55], v[42:43], v[8:9]
	v_mul_f64 v[56:57], v[40:41], v[8:9]
	v_add_f64 v[20:21], v[44:45], v[16:17]
	v_add_f64 v[48:49], v[46:47], v[48:49]
	v_fma_f64 v[52:53], v[2:3], v[36:37], -v[52:53]
	v_fma_f64 v[36:37], v[4:5], v[36:37], v[38:39]
	ds_read_b128 v[16:19], v26 offset:10240
	ds_read_b128 v[44:47], v26 offset:10752
	v_add_f64 v[20:21], v[20:21], v[10:11]
	v_add_f64 v[38:39], v[48:49], v[50:51]
	s_waitcnt lgkmcnt(1)
	v_mul_f64 v[48:49], v[18:19], v[14:15]
	v_mul_f64 v[14:15], v[16:17], v[14:15]
	v_fma_f64 v[50:51], v[40:41], v[6:7], -v[54:55]
	v_fma_f64 v[6:7], v[42:43], v[6:7], v[56:57]
	ds_read_b128 v[2:5], v24 offset:336
	ds_read_b128 v[8:11], v24 offset:352
	v_add_f64 v[20:21], v[20:21], v[36:37]
	v_add_f64 v[52:53], v[38:39], v[52:53]
	s_waitcnt lgkmcnt(1)
	v_mul_f64 v[54:55], v[46:47], v[4:5]
	v_mul_f64 v[4:5], v[44:45], v[4:5]
	;; [unrolled: 9-line block ×3, first 2 shown]
	v_fma_f64 v[52:53], v[44:45], v[2:3], -v[54:55]
	v_fma_f64 v[54:55], v[46:47], v[2:3], v[4:5]
	ds_read_b128 v[14:17], v24 offset:368
	ds_read_b128 v[48:51], v24 offset:384
	;; [unrolled: 1-line block ×4, first 2 shown]
	v_add_f64 v[6:7], v[6:7], v[12:13]
	v_add_f64 v[12:13], v[18:19], v[56:57]
	s_waitcnt lgkmcnt(3)
	v_mul_f64 v[18:19], v[42:43], v[16:17]
	v_mul_f64 v[16:17], v[40:41], v[16:17]
	v_fma_f64 v[20:21], v[36:37], v[8:9], -v[20:21]
	v_fma_f64 v[36:37], v[38:39], v[8:9], v[10:11]
	v_add_f64 v[38:39], v[6:7], v[54:55]
	v_add_f64 v[52:53], v[12:13], v[52:53]
	s_waitcnt lgkmcnt(1)
	v_mul_f64 v[54:55], v[46:47], v[50:51]
	v_mul_f64 v[50:51], v[44:45], v[50:51]
	v_fma_f64 v[40:41], v[40:41], v[14:15], -v[18:19]
	v_fma_f64 v[42:43], v[42:43], v[14:15], v[16:17]
	ds_read_b128 v[6:9], v24 offset:400
	ds_read_b128 v[10:13], v24 offset:416
	v_add_f64 v[36:37], v[38:39], v[36:37]
	v_add_f64 v[38:39], v[52:53], v[20:21]
	s_waitcnt lgkmcnt(1)
	v_mul_f64 v[52:53], v[4:5], v[8:9]
	v_mul_f64 v[8:9], v[2:3], v[8:9]
	v_fma_f64 v[44:45], v[44:45], v[48:49], -v[54:55]
	v_fma_f64 v[46:47], v[46:47], v[48:49], v[50:51]
	ds_read_b128 v[14:17], v26 offset:13312
	ds_read_b128 v[18:21], v26 offset:13824
	v_add_f64 v[48:49], v[36:37], v[42:43]
	v_add_f64 v[50:51], v[38:39], v[40:41]
	global_load_dwordx4 v[40:43], v[22:23], off
	s_waitcnt lgkmcnt(1)
	v_mul_f64 v[54:55], v[16:17], v[12:13]
	v_mul_f64 v[12:13], v[14:15], v[12:13]
	v_fma_f64 v[52:53], v[2:3], v[6:7], -v[52:53]
	v_fma_f64 v[56:57], v[4:5], v[6:7], v[8:9]
	ds_read_b128 v[36:39], v24 offset:432
	v_add_f64 v[46:47], v[48:49], v[46:47]
	v_add_f64 v[44:45], v[50:51], v[44:45]
	ds_read_b128 v[2:5], v24 offset:448
	ds_read_b128 v[6:9], v26 offset:14336
	v_fma_f64 v[50:51], v[14:15], v[10:11], -v[54:55]
	s_waitcnt lgkmcnt(2)
	v_mul_f64 v[48:49], v[20:21], v[38:39]
	v_mul_f64 v[38:39], v[18:19], v[38:39]
	v_fma_f64 v[54:55], v[16:17], v[10:11], v[12:13]
	ds_read_b128 v[10:13], v26 offset:14848
	ds_read_b128 v[14:17], v24 offset:464
	v_add_f64 v[46:47], v[46:47], v[56:57]
	v_add_f64 v[44:45], v[44:45], v[52:53]
	s_waitcnt lgkmcnt(2)
	v_mul_f64 v[52:53], v[8:9], v[4:5]
	v_mul_f64 v[4:5], v[6:7], v[4:5]
	v_fma_f64 v[48:49], v[18:19], v[36:37], -v[48:49]
	v_fma_f64 v[56:57], v[20:21], v[36:37], v[38:39]
	ds_read_b128 v[18:21], v26 offset:15360
	ds_read_b128 v[36:39], v24 offset:480
	v_add_f64 v[46:47], v[46:47], v[54:55]
	v_add_f64 v[44:45], v[44:45], v[50:51]
	s_waitcnt lgkmcnt(2)
	v_mul_f64 v[50:51], v[12:13], v[16:17]
	v_mul_f64 v[16:17], v[10:11], v[16:17]
	v_fma_f64 v[52:53], v[6:7], v[2:3], -v[52:53]
	;; [unrolled: 9-line block ×3, first 2 shown]
	v_fma_f64 v[12:13], v[12:13], v[14:15], v[16:17]
	v_add_f64 v[14:15], v[46:47], v[54:55]
	v_add_f64 v[16:17], v[44:45], v[52:53]
	s_waitcnt lgkmcnt(0)
	v_mul_f64 v[44:45], v[4:5], v[8:9]
	v_mul_f64 v[8:9], v[2:3], v[8:9]
	v_fma_f64 v[18:19], v[18:19], v[36:37], -v[48:49]
	v_fma_f64 v[20:21], v[20:21], v[36:37], v[38:39]
	v_add_f64 v[12:13], v[14:15], v[12:13]
	v_add_f64 v[10:11], v[16:17], v[10:11]
	v_fma_f64 v[2:3], v[2:3], v[6:7], -v[44:45]
	v_fma_f64 v[4:5], v[4:5], v[6:7], v[8:9]
	v_add_f64 v[6:7], v[12:13], v[20:21]
	v_add_f64 v[8:9], v[10:11], v[18:19]
	;; [unrolled: 1-line block ×4, first 2 shown]
	v_mul_f64 v[6:7], s[30:31], v[4:5]
	v_mul_f64 v[8:9], s[30:31], v[2:3]
	v_fma_f64 v[2:3], s[28:29], v[2:3], -v[6:7]
	v_fma_f64 v[4:5], s[28:29], v[4:5], v[8:9]
	s_waitcnt vmcnt(0)
	v_add_f64 v[2:3], v[40:41], v[2:3]
	v_add_f64 v[4:5], v[42:43], v[4:5]
	global_store_dwordx4 v[22:23], v[2:5], off
	s_branch .LBB1862_3
.LBB1862_16:
	s_endpgm
	.section	.rodata,"a",@progbits
	.p2align	6, 0x0
	.amdhsa_kernel _ZL26rocblas_syr2k_her2k_kernelIlLb1ELb0ELb0ELi32EPK19rocblas_complex_numIdES3_PS1_EvbiT_T4_T5_S5_lS7_S5_lT6_S5_li
		.amdhsa_group_segment_fixed_size 32768
		.amdhsa_private_segment_fixed_size 0
		.amdhsa_kernarg_size 100
		.amdhsa_user_sgpr_count 6
		.amdhsa_user_sgpr_private_segment_buffer 1
		.amdhsa_user_sgpr_dispatch_ptr 0
		.amdhsa_user_sgpr_queue_ptr 0
		.amdhsa_user_sgpr_kernarg_segment_ptr 1
		.amdhsa_user_sgpr_dispatch_id 0
		.amdhsa_user_sgpr_flat_scratch_init 0
		.amdhsa_user_sgpr_private_segment_size 0
		.amdhsa_uses_dynamic_stack 0
		.amdhsa_system_sgpr_private_segment_wavefront_offset 0
		.amdhsa_system_sgpr_workgroup_id_x 1
		.amdhsa_system_sgpr_workgroup_id_y 1
		.amdhsa_system_sgpr_workgroup_id_z 1
		.amdhsa_system_sgpr_workgroup_info 0
		.amdhsa_system_vgpr_workitem_id 1
		.amdhsa_next_free_vgpr 58
		.amdhsa_next_free_sgpr 61
		.amdhsa_reserve_vcc 1
		.amdhsa_reserve_flat_scratch 0
		.amdhsa_float_round_mode_32 0
		.amdhsa_float_round_mode_16_64 0
		.amdhsa_float_denorm_mode_32 3
		.amdhsa_float_denorm_mode_16_64 3
		.amdhsa_dx10_clamp 1
		.amdhsa_ieee_mode 1
		.amdhsa_fp16_overflow 0
		.amdhsa_exception_fp_ieee_invalid_op 0
		.amdhsa_exception_fp_denorm_src 0
		.amdhsa_exception_fp_ieee_div_zero 0
		.amdhsa_exception_fp_ieee_overflow 0
		.amdhsa_exception_fp_ieee_underflow 0
		.amdhsa_exception_fp_ieee_inexact 0
		.amdhsa_exception_int_div_zero 0
	.end_amdhsa_kernel
	.section	.text._ZL26rocblas_syr2k_her2k_kernelIlLb1ELb0ELb0ELi32EPK19rocblas_complex_numIdES3_PS1_EvbiT_T4_T5_S5_lS7_S5_lT6_S5_li,"axG",@progbits,_ZL26rocblas_syr2k_her2k_kernelIlLb1ELb0ELb0ELi32EPK19rocblas_complex_numIdES3_PS1_EvbiT_T4_T5_S5_lS7_S5_lT6_S5_li,comdat
.Lfunc_end1862:
	.size	_ZL26rocblas_syr2k_her2k_kernelIlLb1ELb0ELb0ELi32EPK19rocblas_complex_numIdES3_PS1_EvbiT_T4_T5_S5_lS7_S5_lT6_S5_li, .Lfunc_end1862-_ZL26rocblas_syr2k_her2k_kernelIlLb1ELb0ELb0ELi32EPK19rocblas_complex_numIdES3_PS1_EvbiT_T4_T5_S5_lS7_S5_lT6_S5_li
                                        ; -- End function
	.set _ZL26rocblas_syr2k_her2k_kernelIlLb1ELb0ELb0ELi32EPK19rocblas_complex_numIdES3_PS1_EvbiT_T4_T5_S5_lS7_S5_lT6_S5_li.num_vgpr, 58
	.set _ZL26rocblas_syr2k_her2k_kernelIlLb1ELb0ELb0ELi32EPK19rocblas_complex_numIdES3_PS1_EvbiT_T4_T5_S5_lS7_S5_lT6_S5_li.num_agpr, 0
	.set _ZL26rocblas_syr2k_her2k_kernelIlLb1ELb0ELb0ELi32EPK19rocblas_complex_numIdES3_PS1_EvbiT_T4_T5_S5_lS7_S5_lT6_S5_li.numbered_sgpr, 40
	.set _ZL26rocblas_syr2k_her2k_kernelIlLb1ELb0ELb0ELi32EPK19rocblas_complex_numIdES3_PS1_EvbiT_T4_T5_S5_lS7_S5_lT6_S5_li.num_named_barrier, 0
	.set _ZL26rocblas_syr2k_her2k_kernelIlLb1ELb0ELb0ELi32EPK19rocblas_complex_numIdES3_PS1_EvbiT_T4_T5_S5_lS7_S5_lT6_S5_li.private_seg_size, 0
	.set _ZL26rocblas_syr2k_her2k_kernelIlLb1ELb0ELb0ELi32EPK19rocblas_complex_numIdES3_PS1_EvbiT_T4_T5_S5_lS7_S5_lT6_S5_li.uses_vcc, 1
	.set _ZL26rocblas_syr2k_her2k_kernelIlLb1ELb0ELb0ELi32EPK19rocblas_complex_numIdES3_PS1_EvbiT_T4_T5_S5_lS7_S5_lT6_S5_li.uses_flat_scratch, 0
	.set _ZL26rocblas_syr2k_her2k_kernelIlLb1ELb0ELb0ELi32EPK19rocblas_complex_numIdES3_PS1_EvbiT_T4_T5_S5_lS7_S5_lT6_S5_li.has_dyn_sized_stack, 0
	.set _ZL26rocblas_syr2k_her2k_kernelIlLb1ELb0ELb0ELi32EPK19rocblas_complex_numIdES3_PS1_EvbiT_T4_T5_S5_lS7_S5_lT6_S5_li.has_recursion, 0
	.set _ZL26rocblas_syr2k_her2k_kernelIlLb1ELb0ELb0ELi32EPK19rocblas_complex_numIdES3_PS1_EvbiT_T4_T5_S5_lS7_S5_lT6_S5_li.has_indirect_call, 0
	.section	.AMDGPU.csdata,"",@progbits
; Kernel info:
; codeLenInByte = 5480
; TotalNumSgprs: 44
; NumVgprs: 58
; ScratchSize: 0
; MemoryBound: 1
; FloatMode: 240
; IeeeMode: 1
; LDSByteSize: 32768 bytes/workgroup (compile time only)
; SGPRBlocks: 8
; VGPRBlocks: 14
; NumSGPRsForWavesPerEU: 65
; NumVGPRsForWavesPerEU: 58
; Occupancy: 4
; WaveLimiterHint : 0
; COMPUTE_PGM_RSRC2:SCRATCH_EN: 0
; COMPUTE_PGM_RSRC2:USER_SGPR: 6
; COMPUTE_PGM_RSRC2:TRAP_HANDLER: 0
; COMPUTE_PGM_RSRC2:TGID_X_EN: 1
; COMPUTE_PGM_RSRC2:TGID_Y_EN: 1
; COMPUTE_PGM_RSRC2:TGID_Z_EN: 1
; COMPUTE_PGM_RSRC2:TIDIG_COMP_CNT: 1
	.section	.text._ZL26rocblas_syr2k_her2k_kernelIlLb1ELb0ELb1ELi32EPK19rocblas_complex_numIdES3_PS1_EvbiT_T4_T5_S5_lS7_S5_lT6_S5_li,"axG",@progbits,_ZL26rocblas_syr2k_her2k_kernelIlLb1ELb0ELb1ELi32EPK19rocblas_complex_numIdES3_PS1_EvbiT_T4_T5_S5_lS7_S5_lT6_S5_li,comdat
	.globl	_ZL26rocblas_syr2k_her2k_kernelIlLb1ELb0ELb1ELi32EPK19rocblas_complex_numIdES3_PS1_EvbiT_T4_T5_S5_lS7_S5_lT6_S5_li ; -- Begin function _ZL26rocblas_syr2k_her2k_kernelIlLb1ELb0ELb1ELi32EPK19rocblas_complex_numIdES3_PS1_EvbiT_T4_T5_S5_lS7_S5_lT6_S5_li
	.p2align	8
	.type	_ZL26rocblas_syr2k_her2k_kernelIlLb1ELb0ELb1ELi32EPK19rocblas_complex_numIdES3_PS1_EvbiT_T4_T5_S5_lS7_S5_lT6_S5_li,@function
_ZL26rocblas_syr2k_her2k_kernelIlLb1ELb0ELb1ELi32EPK19rocblas_complex_numIdES3_PS1_EvbiT_T4_T5_S5_lS7_S5_lT6_S5_li: ; @_ZL26rocblas_syr2k_her2k_kernelIlLb1ELb0ELb1ELi32EPK19rocblas_complex_numIdES3_PS1_EvbiT_T4_T5_S5_lS7_S5_lT6_S5_li
; %bb.0:
	s_load_dwordx16 s[12:27], s[4:5], 0x8
	s_waitcnt lgkmcnt(0)
	s_load_dwordx4 s[28:31], s[14:15], 0x0
	s_waitcnt lgkmcnt(0)
	v_cmp_eq_f64_e64 s[0:1], s[28:29], 0
	v_cmp_eq_f64_e64 s[2:3], s[30:31], 0
	s_and_b64 s[0:1], s[0:1], s[2:3]
	s_and_b64 vcc, exec, s[0:1]
	s_cbranch_vccnz .LBB1863_16
; %bb.1:
	s_load_dwordx2 s[10:11], s[4:5], 0x0
	s_lshl_b32 s3, s7, 5
	s_lshl_b32 s2, s6, 5
	s_waitcnt lgkmcnt(0)
	s_and_b32 s0, 1, s10
	s_cmp_eq_u32 s0, 1
	s_cselect_b64 s[0:1], -1, 0
	s_and_b64 s[6:7], s[0:1], exec
	s_cselect_b32 s6, s2, s3
	s_cselect_b32 s7, s3, s2
	s_cmp_gt_i32 s6, s7
	v_cmp_lt_i64_e64 s[6:7], s[12:13], 1
	s_cselect_b64 s[14:15], -1, 0
	s_or_b64 s[6:7], s[14:15], s[6:7]
	s_and_b64 vcc, exec, s[6:7]
	s_cbranch_vccnz .LBB1863_16
; %bb.2:
	s_load_dwordx2 s[6:7], s[4:5], 0x58
	s_load_dwordx4 s[36:39], s[4:5], 0x48
	v_add_u32_e32 v4, s3, v1
	v_mov_b32_e32 v3, 0
	v_add_u32_e32 v2, s2, v0
	s_waitcnt lgkmcnt(0)
	s_mul_i32 s3, s7, s8
	s_mul_hi_u32 s5, s6, s8
	s_mul_i32 s4, s6, s8
	s_add_i32 s5, s5, s3
	s_lshl_b64 s[4:5], s[4:5], 4
	s_add_u32 s6, s36, s4
	s_addc_u32 s7, s37, s5
	s_ashr_i32 s3, s11, 31
	s_mov_b32 s2, s11
	v_mov_b32_e32 v5, v3
	v_cndmask_b32_e64 v7, v2, v4, s[0:1]
	v_cndmask_b32_e64 v8, v4, v2, s[0:1]
	v_cmp_gt_i64_e64 s[0:1], s[2:3], v[2:3]
	v_cmp_gt_i64_e64 s[2:3], s[2:3], v[4:5]
	v_ashrrev_i32_e32 v5, 31, v4
	v_mul_lo_u32 v10, s38, v5
	v_mul_lo_u32 v11, s39, v4
	v_mad_u64_u32 v[5:6], s[4:5], s38, v4, 0
	v_max_i32_e32 v3, v2, v4
	v_cmp_gt_i32_e32 vcc, s11, v3
	v_add3_u32 v6, v6, v10, v11
	v_lshlrev_b64 v[5:6], 4, v[5:6]
	v_cmp_le_i32_e64 s[4:5], v8, v7
	s_and_b64 s[4:5], s[4:5], vcc
	v_mov_b32_e32 v7, s7
	v_add_co_u32_e32 v10, vcc, s6, v5
	v_addc_co_u32_e32 v11, vcc, v7, v6, vcc
	v_mad_u64_u32 v[7:8], s[6:7], s18, v4, 0
	v_ashrrev_i32_e32 v3, 31, v2
	v_lshlrev_b64 v[5:6], 4, v[2:3]
	v_mov_b32_e32 v3, v8
	v_add_co_u32_e32 v22, vcc, v10, v5
	v_addc_co_u32_e32 v23, vcc, v11, v6, vcc
	v_mad_u64_u32 v[5:6], s[6:7], s19, v4, v[3:4]
	s_mul_i32 s9, s21, s8
	s_mul_hi_u32 s10, s20, s8
	v_mov_b32_e32 v8, v5
	s_add_i32 s7, s10, s9
	s_mul_i32 s6, s20, s8
	v_lshlrev_b64 v[5:6], 4, v[7:8]
	s_lshl_b64 s[6:7], s[6:7], 4
	v_mov_b32_e32 v8, s7
	v_add_co_u32_e32 v3, vcc, s6, v5
	v_addc_co_u32_e32 v5, vcc, v8, v6, vcc
	v_lshlrev_b32_e32 v10, 4, v0
	v_add_co_u32_e32 v3, vcc, v3, v10
	v_addc_co_u32_e32 v7, vcc, 0, v5, vcc
	v_mad_u64_u32 v[5:6], s[10:11], s18, v2, 0
	v_mov_b32_e32 v11, s17
	v_add_co_u32_e32 v12, vcc, s16, v3
	v_mov_b32_e32 v3, v6
	v_addc_co_u32_e32 v11, vcc, v11, v7, vcc
	v_mad_u64_u32 v[6:7], s[10:11], s19, v2, v[3:4]
	v_add_co_u32_e32 v28, vcc, 8, v12
	v_lshlrev_b64 v[5:6], 4, v[5:6]
	v_addc_co_u32_e32 v29, vcc, 0, v11, vcc
	v_add_co_u32_e32 v3, vcc, s6, v5
	v_lshlrev_b32_e32 v9, 4, v1
	v_addc_co_u32_e32 v5, vcc, v8, v6, vcc
	v_add_co_u32_e32 v3, vcc, v3, v9
	v_addc_co_u32_e32 v7, vcc, 0, v5, vcc
	v_mad_u64_u32 v[5:6], s[6:7], s24, v4, 0
	v_add_co_u32_e32 v30, vcc, s16, v3
	v_mov_b32_e32 v3, v6
	v_mad_u64_u32 v[3:4], s[6:7], s25, v4, v[3:4]
	s_mul_i32 s9, s27, s8
	s_mul_hi_u32 s10, s26, s8
	v_mov_b32_e32 v6, v3
	v_mov_b32_e32 v8, s17
	s_add_i32 s7, s10, s9
	s_mul_i32 s6, s26, s8
	v_lshlrev_b64 v[3:4], 4, v[5:6]
	v_addc_co_u32_e32 v31, vcc, v8, v7, vcc
	s_lshl_b64 s[6:7], s[6:7], 4
	v_mov_b32_e32 v6, s7
	v_add_co_u32_e32 v3, vcc, s6, v3
	v_addc_co_u32_e32 v4, vcc, v6, v4, vcc
	v_add_co_u32_e32 v5, vcc, v3, v10
	v_addc_co_u32_e32 v7, vcc, 0, v4, vcc
	v_mad_u64_u32 v[3:4], s[8:9], s24, v2, 0
	v_add_co_u32_e32 v10, vcc, s22, v5
	v_mad_u64_u32 v[4:5], s[8:9], s25, v2, v[4:5]
	v_mov_b32_e32 v8, s23
	v_addc_co_u32_e32 v7, vcc, v8, v7, vcc
	v_add_co_u32_e32 v32, vcc, 8, v10
	v_lshlrev_b64 v[2:3], 4, v[3:4]
	v_addc_co_u32_e32 v33, vcc, 0, v7, vcc
	v_add_co_u32_e32 v2, vcc, s6, v2
	v_addc_co_u32_e32 v3, vcc, v6, v3, vcc
	v_add_co_u32_e32 v2, vcc, v2, v9
	v_addc_co_u32_e32 v3, vcc, 0, v3, vcc
	v_mov_b32_e32 v4, s23
	v_add_co_u32_e32 v2, vcc, s22, v2
	v_addc_co_u32_e32 v3, vcc, v4, v3, vcc
	v_lshlrev_b32_e32 v24, 9, v0
	v_or_b32_e32 v26, 0x4000, v9
	v_add_co_u32_e32 v34, vcc, 8, v2
	v_add_u32_e32 v25, v24, v9
	v_add_u32_e32 v27, v26, v24
	v_addc_co_u32_e32 v35, vcc, 0, v3, vcc
	s_mov_b64 s[6:7], 0
	s_mov_b64 s[8:9], 0
	s_branch .LBB1863_4
.LBB1863_3:                             ;   in Loop: Header=BB1863_4 Depth=1
	s_or_b64 exec, exec, s[10:11]
	s_add_u32 s8, s8, 32
	v_mov_b32_e32 v2, s12
	s_addc_u32 s9, s9, 0
	v_mov_b32_e32 v3, s13
	v_cmp_lt_i64_e32 vcc, s[8:9], v[2:3]
	s_add_u32 s6, s6, 0x200
	s_addc_u32 s7, s7, 0
	s_waitcnt vmcnt(0)
	s_barrier
	s_cbranch_vccz .LBB1863_16
.LBB1863_4:                             ; =>This Inner Loop Header: Depth=1
	v_mov_b32_e32 v3, s9
	v_add_co_u32_e32 v2, vcc, s8, v1
	v_addc_co_u32_e32 v3, vcc, 0, v3, vcc
	v_cmp_gt_i64_e32 vcc, s[12:13], v[2:3]
	v_mov_b32_e32 v2, 0
	v_mov_b32_e32 v4, 0
	;; [unrolled: 1-line block ×6, first 2 shown]
	s_and_b64 s[10:11], s[0:1], vcc
	s_and_saveexec_b64 s[14:15], s[10:11]
	s_cbranch_execz .LBB1863_6
; %bb.5:                                ;   in Loop: Header=BB1863_4 Depth=1
	v_mov_b32_e32 v5, s7
	v_add_co_u32_e32 v4, vcc, s6, v30
	v_addc_co_u32_e32 v5, vcc, v31, v5, vcc
	global_load_dwordx4 v[4:7], v[4:5], off
.LBB1863_6:                             ;   in Loop: Header=BB1863_4 Depth=1
	s_or_b64 exec, exec, s[14:15]
	s_waitcnt vmcnt(0)
	ds_write_b128 v25, v[4:7]
	v_mov_b32_e32 v5, s9
	v_add_co_u32_e32 v4, vcc, s8, v0
	v_addc_co_u32_e32 v5, vcc, 0, v5, vcc
	v_cmp_gt_i64_e32 vcc, s[12:13], v[4:5]
	v_mov_b32_e32 v4, 0
	v_mov_b32_e32 v5, 0
	s_and_b64 s[14:15], s[2:3], vcc
	s_and_saveexec_b64 s[16:17], s[14:15]
	s_cbranch_execz .LBB1863_8
; %bb.7:                                ;   in Loop: Header=BB1863_4 Depth=1
	v_mov_b32_e32 v3, s7
	v_add_co_u32_e32 v2, vcc, s6, v32
	v_addc_co_u32_e32 v3, vcc, v33, v3, vcc
	global_load_dwordx4 v[2:5], v[2:3], off offset:-8
.LBB1863_8:                             ;   in Loop: Header=BB1863_4 Depth=1
	s_or_b64 exec, exec, s[16:17]
	s_waitcnt vmcnt(0)
	ds_write_b128 v27, v[2:5]
	s_waitcnt lgkmcnt(0)
	s_barrier
	s_and_saveexec_b64 s[16:17], s[4:5]
	s_cbranch_execz .LBB1863_10
; %bb.9:                                ;   in Loop: Header=BB1863_4 Depth=1
	ds_read_b128 v[6:9], v26
	ds_read_b128 v[10:13], v24
	ds_read_b128 v[14:17], v24 offset:16
	ds_read_b128 v[18:21], v24 offset:32
	;; [unrolled: 1-line block ×3, first 2 shown]
	s_waitcnt lgkmcnt(3)
	v_mul_f64 v[36:37], v[8:9], v[12:13]
	v_fma_f64 v[36:37], v[6:7], v[10:11], -v[36:37]
	v_mul_f64 v[6:7], v[6:7], v[12:13]
	v_fma_f64 v[6:7], v[8:9], v[10:11], v[6:7]
	v_add_f64 v[10:11], v[36:37], 0
	v_add_f64 v[12:13], v[6:7], 0
	ds_read_b128 v[6:9], v26 offset:512
	s_waitcnt lgkmcnt(0)
	v_mul_f64 v[36:37], v[8:9], v[16:17]
	v_fma_f64 v[36:37], v[6:7], v[14:15], -v[36:37]
	v_mul_f64 v[6:7], v[6:7], v[16:17]
	v_add_f64 v[10:11], v[10:11], v[36:37]
	v_fma_f64 v[6:7], v[8:9], v[14:15], v[6:7]
	v_add_f64 v[12:13], v[12:13], v[6:7]
	ds_read_b128 v[6:9], v26 offset:1024
	s_waitcnt lgkmcnt(0)
	v_mul_f64 v[14:15], v[8:9], v[20:21]
	v_fma_f64 v[14:15], v[6:7], v[18:19], -v[14:15]
	v_mul_f64 v[6:7], v[6:7], v[20:21]
	v_add_f64 v[10:11], v[10:11], v[14:15]
	v_fma_f64 v[6:7], v[8:9], v[18:19], v[6:7]
	v_add_f64 v[12:13], v[12:13], v[6:7]
	ds_read_b128 v[6:9], v26 offset:1536
	s_waitcnt lgkmcnt(0)
	v_mul_f64 v[14:15], v[8:9], v[4:5]
	v_mul_f64 v[4:5], v[6:7], v[4:5]
	v_fma_f64 v[14:15], v[6:7], v[2:3], -v[14:15]
	v_fma_f64 v[2:3], v[8:9], v[2:3], v[4:5]
	v_add_f64 v[10:11], v[10:11], v[14:15]
	v_add_f64 v[12:13], v[12:13], v[2:3]
	ds_read_b128 v[2:5], v26 offset:2048
	ds_read_b128 v[6:9], v24 offset:64
	s_waitcnt lgkmcnt(0)
	v_mul_f64 v[14:15], v[4:5], v[8:9]
	v_fma_f64 v[14:15], v[2:3], v[6:7], -v[14:15]
	v_mul_f64 v[2:3], v[2:3], v[8:9]
	v_add_f64 v[10:11], v[10:11], v[14:15]
	v_fma_f64 v[2:3], v[4:5], v[6:7], v[2:3]
	v_add_f64 v[12:13], v[12:13], v[2:3]
	ds_read_b128 v[2:5], v26 offset:2560
	ds_read_b128 v[6:9], v24 offset:80
	s_waitcnt lgkmcnt(0)
	v_mul_f64 v[14:15], v[4:5], v[8:9]
	v_fma_f64 v[14:15], v[2:3], v[6:7], -v[14:15]
	v_mul_f64 v[2:3], v[2:3], v[8:9]
	v_add_f64 v[10:11], v[10:11], v[14:15]
	v_fma_f64 v[2:3], v[4:5], v[6:7], v[2:3]
	;; [unrolled: 9-line block ×27, first 2 shown]
	v_add_f64 v[12:13], v[12:13], v[2:3]
	ds_read_b128 v[2:5], v26 offset:15872
	ds_read_b128 v[6:9], v24 offset:496
	s_waitcnt lgkmcnt(0)
	v_mul_f64 v[14:15], v[4:5], v[8:9]
	v_fma_f64 v[14:15], v[2:3], v[6:7], -v[14:15]
	v_mul_f64 v[2:3], v[2:3], v[8:9]
	v_fma_f64 v[2:3], v[4:5], v[6:7], v[2:3]
	v_add_f64 v[4:5], v[10:11], v[14:15]
	v_add_f64 v[2:3], v[12:13], v[2:3]
	v_mul_f64 v[6:7], s[30:31], v[2:3]
	v_mul_f64 v[2:3], s[28:29], v[2:3]
	v_fma_f64 v[6:7], s[28:29], v[4:5], -v[6:7]
	v_fma_f64 v[8:9], s[30:31], v[4:5], v[2:3]
	global_load_dwordx4 v[2:5], v[22:23], off
	s_waitcnt vmcnt(0)
	v_add_f64 v[2:3], v[2:3], v[6:7]
	v_add_f64 v[4:5], v[4:5], v[8:9]
	global_store_dwordx4 v[22:23], v[2:5], off
.LBB1863_10:                            ;   in Loop: Header=BB1863_4 Depth=1
	s_or_b64 exec, exec, s[16:17]
	v_mov_b32_e32 v4, 0
	v_mov_b32_e32 v8, 0
	;; [unrolled: 1-line block ×6, first 2 shown]
	s_waitcnt vmcnt(0)
	s_barrier
	s_and_saveexec_b64 s[16:17], s[10:11]
	s_cbranch_execz .LBB1863_12
; %bb.11:                               ;   in Loop: Header=BB1863_4 Depth=1
	v_mov_b32_e32 v3, s7
	v_add_co_u32_e32 v2, vcc, s6, v34
	v_addc_co_u32_e32 v3, vcc, v35, v3, vcc
	global_load_dwordx4 v[6:9], v[2:3], off offset:-8
.LBB1863_12:                            ;   in Loop: Header=BB1863_4 Depth=1
	s_or_b64 exec, exec, s[16:17]
	v_mov_b32_e32 v2, 0
	v_mov_b32_e32 v3, 0
	s_waitcnt vmcnt(0)
	ds_write_b128 v25, v[6:9]
	s_and_saveexec_b64 s[10:11], s[14:15]
	s_cbranch_execz .LBB1863_14
; %bb.13:                               ;   in Loop: Header=BB1863_4 Depth=1
	v_mov_b32_e32 v3, s7
	v_add_co_u32_e32 v2, vcc, s6, v28
	v_addc_co_u32_e32 v3, vcc, v29, v3, vcc
	global_load_dwordx4 v[2:5], v[2:3], off offset:-8
.LBB1863_14:                            ;   in Loop: Header=BB1863_4 Depth=1
	s_or_b64 exec, exec, s[10:11]
	s_waitcnt vmcnt(0)
	ds_write_b128 v27, v[2:5]
	s_waitcnt lgkmcnt(0)
	s_barrier
	s_and_saveexec_b64 s[10:11], s[4:5]
	s_cbranch_execz .LBB1863_3
; %bb.15:                               ;   in Loop: Header=BB1863_4 Depth=1
	ds_read_b128 v[2:5], v26
	ds_read_b128 v[6:9], v24
	ds_read_b128 v[10:13], v24 offset:16
	ds_read_b128 v[14:17], v26 offset:512
	;; [unrolled: 1-line block ×5, first 2 shown]
	s_waitcnt lgkmcnt(5)
	v_mul_f64 v[44:45], v[2:3], v[8:9]
	v_mul_f64 v[8:9], v[4:5], v[8:9]
	s_waitcnt lgkmcnt(3)
	v_mul_f64 v[46:47], v[16:17], v[12:13]
	v_mul_f64 v[12:13], v[14:15], v[12:13]
	;; [unrolled: 3-line block ×3, first 2 shown]
	v_fma_f64 v[44:45], v[4:5], v[6:7], v[44:45]
	v_fma_f64 v[48:49], v[2:3], v[6:7], -v[8:9]
	v_fma_f64 v[46:47], v[14:15], v[10:11], -v[46:47]
	v_fma_f64 v[52:53], v[16:17], v[10:11], v[12:13]
	ds_read_b128 v[2:5], v26 offset:1536
	ds_read_b128 v[6:9], v24 offset:64
	v_fma_f64 v[50:51], v[18:19], v[36:37], -v[50:51]
	v_fma_f64 v[56:57], v[20:21], v[36:37], v[38:39]
	ds_read_b128 v[10:13], v26 offset:2048
	ds_read_b128 v[14:17], v26 offset:2560
	v_add_f64 v[44:45], v[44:45], 0
	v_add_f64 v[48:49], v[48:49], 0
	s_waitcnt lgkmcnt(3)
	v_mul_f64 v[54:55], v[4:5], v[42:43]
	v_mul_f64 v[42:43], v[2:3], v[42:43]
	ds_read_b128 v[18:21], v24 offset:80
	ds_read_b128 v[36:39], v24 offset:96
	v_add_f64 v[44:45], v[44:45], v[52:53]
	v_add_f64 v[46:47], v[48:49], v[46:47]
	s_waitcnt lgkmcnt(3)
	v_mul_f64 v[48:49], v[12:13], v[8:9]
	v_mul_f64 v[8:9], v[10:11], v[8:9]
	v_fma_f64 v[52:53], v[2:3], v[40:41], -v[54:55]
	v_fma_f64 v[54:55], v[4:5], v[40:41], v[42:43]
	ds_read_b128 v[2:5], v26 offset:3072
	ds_read_b128 v[40:43], v26 offset:3584
	v_add_f64 v[44:45], v[44:45], v[56:57]
	v_add_f64 v[46:47], v[46:47], v[50:51]
	s_waitcnt lgkmcnt(3)
	v_mul_f64 v[50:51], v[16:17], v[20:21]
	v_mul_f64 v[20:21], v[14:15], v[20:21]
	v_fma_f64 v[48:49], v[10:11], v[6:7], -v[48:49]
	v_fma_f64 v[56:57], v[12:13], v[6:7], v[8:9]
	;; [unrolled: 9-line block ×15, first 2 shown]
	s_waitcnt lgkmcnt(1)
	v_mul_f64 v[54:55], v[42:43], v[8:9]
	v_mul_f64 v[56:57], v[40:41], v[8:9]
	v_add_f64 v[20:21], v[44:45], v[16:17]
	v_add_f64 v[48:49], v[46:47], v[48:49]
	v_fma_f64 v[52:53], v[2:3], v[36:37], -v[52:53]
	v_fma_f64 v[36:37], v[4:5], v[36:37], v[38:39]
	ds_read_b128 v[16:19], v26 offset:10240
	ds_read_b128 v[44:47], v26 offset:10752
	v_add_f64 v[20:21], v[20:21], v[10:11]
	v_add_f64 v[38:39], v[48:49], v[50:51]
	s_waitcnt lgkmcnt(1)
	v_mul_f64 v[48:49], v[18:19], v[14:15]
	v_mul_f64 v[14:15], v[16:17], v[14:15]
	v_fma_f64 v[50:51], v[40:41], v[6:7], -v[54:55]
	v_fma_f64 v[6:7], v[42:43], v[6:7], v[56:57]
	ds_read_b128 v[2:5], v24 offset:336
	ds_read_b128 v[8:11], v24 offset:352
	v_add_f64 v[20:21], v[20:21], v[36:37]
	v_add_f64 v[52:53], v[38:39], v[52:53]
	s_waitcnt lgkmcnt(1)
	v_mul_f64 v[54:55], v[46:47], v[4:5]
	v_mul_f64 v[4:5], v[44:45], v[4:5]
	;; [unrolled: 9-line block ×3, first 2 shown]
	v_fma_f64 v[52:53], v[44:45], v[2:3], -v[54:55]
	v_fma_f64 v[54:55], v[46:47], v[2:3], v[4:5]
	ds_read_b128 v[14:17], v24 offset:368
	ds_read_b128 v[48:51], v24 offset:384
	;; [unrolled: 1-line block ×4, first 2 shown]
	v_add_f64 v[6:7], v[6:7], v[12:13]
	v_add_f64 v[12:13], v[18:19], v[56:57]
	s_waitcnt lgkmcnt(3)
	v_mul_f64 v[18:19], v[42:43], v[16:17]
	v_mul_f64 v[16:17], v[40:41], v[16:17]
	v_fma_f64 v[20:21], v[36:37], v[8:9], -v[20:21]
	v_fma_f64 v[36:37], v[38:39], v[8:9], v[10:11]
	v_add_f64 v[38:39], v[6:7], v[54:55]
	v_add_f64 v[52:53], v[12:13], v[52:53]
	s_waitcnt lgkmcnt(1)
	v_mul_f64 v[54:55], v[46:47], v[50:51]
	v_mul_f64 v[50:51], v[44:45], v[50:51]
	v_fma_f64 v[40:41], v[40:41], v[14:15], -v[18:19]
	v_fma_f64 v[42:43], v[42:43], v[14:15], v[16:17]
	ds_read_b128 v[6:9], v24 offset:400
	ds_read_b128 v[10:13], v24 offset:416
	v_add_f64 v[36:37], v[38:39], v[36:37]
	v_add_f64 v[38:39], v[52:53], v[20:21]
	s_waitcnt lgkmcnt(1)
	v_mul_f64 v[52:53], v[4:5], v[8:9]
	v_mul_f64 v[8:9], v[2:3], v[8:9]
	v_fma_f64 v[44:45], v[44:45], v[48:49], -v[54:55]
	v_fma_f64 v[46:47], v[46:47], v[48:49], v[50:51]
	ds_read_b128 v[14:17], v26 offset:13312
	ds_read_b128 v[18:21], v26 offset:13824
	v_add_f64 v[48:49], v[36:37], v[42:43]
	v_add_f64 v[50:51], v[38:39], v[40:41]
	global_load_dwordx4 v[40:43], v[22:23], off
	s_waitcnt lgkmcnt(1)
	v_mul_f64 v[54:55], v[16:17], v[12:13]
	v_mul_f64 v[12:13], v[14:15], v[12:13]
	v_fma_f64 v[52:53], v[2:3], v[6:7], -v[52:53]
	v_fma_f64 v[56:57], v[4:5], v[6:7], v[8:9]
	ds_read_b128 v[36:39], v24 offset:432
	v_add_f64 v[46:47], v[48:49], v[46:47]
	v_add_f64 v[44:45], v[50:51], v[44:45]
	ds_read_b128 v[2:5], v24 offset:448
	ds_read_b128 v[6:9], v26 offset:14336
	v_fma_f64 v[50:51], v[14:15], v[10:11], -v[54:55]
	s_waitcnt lgkmcnt(2)
	v_mul_f64 v[48:49], v[20:21], v[38:39]
	v_mul_f64 v[38:39], v[18:19], v[38:39]
	v_fma_f64 v[54:55], v[16:17], v[10:11], v[12:13]
	ds_read_b128 v[10:13], v26 offset:14848
	ds_read_b128 v[14:17], v24 offset:464
	v_add_f64 v[46:47], v[46:47], v[56:57]
	v_add_f64 v[44:45], v[44:45], v[52:53]
	s_waitcnt lgkmcnt(2)
	v_mul_f64 v[52:53], v[8:9], v[4:5]
	v_mul_f64 v[4:5], v[6:7], v[4:5]
	v_fma_f64 v[48:49], v[18:19], v[36:37], -v[48:49]
	v_fma_f64 v[56:57], v[20:21], v[36:37], v[38:39]
	ds_read_b128 v[18:21], v26 offset:15360
	ds_read_b128 v[36:39], v24 offset:480
	v_add_f64 v[46:47], v[46:47], v[54:55]
	v_add_f64 v[44:45], v[44:45], v[50:51]
	s_waitcnt lgkmcnt(2)
	v_mul_f64 v[50:51], v[12:13], v[16:17]
	v_mul_f64 v[16:17], v[10:11], v[16:17]
	v_fma_f64 v[52:53], v[6:7], v[2:3], -v[52:53]
	;; [unrolled: 9-line block ×3, first 2 shown]
	v_fma_f64 v[12:13], v[12:13], v[14:15], v[16:17]
	v_add_f64 v[14:15], v[46:47], v[54:55]
	v_add_f64 v[16:17], v[44:45], v[52:53]
	s_waitcnt lgkmcnt(0)
	v_mul_f64 v[44:45], v[4:5], v[8:9]
	v_mul_f64 v[8:9], v[2:3], v[8:9]
	v_fma_f64 v[18:19], v[18:19], v[36:37], -v[48:49]
	v_fma_f64 v[20:21], v[20:21], v[36:37], v[38:39]
	v_add_f64 v[12:13], v[14:15], v[12:13]
	v_add_f64 v[10:11], v[16:17], v[10:11]
	v_fma_f64 v[2:3], v[2:3], v[6:7], -v[44:45]
	v_fma_f64 v[4:5], v[4:5], v[6:7], v[8:9]
	v_add_f64 v[6:7], v[12:13], v[20:21]
	v_add_f64 v[8:9], v[10:11], v[18:19]
	;; [unrolled: 1-line block ×4, first 2 shown]
	v_mul_f64 v[6:7], s[30:31], v[4:5]
	v_mul_f64 v[8:9], s[30:31], v[2:3]
	v_fma_f64 v[2:3], s[28:29], v[2:3], -v[6:7]
	v_fma_f64 v[4:5], s[28:29], v[4:5], v[8:9]
	s_waitcnt vmcnt(0)
	v_add_f64 v[2:3], v[40:41], v[2:3]
	v_add_f64 v[4:5], v[42:43], v[4:5]
	global_store_dwordx4 v[22:23], v[2:5], off
	s_branch .LBB1863_3
.LBB1863_16:
	s_endpgm
	.section	.rodata,"a",@progbits
	.p2align	6, 0x0
	.amdhsa_kernel _ZL26rocblas_syr2k_her2k_kernelIlLb1ELb0ELb1ELi32EPK19rocblas_complex_numIdES3_PS1_EvbiT_T4_T5_S5_lS7_S5_lT6_S5_li
		.amdhsa_group_segment_fixed_size 32768
		.amdhsa_private_segment_fixed_size 0
		.amdhsa_kernarg_size 100
		.amdhsa_user_sgpr_count 6
		.amdhsa_user_sgpr_private_segment_buffer 1
		.amdhsa_user_sgpr_dispatch_ptr 0
		.amdhsa_user_sgpr_queue_ptr 0
		.amdhsa_user_sgpr_kernarg_segment_ptr 1
		.amdhsa_user_sgpr_dispatch_id 0
		.amdhsa_user_sgpr_flat_scratch_init 0
		.amdhsa_user_sgpr_private_segment_size 0
		.amdhsa_uses_dynamic_stack 0
		.amdhsa_system_sgpr_private_segment_wavefront_offset 0
		.amdhsa_system_sgpr_workgroup_id_x 1
		.amdhsa_system_sgpr_workgroup_id_y 1
		.amdhsa_system_sgpr_workgroup_id_z 1
		.amdhsa_system_sgpr_workgroup_info 0
		.amdhsa_system_vgpr_workitem_id 1
		.amdhsa_next_free_vgpr 58
		.amdhsa_next_free_sgpr 61
		.amdhsa_reserve_vcc 1
		.amdhsa_reserve_flat_scratch 0
		.amdhsa_float_round_mode_32 0
		.amdhsa_float_round_mode_16_64 0
		.amdhsa_float_denorm_mode_32 3
		.amdhsa_float_denorm_mode_16_64 3
		.amdhsa_dx10_clamp 1
		.amdhsa_ieee_mode 1
		.amdhsa_fp16_overflow 0
		.amdhsa_exception_fp_ieee_invalid_op 0
		.amdhsa_exception_fp_denorm_src 0
		.amdhsa_exception_fp_ieee_div_zero 0
		.amdhsa_exception_fp_ieee_overflow 0
		.amdhsa_exception_fp_ieee_underflow 0
		.amdhsa_exception_fp_ieee_inexact 0
		.amdhsa_exception_int_div_zero 0
	.end_amdhsa_kernel
	.section	.text._ZL26rocblas_syr2k_her2k_kernelIlLb1ELb0ELb1ELi32EPK19rocblas_complex_numIdES3_PS1_EvbiT_T4_T5_S5_lS7_S5_lT6_S5_li,"axG",@progbits,_ZL26rocblas_syr2k_her2k_kernelIlLb1ELb0ELb1ELi32EPK19rocblas_complex_numIdES3_PS1_EvbiT_T4_T5_S5_lS7_S5_lT6_S5_li,comdat
.Lfunc_end1863:
	.size	_ZL26rocblas_syr2k_her2k_kernelIlLb1ELb0ELb1ELi32EPK19rocblas_complex_numIdES3_PS1_EvbiT_T4_T5_S5_lS7_S5_lT6_S5_li, .Lfunc_end1863-_ZL26rocblas_syr2k_her2k_kernelIlLb1ELb0ELb1ELi32EPK19rocblas_complex_numIdES3_PS1_EvbiT_T4_T5_S5_lS7_S5_lT6_S5_li
                                        ; -- End function
	.set _ZL26rocblas_syr2k_her2k_kernelIlLb1ELb0ELb1ELi32EPK19rocblas_complex_numIdES3_PS1_EvbiT_T4_T5_S5_lS7_S5_lT6_S5_li.num_vgpr, 58
	.set _ZL26rocblas_syr2k_her2k_kernelIlLb1ELb0ELb1ELi32EPK19rocblas_complex_numIdES3_PS1_EvbiT_T4_T5_S5_lS7_S5_lT6_S5_li.num_agpr, 0
	.set _ZL26rocblas_syr2k_her2k_kernelIlLb1ELb0ELb1ELi32EPK19rocblas_complex_numIdES3_PS1_EvbiT_T4_T5_S5_lS7_S5_lT6_S5_li.numbered_sgpr, 40
	.set _ZL26rocblas_syr2k_her2k_kernelIlLb1ELb0ELb1ELi32EPK19rocblas_complex_numIdES3_PS1_EvbiT_T4_T5_S5_lS7_S5_lT6_S5_li.num_named_barrier, 0
	.set _ZL26rocblas_syr2k_her2k_kernelIlLb1ELb0ELb1ELi32EPK19rocblas_complex_numIdES3_PS1_EvbiT_T4_T5_S5_lS7_S5_lT6_S5_li.private_seg_size, 0
	.set _ZL26rocblas_syr2k_her2k_kernelIlLb1ELb0ELb1ELi32EPK19rocblas_complex_numIdES3_PS1_EvbiT_T4_T5_S5_lS7_S5_lT6_S5_li.uses_vcc, 1
	.set _ZL26rocblas_syr2k_her2k_kernelIlLb1ELb0ELb1ELi32EPK19rocblas_complex_numIdES3_PS1_EvbiT_T4_T5_S5_lS7_S5_lT6_S5_li.uses_flat_scratch, 0
	.set _ZL26rocblas_syr2k_her2k_kernelIlLb1ELb0ELb1ELi32EPK19rocblas_complex_numIdES3_PS1_EvbiT_T4_T5_S5_lS7_S5_lT6_S5_li.has_dyn_sized_stack, 0
	.set _ZL26rocblas_syr2k_her2k_kernelIlLb1ELb0ELb1ELi32EPK19rocblas_complex_numIdES3_PS1_EvbiT_T4_T5_S5_lS7_S5_lT6_S5_li.has_recursion, 0
	.set _ZL26rocblas_syr2k_her2k_kernelIlLb1ELb0ELb1ELi32EPK19rocblas_complex_numIdES3_PS1_EvbiT_T4_T5_S5_lS7_S5_lT6_S5_li.has_indirect_call, 0
	.section	.AMDGPU.csdata,"",@progbits
; Kernel info:
; codeLenInByte = 5532
; TotalNumSgprs: 44
; NumVgprs: 58
; ScratchSize: 0
; MemoryBound: 1
; FloatMode: 240
; IeeeMode: 1
; LDSByteSize: 32768 bytes/workgroup (compile time only)
; SGPRBlocks: 8
; VGPRBlocks: 14
; NumSGPRsForWavesPerEU: 65
; NumVGPRsForWavesPerEU: 58
; Occupancy: 4
; WaveLimiterHint : 0
; COMPUTE_PGM_RSRC2:SCRATCH_EN: 0
; COMPUTE_PGM_RSRC2:USER_SGPR: 6
; COMPUTE_PGM_RSRC2:TRAP_HANDLER: 0
; COMPUTE_PGM_RSRC2:TGID_X_EN: 1
; COMPUTE_PGM_RSRC2:TGID_Y_EN: 1
; COMPUTE_PGM_RSRC2:TGID_Z_EN: 1
; COMPUTE_PGM_RSRC2:TIDIG_COMP_CNT: 1
	.section	.text._ZL26rocblas_syr2k_her2k_kernelIlLb1ELb1ELb0ELi32E19rocblas_complex_numIfEPKS1_PS1_EvbiT_T4_T5_S5_lS7_S5_lT6_S5_li,"axG",@progbits,_ZL26rocblas_syr2k_her2k_kernelIlLb1ELb1ELb0ELi32E19rocblas_complex_numIfEPKS1_PS1_EvbiT_T4_T5_S5_lS7_S5_lT6_S5_li,comdat
	.globl	_ZL26rocblas_syr2k_her2k_kernelIlLb1ELb1ELb0ELi32E19rocblas_complex_numIfEPKS1_PS1_EvbiT_T4_T5_S5_lS7_S5_lT6_S5_li ; -- Begin function _ZL26rocblas_syr2k_her2k_kernelIlLb1ELb1ELb0ELi32E19rocblas_complex_numIfEPKS1_PS1_EvbiT_T4_T5_S5_lS7_S5_lT6_S5_li
	.p2align	8
	.type	_ZL26rocblas_syr2k_her2k_kernelIlLb1ELb1ELb0ELi32E19rocblas_complex_numIfEPKS1_PS1_EvbiT_T4_T5_S5_lS7_S5_lT6_S5_li,@function
_ZL26rocblas_syr2k_her2k_kernelIlLb1ELb1ELb0ELi32E19rocblas_complex_numIfEPKS1_PS1_EvbiT_T4_T5_S5_lS7_S5_lT6_S5_li: ; @_ZL26rocblas_syr2k_her2k_kernelIlLb1ELb1ELb0ELi32E19rocblas_complex_numIfEPKS1_PS1_EvbiT_T4_T5_S5_lS7_S5_lT6_S5_li
; %bb.0:
	s_load_dwordx2 s[10:11], s[4:5], 0x10
	s_waitcnt lgkmcnt(0)
	v_cmp_eq_f32_e64 s[0:1], s10, 0
	v_cmp_eq_f32_e64 s[2:3], s11, 0
	s_and_b64 s[0:1], s[0:1], s[2:3]
	s_and_b64 vcc, exec, s[0:1]
	s_cbranch_vccnz .LBB1864_16
; %bb.1:
	s_load_dwordx4 s[28:31], s[4:5], 0x0
	s_lshl_b32 s3, s7, 5
	s_lshl_b32 s2, s6, 5
	s_waitcnt lgkmcnt(0)
	s_and_b32 s0, 1, s28
	s_cmp_eq_u32 s0, 1
	s_cselect_b64 s[0:1], -1, 0
	s_and_b64 s[6:7], s[0:1], exec
	s_cselect_b32 s6, s2, s3
	s_cselect_b32 s7, s3, s2
	s_cmp_gt_i32 s6, s7
	v_cmp_lt_i64_e64 s[6:7], s[30:31], 1
	s_cselect_b64 s[12:13], -1, 0
	s_or_b64 s[6:7], s[12:13], s[6:7]
	s_and_b64 vcc, exec, s[6:7]
	s_cbranch_vccnz .LBB1864_16
; %bb.2:
	s_load_dwordx2 s[6:7], s[4:5], 0x58
	s_load_dwordx16 s[12:27], s[4:5], 0x18
	v_add_u32_e32 v2, s3, v1
	v_lshlrev_b32_e32 v18, 8, v0
	v_lshlrev_b32_e32 v6, 3, v1
	s_waitcnt lgkmcnt(0)
	s_mul_i32 s3, s7, s8
	s_mul_hi_u32 s5, s6, s8
	s_mul_i32 s4, s6, s8
	s_add_i32 s5, s5, s3
	s_lshl_b64 s[4:5], s[4:5], 3
	s_add_u32 s9, s24, s4
	v_add_u32_e32 v19, v18, v6
	v_or_b32_e32 v20, 0x2000, v6
	v_ashrrev_i32_e32 v6, 31, v2
	s_addc_u32 s24, s25, s5
	v_mul_lo_u32 v11, s26, v6
	v_mul_lo_u32 v12, s27, v2
	v_mad_u64_u32 v[6:7], s[4:5], s26, v2, 0
	v_add_u32_e32 v4, s2, v0
	v_cndmask_b32_e64 v8, v4, v2, s[0:1]
	v_add3_u32 v7, v7, v11, v12
	v_cndmask_b32_e64 v9, v2, v4, s[0:1]
	v_max_i32_e32 v10, v4, v2
	v_lshlrev_b64 v[6:7], 3, v[6:7]
	v_cmp_gt_i32_e32 vcc, s29, v10
	v_cmp_le_i32_e64 s[4:5], v9, v8
	s_and_b64 s[6:7], s[4:5], vcc
	v_ashrrev_i32_e32 v9, 31, v4
	v_mov_b32_e32 v8, v4
	v_mov_b32_e32 v10, s24
	v_add_co_u32_e32 v11, vcc, s9, v6
	v_addc_co_u32_e32 v12, vcc, v10, v7, vcc
	v_lshlrev_b64 v[6:7], 3, v[8:9]
	v_mov_b32_e32 v5, 0
	v_add_co_u32_e32 v10, vcc, v11, v6
	v_addc_co_u32_e32 v11, vcc, v12, v7, vcc
	v_mad_u64_u32 v[6:7], s[4:5], s14, v0, 0
	s_ashr_i32 s3, s29, 31
	s_mov_b32 s2, s29
	v_mov_b32_e32 v3, v5
	v_cmp_gt_i64_e64 s[0:1], s[2:3], v[4:5]
	v_cmp_gt_i64_e64 s[2:3], s[2:3], v[2:3]
	v_lshlrev_b64 v[12:13], 3, v[2:3]
	v_mov_b32_e32 v2, v7
	v_mad_u64_u32 v[2:3], s[4:5], s15, v0, v[2:3]
	s_mul_i32 s9, s17, s8
	s_mul_hi_u32 s17, s16, s8
	s_add_i32 s5, s17, s9
	s_mul_i32 s4, s16, s8
	s_lshl_b64 s[4:5], s[4:5], 3
	v_mov_b32_e32 v7, v2
	v_lshlrev_b64 v[2:3], 3, v[6:7]
	s_add_u32 s9, s12, s4
	s_addc_u32 s16, s13, s5
	v_mov_b32_e32 v6, s16
	v_add_co_u32_e32 v22, vcc, s9, v2
	v_addc_co_u32_e32 v23, vcc, v6, v3, vcc
	v_mad_u64_u32 v[2:3], s[16:17], s20, v0, 0
	s_mul_i32 s9, s23, s8
	s_mul_hi_u32 s23, s22, s8
	v_mad_u64_u32 v[6:7], s[24:25], s21, v0, v[3:4]
	s_add_i32 s9, s23, s9
	s_mul_i32 s8, s22, s8
	s_lshl_b64 s[22:23], s[8:9], 3
	v_mov_b32_e32 v3, v6
	v_mad_u64_u32 v[6:7], s[8:9], s20, v1, 0
	s_lshl_b64 s[16:17], s[14:15], 8
	s_add_u32 s24, s18, s22
	s_addc_u32 s8, s19, s23
	v_mov_b32_e32 v9, s8
	v_mad_u64_u32 v[7:8], s[8:9], s21, v1, v[7:8]
	v_lshlrev_b64 v[2:3], 3, v[2:3]
	s_lshl_b64 s[8:9], s[20:21], 8
	v_add_co_u32_e32 v24, vcc, s24, v2
	v_addc_co_u32_e32 v25, vcc, v9, v3, vcc
	v_lshlrev_b64 v[2:3], 3, v[6:7]
	v_mov_b32_e32 v6, s23
	v_add_co_u32_e32 v7, vcc, s22, v2
	v_addc_co_u32_e32 v6, vcc, v6, v3, vcc
	v_lshlrev_b64 v[2:3], 3, v[4:5]
	v_mad_u64_u32 v[4:5], s[20:21], s14, v1, 0
	v_add_co_u32_e32 v7, vcc, v7, v2
	v_addc_co_u32_e32 v6, vcc, v6, v3, vcc
	v_mov_b32_e32 v8, s19
	v_add_co_u32_e32 v7, vcc, s18, v7
	v_addc_co_u32_e32 v8, vcc, v8, v6, vcc
	v_mad_u64_u32 v[5:6], s[14:15], s15, v1, v[5:6]
	v_add_co_u32_e32 v14, vcc, 4, v7
	v_lshlrev_b64 v[4:5], 3, v[4:5]
	v_addc_co_u32_e32 v15, vcc, 0, v8, vcc
	v_mov_b32_e32 v6, s5
	v_add_co_u32_e32 v4, vcc, s4, v4
	v_addc_co_u32_e32 v5, vcc, v6, v5, vcc
	v_add_co_u32_e32 v2, vcc, v4, v2
	v_addc_co_u32_e32 v3, vcc, v5, v3, vcc
	v_mov_b32_e32 v4, s13
	v_add_co_u32_e32 v2, vcc, s12, v2
	v_addc_co_u32_e32 v3, vcc, v4, v3, vcc
	v_add_co_u32_e32 v16, vcc, 4, v2
	v_add_u32_e32 v21, v20, v18
	v_addc_co_u32_e32 v17, vcc, 0, v3, vcc
	s_mov_b64 s[12:13], 0
	s_branch .LBB1864_4
.LBB1864_3:                             ;   in Loop: Header=BB1864_4 Depth=1
	s_or_b64 exec, exec, s[4:5]
	v_mov_b32_e32 v4, s17
	v_add_co_u32_e32 v22, vcc, s16, v22
	v_addc_co_u32_e32 v23, vcc, v23, v4, vcc
	v_mov_b32_e32 v2, s9
	v_add_co_u32_e32 v24, vcc, s8, v24
	v_addc_co_u32_e32 v25, vcc, v25, v2, vcc
	v_add_co_u32_e32 v14, vcc, s8, v14
	s_add_u32 s12, s12, 32
	v_addc_co_u32_e32 v15, vcc, v15, v2, vcc
	v_mov_b32_e32 v2, s30
	s_addc_u32 s13, s13, 0
	v_mov_b32_e32 v3, s31
	v_cmp_lt_i64_e32 vcc, s[12:13], v[2:3]
	v_add_co_u32_e64 v16, s[4:5], s16, v16
	v_addc_co_u32_e64 v17, s[4:5], v17, v4, s[4:5]
	s_waitcnt vmcnt(0)
	s_barrier
	s_cbranch_vccz .LBB1864_16
.LBB1864_4:                             ; =>This Inner Loop Header: Depth=1
	v_mov_b32_e32 v3, s13
	v_add_co_u32_e32 v2, vcc, s12, v1
	v_addc_co_u32_e32 v3, vcc, 0, v3, vcc
	v_cmp_gt_i64_e32 vcc, s[30:31], v[2:3]
	v_mov_b32_e32 v2, 0
	s_and_b64 s[4:5], s[0:1], vcc
	v_mov_b32_e32 v3, 0
	s_and_saveexec_b64 s[14:15], s[4:5]
	s_cbranch_execz .LBB1864_6
; %bb.5:                                ;   in Loop: Header=BB1864_4 Depth=1
	global_load_dwordx2 v[2:3], v[16:17], off offset:-4
.LBB1864_6:                             ;   in Loop: Header=BB1864_4 Depth=1
	s_or_b64 exec, exec, s[14:15]
	v_mov_b32_e32 v5, s13
	v_add_co_u32_e32 v4, vcc, s12, v0
	v_addc_co_u32_e32 v5, vcc, 0, v5, vcc
	v_cmp_gt_i64_e32 vcc, s[30:31], v[4:5]
	s_waitcnt vmcnt(0)
	ds_write_b64 v19, v[2:3]
	s_and_b64 s[14:15], s[2:3], vcc
	v_mov_b32_e32 v3, 0
	v_mov_b32_e32 v2, 0
	s_and_saveexec_b64 s[18:19], s[14:15]
	s_cbranch_execz .LBB1864_8
; %bb.7:                                ;   in Loop: Header=BB1864_4 Depth=1
	v_add_co_u32_e32 v2, vcc, v24, v12
	v_addc_co_u32_e32 v3, vcc, v25, v13, vcc
	global_load_dwordx2 v[2:3], v[2:3], off
	s_waitcnt vmcnt(0)
	v_xor_b32_e32 v3, 0x80000000, v3
.LBB1864_8:                             ;   in Loop: Header=BB1864_4 Depth=1
	s_or_b64 exec, exec, s[18:19]
	v_add_u32_e32 v28, 0x800, v20
	v_add_u32_e32 v27, 0x1000, v20
	;; [unrolled: 1-line block ×3, first 2 shown]
	ds_write_b64 v21, v[2:3]
	s_waitcnt lgkmcnt(0)
	s_barrier
	s_and_saveexec_b64 s[18:19], s[6:7]
	s_cbranch_execz .LBB1864_10
; %bb.9:                                ;   in Loop: Header=BB1864_4 Depth=1
	ds_read2_b64 v[2:5], v20 offset1:32
	ds_read_b128 v[6:9], v18
	ds_read_b128 v[29:32], v18 offset:16
	s_waitcnt lgkmcnt(1)
	v_mul_f32_e32 v33, v3, v7
	v_fma_f32 v38, v2, v6, -v33
	ds_read2_b64 v[33:36], v20 offset0:64 offset1:96
	v_mul_f32_e32 v37, v2, v7
	v_mul_f32_e32 v2, v5, v9
	v_fma_f32 v39, v4, v8, -v2
	v_fmac_f32_e32 v37, v3, v6
	s_waitcnt lgkmcnt(0)
	v_mul_f32_e32 v2, v34, v30
	v_mul_f32_e32 v40, v4, v9
	v_fma_f32 v41, v33, v29, -v2
	v_mul_f32_e32 v33, v33, v30
	v_mul_f32_e32 v2, v36, v32
	v_fmac_f32_e32 v40, v5, v8
	v_fmac_f32_e32 v33, v34, v29
	v_fma_f32 v34, v35, v31, -v2
	v_mul_f32_e32 v35, v35, v32
	v_add_f32_e32 v29, 0, v38
	v_add_f32_e32 v30, 0, v37
	v_fmac_f32_e32 v35, v36, v31
	ds_read_b128 v[2:5], v18 offset:32
	ds_read_b128 v[6:9], v18 offset:48
	v_add_f32_e32 v36, v29, v39
	v_add_f32_e32 v37, v30, v40
	ds_read2_b64 v[29:32], v20 offset0:128 offset1:160
	v_add_f32_e32 v33, v37, v33
	v_add_f32_e32 v36, v36, v41
	;; [unrolled: 1-line block ×4, first 2 shown]
	s_waitcnt lgkmcnt(0)
	v_mul_f32_e32 v35, v30, v3
	v_mul_f32_e32 v3, v29, v3
	v_fma_f32 v35, v29, v2, -v35
	v_fmac_f32_e32 v3, v30, v2
	v_add_f32_e32 v2, v34, v35
	v_add_f32_e32 v3, v33, v3
	ds_read2_b64 v[33:36], v20 offset0:192 offset1:224
	v_mul_f32_e32 v29, v32, v5
	v_mul_f32_e32 v5, v31, v5
	v_fma_f32 v29, v31, v4, -v29
	v_fmac_f32_e32 v5, v32, v4
	s_waitcnt lgkmcnt(0)
	v_mul_f32_e32 v4, v34, v7
	v_add_f32_e32 v2, v2, v29
	v_add_f32_e32 v3, v3, v5
	v_fma_f32 v4, v33, v6, -v4
	v_mul_f32_e32 v5, v33, v7
	v_fmac_f32_e32 v5, v34, v6
	v_add_f32_e32 v6, v2, v4
	v_mul_f32_e32 v2, v36, v9
	v_add_f32_e32 v7, v3, v5
	v_fma_f32 v33, v35, v8, -v2
	ds_read_b128 v[2:5], v18 offset:64
	ds_read2_b64 v[29:32], v28 offset1:32
	v_mul_f32_e32 v9, v35, v9
	v_fmac_f32_e32 v9, v36, v8
	v_add_f32_e32 v33, v6, v33
	v_add_f32_e32 v34, v7, v9
	s_waitcnt lgkmcnt(0)
	v_mul_f32_e32 v35, v30, v3
	v_mul_f32_e32 v3, v29, v3
	v_fma_f32 v35, v29, v2, -v35
	v_fmac_f32_e32 v3, v30, v2
	ds_read_b128 v[6:9], v18 offset:80
	v_add_f32_e32 v2, v33, v35
	v_add_f32_e32 v3, v34, v3
	ds_read2_b64 v[33:36], v28 offset0:64 offset1:96
	v_mul_f32_e32 v29, v32, v5
	v_mul_f32_e32 v5, v31, v5
	v_fma_f32 v29, v31, v4, -v29
	v_fmac_f32_e32 v5, v32, v4
	s_waitcnt lgkmcnt(0)
	v_mul_f32_e32 v4, v34, v7
	v_add_f32_e32 v2, v2, v29
	v_add_f32_e32 v3, v3, v5
	v_fma_f32 v4, v33, v6, -v4
	v_mul_f32_e32 v5, v33, v7
	v_fmac_f32_e32 v5, v34, v6
	v_add_f32_e32 v6, v2, v4
	v_mul_f32_e32 v2, v36, v9
	v_add_f32_e32 v7, v3, v5
	v_fma_f32 v33, v35, v8, -v2
	ds_read_b128 v[2:5], v18 offset:96
	ds_read2_b64 v[29:32], v28 offset0:128 offset1:160
	v_mul_f32_e32 v9, v35, v9
	v_fmac_f32_e32 v9, v36, v8
	v_add_f32_e32 v33, v6, v33
	v_add_f32_e32 v34, v7, v9
	s_waitcnt lgkmcnt(0)
	v_mul_f32_e32 v35, v30, v3
	v_mul_f32_e32 v3, v29, v3
	v_fma_f32 v35, v29, v2, -v35
	v_fmac_f32_e32 v3, v30, v2
	ds_read_b128 v[6:9], v18 offset:112
	v_add_f32_e32 v2, v33, v35
	v_add_f32_e32 v3, v34, v3
	ds_read2_b64 v[33:36], v28 offset0:192 offset1:224
	v_mul_f32_e32 v29, v32, v5
	v_mul_f32_e32 v5, v31, v5
	v_fma_f32 v29, v31, v4, -v29
	v_fmac_f32_e32 v5, v32, v4
	s_waitcnt lgkmcnt(0)
	v_mul_f32_e32 v4, v34, v7
	v_add_f32_e32 v2, v2, v29
	v_add_f32_e32 v3, v3, v5
	v_fma_f32 v4, v33, v6, -v4
	v_mul_f32_e32 v5, v33, v7
	v_fmac_f32_e32 v5, v34, v6
	v_add_f32_e32 v6, v2, v4
	v_mul_f32_e32 v2, v36, v9
	v_add_f32_e32 v7, v3, v5
	v_fma_f32 v33, v35, v8, -v2
	ds_read_b128 v[2:5], v18 offset:128
	ds_read2_b64 v[29:32], v27 offset1:32
	v_mul_f32_e32 v9, v35, v9
	v_fmac_f32_e32 v9, v36, v8
	v_add_f32_e32 v6, v6, v33
	ds_read_b128 v[33:36], v18 offset:144
	ds_read2_b64 v[37:40], v27 offset0:64 offset1:96
	s_waitcnt lgkmcnt(2)
	v_mul_f32_e32 v8, v30, v3
	v_fma_f32 v8, v29, v2, -v8
	v_mul_f32_e32 v3, v29, v3
	v_add_f32_e32 v7, v7, v9
	v_fmac_f32_e32 v3, v30, v2
	v_add_f32_e32 v2, v6, v8
	v_mul_f32_e32 v6, v32, v5
	v_mul_f32_e32 v5, v31, v5
	v_add_f32_e32 v3, v7, v3
	v_fma_f32 v6, v31, v4, -v6
	v_fmac_f32_e32 v5, v32, v4
	s_waitcnt lgkmcnt(0)
	v_mul_f32_e32 v4, v38, v34
	v_add_f32_e32 v2, v2, v6
	v_add_f32_e32 v3, v3, v5
	v_fma_f32 v4, v37, v33, -v4
	v_mul_f32_e32 v5, v37, v34
	v_fmac_f32_e32 v5, v38, v33
	v_add_f32_e32 v29, v2, v4
	v_mul_f32_e32 v2, v40, v36
	v_add_f32_e32 v30, v3, v5
	v_fma_f32 v31, v39, v35, -v2
	ds_read_b128 v[2:5], v18 offset:160
	ds_read2_b64 v[6:9], v27 offset0:128 offset1:160
	v_mul_f32_e32 v32, v39, v36
	v_fmac_f32_e32 v32, v40, v35
	v_add_f32_e32 v35, v29, v31
	v_add_f32_e32 v36, v30, v32
	s_waitcnt lgkmcnt(0)
	v_mul_f32_e32 v33, v7, v3
	v_fma_f32 v37, v6, v2, -v33
	global_load_dwordx2 v[33:34], v[10:11], off
	v_mul_f32_e32 v6, v6, v3
	v_fmac_f32_e32 v6, v7, v2
	v_mul_f32_e32 v2, v9, v5
	v_fma_f32 v7, v8, v4, -v2
	v_mul_f32_e32 v8, v8, v5
	ds_read_b128 v[29:32], v18 offset:176
	v_fmac_f32_e32 v8, v9, v4
	ds_read2_b64 v[2:5], v27 offset0:192 offset1:224
	v_add_f32_e32 v6, v36, v6
	v_add_f32_e32 v9, v35, v37
	;; [unrolled: 1-line block ×4, first 2 shown]
	s_waitcnt lgkmcnt(0)
	v_mul_f32_e32 v6, v3, v30
	v_fma_f32 v6, v2, v29, -v6
	v_mul_f32_e32 v30, v2, v30
	v_mul_f32_e32 v2, v5, v32
	;; [unrolled: 1-line block ×3, first 2 shown]
	v_fmac_f32_e32 v30, v3, v29
	v_add_f32_e32 v29, v7, v6
	v_fma_f32 v36, v4, v31, -v2
	v_fmac_f32_e32 v32, v5, v31
	ds_read_b128 v[2:5], v18 offset:192
	ds_read2_b64 v[6:9], v26 offset1:32
	v_add_f32_e32 v30, v35, v30
	v_add_f32_e32 v35, v29, v36
	;; [unrolled: 1-line block ×3, first 2 shown]
	ds_read_b128 v[29:32], v18 offset:208
	s_waitcnt lgkmcnt(1)
	v_mul_f32_e32 v37, v7, v3
	v_fma_f32 v37, v6, v2, -v37
	v_mul_f32_e32 v6, v6, v3
	v_fmac_f32_e32 v6, v7, v2
	v_mul_f32_e32 v2, v9, v5
	v_fma_f32 v7, v8, v4, -v2
	v_mul_f32_e32 v8, v8, v5
	v_fmac_f32_e32 v8, v9, v4
	ds_read2_b64 v[2:5], v26 offset0:64 offset1:96
	v_add_f32_e32 v6, v36, v6
	v_add_f32_e32 v9, v35, v37
	;; [unrolled: 1-line block ×4, first 2 shown]
	s_waitcnt lgkmcnt(0)
	v_mul_f32_e32 v6, v3, v30
	v_fma_f32 v6, v2, v29, -v6
	v_mul_f32_e32 v30, v2, v30
	v_mul_f32_e32 v2, v5, v32
	;; [unrolled: 1-line block ×3, first 2 shown]
	v_fmac_f32_e32 v30, v3, v29
	v_add_f32_e32 v29, v7, v6
	v_fma_f32 v36, v4, v31, -v2
	v_fmac_f32_e32 v32, v5, v31
	ds_read_b128 v[2:5], v18 offset:224
	ds_read2_b64 v[6:9], v26 offset0:128 offset1:160
	v_add_f32_e32 v30, v35, v30
	v_add_f32_e32 v35, v29, v36
	;; [unrolled: 1-line block ×3, first 2 shown]
	ds_read_b128 v[29:32], v18 offset:240
	s_waitcnt lgkmcnt(1)
	v_mul_f32_e32 v37, v7, v3
	v_fma_f32 v37, v6, v2, -v37
	v_mul_f32_e32 v6, v6, v3
	v_fmac_f32_e32 v6, v7, v2
	v_mul_f32_e32 v2, v9, v5
	v_fma_f32 v7, v8, v4, -v2
	v_mul_f32_e32 v8, v8, v5
	v_fmac_f32_e32 v8, v9, v4
	ds_read2_b64 v[2:5], v26 offset0:192 offset1:224
	v_add_f32_e32 v6, v36, v6
	v_add_f32_e32 v6, v6, v8
	;; [unrolled: 1-line block ×4, first 2 shown]
	s_waitcnt lgkmcnt(0)
	v_mul_f32_e32 v8, v3, v30
	v_fma_f32 v8, v2, v29, -v8
	v_mul_f32_e32 v2, v2, v30
	v_fmac_f32_e32 v2, v3, v29
	v_add_f32_e32 v2, v6, v2
	v_mul_f32_e32 v6, v5, v32
	v_fma_f32 v6, v4, v31, -v6
	v_mul_f32_e32 v4, v4, v32
	v_fmac_f32_e32 v4, v5, v31
	v_add_f32_e32 v3, v7, v8
	v_add_f32_e32 v2, v2, v4
	;; [unrolled: 1-line block ×3, first 2 shown]
	v_mul_f32_e32 v4, s11, v2
	v_mul_f32_e32 v5, s10, v2
	v_fma_f32 v4, s10, v3, -v4
	v_fmac_f32_e32 v5, s11, v3
	s_waitcnt vmcnt(0)
	v_add_f32_e32 v2, v33, v4
	v_add_f32_e32 v3, v34, v5
	global_store_dwordx2 v[10:11], v[2:3], off
.LBB1864_10:                            ;   in Loop: Header=BB1864_4 Depth=1
	s_or_b64 exec, exec, s[18:19]
	v_mov_b32_e32 v3, 0
	v_mov_b32_e32 v5, 0
	;; [unrolled: 1-line block ×3, first 2 shown]
	s_waitcnt vmcnt(0)
	s_barrier
	s_and_saveexec_b64 s[18:19], s[4:5]
	s_cbranch_execz .LBB1864_12
; %bb.11:                               ;   in Loop: Header=BB1864_4 Depth=1
	global_load_dwordx2 v[4:5], v[14:15], off offset:-4
.LBB1864_12:                            ;   in Loop: Header=BB1864_4 Depth=1
	s_or_b64 exec, exec, s[18:19]
	v_mov_b32_e32 v2, 0
	s_waitcnt vmcnt(0)
	ds_write_b64 v19, v[4:5]
	s_and_saveexec_b64 s[4:5], s[14:15]
	s_cbranch_execz .LBB1864_14
; %bb.13:                               ;   in Loop: Header=BB1864_4 Depth=1
	v_add_co_u32_e32 v2, vcc, v22, v12
	v_addc_co_u32_e32 v3, vcc, v23, v13, vcc
	global_load_dwordx2 v[2:3], v[2:3], off
	s_waitcnt vmcnt(0)
	v_xor_b32_e32 v3, 0x80000000, v3
.LBB1864_14:                            ;   in Loop: Header=BB1864_4 Depth=1
	s_or_b64 exec, exec, s[4:5]
	ds_write_b64 v21, v[2:3]
	s_waitcnt lgkmcnt(0)
	s_barrier
	s_and_saveexec_b64 s[4:5], s[6:7]
	s_cbranch_execz .LBB1864_3
; %bb.15:                               ;   in Loop: Header=BB1864_4 Depth=1
	ds_read2_b64 v[2:5], v20 offset1:32
	ds_read_b128 v[6:9], v18
	ds_read_b128 v[29:32], v18 offset:16
	s_waitcnt lgkmcnt(1)
	v_mul_f32_e32 v33, v3, v7
	v_mul_f32_e32 v37, v2, v7
	v_fma_f32 v38, v2, v6, -v33
	v_mul_f32_e32 v2, v5, v9
	v_mul_f32_e32 v40, v4, v9
	v_fmac_f32_e32 v37, v3, v6
	v_fma_f32 v39, v4, v8, -v2
	v_fmac_f32_e32 v40, v5, v8
	ds_read_b128 v[2:5], v18 offset:32
	ds_read_b128 v[6:9], v18 offset:48
	ds_read2_b64 v[33:36], v20 offset0:64 offset1:96
	v_add_f32_e32 v38, 0, v38
	v_add_f32_e32 v38, v38, v39
	v_add_f32_e32 v37, 0, v37
	v_add_f32_e32 v37, v37, v40
	s_waitcnt lgkmcnt(0)
	v_mul_f32_e32 v39, v34, v30
	v_fma_f32 v39, v33, v29, -v39
	v_mul_f32_e32 v33, v33, v30
	v_fmac_f32_e32 v33, v34, v29
	v_mul_f32_e32 v29, v36, v32
	v_fma_f32 v34, v35, v31, -v29
	v_mul_f32_e32 v35, v35, v32
	v_fmac_f32_e32 v35, v36, v31
	ds_read2_b64 v[29:32], v20 offset0:128 offset1:160
	v_add_f32_e32 v33, v37, v33
	v_add_f32_e32 v36, v38, v39
	v_add_f32_e32 v33, v33, v35
	v_add_f32_e32 v34, v36, v34
	s_waitcnt lgkmcnt(0)
	v_mul_f32_e32 v35, v30, v3
	v_mul_f32_e32 v3, v29, v3
	v_fma_f32 v35, v29, v2, -v35
	v_fmac_f32_e32 v3, v30, v2
	v_add_f32_e32 v2, v34, v35
	v_add_f32_e32 v3, v33, v3
	ds_read2_b64 v[33:36], v20 offset0:192 offset1:224
	v_mul_f32_e32 v29, v32, v5
	v_mul_f32_e32 v5, v31, v5
	v_fma_f32 v29, v31, v4, -v29
	v_fmac_f32_e32 v5, v32, v4
	s_waitcnt lgkmcnt(0)
	v_mul_f32_e32 v4, v34, v7
	v_add_f32_e32 v2, v2, v29
	v_add_f32_e32 v3, v3, v5
	v_fma_f32 v4, v33, v6, -v4
	v_mul_f32_e32 v5, v33, v7
	v_fmac_f32_e32 v5, v34, v6
	v_add_f32_e32 v6, v2, v4
	v_mul_f32_e32 v2, v36, v9
	v_add_f32_e32 v7, v3, v5
	v_fma_f32 v33, v35, v8, -v2
	ds_read_b128 v[2:5], v18 offset:64
	ds_read2_b64 v[29:32], v28 offset1:32
	v_mul_f32_e32 v9, v35, v9
	v_fmac_f32_e32 v9, v36, v8
	v_add_f32_e32 v33, v6, v33
	v_add_f32_e32 v34, v7, v9
	s_waitcnt lgkmcnt(0)
	v_mul_f32_e32 v35, v30, v3
	v_mul_f32_e32 v3, v29, v3
	v_fma_f32 v35, v29, v2, -v35
	v_fmac_f32_e32 v3, v30, v2
	ds_read_b128 v[6:9], v18 offset:80
	v_add_f32_e32 v2, v33, v35
	v_add_f32_e32 v3, v34, v3
	ds_read2_b64 v[33:36], v28 offset0:64 offset1:96
	v_mul_f32_e32 v29, v32, v5
	v_mul_f32_e32 v5, v31, v5
	v_fma_f32 v29, v31, v4, -v29
	v_fmac_f32_e32 v5, v32, v4
	s_waitcnt lgkmcnt(0)
	v_mul_f32_e32 v4, v34, v7
	v_add_f32_e32 v2, v2, v29
	v_add_f32_e32 v3, v3, v5
	v_fma_f32 v4, v33, v6, -v4
	v_mul_f32_e32 v5, v33, v7
	v_fmac_f32_e32 v5, v34, v6
	v_add_f32_e32 v6, v2, v4
	v_mul_f32_e32 v2, v36, v9
	v_add_f32_e32 v7, v3, v5
	v_fma_f32 v33, v35, v8, -v2
	ds_read_b128 v[2:5], v18 offset:96
	ds_read2_b64 v[29:32], v28 offset0:128 offset1:160
	v_mul_f32_e32 v9, v35, v9
	v_fmac_f32_e32 v9, v36, v8
	v_add_f32_e32 v33, v6, v33
	v_add_f32_e32 v34, v7, v9
	s_waitcnt lgkmcnt(0)
	v_mul_f32_e32 v35, v30, v3
	v_mul_f32_e32 v3, v29, v3
	v_fma_f32 v35, v29, v2, -v35
	v_fmac_f32_e32 v3, v30, v2
	ds_read_b128 v[6:9], v18 offset:112
	v_add_f32_e32 v2, v33, v35
	v_add_f32_e32 v3, v34, v3
	ds_read2_b64 v[33:36], v28 offset0:192 offset1:224
	v_mul_f32_e32 v29, v32, v5
	v_mul_f32_e32 v5, v31, v5
	v_fma_f32 v29, v31, v4, -v29
	v_fmac_f32_e32 v5, v32, v4
	s_waitcnt lgkmcnt(0)
	v_mul_f32_e32 v4, v34, v7
	v_add_f32_e32 v2, v2, v29
	v_add_f32_e32 v3, v3, v5
	v_fma_f32 v4, v33, v6, -v4
	v_mul_f32_e32 v5, v33, v7
	v_fmac_f32_e32 v5, v34, v6
	v_add_f32_e32 v6, v2, v4
	v_mul_f32_e32 v2, v36, v9
	v_add_f32_e32 v7, v3, v5
	v_fma_f32 v32, v35, v8, -v2
	ds_read_b128 v[2:5], v18 offset:128
	ds_read2_b64 v[28:31], v27 offset1:32
	v_mul_f32_e32 v9, v35, v9
	v_fmac_f32_e32 v9, v36, v8
	v_add_f32_e32 v6, v6, v32
	ds_read_b128 v[32:35], v18 offset:144
	ds_read2_b64 v[36:39], v27 offset0:64 offset1:96
	s_waitcnt lgkmcnt(2)
	v_mul_f32_e32 v8, v29, v3
	v_fma_f32 v8, v28, v2, -v8
	v_mul_f32_e32 v3, v28, v3
	v_add_f32_e32 v7, v7, v9
	v_fmac_f32_e32 v3, v29, v2
	v_add_f32_e32 v2, v6, v8
	v_mul_f32_e32 v6, v31, v5
	v_mul_f32_e32 v5, v30, v5
	v_add_f32_e32 v3, v7, v3
	v_fma_f32 v6, v30, v4, -v6
	v_fmac_f32_e32 v5, v31, v4
	s_waitcnt lgkmcnt(0)
	v_mul_f32_e32 v4, v37, v33
	v_add_f32_e32 v2, v2, v6
	v_add_f32_e32 v3, v3, v5
	v_fma_f32 v4, v36, v32, -v4
	v_mul_f32_e32 v5, v36, v33
	v_fmac_f32_e32 v5, v37, v32
	v_add_f32_e32 v28, v2, v4
	v_mul_f32_e32 v2, v39, v35
	v_add_f32_e32 v29, v3, v5
	v_fma_f32 v30, v38, v34, -v2
	ds_read_b128 v[2:5], v18 offset:160
	ds_read2_b64 v[6:9], v27 offset0:128 offset1:160
	global_load_dwordx2 v[36:37], v[10:11], off
	v_mul_f32_e32 v31, v38, v35
	v_fmac_f32_e32 v31, v39, v34
	v_add_f32_e32 v32, v28, v30
	s_waitcnt lgkmcnt(0)
	v_mul_f32_e32 v34, v7, v3
	v_mul_f32_e32 v3, v6, v3
	v_add_f32_e32 v33, v29, v31
	v_fma_f32 v34, v6, v2, -v34
	v_fmac_f32_e32 v3, v7, v2
	ds_read_b128 v[28:31], v18 offset:176
	v_add_f32_e32 v2, v32, v34
	v_add_f32_e32 v3, v33, v3
	ds_read2_b64 v[32:35], v27 offset0:192 offset1:224
	v_mul_f32_e32 v6, v9, v5
	v_mul_f32_e32 v5, v8, v5
	v_fma_f32 v6, v8, v4, -v6
	v_fmac_f32_e32 v5, v9, v4
	s_waitcnt lgkmcnt(0)
	v_mul_f32_e32 v4, v33, v29
	v_add_f32_e32 v2, v2, v6
	v_add_f32_e32 v3, v3, v5
	v_fma_f32 v4, v32, v28, -v4
	v_mul_f32_e32 v5, v32, v29
	v_fmac_f32_e32 v5, v33, v28
	v_add_f32_e32 v27, v2, v4
	v_mul_f32_e32 v2, v35, v31
	v_add_f32_e32 v28, v3, v5
	v_fma_f32 v29, v34, v30, -v2
	ds_read_b128 v[2:5], v18 offset:192
	ds_read2_b64 v[6:9], v26 offset1:32
	v_mul_f32_e32 v31, v34, v31
	v_fmac_f32_e32 v31, v35, v30
	v_add_f32_e32 v32, v27, v29
	v_add_f32_e32 v31, v28, v31
	s_waitcnt lgkmcnt(0)
	v_mul_f32_e32 v33, v7, v3
	v_mul_f32_e32 v3, v6, v3
	v_fma_f32 v33, v6, v2, -v33
	v_fmac_f32_e32 v3, v7, v2
	ds_read_b128 v[27:30], v18 offset:208
	v_add_f32_e32 v2, v32, v33
	v_add_f32_e32 v3, v31, v3
	ds_read2_b64 v[31:34], v26 offset0:64 offset1:96
	v_mul_f32_e32 v6, v9, v5
	v_mul_f32_e32 v5, v8, v5
	v_fma_f32 v6, v8, v4, -v6
	v_fmac_f32_e32 v5, v9, v4
	s_waitcnt lgkmcnt(0)
	v_mul_f32_e32 v4, v32, v28
	v_add_f32_e32 v2, v2, v6
	v_add_f32_e32 v3, v3, v5
	v_fma_f32 v4, v31, v27, -v4
	v_mul_f32_e32 v5, v31, v28
	v_fmac_f32_e32 v5, v32, v27
	v_add_f32_e32 v27, v2, v4
	v_mul_f32_e32 v2, v34, v30
	v_add_f32_e32 v28, v3, v5
	v_fma_f32 v31, v33, v29, -v2
	ds_read_b128 v[2:5], v18 offset:224
	ds_read2_b64 v[6:9], v26 offset0:128 offset1:160
	v_mul_f32_e32 v30, v33, v30
	v_fmac_f32_e32 v30, v34, v29
	v_add_f32_e32 v31, v27, v31
	v_add_f32_e32 v32, v28, v30
	s_waitcnt lgkmcnt(0)
	v_mul_f32_e32 v33, v7, v3
	v_mul_f32_e32 v3, v6, v3
	v_fma_f32 v33, v6, v2, -v33
	v_fmac_f32_e32 v3, v7, v2
	ds_read_b128 v[27:30], v18 offset:240
	v_add_f32_e32 v2, v31, v33
	v_add_f32_e32 v3, v32, v3
	ds_read2_b64 v[31:34], v26 offset0:192 offset1:224
	v_mul_f32_e32 v6, v9, v5
	v_mul_f32_e32 v5, v8, v5
	v_fma_f32 v6, v8, v4, -v6
	v_fmac_f32_e32 v5, v9, v4
	s_waitcnt lgkmcnt(0)
	v_mul_f32_e32 v4, v32, v28
	v_add_f32_e32 v2, v2, v6
	v_add_f32_e32 v3, v3, v5
	v_fma_f32 v4, v31, v27, -v4
	v_mul_f32_e32 v5, v31, v28
	v_fmac_f32_e32 v5, v32, v27
	v_add_f32_e32 v2, v2, v4
	v_mul_f32_e32 v4, v34, v30
	v_add_f32_e32 v3, v3, v5
	v_fma_f32 v4, v33, v29, -v4
	v_mul_f32_e32 v5, v33, v30
	v_fmac_f32_e32 v5, v34, v29
	v_add_f32_e32 v2, v2, v4
	v_add_f32_e32 v3, v3, v5
	v_mul_f32_e32 v4, s10, v2
	v_mul_f32_e32 v2, s11, v2
	v_fmac_f32_e32 v4, s11, v3
	v_fma_f32 v3, s10, v3, -v2
	s_waitcnt vmcnt(0)
	v_add_f32_e32 v2, v36, v4
	v_add_f32_e32 v3, v37, v3
	global_store_dwordx2 v[10:11], v[2:3], off
	s_branch .LBB1864_3
.LBB1864_16:
	s_endpgm
	.section	.rodata,"a",@progbits
	.p2align	6, 0x0
	.amdhsa_kernel _ZL26rocblas_syr2k_her2k_kernelIlLb1ELb1ELb0ELi32E19rocblas_complex_numIfEPKS1_PS1_EvbiT_T4_T5_S5_lS7_S5_lT6_S5_li
		.amdhsa_group_segment_fixed_size 16384
		.amdhsa_private_segment_fixed_size 0
		.amdhsa_kernarg_size 100
		.amdhsa_user_sgpr_count 6
		.amdhsa_user_sgpr_private_segment_buffer 1
		.amdhsa_user_sgpr_dispatch_ptr 0
		.amdhsa_user_sgpr_queue_ptr 0
		.amdhsa_user_sgpr_kernarg_segment_ptr 1
		.amdhsa_user_sgpr_dispatch_id 0
		.amdhsa_user_sgpr_flat_scratch_init 0
		.amdhsa_user_sgpr_private_segment_size 0
		.amdhsa_uses_dynamic_stack 0
		.amdhsa_system_sgpr_private_segment_wavefront_offset 0
		.amdhsa_system_sgpr_workgroup_id_x 1
		.amdhsa_system_sgpr_workgroup_id_y 1
		.amdhsa_system_sgpr_workgroup_id_z 1
		.amdhsa_system_sgpr_workgroup_info 0
		.amdhsa_system_vgpr_workitem_id 1
		.amdhsa_next_free_vgpr 42
		.amdhsa_next_free_sgpr 61
		.amdhsa_reserve_vcc 1
		.amdhsa_reserve_flat_scratch 0
		.amdhsa_float_round_mode_32 0
		.amdhsa_float_round_mode_16_64 0
		.amdhsa_float_denorm_mode_32 3
		.amdhsa_float_denorm_mode_16_64 3
		.amdhsa_dx10_clamp 1
		.amdhsa_ieee_mode 1
		.amdhsa_fp16_overflow 0
		.amdhsa_exception_fp_ieee_invalid_op 0
		.amdhsa_exception_fp_denorm_src 0
		.amdhsa_exception_fp_ieee_div_zero 0
		.amdhsa_exception_fp_ieee_overflow 0
		.amdhsa_exception_fp_ieee_underflow 0
		.amdhsa_exception_fp_ieee_inexact 0
		.amdhsa_exception_int_div_zero 0
	.end_amdhsa_kernel
	.section	.text._ZL26rocblas_syr2k_her2k_kernelIlLb1ELb1ELb0ELi32E19rocblas_complex_numIfEPKS1_PS1_EvbiT_T4_T5_S5_lS7_S5_lT6_S5_li,"axG",@progbits,_ZL26rocblas_syr2k_her2k_kernelIlLb1ELb1ELb0ELi32E19rocblas_complex_numIfEPKS1_PS1_EvbiT_T4_T5_S5_lS7_S5_lT6_S5_li,comdat
.Lfunc_end1864:
	.size	_ZL26rocblas_syr2k_her2k_kernelIlLb1ELb1ELb0ELi32E19rocblas_complex_numIfEPKS1_PS1_EvbiT_T4_T5_S5_lS7_S5_lT6_S5_li, .Lfunc_end1864-_ZL26rocblas_syr2k_her2k_kernelIlLb1ELb1ELb0ELi32E19rocblas_complex_numIfEPKS1_PS1_EvbiT_T4_T5_S5_lS7_S5_lT6_S5_li
                                        ; -- End function
	.set _ZL26rocblas_syr2k_her2k_kernelIlLb1ELb1ELb0ELi32E19rocblas_complex_numIfEPKS1_PS1_EvbiT_T4_T5_S5_lS7_S5_lT6_S5_li.num_vgpr, 42
	.set _ZL26rocblas_syr2k_her2k_kernelIlLb1ELb1ELb0ELi32E19rocblas_complex_numIfEPKS1_PS1_EvbiT_T4_T5_S5_lS7_S5_lT6_S5_li.num_agpr, 0
	.set _ZL26rocblas_syr2k_her2k_kernelIlLb1ELb1ELb0ELi32E19rocblas_complex_numIfEPKS1_PS1_EvbiT_T4_T5_S5_lS7_S5_lT6_S5_li.numbered_sgpr, 32
	.set _ZL26rocblas_syr2k_her2k_kernelIlLb1ELb1ELb0ELi32E19rocblas_complex_numIfEPKS1_PS1_EvbiT_T4_T5_S5_lS7_S5_lT6_S5_li.num_named_barrier, 0
	.set _ZL26rocblas_syr2k_her2k_kernelIlLb1ELb1ELb0ELi32E19rocblas_complex_numIfEPKS1_PS1_EvbiT_T4_T5_S5_lS7_S5_lT6_S5_li.private_seg_size, 0
	.set _ZL26rocblas_syr2k_her2k_kernelIlLb1ELb1ELb0ELi32E19rocblas_complex_numIfEPKS1_PS1_EvbiT_T4_T5_S5_lS7_S5_lT6_S5_li.uses_vcc, 1
	.set _ZL26rocblas_syr2k_her2k_kernelIlLb1ELb1ELb0ELi32E19rocblas_complex_numIfEPKS1_PS1_EvbiT_T4_T5_S5_lS7_S5_lT6_S5_li.uses_flat_scratch, 0
	.set _ZL26rocblas_syr2k_her2k_kernelIlLb1ELb1ELb0ELi32E19rocblas_complex_numIfEPKS1_PS1_EvbiT_T4_T5_S5_lS7_S5_lT6_S5_li.has_dyn_sized_stack, 0
	.set _ZL26rocblas_syr2k_her2k_kernelIlLb1ELb1ELb0ELi32E19rocblas_complex_numIfEPKS1_PS1_EvbiT_T4_T5_S5_lS7_S5_lT6_S5_li.has_recursion, 0
	.set _ZL26rocblas_syr2k_her2k_kernelIlLb1ELb1ELb0ELi32E19rocblas_complex_numIfEPKS1_PS1_EvbiT_T4_T5_S5_lS7_S5_lT6_S5_li.has_indirect_call, 0
	.section	.AMDGPU.csdata,"",@progbits
; Kernel info:
; codeLenInByte = 3560
; TotalNumSgprs: 36
; NumVgprs: 42
; ScratchSize: 0
; MemoryBound: 0
; FloatMode: 240
; IeeeMode: 1
; LDSByteSize: 16384 bytes/workgroup (compile time only)
; SGPRBlocks: 8
; VGPRBlocks: 10
; NumSGPRsForWavesPerEU: 65
; NumVGPRsForWavesPerEU: 42
; Occupancy: 5
; WaveLimiterHint : 0
; COMPUTE_PGM_RSRC2:SCRATCH_EN: 0
; COMPUTE_PGM_RSRC2:USER_SGPR: 6
; COMPUTE_PGM_RSRC2:TRAP_HANDLER: 0
; COMPUTE_PGM_RSRC2:TGID_X_EN: 1
; COMPUTE_PGM_RSRC2:TGID_Y_EN: 1
; COMPUTE_PGM_RSRC2:TGID_Z_EN: 1
; COMPUTE_PGM_RSRC2:TIDIG_COMP_CNT: 1
	.section	.text._ZL26rocblas_syr2k_her2k_kernelIlLb1ELb1ELb1ELi32E19rocblas_complex_numIfEPKS1_PS1_EvbiT_T4_T5_S5_lS7_S5_lT6_S5_li,"axG",@progbits,_ZL26rocblas_syr2k_her2k_kernelIlLb1ELb1ELb1ELi32E19rocblas_complex_numIfEPKS1_PS1_EvbiT_T4_T5_S5_lS7_S5_lT6_S5_li,comdat
	.globl	_ZL26rocblas_syr2k_her2k_kernelIlLb1ELb1ELb1ELi32E19rocblas_complex_numIfEPKS1_PS1_EvbiT_T4_T5_S5_lS7_S5_lT6_S5_li ; -- Begin function _ZL26rocblas_syr2k_her2k_kernelIlLb1ELb1ELb1ELi32E19rocblas_complex_numIfEPKS1_PS1_EvbiT_T4_T5_S5_lS7_S5_lT6_S5_li
	.p2align	8
	.type	_ZL26rocblas_syr2k_her2k_kernelIlLb1ELb1ELb1ELi32E19rocblas_complex_numIfEPKS1_PS1_EvbiT_T4_T5_S5_lS7_S5_lT6_S5_li,@function
_ZL26rocblas_syr2k_her2k_kernelIlLb1ELb1ELb1ELi32E19rocblas_complex_numIfEPKS1_PS1_EvbiT_T4_T5_S5_lS7_S5_lT6_S5_li: ; @_ZL26rocblas_syr2k_her2k_kernelIlLb1ELb1ELb1ELi32E19rocblas_complex_numIfEPKS1_PS1_EvbiT_T4_T5_S5_lS7_S5_lT6_S5_li
; %bb.0:
	s_load_dwordx2 s[10:11], s[4:5], 0x10
	s_waitcnt lgkmcnt(0)
	v_cmp_eq_f32_e64 s[0:1], s10, 0
	v_cmp_eq_f32_e64 s[2:3], s11, 0
	s_and_b64 s[0:1], s[0:1], s[2:3]
	s_and_b64 vcc, exec, s[0:1]
	s_cbranch_vccnz .LBB1865_16
; %bb.1:
	s_load_dwordx4 s[28:31], s[4:5], 0x0
	s_lshl_b32 s3, s7, 5
	s_lshl_b32 s2, s6, 5
	s_waitcnt lgkmcnt(0)
	s_and_b32 s0, 1, s28
	s_cmp_eq_u32 s0, 1
	s_cselect_b64 s[0:1], -1, 0
	s_and_b64 s[6:7], s[0:1], exec
	s_cselect_b32 s6, s2, s3
	s_cselect_b32 s7, s3, s2
	s_cmp_gt_i32 s6, s7
	v_cmp_lt_i64_e64 s[6:7], s[30:31], 1
	s_cselect_b64 s[12:13], -1, 0
	s_or_b64 s[6:7], s[12:13], s[6:7]
	s_and_b64 vcc, exec, s[6:7]
	s_cbranch_vccnz .LBB1865_16
; %bb.2:
	s_load_dwordx2 s[6:7], s[4:5], 0x58
	s_load_dwordx16 s[12:27], s[4:5], 0x18
	v_add_u32_e32 v4, s3, v1
	v_mov_b32_e32 v3, 0
	v_add_u32_e32 v2, s2, v0
	s_waitcnt lgkmcnt(0)
	s_mul_i32 s3, s7, s8
	s_mul_hi_u32 s5, s6, s8
	s_mul_i32 s4, s6, s8
	s_add_i32 s5, s5, s3
	s_lshl_b64 s[4:5], s[4:5], 3
	s_add_u32 s6, s24, s4
	s_addc_u32 s7, s25, s5
	s_ashr_i32 s3, s29, 31
	s_mov_b32 s2, s29
	v_mov_b32_e32 v5, v3
	v_cndmask_b32_e64 v7, v2, v4, s[0:1]
	v_cndmask_b32_e64 v8, v4, v2, s[0:1]
	v_cmp_gt_i64_e64 s[0:1], s[2:3], v[2:3]
	v_cmp_gt_i64_e64 s[2:3], s[2:3], v[4:5]
	v_ashrrev_i32_e32 v5, 31, v4
	v_mul_lo_u32 v10, s26, v5
	v_mul_lo_u32 v11, s27, v4
	v_mad_u64_u32 v[5:6], s[4:5], s26, v4, 0
	v_max_i32_e32 v3, v2, v4
	v_cmp_gt_i32_e32 vcc, s29, v3
	v_add3_u32 v6, v6, v10, v11
	v_lshlrev_b64 v[5:6], 3, v[5:6]
	v_cmp_le_i32_e64 s[4:5], v8, v7
	s_and_b64 s[4:5], s[4:5], vcc
	v_mov_b32_e32 v7, s7
	v_add_co_u32_e32 v10, vcc, s6, v5
	v_addc_co_u32_e32 v11, vcc, v7, v6, vcc
	v_mad_u64_u32 v[7:8], s[6:7], s14, v4, 0
	v_ashrrev_i32_e32 v3, 31, v2
	v_lshlrev_b64 v[5:6], 3, v[2:3]
	v_mov_b32_e32 v3, v8
	v_add_co_u32_e32 v10, vcc, v10, v5
	v_addc_co_u32_e32 v11, vcc, v11, v6, vcc
	v_mad_u64_u32 v[5:6], s[6:7], s15, v4, v[3:4]
	s_mul_i32 s9, s17, s8
	s_mul_hi_u32 s17, s16, s8
	v_mov_b32_e32 v8, v5
	s_add_i32 s7, s17, s9
	s_mul_i32 s6, s16, s8
	v_lshlrev_b64 v[5:6], 3, v[7:8]
	s_lshl_b64 s[6:7], s[6:7], 3
	v_mov_b32_e32 v8, s7
	v_add_co_u32_e32 v3, vcc, s6, v5
	v_addc_co_u32_e32 v5, vcc, v8, v6, vcc
	v_lshlrev_b32_e32 v20, 3, v0
	v_add_co_u32_e32 v3, vcc, v3, v20
	v_addc_co_u32_e32 v7, vcc, 0, v5, vcc
	v_mad_u64_u32 v[5:6], s[16:17], s14, v2, 0
	v_mov_b32_e32 v16, s13
	v_add_co_u32_e32 v17, vcc, s12, v3
	v_mov_b32_e32 v3, v6
	v_addc_co_u32_e32 v18, vcc, v16, v7, vcc
	v_mad_u64_u32 v[6:7], s[14:15], s15, v2, v[3:4]
	v_add_co_u32_e32 v16, vcc, 4, v17
	v_lshlrev_b64 v[5:6], 3, v[5:6]
	v_addc_co_u32_e32 v17, vcc, 0, v18, vcc
	v_add_co_u32_e32 v3, vcc, s6, v5
	v_lshlrev_b32_e32 v9, 3, v1
	v_addc_co_u32_e32 v5, vcc, v8, v6, vcc
	v_add_co_u32_e32 v3, vcc, v3, v9
	v_addc_co_u32_e32 v7, vcc, 0, v5, vcc
	v_mad_u64_u32 v[5:6], s[6:7], s20, v4, 0
	v_add_co_u32_e32 v18, vcc, s12, v3
	v_mov_b32_e32 v3, v6
	v_mad_u64_u32 v[3:4], s[6:7], s21, v4, v[3:4]
	s_mul_i32 s9, s23, s8
	s_mul_hi_u32 s12, s22, s8
	v_mov_b32_e32 v6, v3
	v_mov_b32_e32 v8, s13
	s_add_i32 s7, s12, s9
	s_mul_i32 s6, s22, s8
	v_lshlrev_b64 v[3:4], 3, v[5:6]
	v_addc_co_u32_e32 v19, vcc, v8, v7, vcc
	s_lshl_b64 s[6:7], s[6:7], 3
	v_mov_b32_e32 v6, s7
	v_add_co_u32_e32 v3, vcc, s6, v3
	v_addc_co_u32_e32 v4, vcc, v6, v4, vcc
	v_add_co_u32_e32 v5, vcc, v3, v20
	v_addc_co_u32_e32 v7, vcc, 0, v4, vcc
	v_mad_u64_u32 v[3:4], s[8:9], s20, v2, 0
	v_add_co_u32_e32 v20, vcc, s18, v5
	v_mad_u64_u32 v[4:5], s[8:9], s21, v2, v[4:5]
	v_mov_b32_e32 v8, s19
	v_addc_co_u32_e32 v7, vcc, v8, v7, vcc
	v_add_co_u32_e32 v20, vcc, 4, v20
	v_lshlrev_b64 v[2:3], 3, v[3:4]
	v_addc_co_u32_e32 v21, vcc, 0, v7, vcc
	v_add_co_u32_e32 v2, vcc, s6, v2
	v_addc_co_u32_e32 v3, vcc, v6, v3, vcc
	v_add_co_u32_e32 v2, vcc, v2, v9
	v_addc_co_u32_e32 v3, vcc, 0, v3, vcc
	v_lshlrev_b32_e32 v12, 8, v0
	v_or_b32_e32 v14, 0x2000, v9
	v_mov_b32_e32 v4, s19
	v_add_co_u32_e32 v22, vcc, s18, v2
	v_add_u32_e32 v13, v12, v9
	v_add_u32_e32 v15, v14, v12
	v_addc_co_u32_e32 v23, vcc, v4, v3, vcc
	s_mov_b64 s[6:7], 0
	s_mov_b64 s[8:9], 0
	s_branch .LBB1865_4
.LBB1865_3:                             ;   in Loop: Header=BB1865_4 Depth=1
	s_or_b64 exec, exec, s[12:13]
	s_add_u32 s8, s8, 32
	v_mov_b32_e32 v2, s30
	s_addc_u32 s9, s9, 0
	v_mov_b32_e32 v3, s31
	v_cmp_lt_i64_e32 vcc, s[8:9], v[2:3]
	s_add_u32 s6, s6, 0x100
	s_addc_u32 s7, s7, 0
	s_waitcnt vmcnt(0)
	s_barrier
	s_cbranch_vccz .LBB1865_16
.LBB1865_4:                             ; =>This Inner Loop Header: Depth=1
	v_mov_b32_e32 v3, s9
	v_add_co_u32_e32 v2, vcc, s8, v1
	v_addc_co_u32_e32 v3, vcc, 0, v3, vcc
	v_cmp_gt_i64_e32 vcc, s[30:31], v[2:3]
	v_mov_b32_e32 v2, 0
	s_and_b64 s[12:13], s[0:1], vcc
	v_mov_b32_e32 v3, 0
	v_mov_b32_e32 v4, 0
	s_and_saveexec_b64 s[14:15], s[12:13]
	s_cbranch_execz .LBB1865_6
; %bb.5:                                ;   in Loop: Header=BB1865_4 Depth=1
	v_mov_b32_e32 v4, s7
	v_add_co_u32_e32 v3, vcc, s6, v18
	v_addc_co_u32_e32 v4, vcc, v19, v4, vcc
	global_load_dwordx2 v[3:4], v[3:4], off
	s_waitcnt vmcnt(0)
	v_xor_b32_e32 v4, 0x80000000, v4
.LBB1865_6:                             ;   in Loop: Header=BB1865_4 Depth=1
	s_or_b64 exec, exec, s[14:15]
	v_mov_b32_e32 v6, s9
	v_add_co_u32_e32 v5, vcc, s8, v0
	v_addc_co_u32_e32 v6, vcc, 0, v6, vcc
	v_cmp_gt_i64_e32 vcc, s[30:31], v[5:6]
	ds_write_b64 v13, v[3:4]
	s_and_b64 s[14:15], s[2:3], vcc
	v_mov_b32_e32 v3, 0
	s_and_saveexec_b64 s[16:17], s[14:15]
	s_cbranch_execz .LBB1865_8
; %bb.7:                                ;   in Loop: Header=BB1865_4 Depth=1
	v_mov_b32_e32 v3, s7
	v_add_co_u32_e32 v2, vcc, s6, v20
	v_addc_co_u32_e32 v3, vcc, v21, v3, vcc
	global_load_dwordx2 v[2:3], v[2:3], off offset:-4
.LBB1865_8:                             ;   in Loop: Header=BB1865_4 Depth=1
	s_or_b64 exec, exec, s[16:17]
	v_add_u32_e32 v26, 0x800, v14
	v_add_u32_e32 v25, 0x1000, v14
	;; [unrolled: 1-line block ×3, first 2 shown]
	s_waitcnt vmcnt(0)
	ds_write_b64 v15, v[2:3]
	s_waitcnt lgkmcnt(0)
	s_barrier
	s_and_saveexec_b64 s[16:17], s[4:5]
	s_cbranch_execz .LBB1865_10
; %bb.9:                                ;   in Loop: Header=BB1865_4 Depth=1
	ds_read2_b64 v[2:5], v14 offset1:32
	ds_read_b128 v[6:9], v12
	ds_read_b128 v[27:30], v12 offset:16
	s_waitcnt lgkmcnt(1)
	v_mul_f32_e32 v31, v3, v7
	v_fma_f32 v36, v2, v6, -v31
	ds_read2_b64 v[31:34], v14 offset0:64 offset1:96
	v_mul_f32_e32 v35, v2, v7
	v_mul_f32_e32 v2, v5, v9
	v_fma_f32 v37, v4, v8, -v2
	v_fmac_f32_e32 v35, v3, v6
	s_waitcnt lgkmcnt(0)
	v_mul_f32_e32 v2, v32, v28
	v_mul_f32_e32 v38, v4, v9
	v_fma_f32 v39, v31, v27, -v2
	v_mul_f32_e32 v31, v31, v28
	v_mul_f32_e32 v2, v34, v30
	v_fmac_f32_e32 v38, v5, v8
	v_fmac_f32_e32 v31, v32, v27
	v_fma_f32 v32, v33, v29, -v2
	v_mul_f32_e32 v33, v33, v30
	v_add_f32_e32 v27, 0, v36
	v_add_f32_e32 v28, 0, v35
	v_fmac_f32_e32 v33, v34, v29
	ds_read_b128 v[2:5], v12 offset:32
	ds_read_b128 v[6:9], v12 offset:48
	v_add_f32_e32 v34, v27, v37
	v_add_f32_e32 v35, v28, v38
	ds_read2_b64 v[27:30], v14 offset0:128 offset1:160
	v_add_f32_e32 v31, v35, v31
	v_add_f32_e32 v34, v34, v39
	;; [unrolled: 1-line block ×4, first 2 shown]
	s_waitcnt lgkmcnt(0)
	v_mul_f32_e32 v33, v28, v3
	v_mul_f32_e32 v3, v27, v3
	v_fma_f32 v33, v27, v2, -v33
	v_fmac_f32_e32 v3, v28, v2
	v_add_f32_e32 v2, v32, v33
	v_add_f32_e32 v3, v31, v3
	ds_read2_b64 v[31:34], v14 offset0:192 offset1:224
	v_mul_f32_e32 v27, v30, v5
	v_mul_f32_e32 v5, v29, v5
	v_fma_f32 v27, v29, v4, -v27
	v_fmac_f32_e32 v5, v30, v4
	s_waitcnt lgkmcnt(0)
	v_mul_f32_e32 v4, v32, v7
	v_add_f32_e32 v2, v2, v27
	v_add_f32_e32 v3, v3, v5
	v_fma_f32 v4, v31, v6, -v4
	v_mul_f32_e32 v5, v31, v7
	v_fmac_f32_e32 v5, v32, v6
	v_add_f32_e32 v6, v2, v4
	v_mul_f32_e32 v2, v34, v9
	v_add_f32_e32 v7, v3, v5
	v_fma_f32 v31, v33, v8, -v2
	ds_read_b128 v[2:5], v12 offset:64
	ds_read2_b64 v[27:30], v26 offset1:32
	v_mul_f32_e32 v9, v33, v9
	v_fmac_f32_e32 v9, v34, v8
	v_add_f32_e32 v31, v6, v31
	v_add_f32_e32 v32, v7, v9
	s_waitcnt lgkmcnt(0)
	v_mul_f32_e32 v33, v28, v3
	v_mul_f32_e32 v3, v27, v3
	v_fma_f32 v33, v27, v2, -v33
	v_fmac_f32_e32 v3, v28, v2
	ds_read_b128 v[6:9], v12 offset:80
	v_add_f32_e32 v2, v31, v33
	v_add_f32_e32 v3, v32, v3
	ds_read2_b64 v[31:34], v26 offset0:64 offset1:96
	v_mul_f32_e32 v27, v30, v5
	v_mul_f32_e32 v5, v29, v5
	v_fma_f32 v27, v29, v4, -v27
	v_fmac_f32_e32 v5, v30, v4
	s_waitcnt lgkmcnt(0)
	v_mul_f32_e32 v4, v32, v7
	v_add_f32_e32 v2, v2, v27
	v_add_f32_e32 v3, v3, v5
	v_fma_f32 v4, v31, v6, -v4
	v_mul_f32_e32 v5, v31, v7
	v_fmac_f32_e32 v5, v32, v6
	v_add_f32_e32 v6, v2, v4
	v_mul_f32_e32 v2, v34, v9
	v_add_f32_e32 v7, v3, v5
	v_fma_f32 v31, v33, v8, -v2
	ds_read_b128 v[2:5], v12 offset:96
	ds_read2_b64 v[27:30], v26 offset0:128 offset1:160
	v_mul_f32_e32 v9, v33, v9
	v_fmac_f32_e32 v9, v34, v8
	v_add_f32_e32 v31, v6, v31
	v_add_f32_e32 v32, v7, v9
	s_waitcnt lgkmcnt(0)
	v_mul_f32_e32 v33, v28, v3
	v_mul_f32_e32 v3, v27, v3
	v_fma_f32 v33, v27, v2, -v33
	v_fmac_f32_e32 v3, v28, v2
	ds_read_b128 v[6:9], v12 offset:112
	v_add_f32_e32 v2, v31, v33
	v_add_f32_e32 v3, v32, v3
	ds_read2_b64 v[31:34], v26 offset0:192 offset1:224
	v_mul_f32_e32 v27, v30, v5
	v_mul_f32_e32 v5, v29, v5
	v_fma_f32 v27, v29, v4, -v27
	v_fmac_f32_e32 v5, v30, v4
	s_waitcnt lgkmcnt(0)
	v_mul_f32_e32 v4, v32, v7
	v_add_f32_e32 v2, v2, v27
	v_add_f32_e32 v3, v3, v5
	v_fma_f32 v4, v31, v6, -v4
	v_mul_f32_e32 v5, v31, v7
	v_fmac_f32_e32 v5, v32, v6
	v_add_f32_e32 v6, v2, v4
	v_mul_f32_e32 v2, v34, v9
	v_add_f32_e32 v7, v3, v5
	v_fma_f32 v31, v33, v8, -v2
	ds_read_b128 v[2:5], v12 offset:128
	ds_read2_b64 v[27:30], v25 offset1:32
	v_mul_f32_e32 v9, v33, v9
	v_fmac_f32_e32 v9, v34, v8
	v_add_f32_e32 v6, v6, v31
	ds_read_b128 v[31:34], v12 offset:144
	ds_read2_b64 v[35:38], v25 offset0:64 offset1:96
	s_waitcnt lgkmcnt(2)
	v_mul_f32_e32 v8, v28, v3
	v_fma_f32 v8, v27, v2, -v8
	v_mul_f32_e32 v3, v27, v3
	v_add_f32_e32 v7, v7, v9
	v_fmac_f32_e32 v3, v28, v2
	v_add_f32_e32 v2, v6, v8
	v_mul_f32_e32 v6, v30, v5
	v_mul_f32_e32 v5, v29, v5
	v_add_f32_e32 v3, v7, v3
	v_fma_f32 v6, v29, v4, -v6
	v_fmac_f32_e32 v5, v30, v4
	s_waitcnt lgkmcnt(0)
	v_mul_f32_e32 v4, v36, v32
	v_add_f32_e32 v2, v2, v6
	v_add_f32_e32 v3, v3, v5
	v_fma_f32 v4, v35, v31, -v4
	v_mul_f32_e32 v5, v35, v32
	v_fmac_f32_e32 v5, v36, v31
	v_add_f32_e32 v27, v2, v4
	v_mul_f32_e32 v2, v38, v34
	v_add_f32_e32 v28, v3, v5
	v_fma_f32 v29, v37, v33, -v2
	ds_read_b128 v[2:5], v12 offset:160
	ds_read2_b64 v[6:9], v25 offset0:128 offset1:160
	v_mul_f32_e32 v30, v37, v34
	v_fmac_f32_e32 v30, v38, v33
	v_add_f32_e32 v33, v27, v29
	v_add_f32_e32 v34, v28, v30
	s_waitcnt lgkmcnt(0)
	v_mul_f32_e32 v31, v7, v3
	v_fma_f32 v35, v6, v2, -v31
	global_load_dwordx2 v[31:32], v[10:11], off
	v_mul_f32_e32 v6, v6, v3
	v_fmac_f32_e32 v6, v7, v2
	v_mul_f32_e32 v2, v9, v5
	v_fma_f32 v7, v8, v4, -v2
	v_mul_f32_e32 v8, v8, v5
	ds_read_b128 v[27:30], v12 offset:176
	v_fmac_f32_e32 v8, v9, v4
	ds_read2_b64 v[2:5], v25 offset0:192 offset1:224
	v_add_f32_e32 v6, v34, v6
	v_add_f32_e32 v9, v33, v35
	;; [unrolled: 1-line block ×4, first 2 shown]
	s_waitcnt lgkmcnt(0)
	v_mul_f32_e32 v6, v3, v28
	v_fma_f32 v6, v2, v27, -v6
	v_mul_f32_e32 v28, v2, v28
	v_mul_f32_e32 v2, v5, v30
	;; [unrolled: 1-line block ×3, first 2 shown]
	v_fmac_f32_e32 v28, v3, v27
	v_add_f32_e32 v27, v7, v6
	v_fma_f32 v34, v4, v29, -v2
	v_fmac_f32_e32 v30, v5, v29
	ds_read_b128 v[2:5], v12 offset:192
	ds_read2_b64 v[6:9], v24 offset1:32
	v_add_f32_e32 v28, v33, v28
	v_add_f32_e32 v33, v27, v34
	;; [unrolled: 1-line block ×3, first 2 shown]
	ds_read_b128 v[27:30], v12 offset:208
	s_waitcnt lgkmcnt(1)
	v_mul_f32_e32 v35, v7, v3
	v_fma_f32 v35, v6, v2, -v35
	v_mul_f32_e32 v6, v6, v3
	v_fmac_f32_e32 v6, v7, v2
	v_mul_f32_e32 v2, v9, v5
	v_fma_f32 v7, v8, v4, -v2
	v_mul_f32_e32 v8, v8, v5
	v_fmac_f32_e32 v8, v9, v4
	ds_read2_b64 v[2:5], v24 offset0:64 offset1:96
	v_add_f32_e32 v6, v34, v6
	v_add_f32_e32 v9, v33, v35
	v_add_f32_e32 v33, v6, v8
	v_add_f32_e32 v7, v9, v7
	s_waitcnt lgkmcnt(0)
	v_mul_f32_e32 v6, v3, v28
	v_fma_f32 v6, v2, v27, -v6
	v_mul_f32_e32 v28, v2, v28
	v_mul_f32_e32 v2, v5, v30
	;; [unrolled: 1-line block ×3, first 2 shown]
	v_fmac_f32_e32 v28, v3, v27
	v_add_f32_e32 v27, v7, v6
	v_fma_f32 v34, v4, v29, -v2
	v_fmac_f32_e32 v30, v5, v29
	ds_read_b128 v[2:5], v12 offset:224
	ds_read2_b64 v[6:9], v24 offset0:128 offset1:160
	v_add_f32_e32 v28, v33, v28
	v_add_f32_e32 v33, v27, v34
	v_add_f32_e32 v34, v28, v30
	ds_read_b128 v[27:30], v12 offset:240
	s_waitcnt lgkmcnt(1)
	v_mul_f32_e32 v35, v7, v3
	v_fma_f32 v35, v6, v2, -v35
	v_mul_f32_e32 v6, v6, v3
	v_fmac_f32_e32 v6, v7, v2
	v_mul_f32_e32 v2, v9, v5
	v_fma_f32 v7, v8, v4, -v2
	v_mul_f32_e32 v8, v8, v5
	v_fmac_f32_e32 v8, v9, v4
	ds_read2_b64 v[2:5], v24 offset0:192 offset1:224
	v_add_f32_e32 v6, v34, v6
	v_add_f32_e32 v6, v6, v8
	;; [unrolled: 1-line block ×4, first 2 shown]
	s_waitcnt lgkmcnt(0)
	v_mul_f32_e32 v8, v3, v28
	v_fma_f32 v8, v2, v27, -v8
	v_mul_f32_e32 v2, v2, v28
	v_fmac_f32_e32 v2, v3, v27
	v_add_f32_e32 v2, v6, v2
	v_mul_f32_e32 v6, v5, v30
	v_fma_f32 v6, v4, v29, -v6
	v_mul_f32_e32 v4, v4, v30
	v_fmac_f32_e32 v4, v5, v29
	v_add_f32_e32 v3, v7, v8
	v_add_f32_e32 v2, v2, v4
	;; [unrolled: 1-line block ×3, first 2 shown]
	v_mul_f32_e32 v4, s11, v2
	v_mul_f32_e32 v5, s10, v2
	v_fma_f32 v4, s10, v3, -v4
	v_fmac_f32_e32 v5, s11, v3
	s_waitcnt vmcnt(0)
	v_add_f32_e32 v2, v31, v4
	v_add_f32_e32 v3, v32, v5
	global_store_dwordx2 v[10:11], v[2:3], off
.LBB1865_10:                            ;   in Loop: Header=BB1865_4 Depth=1
	s_or_b64 exec, exec, s[16:17]
	v_mov_b32_e32 v4, 0
	v_mov_b32_e32 v3, 0
	;; [unrolled: 1-line block ×3, first 2 shown]
	s_waitcnt vmcnt(0)
	s_barrier
	s_and_saveexec_b64 s[16:17], s[12:13]
	s_cbranch_execz .LBB1865_12
; %bb.11:                               ;   in Loop: Header=BB1865_4 Depth=1
	v_mov_b32_e32 v2, s7
	v_add_co_u32_e32 v4, vcc, s6, v22
	v_addc_co_u32_e32 v5, vcc, v23, v2, vcc
	global_load_dwordx2 v[4:5], v[4:5], off
	s_waitcnt vmcnt(0)
	v_xor_b32_e32 v5, 0x80000000, v5
.LBB1865_12:                            ;   in Loop: Header=BB1865_4 Depth=1
	s_or_b64 exec, exec, s[16:17]
	v_mov_b32_e32 v2, 0
	ds_write_b64 v13, v[4:5]
	s_and_saveexec_b64 s[12:13], s[14:15]
	s_cbranch_execz .LBB1865_14
; %bb.13:                               ;   in Loop: Header=BB1865_4 Depth=1
	v_mov_b32_e32 v3, s7
	v_add_co_u32_e32 v2, vcc, s6, v16
	v_addc_co_u32_e32 v3, vcc, v17, v3, vcc
	global_load_dwordx2 v[2:3], v[2:3], off offset:-4
.LBB1865_14:                            ;   in Loop: Header=BB1865_4 Depth=1
	s_or_b64 exec, exec, s[12:13]
	s_waitcnt vmcnt(0)
	ds_write_b64 v15, v[2:3]
	s_waitcnt lgkmcnt(0)
	s_barrier
	s_and_saveexec_b64 s[12:13], s[4:5]
	s_cbranch_execz .LBB1865_3
; %bb.15:                               ;   in Loop: Header=BB1865_4 Depth=1
	ds_read2_b64 v[2:5], v14 offset1:32
	ds_read_b128 v[6:9], v12
	ds_read_b128 v[27:30], v12 offset:16
	s_waitcnt lgkmcnt(1)
	v_mul_f32_e32 v31, v3, v7
	v_mul_f32_e32 v35, v2, v7
	v_fma_f32 v36, v2, v6, -v31
	v_mul_f32_e32 v2, v5, v9
	v_mul_f32_e32 v38, v4, v9
	v_fmac_f32_e32 v35, v3, v6
	v_fma_f32 v37, v4, v8, -v2
	v_fmac_f32_e32 v38, v5, v8
	ds_read_b128 v[2:5], v12 offset:32
	ds_read_b128 v[6:9], v12 offset:48
	ds_read2_b64 v[31:34], v14 offset0:64 offset1:96
	v_add_f32_e32 v36, 0, v36
	v_add_f32_e32 v36, v36, v37
	v_add_f32_e32 v35, 0, v35
	v_add_f32_e32 v35, v35, v38
	s_waitcnt lgkmcnt(0)
	v_mul_f32_e32 v37, v32, v28
	v_fma_f32 v37, v31, v27, -v37
	v_mul_f32_e32 v31, v31, v28
	v_fmac_f32_e32 v31, v32, v27
	v_mul_f32_e32 v27, v34, v30
	v_fma_f32 v32, v33, v29, -v27
	v_mul_f32_e32 v33, v33, v30
	v_fmac_f32_e32 v33, v34, v29
	ds_read2_b64 v[27:30], v14 offset0:128 offset1:160
	v_add_f32_e32 v31, v35, v31
	v_add_f32_e32 v34, v36, v37
	;; [unrolled: 1-line block ×4, first 2 shown]
	s_waitcnt lgkmcnt(0)
	v_mul_f32_e32 v33, v28, v3
	v_mul_f32_e32 v3, v27, v3
	v_fma_f32 v33, v27, v2, -v33
	v_fmac_f32_e32 v3, v28, v2
	v_add_f32_e32 v2, v32, v33
	v_add_f32_e32 v3, v31, v3
	ds_read2_b64 v[31:34], v14 offset0:192 offset1:224
	v_mul_f32_e32 v27, v30, v5
	v_mul_f32_e32 v5, v29, v5
	v_fma_f32 v27, v29, v4, -v27
	v_fmac_f32_e32 v5, v30, v4
	s_waitcnt lgkmcnt(0)
	v_mul_f32_e32 v4, v32, v7
	v_add_f32_e32 v2, v2, v27
	v_add_f32_e32 v3, v3, v5
	v_fma_f32 v4, v31, v6, -v4
	v_mul_f32_e32 v5, v31, v7
	v_fmac_f32_e32 v5, v32, v6
	v_add_f32_e32 v6, v2, v4
	v_mul_f32_e32 v2, v34, v9
	v_add_f32_e32 v7, v3, v5
	v_fma_f32 v31, v33, v8, -v2
	ds_read_b128 v[2:5], v12 offset:64
	ds_read2_b64 v[27:30], v26 offset1:32
	v_mul_f32_e32 v9, v33, v9
	v_fmac_f32_e32 v9, v34, v8
	v_add_f32_e32 v31, v6, v31
	v_add_f32_e32 v32, v7, v9
	s_waitcnt lgkmcnt(0)
	v_mul_f32_e32 v33, v28, v3
	v_mul_f32_e32 v3, v27, v3
	v_fma_f32 v33, v27, v2, -v33
	v_fmac_f32_e32 v3, v28, v2
	ds_read_b128 v[6:9], v12 offset:80
	v_add_f32_e32 v2, v31, v33
	v_add_f32_e32 v3, v32, v3
	ds_read2_b64 v[31:34], v26 offset0:64 offset1:96
	v_mul_f32_e32 v27, v30, v5
	v_mul_f32_e32 v5, v29, v5
	v_fma_f32 v27, v29, v4, -v27
	v_fmac_f32_e32 v5, v30, v4
	s_waitcnt lgkmcnt(0)
	v_mul_f32_e32 v4, v32, v7
	v_add_f32_e32 v2, v2, v27
	v_add_f32_e32 v3, v3, v5
	v_fma_f32 v4, v31, v6, -v4
	v_mul_f32_e32 v5, v31, v7
	v_fmac_f32_e32 v5, v32, v6
	v_add_f32_e32 v6, v2, v4
	v_mul_f32_e32 v2, v34, v9
	v_add_f32_e32 v7, v3, v5
	v_fma_f32 v31, v33, v8, -v2
	ds_read_b128 v[2:5], v12 offset:96
	ds_read2_b64 v[27:30], v26 offset0:128 offset1:160
	v_mul_f32_e32 v9, v33, v9
	v_fmac_f32_e32 v9, v34, v8
	v_add_f32_e32 v31, v6, v31
	v_add_f32_e32 v32, v7, v9
	s_waitcnt lgkmcnt(0)
	v_mul_f32_e32 v33, v28, v3
	v_mul_f32_e32 v3, v27, v3
	v_fma_f32 v33, v27, v2, -v33
	v_fmac_f32_e32 v3, v28, v2
	ds_read_b128 v[6:9], v12 offset:112
	v_add_f32_e32 v2, v31, v33
	v_add_f32_e32 v3, v32, v3
	ds_read2_b64 v[31:34], v26 offset0:192 offset1:224
	v_mul_f32_e32 v27, v30, v5
	v_mul_f32_e32 v5, v29, v5
	v_fma_f32 v27, v29, v4, -v27
	v_fmac_f32_e32 v5, v30, v4
	s_waitcnt lgkmcnt(0)
	v_mul_f32_e32 v4, v32, v7
	v_add_f32_e32 v2, v2, v27
	v_add_f32_e32 v3, v3, v5
	v_fma_f32 v4, v31, v6, -v4
	v_mul_f32_e32 v5, v31, v7
	v_fmac_f32_e32 v5, v32, v6
	v_add_f32_e32 v6, v2, v4
	v_mul_f32_e32 v2, v34, v9
	v_add_f32_e32 v7, v3, v5
	v_fma_f32 v30, v33, v8, -v2
	ds_read_b128 v[2:5], v12 offset:128
	ds_read2_b64 v[26:29], v25 offset1:32
	v_mul_f32_e32 v9, v33, v9
	v_fmac_f32_e32 v9, v34, v8
	v_add_f32_e32 v6, v6, v30
	ds_read_b128 v[30:33], v12 offset:144
	ds_read2_b64 v[34:37], v25 offset0:64 offset1:96
	s_waitcnt lgkmcnt(2)
	v_mul_f32_e32 v8, v27, v3
	v_fma_f32 v8, v26, v2, -v8
	v_mul_f32_e32 v3, v26, v3
	v_add_f32_e32 v7, v7, v9
	v_fmac_f32_e32 v3, v27, v2
	v_add_f32_e32 v2, v6, v8
	v_mul_f32_e32 v6, v29, v5
	v_mul_f32_e32 v5, v28, v5
	v_add_f32_e32 v3, v7, v3
	v_fma_f32 v6, v28, v4, -v6
	v_fmac_f32_e32 v5, v29, v4
	s_waitcnt lgkmcnt(0)
	v_mul_f32_e32 v4, v35, v31
	v_add_f32_e32 v2, v2, v6
	v_add_f32_e32 v3, v3, v5
	v_fma_f32 v4, v34, v30, -v4
	v_mul_f32_e32 v5, v34, v31
	v_fmac_f32_e32 v5, v35, v30
	v_add_f32_e32 v26, v2, v4
	v_mul_f32_e32 v2, v37, v33
	v_add_f32_e32 v27, v3, v5
	v_fma_f32 v28, v36, v32, -v2
	ds_read_b128 v[2:5], v12 offset:160
	ds_read2_b64 v[6:9], v25 offset0:128 offset1:160
	global_load_dwordx2 v[34:35], v[10:11], off
	v_mul_f32_e32 v29, v36, v33
	v_fmac_f32_e32 v29, v37, v32
	v_add_f32_e32 v30, v26, v28
	s_waitcnt lgkmcnt(0)
	v_mul_f32_e32 v32, v7, v3
	v_mul_f32_e32 v3, v6, v3
	v_add_f32_e32 v31, v27, v29
	v_fma_f32 v32, v6, v2, -v32
	v_fmac_f32_e32 v3, v7, v2
	ds_read_b128 v[26:29], v12 offset:176
	v_add_f32_e32 v2, v30, v32
	v_add_f32_e32 v3, v31, v3
	ds_read2_b64 v[30:33], v25 offset0:192 offset1:224
	v_mul_f32_e32 v6, v9, v5
	v_mul_f32_e32 v5, v8, v5
	v_fma_f32 v6, v8, v4, -v6
	v_fmac_f32_e32 v5, v9, v4
	s_waitcnt lgkmcnt(0)
	v_mul_f32_e32 v4, v31, v27
	v_add_f32_e32 v2, v2, v6
	v_add_f32_e32 v3, v3, v5
	v_fma_f32 v4, v30, v26, -v4
	v_mul_f32_e32 v5, v30, v27
	v_fmac_f32_e32 v5, v31, v26
	v_add_f32_e32 v25, v2, v4
	v_mul_f32_e32 v2, v33, v29
	v_add_f32_e32 v26, v3, v5
	v_fma_f32 v27, v32, v28, -v2
	ds_read_b128 v[2:5], v12 offset:192
	ds_read2_b64 v[6:9], v24 offset1:32
	v_mul_f32_e32 v29, v32, v29
	v_fmac_f32_e32 v29, v33, v28
	v_add_f32_e32 v30, v25, v27
	v_add_f32_e32 v29, v26, v29
	s_waitcnt lgkmcnt(0)
	v_mul_f32_e32 v31, v7, v3
	v_mul_f32_e32 v3, v6, v3
	v_fma_f32 v31, v6, v2, -v31
	v_fmac_f32_e32 v3, v7, v2
	ds_read_b128 v[25:28], v12 offset:208
	v_add_f32_e32 v2, v30, v31
	v_add_f32_e32 v3, v29, v3
	ds_read2_b64 v[29:32], v24 offset0:64 offset1:96
	v_mul_f32_e32 v6, v9, v5
	v_mul_f32_e32 v5, v8, v5
	v_fma_f32 v6, v8, v4, -v6
	v_fmac_f32_e32 v5, v9, v4
	s_waitcnt lgkmcnt(0)
	v_mul_f32_e32 v4, v30, v26
	v_add_f32_e32 v2, v2, v6
	v_add_f32_e32 v3, v3, v5
	v_fma_f32 v4, v29, v25, -v4
	v_mul_f32_e32 v5, v29, v26
	v_fmac_f32_e32 v5, v30, v25
	v_add_f32_e32 v25, v2, v4
	v_mul_f32_e32 v2, v32, v28
	v_add_f32_e32 v26, v3, v5
	v_fma_f32 v29, v31, v27, -v2
	ds_read_b128 v[2:5], v12 offset:224
	ds_read2_b64 v[6:9], v24 offset0:128 offset1:160
	v_mul_f32_e32 v28, v31, v28
	v_fmac_f32_e32 v28, v32, v27
	v_add_f32_e32 v29, v25, v29
	v_add_f32_e32 v30, v26, v28
	s_waitcnt lgkmcnt(0)
	v_mul_f32_e32 v31, v7, v3
	v_mul_f32_e32 v3, v6, v3
	v_fma_f32 v31, v6, v2, -v31
	v_fmac_f32_e32 v3, v7, v2
	ds_read_b128 v[25:28], v12 offset:240
	v_add_f32_e32 v2, v29, v31
	v_add_f32_e32 v3, v30, v3
	ds_read2_b64 v[29:32], v24 offset0:192 offset1:224
	v_mul_f32_e32 v6, v9, v5
	v_mul_f32_e32 v5, v8, v5
	v_fma_f32 v6, v8, v4, -v6
	v_fmac_f32_e32 v5, v9, v4
	s_waitcnt lgkmcnt(0)
	v_mul_f32_e32 v4, v30, v26
	v_add_f32_e32 v2, v2, v6
	v_add_f32_e32 v3, v3, v5
	v_fma_f32 v4, v29, v25, -v4
	v_mul_f32_e32 v5, v29, v26
	v_fmac_f32_e32 v5, v30, v25
	v_add_f32_e32 v2, v2, v4
	v_mul_f32_e32 v4, v32, v28
	v_add_f32_e32 v3, v3, v5
	v_fma_f32 v4, v31, v27, -v4
	v_mul_f32_e32 v5, v31, v28
	v_fmac_f32_e32 v5, v32, v27
	v_add_f32_e32 v2, v2, v4
	v_add_f32_e32 v3, v3, v5
	v_mul_f32_e32 v4, s10, v2
	v_mul_f32_e32 v2, s11, v2
	v_fmac_f32_e32 v4, s11, v3
	v_fma_f32 v3, s10, v3, -v2
	s_waitcnt vmcnt(0)
	v_add_f32_e32 v2, v34, v4
	v_add_f32_e32 v3, v35, v3
	global_store_dwordx2 v[10:11], v[2:3], off
	s_branch .LBB1865_3
.LBB1865_16:
	s_endpgm
	.section	.rodata,"a",@progbits
	.p2align	6, 0x0
	.amdhsa_kernel _ZL26rocblas_syr2k_her2k_kernelIlLb1ELb1ELb1ELi32E19rocblas_complex_numIfEPKS1_PS1_EvbiT_T4_T5_S5_lS7_S5_lT6_S5_li
		.amdhsa_group_segment_fixed_size 16384
		.amdhsa_private_segment_fixed_size 0
		.amdhsa_kernarg_size 100
		.amdhsa_user_sgpr_count 6
		.amdhsa_user_sgpr_private_segment_buffer 1
		.amdhsa_user_sgpr_dispatch_ptr 0
		.amdhsa_user_sgpr_queue_ptr 0
		.amdhsa_user_sgpr_kernarg_segment_ptr 1
		.amdhsa_user_sgpr_dispatch_id 0
		.amdhsa_user_sgpr_flat_scratch_init 0
		.amdhsa_user_sgpr_private_segment_size 0
		.amdhsa_uses_dynamic_stack 0
		.amdhsa_system_sgpr_private_segment_wavefront_offset 0
		.amdhsa_system_sgpr_workgroup_id_x 1
		.amdhsa_system_sgpr_workgroup_id_y 1
		.amdhsa_system_sgpr_workgroup_id_z 1
		.amdhsa_system_sgpr_workgroup_info 0
		.amdhsa_system_vgpr_workitem_id 1
		.amdhsa_next_free_vgpr 40
		.amdhsa_next_free_sgpr 61
		.amdhsa_reserve_vcc 1
		.amdhsa_reserve_flat_scratch 0
		.amdhsa_float_round_mode_32 0
		.amdhsa_float_round_mode_16_64 0
		.amdhsa_float_denorm_mode_32 3
		.amdhsa_float_denorm_mode_16_64 3
		.amdhsa_dx10_clamp 1
		.amdhsa_ieee_mode 1
		.amdhsa_fp16_overflow 0
		.amdhsa_exception_fp_ieee_invalid_op 0
		.amdhsa_exception_fp_denorm_src 0
		.amdhsa_exception_fp_ieee_div_zero 0
		.amdhsa_exception_fp_ieee_overflow 0
		.amdhsa_exception_fp_ieee_underflow 0
		.amdhsa_exception_fp_ieee_inexact 0
		.amdhsa_exception_int_div_zero 0
	.end_amdhsa_kernel
	.section	.text._ZL26rocblas_syr2k_her2k_kernelIlLb1ELb1ELb1ELi32E19rocblas_complex_numIfEPKS1_PS1_EvbiT_T4_T5_S5_lS7_S5_lT6_S5_li,"axG",@progbits,_ZL26rocblas_syr2k_her2k_kernelIlLb1ELb1ELb1ELi32E19rocblas_complex_numIfEPKS1_PS1_EvbiT_T4_T5_S5_lS7_S5_lT6_S5_li,comdat
.Lfunc_end1865:
	.size	_ZL26rocblas_syr2k_her2k_kernelIlLb1ELb1ELb1ELi32E19rocblas_complex_numIfEPKS1_PS1_EvbiT_T4_T5_S5_lS7_S5_lT6_S5_li, .Lfunc_end1865-_ZL26rocblas_syr2k_her2k_kernelIlLb1ELb1ELb1ELi32E19rocblas_complex_numIfEPKS1_PS1_EvbiT_T4_T5_S5_lS7_S5_lT6_S5_li
                                        ; -- End function
	.set _ZL26rocblas_syr2k_her2k_kernelIlLb1ELb1ELb1ELi32E19rocblas_complex_numIfEPKS1_PS1_EvbiT_T4_T5_S5_lS7_S5_lT6_S5_li.num_vgpr, 40
	.set _ZL26rocblas_syr2k_her2k_kernelIlLb1ELb1ELb1ELi32E19rocblas_complex_numIfEPKS1_PS1_EvbiT_T4_T5_S5_lS7_S5_lT6_S5_li.num_agpr, 0
	.set _ZL26rocblas_syr2k_her2k_kernelIlLb1ELb1ELb1ELi32E19rocblas_complex_numIfEPKS1_PS1_EvbiT_T4_T5_S5_lS7_S5_lT6_S5_li.numbered_sgpr, 32
	.set _ZL26rocblas_syr2k_her2k_kernelIlLb1ELb1ELb1ELi32E19rocblas_complex_numIfEPKS1_PS1_EvbiT_T4_T5_S5_lS7_S5_lT6_S5_li.num_named_barrier, 0
	.set _ZL26rocblas_syr2k_her2k_kernelIlLb1ELb1ELb1ELi32E19rocblas_complex_numIfEPKS1_PS1_EvbiT_T4_T5_S5_lS7_S5_lT6_S5_li.private_seg_size, 0
	.set _ZL26rocblas_syr2k_her2k_kernelIlLb1ELb1ELb1ELi32E19rocblas_complex_numIfEPKS1_PS1_EvbiT_T4_T5_S5_lS7_S5_lT6_S5_li.uses_vcc, 1
	.set _ZL26rocblas_syr2k_her2k_kernelIlLb1ELb1ELb1ELi32E19rocblas_complex_numIfEPKS1_PS1_EvbiT_T4_T5_S5_lS7_S5_lT6_S5_li.uses_flat_scratch, 0
	.set _ZL26rocblas_syr2k_her2k_kernelIlLb1ELb1ELb1ELi32E19rocblas_complex_numIfEPKS1_PS1_EvbiT_T4_T5_S5_lS7_S5_lT6_S5_li.has_dyn_sized_stack, 0
	.set _ZL26rocblas_syr2k_her2k_kernelIlLb1ELb1ELb1ELi32E19rocblas_complex_numIfEPKS1_PS1_EvbiT_T4_T5_S5_lS7_S5_lT6_S5_li.has_recursion, 0
	.set _ZL26rocblas_syr2k_her2k_kernelIlLb1ELb1ELb1ELi32E19rocblas_complex_numIfEPKS1_PS1_EvbiT_T4_T5_S5_lS7_S5_lT6_S5_li.has_indirect_call, 0
	.section	.AMDGPU.csdata,"",@progbits
; Kernel info:
; codeLenInByte = 3560
; TotalNumSgprs: 36
; NumVgprs: 40
; ScratchSize: 0
; MemoryBound: 0
; FloatMode: 240
; IeeeMode: 1
; LDSByteSize: 16384 bytes/workgroup (compile time only)
; SGPRBlocks: 8
; VGPRBlocks: 9
; NumSGPRsForWavesPerEU: 65
; NumVGPRsForWavesPerEU: 40
; Occupancy: 6
; WaveLimiterHint : 0
; COMPUTE_PGM_RSRC2:SCRATCH_EN: 0
; COMPUTE_PGM_RSRC2:USER_SGPR: 6
; COMPUTE_PGM_RSRC2:TRAP_HANDLER: 0
; COMPUTE_PGM_RSRC2:TGID_X_EN: 1
; COMPUTE_PGM_RSRC2:TGID_Y_EN: 1
; COMPUTE_PGM_RSRC2:TGID_Z_EN: 1
; COMPUTE_PGM_RSRC2:TIDIG_COMP_CNT: 1
	.section	.text._ZL26rocblas_syr2k_her2k_kernelIlLb1ELb1ELb0ELi32EPK19rocblas_complex_numIfES3_PS1_EvbiT_T4_T5_S5_lS7_S5_lT6_S5_li,"axG",@progbits,_ZL26rocblas_syr2k_her2k_kernelIlLb1ELb1ELb0ELi32EPK19rocblas_complex_numIfES3_PS1_EvbiT_T4_T5_S5_lS7_S5_lT6_S5_li,comdat
	.globl	_ZL26rocblas_syr2k_her2k_kernelIlLb1ELb1ELb0ELi32EPK19rocblas_complex_numIfES3_PS1_EvbiT_T4_T5_S5_lS7_S5_lT6_S5_li ; -- Begin function _ZL26rocblas_syr2k_her2k_kernelIlLb1ELb1ELb0ELi32EPK19rocblas_complex_numIfES3_PS1_EvbiT_T4_T5_S5_lS7_S5_lT6_S5_li
	.p2align	8
	.type	_ZL26rocblas_syr2k_her2k_kernelIlLb1ELb1ELb0ELi32EPK19rocblas_complex_numIfES3_PS1_EvbiT_T4_T5_S5_lS7_S5_lT6_S5_li,@function
_ZL26rocblas_syr2k_her2k_kernelIlLb1ELb1ELb0ELi32EPK19rocblas_complex_numIfES3_PS1_EvbiT_T4_T5_S5_lS7_S5_lT6_S5_li: ; @_ZL26rocblas_syr2k_her2k_kernelIlLb1ELb1ELb0ELi32EPK19rocblas_complex_numIfES3_PS1_EvbiT_T4_T5_S5_lS7_S5_lT6_S5_li
; %bb.0:
	s_load_dwordx16 s[12:27], s[4:5], 0x8
	s_waitcnt lgkmcnt(0)
	s_load_dwordx2 s[10:11], s[14:15], 0x0
	s_waitcnt lgkmcnt(0)
	v_cmp_eq_f32_e64 s[0:1], s10, 0
	v_cmp_eq_f32_e64 s[2:3], s11, 0
	s_and_b64 s[0:1], s[0:1], s[2:3]
	s_and_b64 vcc, exec, s[0:1]
	s_cbranch_vccnz .LBB1866_16
; %bb.1:
	s_load_dwordx2 s[14:15], s[4:5], 0x0
	s_lshl_b32 s3, s7, 5
	s_lshl_b32 s2, s6, 5
	s_waitcnt lgkmcnt(0)
	s_and_b32 s0, 1, s14
	s_cmp_eq_u32 s0, 1
	s_cselect_b64 s[0:1], -1, 0
	s_and_b64 s[6:7], s[0:1], exec
	s_cselect_b32 s6, s2, s3
	s_cselect_b32 s7, s3, s2
	s_cmp_gt_i32 s6, s7
	v_cmp_lt_i64_e64 s[6:7], s[12:13], 1
	s_cselect_b64 s[28:29], -1, 0
	s_or_b64 s[6:7], s[28:29], s[6:7]
	s_and_b64 vcc, exec, s[6:7]
	s_cbranch_vccnz .LBB1866_16
; %bb.2:
	s_load_dwordx2 s[6:7], s[4:5], 0x58
	s_load_dwordx4 s[28:31], s[4:5], 0x48
	v_add_u32_e32 v2, s3, v1
	v_lshlrev_b32_e32 v18, 8, v0
	v_lshlrev_b32_e32 v6, 3, v1
	s_waitcnt lgkmcnt(0)
	s_mul_i32 s3, s7, s8
	s_mul_hi_u32 s5, s6, s8
	s_mul_i32 s4, s6, s8
	s_add_i32 s5, s5, s3
	s_lshl_b64 s[4:5], s[4:5], 3
	s_add_u32 s9, s28, s4
	v_add_u32_e32 v19, v18, v6
	v_or_b32_e32 v20, 0x2000, v6
	v_ashrrev_i32_e32 v6, 31, v2
	s_addc_u32 s14, s29, s5
	v_mul_lo_u32 v11, s30, v6
	v_mul_lo_u32 v12, s31, v2
	v_mad_u64_u32 v[6:7], s[4:5], s30, v2, 0
	v_add_u32_e32 v4, s2, v0
	v_cndmask_b32_e64 v8, v4, v2, s[0:1]
	v_add3_u32 v7, v7, v11, v12
	v_cndmask_b32_e64 v9, v2, v4, s[0:1]
	v_max_i32_e32 v10, v4, v2
	v_lshlrev_b64 v[6:7], 3, v[6:7]
	v_cmp_gt_i32_e32 vcc, s15, v10
	v_cmp_le_i32_e64 s[4:5], v9, v8
	s_and_b64 s[6:7], s[4:5], vcc
	v_ashrrev_i32_e32 v9, 31, v4
	v_mov_b32_e32 v8, v4
	v_mov_b32_e32 v10, s14
	v_add_co_u32_e32 v11, vcc, s9, v6
	v_addc_co_u32_e32 v12, vcc, v10, v7, vcc
	v_lshlrev_b64 v[6:7], 3, v[8:9]
	v_mov_b32_e32 v5, 0
	v_add_co_u32_e32 v10, vcc, v11, v6
	v_addc_co_u32_e32 v11, vcc, v12, v7, vcc
	v_mad_u64_u32 v[6:7], s[4:5], s18, v0, 0
	s_ashr_i32 s3, s15, 31
	s_mov_b32 s2, s15
	v_mov_b32_e32 v3, v5
	v_cmp_gt_i64_e64 s[0:1], s[2:3], v[4:5]
	v_cmp_gt_i64_e64 s[2:3], s[2:3], v[2:3]
	v_lshlrev_b64 v[12:13], 3, v[2:3]
	v_mov_b32_e32 v2, v7
	v_mad_u64_u32 v[2:3], s[4:5], s19, v0, v[2:3]
	s_mul_i32 s9, s21, s8
	s_mul_hi_u32 s14, s20, s8
	s_add_i32 s5, s14, s9
	s_mul_i32 s4, s20, s8
	s_lshl_b64 s[4:5], s[4:5], 3
	v_mov_b32_e32 v7, v2
	v_lshlrev_b64 v[2:3], 3, v[6:7]
	s_add_u32 s9, s16, s4
	s_addc_u32 s14, s17, s5
	v_mov_b32_e32 v6, s14
	v_add_co_u32_e32 v22, vcc, s9, v2
	v_addc_co_u32_e32 v23, vcc, v6, v3, vcc
	v_mad_u64_u32 v[2:3], s[14:15], s24, v0, 0
	s_mul_i32 s9, s27, s8
	s_mul_hi_u32 s27, s26, s8
	v_mad_u64_u32 v[6:7], s[20:21], s25, v0, v[3:4]
	s_add_i32 s9, s27, s9
	s_mul_i32 s8, s26, s8
	s_lshl_b64 s[20:21], s[8:9], 3
	v_mov_b32_e32 v3, v6
	v_mad_u64_u32 v[6:7], s[8:9], s24, v1, 0
	s_lshl_b64 s[14:15], s[18:19], 8
	s_add_u32 s26, s22, s20
	s_addc_u32 s8, s23, s21
	v_mov_b32_e32 v9, s8
	v_mad_u64_u32 v[7:8], s[8:9], s25, v1, v[7:8]
	v_lshlrev_b64 v[2:3], 3, v[2:3]
	v_mov_b32_e32 v8, s23
	v_add_co_u32_e32 v24, vcc, s26, v2
	v_addc_co_u32_e32 v25, vcc, v9, v3, vcc
	v_lshlrev_b64 v[2:3], 3, v[6:7]
	v_mov_b32_e32 v6, s21
	v_add_co_u32_e32 v7, vcc, s20, v2
	v_addc_co_u32_e32 v6, vcc, v6, v3, vcc
	v_lshlrev_b64 v[2:3], 3, v[4:5]
	v_mad_u64_u32 v[4:5], s[20:21], s18, v1, 0
	v_add_co_u32_e32 v7, vcc, v7, v2
	v_addc_co_u32_e32 v6, vcc, v6, v3, vcc
	v_add_co_u32_e32 v7, vcc, s22, v7
	v_addc_co_u32_e32 v8, vcc, v8, v6, vcc
	v_mad_u64_u32 v[5:6], s[18:19], s19, v1, v[5:6]
	v_add_co_u32_e32 v14, vcc, 4, v7
	v_lshlrev_b64 v[4:5], 3, v[4:5]
	v_addc_co_u32_e32 v15, vcc, 0, v8, vcc
	v_mov_b32_e32 v6, s5
	v_add_co_u32_e32 v4, vcc, s4, v4
	v_addc_co_u32_e32 v5, vcc, v6, v5, vcc
	v_add_co_u32_e32 v2, vcc, v4, v2
	v_addc_co_u32_e32 v3, vcc, v5, v3, vcc
	v_mov_b32_e32 v4, s17
	v_add_co_u32_e32 v2, vcc, s16, v2
	v_addc_co_u32_e32 v3, vcc, v4, v3, vcc
	v_add_co_u32_e32 v16, vcc, 4, v2
	v_add_u32_e32 v21, v20, v18
	s_lshl_b64 s[8:9], s[24:25], 8
	v_addc_co_u32_e32 v17, vcc, 0, v3, vcc
	s_mov_b64 s[16:17], 0
	s_branch .LBB1866_4
.LBB1866_3:                             ;   in Loop: Header=BB1866_4 Depth=1
	s_or_b64 exec, exec, s[4:5]
	v_mov_b32_e32 v4, s15
	v_add_co_u32_e32 v22, vcc, s14, v22
	v_addc_co_u32_e32 v23, vcc, v23, v4, vcc
	v_mov_b32_e32 v2, s9
	v_add_co_u32_e32 v24, vcc, s8, v24
	v_addc_co_u32_e32 v25, vcc, v25, v2, vcc
	v_add_co_u32_e32 v14, vcc, s8, v14
	s_add_u32 s16, s16, 32
	v_addc_co_u32_e32 v15, vcc, v15, v2, vcc
	v_mov_b32_e32 v2, s12
	s_addc_u32 s17, s17, 0
	v_mov_b32_e32 v3, s13
	v_cmp_lt_i64_e32 vcc, s[16:17], v[2:3]
	v_add_co_u32_e64 v16, s[4:5], s14, v16
	v_addc_co_u32_e64 v17, s[4:5], v17, v4, s[4:5]
	s_waitcnt vmcnt(0)
	s_barrier
	s_cbranch_vccz .LBB1866_16
.LBB1866_4:                             ; =>This Inner Loop Header: Depth=1
	v_mov_b32_e32 v3, s17
	v_add_co_u32_e32 v2, vcc, s16, v1
	v_addc_co_u32_e32 v3, vcc, 0, v3, vcc
	v_cmp_gt_i64_e32 vcc, s[12:13], v[2:3]
	v_mov_b32_e32 v2, 0
	s_and_b64 s[4:5], s[0:1], vcc
	v_mov_b32_e32 v3, 0
	s_and_saveexec_b64 s[18:19], s[4:5]
	s_cbranch_execz .LBB1866_6
; %bb.5:                                ;   in Loop: Header=BB1866_4 Depth=1
	global_load_dwordx2 v[2:3], v[16:17], off offset:-4
.LBB1866_6:                             ;   in Loop: Header=BB1866_4 Depth=1
	s_or_b64 exec, exec, s[18:19]
	v_mov_b32_e32 v5, s17
	v_add_co_u32_e32 v4, vcc, s16, v0
	v_addc_co_u32_e32 v5, vcc, 0, v5, vcc
	v_cmp_gt_i64_e32 vcc, s[12:13], v[4:5]
	s_waitcnt vmcnt(0)
	ds_write_b64 v19, v[2:3]
	s_and_b64 s[18:19], s[2:3], vcc
	v_mov_b32_e32 v3, 0
	v_mov_b32_e32 v2, 0
	s_and_saveexec_b64 s[20:21], s[18:19]
	s_cbranch_execz .LBB1866_8
; %bb.7:                                ;   in Loop: Header=BB1866_4 Depth=1
	v_add_co_u32_e32 v2, vcc, v24, v12
	v_addc_co_u32_e32 v3, vcc, v25, v13, vcc
	global_load_dwordx2 v[2:3], v[2:3], off
	s_waitcnt vmcnt(0)
	v_xor_b32_e32 v3, 0x80000000, v3
.LBB1866_8:                             ;   in Loop: Header=BB1866_4 Depth=1
	s_or_b64 exec, exec, s[20:21]
	v_add_u32_e32 v28, 0x800, v20
	v_add_u32_e32 v27, 0x1000, v20
	;; [unrolled: 1-line block ×3, first 2 shown]
	ds_write_b64 v21, v[2:3]
	s_waitcnt lgkmcnt(0)
	s_barrier
	s_and_saveexec_b64 s[20:21], s[6:7]
	s_cbranch_execz .LBB1866_10
; %bb.9:                                ;   in Loop: Header=BB1866_4 Depth=1
	ds_read2_b64 v[2:5], v20 offset1:32
	ds_read_b128 v[6:9], v18
	ds_read_b128 v[29:32], v18 offset:16
	s_waitcnt lgkmcnt(1)
	v_mul_f32_e32 v33, v3, v7
	v_fma_f32 v38, v2, v6, -v33
	ds_read2_b64 v[33:36], v20 offset0:64 offset1:96
	v_mul_f32_e32 v37, v2, v7
	v_mul_f32_e32 v2, v5, v9
	v_fma_f32 v39, v4, v8, -v2
	v_fmac_f32_e32 v37, v3, v6
	s_waitcnt lgkmcnt(0)
	v_mul_f32_e32 v2, v34, v30
	v_mul_f32_e32 v40, v4, v9
	v_fma_f32 v41, v33, v29, -v2
	v_mul_f32_e32 v33, v33, v30
	v_mul_f32_e32 v2, v36, v32
	v_fmac_f32_e32 v40, v5, v8
	v_fmac_f32_e32 v33, v34, v29
	v_fma_f32 v34, v35, v31, -v2
	v_mul_f32_e32 v35, v35, v32
	v_add_f32_e32 v29, 0, v38
	v_add_f32_e32 v30, 0, v37
	v_fmac_f32_e32 v35, v36, v31
	ds_read_b128 v[2:5], v18 offset:32
	ds_read_b128 v[6:9], v18 offset:48
	v_add_f32_e32 v36, v29, v39
	v_add_f32_e32 v37, v30, v40
	ds_read2_b64 v[29:32], v20 offset0:128 offset1:160
	v_add_f32_e32 v33, v37, v33
	v_add_f32_e32 v36, v36, v41
	;; [unrolled: 1-line block ×4, first 2 shown]
	s_waitcnt lgkmcnt(0)
	v_mul_f32_e32 v35, v30, v3
	v_mul_f32_e32 v3, v29, v3
	v_fma_f32 v35, v29, v2, -v35
	v_fmac_f32_e32 v3, v30, v2
	v_add_f32_e32 v2, v34, v35
	v_add_f32_e32 v3, v33, v3
	ds_read2_b64 v[33:36], v20 offset0:192 offset1:224
	v_mul_f32_e32 v29, v32, v5
	v_mul_f32_e32 v5, v31, v5
	v_fma_f32 v29, v31, v4, -v29
	v_fmac_f32_e32 v5, v32, v4
	s_waitcnt lgkmcnt(0)
	v_mul_f32_e32 v4, v34, v7
	v_add_f32_e32 v2, v2, v29
	v_add_f32_e32 v3, v3, v5
	v_fma_f32 v4, v33, v6, -v4
	v_mul_f32_e32 v5, v33, v7
	v_fmac_f32_e32 v5, v34, v6
	v_add_f32_e32 v6, v2, v4
	v_mul_f32_e32 v2, v36, v9
	v_add_f32_e32 v7, v3, v5
	v_fma_f32 v33, v35, v8, -v2
	ds_read_b128 v[2:5], v18 offset:64
	ds_read2_b64 v[29:32], v28 offset1:32
	v_mul_f32_e32 v9, v35, v9
	v_fmac_f32_e32 v9, v36, v8
	v_add_f32_e32 v33, v6, v33
	v_add_f32_e32 v34, v7, v9
	s_waitcnt lgkmcnt(0)
	v_mul_f32_e32 v35, v30, v3
	v_mul_f32_e32 v3, v29, v3
	v_fma_f32 v35, v29, v2, -v35
	v_fmac_f32_e32 v3, v30, v2
	ds_read_b128 v[6:9], v18 offset:80
	v_add_f32_e32 v2, v33, v35
	v_add_f32_e32 v3, v34, v3
	ds_read2_b64 v[33:36], v28 offset0:64 offset1:96
	v_mul_f32_e32 v29, v32, v5
	v_mul_f32_e32 v5, v31, v5
	v_fma_f32 v29, v31, v4, -v29
	v_fmac_f32_e32 v5, v32, v4
	s_waitcnt lgkmcnt(0)
	v_mul_f32_e32 v4, v34, v7
	v_add_f32_e32 v2, v2, v29
	v_add_f32_e32 v3, v3, v5
	v_fma_f32 v4, v33, v6, -v4
	v_mul_f32_e32 v5, v33, v7
	v_fmac_f32_e32 v5, v34, v6
	v_add_f32_e32 v6, v2, v4
	v_mul_f32_e32 v2, v36, v9
	v_add_f32_e32 v7, v3, v5
	v_fma_f32 v33, v35, v8, -v2
	ds_read_b128 v[2:5], v18 offset:96
	ds_read2_b64 v[29:32], v28 offset0:128 offset1:160
	v_mul_f32_e32 v9, v35, v9
	v_fmac_f32_e32 v9, v36, v8
	v_add_f32_e32 v33, v6, v33
	v_add_f32_e32 v34, v7, v9
	s_waitcnt lgkmcnt(0)
	v_mul_f32_e32 v35, v30, v3
	v_mul_f32_e32 v3, v29, v3
	v_fma_f32 v35, v29, v2, -v35
	v_fmac_f32_e32 v3, v30, v2
	ds_read_b128 v[6:9], v18 offset:112
	v_add_f32_e32 v2, v33, v35
	v_add_f32_e32 v3, v34, v3
	ds_read2_b64 v[33:36], v28 offset0:192 offset1:224
	v_mul_f32_e32 v29, v32, v5
	v_mul_f32_e32 v5, v31, v5
	v_fma_f32 v29, v31, v4, -v29
	v_fmac_f32_e32 v5, v32, v4
	s_waitcnt lgkmcnt(0)
	v_mul_f32_e32 v4, v34, v7
	v_add_f32_e32 v2, v2, v29
	v_add_f32_e32 v3, v3, v5
	v_fma_f32 v4, v33, v6, -v4
	v_mul_f32_e32 v5, v33, v7
	v_fmac_f32_e32 v5, v34, v6
	v_add_f32_e32 v6, v2, v4
	v_mul_f32_e32 v2, v36, v9
	v_add_f32_e32 v7, v3, v5
	v_fma_f32 v33, v35, v8, -v2
	ds_read_b128 v[2:5], v18 offset:128
	ds_read2_b64 v[29:32], v27 offset1:32
	v_mul_f32_e32 v9, v35, v9
	v_fmac_f32_e32 v9, v36, v8
	v_add_f32_e32 v6, v6, v33
	ds_read_b128 v[33:36], v18 offset:144
	ds_read2_b64 v[37:40], v27 offset0:64 offset1:96
	s_waitcnt lgkmcnt(2)
	v_mul_f32_e32 v8, v30, v3
	v_fma_f32 v8, v29, v2, -v8
	v_mul_f32_e32 v3, v29, v3
	v_add_f32_e32 v7, v7, v9
	v_fmac_f32_e32 v3, v30, v2
	v_add_f32_e32 v2, v6, v8
	v_mul_f32_e32 v6, v32, v5
	v_mul_f32_e32 v5, v31, v5
	v_add_f32_e32 v3, v7, v3
	v_fma_f32 v6, v31, v4, -v6
	v_fmac_f32_e32 v5, v32, v4
	s_waitcnt lgkmcnt(0)
	v_mul_f32_e32 v4, v38, v34
	v_add_f32_e32 v2, v2, v6
	v_add_f32_e32 v3, v3, v5
	v_fma_f32 v4, v37, v33, -v4
	v_mul_f32_e32 v5, v37, v34
	v_fmac_f32_e32 v5, v38, v33
	v_add_f32_e32 v29, v2, v4
	v_mul_f32_e32 v2, v40, v36
	v_add_f32_e32 v30, v3, v5
	v_fma_f32 v31, v39, v35, -v2
	ds_read_b128 v[2:5], v18 offset:160
	ds_read2_b64 v[6:9], v27 offset0:128 offset1:160
	v_mul_f32_e32 v32, v39, v36
	v_fmac_f32_e32 v32, v40, v35
	v_add_f32_e32 v35, v29, v31
	v_add_f32_e32 v36, v30, v32
	s_waitcnt lgkmcnt(0)
	v_mul_f32_e32 v33, v7, v3
	v_fma_f32 v37, v6, v2, -v33
	global_load_dwordx2 v[33:34], v[10:11], off
	v_mul_f32_e32 v6, v6, v3
	v_fmac_f32_e32 v6, v7, v2
	v_mul_f32_e32 v2, v9, v5
	v_fma_f32 v7, v8, v4, -v2
	v_mul_f32_e32 v8, v8, v5
	ds_read_b128 v[29:32], v18 offset:176
	v_fmac_f32_e32 v8, v9, v4
	ds_read2_b64 v[2:5], v27 offset0:192 offset1:224
	v_add_f32_e32 v6, v36, v6
	v_add_f32_e32 v9, v35, v37
	;; [unrolled: 1-line block ×4, first 2 shown]
	s_waitcnt lgkmcnt(0)
	v_mul_f32_e32 v6, v3, v30
	v_fma_f32 v6, v2, v29, -v6
	v_mul_f32_e32 v30, v2, v30
	v_mul_f32_e32 v2, v5, v32
	;; [unrolled: 1-line block ×3, first 2 shown]
	v_fmac_f32_e32 v30, v3, v29
	v_add_f32_e32 v29, v7, v6
	v_fma_f32 v36, v4, v31, -v2
	v_fmac_f32_e32 v32, v5, v31
	ds_read_b128 v[2:5], v18 offset:192
	ds_read2_b64 v[6:9], v26 offset1:32
	v_add_f32_e32 v30, v35, v30
	v_add_f32_e32 v35, v29, v36
	;; [unrolled: 1-line block ×3, first 2 shown]
	ds_read_b128 v[29:32], v18 offset:208
	s_waitcnt lgkmcnt(1)
	v_mul_f32_e32 v37, v7, v3
	v_fma_f32 v37, v6, v2, -v37
	v_mul_f32_e32 v6, v6, v3
	v_fmac_f32_e32 v6, v7, v2
	v_mul_f32_e32 v2, v9, v5
	v_fma_f32 v7, v8, v4, -v2
	v_mul_f32_e32 v8, v8, v5
	v_fmac_f32_e32 v8, v9, v4
	ds_read2_b64 v[2:5], v26 offset0:64 offset1:96
	v_add_f32_e32 v6, v36, v6
	v_add_f32_e32 v9, v35, v37
	;; [unrolled: 1-line block ×4, first 2 shown]
	s_waitcnt lgkmcnt(0)
	v_mul_f32_e32 v6, v3, v30
	v_fma_f32 v6, v2, v29, -v6
	v_mul_f32_e32 v30, v2, v30
	v_mul_f32_e32 v2, v5, v32
	;; [unrolled: 1-line block ×3, first 2 shown]
	v_fmac_f32_e32 v30, v3, v29
	v_add_f32_e32 v29, v7, v6
	v_fma_f32 v36, v4, v31, -v2
	v_fmac_f32_e32 v32, v5, v31
	ds_read_b128 v[2:5], v18 offset:224
	ds_read2_b64 v[6:9], v26 offset0:128 offset1:160
	v_add_f32_e32 v30, v35, v30
	v_add_f32_e32 v35, v29, v36
	;; [unrolled: 1-line block ×3, first 2 shown]
	ds_read_b128 v[29:32], v18 offset:240
	s_waitcnt lgkmcnt(1)
	v_mul_f32_e32 v37, v7, v3
	v_fma_f32 v37, v6, v2, -v37
	v_mul_f32_e32 v6, v6, v3
	v_fmac_f32_e32 v6, v7, v2
	v_mul_f32_e32 v2, v9, v5
	v_fma_f32 v7, v8, v4, -v2
	v_mul_f32_e32 v8, v8, v5
	v_fmac_f32_e32 v8, v9, v4
	ds_read2_b64 v[2:5], v26 offset0:192 offset1:224
	v_add_f32_e32 v6, v36, v6
	v_add_f32_e32 v6, v6, v8
	;; [unrolled: 1-line block ×4, first 2 shown]
	s_waitcnt lgkmcnt(0)
	v_mul_f32_e32 v8, v3, v30
	v_fma_f32 v8, v2, v29, -v8
	v_mul_f32_e32 v2, v2, v30
	v_fmac_f32_e32 v2, v3, v29
	v_add_f32_e32 v2, v6, v2
	v_mul_f32_e32 v6, v5, v32
	v_fma_f32 v6, v4, v31, -v6
	v_mul_f32_e32 v4, v4, v32
	v_fmac_f32_e32 v4, v5, v31
	v_add_f32_e32 v3, v7, v8
	v_add_f32_e32 v2, v2, v4
	;; [unrolled: 1-line block ×3, first 2 shown]
	v_mul_f32_e32 v4, s11, v2
	v_mul_f32_e32 v5, s10, v2
	v_fma_f32 v4, s10, v3, -v4
	v_fmac_f32_e32 v5, s11, v3
	s_waitcnt vmcnt(0)
	v_add_f32_e32 v2, v33, v4
	v_add_f32_e32 v3, v34, v5
	global_store_dwordx2 v[10:11], v[2:3], off
.LBB1866_10:                            ;   in Loop: Header=BB1866_4 Depth=1
	s_or_b64 exec, exec, s[20:21]
	v_mov_b32_e32 v3, 0
	v_mov_b32_e32 v5, 0
	;; [unrolled: 1-line block ×3, first 2 shown]
	s_waitcnt vmcnt(0)
	s_barrier
	s_and_saveexec_b64 s[20:21], s[4:5]
	s_cbranch_execz .LBB1866_12
; %bb.11:                               ;   in Loop: Header=BB1866_4 Depth=1
	global_load_dwordx2 v[4:5], v[14:15], off offset:-4
.LBB1866_12:                            ;   in Loop: Header=BB1866_4 Depth=1
	s_or_b64 exec, exec, s[20:21]
	v_mov_b32_e32 v2, 0
	s_waitcnt vmcnt(0)
	ds_write_b64 v19, v[4:5]
	s_and_saveexec_b64 s[4:5], s[18:19]
	s_cbranch_execz .LBB1866_14
; %bb.13:                               ;   in Loop: Header=BB1866_4 Depth=1
	v_add_co_u32_e32 v2, vcc, v22, v12
	v_addc_co_u32_e32 v3, vcc, v23, v13, vcc
	global_load_dwordx2 v[2:3], v[2:3], off
	s_waitcnt vmcnt(0)
	v_xor_b32_e32 v3, 0x80000000, v3
.LBB1866_14:                            ;   in Loop: Header=BB1866_4 Depth=1
	s_or_b64 exec, exec, s[4:5]
	ds_write_b64 v21, v[2:3]
	s_waitcnt lgkmcnt(0)
	s_barrier
	s_and_saveexec_b64 s[4:5], s[6:7]
	s_cbranch_execz .LBB1866_3
; %bb.15:                               ;   in Loop: Header=BB1866_4 Depth=1
	ds_read2_b64 v[2:5], v20 offset1:32
	ds_read_b128 v[6:9], v18
	ds_read_b128 v[29:32], v18 offset:16
	s_waitcnt lgkmcnt(1)
	v_mul_f32_e32 v33, v3, v7
	v_mul_f32_e32 v37, v2, v7
	v_fma_f32 v38, v2, v6, -v33
	v_mul_f32_e32 v2, v5, v9
	v_mul_f32_e32 v40, v4, v9
	v_fmac_f32_e32 v37, v3, v6
	v_fma_f32 v39, v4, v8, -v2
	v_fmac_f32_e32 v40, v5, v8
	ds_read_b128 v[2:5], v18 offset:32
	ds_read_b128 v[6:9], v18 offset:48
	ds_read2_b64 v[33:36], v20 offset0:64 offset1:96
	v_add_f32_e32 v38, 0, v38
	v_add_f32_e32 v38, v38, v39
	;; [unrolled: 1-line block ×4, first 2 shown]
	s_waitcnt lgkmcnt(0)
	v_mul_f32_e32 v39, v34, v30
	v_fma_f32 v39, v33, v29, -v39
	v_mul_f32_e32 v33, v33, v30
	v_fmac_f32_e32 v33, v34, v29
	v_mul_f32_e32 v29, v36, v32
	v_fma_f32 v34, v35, v31, -v29
	v_mul_f32_e32 v35, v35, v32
	v_fmac_f32_e32 v35, v36, v31
	ds_read2_b64 v[29:32], v20 offset0:128 offset1:160
	v_add_f32_e32 v33, v37, v33
	v_add_f32_e32 v36, v38, v39
	;; [unrolled: 1-line block ×4, first 2 shown]
	s_waitcnt lgkmcnt(0)
	v_mul_f32_e32 v35, v30, v3
	v_mul_f32_e32 v3, v29, v3
	v_fma_f32 v35, v29, v2, -v35
	v_fmac_f32_e32 v3, v30, v2
	v_add_f32_e32 v2, v34, v35
	v_add_f32_e32 v3, v33, v3
	ds_read2_b64 v[33:36], v20 offset0:192 offset1:224
	v_mul_f32_e32 v29, v32, v5
	v_mul_f32_e32 v5, v31, v5
	v_fma_f32 v29, v31, v4, -v29
	v_fmac_f32_e32 v5, v32, v4
	s_waitcnt lgkmcnt(0)
	v_mul_f32_e32 v4, v34, v7
	v_add_f32_e32 v2, v2, v29
	v_add_f32_e32 v3, v3, v5
	v_fma_f32 v4, v33, v6, -v4
	v_mul_f32_e32 v5, v33, v7
	v_fmac_f32_e32 v5, v34, v6
	v_add_f32_e32 v6, v2, v4
	v_mul_f32_e32 v2, v36, v9
	v_add_f32_e32 v7, v3, v5
	v_fma_f32 v33, v35, v8, -v2
	ds_read_b128 v[2:5], v18 offset:64
	ds_read2_b64 v[29:32], v28 offset1:32
	v_mul_f32_e32 v9, v35, v9
	v_fmac_f32_e32 v9, v36, v8
	v_add_f32_e32 v33, v6, v33
	v_add_f32_e32 v34, v7, v9
	s_waitcnt lgkmcnt(0)
	v_mul_f32_e32 v35, v30, v3
	v_mul_f32_e32 v3, v29, v3
	v_fma_f32 v35, v29, v2, -v35
	v_fmac_f32_e32 v3, v30, v2
	ds_read_b128 v[6:9], v18 offset:80
	v_add_f32_e32 v2, v33, v35
	v_add_f32_e32 v3, v34, v3
	ds_read2_b64 v[33:36], v28 offset0:64 offset1:96
	v_mul_f32_e32 v29, v32, v5
	v_mul_f32_e32 v5, v31, v5
	v_fma_f32 v29, v31, v4, -v29
	v_fmac_f32_e32 v5, v32, v4
	s_waitcnt lgkmcnt(0)
	v_mul_f32_e32 v4, v34, v7
	v_add_f32_e32 v2, v2, v29
	v_add_f32_e32 v3, v3, v5
	v_fma_f32 v4, v33, v6, -v4
	v_mul_f32_e32 v5, v33, v7
	v_fmac_f32_e32 v5, v34, v6
	v_add_f32_e32 v6, v2, v4
	v_mul_f32_e32 v2, v36, v9
	v_add_f32_e32 v7, v3, v5
	v_fma_f32 v33, v35, v8, -v2
	ds_read_b128 v[2:5], v18 offset:96
	ds_read2_b64 v[29:32], v28 offset0:128 offset1:160
	v_mul_f32_e32 v9, v35, v9
	v_fmac_f32_e32 v9, v36, v8
	v_add_f32_e32 v33, v6, v33
	v_add_f32_e32 v34, v7, v9
	s_waitcnt lgkmcnt(0)
	v_mul_f32_e32 v35, v30, v3
	v_mul_f32_e32 v3, v29, v3
	v_fma_f32 v35, v29, v2, -v35
	v_fmac_f32_e32 v3, v30, v2
	ds_read_b128 v[6:9], v18 offset:112
	v_add_f32_e32 v2, v33, v35
	v_add_f32_e32 v3, v34, v3
	ds_read2_b64 v[33:36], v28 offset0:192 offset1:224
	v_mul_f32_e32 v29, v32, v5
	v_mul_f32_e32 v5, v31, v5
	v_fma_f32 v29, v31, v4, -v29
	v_fmac_f32_e32 v5, v32, v4
	s_waitcnt lgkmcnt(0)
	v_mul_f32_e32 v4, v34, v7
	v_add_f32_e32 v2, v2, v29
	v_add_f32_e32 v3, v3, v5
	v_fma_f32 v4, v33, v6, -v4
	v_mul_f32_e32 v5, v33, v7
	v_fmac_f32_e32 v5, v34, v6
	v_add_f32_e32 v6, v2, v4
	v_mul_f32_e32 v2, v36, v9
	v_add_f32_e32 v7, v3, v5
	v_fma_f32 v32, v35, v8, -v2
	ds_read_b128 v[2:5], v18 offset:128
	ds_read2_b64 v[28:31], v27 offset1:32
	v_mul_f32_e32 v9, v35, v9
	v_fmac_f32_e32 v9, v36, v8
	v_add_f32_e32 v6, v6, v32
	ds_read_b128 v[32:35], v18 offset:144
	ds_read2_b64 v[36:39], v27 offset0:64 offset1:96
	s_waitcnt lgkmcnt(2)
	v_mul_f32_e32 v8, v29, v3
	v_fma_f32 v8, v28, v2, -v8
	v_mul_f32_e32 v3, v28, v3
	v_add_f32_e32 v7, v7, v9
	v_fmac_f32_e32 v3, v29, v2
	v_add_f32_e32 v2, v6, v8
	v_mul_f32_e32 v6, v31, v5
	v_mul_f32_e32 v5, v30, v5
	v_add_f32_e32 v3, v7, v3
	v_fma_f32 v6, v30, v4, -v6
	v_fmac_f32_e32 v5, v31, v4
	s_waitcnt lgkmcnt(0)
	v_mul_f32_e32 v4, v37, v33
	v_add_f32_e32 v2, v2, v6
	v_add_f32_e32 v3, v3, v5
	v_fma_f32 v4, v36, v32, -v4
	v_mul_f32_e32 v5, v36, v33
	v_fmac_f32_e32 v5, v37, v32
	v_add_f32_e32 v28, v2, v4
	v_mul_f32_e32 v2, v39, v35
	v_add_f32_e32 v29, v3, v5
	v_fma_f32 v30, v38, v34, -v2
	ds_read_b128 v[2:5], v18 offset:160
	ds_read2_b64 v[6:9], v27 offset0:128 offset1:160
	global_load_dwordx2 v[36:37], v[10:11], off
	v_mul_f32_e32 v31, v38, v35
	v_fmac_f32_e32 v31, v39, v34
	v_add_f32_e32 v32, v28, v30
	s_waitcnt lgkmcnt(0)
	v_mul_f32_e32 v34, v7, v3
	v_mul_f32_e32 v3, v6, v3
	v_add_f32_e32 v33, v29, v31
	v_fma_f32 v34, v6, v2, -v34
	v_fmac_f32_e32 v3, v7, v2
	ds_read_b128 v[28:31], v18 offset:176
	v_add_f32_e32 v2, v32, v34
	v_add_f32_e32 v3, v33, v3
	ds_read2_b64 v[32:35], v27 offset0:192 offset1:224
	v_mul_f32_e32 v6, v9, v5
	v_mul_f32_e32 v5, v8, v5
	v_fma_f32 v6, v8, v4, -v6
	v_fmac_f32_e32 v5, v9, v4
	s_waitcnt lgkmcnt(0)
	v_mul_f32_e32 v4, v33, v29
	v_add_f32_e32 v2, v2, v6
	v_add_f32_e32 v3, v3, v5
	v_fma_f32 v4, v32, v28, -v4
	v_mul_f32_e32 v5, v32, v29
	v_fmac_f32_e32 v5, v33, v28
	v_add_f32_e32 v27, v2, v4
	v_mul_f32_e32 v2, v35, v31
	v_add_f32_e32 v28, v3, v5
	v_fma_f32 v29, v34, v30, -v2
	ds_read_b128 v[2:5], v18 offset:192
	ds_read2_b64 v[6:9], v26 offset1:32
	v_mul_f32_e32 v31, v34, v31
	v_fmac_f32_e32 v31, v35, v30
	v_add_f32_e32 v32, v27, v29
	v_add_f32_e32 v31, v28, v31
	s_waitcnt lgkmcnt(0)
	v_mul_f32_e32 v33, v7, v3
	v_mul_f32_e32 v3, v6, v3
	v_fma_f32 v33, v6, v2, -v33
	v_fmac_f32_e32 v3, v7, v2
	ds_read_b128 v[27:30], v18 offset:208
	v_add_f32_e32 v2, v32, v33
	v_add_f32_e32 v3, v31, v3
	ds_read2_b64 v[31:34], v26 offset0:64 offset1:96
	v_mul_f32_e32 v6, v9, v5
	v_mul_f32_e32 v5, v8, v5
	v_fma_f32 v6, v8, v4, -v6
	v_fmac_f32_e32 v5, v9, v4
	s_waitcnt lgkmcnt(0)
	v_mul_f32_e32 v4, v32, v28
	v_add_f32_e32 v2, v2, v6
	v_add_f32_e32 v3, v3, v5
	v_fma_f32 v4, v31, v27, -v4
	v_mul_f32_e32 v5, v31, v28
	v_fmac_f32_e32 v5, v32, v27
	v_add_f32_e32 v27, v2, v4
	v_mul_f32_e32 v2, v34, v30
	v_add_f32_e32 v28, v3, v5
	v_fma_f32 v31, v33, v29, -v2
	ds_read_b128 v[2:5], v18 offset:224
	ds_read2_b64 v[6:9], v26 offset0:128 offset1:160
	v_mul_f32_e32 v30, v33, v30
	v_fmac_f32_e32 v30, v34, v29
	v_add_f32_e32 v31, v27, v31
	v_add_f32_e32 v32, v28, v30
	s_waitcnt lgkmcnt(0)
	v_mul_f32_e32 v33, v7, v3
	v_mul_f32_e32 v3, v6, v3
	v_fma_f32 v33, v6, v2, -v33
	v_fmac_f32_e32 v3, v7, v2
	ds_read_b128 v[27:30], v18 offset:240
	v_add_f32_e32 v2, v31, v33
	v_add_f32_e32 v3, v32, v3
	ds_read2_b64 v[31:34], v26 offset0:192 offset1:224
	v_mul_f32_e32 v6, v9, v5
	v_mul_f32_e32 v5, v8, v5
	v_fma_f32 v6, v8, v4, -v6
	v_fmac_f32_e32 v5, v9, v4
	s_waitcnt lgkmcnt(0)
	v_mul_f32_e32 v4, v32, v28
	v_add_f32_e32 v2, v2, v6
	v_add_f32_e32 v3, v3, v5
	v_fma_f32 v4, v31, v27, -v4
	v_mul_f32_e32 v5, v31, v28
	v_fmac_f32_e32 v5, v32, v27
	v_add_f32_e32 v2, v2, v4
	v_mul_f32_e32 v4, v34, v30
	v_add_f32_e32 v3, v3, v5
	v_fma_f32 v4, v33, v29, -v4
	v_mul_f32_e32 v5, v33, v30
	v_fmac_f32_e32 v5, v34, v29
	v_add_f32_e32 v2, v2, v4
	v_add_f32_e32 v3, v3, v5
	v_mul_f32_e32 v4, s10, v2
	v_mul_f32_e32 v2, s11, v2
	v_fmac_f32_e32 v4, s11, v3
	v_fma_f32 v3, s10, v3, -v2
	s_waitcnt vmcnt(0)
	v_add_f32_e32 v2, v36, v4
	v_add_f32_e32 v3, v37, v3
	global_store_dwordx2 v[10:11], v[2:3], off
	s_branch .LBB1866_3
.LBB1866_16:
	s_endpgm
	.section	.rodata,"a",@progbits
	.p2align	6, 0x0
	.amdhsa_kernel _ZL26rocblas_syr2k_her2k_kernelIlLb1ELb1ELb0ELi32EPK19rocblas_complex_numIfES3_PS1_EvbiT_T4_T5_S5_lS7_S5_lT6_S5_li
		.amdhsa_group_segment_fixed_size 16384
		.amdhsa_private_segment_fixed_size 0
		.amdhsa_kernarg_size 100
		.amdhsa_user_sgpr_count 6
		.amdhsa_user_sgpr_private_segment_buffer 1
		.amdhsa_user_sgpr_dispatch_ptr 0
		.amdhsa_user_sgpr_queue_ptr 0
		.amdhsa_user_sgpr_kernarg_segment_ptr 1
		.amdhsa_user_sgpr_dispatch_id 0
		.amdhsa_user_sgpr_flat_scratch_init 0
		.amdhsa_user_sgpr_private_segment_size 0
		.amdhsa_uses_dynamic_stack 0
		.amdhsa_system_sgpr_private_segment_wavefront_offset 0
		.amdhsa_system_sgpr_workgroup_id_x 1
		.amdhsa_system_sgpr_workgroup_id_y 1
		.amdhsa_system_sgpr_workgroup_id_z 1
		.amdhsa_system_sgpr_workgroup_info 0
		.amdhsa_system_vgpr_workitem_id 1
		.amdhsa_next_free_vgpr 42
		.amdhsa_next_free_sgpr 61
		.amdhsa_reserve_vcc 1
		.amdhsa_reserve_flat_scratch 0
		.amdhsa_float_round_mode_32 0
		.amdhsa_float_round_mode_16_64 0
		.amdhsa_float_denorm_mode_32 3
		.amdhsa_float_denorm_mode_16_64 3
		.amdhsa_dx10_clamp 1
		.amdhsa_ieee_mode 1
		.amdhsa_fp16_overflow 0
		.amdhsa_exception_fp_ieee_invalid_op 0
		.amdhsa_exception_fp_denorm_src 0
		.amdhsa_exception_fp_ieee_div_zero 0
		.amdhsa_exception_fp_ieee_overflow 0
		.amdhsa_exception_fp_ieee_underflow 0
		.amdhsa_exception_fp_ieee_inexact 0
		.amdhsa_exception_int_div_zero 0
	.end_amdhsa_kernel
	.section	.text._ZL26rocblas_syr2k_her2k_kernelIlLb1ELb1ELb0ELi32EPK19rocblas_complex_numIfES3_PS1_EvbiT_T4_T5_S5_lS7_S5_lT6_S5_li,"axG",@progbits,_ZL26rocblas_syr2k_her2k_kernelIlLb1ELb1ELb0ELi32EPK19rocblas_complex_numIfES3_PS1_EvbiT_T4_T5_S5_lS7_S5_lT6_S5_li,comdat
.Lfunc_end1866:
	.size	_ZL26rocblas_syr2k_her2k_kernelIlLb1ELb1ELb0ELi32EPK19rocblas_complex_numIfES3_PS1_EvbiT_T4_T5_S5_lS7_S5_lT6_S5_li, .Lfunc_end1866-_ZL26rocblas_syr2k_her2k_kernelIlLb1ELb1ELb0ELi32EPK19rocblas_complex_numIfES3_PS1_EvbiT_T4_T5_S5_lS7_S5_lT6_S5_li
                                        ; -- End function
	.set _ZL26rocblas_syr2k_her2k_kernelIlLb1ELb1ELb0ELi32EPK19rocblas_complex_numIfES3_PS1_EvbiT_T4_T5_S5_lS7_S5_lT6_S5_li.num_vgpr, 42
	.set _ZL26rocblas_syr2k_her2k_kernelIlLb1ELb1ELb0ELi32EPK19rocblas_complex_numIfES3_PS1_EvbiT_T4_T5_S5_lS7_S5_lT6_S5_li.num_agpr, 0
	.set _ZL26rocblas_syr2k_her2k_kernelIlLb1ELb1ELb0ELi32EPK19rocblas_complex_numIfES3_PS1_EvbiT_T4_T5_S5_lS7_S5_lT6_S5_li.numbered_sgpr, 32
	.set _ZL26rocblas_syr2k_her2k_kernelIlLb1ELb1ELb0ELi32EPK19rocblas_complex_numIfES3_PS1_EvbiT_T4_T5_S5_lS7_S5_lT6_S5_li.num_named_barrier, 0
	.set _ZL26rocblas_syr2k_her2k_kernelIlLb1ELb1ELb0ELi32EPK19rocblas_complex_numIfES3_PS1_EvbiT_T4_T5_S5_lS7_S5_lT6_S5_li.private_seg_size, 0
	.set _ZL26rocblas_syr2k_her2k_kernelIlLb1ELb1ELb0ELi32EPK19rocblas_complex_numIfES3_PS1_EvbiT_T4_T5_S5_lS7_S5_lT6_S5_li.uses_vcc, 1
	.set _ZL26rocblas_syr2k_her2k_kernelIlLb1ELb1ELb0ELi32EPK19rocblas_complex_numIfES3_PS1_EvbiT_T4_T5_S5_lS7_S5_lT6_S5_li.uses_flat_scratch, 0
	.set _ZL26rocblas_syr2k_her2k_kernelIlLb1ELb1ELb0ELi32EPK19rocblas_complex_numIfES3_PS1_EvbiT_T4_T5_S5_lS7_S5_lT6_S5_li.has_dyn_sized_stack, 0
	.set _ZL26rocblas_syr2k_her2k_kernelIlLb1ELb1ELb0ELi32EPK19rocblas_complex_numIfES3_PS1_EvbiT_T4_T5_S5_lS7_S5_lT6_S5_li.has_recursion, 0
	.set _ZL26rocblas_syr2k_her2k_kernelIlLb1ELb1ELb0ELi32EPK19rocblas_complex_numIfES3_PS1_EvbiT_T4_T5_S5_lS7_S5_lT6_S5_li.has_indirect_call, 0
	.section	.AMDGPU.csdata,"",@progbits
; Kernel info:
; codeLenInByte = 3572
; TotalNumSgprs: 36
; NumVgprs: 42
; ScratchSize: 0
; MemoryBound: 0
; FloatMode: 240
; IeeeMode: 1
; LDSByteSize: 16384 bytes/workgroup (compile time only)
; SGPRBlocks: 8
; VGPRBlocks: 10
; NumSGPRsForWavesPerEU: 65
; NumVGPRsForWavesPerEU: 42
; Occupancy: 5
; WaveLimiterHint : 0
; COMPUTE_PGM_RSRC2:SCRATCH_EN: 0
; COMPUTE_PGM_RSRC2:USER_SGPR: 6
; COMPUTE_PGM_RSRC2:TRAP_HANDLER: 0
; COMPUTE_PGM_RSRC2:TGID_X_EN: 1
; COMPUTE_PGM_RSRC2:TGID_Y_EN: 1
; COMPUTE_PGM_RSRC2:TGID_Z_EN: 1
; COMPUTE_PGM_RSRC2:TIDIG_COMP_CNT: 1
	.section	.text._ZL26rocblas_syr2k_her2k_kernelIlLb1ELb1ELb1ELi32EPK19rocblas_complex_numIfES3_PS1_EvbiT_T4_T5_S5_lS7_S5_lT6_S5_li,"axG",@progbits,_ZL26rocblas_syr2k_her2k_kernelIlLb1ELb1ELb1ELi32EPK19rocblas_complex_numIfES3_PS1_EvbiT_T4_T5_S5_lS7_S5_lT6_S5_li,comdat
	.globl	_ZL26rocblas_syr2k_her2k_kernelIlLb1ELb1ELb1ELi32EPK19rocblas_complex_numIfES3_PS1_EvbiT_T4_T5_S5_lS7_S5_lT6_S5_li ; -- Begin function _ZL26rocblas_syr2k_her2k_kernelIlLb1ELb1ELb1ELi32EPK19rocblas_complex_numIfES3_PS1_EvbiT_T4_T5_S5_lS7_S5_lT6_S5_li
	.p2align	8
	.type	_ZL26rocblas_syr2k_her2k_kernelIlLb1ELb1ELb1ELi32EPK19rocblas_complex_numIfES3_PS1_EvbiT_T4_T5_S5_lS7_S5_lT6_S5_li,@function
_ZL26rocblas_syr2k_her2k_kernelIlLb1ELb1ELb1ELi32EPK19rocblas_complex_numIfES3_PS1_EvbiT_T4_T5_S5_lS7_S5_lT6_S5_li: ; @_ZL26rocblas_syr2k_her2k_kernelIlLb1ELb1ELb1ELi32EPK19rocblas_complex_numIfES3_PS1_EvbiT_T4_T5_S5_lS7_S5_lT6_S5_li
; %bb.0:
	s_load_dwordx16 s[12:27], s[4:5], 0x8
	s_waitcnt lgkmcnt(0)
	s_load_dwordx2 s[10:11], s[14:15], 0x0
	s_waitcnt lgkmcnt(0)
	v_cmp_eq_f32_e64 s[0:1], s10, 0
	v_cmp_eq_f32_e64 s[2:3], s11, 0
	s_and_b64 s[0:1], s[0:1], s[2:3]
	s_and_b64 vcc, exec, s[0:1]
	s_cbranch_vccnz .LBB1867_16
; %bb.1:
	s_load_dwordx2 s[14:15], s[4:5], 0x0
	s_lshl_b32 s3, s7, 5
	s_lshl_b32 s2, s6, 5
	s_waitcnt lgkmcnt(0)
	s_and_b32 s0, 1, s14
	s_cmp_eq_u32 s0, 1
	s_cselect_b64 s[0:1], -1, 0
	s_and_b64 s[6:7], s[0:1], exec
	s_cselect_b32 s6, s2, s3
	s_cselect_b32 s7, s3, s2
	s_cmp_gt_i32 s6, s7
	v_cmp_lt_i64_e64 s[6:7], s[12:13], 1
	s_cselect_b64 s[28:29], -1, 0
	s_or_b64 s[6:7], s[28:29], s[6:7]
	s_and_b64 vcc, exec, s[6:7]
	s_cbranch_vccnz .LBB1867_16
; %bb.2:
	s_load_dwordx2 s[6:7], s[4:5], 0x58
	s_load_dwordx4 s[28:31], s[4:5], 0x48
	v_add_u32_e32 v4, s3, v1
	v_mov_b32_e32 v3, 0
	v_add_u32_e32 v2, s2, v0
	s_waitcnt lgkmcnt(0)
	s_mul_i32 s3, s7, s8
	s_mul_hi_u32 s5, s6, s8
	s_mul_i32 s4, s6, s8
	s_add_i32 s5, s5, s3
	s_lshl_b64 s[4:5], s[4:5], 3
	s_add_u32 s6, s28, s4
	s_addc_u32 s7, s29, s5
	s_ashr_i32 s3, s15, 31
	s_mov_b32 s2, s15
	v_mov_b32_e32 v5, v3
	v_cndmask_b32_e64 v7, v2, v4, s[0:1]
	v_cndmask_b32_e64 v8, v4, v2, s[0:1]
	v_cmp_gt_i64_e64 s[0:1], s[2:3], v[2:3]
	v_cmp_gt_i64_e64 s[2:3], s[2:3], v[4:5]
	v_ashrrev_i32_e32 v5, 31, v4
	v_mul_lo_u32 v10, s30, v5
	v_mul_lo_u32 v11, s31, v4
	v_mad_u64_u32 v[5:6], s[4:5], s30, v4, 0
	v_max_i32_e32 v3, v2, v4
	v_cmp_gt_i32_e32 vcc, s15, v3
	v_add3_u32 v6, v6, v10, v11
	v_lshlrev_b64 v[5:6], 3, v[5:6]
	v_cmp_le_i32_e64 s[4:5], v8, v7
	s_and_b64 s[4:5], s[4:5], vcc
	v_mov_b32_e32 v7, s7
	v_add_co_u32_e32 v10, vcc, s6, v5
	v_addc_co_u32_e32 v11, vcc, v7, v6, vcc
	v_mad_u64_u32 v[7:8], s[6:7], s18, v4, 0
	v_ashrrev_i32_e32 v3, 31, v2
	v_lshlrev_b64 v[5:6], 3, v[2:3]
	v_mov_b32_e32 v3, v8
	v_add_co_u32_e32 v10, vcc, v10, v5
	v_addc_co_u32_e32 v11, vcc, v11, v6, vcc
	v_mad_u64_u32 v[5:6], s[6:7], s19, v4, v[3:4]
	s_mul_i32 s9, s21, s8
	s_mul_hi_u32 s14, s20, s8
	v_mov_b32_e32 v8, v5
	s_add_i32 s7, s14, s9
	s_mul_i32 s6, s20, s8
	v_lshlrev_b64 v[5:6], 3, v[7:8]
	s_lshl_b64 s[6:7], s[6:7], 3
	v_mov_b32_e32 v8, s7
	v_add_co_u32_e32 v3, vcc, s6, v5
	v_addc_co_u32_e32 v5, vcc, v8, v6, vcc
	v_lshlrev_b32_e32 v20, 3, v0
	v_add_co_u32_e32 v3, vcc, v3, v20
	v_addc_co_u32_e32 v7, vcc, 0, v5, vcc
	v_mad_u64_u32 v[5:6], s[14:15], s18, v2, 0
	v_mov_b32_e32 v16, s17
	v_add_co_u32_e32 v17, vcc, s16, v3
	v_mov_b32_e32 v3, v6
	v_addc_co_u32_e32 v18, vcc, v16, v7, vcc
	v_mad_u64_u32 v[6:7], s[14:15], s19, v2, v[3:4]
	v_add_co_u32_e32 v16, vcc, 4, v17
	v_lshlrev_b64 v[5:6], 3, v[5:6]
	v_addc_co_u32_e32 v17, vcc, 0, v18, vcc
	v_add_co_u32_e32 v3, vcc, s6, v5
	v_lshlrev_b32_e32 v9, 3, v1
	v_addc_co_u32_e32 v5, vcc, v8, v6, vcc
	v_add_co_u32_e32 v3, vcc, v3, v9
	v_addc_co_u32_e32 v7, vcc, 0, v5, vcc
	v_mad_u64_u32 v[5:6], s[6:7], s24, v4, 0
	v_add_co_u32_e32 v18, vcc, s16, v3
	v_mov_b32_e32 v3, v6
	v_mad_u64_u32 v[3:4], s[6:7], s25, v4, v[3:4]
	s_mul_i32 s9, s27, s8
	s_mul_hi_u32 s14, s26, s8
	v_mov_b32_e32 v6, v3
	v_mov_b32_e32 v8, s17
	s_add_i32 s7, s14, s9
	s_mul_i32 s6, s26, s8
	v_lshlrev_b64 v[3:4], 3, v[5:6]
	v_addc_co_u32_e32 v19, vcc, v8, v7, vcc
	s_lshl_b64 s[6:7], s[6:7], 3
	v_mov_b32_e32 v6, s7
	v_add_co_u32_e32 v3, vcc, s6, v3
	v_addc_co_u32_e32 v4, vcc, v6, v4, vcc
	v_add_co_u32_e32 v5, vcc, v3, v20
	v_addc_co_u32_e32 v7, vcc, 0, v4, vcc
	v_mad_u64_u32 v[3:4], s[8:9], s24, v2, 0
	v_add_co_u32_e32 v20, vcc, s22, v5
	v_mad_u64_u32 v[4:5], s[8:9], s25, v2, v[4:5]
	v_mov_b32_e32 v8, s23
	v_addc_co_u32_e32 v7, vcc, v8, v7, vcc
	v_add_co_u32_e32 v20, vcc, 4, v20
	v_lshlrev_b64 v[2:3], 3, v[3:4]
	v_addc_co_u32_e32 v21, vcc, 0, v7, vcc
	v_add_co_u32_e32 v2, vcc, s6, v2
	v_addc_co_u32_e32 v3, vcc, v6, v3, vcc
	v_add_co_u32_e32 v2, vcc, v2, v9
	v_addc_co_u32_e32 v3, vcc, 0, v3, vcc
	v_lshlrev_b32_e32 v12, 8, v0
	v_or_b32_e32 v14, 0x2000, v9
	v_mov_b32_e32 v4, s23
	v_add_co_u32_e32 v22, vcc, s22, v2
	v_add_u32_e32 v13, v12, v9
	v_add_u32_e32 v15, v14, v12
	v_addc_co_u32_e32 v23, vcc, v4, v3, vcc
	s_mov_b64 s[6:7], 0
	s_mov_b64 s[8:9], 0
	s_branch .LBB1867_4
.LBB1867_3:                             ;   in Loop: Header=BB1867_4 Depth=1
	s_or_b64 exec, exec, s[14:15]
	s_add_u32 s8, s8, 32
	v_mov_b32_e32 v2, s12
	s_addc_u32 s9, s9, 0
	v_mov_b32_e32 v3, s13
	v_cmp_lt_i64_e32 vcc, s[8:9], v[2:3]
	s_add_u32 s6, s6, 0x100
	s_addc_u32 s7, s7, 0
	s_waitcnt vmcnt(0)
	s_barrier
	s_cbranch_vccz .LBB1867_16
.LBB1867_4:                             ; =>This Inner Loop Header: Depth=1
	v_mov_b32_e32 v3, s9
	v_add_co_u32_e32 v2, vcc, s8, v1
	v_addc_co_u32_e32 v3, vcc, 0, v3, vcc
	v_cmp_gt_i64_e32 vcc, s[12:13], v[2:3]
	v_mov_b32_e32 v2, 0
	s_and_b64 s[14:15], s[0:1], vcc
	v_mov_b32_e32 v3, 0
	v_mov_b32_e32 v4, 0
	s_and_saveexec_b64 s[16:17], s[14:15]
	s_cbranch_execz .LBB1867_6
; %bb.5:                                ;   in Loop: Header=BB1867_4 Depth=1
	v_mov_b32_e32 v4, s7
	v_add_co_u32_e32 v3, vcc, s6, v18
	v_addc_co_u32_e32 v4, vcc, v19, v4, vcc
	global_load_dwordx2 v[3:4], v[3:4], off
	s_waitcnt vmcnt(0)
	v_xor_b32_e32 v4, 0x80000000, v4
.LBB1867_6:                             ;   in Loop: Header=BB1867_4 Depth=1
	s_or_b64 exec, exec, s[16:17]
	v_mov_b32_e32 v6, s9
	v_add_co_u32_e32 v5, vcc, s8, v0
	v_addc_co_u32_e32 v6, vcc, 0, v6, vcc
	v_cmp_gt_i64_e32 vcc, s[12:13], v[5:6]
	ds_write_b64 v13, v[3:4]
	s_and_b64 s[16:17], s[2:3], vcc
	v_mov_b32_e32 v3, 0
	s_and_saveexec_b64 s[18:19], s[16:17]
	s_cbranch_execz .LBB1867_8
; %bb.7:                                ;   in Loop: Header=BB1867_4 Depth=1
	v_mov_b32_e32 v3, s7
	v_add_co_u32_e32 v2, vcc, s6, v20
	v_addc_co_u32_e32 v3, vcc, v21, v3, vcc
	global_load_dwordx2 v[2:3], v[2:3], off offset:-4
.LBB1867_8:                             ;   in Loop: Header=BB1867_4 Depth=1
	s_or_b64 exec, exec, s[18:19]
	v_add_u32_e32 v26, 0x800, v14
	v_add_u32_e32 v25, 0x1000, v14
	;; [unrolled: 1-line block ×3, first 2 shown]
	s_waitcnt vmcnt(0)
	ds_write_b64 v15, v[2:3]
	s_waitcnt lgkmcnt(0)
	s_barrier
	s_and_saveexec_b64 s[18:19], s[4:5]
	s_cbranch_execz .LBB1867_10
; %bb.9:                                ;   in Loop: Header=BB1867_4 Depth=1
	ds_read2_b64 v[2:5], v14 offset1:32
	ds_read_b128 v[6:9], v12
	ds_read_b128 v[27:30], v12 offset:16
	s_waitcnt lgkmcnt(1)
	v_mul_f32_e32 v31, v3, v7
	v_fma_f32 v36, v2, v6, -v31
	ds_read2_b64 v[31:34], v14 offset0:64 offset1:96
	v_mul_f32_e32 v35, v2, v7
	v_mul_f32_e32 v2, v5, v9
	v_fma_f32 v37, v4, v8, -v2
	v_fmac_f32_e32 v35, v3, v6
	s_waitcnt lgkmcnt(0)
	v_mul_f32_e32 v2, v32, v28
	v_mul_f32_e32 v38, v4, v9
	v_fma_f32 v39, v31, v27, -v2
	v_mul_f32_e32 v31, v31, v28
	v_mul_f32_e32 v2, v34, v30
	v_fmac_f32_e32 v38, v5, v8
	v_fmac_f32_e32 v31, v32, v27
	v_fma_f32 v32, v33, v29, -v2
	v_mul_f32_e32 v33, v33, v30
	v_add_f32_e32 v27, 0, v36
	v_add_f32_e32 v28, 0, v35
	v_fmac_f32_e32 v33, v34, v29
	ds_read_b128 v[2:5], v12 offset:32
	ds_read_b128 v[6:9], v12 offset:48
	v_add_f32_e32 v34, v27, v37
	v_add_f32_e32 v35, v28, v38
	ds_read2_b64 v[27:30], v14 offset0:128 offset1:160
	v_add_f32_e32 v31, v35, v31
	v_add_f32_e32 v34, v34, v39
	;; [unrolled: 1-line block ×4, first 2 shown]
	s_waitcnt lgkmcnt(0)
	v_mul_f32_e32 v33, v28, v3
	v_mul_f32_e32 v3, v27, v3
	v_fma_f32 v33, v27, v2, -v33
	v_fmac_f32_e32 v3, v28, v2
	v_add_f32_e32 v2, v32, v33
	v_add_f32_e32 v3, v31, v3
	ds_read2_b64 v[31:34], v14 offset0:192 offset1:224
	v_mul_f32_e32 v27, v30, v5
	v_mul_f32_e32 v5, v29, v5
	v_fma_f32 v27, v29, v4, -v27
	v_fmac_f32_e32 v5, v30, v4
	s_waitcnt lgkmcnt(0)
	v_mul_f32_e32 v4, v32, v7
	v_add_f32_e32 v2, v2, v27
	v_add_f32_e32 v3, v3, v5
	v_fma_f32 v4, v31, v6, -v4
	v_mul_f32_e32 v5, v31, v7
	v_fmac_f32_e32 v5, v32, v6
	v_add_f32_e32 v6, v2, v4
	v_mul_f32_e32 v2, v34, v9
	v_add_f32_e32 v7, v3, v5
	v_fma_f32 v31, v33, v8, -v2
	ds_read_b128 v[2:5], v12 offset:64
	ds_read2_b64 v[27:30], v26 offset1:32
	v_mul_f32_e32 v9, v33, v9
	v_fmac_f32_e32 v9, v34, v8
	v_add_f32_e32 v31, v6, v31
	v_add_f32_e32 v32, v7, v9
	s_waitcnt lgkmcnt(0)
	v_mul_f32_e32 v33, v28, v3
	v_mul_f32_e32 v3, v27, v3
	v_fma_f32 v33, v27, v2, -v33
	v_fmac_f32_e32 v3, v28, v2
	ds_read_b128 v[6:9], v12 offset:80
	v_add_f32_e32 v2, v31, v33
	v_add_f32_e32 v3, v32, v3
	ds_read2_b64 v[31:34], v26 offset0:64 offset1:96
	v_mul_f32_e32 v27, v30, v5
	v_mul_f32_e32 v5, v29, v5
	v_fma_f32 v27, v29, v4, -v27
	v_fmac_f32_e32 v5, v30, v4
	s_waitcnt lgkmcnt(0)
	v_mul_f32_e32 v4, v32, v7
	v_add_f32_e32 v2, v2, v27
	v_add_f32_e32 v3, v3, v5
	v_fma_f32 v4, v31, v6, -v4
	v_mul_f32_e32 v5, v31, v7
	v_fmac_f32_e32 v5, v32, v6
	v_add_f32_e32 v6, v2, v4
	v_mul_f32_e32 v2, v34, v9
	v_add_f32_e32 v7, v3, v5
	v_fma_f32 v31, v33, v8, -v2
	ds_read_b128 v[2:5], v12 offset:96
	ds_read2_b64 v[27:30], v26 offset0:128 offset1:160
	v_mul_f32_e32 v9, v33, v9
	v_fmac_f32_e32 v9, v34, v8
	v_add_f32_e32 v31, v6, v31
	v_add_f32_e32 v32, v7, v9
	s_waitcnt lgkmcnt(0)
	v_mul_f32_e32 v33, v28, v3
	v_mul_f32_e32 v3, v27, v3
	v_fma_f32 v33, v27, v2, -v33
	v_fmac_f32_e32 v3, v28, v2
	ds_read_b128 v[6:9], v12 offset:112
	v_add_f32_e32 v2, v31, v33
	v_add_f32_e32 v3, v32, v3
	ds_read2_b64 v[31:34], v26 offset0:192 offset1:224
	v_mul_f32_e32 v27, v30, v5
	v_mul_f32_e32 v5, v29, v5
	v_fma_f32 v27, v29, v4, -v27
	v_fmac_f32_e32 v5, v30, v4
	s_waitcnt lgkmcnt(0)
	v_mul_f32_e32 v4, v32, v7
	v_add_f32_e32 v2, v2, v27
	v_add_f32_e32 v3, v3, v5
	v_fma_f32 v4, v31, v6, -v4
	v_mul_f32_e32 v5, v31, v7
	v_fmac_f32_e32 v5, v32, v6
	v_add_f32_e32 v6, v2, v4
	v_mul_f32_e32 v2, v34, v9
	v_add_f32_e32 v7, v3, v5
	v_fma_f32 v31, v33, v8, -v2
	ds_read_b128 v[2:5], v12 offset:128
	ds_read2_b64 v[27:30], v25 offset1:32
	v_mul_f32_e32 v9, v33, v9
	v_fmac_f32_e32 v9, v34, v8
	v_add_f32_e32 v6, v6, v31
	ds_read_b128 v[31:34], v12 offset:144
	ds_read2_b64 v[35:38], v25 offset0:64 offset1:96
	s_waitcnt lgkmcnt(2)
	v_mul_f32_e32 v8, v28, v3
	v_fma_f32 v8, v27, v2, -v8
	v_mul_f32_e32 v3, v27, v3
	v_add_f32_e32 v7, v7, v9
	v_fmac_f32_e32 v3, v28, v2
	v_add_f32_e32 v2, v6, v8
	v_mul_f32_e32 v6, v30, v5
	v_mul_f32_e32 v5, v29, v5
	v_add_f32_e32 v3, v7, v3
	v_fma_f32 v6, v29, v4, -v6
	v_fmac_f32_e32 v5, v30, v4
	s_waitcnt lgkmcnt(0)
	v_mul_f32_e32 v4, v36, v32
	v_add_f32_e32 v2, v2, v6
	v_add_f32_e32 v3, v3, v5
	v_fma_f32 v4, v35, v31, -v4
	v_mul_f32_e32 v5, v35, v32
	v_fmac_f32_e32 v5, v36, v31
	v_add_f32_e32 v27, v2, v4
	v_mul_f32_e32 v2, v38, v34
	v_add_f32_e32 v28, v3, v5
	v_fma_f32 v29, v37, v33, -v2
	ds_read_b128 v[2:5], v12 offset:160
	ds_read2_b64 v[6:9], v25 offset0:128 offset1:160
	v_mul_f32_e32 v30, v37, v34
	v_fmac_f32_e32 v30, v38, v33
	v_add_f32_e32 v33, v27, v29
	v_add_f32_e32 v34, v28, v30
	s_waitcnt lgkmcnt(0)
	v_mul_f32_e32 v31, v7, v3
	v_fma_f32 v35, v6, v2, -v31
	global_load_dwordx2 v[31:32], v[10:11], off
	v_mul_f32_e32 v6, v6, v3
	v_fmac_f32_e32 v6, v7, v2
	v_mul_f32_e32 v2, v9, v5
	v_fma_f32 v7, v8, v4, -v2
	v_mul_f32_e32 v8, v8, v5
	ds_read_b128 v[27:30], v12 offset:176
	v_fmac_f32_e32 v8, v9, v4
	ds_read2_b64 v[2:5], v25 offset0:192 offset1:224
	v_add_f32_e32 v6, v34, v6
	v_add_f32_e32 v9, v33, v35
	;; [unrolled: 1-line block ×4, first 2 shown]
	s_waitcnt lgkmcnt(0)
	v_mul_f32_e32 v6, v3, v28
	v_fma_f32 v6, v2, v27, -v6
	v_mul_f32_e32 v28, v2, v28
	v_mul_f32_e32 v2, v5, v30
	;; [unrolled: 1-line block ×3, first 2 shown]
	v_fmac_f32_e32 v28, v3, v27
	v_add_f32_e32 v27, v7, v6
	v_fma_f32 v34, v4, v29, -v2
	v_fmac_f32_e32 v30, v5, v29
	ds_read_b128 v[2:5], v12 offset:192
	ds_read2_b64 v[6:9], v24 offset1:32
	v_add_f32_e32 v28, v33, v28
	v_add_f32_e32 v33, v27, v34
	v_add_f32_e32 v34, v28, v30
	ds_read_b128 v[27:30], v12 offset:208
	s_waitcnt lgkmcnt(1)
	v_mul_f32_e32 v35, v7, v3
	v_fma_f32 v35, v6, v2, -v35
	v_mul_f32_e32 v6, v6, v3
	v_fmac_f32_e32 v6, v7, v2
	v_mul_f32_e32 v2, v9, v5
	v_fma_f32 v7, v8, v4, -v2
	v_mul_f32_e32 v8, v8, v5
	v_fmac_f32_e32 v8, v9, v4
	ds_read2_b64 v[2:5], v24 offset0:64 offset1:96
	v_add_f32_e32 v6, v34, v6
	v_add_f32_e32 v9, v33, v35
	;; [unrolled: 1-line block ×4, first 2 shown]
	s_waitcnt lgkmcnt(0)
	v_mul_f32_e32 v6, v3, v28
	v_fma_f32 v6, v2, v27, -v6
	v_mul_f32_e32 v28, v2, v28
	v_mul_f32_e32 v2, v5, v30
	;; [unrolled: 1-line block ×3, first 2 shown]
	v_fmac_f32_e32 v28, v3, v27
	v_add_f32_e32 v27, v7, v6
	v_fma_f32 v34, v4, v29, -v2
	v_fmac_f32_e32 v30, v5, v29
	ds_read_b128 v[2:5], v12 offset:224
	ds_read2_b64 v[6:9], v24 offset0:128 offset1:160
	v_add_f32_e32 v28, v33, v28
	v_add_f32_e32 v33, v27, v34
	;; [unrolled: 1-line block ×3, first 2 shown]
	ds_read_b128 v[27:30], v12 offset:240
	s_waitcnt lgkmcnt(1)
	v_mul_f32_e32 v35, v7, v3
	v_fma_f32 v35, v6, v2, -v35
	v_mul_f32_e32 v6, v6, v3
	v_fmac_f32_e32 v6, v7, v2
	v_mul_f32_e32 v2, v9, v5
	v_fma_f32 v7, v8, v4, -v2
	v_mul_f32_e32 v8, v8, v5
	v_fmac_f32_e32 v8, v9, v4
	ds_read2_b64 v[2:5], v24 offset0:192 offset1:224
	v_add_f32_e32 v6, v34, v6
	v_add_f32_e32 v6, v6, v8
	;; [unrolled: 1-line block ×4, first 2 shown]
	s_waitcnt lgkmcnt(0)
	v_mul_f32_e32 v8, v3, v28
	v_fma_f32 v8, v2, v27, -v8
	v_mul_f32_e32 v2, v2, v28
	v_fmac_f32_e32 v2, v3, v27
	v_add_f32_e32 v2, v6, v2
	v_mul_f32_e32 v6, v5, v30
	v_fma_f32 v6, v4, v29, -v6
	v_mul_f32_e32 v4, v4, v30
	v_fmac_f32_e32 v4, v5, v29
	v_add_f32_e32 v3, v7, v8
	v_add_f32_e32 v2, v2, v4
	;; [unrolled: 1-line block ×3, first 2 shown]
	v_mul_f32_e32 v4, s11, v2
	v_mul_f32_e32 v5, s10, v2
	v_fma_f32 v4, s10, v3, -v4
	v_fmac_f32_e32 v5, s11, v3
	s_waitcnt vmcnt(0)
	v_add_f32_e32 v2, v31, v4
	v_add_f32_e32 v3, v32, v5
	global_store_dwordx2 v[10:11], v[2:3], off
.LBB1867_10:                            ;   in Loop: Header=BB1867_4 Depth=1
	s_or_b64 exec, exec, s[18:19]
	v_mov_b32_e32 v4, 0
	v_mov_b32_e32 v3, 0
	;; [unrolled: 1-line block ×3, first 2 shown]
	s_waitcnt vmcnt(0)
	s_barrier
	s_and_saveexec_b64 s[18:19], s[14:15]
	s_cbranch_execz .LBB1867_12
; %bb.11:                               ;   in Loop: Header=BB1867_4 Depth=1
	v_mov_b32_e32 v2, s7
	v_add_co_u32_e32 v4, vcc, s6, v22
	v_addc_co_u32_e32 v5, vcc, v23, v2, vcc
	global_load_dwordx2 v[4:5], v[4:5], off
	s_waitcnt vmcnt(0)
	v_xor_b32_e32 v5, 0x80000000, v5
.LBB1867_12:                            ;   in Loop: Header=BB1867_4 Depth=1
	s_or_b64 exec, exec, s[18:19]
	v_mov_b32_e32 v2, 0
	ds_write_b64 v13, v[4:5]
	s_and_saveexec_b64 s[14:15], s[16:17]
	s_cbranch_execz .LBB1867_14
; %bb.13:                               ;   in Loop: Header=BB1867_4 Depth=1
	v_mov_b32_e32 v3, s7
	v_add_co_u32_e32 v2, vcc, s6, v16
	v_addc_co_u32_e32 v3, vcc, v17, v3, vcc
	global_load_dwordx2 v[2:3], v[2:3], off offset:-4
.LBB1867_14:                            ;   in Loop: Header=BB1867_4 Depth=1
	s_or_b64 exec, exec, s[14:15]
	s_waitcnt vmcnt(0)
	ds_write_b64 v15, v[2:3]
	s_waitcnt lgkmcnt(0)
	s_barrier
	s_and_saveexec_b64 s[14:15], s[4:5]
	s_cbranch_execz .LBB1867_3
; %bb.15:                               ;   in Loop: Header=BB1867_4 Depth=1
	ds_read2_b64 v[2:5], v14 offset1:32
	ds_read_b128 v[6:9], v12
	ds_read_b128 v[27:30], v12 offset:16
	s_waitcnt lgkmcnt(1)
	v_mul_f32_e32 v31, v3, v7
	v_mul_f32_e32 v35, v2, v7
	v_fma_f32 v36, v2, v6, -v31
	v_mul_f32_e32 v2, v5, v9
	v_mul_f32_e32 v38, v4, v9
	v_fmac_f32_e32 v35, v3, v6
	v_fma_f32 v37, v4, v8, -v2
	v_fmac_f32_e32 v38, v5, v8
	ds_read_b128 v[2:5], v12 offset:32
	ds_read_b128 v[6:9], v12 offset:48
	ds_read2_b64 v[31:34], v14 offset0:64 offset1:96
	v_add_f32_e32 v36, 0, v36
	v_add_f32_e32 v36, v36, v37
	;; [unrolled: 1-line block ×4, first 2 shown]
	s_waitcnt lgkmcnt(0)
	v_mul_f32_e32 v37, v32, v28
	v_fma_f32 v37, v31, v27, -v37
	v_mul_f32_e32 v31, v31, v28
	v_fmac_f32_e32 v31, v32, v27
	v_mul_f32_e32 v27, v34, v30
	v_fma_f32 v32, v33, v29, -v27
	v_mul_f32_e32 v33, v33, v30
	v_fmac_f32_e32 v33, v34, v29
	ds_read2_b64 v[27:30], v14 offset0:128 offset1:160
	v_add_f32_e32 v31, v35, v31
	v_add_f32_e32 v34, v36, v37
	;; [unrolled: 1-line block ×4, first 2 shown]
	s_waitcnt lgkmcnt(0)
	v_mul_f32_e32 v33, v28, v3
	v_mul_f32_e32 v3, v27, v3
	v_fma_f32 v33, v27, v2, -v33
	v_fmac_f32_e32 v3, v28, v2
	v_add_f32_e32 v2, v32, v33
	v_add_f32_e32 v3, v31, v3
	ds_read2_b64 v[31:34], v14 offset0:192 offset1:224
	v_mul_f32_e32 v27, v30, v5
	v_mul_f32_e32 v5, v29, v5
	v_fma_f32 v27, v29, v4, -v27
	v_fmac_f32_e32 v5, v30, v4
	s_waitcnt lgkmcnt(0)
	v_mul_f32_e32 v4, v32, v7
	v_add_f32_e32 v2, v2, v27
	v_add_f32_e32 v3, v3, v5
	v_fma_f32 v4, v31, v6, -v4
	v_mul_f32_e32 v5, v31, v7
	v_fmac_f32_e32 v5, v32, v6
	v_add_f32_e32 v6, v2, v4
	v_mul_f32_e32 v2, v34, v9
	v_add_f32_e32 v7, v3, v5
	v_fma_f32 v31, v33, v8, -v2
	ds_read_b128 v[2:5], v12 offset:64
	ds_read2_b64 v[27:30], v26 offset1:32
	v_mul_f32_e32 v9, v33, v9
	v_fmac_f32_e32 v9, v34, v8
	v_add_f32_e32 v31, v6, v31
	v_add_f32_e32 v32, v7, v9
	s_waitcnt lgkmcnt(0)
	v_mul_f32_e32 v33, v28, v3
	v_mul_f32_e32 v3, v27, v3
	v_fma_f32 v33, v27, v2, -v33
	v_fmac_f32_e32 v3, v28, v2
	ds_read_b128 v[6:9], v12 offset:80
	v_add_f32_e32 v2, v31, v33
	v_add_f32_e32 v3, v32, v3
	ds_read2_b64 v[31:34], v26 offset0:64 offset1:96
	v_mul_f32_e32 v27, v30, v5
	v_mul_f32_e32 v5, v29, v5
	v_fma_f32 v27, v29, v4, -v27
	v_fmac_f32_e32 v5, v30, v4
	s_waitcnt lgkmcnt(0)
	v_mul_f32_e32 v4, v32, v7
	v_add_f32_e32 v2, v2, v27
	v_add_f32_e32 v3, v3, v5
	v_fma_f32 v4, v31, v6, -v4
	v_mul_f32_e32 v5, v31, v7
	v_fmac_f32_e32 v5, v32, v6
	v_add_f32_e32 v6, v2, v4
	v_mul_f32_e32 v2, v34, v9
	v_add_f32_e32 v7, v3, v5
	v_fma_f32 v31, v33, v8, -v2
	ds_read_b128 v[2:5], v12 offset:96
	ds_read2_b64 v[27:30], v26 offset0:128 offset1:160
	v_mul_f32_e32 v9, v33, v9
	v_fmac_f32_e32 v9, v34, v8
	v_add_f32_e32 v31, v6, v31
	v_add_f32_e32 v32, v7, v9
	s_waitcnt lgkmcnt(0)
	v_mul_f32_e32 v33, v28, v3
	v_mul_f32_e32 v3, v27, v3
	v_fma_f32 v33, v27, v2, -v33
	v_fmac_f32_e32 v3, v28, v2
	ds_read_b128 v[6:9], v12 offset:112
	v_add_f32_e32 v2, v31, v33
	v_add_f32_e32 v3, v32, v3
	ds_read2_b64 v[31:34], v26 offset0:192 offset1:224
	v_mul_f32_e32 v27, v30, v5
	v_mul_f32_e32 v5, v29, v5
	v_fma_f32 v27, v29, v4, -v27
	v_fmac_f32_e32 v5, v30, v4
	s_waitcnt lgkmcnt(0)
	v_mul_f32_e32 v4, v32, v7
	v_add_f32_e32 v2, v2, v27
	v_add_f32_e32 v3, v3, v5
	v_fma_f32 v4, v31, v6, -v4
	v_mul_f32_e32 v5, v31, v7
	v_fmac_f32_e32 v5, v32, v6
	v_add_f32_e32 v6, v2, v4
	v_mul_f32_e32 v2, v34, v9
	v_add_f32_e32 v7, v3, v5
	v_fma_f32 v30, v33, v8, -v2
	ds_read_b128 v[2:5], v12 offset:128
	ds_read2_b64 v[26:29], v25 offset1:32
	v_mul_f32_e32 v9, v33, v9
	v_fmac_f32_e32 v9, v34, v8
	v_add_f32_e32 v6, v6, v30
	ds_read_b128 v[30:33], v12 offset:144
	ds_read2_b64 v[34:37], v25 offset0:64 offset1:96
	s_waitcnt lgkmcnt(2)
	v_mul_f32_e32 v8, v27, v3
	v_fma_f32 v8, v26, v2, -v8
	v_mul_f32_e32 v3, v26, v3
	v_add_f32_e32 v7, v7, v9
	v_fmac_f32_e32 v3, v27, v2
	v_add_f32_e32 v2, v6, v8
	v_mul_f32_e32 v6, v29, v5
	v_mul_f32_e32 v5, v28, v5
	v_add_f32_e32 v3, v7, v3
	v_fma_f32 v6, v28, v4, -v6
	v_fmac_f32_e32 v5, v29, v4
	s_waitcnt lgkmcnt(0)
	v_mul_f32_e32 v4, v35, v31
	v_add_f32_e32 v2, v2, v6
	v_add_f32_e32 v3, v3, v5
	v_fma_f32 v4, v34, v30, -v4
	v_mul_f32_e32 v5, v34, v31
	v_fmac_f32_e32 v5, v35, v30
	v_add_f32_e32 v26, v2, v4
	v_mul_f32_e32 v2, v37, v33
	v_add_f32_e32 v27, v3, v5
	v_fma_f32 v28, v36, v32, -v2
	ds_read_b128 v[2:5], v12 offset:160
	ds_read2_b64 v[6:9], v25 offset0:128 offset1:160
	global_load_dwordx2 v[34:35], v[10:11], off
	v_mul_f32_e32 v29, v36, v33
	v_fmac_f32_e32 v29, v37, v32
	v_add_f32_e32 v30, v26, v28
	s_waitcnt lgkmcnt(0)
	v_mul_f32_e32 v32, v7, v3
	v_mul_f32_e32 v3, v6, v3
	v_add_f32_e32 v31, v27, v29
	v_fma_f32 v32, v6, v2, -v32
	v_fmac_f32_e32 v3, v7, v2
	ds_read_b128 v[26:29], v12 offset:176
	v_add_f32_e32 v2, v30, v32
	v_add_f32_e32 v3, v31, v3
	ds_read2_b64 v[30:33], v25 offset0:192 offset1:224
	v_mul_f32_e32 v6, v9, v5
	v_mul_f32_e32 v5, v8, v5
	v_fma_f32 v6, v8, v4, -v6
	v_fmac_f32_e32 v5, v9, v4
	s_waitcnt lgkmcnt(0)
	v_mul_f32_e32 v4, v31, v27
	v_add_f32_e32 v2, v2, v6
	v_add_f32_e32 v3, v3, v5
	v_fma_f32 v4, v30, v26, -v4
	v_mul_f32_e32 v5, v30, v27
	v_fmac_f32_e32 v5, v31, v26
	v_add_f32_e32 v25, v2, v4
	v_mul_f32_e32 v2, v33, v29
	v_add_f32_e32 v26, v3, v5
	v_fma_f32 v27, v32, v28, -v2
	ds_read_b128 v[2:5], v12 offset:192
	ds_read2_b64 v[6:9], v24 offset1:32
	v_mul_f32_e32 v29, v32, v29
	v_fmac_f32_e32 v29, v33, v28
	v_add_f32_e32 v30, v25, v27
	v_add_f32_e32 v29, v26, v29
	s_waitcnt lgkmcnt(0)
	v_mul_f32_e32 v31, v7, v3
	v_mul_f32_e32 v3, v6, v3
	v_fma_f32 v31, v6, v2, -v31
	v_fmac_f32_e32 v3, v7, v2
	ds_read_b128 v[25:28], v12 offset:208
	v_add_f32_e32 v2, v30, v31
	v_add_f32_e32 v3, v29, v3
	ds_read2_b64 v[29:32], v24 offset0:64 offset1:96
	v_mul_f32_e32 v6, v9, v5
	v_mul_f32_e32 v5, v8, v5
	v_fma_f32 v6, v8, v4, -v6
	v_fmac_f32_e32 v5, v9, v4
	s_waitcnt lgkmcnt(0)
	v_mul_f32_e32 v4, v30, v26
	v_add_f32_e32 v2, v2, v6
	v_add_f32_e32 v3, v3, v5
	v_fma_f32 v4, v29, v25, -v4
	v_mul_f32_e32 v5, v29, v26
	v_fmac_f32_e32 v5, v30, v25
	v_add_f32_e32 v25, v2, v4
	v_mul_f32_e32 v2, v32, v28
	v_add_f32_e32 v26, v3, v5
	v_fma_f32 v29, v31, v27, -v2
	ds_read_b128 v[2:5], v12 offset:224
	ds_read2_b64 v[6:9], v24 offset0:128 offset1:160
	v_mul_f32_e32 v28, v31, v28
	v_fmac_f32_e32 v28, v32, v27
	v_add_f32_e32 v29, v25, v29
	v_add_f32_e32 v30, v26, v28
	s_waitcnt lgkmcnt(0)
	v_mul_f32_e32 v31, v7, v3
	v_mul_f32_e32 v3, v6, v3
	v_fma_f32 v31, v6, v2, -v31
	v_fmac_f32_e32 v3, v7, v2
	ds_read_b128 v[25:28], v12 offset:240
	v_add_f32_e32 v2, v29, v31
	v_add_f32_e32 v3, v30, v3
	ds_read2_b64 v[29:32], v24 offset0:192 offset1:224
	v_mul_f32_e32 v6, v9, v5
	v_mul_f32_e32 v5, v8, v5
	v_fma_f32 v6, v8, v4, -v6
	v_fmac_f32_e32 v5, v9, v4
	s_waitcnt lgkmcnt(0)
	v_mul_f32_e32 v4, v30, v26
	v_add_f32_e32 v2, v2, v6
	v_add_f32_e32 v3, v3, v5
	v_fma_f32 v4, v29, v25, -v4
	v_mul_f32_e32 v5, v29, v26
	v_fmac_f32_e32 v5, v30, v25
	v_add_f32_e32 v2, v2, v4
	v_mul_f32_e32 v4, v32, v28
	v_add_f32_e32 v3, v3, v5
	v_fma_f32 v4, v31, v27, -v4
	v_mul_f32_e32 v5, v31, v28
	v_fmac_f32_e32 v5, v32, v27
	v_add_f32_e32 v2, v2, v4
	v_add_f32_e32 v3, v3, v5
	v_mul_f32_e32 v4, s10, v2
	v_mul_f32_e32 v2, s11, v2
	v_fmac_f32_e32 v4, s11, v3
	v_fma_f32 v3, s10, v3, -v2
	s_waitcnt vmcnt(0)
	v_add_f32_e32 v2, v34, v4
	v_add_f32_e32 v3, v35, v3
	global_store_dwordx2 v[10:11], v[2:3], off
	s_branch .LBB1867_3
.LBB1867_16:
	s_endpgm
	.section	.rodata,"a",@progbits
	.p2align	6, 0x0
	.amdhsa_kernel _ZL26rocblas_syr2k_her2k_kernelIlLb1ELb1ELb1ELi32EPK19rocblas_complex_numIfES3_PS1_EvbiT_T4_T5_S5_lS7_S5_lT6_S5_li
		.amdhsa_group_segment_fixed_size 16384
		.amdhsa_private_segment_fixed_size 0
		.amdhsa_kernarg_size 100
		.amdhsa_user_sgpr_count 6
		.amdhsa_user_sgpr_private_segment_buffer 1
		.amdhsa_user_sgpr_dispatch_ptr 0
		.amdhsa_user_sgpr_queue_ptr 0
		.amdhsa_user_sgpr_kernarg_segment_ptr 1
		.amdhsa_user_sgpr_dispatch_id 0
		.amdhsa_user_sgpr_flat_scratch_init 0
		.amdhsa_user_sgpr_private_segment_size 0
		.amdhsa_uses_dynamic_stack 0
		.amdhsa_system_sgpr_private_segment_wavefront_offset 0
		.amdhsa_system_sgpr_workgroup_id_x 1
		.amdhsa_system_sgpr_workgroup_id_y 1
		.amdhsa_system_sgpr_workgroup_id_z 1
		.amdhsa_system_sgpr_workgroup_info 0
		.amdhsa_system_vgpr_workitem_id 1
		.amdhsa_next_free_vgpr 40
		.amdhsa_next_free_sgpr 61
		.amdhsa_reserve_vcc 1
		.amdhsa_reserve_flat_scratch 0
		.amdhsa_float_round_mode_32 0
		.amdhsa_float_round_mode_16_64 0
		.amdhsa_float_denorm_mode_32 3
		.amdhsa_float_denorm_mode_16_64 3
		.amdhsa_dx10_clamp 1
		.amdhsa_ieee_mode 1
		.amdhsa_fp16_overflow 0
		.amdhsa_exception_fp_ieee_invalid_op 0
		.amdhsa_exception_fp_denorm_src 0
		.amdhsa_exception_fp_ieee_div_zero 0
		.amdhsa_exception_fp_ieee_overflow 0
		.amdhsa_exception_fp_ieee_underflow 0
		.amdhsa_exception_fp_ieee_inexact 0
		.amdhsa_exception_int_div_zero 0
	.end_amdhsa_kernel
	.section	.text._ZL26rocblas_syr2k_her2k_kernelIlLb1ELb1ELb1ELi32EPK19rocblas_complex_numIfES3_PS1_EvbiT_T4_T5_S5_lS7_S5_lT6_S5_li,"axG",@progbits,_ZL26rocblas_syr2k_her2k_kernelIlLb1ELb1ELb1ELi32EPK19rocblas_complex_numIfES3_PS1_EvbiT_T4_T5_S5_lS7_S5_lT6_S5_li,comdat
.Lfunc_end1867:
	.size	_ZL26rocblas_syr2k_her2k_kernelIlLb1ELb1ELb1ELi32EPK19rocblas_complex_numIfES3_PS1_EvbiT_T4_T5_S5_lS7_S5_lT6_S5_li, .Lfunc_end1867-_ZL26rocblas_syr2k_her2k_kernelIlLb1ELb1ELb1ELi32EPK19rocblas_complex_numIfES3_PS1_EvbiT_T4_T5_S5_lS7_S5_lT6_S5_li
                                        ; -- End function
	.set _ZL26rocblas_syr2k_her2k_kernelIlLb1ELb1ELb1ELi32EPK19rocblas_complex_numIfES3_PS1_EvbiT_T4_T5_S5_lS7_S5_lT6_S5_li.num_vgpr, 40
	.set _ZL26rocblas_syr2k_her2k_kernelIlLb1ELb1ELb1ELi32EPK19rocblas_complex_numIfES3_PS1_EvbiT_T4_T5_S5_lS7_S5_lT6_S5_li.num_agpr, 0
	.set _ZL26rocblas_syr2k_her2k_kernelIlLb1ELb1ELb1ELi32EPK19rocblas_complex_numIfES3_PS1_EvbiT_T4_T5_S5_lS7_S5_lT6_S5_li.numbered_sgpr, 32
	.set _ZL26rocblas_syr2k_her2k_kernelIlLb1ELb1ELb1ELi32EPK19rocblas_complex_numIfES3_PS1_EvbiT_T4_T5_S5_lS7_S5_lT6_S5_li.num_named_barrier, 0
	.set _ZL26rocblas_syr2k_her2k_kernelIlLb1ELb1ELb1ELi32EPK19rocblas_complex_numIfES3_PS1_EvbiT_T4_T5_S5_lS7_S5_lT6_S5_li.private_seg_size, 0
	.set _ZL26rocblas_syr2k_her2k_kernelIlLb1ELb1ELb1ELi32EPK19rocblas_complex_numIfES3_PS1_EvbiT_T4_T5_S5_lS7_S5_lT6_S5_li.uses_vcc, 1
	.set _ZL26rocblas_syr2k_her2k_kernelIlLb1ELb1ELb1ELi32EPK19rocblas_complex_numIfES3_PS1_EvbiT_T4_T5_S5_lS7_S5_lT6_S5_li.uses_flat_scratch, 0
	.set _ZL26rocblas_syr2k_her2k_kernelIlLb1ELb1ELb1ELi32EPK19rocblas_complex_numIfES3_PS1_EvbiT_T4_T5_S5_lS7_S5_lT6_S5_li.has_dyn_sized_stack, 0
	.set _ZL26rocblas_syr2k_her2k_kernelIlLb1ELb1ELb1ELi32EPK19rocblas_complex_numIfES3_PS1_EvbiT_T4_T5_S5_lS7_S5_lT6_S5_li.has_recursion, 0
	.set _ZL26rocblas_syr2k_her2k_kernelIlLb1ELb1ELb1ELi32EPK19rocblas_complex_numIfES3_PS1_EvbiT_T4_T5_S5_lS7_S5_lT6_S5_li.has_indirect_call, 0
	.section	.AMDGPU.csdata,"",@progbits
; Kernel info:
; codeLenInByte = 3572
; TotalNumSgprs: 36
; NumVgprs: 40
; ScratchSize: 0
; MemoryBound: 0
; FloatMode: 240
; IeeeMode: 1
; LDSByteSize: 16384 bytes/workgroup (compile time only)
; SGPRBlocks: 8
; VGPRBlocks: 9
; NumSGPRsForWavesPerEU: 65
; NumVGPRsForWavesPerEU: 40
; Occupancy: 6
; WaveLimiterHint : 0
; COMPUTE_PGM_RSRC2:SCRATCH_EN: 0
; COMPUTE_PGM_RSRC2:USER_SGPR: 6
; COMPUTE_PGM_RSRC2:TRAP_HANDLER: 0
; COMPUTE_PGM_RSRC2:TGID_X_EN: 1
; COMPUTE_PGM_RSRC2:TGID_Y_EN: 1
; COMPUTE_PGM_RSRC2:TGID_Z_EN: 1
; COMPUTE_PGM_RSRC2:TIDIG_COMP_CNT: 1
	.section	.text._ZL26rocblas_syr2k_her2k_kernelIlLb1ELb1ELb0ELi32E19rocblas_complex_numIdEPKS1_PS1_EvbiT_T4_T5_S5_lS7_S5_lT6_S5_li,"axG",@progbits,_ZL26rocblas_syr2k_her2k_kernelIlLb1ELb1ELb0ELi32E19rocblas_complex_numIdEPKS1_PS1_EvbiT_T4_T5_S5_lS7_S5_lT6_S5_li,comdat
	.globl	_ZL26rocblas_syr2k_her2k_kernelIlLb1ELb1ELb0ELi32E19rocblas_complex_numIdEPKS1_PS1_EvbiT_T4_T5_S5_lS7_S5_lT6_S5_li ; -- Begin function _ZL26rocblas_syr2k_her2k_kernelIlLb1ELb1ELb0ELi32E19rocblas_complex_numIdEPKS1_PS1_EvbiT_T4_T5_S5_lS7_S5_lT6_S5_li
	.p2align	8
	.type	_ZL26rocblas_syr2k_her2k_kernelIlLb1ELb1ELb0ELi32E19rocblas_complex_numIdEPKS1_PS1_EvbiT_T4_T5_S5_lS7_S5_lT6_S5_li,@function
_ZL26rocblas_syr2k_her2k_kernelIlLb1ELb1ELb0ELi32E19rocblas_complex_numIdEPKS1_PS1_EvbiT_T4_T5_S5_lS7_S5_lT6_S5_li: ; @_ZL26rocblas_syr2k_her2k_kernelIlLb1ELb1ELb0ELi32E19rocblas_complex_numIdEPKS1_PS1_EvbiT_T4_T5_S5_lS7_S5_lT6_S5_li
; %bb.0:
	s_load_dwordx16 s[12:27], s[4:5], 0x8
	s_waitcnt lgkmcnt(0)
	v_cmp_eq_f64_e64 s[0:1], s[14:15], 0
	v_cmp_eq_f64_e64 s[2:3], s[16:17], 0
	s_and_b64 s[0:1], s[0:1], s[2:3]
	s_and_b64 vcc, exec, s[0:1]
	s_cbranch_vccnz .LBB1868_16
; %bb.1:
	s_load_dwordx2 s[10:11], s[4:5], 0x0
	s_lshl_b32 s2, s7, 5
	s_lshl_b32 s3, s6, 5
	s_waitcnt lgkmcnt(0)
	s_and_b32 s0, 1, s10
	s_cmp_eq_u32 s0, 1
	s_cselect_b64 s[0:1], -1, 0
	s_and_b64 s[6:7], s[0:1], exec
	s_cselect_b32 s6, s3, s2
	s_cselect_b32 s7, s2, s3
	s_cmp_gt_i32 s6, s7
	v_cmp_lt_i64_e64 s[6:7], s[12:13], 1
	s_cselect_b64 s[28:29], -1, 0
	s_or_b64 s[6:7], s[28:29], s[6:7]
	s_and_b64 vcc, exec, s[6:7]
	s_cbranch_vccnz .LBB1868_16
; %bb.2:
	s_load_dwordx8 s[36:43], s[4:5], 0x48
	s_mul_i32 s6, s23, s8
	s_mul_hi_u32 s7, s22, s8
	v_add_u32_e32 v2, s2, v1
	v_lshlrev_b32_e32 v32, 9, v0
	s_waitcnt lgkmcnt(0)
	s_mul_i32 s5, s43, s8
	s_mul_hi_u32 s9, s42, s8
	s_mul_i32 s4, s42, s8
	s_add_i32 s5, s9, s5
	s_lshl_b64 s[4:5], s[4:5], 4
	s_add_u32 s9, s38, s4
	s_addc_u32 s10, s39, s5
	s_add_i32 s5, s7, s6
	s_mul_i32 s4, s22, s8
	s_lshl_b64 s[4:5], s[4:5], 4
	v_lshlrev_b32_e32 v6, 4, v1
	s_add_u32 s28, s18, s4
	v_add_u32_e32 v33, v32, v6
	v_or_b32_e32 v34, 0x4000, v6
	v_ashrrev_i32_e32 v6, 31, v2
	s_addc_u32 s29, s19, s5
	v_mul_lo_u32 v11, s40, v6
	v_mul_lo_u32 v12, s41, v2
	v_mad_u64_u32 v[6:7], s[4:5], s40, v2, 0
	v_add_u32_e32 v4, s3, v0
	v_max_i32_e32 v10, v4, v2
	v_cmp_gt_i32_e32 vcc, s11, v10
	v_add3_u32 v7, v7, v11, v12
	v_mad_u64_u32 v[10:11], s[6:7], s20, v0, 0
	v_cndmask_b32_e64 v8, v4, v2, s[0:1]
	v_cndmask_b32_e64 v9, v2, v4, s[0:1]
	v_lshlrev_b64 v[6:7], 4, v[6:7]
	v_cmp_le_i32_e64 s[4:5], v9, v8
	s_and_b64 s[4:5], s[4:5], vcc
	v_ashrrev_i32_e32 v9, 31, v4
	v_mov_b32_e32 v8, v4
	v_mov_b32_e32 v12, s10
	v_add_co_u32_e32 v13, vcc, s9, v6
	v_addc_co_u32_e32 v12, vcc, v12, v7, vcc
	v_lshlrev_b64 v[6:7], 4, v[8:9]
	v_mov_b32_e32 v8, v11
	v_mad_u64_u32 v[8:9], s[6:7], s21, v0, v[8:9]
	v_mov_b32_e32 v5, 0
	s_ashr_i32 s3, s11, 31
	s_mov_b32 s2, s11
	v_mov_b32_e32 v3, v5
	v_add_co_u32_e32 v30, vcc, v13, v6
	v_mov_b32_e32 v11, v8
	v_mad_u64_u32 v[8:9], s[6:7], s20, v1, 0
	v_cmp_gt_i64_e64 s[0:1], s[2:3], v[4:5]
	v_cmp_gt_i64_e64 s[2:3], s[2:3], v[2:3]
	v_addc_co_u32_e32 v31, vcc, v12, v7, vcc
	v_lshlrev_b64 v[6:7], 4, v[10:11]
	v_lshlrev_b64 v[2:3], 4, v[2:3]
	v_mad_u64_u32 v[10:11], s[10:11], s26, v0, 0
	v_add_co_u32_e32 v6, vcc, v6, v2
	v_or_b32_e32 v37, 8, v6
	v_mov_b32_e32 v6, v9
	v_addc_co_u32_e32 v36, vcc, v7, v3, vcc
	v_mad_u64_u32 v[6:7], s[6:7], s21, v1, v[6:7]
	v_lshlrev_b64 v[4:5], 4, v[4:5]
	s_mul_i32 s9, s37, s8
	v_mov_b32_e32 v9, v6
	v_lshlrev_b64 v[6:7], 4, v[8:9]
	v_mov_b32_e32 v8, v11
	v_mad_u64_u32 v[8:9], s[10:11], s27, v0, v[8:9]
	v_add_co_u32_e32 v38, vcc, v6, v4
	v_mov_b32_e32 v11, v8
	v_addc_co_u32_e32 v39, vcc, v7, v5, vcc
	v_lshlrev_b64 v[6:7], 4, v[10:11]
	s_mul_hi_u32 s10, s36, s8
	v_add_co_u32_e32 v40, vcc, v6, v2
	v_addc_co_u32_e32 v41, vcc, v7, v3, vcc
	s_add_i32 s9, s10, s9
	v_mad_u64_u32 v[2:3], s[10:11], s26, v1, 0
	s_mul_i32 s8, s36, s8
	s_lshl_b64 s[6:7], s[20:21], 9
	s_lshl_b64 s[8:9], s[8:9], 4
	s_add_u32 s10, s24, s8
	s_addc_u32 s11, s25, s9
	v_mad_u64_u32 v[6:7], s[8:9], s27, v1, v[3:4]
	s_add_u32 s24, s10, 8
	v_add_u32_e32 v35, v34, v32
	v_mov_b32_e32 v3, v6
	v_lshlrev_b64 v[2:3], 4, v[2:3]
	s_addc_u32 s25, s11, 0
	v_add_co_u32_e32 v42, vcc, v2, v4
	s_lshl_b64 s[8:9], s[26:27], 9
	v_addc_co_u32_e32 v43, vcc, v3, v5, vcc
	s_mov_b64 s[10:11], 0
	s_branch .LBB1868_4
.LBB1868_3:                             ;   in Loop: Header=BB1868_4 Depth=1
	s_or_b64 exec, exec, s[18:19]
	s_add_u32 s10, s10, 32
	s_addc_u32 s11, s11, 0
	v_mov_b32_e32 v2, s12
	s_add_u32 s28, s28, s6
	v_mov_b32_e32 v3, s13
	s_addc_u32 s29, s29, s7
	v_cmp_lt_i64_e32 vcc, s[10:11], v[2:3]
	s_add_u32 s24, s24, s8
	s_addc_u32 s25, s25, s9
	s_waitcnt vmcnt(0)
	s_barrier
	s_cbranch_vccz .LBB1868_16
.LBB1868_4:                             ; =>This Inner Loop Header: Depth=1
	v_mov_b32_e32 v3, s11
	v_add_co_u32_e32 v2, vcc, s10, v1
	v_addc_co_u32_e32 v3, vcc, 0, v3, vcc
	v_cmp_gt_i64_e32 vcc, s[12:13], v[2:3]
	v_mov_b32_e32 v2, 0
	v_mov_b32_e32 v4, 0
	;; [unrolled: 1-line block ×6, first 2 shown]
	s_and_b64 s[18:19], s[0:1], vcc
	s_and_saveexec_b64 s[20:21], s[18:19]
	s_cbranch_execz .LBB1868_6
; %bb.5:                                ;   in Loop: Header=BB1868_4 Depth=1
	v_mov_b32_e32 v5, s29
	v_add_co_u32_e32 v4, vcc, s28, v38
	v_addc_co_u32_e32 v5, vcc, v5, v39, vcc
	global_load_dwordx4 v[4:7], v[4:5], off
.LBB1868_6:                             ;   in Loop: Header=BB1868_4 Depth=1
	s_or_b64 exec, exec, s[20:21]
	s_waitcnt vmcnt(0)
	ds_write_b128 v33, v[4:7]
	v_mov_b32_e32 v5, s11
	v_add_co_u32_e32 v4, vcc, s10, v0
	v_addc_co_u32_e32 v5, vcc, 0, v5, vcc
	v_cmp_gt_i64_e32 vcc, s[12:13], v[4:5]
	v_mov_b32_e32 v4, 0
	v_mov_b32_e32 v5, 0
	s_and_b64 s[20:21], s[2:3], vcc
	s_and_saveexec_b64 s[22:23], s[20:21]
	s_cbranch_execz .LBB1868_8
; %bb.7:                                ;   in Loop: Header=BB1868_4 Depth=1
	v_mov_b32_e32 v3, s25
	v_add_co_u32_e32 v2, vcc, s24, v40
	v_addc_co_u32_e32 v3, vcc, v3, v41, vcc
	global_load_dwordx4 v[2:5], v[2:3], off offset:-8
	s_waitcnt vmcnt(0)
	v_xor_b32_e32 v5, 0x80000000, v5
.LBB1868_8:                             ;   in Loop: Header=BB1868_4 Depth=1
	s_or_b64 exec, exec, s[22:23]
	ds_write_b128 v35, v[2:5]
	s_waitcnt lgkmcnt(0)
	s_barrier
	s_and_saveexec_b64 s[22:23], s[4:5]
	s_cbranch_execz .LBB1868_10
; %bb.9:                                ;   in Loop: Header=BB1868_4 Depth=1
	ds_read_b128 v[6:9], v34
	ds_read_b128 v[10:13], v32
	ds_read_b128 v[14:17], v32 offset:16
	ds_read_b128 v[18:21], v32 offset:32
	;; [unrolled: 1-line block ×3, first 2 shown]
	s_waitcnt lgkmcnt(3)
	v_mul_f64 v[22:23], v[8:9], v[12:13]
	v_fma_f64 v[22:23], v[6:7], v[10:11], -v[22:23]
	v_mul_f64 v[6:7], v[6:7], v[12:13]
	v_fma_f64 v[6:7], v[8:9], v[10:11], v[6:7]
	v_add_f64 v[10:11], v[22:23], 0
	v_add_f64 v[12:13], v[6:7], 0
	ds_read_b128 v[6:9], v34 offset:512
	s_waitcnt lgkmcnt(0)
	v_mul_f64 v[22:23], v[8:9], v[16:17]
	v_fma_f64 v[22:23], v[6:7], v[14:15], -v[22:23]
	v_mul_f64 v[6:7], v[6:7], v[16:17]
	v_add_f64 v[10:11], v[10:11], v[22:23]
	v_fma_f64 v[6:7], v[8:9], v[14:15], v[6:7]
	v_add_f64 v[12:13], v[12:13], v[6:7]
	ds_read_b128 v[6:9], v34 offset:1024
	s_waitcnt lgkmcnt(0)
	v_mul_f64 v[14:15], v[8:9], v[20:21]
	v_fma_f64 v[14:15], v[6:7], v[18:19], -v[14:15]
	v_mul_f64 v[6:7], v[6:7], v[20:21]
	v_add_f64 v[10:11], v[10:11], v[14:15]
	v_fma_f64 v[6:7], v[8:9], v[18:19], v[6:7]
	v_add_f64 v[12:13], v[12:13], v[6:7]
	ds_read_b128 v[6:9], v34 offset:1536
	s_waitcnt lgkmcnt(0)
	v_mul_f64 v[14:15], v[8:9], v[4:5]
	v_mul_f64 v[4:5], v[6:7], v[4:5]
	v_fma_f64 v[14:15], v[6:7], v[2:3], -v[14:15]
	v_fma_f64 v[2:3], v[8:9], v[2:3], v[4:5]
	v_add_f64 v[10:11], v[10:11], v[14:15]
	v_add_f64 v[12:13], v[12:13], v[2:3]
	ds_read_b128 v[2:5], v34 offset:2048
	ds_read_b128 v[6:9], v32 offset:64
	s_waitcnt lgkmcnt(0)
	v_mul_f64 v[14:15], v[4:5], v[8:9]
	v_fma_f64 v[14:15], v[2:3], v[6:7], -v[14:15]
	v_mul_f64 v[2:3], v[2:3], v[8:9]
	v_add_f64 v[10:11], v[10:11], v[14:15]
	v_fma_f64 v[2:3], v[4:5], v[6:7], v[2:3]
	v_add_f64 v[12:13], v[12:13], v[2:3]
	ds_read_b128 v[2:5], v34 offset:2560
	ds_read_b128 v[6:9], v32 offset:80
	s_waitcnt lgkmcnt(0)
	v_mul_f64 v[14:15], v[4:5], v[8:9]
	v_fma_f64 v[14:15], v[2:3], v[6:7], -v[14:15]
	v_mul_f64 v[2:3], v[2:3], v[8:9]
	v_add_f64 v[10:11], v[10:11], v[14:15]
	v_fma_f64 v[2:3], v[4:5], v[6:7], v[2:3]
	v_add_f64 v[12:13], v[12:13], v[2:3]
	ds_read_b128 v[2:5], v34 offset:3072
	ds_read_b128 v[6:9], v32 offset:96
	s_waitcnt lgkmcnt(0)
	v_mul_f64 v[14:15], v[4:5], v[8:9]
	v_fma_f64 v[14:15], v[2:3], v[6:7], -v[14:15]
	v_mul_f64 v[2:3], v[2:3], v[8:9]
	v_add_f64 v[10:11], v[10:11], v[14:15]
	v_fma_f64 v[2:3], v[4:5], v[6:7], v[2:3]
	v_add_f64 v[12:13], v[12:13], v[2:3]
	ds_read_b128 v[2:5], v34 offset:3584
	ds_read_b128 v[6:9], v32 offset:112
	s_waitcnt lgkmcnt(0)
	v_mul_f64 v[14:15], v[4:5], v[8:9]
	v_fma_f64 v[14:15], v[2:3], v[6:7], -v[14:15]
	v_mul_f64 v[2:3], v[2:3], v[8:9]
	v_add_f64 v[10:11], v[10:11], v[14:15]
	v_fma_f64 v[2:3], v[4:5], v[6:7], v[2:3]
	v_add_f64 v[12:13], v[12:13], v[2:3]
	ds_read_b128 v[2:5], v34 offset:4096
	ds_read_b128 v[6:9], v32 offset:128
	s_waitcnt lgkmcnt(0)
	v_mul_f64 v[14:15], v[4:5], v[8:9]
	v_fma_f64 v[14:15], v[2:3], v[6:7], -v[14:15]
	v_mul_f64 v[2:3], v[2:3], v[8:9]
	v_add_f64 v[10:11], v[10:11], v[14:15]
	v_fma_f64 v[2:3], v[4:5], v[6:7], v[2:3]
	v_add_f64 v[12:13], v[12:13], v[2:3]
	ds_read_b128 v[2:5], v34 offset:4608
	ds_read_b128 v[6:9], v32 offset:144
	s_waitcnt lgkmcnt(0)
	v_mul_f64 v[14:15], v[4:5], v[8:9]
	v_fma_f64 v[14:15], v[2:3], v[6:7], -v[14:15]
	v_mul_f64 v[2:3], v[2:3], v[8:9]
	v_add_f64 v[10:11], v[10:11], v[14:15]
	v_fma_f64 v[2:3], v[4:5], v[6:7], v[2:3]
	v_add_f64 v[12:13], v[12:13], v[2:3]
	ds_read_b128 v[2:5], v34 offset:5120
	ds_read_b128 v[6:9], v32 offset:160
	s_waitcnt lgkmcnt(0)
	v_mul_f64 v[14:15], v[4:5], v[8:9]
	v_fma_f64 v[14:15], v[2:3], v[6:7], -v[14:15]
	v_mul_f64 v[2:3], v[2:3], v[8:9]
	v_add_f64 v[10:11], v[10:11], v[14:15]
	v_fma_f64 v[2:3], v[4:5], v[6:7], v[2:3]
	v_add_f64 v[12:13], v[12:13], v[2:3]
	ds_read_b128 v[2:5], v34 offset:5632
	ds_read_b128 v[6:9], v32 offset:176
	s_waitcnt lgkmcnt(0)
	v_mul_f64 v[14:15], v[4:5], v[8:9]
	v_fma_f64 v[14:15], v[2:3], v[6:7], -v[14:15]
	v_mul_f64 v[2:3], v[2:3], v[8:9]
	v_add_f64 v[10:11], v[10:11], v[14:15]
	v_fma_f64 v[2:3], v[4:5], v[6:7], v[2:3]
	v_add_f64 v[12:13], v[12:13], v[2:3]
	ds_read_b128 v[2:5], v34 offset:6144
	ds_read_b128 v[6:9], v32 offset:192
	s_waitcnt lgkmcnt(0)
	v_mul_f64 v[14:15], v[4:5], v[8:9]
	v_fma_f64 v[14:15], v[2:3], v[6:7], -v[14:15]
	v_mul_f64 v[2:3], v[2:3], v[8:9]
	v_add_f64 v[10:11], v[10:11], v[14:15]
	v_fma_f64 v[2:3], v[4:5], v[6:7], v[2:3]
	v_add_f64 v[12:13], v[12:13], v[2:3]
	ds_read_b128 v[2:5], v34 offset:6656
	ds_read_b128 v[6:9], v32 offset:208
	s_waitcnt lgkmcnt(0)
	v_mul_f64 v[14:15], v[4:5], v[8:9]
	v_fma_f64 v[14:15], v[2:3], v[6:7], -v[14:15]
	v_mul_f64 v[2:3], v[2:3], v[8:9]
	v_add_f64 v[10:11], v[10:11], v[14:15]
	v_fma_f64 v[2:3], v[4:5], v[6:7], v[2:3]
	v_add_f64 v[12:13], v[12:13], v[2:3]
	ds_read_b128 v[2:5], v34 offset:7168
	ds_read_b128 v[6:9], v32 offset:224
	s_waitcnt lgkmcnt(0)
	v_mul_f64 v[14:15], v[4:5], v[8:9]
	v_fma_f64 v[14:15], v[2:3], v[6:7], -v[14:15]
	v_mul_f64 v[2:3], v[2:3], v[8:9]
	v_add_f64 v[10:11], v[10:11], v[14:15]
	v_fma_f64 v[2:3], v[4:5], v[6:7], v[2:3]
	v_add_f64 v[12:13], v[12:13], v[2:3]
	ds_read_b128 v[2:5], v34 offset:7680
	ds_read_b128 v[6:9], v32 offset:240
	s_waitcnt lgkmcnt(0)
	v_mul_f64 v[14:15], v[4:5], v[8:9]
	v_fma_f64 v[14:15], v[2:3], v[6:7], -v[14:15]
	v_mul_f64 v[2:3], v[2:3], v[8:9]
	v_add_f64 v[10:11], v[10:11], v[14:15]
	v_fma_f64 v[2:3], v[4:5], v[6:7], v[2:3]
	v_add_f64 v[12:13], v[12:13], v[2:3]
	ds_read_b128 v[2:5], v34 offset:8192
	ds_read_b128 v[6:9], v32 offset:256
	s_waitcnt lgkmcnt(0)
	v_mul_f64 v[14:15], v[4:5], v[8:9]
	v_fma_f64 v[14:15], v[2:3], v[6:7], -v[14:15]
	v_mul_f64 v[2:3], v[2:3], v[8:9]
	v_add_f64 v[10:11], v[10:11], v[14:15]
	v_fma_f64 v[2:3], v[4:5], v[6:7], v[2:3]
	v_add_f64 v[12:13], v[12:13], v[2:3]
	ds_read_b128 v[2:5], v34 offset:8704
	ds_read_b128 v[6:9], v32 offset:272
	s_waitcnt lgkmcnt(0)
	v_mul_f64 v[14:15], v[4:5], v[8:9]
	v_fma_f64 v[14:15], v[2:3], v[6:7], -v[14:15]
	v_mul_f64 v[2:3], v[2:3], v[8:9]
	v_add_f64 v[10:11], v[10:11], v[14:15]
	v_fma_f64 v[2:3], v[4:5], v[6:7], v[2:3]
	v_add_f64 v[12:13], v[12:13], v[2:3]
	ds_read_b128 v[2:5], v34 offset:9216
	ds_read_b128 v[6:9], v32 offset:288
	s_waitcnt lgkmcnt(0)
	v_mul_f64 v[14:15], v[4:5], v[8:9]
	v_fma_f64 v[14:15], v[2:3], v[6:7], -v[14:15]
	v_mul_f64 v[2:3], v[2:3], v[8:9]
	v_add_f64 v[10:11], v[10:11], v[14:15]
	v_fma_f64 v[2:3], v[4:5], v[6:7], v[2:3]
	v_add_f64 v[12:13], v[12:13], v[2:3]
	ds_read_b128 v[2:5], v34 offset:9728
	ds_read_b128 v[6:9], v32 offset:304
	s_waitcnt lgkmcnt(0)
	v_mul_f64 v[14:15], v[4:5], v[8:9]
	v_fma_f64 v[14:15], v[2:3], v[6:7], -v[14:15]
	v_mul_f64 v[2:3], v[2:3], v[8:9]
	v_add_f64 v[10:11], v[10:11], v[14:15]
	v_fma_f64 v[2:3], v[4:5], v[6:7], v[2:3]
	v_add_f64 v[12:13], v[12:13], v[2:3]
	ds_read_b128 v[2:5], v34 offset:10240
	ds_read_b128 v[6:9], v32 offset:320
	s_waitcnt lgkmcnt(0)
	v_mul_f64 v[14:15], v[4:5], v[8:9]
	v_fma_f64 v[14:15], v[2:3], v[6:7], -v[14:15]
	v_mul_f64 v[2:3], v[2:3], v[8:9]
	v_add_f64 v[10:11], v[10:11], v[14:15]
	v_fma_f64 v[2:3], v[4:5], v[6:7], v[2:3]
	v_add_f64 v[12:13], v[12:13], v[2:3]
	ds_read_b128 v[2:5], v34 offset:10752
	ds_read_b128 v[6:9], v32 offset:336
	s_waitcnt lgkmcnt(0)
	v_mul_f64 v[14:15], v[4:5], v[8:9]
	v_fma_f64 v[14:15], v[2:3], v[6:7], -v[14:15]
	v_mul_f64 v[2:3], v[2:3], v[8:9]
	v_add_f64 v[10:11], v[10:11], v[14:15]
	v_fma_f64 v[2:3], v[4:5], v[6:7], v[2:3]
	v_add_f64 v[12:13], v[12:13], v[2:3]
	ds_read_b128 v[2:5], v34 offset:11264
	ds_read_b128 v[6:9], v32 offset:352
	s_waitcnt lgkmcnt(0)
	v_mul_f64 v[14:15], v[4:5], v[8:9]
	v_fma_f64 v[14:15], v[2:3], v[6:7], -v[14:15]
	v_mul_f64 v[2:3], v[2:3], v[8:9]
	v_add_f64 v[10:11], v[10:11], v[14:15]
	v_fma_f64 v[2:3], v[4:5], v[6:7], v[2:3]
	v_add_f64 v[12:13], v[12:13], v[2:3]
	ds_read_b128 v[2:5], v34 offset:11776
	ds_read_b128 v[6:9], v32 offset:368
	s_waitcnt lgkmcnt(0)
	v_mul_f64 v[14:15], v[4:5], v[8:9]
	v_fma_f64 v[14:15], v[2:3], v[6:7], -v[14:15]
	v_mul_f64 v[2:3], v[2:3], v[8:9]
	v_add_f64 v[10:11], v[10:11], v[14:15]
	v_fma_f64 v[2:3], v[4:5], v[6:7], v[2:3]
	v_add_f64 v[12:13], v[12:13], v[2:3]
	ds_read_b128 v[2:5], v34 offset:12288
	ds_read_b128 v[6:9], v32 offset:384
	s_waitcnt lgkmcnt(0)
	v_mul_f64 v[14:15], v[4:5], v[8:9]
	v_fma_f64 v[14:15], v[2:3], v[6:7], -v[14:15]
	v_mul_f64 v[2:3], v[2:3], v[8:9]
	v_add_f64 v[10:11], v[10:11], v[14:15]
	v_fma_f64 v[2:3], v[4:5], v[6:7], v[2:3]
	v_add_f64 v[12:13], v[12:13], v[2:3]
	ds_read_b128 v[2:5], v34 offset:12800
	ds_read_b128 v[6:9], v32 offset:400
	s_waitcnt lgkmcnt(0)
	v_mul_f64 v[14:15], v[4:5], v[8:9]
	v_fma_f64 v[14:15], v[2:3], v[6:7], -v[14:15]
	v_mul_f64 v[2:3], v[2:3], v[8:9]
	v_add_f64 v[10:11], v[10:11], v[14:15]
	v_fma_f64 v[2:3], v[4:5], v[6:7], v[2:3]
	v_add_f64 v[12:13], v[12:13], v[2:3]
	ds_read_b128 v[2:5], v34 offset:13312
	ds_read_b128 v[6:9], v32 offset:416
	s_waitcnt lgkmcnt(0)
	v_mul_f64 v[14:15], v[4:5], v[8:9]
	v_fma_f64 v[14:15], v[2:3], v[6:7], -v[14:15]
	v_mul_f64 v[2:3], v[2:3], v[8:9]
	v_add_f64 v[10:11], v[10:11], v[14:15]
	v_fma_f64 v[2:3], v[4:5], v[6:7], v[2:3]
	v_add_f64 v[12:13], v[12:13], v[2:3]
	ds_read_b128 v[2:5], v34 offset:13824
	ds_read_b128 v[6:9], v32 offset:432
	s_waitcnt lgkmcnt(0)
	v_mul_f64 v[14:15], v[4:5], v[8:9]
	v_fma_f64 v[14:15], v[2:3], v[6:7], -v[14:15]
	v_mul_f64 v[2:3], v[2:3], v[8:9]
	v_add_f64 v[10:11], v[10:11], v[14:15]
	v_fma_f64 v[2:3], v[4:5], v[6:7], v[2:3]
	v_add_f64 v[12:13], v[12:13], v[2:3]
	ds_read_b128 v[2:5], v34 offset:14336
	ds_read_b128 v[6:9], v32 offset:448
	s_waitcnt lgkmcnt(0)
	v_mul_f64 v[14:15], v[4:5], v[8:9]
	v_fma_f64 v[14:15], v[2:3], v[6:7], -v[14:15]
	v_mul_f64 v[2:3], v[2:3], v[8:9]
	v_add_f64 v[10:11], v[10:11], v[14:15]
	v_fma_f64 v[2:3], v[4:5], v[6:7], v[2:3]
	v_add_f64 v[12:13], v[12:13], v[2:3]
	ds_read_b128 v[2:5], v34 offset:14848
	ds_read_b128 v[6:9], v32 offset:464
	s_waitcnt lgkmcnt(0)
	v_mul_f64 v[14:15], v[4:5], v[8:9]
	v_fma_f64 v[14:15], v[2:3], v[6:7], -v[14:15]
	v_mul_f64 v[2:3], v[2:3], v[8:9]
	v_add_f64 v[10:11], v[10:11], v[14:15]
	v_fma_f64 v[2:3], v[4:5], v[6:7], v[2:3]
	v_add_f64 v[12:13], v[12:13], v[2:3]
	ds_read_b128 v[2:5], v34 offset:15360
	ds_read_b128 v[6:9], v32 offset:480
	s_waitcnt lgkmcnt(0)
	v_mul_f64 v[14:15], v[4:5], v[8:9]
	v_fma_f64 v[14:15], v[2:3], v[6:7], -v[14:15]
	v_mul_f64 v[2:3], v[2:3], v[8:9]
	v_add_f64 v[10:11], v[10:11], v[14:15]
	v_fma_f64 v[2:3], v[4:5], v[6:7], v[2:3]
	v_add_f64 v[12:13], v[12:13], v[2:3]
	ds_read_b128 v[2:5], v34 offset:15872
	ds_read_b128 v[6:9], v32 offset:496
	s_waitcnt lgkmcnt(0)
	v_mul_f64 v[14:15], v[4:5], v[8:9]
	v_fma_f64 v[14:15], v[2:3], v[6:7], -v[14:15]
	v_mul_f64 v[2:3], v[2:3], v[8:9]
	v_fma_f64 v[2:3], v[4:5], v[6:7], v[2:3]
	v_add_f64 v[4:5], v[10:11], v[14:15]
	v_add_f64 v[2:3], v[12:13], v[2:3]
	v_mul_f64 v[6:7], s[16:17], v[2:3]
	v_mul_f64 v[2:3], s[14:15], v[2:3]
	v_fma_f64 v[6:7], s[14:15], v[4:5], -v[6:7]
	v_fma_f64 v[8:9], s[16:17], v[4:5], v[2:3]
	global_load_dwordx4 v[2:5], v[30:31], off
	s_waitcnt vmcnt(0)
	v_add_f64 v[2:3], v[2:3], v[6:7]
	v_add_f64 v[4:5], v[4:5], v[8:9]
	global_store_dwordx4 v[30:31], v[2:5], off
.LBB1868_10:                            ;   in Loop: Header=BB1868_4 Depth=1
	s_or_b64 exec, exec, s[22:23]
	v_mov_b32_e32 v4, 0
	v_mov_b32_e32 v8, 0
	;; [unrolled: 1-line block ×6, first 2 shown]
	s_waitcnt vmcnt(0)
	s_barrier
	s_and_saveexec_b64 s[22:23], s[18:19]
	s_cbranch_execz .LBB1868_12
; %bb.11:                               ;   in Loop: Header=BB1868_4 Depth=1
	v_mov_b32_e32 v3, s25
	v_add_co_u32_e32 v2, vcc, s24, v42
	v_addc_co_u32_e32 v3, vcc, v3, v43, vcc
	global_load_dwordx4 v[6:9], v[2:3], off offset:-8
.LBB1868_12:                            ;   in Loop: Header=BB1868_4 Depth=1
	s_or_b64 exec, exec, s[22:23]
	v_mov_b32_e32 v2, 0
	v_mov_b32_e32 v3, 0
	s_waitcnt vmcnt(0)
	ds_write_b128 v33, v[6:9]
	s_and_saveexec_b64 s[18:19], s[20:21]
	s_cbranch_execz .LBB1868_14
; %bb.13:                               ;   in Loop: Header=BB1868_4 Depth=1
	v_mov_b32_e32 v3, s29
	v_add_co_u32_e32 v2, vcc, s28, v37
	v_addc_co_u32_e32 v3, vcc, v3, v36, vcc
	global_load_dwordx4 v[2:5], v[2:3], off offset:-8
	s_waitcnt vmcnt(0)
	v_xor_b32_e32 v5, 0x80000000, v5
.LBB1868_14:                            ;   in Loop: Header=BB1868_4 Depth=1
	s_or_b64 exec, exec, s[18:19]
	ds_write_b128 v35, v[2:5]
	s_waitcnt lgkmcnt(0)
	s_barrier
	s_and_saveexec_b64 s[18:19], s[4:5]
	s_cbranch_execz .LBB1868_3
; %bb.15:                               ;   in Loop: Header=BB1868_4 Depth=1
	ds_read_b128 v[2:5], v34
	ds_read_b128 v[6:9], v32
	ds_read_b128 v[10:13], v32 offset:16
	ds_read_b128 v[14:17], v34 offset:512
	;; [unrolled: 1-line block ×3, first 2 shown]
	s_waitcnt lgkmcnt(3)
	v_mul_f64 v[22:23], v[4:5], v[8:9]
	v_mul_f64 v[8:9], v[2:3], v[8:9]
	s_waitcnt lgkmcnt(1)
	v_mul_f64 v[52:53], v[16:17], v[12:13]
	v_mul_f64 v[12:13], v[14:15], v[12:13]
	v_fma_f64 v[2:3], v[2:3], v[6:7], -v[22:23]
	ds_read_b128 v[22:25], v32 offset:32
	ds_read_b128 v[26:29], v32 offset:48
	;; [unrolled: 1-line block ×4, first 2 shown]
	v_fma_f64 v[56:57], v[4:5], v[6:7], v[8:9]
	s_waitcnt lgkmcnt(3)
	v_mul_f64 v[54:55], v[20:21], v[24:25]
	v_fma_f64 v[14:15], v[14:15], v[10:11], -v[52:53]
	v_mul_f64 v[24:25], v[18:19], v[24:25]
	s_waitcnt lgkmcnt(1)
	v_mul_f64 v[58:59], v[46:47], v[28:29]
	v_fma_f64 v[60:61], v[16:17], v[10:11], v[12:13]
	v_add_f64 v[52:53], v[2:3], 0
	ds_read_b128 v[2:5], v34 offset:2048
	ds_read_b128 v[6:9], v34 offset:2560
	v_mul_f64 v[28:29], v[44:45], v[28:29]
	v_fma_f64 v[18:19], v[18:19], v[22:23], -v[54:55]
	v_add_f64 v[54:55], v[56:57], 0
	s_waitcnt lgkmcnt(1)
	v_mul_f64 v[56:57], v[4:5], v[50:51]
	v_fma_f64 v[62:63], v[20:21], v[22:23], v[24:25]
	v_fma_f64 v[44:45], v[44:45], v[26:27], -v[58:59]
	v_add_f64 v[52:53], v[52:53], v[14:15]
	ds_read_b128 v[10:13], v32 offset:80
	ds_read_b128 v[14:17], v32 offset:96
	v_mul_f64 v[50:51], v[2:3], v[50:51]
	v_add_f64 v[54:55], v[54:55], v[60:61]
	s_waitcnt lgkmcnt(1)
	v_mul_f64 v[58:59], v[8:9], v[12:13]
	v_fma_f64 v[60:61], v[46:47], v[26:27], v[28:29]
	v_fma_f64 v[2:3], v[2:3], v[48:49], -v[56:57]
	v_add_f64 v[52:53], v[52:53], v[18:19]
	ds_read_b128 v[18:21], v34 offset:3072
	ds_read_b128 v[22:25], v34 offset:3584
	v_mul_f64 v[12:13], v[6:7], v[12:13]
	;; [unrolled: 9-line block ×7, first 2 shown]
	v_fma_f64 v[50:51], v[50:51], v[6:7], v[8:9]
	v_add_f64 v[54:55], v[54:55], v[60:61]
	s_waitcnt lgkmcnt(1)
	v_mul_f64 v[60:61], v[20:21], v[24:25]
	v_fma_f64 v[56:57], v[14:15], v[10:11], -v[56:57]
	v_mul_f64 v[24:25], v[18:19], v[24:25]
	v_add_f64 v[52:53], v[52:53], v[2:3]
	ds_read_b128 v[2:5], v34 offset:6144
	ds_read_b128 v[44:47], v34 offset:6656
	v_fma_f64 v[10:11], v[16:17], v[10:11], v[58:59]
	ds_read_b128 v[6:9], v32 offset:208
	ds_read_b128 v[12:15], v32 offset:224
	v_add_f64 v[54:55], v[54:55], v[62:63]
	v_fma_f64 v[58:59], v[18:19], v[22:23], -v[60:61]
	s_waitcnt lgkmcnt(1)
	v_mul_f64 v[60:61], v[46:47], v[8:9]
	v_add_f64 v[48:49], v[52:53], v[48:49]
	v_mul_f64 v[52:53], v[4:5], v[28:29]
	v_mul_f64 v[28:29], v[2:3], v[28:29]
	v_fma_f64 v[24:25], v[20:21], v[22:23], v[24:25]
	v_add_f64 v[54:55], v[54:55], v[50:51]
	v_add_f64 v[56:57], v[48:49], v[56:57]
	v_fma_f64 v[2:3], v[2:3], v[26:27], -v[52:53]
	ds_read_b128 v[16:19], v34 offset:7168
	ds_read_b128 v[48:51], v34 offset:7680
	v_fma_f64 v[26:27], v[4:5], v[26:27], v[28:29]
	v_add_f64 v[10:11], v[54:55], v[10:11]
	v_fma_f64 v[28:29], v[44:45], v[6:7], -v[60:61]
	s_waitcnt lgkmcnt(1)
	v_mul_f64 v[62:63], v[18:19], v[14:15]
	ds_read_b128 v[20:23], v32 offset:240
	ds_read_b128 v[52:55], v32 offset:256
	v_add_f64 v[56:57], v[56:57], v[58:59]
	v_mul_f64 v[58:59], v[44:45], v[8:9]
	s_waitcnt lgkmcnt(1)
	v_mul_f64 v[60:61], v[50:51], v[22:23]
	v_add_f64 v[24:25], v[10:11], v[24:25]
	v_mul_f64 v[22:23], v[48:49], v[22:23]
	v_add_f64 v[44:45], v[56:57], v[2:3]
	v_mul_f64 v[56:57], v[16:17], v[14:15]
	v_fma_f64 v[6:7], v[46:47], v[6:7], v[58:59]
	v_fma_f64 v[46:47], v[16:17], v[12:13], -v[62:63]
	v_add_f64 v[58:59], v[24:25], v[26:27]
	ds_read_b128 v[2:5], v34 offset:8192
	ds_read_b128 v[8:11], v34 offset:8704
	;; [unrolled: 1-line block ×4, first 2 shown]
	v_fma_f64 v[22:23], v[50:51], v[20:21], v[22:23]
	v_add_f64 v[28:29], v[44:45], v[28:29]
	s_waitcnt lgkmcnt(3)
	v_mul_f64 v[62:63], v[4:5], v[54:55]
	v_fma_f64 v[12:13], v[18:19], v[12:13], v[56:57]
	v_fma_f64 v[18:19], v[48:49], v[20:21], -v[60:61]
	v_add_f64 v[6:7], v[58:59], v[6:7]
	v_mul_f64 v[54:55], v[2:3], v[54:55]
	s_waitcnt lgkmcnt(1)
	v_mul_f64 v[60:61], v[10:11], v[16:17]
	v_mul_f64 v[16:17], v[8:9], v[16:17]
	v_add_f64 v[28:29], v[28:29], v[46:47]
	v_fma_f64 v[2:3], v[2:3], v[52:53], -v[62:63]
	ds_read_b128 v[44:47], v34 offset:9216
	ds_read_b128 v[56:59], v34 offset:9728
	v_add_f64 v[6:7], v[6:7], v[12:13]
	v_fma_f64 v[62:63], v[4:5], v[52:53], v[54:55]
	v_fma_f64 v[8:9], v[8:9], v[14:15], -v[60:61]
	v_fma_f64 v[10:11], v[10:11], v[14:15], v[16:17]
	v_add_f64 v[12:13], v[28:29], v[18:19]
	s_waitcnt lgkmcnt(1)
	v_mul_f64 v[28:29], v[46:47], v[26:27]
	ds_read_b128 v[18:21], v32 offset:304
	ds_read_b128 v[48:51], v32 offset:320
	v_add_f64 v[22:23], v[6:7], v[22:23]
	ds_read_b128 v[4:7], v34 offset:10240
	ds_read_b128 v[52:55], v34 offset:10752
	s_waitcnt lgkmcnt(3)
	v_mul_f64 v[60:61], v[58:59], v[20:21]
	v_add_f64 v[2:3], v[12:13], v[2:3]
	v_mul_f64 v[12:13], v[44:45], v[26:27]
	v_fma_f64 v[44:45], v[44:45], v[24:25], -v[28:29]
	ds_read_b128 v[14:17], v32 offset:336
	ds_read_b128 v[26:29], v32 offset:352
	v_add_f64 v[22:23], v[22:23], v[62:63]
	s_waitcnt lgkmcnt(3)
	v_mul_f64 v[62:63], v[6:7], v[50:51]
	v_mul_f64 v[50:51], v[4:5], v[50:51]
	v_add_f64 v[2:3], v[2:3], v[8:9]
	v_mul_f64 v[8:9], v[56:57], v[20:21]
	v_fma_f64 v[12:13], v[46:47], v[24:25], v[12:13]
	v_fma_f64 v[24:25], v[56:57], v[18:19], -v[60:61]
	v_add_f64 v[10:11], v[22:23], v[10:11]
	s_waitcnt lgkmcnt(1)
	v_mul_f64 v[60:61], v[54:55], v[16:17]
	v_mul_f64 v[16:17], v[52:53], v[16:17]
	v_add_f64 v[2:3], v[2:3], v[44:45]
	v_fma_f64 v[8:9], v[58:59], v[18:19], v[8:9]
	v_fma_f64 v[18:19], v[4:5], v[48:49], -v[62:63]
	ds_read_b128 v[20:23], v34 offset:11264
	ds_read_b128 v[44:47], v34 offset:11776
	v_add_f64 v[10:11], v[10:11], v[12:13]
	v_fma_f64 v[48:49], v[6:7], v[48:49], v[50:51]
	v_fma_f64 v[50:51], v[52:53], v[14:15], -v[60:61]
	v_fma_f64 v[54:55], v[54:55], v[14:15], v[16:17]
	v_add_f64 v[12:13], v[2:3], v[24:25]
	s_waitcnt lgkmcnt(1)
	v_mul_f64 v[24:25], v[22:23], v[28:29]
	ds_read_b128 v[56:59], v32 offset:368
	ds_read_b128 v[2:5], v32 offset:384
	v_mul_f64 v[28:29], v[20:21], v[28:29]
	v_add_f64 v[52:53], v[10:11], v[8:9]
	s_waitcnt lgkmcnt(1)
	v_mul_f64 v[60:61], v[46:47], v[58:59]
	v_add_f64 v[18:19], v[12:13], v[18:19]
	v_fma_f64 v[24:25], v[20:21], v[26:27], -v[24:25]
	ds_read_b128 v[6:9], v34 offset:12288
	ds_read_b128 v[10:13], v34 offset:12800
	v_fma_f64 v[62:63], v[22:23], v[26:27], v[28:29]
	v_add_f64 v[48:49], v[52:53], v[48:49]
	v_mul_f64 v[52:53], v[44:45], v[58:59]
	s_waitcnt lgkmcnt(1)
	v_mul_f64 v[58:59], v[8:9], v[4:5]
	v_fma_f64 v[44:45], v[44:45], v[56:57], -v[60:61]
	v_add_f64 v[50:51], v[18:19], v[50:51]
	ds_read_b128 v[14:17], v32 offset:400
	ds_read_b128 v[18:21], v32 offset:416
	v_add_f64 v[48:49], v[48:49], v[54:55]
	v_mul_f64 v[54:55], v[6:7], v[4:5]
	s_waitcnt lgkmcnt(1)
	v_mul_f64 v[60:61], v[12:13], v[16:17]
	v_fma_f64 v[52:53], v[46:47], v[56:57], v[52:53]
	v_add_f64 v[50:51], v[50:51], v[24:25]
	v_fma_f64 v[56:57], v[6:7], v[2:3], -v[58:59]
	ds_read_b128 v[26:29], v34 offset:13312
	ds_read_b128 v[22:25], v34 offset:13824
	v_mul_f64 v[16:17], v[10:11], v[16:17]
	v_add_f64 v[48:49], v[48:49], v[62:63]
	v_fma_f64 v[2:3], v[8:9], v[2:3], v[54:55]
	s_waitcnt lgkmcnt(1)
	v_mul_f64 v[58:59], v[28:29], v[20:21]
	v_fma_f64 v[54:55], v[10:11], v[14:15], -v[60:61]
	v_add_f64 v[50:51], v[50:51], v[44:45]
	global_load_dwordx4 v[44:47], v[30:31], off
	ds_read_b128 v[4:7], v32 offset:432
	v_mul_f64 v[20:21], v[26:27], v[20:21]
	v_add_f64 v[52:53], v[48:49], v[52:53]
	v_fma_f64 v[16:17], v[12:13], v[14:15], v[16:17]
	v_fma_f64 v[26:27], v[26:27], v[18:19], -v[58:59]
	s_waitcnt lgkmcnt(0)
	v_mul_f64 v[60:61], v[24:25], v[6:7]
	v_add_f64 v[56:57], v[50:51], v[56:57]
	ds_read_b128 v[8:11], v34 offset:14336
	ds_read_b128 v[48:51], v32 offset:448
	v_mul_f64 v[6:7], v[22:23], v[6:7]
	v_fma_f64 v[28:29], v[28:29], v[18:19], v[20:21]
	v_add_f64 v[2:3], v[52:53], v[2:3]
	s_waitcnt lgkmcnt(0)
	v_mul_f64 v[58:59], v[10:11], v[50:51]
	v_fma_f64 v[60:61], v[22:23], v[4:5], -v[60:61]
	v_add_f64 v[56:57], v[56:57], v[54:55]
	ds_read_b128 v[12:15], v34 offset:14848
	ds_read_b128 v[52:55], v32 offset:464
	v_mul_f64 v[50:51], v[8:9], v[50:51]
	v_fma_f64 v[24:25], v[24:25], v[4:5], v[6:7]
	v_add_f64 v[2:3], v[2:3], v[16:17]
	ds_read_b128 v[16:19], v34 offset:15360
	ds_read_b128 v[20:23], v32 offset:480
	v_fma_f64 v[58:59], v[8:9], v[48:49], -v[58:59]
	v_add_f64 v[26:27], v[56:57], v[26:27]
	s_waitcnt lgkmcnt(2)
	v_mul_f64 v[56:57], v[14:15], v[54:55]
	v_mul_f64 v[54:55], v[12:13], v[54:55]
	v_fma_f64 v[10:11], v[10:11], v[48:49], v[50:51]
	v_add_f64 v[28:29], v[2:3], v[28:29]
	ds_read_b128 v[2:5], v34 offset:15872
	ds_read_b128 v[6:9], v32 offset:496
	v_add_f64 v[26:27], v[26:27], v[60:61]
	s_waitcnt lgkmcnt(2)
	v_mul_f64 v[60:61], v[18:19], v[22:23]
	v_fma_f64 v[12:13], v[12:13], v[52:53], -v[56:57]
	v_mul_f64 v[22:23], v[16:17], v[22:23]
	v_add_f64 v[24:25], v[28:29], v[24:25]
	s_waitcnt lgkmcnt(0)
	v_mul_f64 v[28:29], v[4:5], v[8:9]
	v_fma_f64 v[14:15], v[14:15], v[52:53], v[54:55]
	v_mul_f64 v[8:9], v[2:3], v[8:9]
	v_add_f64 v[26:27], v[26:27], v[58:59]
	v_fma_f64 v[16:17], v[16:17], v[20:21], -v[60:61]
	v_fma_f64 v[18:19], v[18:19], v[20:21], v[22:23]
	v_add_f64 v[10:11], v[24:25], v[10:11]
	v_fma_f64 v[2:3], v[2:3], v[6:7], -v[28:29]
	v_fma_f64 v[4:5], v[4:5], v[6:7], v[8:9]
	v_add_f64 v[12:13], v[26:27], v[12:13]
	v_add_f64 v[10:11], v[10:11], v[14:15]
	;; [unrolled: 1-line block ×6, first 2 shown]
	v_mul_f64 v[6:7], s[14:15], v[2:3]
	v_mul_f64 v[2:3], s[16:17], v[2:3]
	v_fma_f64 v[6:7], s[16:17], v[4:5], v[6:7]
	v_fma_f64 v[4:5], s[14:15], v[4:5], -v[2:3]
	s_waitcnt vmcnt(0)
	v_add_f64 v[2:3], v[44:45], v[6:7]
	v_add_f64 v[4:5], v[46:47], v[4:5]
	global_store_dwordx4 v[30:31], v[2:5], off
	s_branch .LBB1868_3
.LBB1868_16:
	s_endpgm
	.section	.rodata,"a",@progbits
	.p2align	6, 0x0
	.amdhsa_kernel _ZL26rocblas_syr2k_her2k_kernelIlLb1ELb1ELb0ELi32E19rocblas_complex_numIdEPKS1_PS1_EvbiT_T4_T5_S5_lS7_S5_lT6_S5_li
		.amdhsa_group_segment_fixed_size 32768
		.amdhsa_private_segment_fixed_size 0
		.amdhsa_kernarg_size 108
		.amdhsa_user_sgpr_count 6
		.amdhsa_user_sgpr_private_segment_buffer 1
		.amdhsa_user_sgpr_dispatch_ptr 0
		.amdhsa_user_sgpr_queue_ptr 0
		.amdhsa_user_sgpr_kernarg_segment_ptr 1
		.amdhsa_user_sgpr_dispatch_id 0
		.amdhsa_user_sgpr_flat_scratch_init 0
		.amdhsa_user_sgpr_private_segment_size 0
		.amdhsa_uses_dynamic_stack 0
		.amdhsa_system_sgpr_private_segment_wavefront_offset 0
		.amdhsa_system_sgpr_workgroup_id_x 1
		.amdhsa_system_sgpr_workgroup_id_y 1
		.amdhsa_system_sgpr_workgroup_id_z 1
		.amdhsa_system_sgpr_workgroup_info 0
		.amdhsa_system_vgpr_workitem_id 1
		.amdhsa_next_free_vgpr 64
		.amdhsa_next_free_sgpr 61
		.amdhsa_reserve_vcc 1
		.amdhsa_reserve_flat_scratch 0
		.amdhsa_float_round_mode_32 0
		.amdhsa_float_round_mode_16_64 0
		.amdhsa_float_denorm_mode_32 3
		.amdhsa_float_denorm_mode_16_64 3
		.amdhsa_dx10_clamp 1
		.amdhsa_ieee_mode 1
		.amdhsa_fp16_overflow 0
		.amdhsa_exception_fp_ieee_invalid_op 0
		.amdhsa_exception_fp_denorm_src 0
		.amdhsa_exception_fp_ieee_div_zero 0
		.amdhsa_exception_fp_ieee_overflow 0
		.amdhsa_exception_fp_ieee_underflow 0
		.amdhsa_exception_fp_ieee_inexact 0
		.amdhsa_exception_int_div_zero 0
	.end_amdhsa_kernel
	.section	.text._ZL26rocblas_syr2k_her2k_kernelIlLb1ELb1ELb0ELi32E19rocblas_complex_numIdEPKS1_PS1_EvbiT_T4_T5_S5_lS7_S5_lT6_S5_li,"axG",@progbits,_ZL26rocblas_syr2k_her2k_kernelIlLb1ELb1ELb0ELi32E19rocblas_complex_numIdEPKS1_PS1_EvbiT_T4_T5_S5_lS7_S5_lT6_S5_li,comdat
.Lfunc_end1868:
	.size	_ZL26rocblas_syr2k_her2k_kernelIlLb1ELb1ELb0ELi32E19rocblas_complex_numIdEPKS1_PS1_EvbiT_T4_T5_S5_lS7_S5_lT6_S5_li, .Lfunc_end1868-_ZL26rocblas_syr2k_her2k_kernelIlLb1ELb1ELb0ELi32E19rocblas_complex_numIdEPKS1_PS1_EvbiT_T4_T5_S5_lS7_S5_lT6_S5_li
                                        ; -- End function
	.set _ZL26rocblas_syr2k_her2k_kernelIlLb1ELb1ELb0ELi32E19rocblas_complex_numIdEPKS1_PS1_EvbiT_T4_T5_S5_lS7_S5_lT6_S5_li.num_vgpr, 64
	.set _ZL26rocblas_syr2k_her2k_kernelIlLb1ELb1ELb0ELi32E19rocblas_complex_numIdEPKS1_PS1_EvbiT_T4_T5_S5_lS7_S5_lT6_S5_li.num_agpr, 0
	.set _ZL26rocblas_syr2k_her2k_kernelIlLb1ELb1ELb0ELi32E19rocblas_complex_numIdEPKS1_PS1_EvbiT_T4_T5_S5_lS7_S5_lT6_S5_li.numbered_sgpr, 44
	.set _ZL26rocblas_syr2k_her2k_kernelIlLb1ELb1ELb0ELi32E19rocblas_complex_numIdEPKS1_PS1_EvbiT_T4_T5_S5_lS7_S5_lT6_S5_li.num_named_barrier, 0
	.set _ZL26rocblas_syr2k_her2k_kernelIlLb1ELb1ELb0ELi32E19rocblas_complex_numIdEPKS1_PS1_EvbiT_T4_T5_S5_lS7_S5_lT6_S5_li.private_seg_size, 0
	.set _ZL26rocblas_syr2k_her2k_kernelIlLb1ELb1ELb0ELi32E19rocblas_complex_numIdEPKS1_PS1_EvbiT_T4_T5_S5_lS7_S5_lT6_S5_li.uses_vcc, 1
	.set _ZL26rocblas_syr2k_her2k_kernelIlLb1ELb1ELb0ELi32E19rocblas_complex_numIdEPKS1_PS1_EvbiT_T4_T5_S5_lS7_S5_lT6_S5_li.uses_flat_scratch, 0
	.set _ZL26rocblas_syr2k_her2k_kernelIlLb1ELb1ELb0ELi32E19rocblas_complex_numIdEPKS1_PS1_EvbiT_T4_T5_S5_lS7_S5_lT6_S5_li.has_dyn_sized_stack, 0
	.set _ZL26rocblas_syr2k_her2k_kernelIlLb1ELb1ELb0ELi32E19rocblas_complex_numIdEPKS1_PS1_EvbiT_T4_T5_S5_lS7_S5_lT6_S5_li.has_recursion, 0
	.set _ZL26rocblas_syr2k_her2k_kernelIlLb1ELb1ELb0ELi32E19rocblas_complex_numIdEPKS1_PS1_EvbiT_T4_T5_S5_lS7_S5_lT6_S5_li.has_indirect_call, 0
	.section	.AMDGPU.csdata,"",@progbits
; Kernel info:
; codeLenInByte = 5472
; TotalNumSgprs: 48
; NumVgprs: 64
; ScratchSize: 0
; MemoryBound: 1
; FloatMode: 240
; IeeeMode: 1
; LDSByteSize: 32768 bytes/workgroup (compile time only)
; SGPRBlocks: 8
; VGPRBlocks: 15
; NumSGPRsForWavesPerEU: 65
; NumVGPRsForWavesPerEU: 64
; Occupancy: 4
; WaveLimiterHint : 0
; COMPUTE_PGM_RSRC2:SCRATCH_EN: 0
; COMPUTE_PGM_RSRC2:USER_SGPR: 6
; COMPUTE_PGM_RSRC2:TRAP_HANDLER: 0
; COMPUTE_PGM_RSRC2:TGID_X_EN: 1
; COMPUTE_PGM_RSRC2:TGID_Y_EN: 1
; COMPUTE_PGM_RSRC2:TGID_Z_EN: 1
; COMPUTE_PGM_RSRC2:TIDIG_COMP_CNT: 1
	.section	.text._ZL26rocblas_syr2k_her2k_kernelIlLb1ELb1ELb1ELi32E19rocblas_complex_numIdEPKS1_PS1_EvbiT_T4_T5_S5_lS7_S5_lT6_S5_li,"axG",@progbits,_ZL26rocblas_syr2k_her2k_kernelIlLb1ELb1ELb1ELi32E19rocblas_complex_numIdEPKS1_PS1_EvbiT_T4_T5_S5_lS7_S5_lT6_S5_li,comdat
	.globl	_ZL26rocblas_syr2k_her2k_kernelIlLb1ELb1ELb1ELi32E19rocblas_complex_numIdEPKS1_PS1_EvbiT_T4_T5_S5_lS7_S5_lT6_S5_li ; -- Begin function _ZL26rocblas_syr2k_her2k_kernelIlLb1ELb1ELb1ELi32E19rocblas_complex_numIdEPKS1_PS1_EvbiT_T4_T5_S5_lS7_S5_lT6_S5_li
	.p2align	8
	.type	_ZL26rocblas_syr2k_her2k_kernelIlLb1ELb1ELb1ELi32E19rocblas_complex_numIdEPKS1_PS1_EvbiT_T4_T5_S5_lS7_S5_lT6_S5_li,@function
_ZL26rocblas_syr2k_her2k_kernelIlLb1ELb1ELb1ELi32E19rocblas_complex_numIdEPKS1_PS1_EvbiT_T4_T5_S5_lS7_S5_lT6_S5_li: ; @_ZL26rocblas_syr2k_her2k_kernelIlLb1ELb1ELb1ELi32E19rocblas_complex_numIdEPKS1_PS1_EvbiT_T4_T5_S5_lS7_S5_lT6_S5_li
; %bb.0:
	s_load_dwordx16 s[12:27], s[4:5], 0x8
	s_waitcnt lgkmcnt(0)
	v_cmp_eq_f64_e64 s[0:1], s[14:15], 0
	v_cmp_eq_f64_e64 s[2:3], s[16:17], 0
	s_and_b64 s[0:1], s[0:1], s[2:3]
	s_and_b64 vcc, exec, s[0:1]
	s_cbranch_vccnz .LBB1869_16
; %bb.1:
	s_load_dwordx2 s[10:11], s[4:5], 0x0
	s_lshl_b32 s2, s7, 5
	s_lshl_b32 s3, s6, 5
	s_waitcnt lgkmcnt(0)
	s_and_b32 s0, 1, s10
	s_cmp_eq_u32 s0, 1
	s_cselect_b64 s[0:1], -1, 0
	s_and_b64 s[6:7], s[0:1], exec
	s_cselect_b32 s6, s3, s2
	s_cselect_b32 s7, s2, s3
	s_cmp_gt_i32 s6, s7
	v_cmp_lt_i64_e64 s[6:7], s[12:13], 1
	s_cselect_b64 s[28:29], -1, 0
	s_or_b64 s[6:7], s[28:29], s[6:7]
	s_and_b64 vcc, exec, s[6:7]
	s_cbranch_vccnz .LBB1869_16
; %bb.2:
	s_load_dwordx8 s[36:43], s[4:5], 0x48
	v_add_u32_e32 v2, s3, v0
	v_add_u32_e32 v4, s2, v1
	v_mov_b32_e32 v3, 0
	v_mov_b32_e32 v5, v3
	s_waitcnt lgkmcnt(0)
	s_mul_i32 s3, s43, s8
	s_mul_hi_u32 s4, s42, s8
	s_mul_i32 s2, s42, s8
	s_add_i32 s3, s4, s3
	s_lshl_b64 s[2:3], s[2:3], 4
	s_add_u32 s6, s38, s2
	s_addc_u32 s7, s39, s3
	s_ashr_i32 s3, s11, 31
	s_mov_b32 s2, s11
	v_cndmask_b32_e64 v7, v2, v4, s[0:1]
	v_cndmask_b32_e64 v8, v4, v2, s[0:1]
	v_cmp_gt_i64_e64 s[0:1], s[2:3], v[2:3]
	v_cmp_gt_i64_e64 s[2:3], s[2:3], v[4:5]
	v_ashrrev_i32_e32 v5, 31, v4
	v_mul_lo_u32 v10, s40, v5
	v_mul_lo_u32 v11, s41, v4
	v_mad_u64_u32 v[5:6], s[4:5], s40, v4, 0
	v_max_i32_e32 v3, v2, v4
	v_cmp_gt_i32_e32 vcc, s11, v3
	v_add3_u32 v6, v6, v10, v11
	v_lshlrev_b64 v[5:6], 4, v[5:6]
	v_cmp_le_i32_e64 s[4:5], v8, v7
	s_and_b64 s[4:5], s[4:5], vcc
	v_mov_b32_e32 v7, s7
	v_add_co_u32_e32 v10, vcc, s6, v5
	v_addc_co_u32_e32 v11, vcc, v7, v6, vcc
	v_mad_u64_u32 v[7:8], s[6:7], s20, v4, 0
	v_ashrrev_i32_e32 v3, 31, v2
	v_lshlrev_b64 v[5:6], 4, v[2:3]
	v_mov_b32_e32 v3, v8
	v_add_co_u32_e32 v30, vcc, v10, v5
	v_addc_co_u32_e32 v31, vcc, v11, v6, vcc
	v_mad_u64_u32 v[5:6], s[6:7], s21, v4, v[3:4]
	s_mul_i32 s9, s23, s8
	s_mul_hi_u32 s10, s22, s8
	v_mov_b32_e32 v8, v5
	s_add_i32 s7, s10, s9
	s_mul_i32 s6, s22, s8
	v_lshlrev_b64 v[5:6], 4, v[7:8]
	s_lshl_b64 s[6:7], s[6:7], 4
	v_mov_b32_e32 v8, s7
	v_add_co_u32_e32 v3, vcc, s6, v5
	v_addc_co_u32_e32 v5, vcc, v8, v6, vcc
	v_lshlrev_b32_e32 v10, 4, v0
	v_add_co_u32_e32 v3, vcc, v3, v10
	v_addc_co_u32_e32 v7, vcc, 0, v5, vcc
	v_mad_u64_u32 v[5:6], s[10:11], s20, v2, 0
	v_mov_b32_e32 v11, s19
	v_add_co_u32_e32 v12, vcc, s18, v3
	v_mov_b32_e32 v3, v6
	v_addc_co_u32_e32 v11, vcc, v11, v7, vcc
	v_mad_u64_u32 v[6:7], s[10:11], s21, v2, v[3:4]
	v_add_co_u32_e32 v36, vcc, 8, v12
	v_lshlrev_b64 v[5:6], 4, v[5:6]
	v_addc_co_u32_e32 v37, vcc, 0, v11, vcc
	v_add_co_u32_e32 v3, vcc, s6, v5
	v_lshlrev_b32_e32 v9, 4, v1
	v_addc_co_u32_e32 v5, vcc, v8, v6, vcc
	v_add_co_u32_e32 v3, vcc, v3, v9
	v_addc_co_u32_e32 v7, vcc, 0, v5, vcc
	v_mad_u64_u32 v[5:6], s[6:7], s26, v4, 0
	v_add_co_u32_e32 v38, vcc, s18, v3
	v_mov_b32_e32 v3, v6
	v_mad_u64_u32 v[3:4], s[6:7], s27, v4, v[3:4]
	s_mul_i32 s9, s37, s8
	s_mul_hi_u32 s10, s36, s8
	v_mov_b32_e32 v6, v3
	v_mov_b32_e32 v8, s19
	s_add_i32 s7, s10, s9
	s_mul_i32 s6, s36, s8
	v_lshlrev_b64 v[3:4], 4, v[5:6]
	v_addc_co_u32_e32 v39, vcc, v8, v7, vcc
	s_lshl_b64 s[6:7], s[6:7], 4
	v_mov_b32_e32 v6, s7
	v_add_co_u32_e32 v3, vcc, s6, v3
	v_addc_co_u32_e32 v4, vcc, v6, v4, vcc
	v_add_co_u32_e32 v5, vcc, v3, v10
	v_addc_co_u32_e32 v7, vcc, 0, v4, vcc
	v_mad_u64_u32 v[3:4], s[8:9], s26, v2, 0
	v_add_co_u32_e32 v10, vcc, s24, v5
	v_mad_u64_u32 v[4:5], s[8:9], s27, v2, v[4:5]
	v_mov_b32_e32 v8, s25
	v_addc_co_u32_e32 v7, vcc, v8, v7, vcc
	v_add_co_u32_e32 v40, vcc, 8, v10
	v_lshlrev_b64 v[2:3], 4, v[3:4]
	v_addc_co_u32_e32 v41, vcc, 0, v7, vcc
	v_add_co_u32_e32 v2, vcc, s6, v2
	v_addc_co_u32_e32 v3, vcc, v6, v3, vcc
	v_add_co_u32_e32 v2, vcc, v2, v9
	v_addc_co_u32_e32 v3, vcc, 0, v3, vcc
	v_mov_b32_e32 v4, s25
	v_add_co_u32_e32 v2, vcc, s24, v2
	v_addc_co_u32_e32 v3, vcc, v4, v3, vcc
	v_lshlrev_b32_e32 v32, 9, v0
	v_or_b32_e32 v34, 0x4000, v9
	v_add_co_u32_e32 v42, vcc, 8, v2
	v_add_u32_e32 v33, v32, v9
	v_add_u32_e32 v35, v34, v32
	v_addc_co_u32_e32 v43, vcc, 0, v3, vcc
	s_mov_b64 s[6:7], 0
	s_mov_b64 s[8:9], 0
	s_branch .LBB1869_4
.LBB1869_3:                             ;   in Loop: Header=BB1869_4 Depth=1
	s_or_b64 exec, exec, s[10:11]
	s_add_u32 s8, s8, 32
	v_mov_b32_e32 v2, s12
	s_addc_u32 s9, s9, 0
	v_mov_b32_e32 v3, s13
	v_cmp_lt_i64_e32 vcc, s[8:9], v[2:3]
	s_add_u32 s6, s6, 0x200
	s_addc_u32 s7, s7, 0
	s_waitcnt vmcnt(0)
	s_barrier
	s_cbranch_vccz .LBB1869_16
.LBB1869_4:                             ; =>This Inner Loop Header: Depth=1
	v_mov_b32_e32 v3, s9
	v_add_co_u32_e32 v2, vcc, s8, v1
	v_addc_co_u32_e32 v3, vcc, 0, v3, vcc
	v_cmp_gt_i64_e32 vcc, s[12:13], v[2:3]
	v_mov_b32_e32 v2, 0
	v_mov_b32_e32 v4, 0
	v_mov_b32_e32 v6, 0
	v_mov_b32_e32 v3, 0
	v_mov_b32_e32 v5, 0
	v_mov_b32_e32 v7, 0
	s_and_b64 s[10:11], s[0:1], vcc
	s_and_saveexec_b64 s[18:19], s[10:11]
	s_cbranch_execz .LBB1869_6
; %bb.5:                                ;   in Loop: Header=BB1869_4 Depth=1
	v_mov_b32_e32 v5, s7
	v_add_co_u32_e32 v4, vcc, s6, v38
	v_addc_co_u32_e32 v5, vcc, v39, v5, vcc
	global_load_dwordx4 v[4:7], v[4:5], off
	s_waitcnt vmcnt(0)
	v_xor_b32_e32 v7, 0x80000000, v7
.LBB1869_6:                             ;   in Loop: Header=BB1869_4 Depth=1
	s_or_b64 exec, exec, s[18:19]
	ds_write_b128 v33, v[4:7]
	v_mov_b32_e32 v5, s9
	v_add_co_u32_e32 v4, vcc, s8, v0
	v_addc_co_u32_e32 v5, vcc, 0, v5, vcc
	v_cmp_gt_i64_e32 vcc, s[12:13], v[4:5]
	v_mov_b32_e32 v4, 0
	v_mov_b32_e32 v5, 0
	s_and_b64 s[18:19], s[2:3], vcc
	s_and_saveexec_b64 s[20:21], s[18:19]
	s_cbranch_execz .LBB1869_8
; %bb.7:                                ;   in Loop: Header=BB1869_4 Depth=1
	v_mov_b32_e32 v3, s7
	v_add_co_u32_e32 v2, vcc, s6, v40
	v_addc_co_u32_e32 v3, vcc, v41, v3, vcc
	global_load_dwordx4 v[2:5], v[2:3], off offset:-8
.LBB1869_8:                             ;   in Loop: Header=BB1869_4 Depth=1
	s_or_b64 exec, exec, s[20:21]
	s_waitcnt vmcnt(0)
	ds_write_b128 v35, v[2:5]
	s_waitcnt lgkmcnt(0)
	s_barrier
	s_and_saveexec_b64 s[20:21], s[4:5]
	s_cbranch_execz .LBB1869_10
; %bb.9:                                ;   in Loop: Header=BB1869_4 Depth=1
	ds_read_b128 v[6:9], v34
	ds_read_b128 v[10:13], v32
	ds_read_b128 v[14:17], v32 offset:16
	ds_read_b128 v[18:21], v32 offset:32
	;; [unrolled: 1-line block ×3, first 2 shown]
	s_waitcnt lgkmcnt(3)
	v_mul_f64 v[22:23], v[8:9], v[12:13]
	v_fma_f64 v[22:23], v[6:7], v[10:11], -v[22:23]
	v_mul_f64 v[6:7], v[6:7], v[12:13]
	v_fma_f64 v[6:7], v[8:9], v[10:11], v[6:7]
	v_add_f64 v[10:11], v[22:23], 0
	v_add_f64 v[12:13], v[6:7], 0
	ds_read_b128 v[6:9], v34 offset:512
	s_waitcnt lgkmcnt(0)
	v_mul_f64 v[22:23], v[8:9], v[16:17]
	v_fma_f64 v[22:23], v[6:7], v[14:15], -v[22:23]
	v_mul_f64 v[6:7], v[6:7], v[16:17]
	v_add_f64 v[10:11], v[10:11], v[22:23]
	v_fma_f64 v[6:7], v[8:9], v[14:15], v[6:7]
	v_add_f64 v[12:13], v[12:13], v[6:7]
	ds_read_b128 v[6:9], v34 offset:1024
	s_waitcnt lgkmcnt(0)
	v_mul_f64 v[14:15], v[8:9], v[20:21]
	v_fma_f64 v[14:15], v[6:7], v[18:19], -v[14:15]
	v_mul_f64 v[6:7], v[6:7], v[20:21]
	v_add_f64 v[10:11], v[10:11], v[14:15]
	v_fma_f64 v[6:7], v[8:9], v[18:19], v[6:7]
	v_add_f64 v[12:13], v[12:13], v[6:7]
	ds_read_b128 v[6:9], v34 offset:1536
	s_waitcnt lgkmcnt(0)
	v_mul_f64 v[14:15], v[8:9], v[4:5]
	v_mul_f64 v[4:5], v[6:7], v[4:5]
	v_fma_f64 v[14:15], v[6:7], v[2:3], -v[14:15]
	v_fma_f64 v[2:3], v[8:9], v[2:3], v[4:5]
	v_add_f64 v[10:11], v[10:11], v[14:15]
	v_add_f64 v[12:13], v[12:13], v[2:3]
	ds_read_b128 v[2:5], v34 offset:2048
	ds_read_b128 v[6:9], v32 offset:64
	s_waitcnt lgkmcnt(0)
	v_mul_f64 v[14:15], v[4:5], v[8:9]
	v_fma_f64 v[14:15], v[2:3], v[6:7], -v[14:15]
	v_mul_f64 v[2:3], v[2:3], v[8:9]
	v_add_f64 v[10:11], v[10:11], v[14:15]
	v_fma_f64 v[2:3], v[4:5], v[6:7], v[2:3]
	v_add_f64 v[12:13], v[12:13], v[2:3]
	ds_read_b128 v[2:5], v34 offset:2560
	ds_read_b128 v[6:9], v32 offset:80
	s_waitcnt lgkmcnt(0)
	v_mul_f64 v[14:15], v[4:5], v[8:9]
	v_fma_f64 v[14:15], v[2:3], v[6:7], -v[14:15]
	v_mul_f64 v[2:3], v[2:3], v[8:9]
	v_add_f64 v[10:11], v[10:11], v[14:15]
	v_fma_f64 v[2:3], v[4:5], v[6:7], v[2:3]
	;; [unrolled: 9-line block ×27, first 2 shown]
	v_add_f64 v[12:13], v[12:13], v[2:3]
	ds_read_b128 v[2:5], v34 offset:15872
	ds_read_b128 v[6:9], v32 offset:496
	s_waitcnt lgkmcnt(0)
	v_mul_f64 v[14:15], v[4:5], v[8:9]
	v_fma_f64 v[14:15], v[2:3], v[6:7], -v[14:15]
	v_mul_f64 v[2:3], v[2:3], v[8:9]
	v_fma_f64 v[2:3], v[4:5], v[6:7], v[2:3]
	v_add_f64 v[4:5], v[10:11], v[14:15]
	v_add_f64 v[2:3], v[12:13], v[2:3]
	v_mul_f64 v[6:7], s[16:17], v[2:3]
	v_mul_f64 v[2:3], s[14:15], v[2:3]
	v_fma_f64 v[6:7], s[14:15], v[4:5], -v[6:7]
	v_fma_f64 v[8:9], s[16:17], v[4:5], v[2:3]
	global_load_dwordx4 v[2:5], v[30:31], off
	s_waitcnt vmcnt(0)
	v_add_f64 v[2:3], v[2:3], v[6:7]
	v_add_f64 v[4:5], v[4:5], v[8:9]
	global_store_dwordx4 v[30:31], v[2:5], off
.LBB1869_10:                            ;   in Loop: Header=BB1869_4 Depth=1
	s_or_b64 exec, exec, s[20:21]
	v_mov_b32_e32 v4, 0
	v_mov_b32_e32 v8, 0
	;; [unrolled: 1-line block ×6, first 2 shown]
	s_waitcnt vmcnt(0)
	s_barrier
	s_and_saveexec_b64 s[20:21], s[10:11]
	s_cbranch_execz .LBB1869_12
; %bb.11:                               ;   in Loop: Header=BB1869_4 Depth=1
	v_mov_b32_e32 v3, s7
	v_add_co_u32_e32 v2, vcc, s6, v42
	v_addc_co_u32_e32 v3, vcc, v43, v3, vcc
	global_load_dwordx4 v[6:9], v[2:3], off offset:-8
	s_waitcnt vmcnt(0)
	v_xor_b32_e32 v9, 0x80000000, v9
.LBB1869_12:                            ;   in Loop: Header=BB1869_4 Depth=1
	s_or_b64 exec, exec, s[20:21]
	v_mov_b32_e32 v2, 0
	v_mov_b32_e32 v3, 0
	ds_write_b128 v33, v[6:9]
	s_and_saveexec_b64 s[10:11], s[18:19]
	s_cbranch_execz .LBB1869_14
; %bb.13:                               ;   in Loop: Header=BB1869_4 Depth=1
	v_mov_b32_e32 v3, s7
	v_add_co_u32_e32 v2, vcc, s6, v36
	v_addc_co_u32_e32 v3, vcc, v37, v3, vcc
	global_load_dwordx4 v[2:5], v[2:3], off offset:-8
.LBB1869_14:                            ;   in Loop: Header=BB1869_4 Depth=1
	s_or_b64 exec, exec, s[10:11]
	s_waitcnt vmcnt(0)
	ds_write_b128 v35, v[2:5]
	s_waitcnt lgkmcnt(0)
	s_barrier
	s_and_saveexec_b64 s[10:11], s[4:5]
	s_cbranch_execz .LBB1869_3
; %bb.15:                               ;   in Loop: Header=BB1869_4 Depth=1
	ds_read_b128 v[2:5], v34
	ds_read_b128 v[6:9], v32
	ds_read_b128 v[10:13], v32 offset:16
	ds_read_b128 v[14:17], v34 offset:512
	;; [unrolled: 1-line block ×3, first 2 shown]
	s_waitcnt lgkmcnt(3)
	v_mul_f64 v[22:23], v[4:5], v[8:9]
	v_mul_f64 v[8:9], v[2:3], v[8:9]
	s_waitcnt lgkmcnt(1)
	v_mul_f64 v[52:53], v[16:17], v[12:13]
	v_mul_f64 v[12:13], v[14:15], v[12:13]
	v_fma_f64 v[2:3], v[2:3], v[6:7], -v[22:23]
	ds_read_b128 v[22:25], v32 offset:32
	ds_read_b128 v[26:29], v32 offset:48
	;; [unrolled: 1-line block ×4, first 2 shown]
	v_fma_f64 v[56:57], v[4:5], v[6:7], v[8:9]
	s_waitcnt lgkmcnt(3)
	v_mul_f64 v[54:55], v[20:21], v[24:25]
	v_fma_f64 v[14:15], v[14:15], v[10:11], -v[52:53]
	v_mul_f64 v[24:25], v[18:19], v[24:25]
	s_waitcnt lgkmcnt(1)
	v_mul_f64 v[58:59], v[46:47], v[28:29]
	v_fma_f64 v[60:61], v[16:17], v[10:11], v[12:13]
	v_add_f64 v[52:53], v[2:3], 0
	ds_read_b128 v[2:5], v34 offset:2048
	ds_read_b128 v[6:9], v34 offset:2560
	v_mul_f64 v[28:29], v[44:45], v[28:29]
	v_fma_f64 v[18:19], v[18:19], v[22:23], -v[54:55]
	v_add_f64 v[54:55], v[56:57], 0
	s_waitcnt lgkmcnt(1)
	v_mul_f64 v[56:57], v[4:5], v[50:51]
	v_fma_f64 v[62:63], v[20:21], v[22:23], v[24:25]
	v_fma_f64 v[44:45], v[44:45], v[26:27], -v[58:59]
	v_add_f64 v[52:53], v[52:53], v[14:15]
	ds_read_b128 v[10:13], v32 offset:80
	ds_read_b128 v[14:17], v32 offset:96
	v_mul_f64 v[50:51], v[2:3], v[50:51]
	v_add_f64 v[54:55], v[54:55], v[60:61]
	s_waitcnt lgkmcnt(1)
	v_mul_f64 v[58:59], v[8:9], v[12:13]
	v_fma_f64 v[60:61], v[46:47], v[26:27], v[28:29]
	v_fma_f64 v[2:3], v[2:3], v[48:49], -v[56:57]
	v_add_f64 v[52:53], v[52:53], v[18:19]
	ds_read_b128 v[18:21], v34 offset:3072
	ds_read_b128 v[22:25], v34 offset:3584
	v_mul_f64 v[12:13], v[6:7], v[12:13]
	;; [unrolled: 9-line block ×7, first 2 shown]
	v_fma_f64 v[50:51], v[50:51], v[6:7], v[8:9]
	v_add_f64 v[54:55], v[54:55], v[60:61]
	s_waitcnt lgkmcnt(1)
	v_mul_f64 v[60:61], v[20:21], v[24:25]
	v_fma_f64 v[56:57], v[14:15], v[10:11], -v[56:57]
	v_mul_f64 v[24:25], v[18:19], v[24:25]
	v_add_f64 v[52:53], v[52:53], v[2:3]
	ds_read_b128 v[2:5], v34 offset:6144
	ds_read_b128 v[44:47], v34 offset:6656
	v_fma_f64 v[10:11], v[16:17], v[10:11], v[58:59]
	ds_read_b128 v[6:9], v32 offset:208
	ds_read_b128 v[12:15], v32 offset:224
	v_add_f64 v[54:55], v[54:55], v[62:63]
	v_fma_f64 v[58:59], v[18:19], v[22:23], -v[60:61]
	s_waitcnt lgkmcnt(1)
	v_mul_f64 v[60:61], v[46:47], v[8:9]
	v_add_f64 v[48:49], v[52:53], v[48:49]
	v_mul_f64 v[52:53], v[4:5], v[28:29]
	v_mul_f64 v[28:29], v[2:3], v[28:29]
	v_fma_f64 v[24:25], v[20:21], v[22:23], v[24:25]
	v_add_f64 v[54:55], v[54:55], v[50:51]
	v_add_f64 v[56:57], v[48:49], v[56:57]
	v_fma_f64 v[2:3], v[2:3], v[26:27], -v[52:53]
	ds_read_b128 v[16:19], v34 offset:7168
	ds_read_b128 v[48:51], v34 offset:7680
	v_fma_f64 v[26:27], v[4:5], v[26:27], v[28:29]
	v_add_f64 v[10:11], v[54:55], v[10:11]
	v_fma_f64 v[28:29], v[44:45], v[6:7], -v[60:61]
	s_waitcnt lgkmcnt(1)
	v_mul_f64 v[62:63], v[18:19], v[14:15]
	ds_read_b128 v[20:23], v32 offset:240
	ds_read_b128 v[52:55], v32 offset:256
	v_add_f64 v[56:57], v[56:57], v[58:59]
	v_mul_f64 v[58:59], v[44:45], v[8:9]
	s_waitcnt lgkmcnt(1)
	v_mul_f64 v[60:61], v[50:51], v[22:23]
	v_add_f64 v[24:25], v[10:11], v[24:25]
	v_mul_f64 v[22:23], v[48:49], v[22:23]
	v_add_f64 v[44:45], v[56:57], v[2:3]
	v_mul_f64 v[56:57], v[16:17], v[14:15]
	v_fma_f64 v[6:7], v[46:47], v[6:7], v[58:59]
	v_fma_f64 v[46:47], v[16:17], v[12:13], -v[62:63]
	v_add_f64 v[58:59], v[24:25], v[26:27]
	ds_read_b128 v[2:5], v34 offset:8192
	ds_read_b128 v[8:11], v34 offset:8704
	ds_read_b128 v[14:17], v32 offset:272
	ds_read_b128 v[24:27], v32 offset:288
	v_fma_f64 v[22:23], v[50:51], v[20:21], v[22:23]
	v_add_f64 v[28:29], v[44:45], v[28:29]
	s_waitcnt lgkmcnt(3)
	v_mul_f64 v[62:63], v[4:5], v[54:55]
	v_fma_f64 v[12:13], v[18:19], v[12:13], v[56:57]
	v_fma_f64 v[18:19], v[48:49], v[20:21], -v[60:61]
	v_add_f64 v[6:7], v[58:59], v[6:7]
	v_mul_f64 v[54:55], v[2:3], v[54:55]
	s_waitcnt lgkmcnt(1)
	v_mul_f64 v[60:61], v[10:11], v[16:17]
	v_mul_f64 v[16:17], v[8:9], v[16:17]
	v_add_f64 v[28:29], v[28:29], v[46:47]
	v_fma_f64 v[2:3], v[2:3], v[52:53], -v[62:63]
	ds_read_b128 v[44:47], v34 offset:9216
	ds_read_b128 v[56:59], v34 offset:9728
	v_add_f64 v[6:7], v[6:7], v[12:13]
	v_fma_f64 v[62:63], v[4:5], v[52:53], v[54:55]
	v_fma_f64 v[8:9], v[8:9], v[14:15], -v[60:61]
	v_fma_f64 v[10:11], v[10:11], v[14:15], v[16:17]
	v_add_f64 v[12:13], v[28:29], v[18:19]
	s_waitcnt lgkmcnt(1)
	v_mul_f64 v[28:29], v[46:47], v[26:27]
	ds_read_b128 v[18:21], v32 offset:304
	ds_read_b128 v[48:51], v32 offset:320
	v_add_f64 v[22:23], v[6:7], v[22:23]
	ds_read_b128 v[4:7], v34 offset:10240
	ds_read_b128 v[52:55], v34 offset:10752
	s_waitcnt lgkmcnt(3)
	v_mul_f64 v[60:61], v[58:59], v[20:21]
	v_add_f64 v[2:3], v[12:13], v[2:3]
	v_mul_f64 v[12:13], v[44:45], v[26:27]
	v_fma_f64 v[44:45], v[44:45], v[24:25], -v[28:29]
	ds_read_b128 v[14:17], v32 offset:336
	ds_read_b128 v[26:29], v32 offset:352
	v_add_f64 v[22:23], v[22:23], v[62:63]
	s_waitcnt lgkmcnt(3)
	v_mul_f64 v[62:63], v[6:7], v[50:51]
	v_mul_f64 v[50:51], v[4:5], v[50:51]
	v_add_f64 v[2:3], v[2:3], v[8:9]
	v_mul_f64 v[8:9], v[56:57], v[20:21]
	v_fma_f64 v[12:13], v[46:47], v[24:25], v[12:13]
	v_fma_f64 v[24:25], v[56:57], v[18:19], -v[60:61]
	v_add_f64 v[10:11], v[22:23], v[10:11]
	s_waitcnt lgkmcnt(1)
	v_mul_f64 v[60:61], v[54:55], v[16:17]
	v_mul_f64 v[16:17], v[52:53], v[16:17]
	v_add_f64 v[2:3], v[2:3], v[44:45]
	v_fma_f64 v[8:9], v[58:59], v[18:19], v[8:9]
	v_fma_f64 v[18:19], v[4:5], v[48:49], -v[62:63]
	ds_read_b128 v[20:23], v34 offset:11264
	ds_read_b128 v[44:47], v34 offset:11776
	v_add_f64 v[10:11], v[10:11], v[12:13]
	v_fma_f64 v[48:49], v[6:7], v[48:49], v[50:51]
	v_fma_f64 v[50:51], v[52:53], v[14:15], -v[60:61]
	v_fma_f64 v[54:55], v[54:55], v[14:15], v[16:17]
	v_add_f64 v[12:13], v[2:3], v[24:25]
	s_waitcnt lgkmcnt(1)
	v_mul_f64 v[24:25], v[22:23], v[28:29]
	ds_read_b128 v[56:59], v32 offset:368
	ds_read_b128 v[2:5], v32 offset:384
	v_mul_f64 v[28:29], v[20:21], v[28:29]
	v_add_f64 v[52:53], v[10:11], v[8:9]
	s_waitcnt lgkmcnt(1)
	v_mul_f64 v[60:61], v[46:47], v[58:59]
	v_add_f64 v[18:19], v[12:13], v[18:19]
	v_fma_f64 v[24:25], v[20:21], v[26:27], -v[24:25]
	ds_read_b128 v[6:9], v34 offset:12288
	ds_read_b128 v[10:13], v34 offset:12800
	v_fma_f64 v[62:63], v[22:23], v[26:27], v[28:29]
	v_add_f64 v[48:49], v[52:53], v[48:49]
	v_mul_f64 v[52:53], v[44:45], v[58:59]
	s_waitcnt lgkmcnt(1)
	v_mul_f64 v[58:59], v[8:9], v[4:5]
	v_fma_f64 v[44:45], v[44:45], v[56:57], -v[60:61]
	v_add_f64 v[50:51], v[18:19], v[50:51]
	ds_read_b128 v[14:17], v32 offset:400
	ds_read_b128 v[18:21], v32 offset:416
	v_add_f64 v[48:49], v[48:49], v[54:55]
	v_mul_f64 v[54:55], v[6:7], v[4:5]
	s_waitcnt lgkmcnt(1)
	v_mul_f64 v[60:61], v[12:13], v[16:17]
	v_fma_f64 v[52:53], v[46:47], v[56:57], v[52:53]
	v_add_f64 v[50:51], v[50:51], v[24:25]
	v_fma_f64 v[56:57], v[6:7], v[2:3], -v[58:59]
	ds_read_b128 v[26:29], v34 offset:13312
	ds_read_b128 v[22:25], v34 offset:13824
	v_mul_f64 v[16:17], v[10:11], v[16:17]
	v_add_f64 v[48:49], v[48:49], v[62:63]
	v_fma_f64 v[2:3], v[8:9], v[2:3], v[54:55]
	s_waitcnt lgkmcnt(1)
	v_mul_f64 v[58:59], v[28:29], v[20:21]
	v_fma_f64 v[54:55], v[10:11], v[14:15], -v[60:61]
	v_add_f64 v[50:51], v[50:51], v[44:45]
	global_load_dwordx4 v[44:47], v[30:31], off
	ds_read_b128 v[4:7], v32 offset:432
	v_mul_f64 v[20:21], v[26:27], v[20:21]
	v_add_f64 v[52:53], v[48:49], v[52:53]
	v_fma_f64 v[16:17], v[12:13], v[14:15], v[16:17]
	v_fma_f64 v[26:27], v[26:27], v[18:19], -v[58:59]
	s_waitcnt lgkmcnt(0)
	v_mul_f64 v[60:61], v[24:25], v[6:7]
	v_add_f64 v[56:57], v[50:51], v[56:57]
	ds_read_b128 v[8:11], v34 offset:14336
	ds_read_b128 v[48:51], v32 offset:448
	v_mul_f64 v[6:7], v[22:23], v[6:7]
	v_fma_f64 v[28:29], v[28:29], v[18:19], v[20:21]
	v_add_f64 v[2:3], v[52:53], v[2:3]
	s_waitcnt lgkmcnt(0)
	v_mul_f64 v[58:59], v[10:11], v[50:51]
	v_fma_f64 v[60:61], v[22:23], v[4:5], -v[60:61]
	v_add_f64 v[56:57], v[56:57], v[54:55]
	ds_read_b128 v[12:15], v34 offset:14848
	ds_read_b128 v[52:55], v32 offset:464
	v_mul_f64 v[50:51], v[8:9], v[50:51]
	v_fma_f64 v[24:25], v[24:25], v[4:5], v[6:7]
	v_add_f64 v[2:3], v[2:3], v[16:17]
	ds_read_b128 v[16:19], v34 offset:15360
	ds_read_b128 v[20:23], v32 offset:480
	v_fma_f64 v[58:59], v[8:9], v[48:49], -v[58:59]
	v_add_f64 v[26:27], v[56:57], v[26:27]
	s_waitcnt lgkmcnt(2)
	v_mul_f64 v[56:57], v[14:15], v[54:55]
	v_mul_f64 v[54:55], v[12:13], v[54:55]
	v_fma_f64 v[10:11], v[10:11], v[48:49], v[50:51]
	v_add_f64 v[28:29], v[2:3], v[28:29]
	ds_read_b128 v[2:5], v34 offset:15872
	ds_read_b128 v[6:9], v32 offset:496
	v_add_f64 v[26:27], v[26:27], v[60:61]
	s_waitcnt lgkmcnt(2)
	v_mul_f64 v[60:61], v[18:19], v[22:23]
	v_fma_f64 v[12:13], v[12:13], v[52:53], -v[56:57]
	v_mul_f64 v[22:23], v[16:17], v[22:23]
	v_add_f64 v[24:25], v[28:29], v[24:25]
	s_waitcnt lgkmcnt(0)
	v_mul_f64 v[28:29], v[4:5], v[8:9]
	v_fma_f64 v[14:15], v[14:15], v[52:53], v[54:55]
	v_mul_f64 v[8:9], v[2:3], v[8:9]
	v_add_f64 v[26:27], v[26:27], v[58:59]
	v_fma_f64 v[16:17], v[16:17], v[20:21], -v[60:61]
	v_fma_f64 v[18:19], v[18:19], v[20:21], v[22:23]
	v_add_f64 v[10:11], v[24:25], v[10:11]
	v_fma_f64 v[2:3], v[2:3], v[6:7], -v[28:29]
	v_fma_f64 v[4:5], v[4:5], v[6:7], v[8:9]
	v_add_f64 v[12:13], v[26:27], v[12:13]
	v_add_f64 v[10:11], v[10:11], v[14:15]
	;; [unrolled: 1-line block ×6, first 2 shown]
	v_mul_f64 v[6:7], s[14:15], v[2:3]
	v_mul_f64 v[2:3], s[16:17], v[2:3]
	v_fma_f64 v[6:7], s[16:17], v[4:5], v[6:7]
	v_fma_f64 v[4:5], s[14:15], v[4:5], -v[2:3]
	s_waitcnt vmcnt(0)
	v_add_f64 v[2:3], v[44:45], v[6:7]
	v_add_f64 v[4:5], v[46:47], v[4:5]
	global_store_dwordx4 v[30:31], v[2:5], off
	s_branch .LBB1869_3
.LBB1869_16:
	s_endpgm
	.section	.rodata,"a",@progbits
	.p2align	6, 0x0
	.amdhsa_kernel _ZL26rocblas_syr2k_her2k_kernelIlLb1ELb1ELb1ELi32E19rocblas_complex_numIdEPKS1_PS1_EvbiT_T4_T5_S5_lS7_S5_lT6_S5_li
		.amdhsa_group_segment_fixed_size 32768
		.amdhsa_private_segment_fixed_size 0
		.amdhsa_kernarg_size 108
		.amdhsa_user_sgpr_count 6
		.amdhsa_user_sgpr_private_segment_buffer 1
		.amdhsa_user_sgpr_dispatch_ptr 0
		.amdhsa_user_sgpr_queue_ptr 0
		.amdhsa_user_sgpr_kernarg_segment_ptr 1
		.amdhsa_user_sgpr_dispatch_id 0
		.amdhsa_user_sgpr_flat_scratch_init 0
		.amdhsa_user_sgpr_private_segment_size 0
		.amdhsa_uses_dynamic_stack 0
		.amdhsa_system_sgpr_private_segment_wavefront_offset 0
		.amdhsa_system_sgpr_workgroup_id_x 1
		.amdhsa_system_sgpr_workgroup_id_y 1
		.amdhsa_system_sgpr_workgroup_id_z 1
		.amdhsa_system_sgpr_workgroup_info 0
		.amdhsa_system_vgpr_workitem_id 1
		.amdhsa_next_free_vgpr 64
		.amdhsa_next_free_sgpr 61
		.amdhsa_reserve_vcc 1
		.amdhsa_reserve_flat_scratch 0
		.amdhsa_float_round_mode_32 0
		.amdhsa_float_round_mode_16_64 0
		.amdhsa_float_denorm_mode_32 3
		.amdhsa_float_denorm_mode_16_64 3
		.amdhsa_dx10_clamp 1
		.amdhsa_ieee_mode 1
		.amdhsa_fp16_overflow 0
		.amdhsa_exception_fp_ieee_invalid_op 0
		.amdhsa_exception_fp_denorm_src 0
		.amdhsa_exception_fp_ieee_div_zero 0
		.amdhsa_exception_fp_ieee_overflow 0
		.amdhsa_exception_fp_ieee_underflow 0
		.amdhsa_exception_fp_ieee_inexact 0
		.amdhsa_exception_int_div_zero 0
	.end_amdhsa_kernel
	.section	.text._ZL26rocblas_syr2k_her2k_kernelIlLb1ELb1ELb1ELi32E19rocblas_complex_numIdEPKS1_PS1_EvbiT_T4_T5_S5_lS7_S5_lT6_S5_li,"axG",@progbits,_ZL26rocblas_syr2k_her2k_kernelIlLb1ELb1ELb1ELi32E19rocblas_complex_numIdEPKS1_PS1_EvbiT_T4_T5_S5_lS7_S5_lT6_S5_li,comdat
.Lfunc_end1869:
	.size	_ZL26rocblas_syr2k_her2k_kernelIlLb1ELb1ELb1ELi32E19rocblas_complex_numIdEPKS1_PS1_EvbiT_T4_T5_S5_lS7_S5_lT6_S5_li, .Lfunc_end1869-_ZL26rocblas_syr2k_her2k_kernelIlLb1ELb1ELb1ELi32E19rocblas_complex_numIdEPKS1_PS1_EvbiT_T4_T5_S5_lS7_S5_lT6_S5_li
                                        ; -- End function
	.set _ZL26rocblas_syr2k_her2k_kernelIlLb1ELb1ELb1ELi32E19rocblas_complex_numIdEPKS1_PS1_EvbiT_T4_T5_S5_lS7_S5_lT6_S5_li.num_vgpr, 64
	.set _ZL26rocblas_syr2k_her2k_kernelIlLb1ELb1ELb1ELi32E19rocblas_complex_numIdEPKS1_PS1_EvbiT_T4_T5_S5_lS7_S5_lT6_S5_li.num_agpr, 0
	.set _ZL26rocblas_syr2k_her2k_kernelIlLb1ELb1ELb1ELi32E19rocblas_complex_numIdEPKS1_PS1_EvbiT_T4_T5_S5_lS7_S5_lT6_S5_li.numbered_sgpr, 44
	.set _ZL26rocblas_syr2k_her2k_kernelIlLb1ELb1ELb1ELi32E19rocblas_complex_numIdEPKS1_PS1_EvbiT_T4_T5_S5_lS7_S5_lT6_S5_li.num_named_barrier, 0
	.set _ZL26rocblas_syr2k_her2k_kernelIlLb1ELb1ELb1ELi32E19rocblas_complex_numIdEPKS1_PS1_EvbiT_T4_T5_S5_lS7_S5_lT6_S5_li.private_seg_size, 0
	.set _ZL26rocblas_syr2k_her2k_kernelIlLb1ELb1ELb1ELi32E19rocblas_complex_numIdEPKS1_PS1_EvbiT_T4_T5_S5_lS7_S5_lT6_S5_li.uses_vcc, 1
	.set _ZL26rocblas_syr2k_her2k_kernelIlLb1ELb1ELb1ELi32E19rocblas_complex_numIdEPKS1_PS1_EvbiT_T4_T5_S5_lS7_S5_lT6_S5_li.uses_flat_scratch, 0
	.set _ZL26rocblas_syr2k_her2k_kernelIlLb1ELb1ELb1ELi32E19rocblas_complex_numIdEPKS1_PS1_EvbiT_T4_T5_S5_lS7_S5_lT6_S5_li.has_dyn_sized_stack, 0
	.set _ZL26rocblas_syr2k_her2k_kernelIlLb1ELb1ELb1ELi32E19rocblas_complex_numIdEPKS1_PS1_EvbiT_T4_T5_S5_lS7_S5_lT6_S5_li.has_recursion, 0
	.set _ZL26rocblas_syr2k_her2k_kernelIlLb1ELb1ELb1ELi32E19rocblas_complex_numIdEPKS1_PS1_EvbiT_T4_T5_S5_lS7_S5_lT6_S5_li.has_indirect_call, 0
	.section	.AMDGPU.csdata,"",@progbits
; Kernel info:
; codeLenInByte = 5524
; TotalNumSgprs: 48
; NumVgprs: 64
; ScratchSize: 0
; MemoryBound: 1
; FloatMode: 240
; IeeeMode: 1
; LDSByteSize: 32768 bytes/workgroup (compile time only)
; SGPRBlocks: 8
; VGPRBlocks: 15
; NumSGPRsForWavesPerEU: 65
; NumVGPRsForWavesPerEU: 64
; Occupancy: 4
; WaveLimiterHint : 0
; COMPUTE_PGM_RSRC2:SCRATCH_EN: 0
; COMPUTE_PGM_RSRC2:USER_SGPR: 6
; COMPUTE_PGM_RSRC2:TRAP_HANDLER: 0
; COMPUTE_PGM_RSRC2:TGID_X_EN: 1
; COMPUTE_PGM_RSRC2:TGID_Y_EN: 1
; COMPUTE_PGM_RSRC2:TGID_Z_EN: 1
; COMPUTE_PGM_RSRC2:TIDIG_COMP_CNT: 1
	.section	.text._ZL26rocblas_syr2k_her2k_kernelIlLb1ELb1ELb0ELi32EPK19rocblas_complex_numIdES3_PS1_EvbiT_T4_T5_S5_lS7_S5_lT6_S5_li,"axG",@progbits,_ZL26rocblas_syr2k_her2k_kernelIlLb1ELb1ELb0ELi32EPK19rocblas_complex_numIdES3_PS1_EvbiT_T4_T5_S5_lS7_S5_lT6_S5_li,comdat
	.globl	_ZL26rocblas_syr2k_her2k_kernelIlLb1ELb1ELb0ELi32EPK19rocblas_complex_numIdES3_PS1_EvbiT_T4_T5_S5_lS7_S5_lT6_S5_li ; -- Begin function _ZL26rocblas_syr2k_her2k_kernelIlLb1ELb1ELb0ELi32EPK19rocblas_complex_numIdES3_PS1_EvbiT_T4_T5_S5_lS7_S5_lT6_S5_li
	.p2align	8
	.type	_ZL26rocblas_syr2k_her2k_kernelIlLb1ELb1ELb0ELi32EPK19rocblas_complex_numIdES3_PS1_EvbiT_T4_T5_S5_lS7_S5_lT6_S5_li,@function
_ZL26rocblas_syr2k_her2k_kernelIlLb1ELb1ELb0ELi32EPK19rocblas_complex_numIdES3_PS1_EvbiT_T4_T5_S5_lS7_S5_lT6_S5_li: ; @_ZL26rocblas_syr2k_her2k_kernelIlLb1ELb1ELb0ELi32EPK19rocblas_complex_numIdES3_PS1_EvbiT_T4_T5_S5_lS7_S5_lT6_S5_li
; %bb.0:
	s_load_dwordx16 s[12:27], s[4:5], 0x8
	s_waitcnt lgkmcnt(0)
	s_load_dwordx4 s[28:31], s[14:15], 0x0
	s_waitcnt lgkmcnt(0)
	v_cmp_eq_f64_e64 s[0:1], s[28:29], 0
	v_cmp_eq_f64_e64 s[2:3], s[30:31], 0
	s_and_b64 s[0:1], s[0:1], s[2:3]
	s_and_b64 vcc, exec, s[0:1]
	s_cbranch_vccnz .LBB1870_16
; %bb.1:
	s_load_dwordx2 s[10:11], s[4:5], 0x0
	s_lshl_b32 s2, s7, 5
	s_lshl_b32 s3, s6, 5
	s_waitcnt lgkmcnt(0)
	s_and_b32 s0, 1, s10
	s_cmp_eq_u32 s0, 1
	s_cselect_b64 s[0:1], -1, 0
	s_and_b64 s[6:7], s[0:1], exec
	s_cselect_b32 s6, s3, s2
	s_cselect_b32 s7, s2, s3
	s_cmp_gt_i32 s6, s7
	v_cmp_lt_i64_e64 s[6:7], s[12:13], 1
	s_cselect_b64 s[14:15], -1, 0
	s_or_b64 s[6:7], s[14:15], s[6:7]
	s_and_b64 vcc, exec, s[6:7]
	s_cbranch_vccnz .LBB1870_16
; %bb.2:
	s_load_dwordx2 s[6:7], s[4:5], 0x58
	s_load_dwordx4 s[36:39], s[4:5], 0x48
	s_mul_i32 s9, s21, s8
	v_add_u32_e32 v2, s2, v1
	v_lshlrev_b32_e32 v32, 9, v0
	s_waitcnt lgkmcnt(0)
	s_mul_i32 s5, s7, s8
	s_mul_hi_u32 s7, s6, s8
	s_mul_i32 s4, s6, s8
	s_add_i32 s5, s7, s5
	s_lshl_b64 s[4:5], s[4:5], 4
	s_add_u32 s10, s36, s4
	s_mul_hi_u32 s4, s20, s8
	s_addc_u32 s6, s37, s5
	s_add_i32 s5, s4, s9
	s_mul_i32 s4, s20, s8
	s_lshl_b64 s[4:5], s[4:5], 4
	v_lshlrev_b32_e32 v6, 4, v1
	s_add_u32 s20, s16, s4
	v_add_u32_e32 v33, v32, v6
	v_or_b32_e32 v34, 0x4000, v6
	v_ashrrev_i32_e32 v6, 31, v2
	s_addc_u32 s21, s17, s5
	v_mul_lo_u32 v11, s38, v6
	v_mul_lo_u32 v12, s39, v2
	v_mad_u64_u32 v[6:7], s[4:5], s38, v2, 0
	v_add_u32_e32 v4, s3, v0
	v_max_i32_e32 v10, v4, v2
	v_cmp_gt_i32_e32 vcc, s11, v10
	v_add3_u32 v7, v7, v11, v12
	v_mov_b32_e32 v12, s6
	v_mad_u64_u32 v[10:11], s[6:7], s18, v0, 0
	v_cndmask_b32_e64 v8, v4, v2, s[0:1]
	v_cndmask_b32_e64 v9, v2, v4, s[0:1]
	v_lshlrev_b64 v[6:7], 4, v[6:7]
	v_cmp_le_i32_e64 s[4:5], v9, v8
	s_and_b64 s[4:5], s[4:5], vcc
	v_ashrrev_i32_e32 v9, 31, v4
	v_mov_b32_e32 v8, v4
	v_add_co_u32_e32 v13, vcc, s10, v6
	v_addc_co_u32_e32 v12, vcc, v12, v7, vcc
	v_lshlrev_b64 v[6:7], 4, v[8:9]
	v_mov_b32_e32 v8, v11
	v_mad_u64_u32 v[8:9], s[6:7], s19, v0, v[8:9]
	v_mov_b32_e32 v5, 0
	s_ashr_i32 s3, s11, 31
	s_mov_b32 s2, s11
	v_mov_b32_e32 v3, v5
	v_add_co_u32_e32 v30, vcc, v13, v6
	v_mov_b32_e32 v11, v8
	v_mad_u64_u32 v[8:9], s[6:7], s18, v1, 0
	v_cmp_gt_i64_e64 s[0:1], s[2:3], v[4:5]
	v_cmp_gt_i64_e64 s[2:3], s[2:3], v[2:3]
	v_addc_co_u32_e32 v31, vcc, v12, v7, vcc
	v_lshlrev_b64 v[6:7], 4, v[10:11]
	v_lshlrev_b64 v[2:3], 4, v[2:3]
	v_mad_u64_u32 v[10:11], s[10:11], s24, v0, 0
	v_add_co_u32_e32 v6, vcc, v6, v2
	v_or_b32_e32 v37, 8, v6
	v_mov_b32_e32 v6, v9
	v_addc_co_u32_e32 v36, vcc, v7, v3, vcc
	v_mad_u64_u32 v[6:7], s[6:7], s19, v1, v[6:7]
	v_lshlrev_b64 v[4:5], 4, v[4:5]
	s_mul_i32 s9, s27, s8
	v_mov_b32_e32 v9, v6
	v_lshlrev_b64 v[6:7], 4, v[8:9]
	v_mov_b32_e32 v8, v11
	v_mad_u64_u32 v[8:9], s[10:11], s25, v0, v[8:9]
	v_add_co_u32_e32 v38, vcc, v6, v4
	v_mov_b32_e32 v11, v8
	v_addc_co_u32_e32 v39, vcc, v7, v5, vcc
	v_lshlrev_b64 v[6:7], 4, v[10:11]
	s_mul_hi_u32 s10, s26, s8
	v_add_co_u32_e32 v40, vcc, v6, v2
	v_addc_co_u32_e32 v41, vcc, v7, v3, vcc
	s_add_i32 s9, s10, s9
	v_mad_u64_u32 v[2:3], s[10:11], s24, v1, 0
	s_mul_i32 s8, s26, s8
	s_lshl_b64 s[6:7], s[18:19], 9
	s_lshl_b64 s[8:9], s[8:9], 4
	s_add_u32 s10, s22, s8
	s_addc_u32 s11, s23, s9
	v_mad_u64_u32 v[6:7], s[8:9], s25, v1, v[3:4]
	s_add_u32 s22, s10, 8
	v_add_u32_e32 v35, v34, v32
	v_mov_b32_e32 v3, v6
	v_lshlrev_b64 v[2:3], 4, v[2:3]
	s_addc_u32 s23, s11, 0
	v_add_co_u32_e32 v42, vcc, v2, v4
	s_lshl_b64 s[8:9], s[24:25], 9
	v_addc_co_u32_e32 v43, vcc, v3, v5, vcc
	s_mov_b64 s[10:11], 0
	s_branch .LBB1870_4
.LBB1870_3:                             ;   in Loop: Header=BB1870_4 Depth=1
	s_or_b64 exec, exec, s[14:15]
	s_add_u32 s10, s10, 32
	s_addc_u32 s11, s11, 0
	v_mov_b32_e32 v2, s12
	s_add_u32 s20, s20, s6
	v_mov_b32_e32 v3, s13
	s_addc_u32 s21, s21, s7
	v_cmp_lt_i64_e32 vcc, s[10:11], v[2:3]
	s_add_u32 s22, s22, s8
	s_addc_u32 s23, s23, s9
	s_waitcnt vmcnt(0)
	s_barrier
	s_cbranch_vccz .LBB1870_16
.LBB1870_4:                             ; =>This Inner Loop Header: Depth=1
	v_mov_b32_e32 v3, s11
	v_add_co_u32_e32 v2, vcc, s10, v1
	v_addc_co_u32_e32 v3, vcc, 0, v3, vcc
	v_cmp_gt_i64_e32 vcc, s[12:13], v[2:3]
	v_mov_b32_e32 v2, 0
	v_mov_b32_e32 v4, 0
	;; [unrolled: 1-line block ×6, first 2 shown]
	s_and_b64 s[14:15], s[0:1], vcc
	s_and_saveexec_b64 s[16:17], s[14:15]
	s_cbranch_execz .LBB1870_6
; %bb.5:                                ;   in Loop: Header=BB1870_4 Depth=1
	v_mov_b32_e32 v5, s21
	v_add_co_u32_e32 v4, vcc, s20, v38
	v_addc_co_u32_e32 v5, vcc, v5, v39, vcc
	global_load_dwordx4 v[4:7], v[4:5], off
.LBB1870_6:                             ;   in Loop: Header=BB1870_4 Depth=1
	s_or_b64 exec, exec, s[16:17]
	s_waitcnt vmcnt(0)
	ds_write_b128 v33, v[4:7]
	v_mov_b32_e32 v5, s11
	v_add_co_u32_e32 v4, vcc, s10, v0
	v_addc_co_u32_e32 v5, vcc, 0, v5, vcc
	v_cmp_gt_i64_e32 vcc, s[12:13], v[4:5]
	v_mov_b32_e32 v4, 0
	v_mov_b32_e32 v5, 0
	s_and_b64 s[16:17], s[2:3], vcc
	s_and_saveexec_b64 s[18:19], s[16:17]
	s_cbranch_execz .LBB1870_8
; %bb.7:                                ;   in Loop: Header=BB1870_4 Depth=1
	v_mov_b32_e32 v3, s23
	v_add_co_u32_e32 v2, vcc, s22, v40
	v_addc_co_u32_e32 v3, vcc, v3, v41, vcc
	global_load_dwordx4 v[2:5], v[2:3], off offset:-8
	s_waitcnt vmcnt(0)
	v_xor_b32_e32 v5, 0x80000000, v5
.LBB1870_8:                             ;   in Loop: Header=BB1870_4 Depth=1
	s_or_b64 exec, exec, s[18:19]
	ds_write_b128 v35, v[2:5]
	s_waitcnt lgkmcnt(0)
	s_barrier
	s_and_saveexec_b64 s[18:19], s[4:5]
	s_cbranch_execz .LBB1870_10
; %bb.9:                                ;   in Loop: Header=BB1870_4 Depth=1
	ds_read_b128 v[6:9], v34
	ds_read_b128 v[10:13], v32
	ds_read_b128 v[14:17], v32 offset:16
	ds_read_b128 v[18:21], v32 offset:32
	;; [unrolled: 1-line block ×3, first 2 shown]
	s_waitcnt lgkmcnt(3)
	v_mul_f64 v[22:23], v[8:9], v[12:13]
	v_fma_f64 v[22:23], v[6:7], v[10:11], -v[22:23]
	v_mul_f64 v[6:7], v[6:7], v[12:13]
	v_fma_f64 v[6:7], v[8:9], v[10:11], v[6:7]
	v_add_f64 v[10:11], v[22:23], 0
	v_add_f64 v[12:13], v[6:7], 0
	ds_read_b128 v[6:9], v34 offset:512
	s_waitcnt lgkmcnt(0)
	v_mul_f64 v[22:23], v[8:9], v[16:17]
	v_fma_f64 v[22:23], v[6:7], v[14:15], -v[22:23]
	v_mul_f64 v[6:7], v[6:7], v[16:17]
	v_add_f64 v[10:11], v[10:11], v[22:23]
	v_fma_f64 v[6:7], v[8:9], v[14:15], v[6:7]
	v_add_f64 v[12:13], v[12:13], v[6:7]
	ds_read_b128 v[6:9], v34 offset:1024
	s_waitcnt lgkmcnt(0)
	v_mul_f64 v[14:15], v[8:9], v[20:21]
	v_fma_f64 v[14:15], v[6:7], v[18:19], -v[14:15]
	v_mul_f64 v[6:7], v[6:7], v[20:21]
	v_add_f64 v[10:11], v[10:11], v[14:15]
	v_fma_f64 v[6:7], v[8:9], v[18:19], v[6:7]
	v_add_f64 v[12:13], v[12:13], v[6:7]
	ds_read_b128 v[6:9], v34 offset:1536
	s_waitcnt lgkmcnt(0)
	v_mul_f64 v[14:15], v[8:9], v[4:5]
	v_mul_f64 v[4:5], v[6:7], v[4:5]
	v_fma_f64 v[14:15], v[6:7], v[2:3], -v[14:15]
	v_fma_f64 v[2:3], v[8:9], v[2:3], v[4:5]
	v_add_f64 v[10:11], v[10:11], v[14:15]
	v_add_f64 v[12:13], v[12:13], v[2:3]
	ds_read_b128 v[2:5], v34 offset:2048
	ds_read_b128 v[6:9], v32 offset:64
	s_waitcnt lgkmcnt(0)
	v_mul_f64 v[14:15], v[4:5], v[8:9]
	v_fma_f64 v[14:15], v[2:3], v[6:7], -v[14:15]
	v_mul_f64 v[2:3], v[2:3], v[8:9]
	v_add_f64 v[10:11], v[10:11], v[14:15]
	v_fma_f64 v[2:3], v[4:5], v[6:7], v[2:3]
	v_add_f64 v[12:13], v[12:13], v[2:3]
	ds_read_b128 v[2:5], v34 offset:2560
	ds_read_b128 v[6:9], v32 offset:80
	s_waitcnt lgkmcnt(0)
	v_mul_f64 v[14:15], v[4:5], v[8:9]
	v_fma_f64 v[14:15], v[2:3], v[6:7], -v[14:15]
	v_mul_f64 v[2:3], v[2:3], v[8:9]
	v_add_f64 v[10:11], v[10:11], v[14:15]
	v_fma_f64 v[2:3], v[4:5], v[6:7], v[2:3]
	;; [unrolled: 9-line block ×27, first 2 shown]
	v_add_f64 v[12:13], v[12:13], v[2:3]
	ds_read_b128 v[2:5], v34 offset:15872
	ds_read_b128 v[6:9], v32 offset:496
	s_waitcnt lgkmcnt(0)
	v_mul_f64 v[14:15], v[4:5], v[8:9]
	v_fma_f64 v[14:15], v[2:3], v[6:7], -v[14:15]
	v_mul_f64 v[2:3], v[2:3], v[8:9]
	v_fma_f64 v[2:3], v[4:5], v[6:7], v[2:3]
	v_add_f64 v[4:5], v[10:11], v[14:15]
	v_add_f64 v[2:3], v[12:13], v[2:3]
	v_mul_f64 v[6:7], s[30:31], v[2:3]
	v_mul_f64 v[2:3], s[28:29], v[2:3]
	v_fma_f64 v[6:7], s[28:29], v[4:5], -v[6:7]
	v_fma_f64 v[8:9], s[30:31], v[4:5], v[2:3]
	global_load_dwordx4 v[2:5], v[30:31], off
	s_waitcnt vmcnt(0)
	v_add_f64 v[2:3], v[2:3], v[6:7]
	v_add_f64 v[4:5], v[4:5], v[8:9]
	global_store_dwordx4 v[30:31], v[2:5], off
.LBB1870_10:                            ;   in Loop: Header=BB1870_4 Depth=1
	s_or_b64 exec, exec, s[18:19]
	v_mov_b32_e32 v4, 0
	v_mov_b32_e32 v8, 0
	;; [unrolled: 1-line block ×6, first 2 shown]
	s_waitcnt vmcnt(0)
	s_barrier
	s_and_saveexec_b64 s[18:19], s[14:15]
	s_cbranch_execz .LBB1870_12
; %bb.11:                               ;   in Loop: Header=BB1870_4 Depth=1
	v_mov_b32_e32 v3, s23
	v_add_co_u32_e32 v2, vcc, s22, v42
	v_addc_co_u32_e32 v3, vcc, v3, v43, vcc
	global_load_dwordx4 v[6:9], v[2:3], off offset:-8
.LBB1870_12:                            ;   in Loop: Header=BB1870_4 Depth=1
	s_or_b64 exec, exec, s[18:19]
	v_mov_b32_e32 v2, 0
	v_mov_b32_e32 v3, 0
	s_waitcnt vmcnt(0)
	ds_write_b128 v33, v[6:9]
	s_and_saveexec_b64 s[14:15], s[16:17]
	s_cbranch_execz .LBB1870_14
; %bb.13:                               ;   in Loop: Header=BB1870_4 Depth=1
	v_mov_b32_e32 v3, s21
	v_add_co_u32_e32 v2, vcc, s20, v37
	v_addc_co_u32_e32 v3, vcc, v3, v36, vcc
	global_load_dwordx4 v[2:5], v[2:3], off offset:-8
	s_waitcnt vmcnt(0)
	v_xor_b32_e32 v5, 0x80000000, v5
.LBB1870_14:                            ;   in Loop: Header=BB1870_4 Depth=1
	s_or_b64 exec, exec, s[14:15]
	ds_write_b128 v35, v[2:5]
	s_waitcnt lgkmcnt(0)
	s_barrier
	s_and_saveexec_b64 s[14:15], s[4:5]
	s_cbranch_execz .LBB1870_3
; %bb.15:                               ;   in Loop: Header=BB1870_4 Depth=1
	ds_read_b128 v[2:5], v34
	ds_read_b128 v[6:9], v32
	ds_read_b128 v[10:13], v32 offset:16
	ds_read_b128 v[14:17], v34 offset:512
	;; [unrolled: 1-line block ×3, first 2 shown]
	s_waitcnt lgkmcnt(3)
	v_mul_f64 v[22:23], v[4:5], v[8:9]
	v_mul_f64 v[8:9], v[2:3], v[8:9]
	s_waitcnt lgkmcnt(1)
	v_mul_f64 v[52:53], v[16:17], v[12:13]
	v_mul_f64 v[12:13], v[14:15], v[12:13]
	v_fma_f64 v[2:3], v[2:3], v[6:7], -v[22:23]
	ds_read_b128 v[22:25], v32 offset:32
	ds_read_b128 v[26:29], v32 offset:48
	;; [unrolled: 1-line block ×4, first 2 shown]
	v_fma_f64 v[56:57], v[4:5], v[6:7], v[8:9]
	s_waitcnt lgkmcnt(3)
	v_mul_f64 v[54:55], v[20:21], v[24:25]
	v_fma_f64 v[14:15], v[14:15], v[10:11], -v[52:53]
	v_mul_f64 v[24:25], v[18:19], v[24:25]
	s_waitcnt lgkmcnt(1)
	v_mul_f64 v[58:59], v[46:47], v[28:29]
	v_fma_f64 v[60:61], v[16:17], v[10:11], v[12:13]
	v_add_f64 v[52:53], v[2:3], 0
	ds_read_b128 v[2:5], v34 offset:2048
	ds_read_b128 v[6:9], v34 offset:2560
	v_mul_f64 v[28:29], v[44:45], v[28:29]
	v_fma_f64 v[18:19], v[18:19], v[22:23], -v[54:55]
	v_add_f64 v[54:55], v[56:57], 0
	s_waitcnt lgkmcnt(1)
	v_mul_f64 v[56:57], v[4:5], v[50:51]
	v_fma_f64 v[62:63], v[20:21], v[22:23], v[24:25]
	v_fma_f64 v[44:45], v[44:45], v[26:27], -v[58:59]
	v_add_f64 v[52:53], v[52:53], v[14:15]
	ds_read_b128 v[10:13], v32 offset:80
	ds_read_b128 v[14:17], v32 offset:96
	v_mul_f64 v[50:51], v[2:3], v[50:51]
	v_add_f64 v[54:55], v[54:55], v[60:61]
	s_waitcnt lgkmcnt(1)
	v_mul_f64 v[58:59], v[8:9], v[12:13]
	v_fma_f64 v[60:61], v[46:47], v[26:27], v[28:29]
	v_fma_f64 v[2:3], v[2:3], v[48:49], -v[56:57]
	v_add_f64 v[52:53], v[52:53], v[18:19]
	ds_read_b128 v[18:21], v34 offset:3072
	ds_read_b128 v[22:25], v34 offset:3584
	v_mul_f64 v[12:13], v[6:7], v[12:13]
	;; [unrolled: 9-line block ×7, first 2 shown]
	v_fma_f64 v[50:51], v[50:51], v[6:7], v[8:9]
	v_add_f64 v[54:55], v[54:55], v[60:61]
	s_waitcnt lgkmcnt(1)
	v_mul_f64 v[60:61], v[20:21], v[24:25]
	v_fma_f64 v[56:57], v[14:15], v[10:11], -v[56:57]
	v_mul_f64 v[24:25], v[18:19], v[24:25]
	v_add_f64 v[52:53], v[52:53], v[2:3]
	ds_read_b128 v[2:5], v34 offset:6144
	ds_read_b128 v[44:47], v34 offset:6656
	v_fma_f64 v[10:11], v[16:17], v[10:11], v[58:59]
	ds_read_b128 v[6:9], v32 offset:208
	ds_read_b128 v[12:15], v32 offset:224
	v_add_f64 v[54:55], v[54:55], v[62:63]
	v_fma_f64 v[58:59], v[18:19], v[22:23], -v[60:61]
	s_waitcnt lgkmcnt(1)
	v_mul_f64 v[60:61], v[46:47], v[8:9]
	v_add_f64 v[48:49], v[52:53], v[48:49]
	v_mul_f64 v[52:53], v[4:5], v[28:29]
	v_mul_f64 v[28:29], v[2:3], v[28:29]
	v_fma_f64 v[24:25], v[20:21], v[22:23], v[24:25]
	v_add_f64 v[54:55], v[54:55], v[50:51]
	v_add_f64 v[56:57], v[48:49], v[56:57]
	v_fma_f64 v[2:3], v[2:3], v[26:27], -v[52:53]
	ds_read_b128 v[16:19], v34 offset:7168
	ds_read_b128 v[48:51], v34 offset:7680
	v_fma_f64 v[26:27], v[4:5], v[26:27], v[28:29]
	v_add_f64 v[10:11], v[54:55], v[10:11]
	v_fma_f64 v[28:29], v[44:45], v[6:7], -v[60:61]
	s_waitcnt lgkmcnt(1)
	v_mul_f64 v[62:63], v[18:19], v[14:15]
	ds_read_b128 v[20:23], v32 offset:240
	ds_read_b128 v[52:55], v32 offset:256
	v_add_f64 v[56:57], v[56:57], v[58:59]
	v_mul_f64 v[58:59], v[44:45], v[8:9]
	s_waitcnt lgkmcnt(1)
	v_mul_f64 v[60:61], v[50:51], v[22:23]
	v_add_f64 v[24:25], v[10:11], v[24:25]
	v_mul_f64 v[22:23], v[48:49], v[22:23]
	v_add_f64 v[44:45], v[56:57], v[2:3]
	v_mul_f64 v[56:57], v[16:17], v[14:15]
	v_fma_f64 v[6:7], v[46:47], v[6:7], v[58:59]
	v_fma_f64 v[46:47], v[16:17], v[12:13], -v[62:63]
	v_add_f64 v[58:59], v[24:25], v[26:27]
	ds_read_b128 v[2:5], v34 offset:8192
	ds_read_b128 v[8:11], v34 offset:8704
	;; [unrolled: 1-line block ×4, first 2 shown]
	v_fma_f64 v[22:23], v[50:51], v[20:21], v[22:23]
	v_add_f64 v[28:29], v[44:45], v[28:29]
	s_waitcnt lgkmcnt(3)
	v_mul_f64 v[62:63], v[4:5], v[54:55]
	v_fma_f64 v[12:13], v[18:19], v[12:13], v[56:57]
	v_fma_f64 v[18:19], v[48:49], v[20:21], -v[60:61]
	v_add_f64 v[6:7], v[58:59], v[6:7]
	v_mul_f64 v[54:55], v[2:3], v[54:55]
	s_waitcnt lgkmcnt(1)
	v_mul_f64 v[60:61], v[10:11], v[16:17]
	v_mul_f64 v[16:17], v[8:9], v[16:17]
	v_add_f64 v[28:29], v[28:29], v[46:47]
	v_fma_f64 v[2:3], v[2:3], v[52:53], -v[62:63]
	ds_read_b128 v[44:47], v34 offset:9216
	ds_read_b128 v[56:59], v34 offset:9728
	v_add_f64 v[6:7], v[6:7], v[12:13]
	v_fma_f64 v[62:63], v[4:5], v[52:53], v[54:55]
	v_fma_f64 v[8:9], v[8:9], v[14:15], -v[60:61]
	v_fma_f64 v[10:11], v[10:11], v[14:15], v[16:17]
	v_add_f64 v[12:13], v[28:29], v[18:19]
	s_waitcnt lgkmcnt(1)
	v_mul_f64 v[28:29], v[46:47], v[26:27]
	ds_read_b128 v[18:21], v32 offset:304
	ds_read_b128 v[48:51], v32 offset:320
	v_add_f64 v[22:23], v[6:7], v[22:23]
	ds_read_b128 v[4:7], v34 offset:10240
	ds_read_b128 v[52:55], v34 offset:10752
	s_waitcnt lgkmcnt(3)
	v_mul_f64 v[60:61], v[58:59], v[20:21]
	v_add_f64 v[2:3], v[12:13], v[2:3]
	v_mul_f64 v[12:13], v[44:45], v[26:27]
	v_fma_f64 v[44:45], v[44:45], v[24:25], -v[28:29]
	ds_read_b128 v[14:17], v32 offset:336
	ds_read_b128 v[26:29], v32 offset:352
	v_add_f64 v[22:23], v[22:23], v[62:63]
	s_waitcnt lgkmcnt(3)
	v_mul_f64 v[62:63], v[6:7], v[50:51]
	v_mul_f64 v[50:51], v[4:5], v[50:51]
	v_add_f64 v[2:3], v[2:3], v[8:9]
	v_mul_f64 v[8:9], v[56:57], v[20:21]
	v_fma_f64 v[12:13], v[46:47], v[24:25], v[12:13]
	v_fma_f64 v[24:25], v[56:57], v[18:19], -v[60:61]
	v_add_f64 v[10:11], v[22:23], v[10:11]
	s_waitcnt lgkmcnt(1)
	v_mul_f64 v[60:61], v[54:55], v[16:17]
	v_mul_f64 v[16:17], v[52:53], v[16:17]
	v_add_f64 v[2:3], v[2:3], v[44:45]
	v_fma_f64 v[8:9], v[58:59], v[18:19], v[8:9]
	v_fma_f64 v[18:19], v[4:5], v[48:49], -v[62:63]
	ds_read_b128 v[20:23], v34 offset:11264
	ds_read_b128 v[44:47], v34 offset:11776
	v_add_f64 v[10:11], v[10:11], v[12:13]
	v_fma_f64 v[48:49], v[6:7], v[48:49], v[50:51]
	v_fma_f64 v[50:51], v[52:53], v[14:15], -v[60:61]
	v_fma_f64 v[54:55], v[54:55], v[14:15], v[16:17]
	v_add_f64 v[12:13], v[2:3], v[24:25]
	s_waitcnt lgkmcnt(1)
	v_mul_f64 v[24:25], v[22:23], v[28:29]
	ds_read_b128 v[56:59], v32 offset:368
	ds_read_b128 v[2:5], v32 offset:384
	v_mul_f64 v[28:29], v[20:21], v[28:29]
	v_add_f64 v[52:53], v[10:11], v[8:9]
	s_waitcnt lgkmcnt(1)
	v_mul_f64 v[60:61], v[46:47], v[58:59]
	v_add_f64 v[18:19], v[12:13], v[18:19]
	v_fma_f64 v[24:25], v[20:21], v[26:27], -v[24:25]
	ds_read_b128 v[6:9], v34 offset:12288
	ds_read_b128 v[10:13], v34 offset:12800
	v_fma_f64 v[62:63], v[22:23], v[26:27], v[28:29]
	v_add_f64 v[48:49], v[52:53], v[48:49]
	v_mul_f64 v[52:53], v[44:45], v[58:59]
	s_waitcnt lgkmcnt(1)
	v_mul_f64 v[58:59], v[8:9], v[4:5]
	v_fma_f64 v[44:45], v[44:45], v[56:57], -v[60:61]
	v_add_f64 v[50:51], v[18:19], v[50:51]
	ds_read_b128 v[14:17], v32 offset:400
	ds_read_b128 v[18:21], v32 offset:416
	v_add_f64 v[48:49], v[48:49], v[54:55]
	v_mul_f64 v[54:55], v[6:7], v[4:5]
	s_waitcnt lgkmcnt(1)
	v_mul_f64 v[60:61], v[12:13], v[16:17]
	v_fma_f64 v[52:53], v[46:47], v[56:57], v[52:53]
	v_add_f64 v[50:51], v[50:51], v[24:25]
	v_fma_f64 v[56:57], v[6:7], v[2:3], -v[58:59]
	ds_read_b128 v[26:29], v34 offset:13312
	ds_read_b128 v[22:25], v34 offset:13824
	v_mul_f64 v[16:17], v[10:11], v[16:17]
	v_add_f64 v[48:49], v[48:49], v[62:63]
	v_fma_f64 v[2:3], v[8:9], v[2:3], v[54:55]
	s_waitcnt lgkmcnt(1)
	v_mul_f64 v[58:59], v[28:29], v[20:21]
	v_fma_f64 v[54:55], v[10:11], v[14:15], -v[60:61]
	v_add_f64 v[50:51], v[50:51], v[44:45]
	global_load_dwordx4 v[44:47], v[30:31], off
	ds_read_b128 v[4:7], v32 offset:432
	v_mul_f64 v[20:21], v[26:27], v[20:21]
	v_add_f64 v[52:53], v[48:49], v[52:53]
	v_fma_f64 v[16:17], v[12:13], v[14:15], v[16:17]
	v_fma_f64 v[26:27], v[26:27], v[18:19], -v[58:59]
	s_waitcnt lgkmcnt(0)
	v_mul_f64 v[60:61], v[24:25], v[6:7]
	v_add_f64 v[56:57], v[50:51], v[56:57]
	ds_read_b128 v[8:11], v34 offset:14336
	ds_read_b128 v[48:51], v32 offset:448
	v_mul_f64 v[6:7], v[22:23], v[6:7]
	v_fma_f64 v[28:29], v[28:29], v[18:19], v[20:21]
	v_add_f64 v[2:3], v[52:53], v[2:3]
	s_waitcnt lgkmcnt(0)
	v_mul_f64 v[58:59], v[10:11], v[50:51]
	v_fma_f64 v[60:61], v[22:23], v[4:5], -v[60:61]
	v_add_f64 v[56:57], v[56:57], v[54:55]
	ds_read_b128 v[12:15], v34 offset:14848
	ds_read_b128 v[52:55], v32 offset:464
	v_mul_f64 v[50:51], v[8:9], v[50:51]
	v_fma_f64 v[24:25], v[24:25], v[4:5], v[6:7]
	v_add_f64 v[2:3], v[2:3], v[16:17]
	ds_read_b128 v[16:19], v34 offset:15360
	ds_read_b128 v[20:23], v32 offset:480
	v_fma_f64 v[58:59], v[8:9], v[48:49], -v[58:59]
	v_add_f64 v[26:27], v[56:57], v[26:27]
	s_waitcnt lgkmcnt(2)
	v_mul_f64 v[56:57], v[14:15], v[54:55]
	v_mul_f64 v[54:55], v[12:13], v[54:55]
	v_fma_f64 v[10:11], v[10:11], v[48:49], v[50:51]
	v_add_f64 v[28:29], v[2:3], v[28:29]
	ds_read_b128 v[2:5], v34 offset:15872
	ds_read_b128 v[6:9], v32 offset:496
	v_add_f64 v[26:27], v[26:27], v[60:61]
	s_waitcnt lgkmcnt(2)
	v_mul_f64 v[60:61], v[18:19], v[22:23]
	v_fma_f64 v[12:13], v[12:13], v[52:53], -v[56:57]
	v_mul_f64 v[22:23], v[16:17], v[22:23]
	v_add_f64 v[24:25], v[28:29], v[24:25]
	s_waitcnt lgkmcnt(0)
	v_mul_f64 v[28:29], v[4:5], v[8:9]
	v_fma_f64 v[14:15], v[14:15], v[52:53], v[54:55]
	v_mul_f64 v[8:9], v[2:3], v[8:9]
	v_add_f64 v[26:27], v[26:27], v[58:59]
	v_fma_f64 v[16:17], v[16:17], v[20:21], -v[60:61]
	v_fma_f64 v[18:19], v[18:19], v[20:21], v[22:23]
	v_add_f64 v[10:11], v[24:25], v[10:11]
	v_fma_f64 v[2:3], v[2:3], v[6:7], -v[28:29]
	v_fma_f64 v[4:5], v[4:5], v[6:7], v[8:9]
	v_add_f64 v[12:13], v[26:27], v[12:13]
	v_add_f64 v[10:11], v[10:11], v[14:15]
	v_add_f64 v[12:13], v[12:13], v[16:17]
	v_add_f64 v[6:7], v[10:11], v[18:19]
	v_add_f64 v[2:3], v[12:13], v[2:3]
	v_add_f64 v[4:5], v[6:7], v[4:5]
	v_mul_f64 v[6:7], s[28:29], v[2:3]
	v_mul_f64 v[2:3], s[30:31], v[2:3]
	v_fma_f64 v[6:7], s[30:31], v[4:5], v[6:7]
	v_fma_f64 v[4:5], s[28:29], v[4:5], -v[2:3]
	s_waitcnt vmcnt(0)
	v_add_f64 v[2:3], v[44:45], v[6:7]
	v_add_f64 v[4:5], v[46:47], v[4:5]
	global_store_dwordx4 v[30:31], v[2:5], off
	s_branch .LBB1870_3
.LBB1870_16:
	s_endpgm
	.section	.rodata,"a",@progbits
	.p2align	6, 0x0
	.amdhsa_kernel _ZL26rocblas_syr2k_her2k_kernelIlLb1ELb1ELb0ELi32EPK19rocblas_complex_numIdES3_PS1_EvbiT_T4_T5_S5_lS7_S5_lT6_S5_li
		.amdhsa_group_segment_fixed_size 32768
		.amdhsa_private_segment_fixed_size 0
		.amdhsa_kernarg_size 100
		.amdhsa_user_sgpr_count 6
		.amdhsa_user_sgpr_private_segment_buffer 1
		.amdhsa_user_sgpr_dispatch_ptr 0
		.amdhsa_user_sgpr_queue_ptr 0
		.amdhsa_user_sgpr_kernarg_segment_ptr 1
		.amdhsa_user_sgpr_dispatch_id 0
		.amdhsa_user_sgpr_flat_scratch_init 0
		.amdhsa_user_sgpr_private_segment_size 0
		.amdhsa_uses_dynamic_stack 0
		.amdhsa_system_sgpr_private_segment_wavefront_offset 0
		.amdhsa_system_sgpr_workgroup_id_x 1
		.amdhsa_system_sgpr_workgroup_id_y 1
		.amdhsa_system_sgpr_workgroup_id_z 1
		.amdhsa_system_sgpr_workgroup_info 0
		.amdhsa_system_vgpr_workitem_id 1
		.amdhsa_next_free_vgpr 64
		.amdhsa_next_free_sgpr 61
		.amdhsa_reserve_vcc 1
		.amdhsa_reserve_flat_scratch 0
		.amdhsa_float_round_mode_32 0
		.amdhsa_float_round_mode_16_64 0
		.amdhsa_float_denorm_mode_32 3
		.amdhsa_float_denorm_mode_16_64 3
		.amdhsa_dx10_clamp 1
		.amdhsa_ieee_mode 1
		.amdhsa_fp16_overflow 0
		.amdhsa_exception_fp_ieee_invalid_op 0
		.amdhsa_exception_fp_denorm_src 0
		.amdhsa_exception_fp_ieee_div_zero 0
		.amdhsa_exception_fp_ieee_overflow 0
		.amdhsa_exception_fp_ieee_underflow 0
		.amdhsa_exception_fp_ieee_inexact 0
		.amdhsa_exception_int_div_zero 0
	.end_amdhsa_kernel
	.section	.text._ZL26rocblas_syr2k_her2k_kernelIlLb1ELb1ELb0ELi32EPK19rocblas_complex_numIdES3_PS1_EvbiT_T4_T5_S5_lS7_S5_lT6_S5_li,"axG",@progbits,_ZL26rocblas_syr2k_her2k_kernelIlLb1ELb1ELb0ELi32EPK19rocblas_complex_numIdES3_PS1_EvbiT_T4_T5_S5_lS7_S5_lT6_S5_li,comdat
.Lfunc_end1870:
	.size	_ZL26rocblas_syr2k_her2k_kernelIlLb1ELb1ELb0ELi32EPK19rocblas_complex_numIdES3_PS1_EvbiT_T4_T5_S5_lS7_S5_lT6_S5_li, .Lfunc_end1870-_ZL26rocblas_syr2k_her2k_kernelIlLb1ELb1ELb0ELi32EPK19rocblas_complex_numIdES3_PS1_EvbiT_T4_T5_S5_lS7_S5_lT6_S5_li
                                        ; -- End function
	.set _ZL26rocblas_syr2k_her2k_kernelIlLb1ELb1ELb0ELi32EPK19rocblas_complex_numIdES3_PS1_EvbiT_T4_T5_S5_lS7_S5_lT6_S5_li.num_vgpr, 64
	.set _ZL26rocblas_syr2k_her2k_kernelIlLb1ELb1ELb0ELi32EPK19rocblas_complex_numIdES3_PS1_EvbiT_T4_T5_S5_lS7_S5_lT6_S5_li.num_agpr, 0
	.set _ZL26rocblas_syr2k_her2k_kernelIlLb1ELb1ELb0ELi32EPK19rocblas_complex_numIdES3_PS1_EvbiT_T4_T5_S5_lS7_S5_lT6_S5_li.numbered_sgpr, 40
	.set _ZL26rocblas_syr2k_her2k_kernelIlLb1ELb1ELb0ELi32EPK19rocblas_complex_numIdES3_PS1_EvbiT_T4_T5_S5_lS7_S5_lT6_S5_li.num_named_barrier, 0
	.set _ZL26rocblas_syr2k_her2k_kernelIlLb1ELb1ELb0ELi32EPK19rocblas_complex_numIdES3_PS1_EvbiT_T4_T5_S5_lS7_S5_lT6_S5_li.private_seg_size, 0
	.set _ZL26rocblas_syr2k_her2k_kernelIlLb1ELb1ELb0ELi32EPK19rocblas_complex_numIdES3_PS1_EvbiT_T4_T5_S5_lS7_S5_lT6_S5_li.uses_vcc, 1
	.set _ZL26rocblas_syr2k_her2k_kernelIlLb1ELb1ELb0ELi32EPK19rocblas_complex_numIdES3_PS1_EvbiT_T4_T5_S5_lS7_S5_lT6_S5_li.uses_flat_scratch, 0
	.set _ZL26rocblas_syr2k_her2k_kernelIlLb1ELb1ELb0ELi32EPK19rocblas_complex_numIdES3_PS1_EvbiT_T4_T5_S5_lS7_S5_lT6_S5_li.has_dyn_sized_stack, 0
	.set _ZL26rocblas_syr2k_her2k_kernelIlLb1ELb1ELb0ELi32EPK19rocblas_complex_numIdES3_PS1_EvbiT_T4_T5_S5_lS7_S5_lT6_S5_li.has_recursion, 0
	.set _ZL26rocblas_syr2k_her2k_kernelIlLb1ELb1ELb0ELi32EPK19rocblas_complex_numIdES3_PS1_EvbiT_T4_T5_S5_lS7_S5_lT6_S5_li.has_indirect_call, 0
	.section	.AMDGPU.csdata,"",@progbits
; Kernel info:
; codeLenInByte = 5492
; TotalNumSgprs: 44
; NumVgprs: 64
; ScratchSize: 0
; MemoryBound: 1
; FloatMode: 240
; IeeeMode: 1
; LDSByteSize: 32768 bytes/workgroup (compile time only)
; SGPRBlocks: 8
; VGPRBlocks: 15
; NumSGPRsForWavesPerEU: 65
; NumVGPRsForWavesPerEU: 64
; Occupancy: 4
; WaveLimiterHint : 0
; COMPUTE_PGM_RSRC2:SCRATCH_EN: 0
; COMPUTE_PGM_RSRC2:USER_SGPR: 6
; COMPUTE_PGM_RSRC2:TRAP_HANDLER: 0
; COMPUTE_PGM_RSRC2:TGID_X_EN: 1
; COMPUTE_PGM_RSRC2:TGID_Y_EN: 1
; COMPUTE_PGM_RSRC2:TGID_Z_EN: 1
; COMPUTE_PGM_RSRC2:TIDIG_COMP_CNT: 1
	.section	.text._ZL26rocblas_syr2k_her2k_kernelIlLb1ELb1ELb1ELi32EPK19rocblas_complex_numIdES3_PS1_EvbiT_T4_T5_S5_lS7_S5_lT6_S5_li,"axG",@progbits,_ZL26rocblas_syr2k_her2k_kernelIlLb1ELb1ELb1ELi32EPK19rocblas_complex_numIdES3_PS1_EvbiT_T4_T5_S5_lS7_S5_lT6_S5_li,comdat
	.globl	_ZL26rocblas_syr2k_her2k_kernelIlLb1ELb1ELb1ELi32EPK19rocblas_complex_numIdES3_PS1_EvbiT_T4_T5_S5_lS7_S5_lT6_S5_li ; -- Begin function _ZL26rocblas_syr2k_her2k_kernelIlLb1ELb1ELb1ELi32EPK19rocblas_complex_numIdES3_PS1_EvbiT_T4_T5_S5_lS7_S5_lT6_S5_li
	.p2align	8
	.type	_ZL26rocblas_syr2k_her2k_kernelIlLb1ELb1ELb1ELi32EPK19rocblas_complex_numIdES3_PS1_EvbiT_T4_T5_S5_lS7_S5_lT6_S5_li,@function
_ZL26rocblas_syr2k_her2k_kernelIlLb1ELb1ELb1ELi32EPK19rocblas_complex_numIdES3_PS1_EvbiT_T4_T5_S5_lS7_S5_lT6_S5_li: ; @_ZL26rocblas_syr2k_her2k_kernelIlLb1ELb1ELb1ELi32EPK19rocblas_complex_numIdES3_PS1_EvbiT_T4_T5_S5_lS7_S5_lT6_S5_li
; %bb.0:
	s_load_dwordx16 s[12:27], s[4:5], 0x8
	s_waitcnt lgkmcnt(0)
	s_load_dwordx4 s[28:31], s[14:15], 0x0
	s_waitcnt lgkmcnt(0)
	v_cmp_eq_f64_e64 s[0:1], s[28:29], 0
	v_cmp_eq_f64_e64 s[2:3], s[30:31], 0
	s_and_b64 s[0:1], s[0:1], s[2:3]
	s_and_b64 vcc, exec, s[0:1]
	s_cbranch_vccnz .LBB1871_16
; %bb.1:
	s_load_dwordx2 s[10:11], s[4:5], 0x0
	s_lshl_b32 s3, s7, 5
	s_lshl_b32 s2, s6, 5
	s_waitcnt lgkmcnt(0)
	s_and_b32 s0, 1, s10
	s_cmp_eq_u32 s0, 1
	s_cselect_b64 s[0:1], -1, 0
	s_and_b64 s[6:7], s[0:1], exec
	s_cselect_b32 s6, s2, s3
	s_cselect_b32 s7, s3, s2
	s_cmp_gt_i32 s6, s7
	v_cmp_lt_i64_e64 s[6:7], s[12:13], 1
	s_cselect_b64 s[14:15], -1, 0
	s_or_b64 s[6:7], s[14:15], s[6:7]
	s_and_b64 vcc, exec, s[6:7]
	s_cbranch_vccnz .LBB1871_16
; %bb.2:
	s_load_dwordx2 s[6:7], s[4:5], 0x58
	s_load_dwordx4 s[36:39], s[4:5], 0x48
	v_add_u32_e32 v4, s3, v1
	v_mov_b32_e32 v3, 0
	v_add_u32_e32 v2, s2, v0
	s_waitcnt lgkmcnt(0)
	s_mul_i32 s3, s7, s8
	s_mul_hi_u32 s5, s6, s8
	s_mul_i32 s4, s6, s8
	s_add_i32 s5, s5, s3
	s_lshl_b64 s[4:5], s[4:5], 4
	s_add_u32 s6, s36, s4
	s_addc_u32 s7, s37, s5
	s_ashr_i32 s3, s11, 31
	s_mov_b32 s2, s11
	v_mov_b32_e32 v5, v3
	v_cndmask_b32_e64 v7, v2, v4, s[0:1]
	v_cndmask_b32_e64 v8, v4, v2, s[0:1]
	v_cmp_gt_i64_e64 s[0:1], s[2:3], v[2:3]
	v_cmp_gt_i64_e64 s[2:3], s[2:3], v[4:5]
	v_ashrrev_i32_e32 v5, 31, v4
	v_mul_lo_u32 v10, s38, v5
	v_mul_lo_u32 v11, s39, v4
	v_mad_u64_u32 v[5:6], s[4:5], s38, v4, 0
	v_max_i32_e32 v3, v2, v4
	v_cmp_gt_i32_e32 vcc, s11, v3
	v_add3_u32 v6, v6, v10, v11
	v_lshlrev_b64 v[5:6], 4, v[5:6]
	v_cmp_le_i32_e64 s[4:5], v8, v7
	s_and_b64 s[4:5], s[4:5], vcc
	v_mov_b32_e32 v7, s7
	v_add_co_u32_e32 v10, vcc, s6, v5
	v_addc_co_u32_e32 v11, vcc, v7, v6, vcc
	v_mad_u64_u32 v[7:8], s[6:7], s18, v4, 0
	v_ashrrev_i32_e32 v3, 31, v2
	v_lshlrev_b64 v[5:6], 4, v[2:3]
	v_mov_b32_e32 v3, v8
	v_add_co_u32_e32 v30, vcc, v10, v5
	v_addc_co_u32_e32 v31, vcc, v11, v6, vcc
	v_mad_u64_u32 v[5:6], s[6:7], s19, v4, v[3:4]
	s_mul_i32 s9, s21, s8
	s_mul_hi_u32 s10, s20, s8
	v_mov_b32_e32 v8, v5
	s_add_i32 s7, s10, s9
	s_mul_i32 s6, s20, s8
	v_lshlrev_b64 v[5:6], 4, v[7:8]
	s_lshl_b64 s[6:7], s[6:7], 4
	v_mov_b32_e32 v8, s7
	v_add_co_u32_e32 v3, vcc, s6, v5
	v_addc_co_u32_e32 v5, vcc, v8, v6, vcc
	v_lshlrev_b32_e32 v10, 4, v0
	v_add_co_u32_e32 v3, vcc, v3, v10
	v_addc_co_u32_e32 v7, vcc, 0, v5, vcc
	v_mad_u64_u32 v[5:6], s[10:11], s18, v2, 0
	v_mov_b32_e32 v11, s17
	v_add_co_u32_e32 v12, vcc, s16, v3
	v_mov_b32_e32 v3, v6
	v_addc_co_u32_e32 v11, vcc, v11, v7, vcc
	v_mad_u64_u32 v[6:7], s[10:11], s19, v2, v[3:4]
	v_add_co_u32_e32 v36, vcc, 8, v12
	v_lshlrev_b64 v[5:6], 4, v[5:6]
	v_addc_co_u32_e32 v37, vcc, 0, v11, vcc
	v_add_co_u32_e32 v3, vcc, s6, v5
	v_lshlrev_b32_e32 v9, 4, v1
	v_addc_co_u32_e32 v5, vcc, v8, v6, vcc
	v_add_co_u32_e32 v3, vcc, v3, v9
	v_addc_co_u32_e32 v7, vcc, 0, v5, vcc
	v_mad_u64_u32 v[5:6], s[6:7], s24, v4, 0
	v_add_co_u32_e32 v38, vcc, s16, v3
	v_mov_b32_e32 v3, v6
	v_mad_u64_u32 v[3:4], s[6:7], s25, v4, v[3:4]
	s_mul_i32 s9, s27, s8
	s_mul_hi_u32 s10, s26, s8
	v_mov_b32_e32 v6, v3
	v_mov_b32_e32 v8, s17
	s_add_i32 s7, s10, s9
	s_mul_i32 s6, s26, s8
	v_lshlrev_b64 v[3:4], 4, v[5:6]
	v_addc_co_u32_e32 v39, vcc, v8, v7, vcc
	s_lshl_b64 s[6:7], s[6:7], 4
	v_mov_b32_e32 v6, s7
	v_add_co_u32_e32 v3, vcc, s6, v3
	v_addc_co_u32_e32 v4, vcc, v6, v4, vcc
	v_add_co_u32_e32 v5, vcc, v3, v10
	v_addc_co_u32_e32 v7, vcc, 0, v4, vcc
	v_mad_u64_u32 v[3:4], s[8:9], s24, v2, 0
	v_add_co_u32_e32 v10, vcc, s22, v5
	v_mad_u64_u32 v[4:5], s[8:9], s25, v2, v[4:5]
	v_mov_b32_e32 v8, s23
	v_addc_co_u32_e32 v7, vcc, v8, v7, vcc
	v_add_co_u32_e32 v40, vcc, 8, v10
	v_lshlrev_b64 v[2:3], 4, v[3:4]
	v_addc_co_u32_e32 v41, vcc, 0, v7, vcc
	v_add_co_u32_e32 v2, vcc, s6, v2
	v_addc_co_u32_e32 v3, vcc, v6, v3, vcc
	v_add_co_u32_e32 v2, vcc, v2, v9
	v_addc_co_u32_e32 v3, vcc, 0, v3, vcc
	v_mov_b32_e32 v4, s23
	v_add_co_u32_e32 v2, vcc, s22, v2
	v_addc_co_u32_e32 v3, vcc, v4, v3, vcc
	v_lshlrev_b32_e32 v32, 9, v0
	v_or_b32_e32 v34, 0x4000, v9
	v_add_co_u32_e32 v42, vcc, 8, v2
	v_add_u32_e32 v33, v32, v9
	v_add_u32_e32 v35, v34, v32
	v_addc_co_u32_e32 v43, vcc, 0, v3, vcc
	s_mov_b64 s[6:7], 0
	s_mov_b64 s[8:9], 0
	s_branch .LBB1871_4
.LBB1871_3:                             ;   in Loop: Header=BB1871_4 Depth=1
	s_or_b64 exec, exec, s[10:11]
	s_add_u32 s8, s8, 32
	v_mov_b32_e32 v2, s12
	s_addc_u32 s9, s9, 0
	v_mov_b32_e32 v3, s13
	v_cmp_lt_i64_e32 vcc, s[8:9], v[2:3]
	s_add_u32 s6, s6, 0x200
	s_addc_u32 s7, s7, 0
	s_waitcnt vmcnt(0)
	s_barrier
	s_cbranch_vccz .LBB1871_16
.LBB1871_4:                             ; =>This Inner Loop Header: Depth=1
	v_mov_b32_e32 v3, s9
	v_add_co_u32_e32 v2, vcc, s8, v1
	v_addc_co_u32_e32 v3, vcc, 0, v3, vcc
	v_cmp_gt_i64_e32 vcc, s[12:13], v[2:3]
	v_mov_b32_e32 v2, 0
	v_mov_b32_e32 v4, 0
	;; [unrolled: 1-line block ×6, first 2 shown]
	s_and_b64 s[10:11], s[0:1], vcc
	s_and_saveexec_b64 s[14:15], s[10:11]
	s_cbranch_execz .LBB1871_6
; %bb.5:                                ;   in Loop: Header=BB1871_4 Depth=1
	v_mov_b32_e32 v5, s7
	v_add_co_u32_e32 v4, vcc, s6, v38
	v_addc_co_u32_e32 v5, vcc, v39, v5, vcc
	global_load_dwordx4 v[4:7], v[4:5], off
	s_waitcnt vmcnt(0)
	v_xor_b32_e32 v7, 0x80000000, v7
.LBB1871_6:                             ;   in Loop: Header=BB1871_4 Depth=1
	s_or_b64 exec, exec, s[14:15]
	ds_write_b128 v33, v[4:7]
	v_mov_b32_e32 v5, s9
	v_add_co_u32_e32 v4, vcc, s8, v0
	v_addc_co_u32_e32 v5, vcc, 0, v5, vcc
	v_cmp_gt_i64_e32 vcc, s[12:13], v[4:5]
	v_mov_b32_e32 v4, 0
	v_mov_b32_e32 v5, 0
	s_and_b64 s[14:15], s[2:3], vcc
	s_and_saveexec_b64 s[16:17], s[14:15]
	s_cbranch_execz .LBB1871_8
; %bb.7:                                ;   in Loop: Header=BB1871_4 Depth=1
	v_mov_b32_e32 v3, s7
	v_add_co_u32_e32 v2, vcc, s6, v40
	v_addc_co_u32_e32 v3, vcc, v41, v3, vcc
	global_load_dwordx4 v[2:5], v[2:3], off offset:-8
.LBB1871_8:                             ;   in Loop: Header=BB1871_4 Depth=1
	s_or_b64 exec, exec, s[16:17]
	s_waitcnt vmcnt(0)
	ds_write_b128 v35, v[2:5]
	s_waitcnt lgkmcnt(0)
	s_barrier
	s_and_saveexec_b64 s[16:17], s[4:5]
	s_cbranch_execz .LBB1871_10
; %bb.9:                                ;   in Loop: Header=BB1871_4 Depth=1
	ds_read_b128 v[6:9], v34
	ds_read_b128 v[10:13], v32
	ds_read_b128 v[14:17], v32 offset:16
	ds_read_b128 v[18:21], v32 offset:32
	;; [unrolled: 1-line block ×3, first 2 shown]
	s_waitcnt lgkmcnt(3)
	v_mul_f64 v[22:23], v[8:9], v[12:13]
	v_fma_f64 v[22:23], v[6:7], v[10:11], -v[22:23]
	v_mul_f64 v[6:7], v[6:7], v[12:13]
	v_fma_f64 v[6:7], v[8:9], v[10:11], v[6:7]
	v_add_f64 v[10:11], v[22:23], 0
	v_add_f64 v[12:13], v[6:7], 0
	ds_read_b128 v[6:9], v34 offset:512
	s_waitcnt lgkmcnt(0)
	v_mul_f64 v[22:23], v[8:9], v[16:17]
	v_fma_f64 v[22:23], v[6:7], v[14:15], -v[22:23]
	v_mul_f64 v[6:7], v[6:7], v[16:17]
	v_add_f64 v[10:11], v[10:11], v[22:23]
	v_fma_f64 v[6:7], v[8:9], v[14:15], v[6:7]
	v_add_f64 v[12:13], v[12:13], v[6:7]
	ds_read_b128 v[6:9], v34 offset:1024
	s_waitcnt lgkmcnt(0)
	v_mul_f64 v[14:15], v[8:9], v[20:21]
	v_fma_f64 v[14:15], v[6:7], v[18:19], -v[14:15]
	v_mul_f64 v[6:7], v[6:7], v[20:21]
	v_add_f64 v[10:11], v[10:11], v[14:15]
	v_fma_f64 v[6:7], v[8:9], v[18:19], v[6:7]
	v_add_f64 v[12:13], v[12:13], v[6:7]
	ds_read_b128 v[6:9], v34 offset:1536
	s_waitcnt lgkmcnt(0)
	v_mul_f64 v[14:15], v[8:9], v[4:5]
	v_mul_f64 v[4:5], v[6:7], v[4:5]
	v_fma_f64 v[14:15], v[6:7], v[2:3], -v[14:15]
	v_fma_f64 v[2:3], v[8:9], v[2:3], v[4:5]
	v_add_f64 v[10:11], v[10:11], v[14:15]
	v_add_f64 v[12:13], v[12:13], v[2:3]
	ds_read_b128 v[2:5], v34 offset:2048
	ds_read_b128 v[6:9], v32 offset:64
	s_waitcnt lgkmcnt(0)
	v_mul_f64 v[14:15], v[4:5], v[8:9]
	v_fma_f64 v[14:15], v[2:3], v[6:7], -v[14:15]
	v_mul_f64 v[2:3], v[2:3], v[8:9]
	v_add_f64 v[10:11], v[10:11], v[14:15]
	v_fma_f64 v[2:3], v[4:5], v[6:7], v[2:3]
	v_add_f64 v[12:13], v[12:13], v[2:3]
	ds_read_b128 v[2:5], v34 offset:2560
	ds_read_b128 v[6:9], v32 offset:80
	s_waitcnt lgkmcnt(0)
	v_mul_f64 v[14:15], v[4:5], v[8:9]
	v_fma_f64 v[14:15], v[2:3], v[6:7], -v[14:15]
	v_mul_f64 v[2:3], v[2:3], v[8:9]
	v_add_f64 v[10:11], v[10:11], v[14:15]
	v_fma_f64 v[2:3], v[4:5], v[6:7], v[2:3]
	v_add_f64 v[12:13], v[12:13], v[2:3]
	ds_read_b128 v[2:5], v34 offset:3072
	ds_read_b128 v[6:9], v32 offset:96
	s_waitcnt lgkmcnt(0)
	v_mul_f64 v[14:15], v[4:5], v[8:9]
	v_fma_f64 v[14:15], v[2:3], v[6:7], -v[14:15]
	v_mul_f64 v[2:3], v[2:3], v[8:9]
	v_add_f64 v[10:11], v[10:11], v[14:15]
	v_fma_f64 v[2:3], v[4:5], v[6:7], v[2:3]
	v_add_f64 v[12:13], v[12:13], v[2:3]
	ds_read_b128 v[2:5], v34 offset:3584
	ds_read_b128 v[6:9], v32 offset:112
	s_waitcnt lgkmcnt(0)
	v_mul_f64 v[14:15], v[4:5], v[8:9]
	v_fma_f64 v[14:15], v[2:3], v[6:7], -v[14:15]
	v_mul_f64 v[2:3], v[2:3], v[8:9]
	v_add_f64 v[10:11], v[10:11], v[14:15]
	v_fma_f64 v[2:3], v[4:5], v[6:7], v[2:3]
	v_add_f64 v[12:13], v[12:13], v[2:3]
	ds_read_b128 v[2:5], v34 offset:4096
	ds_read_b128 v[6:9], v32 offset:128
	s_waitcnt lgkmcnt(0)
	v_mul_f64 v[14:15], v[4:5], v[8:9]
	v_fma_f64 v[14:15], v[2:3], v[6:7], -v[14:15]
	v_mul_f64 v[2:3], v[2:3], v[8:9]
	v_add_f64 v[10:11], v[10:11], v[14:15]
	v_fma_f64 v[2:3], v[4:5], v[6:7], v[2:3]
	v_add_f64 v[12:13], v[12:13], v[2:3]
	ds_read_b128 v[2:5], v34 offset:4608
	ds_read_b128 v[6:9], v32 offset:144
	s_waitcnt lgkmcnt(0)
	v_mul_f64 v[14:15], v[4:5], v[8:9]
	v_fma_f64 v[14:15], v[2:3], v[6:7], -v[14:15]
	v_mul_f64 v[2:3], v[2:3], v[8:9]
	v_add_f64 v[10:11], v[10:11], v[14:15]
	v_fma_f64 v[2:3], v[4:5], v[6:7], v[2:3]
	v_add_f64 v[12:13], v[12:13], v[2:3]
	ds_read_b128 v[2:5], v34 offset:5120
	ds_read_b128 v[6:9], v32 offset:160
	s_waitcnt lgkmcnt(0)
	v_mul_f64 v[14:15], v[4:5], v[8:9]
	v_fma_f64 v[14:15], v[2:3], v[6:7], -v[14:15]
	v_mul_f64 v[2:3], v[2:3], v[8:9]
	v_add_f64 v[10:11], v[10:11], v[14:15]
	v_fma_f64 v[2:3], v[4:5], v[6:7], v[2:3]
	v_add_f64 v[12:13], v[12:13], v[2:3]
	ds_read_b128 v[2:5], v34 offset:5632
	ds_read_b128 v[6:9], v32 offset:176
	s_waitcnt lgkmcnt(0)
	v_mul_f64 v[14:15], v[4:5], v[8:9]
	v_fma_f64 v[14:15], v[2:3], v[6:7], -v[14:15]
	v_mul_f64 v[2:3], v[2:3], v[8:9]
	v_add_f64 v[10:11], v[10:11], v[14:15]
	v_fma_f64 v[2:3], v[4:5], v[6:7], v[2:3]
	v_add_f64 v[12:13], v[12:13], v[2:3]
	ds_read_b128 v[2:5], v34 offset:6144
	ds_read_b128 v[6:9], v32 offset:192
	s_waitcnt lgkmcnt(0)
	v_mul_f64 v[14:15], v[4:5], v[8:9]
	v_fma_f64 v[14:15], v[2:3], v[6:7], -v[14:15]
	v_mul_f64 v[2:3], v[2:3], v[8:9]
	v_add_f64 v[10:11], v[10:11], v[14:15]
	v_fma_f64 v[2:3], v[4:5], v[6:7], v[2:3]
	v_add_f64 v[12:13], v[12:13], v[2:3]
	ds_read_b128 v[2:5], v34 offset:6656
	ds_read_b128 v[6:9], v32 offset:208
	s_waitcnt lgkmcnt(0)
	v_mul_f64 v[14:15], v[4:5], v[8:9]
	v_fma_f64 v[14:15], v[2:3], v[6:7], -v[14:15]
	v_mul_f64 v[2:3], v[2:3], v[8:9]
	v_add_f64 v[10:11], v[10:11], v[14:15]
	v_fma_f64 v[2:3], v[4:5], v[6:7], v[2:3]
	v_add_f64 v[12:13], v[12:13], v[2:3]
	ds_read_b128 v[2:5], v34 offset:7168
	ds_read_b128 v[6:9], v32 offset:224
	s_waitcnt lgkmcnt(0)
	v_mul_f64 v[14:15], v[4:5], v[8:9]
	v_fma_f64 v[14:15], v[2:3], v[6:7], -v[14:15]
	v_mul_f64 v[2:3], v[2:3], v[8:9]
	v_add_f64 v[10:11], v[10:11], v[14:15]
	v_fma_f64 v[2:3], v[4:5], v[6:7], v[2:3]
	v_add_f64 v[12:13], v[12:13], v[2:3]
	ds_read_b128 v[2:5], v34 offset:7680
	ds_read_b128 v[6:9], v32 offset:240
	s_waitcnt lgkmcnt(0)
	v_mul_f64 v[14:15], v[4:5], v[8:9]
	v_fma_f64 v[14:15], v[2:3], v[6:7], -v[14:15]
	v_mul_f64 v[2:3], v[2:3], v[8:9]
	v_add_f64 v[10:11], v[10:11], v[14:15]
	v_fma_f64 v[2:3], v[4:5], v[6:7], v[2:3]
	v_add_f64 v[12:13], v[12:13], v[2:3]
	ds_read_b128 v[2:5], v34 offset:8192
	ds_read_b128 v[6:9], v32 offset:256
	s_waitcnt lgkmcnt(0)
	v_mul_f64 v[14:15], v[4:5], v[8:9]
	v_fma_f64 v[14:15], v[2:3], v[6:7], -v[14:15]
	v_mul_f64 v[2:3], v[2:3], v[8:9]
	v_add_f64 v[10:11], v[10:11], v[14:15]
	v_fma_f64 v[2:3], v[4:5], v[6:7], v[2:3]
	v_add_f64 v[12:13], v[12:13], v[2:3]
	ds_read_b128 v[2:5], v34 offset:8704
	ds_read_b128 v[6:9], v32 offset:272
	s_waitcnt lgkmcnt(0)
	v_mul_f64 v[14:15], v[4:5], v[8:9]
	v_fma_f64 v[14:15], v[2:3], v[6:7], -v[14:15]
	v_mul_f64 v[2:3], v[2:3], v[8:9]
	v_add_f64 v[10:11], v[10:11], v[14:15]
	v_fma_f64 v[2:3], v[4:5], v[6:7], v[2:3]
	v_add_f64 v[12:13], v[12:13], v[2:3]
	ds_read_b128 v[2:5], v34 offset:9216
	ds_read_b128 v[6:9], v32 offset:288
	s_waitcnt lgkmcnt(0)
	v_mul_f64 v[14:15], v[4:5], v[8:9]
	v_fma_f64 v[14:15], v[2:3], v[6:7], -v[14:15]
	v_mul_f64 v[2:3], v[2:3], v[8:9]
	v_add_f64 v[10:11], v[10:11], v[14:15]
	v_fma_f64 v[2:3], v[4:5], v[6:7], v[2:3]
	v_add_f64 v[12:13], v[12:13], v[2:3]
	ds_read_b128 v[2:5], v34 offset:9728
	ds_read_b128 v[6:9], v32 offset:304
	s_waitcnt lgkmcnt(0)
	v_mul_f64 v[14:15], v[4:5], v[8:9]
	v_fma_f64 v[14:15], v[2:3], v[6:7], -v[14:15]
	v_mul_f64 v[2:3], v[2:3], v[8:9]
	v_add_f64 v[10:11], v[10:11], v[14:15]
	v_fma_f64 v[2:3], v[4:5], v[6:7], v[2:3]
	v_add_f64 v[12:13], v[12:13], v[2:3]
	ds_read_b128 v[2:5], v34 offset:10240
	ds_read_b128 v[6:9], v32 offset:320
	s_waitcnt lgkmcnt(0)
	v_mul_f64 v[14:15], v[4:5], v[8:9]
	v_fma_f64 v[14:15], v[2:3], v[6:7], -v[14:15]
	v_mul_f64 v[2:3], v[2:3], v[8:9]
	v_add_f64 v[10:11], v[10:11], v[14:15]
	v_fma_f64 v[2:3], v[4:5], v[6:7], v[2:3]
	v_add_f64 v[12:13], v[12:13], v[2:3]
	ds_read_b128 v[2:5], v34 offset:10752
	ds_read_b128 v[6:9], v32 offset:336
	s_waitcnt lgkmcnt(0)
	v_mul_f64 v[14:15], v[4:5], v[8:9]
	v_fma_f64 v[14:15], v[2:3], v[6:7], -v[14:15]
	v_mul_f64 v[2:3], v[2:3], v[8:9]
	v_add_f64 v[10:11], v[10:11], v[14:15]
	v_fma_f64 v[2:3], v[4:5], v[6:7], v[2:3]
	v_add_f64 v[12:13], v[12:13], v[2:3]
	ds_read_b128 v[2:5], v34 offset:11264
	ds_read_b128 v[6:9], v32 offset:352
	s_waitcnt lgkmcnt(0)
	v_mul_f64 v[14:15], v[4:5], v[8:9]
	v_fma_f64 v[14:15], v[2:3], v[6:7], -v[14:15]
	v_mul_f64 v[2:3], v[2:3], v[8:9]
	v_add_f64 v[10:11], v[10:11], v[14:15]
	v_fma_f64 v[2:3], v[4:5], v[6:7], v[2:3]
	v_add_f64 v[12:13], v[12:13], v[2:3]
	ds_read_b128 v[2:5], v34 offset:11776
	ds_read_b128 v[6:9], v32 offset:368
	s_waitcnt lgkmcnt(0)
	v_mul_f64 v[14:15], v[4:5], v[8:9]
	v_fma_f64 v[14:15], v[2:3], v[6:7], -v[14:15]
	v_mul_f64 v[2:3], v[2:3], v[8:9]
	v_add_f64 v[10:11], v[10:11], v[14:15]
	v_fma_f64 v[2:3], v[4:5], v[6:7], v[2:3]
	v_add_f64 v[12:13], v[12:13], v[2:3]
	ds_read_b128 v[2:5], v34 offset:12288
	ds_read_b128 v[6:9], v32 offset:384
	s_waitcnt lgkmcnt(0)
	v_mul_f64 v[14:15], v[4:5], v[8:9]
	v_fma_f64 v[14:15], v[2:3], v[6:7], -v[14:15]
	v_mul_f64 v[2:3], v[2:3], v[8:9]
	v_add_f64 v[10:11], v[10:11], v[14:15]
	v_fma_f64 v[2:3], v[4:5], v[6:7], v[2:3]
	v_add_f64 v[12:13], v[12:13], v[2:3]
	ds_read_b128 v[2:5], v34 offset:12800
	ds_read_b128 v[6:9], v32 offset:400
	s_waitcnt lgkmcnt(0)
	v_mul_f64 v[14:15], v[4:5], v[8:9]
	v_fma_f64 v[14:15], v[2:3], v[6:7], -v[14:15]
	v_mul_f64 v[2:3], v[2:3], v[8:9]
	v_add_f64 v[10:11], v[10:11], v[14:15]
	v_fma_f64 v[2:3], v[4:5], v[6:7], v[2:3]
	v_add_f64 v[12:13], v[12:13], v[2:3]
	ds_read_b128 v[2:5], v34 offset:13312
	ds_read_b128 v[6:9], v32 offset:416
	s_waitcnt lgkmcnt(0)
	v_mul_f64 v[14:15], v[4:5], v[8:9]
	v_fma_f64 v[14:15], v[2:3], v[6:7], -v[14:15]
	v_mul_f64 v[2:3], v[2:3], v[8:9]
	v_add_f64 v[10:11], v[10:11], v[14:15]
	v_fma_f64 v[2:3], v[4:5], v[6:7], v[2:3]
	v_add_f64 v[12:13], v[12:13], v[2:3]
	ds_read_b128 v[2:5], v34 offset:13824
	ds_read_b128 v[6:9], v32 offset:432
	s_waitcnt lgkmcnt(0)
	v_mul_f64 v[14:15], v[4:5], v[8:9]
	v_fma_f64 v[14:15], v[2:3], v[6:7], -v[14:15]
	v_mul_f64 v[2:3], v[2:3], v[8:9]
	v_add_f64 v[10:11], v[10:11], v[14:15]
	v_fma_f64 v[2:3], v[4:5], v[6:7], v[2:3]
	v_add_f64 v[12:13], v[12:13], v[2:3]
	ds_read_b128 v[2:5], v34 offset:14336
	ds_read_b128 v[6:9], v32 offset:448
	s_waitcnt lgkmcnt(0)
	v_mul_f64 v[14:15], v[4:5], v[8:9]
	v_fma_f64 v[14:15], v[2:3], v[6:7], -v[14:15]
	v_mul_f64 v[2:3], v[2:3], v[8:9]
	v_add_f64 v[10:11], v[10:11], v[14:15]
	v_fma_f64 v[2:3], v[4:5], v[6:7], v[2:3]
	v_add_f64 v[12:13], v[12:13], v[2:3]
	ds_read_b128 v[2:5], v34 offset:14848
	ds_read_b128 v[6:9], v32 offset:464
	s_waitcnt lgkmcnt(0)
	v_mul_f64 v[14:15], v[4:5], v[8:9]
	v_fma_f64 v[14:15], v[2:3], v[6:7], -v[14:15]
	v_mul_f64 v[2:3], v[2:3], v[8:9]
	v_add_f64 v[10:11], v[10:11], v[14:15]
	v_fma_f64 v[2:3], v[4:5], v[6:7], v[2:3]
	v_add_f64 v[12:13], v[12:13], v[2:3]
	ds_read_b128 v[2:5], v34 offset:15360
	ds_read_b128 v[6:9], v32 offset:480
	s_waitcnt lgkmcnt(0)
	v_mul_f64 v[14:15], v[4:5], v[8:9]
	v_fma_f64 v[14:15], v[2:3], v[6:7], -v[14:15]
	v_mul_f64 v[2:3], v[2:3], v[8:9]
	v_add_f64 v[10:11], v[10:11], v[14:15]
	v_fma_f64 v[2:3], v[4:5], v[6:7], v[2:3]
	v_add_f64 v[12:13], v[12:13], v[2:3]
	ds_read_b128 v[2:5], v34 offset:15872
	ds_read_b128 v[6:9], v32 offset:496
	s_waitcnt lgkmcnt(0)
	v_mul_f64 v[14:15], v[4:5], v[8:9]
	v_fma_f64 v[14:15], v[2:3], v[6:7], -v[14:15]
	v_mul_f64 v[2:3], v[2:3], v[8:9]
	v_fma_f64 v[2:3], v[4:5], v[6:7], v[2:3]
	v_add_f64 v[4:5], v[10:11], v[14:15]
	v_add_f64 v[2:3], v[12:13], v[2:3]
	v_mul_f64 v[6:7], s[30:31], v[2:3]
	v_mul_f64 v[2:3], s[28:29], v[2:3]
	v_fma_f64 v[6:7], s[28:29], v[4:5], -v[6:7]
	v_fma_f64 v[8:9], s[30:31], v[4:5], v[2:3]
	global_load_dwordx4 v[2:5], v[30:31], off
	s_waitcnt vmcnt(0)
	v_add_f64 v[2:3], v[2:3], v[6:7]
	v_add_f64 v[4:5], v[4:5], v[8:9]
	global_store_dwordx4 v[30:31], v[2:5], off
.LBB1871_10:                            ;   in Loop: Header=BB1871_4 Depth=1
	s_or_b64 exec, exec, s[16:17]
	v_mov_b32_e32 v4, 0
	v_mov_b32_e32 v8, 0
	;; [unrolled: 1-line block ×6, first 2 shown]
	s_waitcnt vmcnt(0)
	s_barrier
	s_and_saveexec_b64 s[16:17], s[10:11]
	s_cbranch_execz .LBB1871_12
; %bb.11:                               ;   in Loop: Header=BB1871_4 Depth=1
	v_mov_b32_e32 v3, s7
	v_add_co_u32_e32 v2, vcc, s6, v42
	v_addc_co_u32_e32 v3, vcc, v43, v3, vcc
	global_load_dwordx4 v[6:9], v[2:3], off offset:-8
	s_waitcnt vmcnt(0)
	v_xor_b32_e32 v9, 0x80000000, v9
.LBB1871_12:                            ;   in Loop: Header=BB1871_4 Depth=1
	s_or_b64 exec, exec, s[16:17]
	v_mov_b32_e32 v2, 0
	v_mov_b32_e32 v3, 0
	ds_write_b128 v33, v[6:9]
	s_and_saveexec_b64 s[10:11], s[14:15]
	s_cbranch_execz .LBB1871_14
; %bb.13:                               ;   in Loop: Header=BB1871_4 Depth=1
	v_mov_b32_e32 v3, s7
	v_add_co_u32_e32 v2, vcc, s6, v36
	v_addc_co_u32_e32 v3, vcc, v37, v3, vcc
	global_load_dwordx4 v[2:5], v[2:3], off offset:-8
.LBB1871_14:                            ;   in Loop: Header=BB1871_4 Depth=1
	s_or_b64 exec, exec, s[10:11]
	s_waitcnt vmcnt(0)
	ds_write_b128 v35, v[2:5]
	s_waitcnt lgkmcnt(0)
	s_barrier
	s_and_saveexec_b64 s[10:11], s[4:5]
	s_cbranch_execz .LBB1871_3
; %bb.15:                               ;   in Loop: Header=BB1871_4 Depth=1
	ds_read_b128 v[2:5], v34
	ds_read_b128 v[6:9], v32
	ds_read_b128 v[10:13], v32 offset:16
	ds_read_b128 v[14:17], v34 offset:512
	ds_read_b128 v[18:21], v34 offset:1024
	s_waitcnt lgkmcnt(3)
	v_mul_f64 v[22:23], v[4:5], v[8:9]
	v_mul_f64 v[8:9], v[2:3], v[8:9]
	s_waitcnt lgkmcnt(1)
	v_mul_f64 v[52:53], v[16:17], v[12:13]
	v_mul_f64 v[12:13], v[14:15], v[12:13]
	v_fma_f64 v[2:3], v[2:3], v[6:7], -v[22:23]
	ds_read_b128 v[22:25], v32 offset:32
	ds_read_b128 v[26:29], v32 offset:48
	;; [unrolled: 1-line block ×4, first 2 shown]
	v_fma_f64 v[56:57], v[4:5], v[6:7], v[8:9]
	s_waitcnt lgkmcnt(3)
	v_mul_f64 v[54:55], v[20:21], v[24:25]
	v_fma_f64 v[14:15], v[14:15], v[10:11], -v[52:53]
	v_mul_f64 v[24:25], v[18:19], v[24:25]
	s_waitcnt lgkmcnt(1)
	v_mul_f64 v[58:59], v[46:47], v[28:29]
	v_fma_f64 v[60:61], v[16:17], v[10:11], v[12:13]
	v_add_f64 v[52:53], v[2:3], 0
	ds_read_b128 v[2:5], v34 offset:2048
	ds_read_b128 v[6:9], v34 offset:2560
	v_mul_f64 v[28:29], v[44:45], v[28:29]
	v_fma_f64 v[18:19], v[18:19], v[22:23], -v[54:55]
	v_add_f64 v[54:55], v[56:57], 0
	s_waitcnt lgkmcnt(1)
	v_mul_f64 v[56:57], v[4:5], v[50:51]
	v_fma_f64 v[62:63], v[20:21], v[22:23], v[24:25]
	v_fma_f64 v[44:45], v[44:45], v[26:27], -v[58:59]
	v_add_f64 v[52:53], v[52:53], v[14:15]
	ds_read_b128 v[10:13], v32 offset:80
	ds_read_b128 v[14:17], v32 offset:96
	v_mul_f64 v[50:51], v[2:3], v[50:51]
	v_add_f64 v[54:55], v[54:55], v[60:61]
	s_waitcnt lgkmcnt(1)
	v_mul_f64 v[58:59], v[8:9], v[12:13]
	v_fma_f64 v[60:61], v[46:47], v[26:27], v[28:29]
	v_fma_f64 v[2:3], v[2:3], v[48:49], -v[56:57]
	v_add_f64 v[52:53], v[52:53], v[18:19]
	ds_read_b128 v[18:21], v34 offset:3072
	ds_read_b128 v[22:25], v34 offset:3584
	v_mul_f64 v[12:13], v[6:7], v[12:13]
	v_add_f64 v[54:55], v[54:55], v[62:63]
	s_waitcnt lgkmcnt(1)
	v_mul_f64 v[56:57], v[20:21], v[16:17]
	v_fma_f64 v[62:63], v[4:5], v[48:49], v[50:51]
	v_fma_f64 v[6:7], v[6:7], v[10:11], -v[58:59]
	v_add_f64 v[52:53], v[52:53], v[44:45]
	ds_read_b128 v[26:29], v32 offset:112
	ds_read_b128 v[44:47], v32 offset:128
	v_mul_f64 v[16:17], v[18:19], v[16:17]
	v_add_f64 v[54:55], v[54:55], v[60:61]
	s_waitcnt lgkmcnt(1)
	v_mul_f64 v[58:59], v[24:25], v[28:29]
	v_fma_f64 v[60:61], v[8:9], v[10:11], v[12:13]
	v_fma_f64 v[18:19], v[18:19], v[14:15], -v[56:57]
	v_add_f64 v[52:53], v[52:53], v[2:3]
	ds_read_b128 v[2:5], v34 offset:4096
	ds_read_b128 v[48:51], v34 offset:4608
	v_mul_f64 v[28:29], v[22:23], v[28:29]
	v_add_f64 v[54:55], v[54:55], v[62:63]
	s_waitcnt lgkmcnt(1)
	v_mul_f64 v[56:57], v[4:5], v[46:47]
	v_fma_f64 v[62:63], v[20:21], v[14:15], v[16:17]
	v_fma_f64 v[22:23], v[22:23], v[26:27], -v[58:59]
	v_add_f64 v[52:53], v[52:53], v[6:7]
	ds_read_b128 v[6:9], v32 offset:144
	ds_read_b128 v[10:13], v32 offset:160
	v_mul_f64 v[46:47], v[2:3], v[46:47]
	v_add_f64 v[54:55], v[54:55], v[60:61]
	s_waitcnt lgkmcnt(1)
	v_mul_f64 v[58:59], v[50:51], v[8:9]
	v_fma_f64 v[60:61], v[24:25], v[26:27], v[28:29]
	v_fma_f64 v[2:3], v[2:3], v[44:45], -v[56:57]
	v_add_f64 v[52:53], v[52:53], v[18:19]
	ds_read_b128 v[14:17], v34 offset:5120
	ds_read_b128 v[18:21], v34 offset:5632
	v_mul_f64 v[8:9], v[48:49], v[8:9]
	v_add_f64 v[54:55], v[54:55], v[62:63]
	s_waitcnt lgkmcnt(1)
	v_mul_f64 v[56:57], v[16:17], v[12:13]
	v_fma_f64 v[62:63], v[4:5], v[44:45], v[46:47]
	v_fma_f64 v[48:49], v[48:49], v[6:7], -v[58:59]
	v_add_f64 v[52:53], v[52:53], v[22:23]
	ds_read_b128 v[22:25], v32 offset:176
	ds_read_b128 v[26:29], v32 offset:192
	v_mul_f64 v[58:59], v[14:15], v[12:13]
	v_fma_f64 v[50:51], v[50:51], v[6:7], v[8:9]
	v_add_f64 v[54:55], v[54:55], v[60:61]
	s_waitcnt lgkmcnt(1)
	v_mul_f64 v[60:61], v[20:21], v[24:25]
	v_fma_f64 v[56:57], v[14:15], v[10:11], -v[56:57]
	v_mul_f64 v[24:25], v[18:19], v[24:25]
	v_add_f64 v[52:53], v[52:53], v[2:3]
	ds_read_b128 v[2:5], v34 offset:6144
	ds_read_b128 v[44:47], v34 offset:6656
	v_fma_f64 v[10:11], v[16:17], v[10:11], v[58:59]
	ds_read_b128 v[6:9], v32 offset:208
	ds_read_b128 v[12:15], v32 offset:224
	v_add_f64 v[54:55], v[54:55], v[62:63]
	v_fma_f64 v[58:59], v[18:19], v[22:23], -v[60:61]
	s_waitcnt lgkmcnt(1)
	v_mul_f64 v[60:61], v[46:47], v[8:9]
	v_add_f64 v[48:49], v[52:53], v[48:49]
	v_mul_f64 v[52:53], v[4:5], v[28:29]
	v_mul_f64 v[28:29], v[2:3], v[28:29]
	v_fma_f64 v[24:25], v[20:21], v[22:23], v[24:25]
	v_add_f64 v[54:55], v[54:55], v[50:51]
	v_add_f64 v[56:57], v[48:49], v[56:57]
	v_fma_f64 v[2:3], v[2:3], v[26:27], -v[52:53]
	ds_read_b128 v[16:19], v34 offset:7168
	ds_read_b128 v[48:51], v34 offset:7680
	v_fma_f64 v[26:27], v[4:5], v[26:27], v[28:29]
	v_add_f64 v[10:11], v[54:55], v[10:11]
	v_fma_f64 v[28:29], v[44:45], v[6:7], -v[60:61]
	s_waitcnt lgkmcnt(1)
	v_mul_f64 v[62:63], v[18:19], v[14:15]
	ds_read_b128 v[20:23], v32 offset:240
	ds_read_b128 v[52:55], v32 offset:256
	v_add_f64 v[56:57], v[56:57], v[58:59]
	v_mul_f64 v[58:59], v[44:45], v[8:9]
	s_waitcnt lgkmcnt(1)
	v_mul_f64 v[60:61], v[50:51], v[22:23]
	v_add_f64 v[24:25], v[10:11], v[24:25]
	v_mul_f64 v[22:23], v[48:49], v[22:23]
	v_add_f64 v[44:45], v[56:57], v[2:3]
	v_mul_f64 v[56:57], v[16:17], v[14:15]
	v_fma_f64 v[6:7], v[46:47], v[6:7], v[58:59]
	v_fma_f64 v[46:47], v[16:17], v[12:13], -v[62:63]
	v_add_f64 v[58:59], v[24:25], v[26:27]
	ds_read_b128 v[2:5], v34 offset:8192
	ds_read_b128 v[8:11], v34 offset:8704
	;; [unrolled: 1-line block ×4, first 2 shown]
	v_fma_f64 v[22:23], v[50:51], v[20:21], v[22:23]
	v_add_f64 v[28:29], v[44:45], v[28:29]
	s_waitcnt lgkmcnt(3)
	v_mul_f64 v[62:63], v[4:5], v[54:55]
	v_fma_f64 v[12:13], v[18:19], v[12:13], v[56:57]
	v_fma_f64 v[18:19], v[48:49], v[20:21], -v[60:61]
	v_add_f64 v[6:7], v[58:59], v[6:7]
	v_mul_f64 v[54:55], v[2:3], v[54:55]
	s_waitcnt lgkmcnt(1)
	v_mul_f64 v[60:61], v[10:11], v[16:17]
	v_mul_f64 v[16:17], v[8:9], v[16:17]
	v_add_f64 v[28:29], v[28:29], v[46:47]
	v_fma_f64 v[2:3], v[2:3], v[52:53], -v[62:63]
	ds_read_b128 v[44:47], v34 offset:9216
	ds_read_b128 v[56:59], v34 offset:9728
	v_add_f64 v[6:7], v[6:7], v[12:13]
	v_fma_f64 v[62:63], v[4:5], v[52:53], v[54:55]
	v_fma_f64 v[8:9], v[8:9], v[14:15], -v[60:61]
	v_fma_f64 v[10:11], v[10:11], v[14:15], v[16:17]
	v_add_f64 v[12:13], v[28:29], v[18:19]
	s_waitcnt lgkmcnt(1)
	v_mul_f64 v[28:29], v[46:47], v[26:27]
	ds_read_b128 v[18:21], v32 offset:304
	ds_read_b128 v[48:51], v32 offset:320
	v_add_f64 v[22:23], v[6:7], v[22:23]
	ds_read_b128 v[4:7], v34 offset:10240
	ds_read_b128 v[52:55], v34 offset:10752
	s_waitcnt lgkmcnt(3)
	v_mul_f64 v[60:61], v[58:59], v[20:21]
	v_add_f64 v[2:3], v[12:13], v[2:3]
	v_mul_f64 v[12:13], v[44:45], v[26:27]
	v_fma_f64 v[44:45], v[44:45], v[24:25], -v[28:29]
	ds_read_b128 v[14:17], v32 offset:336
	ds_read_b128 v[26:29], v32 offset:352
	v_add_f64 v[22:23], v[22:23], v[62:63]
	s_waitcnt lgkmcnt(3)
	v_mul_f64 v[62:63], v[6:7], v[50:51]
	v_mul_f64 v[50:51], v[4:5], v[50:51]
	v_add_f64 v[2:3], v[2:3], v[8:9]
	v_mul_f64 v[8:9], v[56:57], v[20:21]
	v_fma_f64 v[12:13], v[46:47], v[24:25], v[12:13]
	v_fma_f64 v[24:25], v[56:57], v[18:19], -v[60:61]
	v_add_f64 v[10:11], v[22:23], v[10:11]
	s_waitcnt lgkmcnt(1)
	v_mul_f64 v[60:61], v[54:55], v[16:17]
	v_mul_f64 v[16:17], v[52:53], v[16:17]
	v_add_f64 v[2:3], v[2:3], v[44:45]
	v_fma_f64 v[8:9], v[58:59], v[18:19], v[8:9]
	v_fma_f64 v[18:19], v[4:5], v[48:49], -v[62:63]
	ds_read_b128 v[20:23], v34 offset:11264
	ds_read_b128 v[44:47], v34 offset:11776
	v_add_f64 v[10:11], v[10:11], v[12:13]
	v_fma_f64 v[48:49], v[6:7], v[48:49], v[50:51]
	v_fma_f64 v[50:51], v[52:53], v[14:15], -v[60:61]
	v_fma_f64 v[54:55], v[54:55], v[14:15], v[16:17]
	v_add_f64 v[12:13], v[2:3], v[24:25]
	s_waitcnt lgkmcnt(1)
	v_mul_f64 v[24:25], v[22:23], v[28:29]
	ds_read_b128 v[56:59], v32 offset:368
	ds_read_b128 v[2:5], v32 offset:384
	v_mul_f64 v[28:29], v[20:21], v[28:29]
	v_add_f64 v[52:53], v[10:11], v[8:9]
	s_waitcnt lgkmcnt(1)
	v_mul_f64 v[60:61], v[46:47], v[58:59]
	v_add_f64 v[18:19], v[12:13], v[18:19]
	v_fma_f64 v[24:25], v[20:21], v[26:27], -v[24:25]
	ds_read_b128 v[6:9], v34 offset:12288
	ds_read_b128 v[10:13], v34 offset:12800
	v_fma_f64 v[62:63], v[22:23], v[26:27], v[28:29]
	v_add_f64 v[48:49], v[52:53], v[48:49]
	v_mul_f64 v[52:53], v[44:45], v[58:59]
	s_waitcnt lgkmcnt(1)
	v_mul_f64 v[58:59], v[8:9], v[4:5]
	v_fma_f64 v[44:45], v[44:45], v[56:57], -v[60:61]
	v_add_f64 v[50:51], v[18:19], v[50:51]
	ds_read_b128 v[14:17], v32 offset:400
	ds_read_b128 v[18:21], v32 offset:416
	v_add_f64 v[48:49], v[48:49], v[54:55]
	v_mul_f64 v[54:55], v[6:7], v[4:5]
	s_waitcnt lgkmcnt(1)
	v_mul_f64 v[60:61], v[12:13], v[16:17]
	v_fma_f64 v[52:53], v[46:47], v[56:57], v[52:53]
	v_add_f64 v[50:51], v[50:51], v[24:25]
	v_fma_f64 v[56:57], v[6:7], v[2:3], -v[58:59]
	ds_read_b128 v[26:29], v34 offset:13312
	ds_read_b128 v[22:25], v34 offset:13824
	v_mul_f64 v[16:17], v[10:11], v[16:17]
	v_add_f64 v[48:49], v[48:49], v[62:63]
	v_fma_f64 v[2:3], v[8:9], v[2:3], v[54:55]
	s_waitcnt lgkmcnt(1)
	v_mul_f64 v[58:59], v[28:29], v[20:21]
	v_fma_f64 v[54:55], v[10:11], v[14:15], -v[60:61]
	v_add_f64 v[50:51], v[50:51], v[44:45]
	global_load_dwordx4 v[44:47], v[30:31], off
	ds_read_b128 v[4:7], v32 offset:432
	v_mul_f64 v[20:21], v[26:27], v[20:21]
	v_add_f64 v[52:53], v[48:49], v[52:53]
	v_fma_f64 v[16:17], v[12:13], v[14:15], v[16:17]
	v_fma_f64 v[26:27], v[26:27], v[18:19], -v[58:59]
	s_waitcnt lgkmcnt(0)
	v_mul_f64 v[60:61], v[24:25], v[6:7]
	v_add_f64 v[56:57], v[50:51], v[56:57]
	ds_read_b128 v[8:11], v34 offset:14336
	ds_read_b128 v[48:51], v32 offset:448
	v_mul_f64 v[6:7], v[22:23], v[6:7]
	v_fma_f64 v[28:29], v[28:29], v[18:19], v[20:21]
	v_add_f64 v[2:3], v[52:53], v[2:3]
	s_waitcnt lgkmcnt(0)
	v_mul_f64 v[58:59], v[10:11], v[50:51]
	v_fma_f64 v[60:61], v[22:23], v[4:5], -v[60:61]
	v_add_f64 v[56:57], v[56:57], v[54:55]
	ds_read_b128 v[12:15], v34 offset:14848
	ds_read_b128 v[52:55], v32 offset:464
	v_mul_f64 v[50:51], v[8:9], v[50:51]
	v_fma_f64 v[24:25], v[24:25], v[4:5], v[6:7]
	v_add_f64 v[2:3], v[2:3], v[16:17]
	ds_read_b128 v[16:19], v34 offset:15360
	ds_read_b128 v[20:23], v32 offset:480
	v_fma_f64 v[58:59], v[8:9], v[48:49], -v[58:59]
	v_add_f64 v[26:27], v[56:57], v[26:27]
	s_waitcnt lgkmcnt(2)
	v_mul_f64 v[56:57], v[14:15], v[54:55]
	v_mul_f64 v[54:55], v[12:13], v[54:55]
	v_fma_f64 v[10:11], v[10:11], v[48:49], v[50:51]
	v_add_f64 v[28:29], v[2:3], v[28:29]
	ds_read_b128 v[2:5], v34 offset:15872
	ds_read_b128 v[6:9], v32 offset:496
	v_add_f64 v[26:27], v[26:27], v[60:61]
	s_waitcnt lgkmcnt(2)
	v_mul_f64 v[60:61], v[18:19], v[22:23]
	v_fma_f64 v[12:13], v[12:13], v[52:53], -v[56:57]
	v_mul_f64 v[22:23], v[16:17], v[22:23]
	v_add_f64 v[24:25], v[28:29], v[24:25]
	s_waitcnt lgkmcnt(0)
	v_mul_f64 v[28:29], v[4:5], v[8:9]
	v_fma_f64 v[14:15], v[14:15], v[52:53], v[54:55]
	v_mul_f64 v[8:9], v[2:3], v[8:9]
	v_add_f64 v[26:27], v[26:27], v[58:59]
	v_fma_f64 v[16:17], v[16:17], v[20:21], -v[60:61]
	v_fma_f64 v[18:19], v[18:19], v[20:21], v[22:23]
	v_add_f64 v[10:11], v[24:25], v[10:11]
	v_fma_f64 v[2:3], v[2:3], v[6:7], -v[28:29]
	v_fma_f64 v[4:5], v[4:5], v[6:7], v[8:9]
	v_add_f64 v[12:13], v[26:27], v[12:13]
	v_add_f64 v[10:11], v[10:11], v[14:15]
	;; [unrolled: 1-line block ×6, first 2 shown]
	v_mul_f64 v[6:7], s[28:29], v[2:3]
	v_mul_f64 v[2:3], s[30:31], v[2:3]
	v_fma_f64 v[6:7], s[30:31], v[4:5], v[6:7]
	v_fma_f64 v[4:5], s[28:29], v[4:5], -v[2:3]
	s_waitcnt vmcnt(0)
	v_add_f64 v[2:3], v[44:45], v[6:7]
	v_add_f64 v[4:5], v[46:47], v[4:5]
	global_store_dwordx4 v[30:31], v[2:5], off
	s_branch .LBB1871_3
.LBB1871_16:
	s_endpgm
	.section	.rodata,"a",@progbits
	.p2align	6, 0x0
	.amdhsa_kernel _ZL26rocblas_syr2k_her2k_kernelIlLb1ELb1ELb1ELi32EPK19rocblas_complex_numIdES3_PS1_EvbiT_T4_T5_S5_lS7_S5_lT6_S5_li
		.amdhsa_group_segment_fixed_size 32768
		.amdhsa_private_segment_fixed_size 0
		.amdhsa_kernarg_size 100
		.amdhsa_user_sgpr_count 6
		.amdhsa_user_sgpr_private_segment_buffer 1
		.amdhsa_user_sgpr_dispatch_ptr 0
		.amdhsa_user_sgpr_queue_ptr 0
		.amdhsa_user_sgpr_kernarg_segment_ptr 1
		.amdhsa_user_sgpr_dispatch_id 0
		.amdhsa_user_sgpr_flat_scratch_init 0
		.amdhsa_user_sgpr_private_segment_size 0
		.amdhsa_uses_dynamic_stack 0
		.amdhsa_system_sgpr_private_segment_wavefront_offset 0
		.amdhsa_system_sgpr_workgroup_id_x 1
		.amdhsa_system_sgpr_workgroup_id_y 1
		.amdhsa_system_sgpr_workgroup_id_z 1
		.amdhsa_system_sgpr_workgroup_info 0
		.amdhsa_system_vgpr_workitem_id 1
		.amdhsa_next_free_vgpr 64
		.amdhsa_next_free_sgpr 61
		.amdhsa_reserve_vcc 1
		.amdhsa_reserve_flat_scratch 0
		.amdhsa_float_round_mode_32 0
		.amdhsa_float_round_mode_16_64 0
		.amdhsa_float_denorm_mode_32 3
		.amdhsa_float_denorm_mode_16_64 3
		.amdhsa_dx10_clamp 1
		.amdhsa_ieee_mode 1
		.amdhsa_fp16_overflow 0
		.amdhsa_exception_fp_ieee_invalid_op 0
		.amdhsa_exception_fp_denorm_src 0
		.amdhsa_exception_fp_ieee_div_zero 0
		.amdhsa_exception_fp_ieee_overflow 0
		.amdhsa_exception_fp_ieee_underflow 0
		.amdhsa_exception_fp_ieee_inexact 0
		.amdhsa_exception_int_div_zero 0
	.end_amdhsa_kernel
	.section	.text._ZL26rocblas_syr2k_her2k_kernelIlLb1ELb1ELb1ELi32EPK19rocblas_complex_numIdES3_PS1_EvbiT_T4_T5_S5_lS7_S5_lT6_S5_li,"axG",@progbits,_ZL26rocblas_syr2k_her2k_kernelIlLb1ELb1ELb1ELi32EPK19rocblas_complex_numIdES3_PS1_EvbiT_T4_T5_S5_lS7_S5_lT6_S5_li,comdat
.Lfunc_end1871:
	.size	_ZL26rocblas_syr2k_her2k_kernelIlLb1ELb1ELb1ELi32EPK19rocblas_complex_numIdES3_PS1_EvbiT_T4_T5_S5_lS7_S5_lT6_S5_li, .Lfunc_end1871-_ZL26rocblas_syr2k_her2k_kernelIlLb1ELb1ELb1ELi32EPK19rocblas_complex_numIdES3_PS1_EvbiT_T4_T5_S5_lS7_S5_lT6_S5_li
                                        ; -- End function
	.set _ZL26rocblas_syr2k_her2k_kernelIlLb1ELb1ELb1ELi32EPK19rocblas_complex_numIdES3_PS1_EvbiT_T4_T5_S5_lS7_S5_lT6_S5_li.num_vgpr, 64
	.set _ZL26rocblas_syr2k_her2k_kernelIlLb1ELb1ELb1ELi32EPK19rocblas_complex_numIdES3_PS1_EvbiT_T4_T5_S5_lS7_S5_lT6_S5_li.num_agpr, 0
	.set _ZL26rocblas_syr2k_her2k_kernelIlLb1ELb1ELb1ELi32EPK19rocblas_complex_numIdES3_PS1_EvbiT_T4_T5_S5_lS7_S5_lT6_S5_li.numbered_sgpr, 40
	.set _ZL26rocblas_syr2k_her2k_kernelIlLb1ELb1ELb1ELi32EPK19rocblas_complex_numIdES3_PS1_EvbiT_T4_T5_S5_lS7_S5_lT6_S5_li.num_named_barrier, 0
	.set _ZL26rocblas_syr2k_her2k_kernelIlLb1ELb1ELb1ELi32EPK19rocblas_complex_numIdES3_PS1_EvbiT_T4_T5_S5_lS7_S5_lT6_S5_li.private_seg_size, 0
	.set _ZL26rocblas_syr2k_her2k_kernelIlLb1ELb1ELb1ELi32EPK19rocblas_complex_numIdES3_PS1_EvbiT_T4_T5_S5_lS7_S5_lT6_S5_li.uses_vcc, 1
	.set _ZL26rocblas_syr2k_her2k_kernelIlLb1ELb1ELb1ELi32EPK19rocblas_complex_numIdES3_PS1_EvbiT_T4_T5_S5_lS7_S5_lT6_S5_li.uses_flat_scratch, 0
	.set _ZL26rocblas_syr2k_her2k_kernelIlLb1ELb1ELb1ELi32EPK19rocblas_complex_numIdES3_PS1_EvbiT_T4_T5_S5_lS7_S5_lT6_S5_li.has_dyn_sized_stack, 0
	.set _ZL26rocblas_syr2k_her2k_kernelIlLb1ELb1ELb1ELi32EPK19rocblas_complex_numIdES3_PS1_EvbiT_T4_T5_S5_lS7_S5_lT6_S5_li.has_recursion, 0
	.set _ZL26rocblas_syr2k_her2k_kernelIlLb1ELb1ELb1ELi32EPK19rocblas_complex_numIdES3_PS1_EvbiT_T4_T5_S5_lS7_S5_lT6_S5_li.has_indirect_call, 0
	.section	.AMDGPU.csdata,"",@progbits
; Kernel info:
; codeLenInByte = 5544
; TotalNumSgprs: 44
; NumVgprs: 64
; ScratchSize: 0
; MemoryBound: 1
; FloatMode: 240
; IeeeMode: 1
; LDSByteSize: 32768 bytes/workgroup (compile time only)
; SGPRBlocks: 8
; VGPRBlocks: 15
; NumSGPRsForWavesPerEU: 65
; NumVGPRsForWavesPerEU: 64
; Occupancy: 4
; WaveLimiterHint : 0
; COMPUTE_PGM_RSRC2:SCRATCH_EN: 0
; COMPUTE_PGM_RSRC2:USER_SGPR: 6
; COMPUTE_PGM_RSRC2:TRAP_HANDLER: 0
; COMPUTE_PGM_RSRC2:TGID_X_EN: 1
; COMPUTE_PGM_RSRC2:TGID_Y_EN: 1
; COMPUTE_PGM_RSRC2:TGID_Z_EN: 1
; COMPUTE_PGM_RSRC2:TIDIG_COMP_CNT: 1
	.section	.text._ZL26rocblas_syr2k_her2k_kernelIlLb1ELb0ELb0ELi32EfPKPKfPKPfEvbiT_T4_T5_S7_lS9_S7_lT6_S7_li,"axG",@progbits,_ZL26rocblas_syr2k_her2k_kernelIlLb1ELb0ELb0ELi32EfPKPKfPKPfEvbiT_T4_T5_S7_lS9_S7_lT6_S7_li,comdat
	.globl	_ZL26rocblas_syr2k_her2k_kernelIlLb1ELb0ELb0ELi32EfPKPKfPKPfEvbiT_T4_T5_S7_lS9_S7_lT6_S7_li ; -- Begin function _ZL26rocblas_syr2k_her2k_kernelIlLb1ELb0ELb0ELi32EfPKPKfPKPfEvbiT_T4_T5_S7_lS9_S7_lT6_S7_li
	.p2align	8
	.type	_ZL26rocblas_syr2k_her2k_kernelIlLb1ELb0ELb0ELi32EfPKPKfPKPfEvbiT_T4_T5_S7_lS9_S7_lT6_S7_li,@function
_ZL26rocblas_syr2k_her2k_kernelIlLb1ELb0ELb0ELi32EfPKPKfPKPfEvbiT_T4_T5_S7_lS9_S7_lT6_S7_li: ; @_ZL26rocblas_syr2k_her2k_kernelIlLb1ELb0ELb0ELi32EfPKPKfPKPfEvbiT_T4_T5_S7_lS9_S7_lT6_S7_li
; %bb.0:
	s_load_dword s33, s[4:5], 0x10
	s_waitcnt lgkmcnt(0)
	v_cmp_eq_f32_e64 s[0:1], s33, 0
	s_and_b64 vcc, exec, s[0:1]
	s_cbranch_vccnz .LBB1872_16
; %bb.1:
	s_load_dwordx4 s[28:31], s[4:5], 0x0
	s_lshl_b32 s2, s7, 5
	s_lshl_b32 s3, s6, 5
	s_waitcnt lgkmcnt(0)
	s_and_b32 s0, 1, s28
	s_cmp_eq_u32 s0, 1
	s_cselect_b64 s[0:1], -1, 0
	s_and_b64 s[6:7], s[0:1], exec
	s_cselect_b32 s6, s3, s2
	s_cselect_b32 s7, s2, s3
	s_cmp_gt_i32 s6, s7
	v_cmp_lt_i64_e64 s[6:7], s[30:31], 1
	s_cselect_b64 s[10:11], -1, 0
	s_or_b64 s[6:7], s[10:11], s[6:7]
	s_and_b64 vcc, exec, s[6:7]
	s_cbranch_vccnz .LBB1872_16
; %bb.2:
	s_load_dwordx16 s[12:27], s[4:5], 0x18
	s_mov_b32 s9, 0
	s_lshl_b64 s[6:7], s[8:9], 3
	s_load_dwordx2 s[4:5], s[4:5], 0x58
	v_add_u32_e32 v8, s2, v1
	s_waitcnt lgkmcnt(0)
	s_add_u32 s8, s12, s6
	s_addc_u32 s9, s13, s7
	s_add_u32 s10, s18, s6
	s_addc_u32 s11, s19, s7
	;; [unrolled: 2-line block ×3, first 2 shown]
	s_load_dwordx2 s[12:13], s[6:7], 0x0
	s_load_dwordx2 s[24:25], s[8:9], 0x0
	;; [unrolled: 1-line block ×3, first 2 shown]
	s_lshl_b64 s[4:5], s[4:5], 2
	v_lshlrev_b32_e32 v4, 7, v0
	s_waitcnt lgkmcnt(0)
	s_add_u32 s8, s12, s4
	s_addc_u32 s6, s13, s5
	s_lshl_b64 s[4:5], s[22:23], 2
	s_add_u32 s18, s18, s4
	s_addc_u32 s19, s19, s5
	s_lshl_b64 s[4:5], s[16:17], 2
	v_lshlrev_b32_e32 v2, 2, v1
	s_add_u32 s22, s24, s4
	v_add_u32_e32 v5, v4, v2
	v_or_b32_e32 v6, 0x1000, v2
	v_ashrrev_i32_e32 v2, 31, v8
	s_addc_u32 s23, s25, s5
	v_mul_lo_u32 v15, s26, v2
	v_mul_lo_u32 v16, s27, v8
	v_mad_u64_u32 v[2:3], s[4:5], s26, v8, 0
	v_add_u32_e32 v12, s3, v0
	v_max_i32_e32 v14, v12, v8
	v_add3_u32 v3, v3, v15, v16
	v_cndmask_b32_e64 v10, v12, v8, s[0:1]
	v_cndmask_b32_e64 v11, v8, v12, s[0:1]
	v_cmp_gt_i32_e32 vcc, s29, v14
	v_lshlrev_b64 v[2:3], 2, v[2:3]
	v_mov_b32_e32 v16, s6
	v_mad_u64_u32 v[14:15], s[6:7], s14, v0, 0
	v_cmp_le_i32_e64 s[4:5], v11, v10
	s_and_b64 s[4:5], s[4:5], vcc
	v_ashrrev_i32_e32 v11, 31, v12
	v_mov_b32_e32 v10, v12
	v_add_co_u32_e32 v17, vcc, s8, v2
	v_addc_co_u32_e32 v16, vcc, v16, v3, vcc
	v_lshlrev_b64 v[2:3], 2, v[10:11]
	v_mov_b32_e32 v10, v15
	v_mad_u64_u32 v[10:11], s[6:7], s15, v0, v[10:11]
	v_add_co_u32_e32 v2, vcc, v17, v2
	v_addc_co_u32_e32 v3, vcc, v16, v3, vcc
	v_mad_u64_u32 v[16:17], s[6:7], s20, v0, 0
	v_mov_b32_e32 v13, 0
	s_ashr_i32 s3, s29, 31
	s_mov_b32 s2, s29
	v_mov_b32_e32 v9, v13
	v_mov_b32_e32 v15, v10
	v_cmp_gt_i64_e64 s[0:1], s[2:3], v[12:13]
	v_cmp_gt_i64_e64 s[2:3], s[2:3], v[8:9]
	v_lshlrev_b64 v[10:11], 2, v[14:15]
	v_lshlrev_b64 v[14:15], 2, v[8:9]
	v_mov_b32_e32 v8, v17
	v_mad_u64_u32 v[17:18], s[6:7], s21, v0, v[8:9]
	v_add_co_u32_e32 v8, vcc, v10, v14
	v_addc_co_u32_e32 v9, vcc, v11, v15, vcc
	v_lshlrev_b64 v[10:11], 2, v[16:17]
	v_mad_u64_u32 v[16:17], s[8:9], s20, v1, 0
	v_add_co_u32_e32 v10, vcc, v10, v14
	v_mov_b32_e32 v14, v17
	v_addc_co_u32_e32 v11, vcc, v11, v15, vcc
	v_mad_u64_u32 v[14:15], s[8:9], s21, v1, v[14:15]
	v_mad_u64_u32 v[18:19], s[10:11], s14, v1, 0
	v_mov_b32_e32 v17, v14
	v_lshlrev_b64 v[14:15], 2, v[16:17]
	v_lshlrev_b64 v[16:17], 2, v[12:13]
	v_mov_b32_e32 v12, v19
	v_mad_u64_u32 v[19:20], s[10:11], s15, v1, v[12:13]
	v_add_co_u32_e32 v12, vcc, v14, v16
	v_addc_co_u32_e32 v13, vcc, v15, v17, vcc
	v_lshlrev_b64 v[14:15], 2, v[18:19]
	v_add_u32_e32 v7, v6, v4
	v_add_co_u32_e32 v14, vcc, v14, v16
	s_lshl_b64 s[6:7], s[14:15], 7
	s_lshl_b64 s[8:9], s[20:21], 7
	v_addc_co_u32_e32 v15, vcc, v15, v17, vcc
	s_mov_b64 s[10:11], 0
	s_branch .LBB1872_4
.LBB1872_3:                             ;   in Loop: Header=BB1872_4 Depth=1
	s_or_b64 exec, exec, s[12:13]
	s_add_u32 s10, s10, 32
	s_addc_u32 s11, s11, 0
	v_mov_b32_e32 v16, s30
	s_add_u32 s22, s22, s6
	v_mov_b32_e32 v17, s31
	s_addc_u32 s23, s23, s7
	v_cmp_lt_i64_e32 vcc, s[10:11], v[16:17]
	s_add_u32 s18, s18, s8
	s_addc_u32 s19, s19, s9
	s_waitcnt vmcnt(0) lgkmcnt(0)
	s_barrier
	s_cbranch_vccz .LBB1872_16
.LBB1872_4:                             ; =>This Inner Loop Header: Depth=1
	v_mov_b32_e32 v17, s11
	v_add_co_u32_e32 v16, vcc, s10, v1
	v_addc_co_u32_e32 v17, vcc, 0, v17, vcc
	v_cmp_gt_i64_e32 vcc, s[30:31], v[16:17]
	v_mov_b32_e32 v16, 0
	s_and_b64 s[12:13], s[0:1], vcc
	s_and_saveexec_b64 s[14:15], s[12:13]
	s_cbranch_execz .LBB1872_6
; %bb.5:                                ;   in Loop: Header=BB1872_4 Depth=1
	v_mov_b32_e32 v17, s23
	v_add_co_u32_e32 v16, vcc, s22, v14
	v_addc_co_u32_e32 v17, vcc, v17, v15, vcc
	flat_load_dword v16, v[16:17]
.LBB1872_6:                             ;   in Loop: Header=BB1872_4 Depth=1
	s_or_b64 exec, exec, s[14:15]
	v_mov_b32_e32 v18, s11
	v_add_co_u32_e32 v17, vcc, s10, v0
	v_addc_co_u32_e32 v18, vcc, 0, v18, vcc
	v_cmp_gt_i64_e32 vcc, s[30:31], v[17:18]
	s_waitcnt vmcnt(0) lgkmcnt(0)
	ds_write_b32 v5, v16
	s_and_b64 s[14:15], s[2:3], vcc
	v_mov_b32_e32 v16, 0
	s_and_saveexec_b64 s[16:17], s[14:15]
	s_cbranch_execz .LBB1872_8
; %bb.7:                                ;   in Loop: Header=BB1872_4 Depth=1
	v_mov_b32_e32 v17, s19
	v_add_co_u32_e32 v16, vcc, s18, v10
	v_addc_co_u32_e32 v17, vcc, v17, v11, vcc
	flat_load_dword v16, v[16:17]
.LBB1872_8:                             ;   in Loop: Header=BB1872_4 Depth=1
	s_or_b64 exec, exec, s[16:17]
	s_waitcnt vmcnt(0) lgkmcnt(0)
	ds_write_b32 v7, v16
	s_waitcnt lgkmcnt(0)
	s_barrier
	s_and_saveexec_b64 s[16:17], s[4:5]
	s_cbranch_execz .LBB1872_10
; %bb.9:                                ;   in Loop: Header=BB1872_4 Depth=1
	flat_load_dword v38, v[2:3]
	ds_read2_b32 v[32:33], v6 offset1:32
	ds_read_b128 v[16:19], v4
	ds_read_b128 v[20:23], v4 offset:16
	ds_read2_b32 v[34:35], v6 offset0:64 offset1:96
	ds_read_b128 v[24:27], v4 offset:32
	ds_read_b128 v[28:31], v4 offset:48
	ds_read2_b32 v[36:37], v6 offset0:128 offset1:160
	s_waitcnt lgkmcnt(0)
	v_fma_f32 v32, v16, v32, 0
	v_fmac_f32_e32 v32, v17, v33
	ds_read2_b32 v[16:17], v6 offset0:192 offset1:224
	v_fmac_f32_e32 v32, v18, v34
	v_fmac_f32_e32 v32, v19, v35
	;; [unrolled: 1-line block ×3, first 2 shown]
	v_add_u32_e32 v33, 0x400, v6
	ds_read2_b32 v[18:19], v33 offset1:32
	v_fmac_f32_e32 v32, v21, v37
	s_waitcnt lgkmcnt(0)
	v_fmac_f32_e32 v32, v22, v16
	v_fmac_f32_e32 v32, v23, v17
	ds_read2_b32 v[16:17], v33 offset0:64 offset1:96
	ds_read2_b32 v[20:21], v33 offset0:128 offset1:160
	v_fmac_f32_e32 v32, v24, v18
	v_fmac_f32_e32 v32, v25, v19
	ds_read2_b32 v[22:23], v33 offset0:192 offset1:224
	s_waitcnt lgkmcnt(0)
	v_fmac_f32_e32 v32, v26, v16
	v_fmac_f32_e32 v32, v27, v17
	;; [unrolled: 1-line block ×5, first 2 shown]
	v_add_u32_e32 v30, 0x800, v6
	ds_read_b128 v[16:19], v4 offset:64
	ds_read2_b32 v[24:25], v30 offset1:32
	v_fmac_f32_e32 v32, v31, v23
	ds_read2_b32 v[26:27], v30 offset0:64 offset1:96
	ds_read_b128 v[20:23], v4 offset:80
	ds_read2_b32 v[28:29], v30 offset0:128 offset1:160
	s_waitcnt lgkmcnt(0)
	v_fmac_f32_e32 v32, v16, v24
	v_fmac_f32_e32 v32, v17, v25
	ds_read2_b32 v[24:25], v30 offset0:192 offset1:224
	v_fmac_f32_e32 v32, v18, v26
	v_fmac_f32_e32 v32, v19, v27
	v_add_u32_e32 v30, 0xc00, v6
	v_fmac_f32_e32 v32, v20, v28
	ds_read_b128 v[16:19], v4 offset:96
	ds_read2_b32 v[26:27], v30 offset1:32
	v_fmac_f32_e32 v32, v21, v29
	s_waitcnt lgkmcnt(0)
	v_fmac_f32_e32 v32, v22, v24
	v_fmac_f32_e32 v32, v23, v25
	ds_read2_b32 v[24:25], v30 offset0:64 offset1:96
	ds_read_b128 v[20:23], v4 offset:112
	ds_read2_b32 v[28:29], v30 offset0:128 offset1:160
	v_fmac_f32_e32 v32, v16, v26
	v_fmac_f32_e32 v32, v17, v27
	ds_read2_b32 v[16:17], v30 offset0:192 offset1:224
	s_waitcnt lgkmcnt(0)
	v_fmac_f32_e32 v32, v18, v24
	v_fmac_f32_e32 v32, v19, v25
	;; [unrolled: 1-line block ×6, first 2 shown]
	s_waitcnt vmcnt(0)
	v_fmac_f32_e32 v38, s33, v32
	flat_store_dword v[2:3], v38
.LBB1872_10:                            ;   in Loop: Header=BB1872_4 Depth=1
	s_or_b64 exec, exec, s[16:17]
	v_mov_b32_e32 v16, 0
	v_mov_b32_e32 v17, 0
	s_waitcnt vmcnt(0) lgkmcnt(0)
	s_barrier
	s_and_saveexec_b64 s[16:17], s[12:13]
	s_cbranch_execz .LBB1872_12
; %bb.11:                               ;   in Loop: Header=BB1872_4 Depth=1
	v_mov_b32_e32 v18, s19
	v_add_co_u32_e32 v17, vcc, s18, v12
	v_addc_co_u32_e32 v18, vcc, v18, v13, vcc
	flat_load_dword v17, v[17:18]
.LBB1872_12:                            ;   in Loop: Header=BB1872_4 Depth=1
	s_or_b64 exec, exec, s[16:17]
	s_waitcnt vmcnt(0) lgkmcnt(0)
	ds_write_b32 v5, v17
	s_and_saveexec_b64 s[12:13], s[14:15]
	s_cbranch_execz .LBB1872_14
; %bb.13:                               ;   in Loop: Header=BB1872_4 Depth=1
	v_mov_b32_e32 v17, s23
	v_add_co_u32_e32 v16, vcc, s22, v8
	v_addc_co_u32_e32 v17, vcc, v17, v9, vcc
	flat_load_dword v16, v[16:17]
.LBB1872_14:                            ;   in Loop: Header=BB1872_4 Depth=1
	s_or_b64 exec, exec, s[12:13]
	s_waitcnt vmcnt(0) lgkmcnt(0)
	ds_write_b32 v7, v16
	s_waitcnt lgkmcnt(0)
	s_barrier
	s_and_saveexec_b64 s[12:13], s[4:5]
	s_cbranch_execz .LBB1872_3
; %bb.15:                               ;   in Loop: Header=BB1872_4 Depth=1
	flat_load_dword v38, v[2:3]
	ds_read2_b32 v[32:33], v6 offset1:32
	ds_read_b128 v[16:19], v4
	ds_read_b128 v[20:23], v4 offset:16
	ds_read2_b32 v[34:35], v6 offset0:64 offset1:96
	ds_read_b128 v[24:27], v4 offset:32
	ds_read_b128 v[28:31], v4 offset:48
	ds_read2_b32 v[36:37], v6 offset0:128 offset1:160
	s_waitcnt lgkmcnt(0)
	v_fma_f32 v32, v16, v32, 0
	v_fmac_f32_e32 v32, v17, v33
	ds_read2_b32 v[16:17], v6 offset0:192 offset1:224
	v_fmac_f32_e32 v32, v18, v34
	v_fmac_f32_e32 v32, v19, v35
	;; [unrolled: 1-line block ×3, first 2 shown]
	v_add_u32_e32 v33, 0x400, v6
	ds_read2_b32 v[18:19], v33 offset1:32
	v_fmac_f32_e32 v32, v21, v37
	s_waitcnt lgkmcnt(0)
	v_fmac_f32_e32 v32, v22, v16
	v_fmac_f32_e32 v32, v23, v17
	ds_read2_b32 v[16:17], v33 offset0:64 offset1:96
	ds_read2_b32 v[20:21], v33 offset0:128 offset1:160
	v_fmac_f32_e32 v32, v24, v18
	v_fmac_f32_e32 v32, v25, v19
	ds_read2_b32 v[22:23], v33 offset0:192 offset1:224
	s_waitcnt lgkmcnt(0)
	v_fmac_f32_e32 v32, v26, v16
	v_fmac_f32_e32 v32, v27, v17
	;; [unrolled: 1-line block ×5, first 2 shown]
	v_add_u32_e32 v30, 0x800, v6
	ds_read_b128 v[16:19], v4 offset:64
	ds_read2_b32 v[24:25], v30 offset1:32
	v_fmac_f32_e32 v32, v31, v23
	ds_read2_b32 v[26:27], v30 offset0:64 offset1:96
	ds_read_b128 v[20:23], v4 offset:80
	ds_read2_b32 v[28:29], v30 offset0:128 offset1:160
	s_waitcnt lgkmcnt(0)
	v_fmac_f32_e32 v32, v16, v24
	v_fmac_f32_e32 v32, v17, v25
	ds_read2_b32 v[24:25], v30 offset0:192 offset1:224
	v_fmac_f32_e32 v32, v18, v26
	v_fmac_f32_e32 v32, v19, v27
	v_add_u32_e32 v30, 0xc00, v6
	v_fmac_f32_e32 v32, v20, v28
	ds_read_b128 v[16:19], v4 offset:96
	ds_read2_b32 v[26:27], v30 offset1:32
	v_fmac_f32_e32 v32, v21, v29
	s_waitcnt lgkmcnt(0)
	v_fmac_f32_e32 v32, v22, v24
	v_fmac_f32_e32 v32, v23, v25
	ds_read2_b32 v[24:25], v30 offset0:64 offset1:96
	ds_read_b128 v[20:23], v4 offset:112
	ds_read2_b32 v[28:29], v30 offset0:128 offset1:160
	v_fmac_f32_e32 v32, v16, v26
	v_fmac_f32_e32 v32, v17, v27
	ds_read2_b32 v[16:17], v30 offset0:192 offset1:224
	s_waitcnt lgkmcnt(0)
	v_fmac_f32_e32 v32, v18, v24
	v_fmac_f32_e32 v32, v19, v25
	;; [unrolled: 1-line block ×6, first 2 shown]
	s_waitcnt vmcnt(0)
	v_fmac_f32_e32 v38, s33, v32
	flat_store_dword v[2:3], v38
	s_branch .LBB1872_3
.LBB1872_16:
	s_endpgm
	.section	.rodata,"a",@progbits
	.p2align	6, 0x0
	.amdhsa_kernel _ZL26rocblas_syr2k_her2k_kernelIlLb1ELb0ELb0ELi32EfPKPKfPKPfEvbiT_T4_T5_S7_lS9_S7_lT6_S7_li
		.amdhsa_group_segment_fixed_size 8192
		.amdhsa_private_segment_fixed_size 0
		.amdhsa_kernarg_size 100
		.amdhsa_user_sgpr_count 6
		.amdhsa_user_sgpr_private_segment_buffer 1
		.amdhsa_user_sgpr_dispatch_ptr 0
		.amdhsa_user_sgpr_queue_ptr 0
		.amdhsa_user_sgpr_kernarg_segment_ptr 1
		.amdhsa_user_sgpr_dispatch_id 0
		.amdhsa_user_sgpr_flat_scratch_init 0
		.amdhsa_user_sgpr_private_segment_size 0
		.amdhsa_uses_dynamic_stack 0
		.amdhsa_system_sgpr_private_segment_wavefront_offset 0
		.amdhsa_system_sgpr_workgroup_id_x 1
		.amdhsa_system_sgpr_workgroup_id_y 1
		.amdhsa_system_sgpr_workgroup_id_z 1
		.amdhsa_system_sgpr_workgroup_info 0
		.amdhsa_system_vgpr_workitem_id 1
		.amdhsa_next_free_vgpr 39
		.amdhsa_next_free_sgpr 61
		.amdhsa_reserve_vcc 1
		.amdhsa_reserve_flat_scratch 0
		.amdhsa_float_round_mode_32 0
		.amdhsa_float_round_mode_16_64 0
		.amdhsa_float_denorm_mode_32 3
		.amdhsa_float_denorm_mode_16_64 3
		.amdhsa_dx10_clamp 1
		.amdhsa_ieee_mode 1
		.amdhsa_fp16_overflow 0
		.amdhsa_exception_fp_ieee_invalid_op 0
		.amdhsa_exception_fp_denorm_src 0
		.amdhsa_exception_fp_ieee_div_zero 0
		.amdhsa_exception_fp_ieee_overflow 0
		.amdhsa_exception_fp_ieee_underflow 0
		.amdhsa_exception_fp_ieee_inexact 0
		.amdhsa_exception_int_div_zero 0
	.end_amdhsa_kernel
	.section	.text._ZL26rocblas_syr2k_her2k_kernelIlLb1ELb0ELb0ELi32EfPKPKfPKPfEvbiT_T4_T5_S7_lS9_S7_lT6_S7_li,"axG",@progbits,_ZL26rocblas_syr2k_her2k_kernelIlLb1ELb0ELb0ELi32EfPKPKfPKPfEvbiT_T4_T5_S7_lS9_S7_lT6_S7_li,comdat
.Lfunc_end1872:
	.size	_ZL26rocblas_syr2k_her2k_kernelIlLb1ELb0ELb0ELi32EfPKPKfPKPfEvbiT_T4_T5_S7_lS9_S7_lT6_S7_li, .Lfunc_end1872-_ZL26rocblas_syr2k_her2k_kernelIlLb1ELb0ELb0ELi32EfPKPKfPKPfEvbiT_T4_T5_S7_lS9_S7_lT6_S7_li
                                        ; -- End function
	.set _ZL26rocblas_syr2k_her2k_kernelIlLb1ELb0ELb0ELi32EfPKPKfPKPfEvbiT_T4_T5_S7_lS9_S7_lT6_S7_li.num_vgpr, 39
	.set _ZL26rocblas_syr2k_her2k_kernelIlLb1ELb0ELb0ELi32EfPKPKfPKPfEvbiT_T4_T5_S7_lS9_S7_lT6_S7_li.num_agpr, 0
	.set _ZL26rocblas_syr2k_her2k_kernelIlLb1ELb0ELb0ELi32EfPKPKfPKPfEvbiT_T4_T5_S7_lS9_S7_lT6_S7_li.numbered_sgpr, 34
	.set _ZL26rocblas_syr2k_her2k_kernelIlLb1ELb0ELb0ELi32EfPKPKfPKPfEvbiT_T4_T5_S7_lS9_S7_lT6_S7_li.num_named_barrier, 0
	.set _ZL26rocblas_syr2k_her2k_kernelIlLb1ELb0ELb0ELi32EfPKPKfPKPfEvbiT_T4_T5_S7_lS9_S7_lT6_S7_li.private_seg_size, 0
	.set _ZL26rocblas_syr2k_her2k_kernelIlLb1ELb0ELb0ELi32EfPKPKfPKPfEvbiT_T4_T5_S7_lS9_S7_lT6_S7_li.uses_vcc, 1
	.set _ZL26rocblas_syr2k_her2k_kernelIlLb1ELb0ELb0ELi32EfPKPKfPKPfEvbiT_T4_T5_S7_lS9_S7_lT6_S7_li.uses_flat_scratch, 0
	.set _ZL26rocblas_syr2k_her2k_kernelIlLb1ELb0ELb0ELi32EfPKPKfPKPfEvbiT_T4_T5_S7_lS9_S7_lT6_S7_li.has_dyn_sized_stack, 0
	.set _ZL26rocblas_syr2k_her2k_kernelIlLb1ELb0ELb0ELi32EfPKPKfPKPfEvbiT_T4_T5_S7_lS9_S7_lT6_S7_li.has_recursion, 0
	.set _ZL26rocblas_syr2k_her2k_kernelIlLb1ELb0ELb0ELi32EfPKPKfPKPfEvbiT_T4_T5_S7_lS9_S7_lT6_S7_li.has_indirect_call, 0
	.section	.AMDGPU.csdata,"",@progbits
; Kernel info:
; codeLenInByte = 1708
; TotalNumSgprs: 38
; NumVgprs: 39
; ScratchSize: 0
; MemoryBound: 0
; FloatMode: 240
; IeeeMode: 1
; LDSByteSize: 8192 bytes/workgroup (compile time only)
; SGPRBlocks: 8
; VGPRBlocks: 9
; NumSGPRsForWavesPerEU: 65
; NumVGPRsForWavesPerEU: 39
; Occupancy: 6
; WaveLimiterHint : 1
; COMPUTE_PGM_RSRC2:SCRATCH_EN: 0
; COMPUTE_PGM_RSRC2:USER_SGPR: 6
; COMPUTE_PGM_RSRC2:TRAP_HANDLER: 0
; COMPUTE_PGM_RSRC2:TGID_X_EN: 1
; COMPUTE_PGM_RSRC2:TGID_Y_EN: 1
; COMPUTE_PGM_RSRC2:TGID_Z_EN: 1
; COMPUTE_PGM_RSRC2:TIDIG_COMP_CNT: 1
	.section	.text._ZL26rocblas_syr2k_her2k_kernelIlLb1ELb0ELb1ELi32EfPKPKfPKPfEvbiT_T4_T5_S7_lS9_S7_lT6_S7_li,"axG",@progbits,_ZL26rocblas_syr2k_her2k_kernelIlLb1ELb0ELb1ELi32EfPKPKfPKPfEvbiT_T4_T5_S7_lS9_S7_lT6_S7_li,comdat
	.globl	_ZL26rocblas_syr2k_her2k_kernelIlLb1ELb0ELb1ELi32EfPKPKfPKPfEvbiT_T4_T5_S7_lS9_S7_lT6_S7_li ; -- Begin function _ZL26rocblas_syr2k_her2k_kernelIlLb1ELb0ELb1ELi32EfPKPKfPKPfEvbiT_T4_T5_S7_lS9_S7_lT6_S7_li
	.p2align	8
	.type	_ZL26rocblas_syr2k_her2k_kernelIlLb1ELb0ELb1ELi32EfPKPKfPKPfEvbiT_T4_T5_S7_lS9_S7_lT6_S7_li,@function
_ZL26rocblas_syr2k_her2k_kernelIlLb1ELb0ELb1ELi32EfPKPKfPKPfEvbiT_T4_T5_S7_lS9_S7_lT6_S7_li: ; @_ZL26rocblas_syr2k_her2k_kernelIlLb1ELb0ELb1ELi32EfPKPKfPKPfEvbiT_T4_T5_S7_lS9_S7_lT6_S7_li
; %bb.0:
	s_load_dword s33, s[4:5], 0x10
	s_waitcnt lgkmcnt(0)
	v_cmp_eq_f32_e64 s[0:1], s33, 0
	s_and_b64 vcc, exec, s[0:1]
	s_cbranch_vccnz .LBB1873_16
; %bb.1:
	s_load_dwordx4 s[28:31], s[4:5], 0x0
	s_lshl_b32 s3, s7, 5
	s_lshl_b32 s2, s6, 5
	s_waitcnt lgkmcnt(0)
	s_and_b32 s0, 1, s28
	s_cmp_eq_u32 s0, 1
	s_cselect_b64 s[0:1], -1, 0
	s_and_b64 s[6:7], s[0:1], exec
	s_cselect_b32 s6, s2, s3
	s_cselect_b32 s7, s3, s2
	s_cmp_gt_i32 s6, s7
	v_cmp_lt_i64_e64 s[6:7], s[30:31], 1
	s_cselect_b64 s[10:11], -1, 0
	s_or_b64 s[6:7], s[10:11], s[6:7]
	s_and_b64 vcc, exec, s[6:7]
	s_cbranch_vccnz .LBB1873_16
; %bb.2:
	s_load_dwordx16 s[12:27], s[4:5], 0x18
	s_mov_b32 s9, 0
	s_lshl_b64 s[6:7], s[8:9], 3
	s_load_dwordx2 s[4:5], s[4:5], 0x58
	v_add_u32_e32 v8, s3, v1
	s_waitcnt lgkmcnt(0)
	s_add_u32 s10, s12, s6
	s_addc_u32 s11, s13, s7
	s_add_u32 s12, s18, s6
	s_addc_u32 s13, s19, s7
	;; [unrolled: 2-line block ×3, first 2 shown]
	s_load_dwordx2 s[18:19], s[6:7], 0x0
	v_add_u32_e32 v12, s2, v0
	s_lshl_b64 s[2:3], s[4:5], 2
	s_load_dwordx2 s[6:7], s[10:11], 0x0
	s_load_dwordx2 s[8:9], s[12:13], 0x0
	v_mov_b32_e32 v13, 0
	s_waitcnt lgkmcnt(0)
	s_add_u32 s12, s18, s2
	s_addc_u32 s10, s19, s3
	s_ashr_i32 s3, s29, 31
	s_mov_b32 s2, s29
	v_ashrrev_i32_e32 v2, 31, v8
	v_cndmask_b32_e64 v10, v12, v8, s[0:1]
	v_cndmask_b32_e64 v11, v8, v12, s[0:1]
	v_cmp_gt_i64_e64 s[0:1], s[2:3], v[12:13]
	v_mov_b32_e32 v9, v13
	v_mul_lo_u32 v13, s26, v2
	v_mul_lo_u32 v14, s27, v8
	v_mad_u64_u32 v[2:3], s[4:5], s26, v8, 0
	v_cmp_gt_i64_e64 s[2:3], s[2:3], v[8:9]
	v_max_i32_e32 v9, v12, v8
	v_cmp_gt_i32_e32 vcc, s29, v9
	v_cmp_le_i32_e64 s[4:5], v11, v10
	v_add3_u32 v3, v3, v13, v14
	v_mov_b32_e32 v11, s10
	v_mad_u64_u32 v[9:10], s[10:11], s14, v8, 0
	v_lshlrev_b64 v[2:3], 2, v[2:3]
	s_and_b64 s[4:5], s[4:5], vcc
	v_add_co_u32_e32 v14, vcc, s12, v2
	v_addc_co_u32_e32 v15, vcc, v11, v3, vcc
	v_mad_u64_u32 v[10:11], s[10:11], s15, v8, v[10:11]
	v_ashrrev_i32_e32 v13, 31, v12
	v_lshlrev_b64 v[2:3], 2, v[12:13]
	v_lshlrev_b64 v[9:10], 2, v[9:10]
	v_add_co_u32_e32 v2, vcc, v14, v2
	v_addc_co_u32_e32 v3, vcc, v15, v3, vcc
	s_lshl_b64 s[10:11], s[16:17], 2
	v_mov_b32_e32 v18, s11
	v_add_co_u32_e32 v9, vcc, s10, v9
	v_addc_co_u32_e32 v13, vcc, v10, v18, vcc
	v_mad_u64_u32 v[10:11], s[12:13], s20, v8, 0
	v_lshlrev_b32_e32 v15, 2, v0
	v_add_co_u32_e32 v16, vcc, v9, v15
	v_mov_b32_e32 v9, v11
	v_addc_co_u32_e32 v19, vcc, 0, v13, vcc
	v_mad_u64_u32 v[13:14], s[12:13], s21, v8, v[9:10]
	v_mov_b32_e32 v20, s7
	v_add_co_u32_e32 v8, vcc, s6, v16
	v_mov_b32_e32 v11, v13
	v_lshlrev_b64 v[10:11], 2, v[10:11]
	v_addc_co_u32_e32 v9, vcc, v20, v19, vcc
	s_lshl_b64 s[12:13], s[22:23], 2
	v_mad_u64_u32 v[13:14], s[16:17], s20, v12, 0
	v_mov_b32_e32 v16, s13
	v_add_co_u32_e32 v10, vcc, s12, v10
	v_addc_co_u32_e32 v11, vcc, v11, v16, vcc
	v_add_co_u32_e32 v19, vcc, v10, v15
	v_addc_co_u32_e32 v11, vcc, 0, v11, vcc
	v_mov_b32_e32 v10, v14
	v_mad_u64_u32 v[14:15], s[16:17], s21, v12, v[10:11]
	v_mov_b32_e32 v21, s9
	v_add_co_u32_e32 v10, vcc, s8, v19
	v_lshlrev_b64 v[13:14], 2, v[13:14]
	v_addc_co_u32_e32 v11, vcc, v21, v11, vcc
	v_add_co_u32_e32 v13, vcc, s12, v13
	v_addc_co_u32_e32 v16, vcc, v14, v16, vcc
	v_mad_u64_u32 v[14:15], s[12:13], s14, v12, 0
	v_lshlrev_b32_e32 v17, 2, v1
	v_add_co_u32_e32 v19, vcc, v13, v17
	v_mov_b32_e32 v13, v15
	v_addc_co_u32_e32 v22, vcc, 0, v16, vcc
	v_mad_u64_u32 v[15:16], s[12:13], s15, v12, v[13:14]
	v_add_co_u32_e32 v12, vcc, s8, v19
	v_lshlrev_b64 v[14:15], 2, v[14:15]
	v_addc_co_u32_e32 v13, vcc, v21, v22, vcc
	v_add_co_u32_e32 v14, vcc, s10, v14
	v_addc_co_u32_e32 v15, vcc, v15, v18, vcc
	v_add_co_u32_e32 v14, vcc, v14, v17
	v_addc_co_u32_e32 v15, vcc, 0, v15, vcc
	v_lshlrev_b32_e32 v4, 7, v0
	v_or_b32_e32 v6, 0x1000, v17
	v_add_co_u32_e32 v14, vcc, s6, v14
	v_add_u32_e32 v5, v4, v17
	v_add_u32_e32 v7, v6, v4
	v_addc_co_u32_e32 v15, vcc, v20, v15, vcc
	s_mov_b64 s[6:7], 0
	s_mov_b64 s[8:9], 0
	s_branch .LBB1873_4
.LBB1873_3:                             ;   in Loop: Header=BB1873_4 Depth=1
	s_or_b64 exec, exec, s[10:11]
	s_add_u32 s8, s8, 32
	v_mov_b32_e32 v16, s30
	s_addc_u32 s9, s9, 0
	v_mov_b32_e32 v17, s31
	v_cmp_lt_i64_e32 vcc, s[8:9], v[16:17]
	s_add_u32 s6, s6, 0x80
	s_addc_u32 s7, s7, 0
	s_waitcnt vmcnt(0) lgkmcnt(0)
	s_barrier
	s_cbranch_vccz .LBB1873_16
.LBB1873_4:                             ; =>This Inner Loop Header: Depth=1
	v_mov_b32_e32 v17, s9
	v_add_co_u32_e32 v16, vcc, s8, v1
	v_addc_co_u32_e32 v17, vcc, 0, v17, vcc
	v_cmp_gt_i64_e32 vcc, s[30:31], v[16:17]
	v_mov_b32_e32 v16, 0
	s_and_b64 s[10:11], s[0:1], vcc
	s_and_saveexec_b64 s[12:13], s[10:11]
	s_cbranch_execz .LBB1873_6
; %bb.5:                                ;   in Loop: Header=BB1873_4 Depth=1
	v_mov_b32_e32 v17, s7
	v_add_co_u32_e32 v16, vcc, s6, v14
	v_addc_co_u32_e32 v17, vcc, v15, v17, vcc
	flat_load_dword v16, v[16:17]
.LBB1873_6:                             ;   in Loop: Header=BB1873_4 Depth=1
	s_or_b64 exec, exec, s[12:13]
	v_mov_b32_e32 v18, s9
	v_add_co_u32_e32 v17, vcc, s8, v0
	v_addc_co_u32_e32 v18, vcc, 0, v18, vcc
	v_cmp_gt_i64_e32 vcc, s[30:31], v[17:18]
	s_waitcnt vmcnt(0) lgkmcnt(0)
	ds_write_b32 v5, v16
	s_and_b64 s[12:13], s[2:3], vcc
	v_mov_b32_e32 v16, 0
	s_and_saveexec_b64 s[14:15], s[12:13]
	s_cbranch_execz .LBB1873_8
; %bb.7:                                ;   in Loop: Header=BB1873_4 Depth=1
	v_mov_b32_e32 v17, s7
	v_add_co_u32_e32 v16, vcc, s6, v10
	v_addc_co_u32_e32 v17, vcc, v11, v17, vcc
	flat_load_dword v16, v[16:17]
.LBB1873_8:                             ;   in Loop: Header=BB1873_4 Depth=1
	s_or_b64 exec, exec, s[14:15]
	s_waitcnt vmcnt(0) lgkmcnt(0)
	ds_write_b32 v7, v16
	s_waitcnt lgkmcnt(0)
	s_barrier
	s_and_saveexec_b64 s[14:15], s[4:5]
	s_cbranch_execz .LBB1873_10
; %bb.9:                                ;   in Loop: Header=BB1873_4 Depth=1
	flat_load_dword v38, v[2:3]
	ds_read2_b32 v[32:33], v6 offset1:32
	ds_read_b128 v[16:19], v4
	ds_read_b128 v[20:23], v4 offset:16
	ds_read2_b32 v[34:35], v6 offset0:64 offset1:96
	ds_read_b128 v[24:27], v4 offset:32
	ds_read_b128 v[28:31], v4 offset:48
	ds_read2_b32 v[36:37], v6 offset0:128 offset1:160
	s_waitcnt lgkmcnt(0)
	v_fma_f32 v32, v16, v32, 0
	v_fmac_f32_e32 v32, v17, v33
	ds_read2_b32 v[16:17], v6 offset0:192 offset1:224
	v_fmac_f32_e32 v32, v18, v34
	v_fmac_f32_e32 v32, v19, v35
	;; [unrolled: 1-line block ×3, first 2 shown]
	v_add_u32_e32 v33, 0x400, v6
	ds_read2_b32 v[18:19], v33 offset1:32
	v_fmac_f32_e32 v32, v21, v37
	s_waitcnt lgkmcnt(0)
	v_fmac_f32_e32 v32, v22, v16
	v_fmac_f32_e32 v32, v23, v17
	ds_read2_b32 v[16:17], v33 offset0:64 offset1:96
	ds_read2_b32 v[20:21], v33 offset0:128 offset1:160
	v_fmac_f32_e32 v32, v24, v18
	v_fmac_f32_e32 v32, v25, v19
	ds_read2_b32 v[22:23], v33 offset0:192 offset1:224
	s_waitcnt lgkmcnt(0)
	v_fmac_f32_e32 v32, v26, v16
	v_fmac_f32_e32 v32, v27, v17
	;; [unrolled: 1-line block ×5, first 2 shown]
	v_add_u32_e32 v30, 0x800, v6
	ds_read_b128 v[16:19], v4 offset:64
	ds_read2_b32 v[24:25], v30 offset1:32
	v_fmac_f32_e32 v32, v31, v23
	ds_read2_b32 v[26:27], v30 offset0:64 offset1:96
	ds_read_b128 v[20:23], v4 offset:80
	ds_read2_b32 v[28:29], v30 offset0:128 offset1:160
	s_waitcnt lgkmcnt(0)
	v_fmac_f32_e32 v32, v16, v24
	v_fmac_f32_e32 v32, v17, v25
	ds_read2_b32 v[24:25], v30 offset0:192 offset1:224
	v_fmac_f32_e32 v32, v18, v26
	v_fmac_f32_e32 v32, v19, v27
	v_add_u32_e32 v30, 0xc00, v6
	v_fmac_f32_e32 v32, v20, v28
	ds_read_b128 v[16:19], v4 offset:96
	ds_read2_b32 v[26:27], v30 offset1:32
	v_fmac_f32_e32 v32, v21, v29
	s_waitcnt lgkmcnt(0)
	v_fmac_f32_e32 v32, v22, v24
	v_fmac_f32_e32 v32, v23, v25
	ds_read2_b32 v[24:25], v30 offset0:64 offset1:96
	ds_read_b128 v[20:23], v4 offset:112
	ds_read2_b32 v[28:29], v30 offset0:128 offset1:160
	v_fmac_f32_e32 v32, v16, v26
	v_fmac_f32_e32 v32, v17, v27
	ds_read2_b32 v[16:17], v30 offset0:192 offset1:224
	s_waitcnt lgkmcnt(0)
	v_fmac_f32_e32 v32, v18, v24
	v_fmac_f32_e32 v32, v19, v25
	;; [unrolled: 1-line block ×6, first 2 shown]
	s_waitcnt vmcnt(0)
	v_fmac_f32_e32 v38, s33, v32
	flat_store_dword v[2:3], v38
.LBB1873_10:                            ;   in Loop: Header=BB1873_4 Depth=1
	s_or_b64 exec, exec, s[14:15]
	v_mov_b32_e32 v16, 0
	v_mov_b32_e32 v17, 0
	s_waitcnt vmcnt(0) lgkmcnt(0)
	s_barrier
	s_and_saveexec_b64 s[14:15], s[10:11]
	s_cbranch_execz .LBB1873_12
; %bb.11:                               ;   in Loop: Header=BB1873_4 Depth=1
	v_mov_b32_e32 v18, s7
	v_add_co_u32_e32 v17, vcc, s6, v12
	v_addc_co_u32_e32 v18, vcc, v13, v18, vcc
	flat_load_dword v17, v[17:18]
.LBB1873_12:                            ;   in Loop: Header=BB1873_4 Depth=1
	s_or_b64 exec, exec, s[14:15]
	s_waitcnt vmcnt(0) lgkmcnt(0)
	ds_write_b32 v5, v17
	s_and_saveexec_b64 s[10:11], s[12:13]
	s_cbranch_execz .LBB1873_14
; %bb.13:                               ;   in Loop: Header=BB1873_4 Depth=1
	v_mov_b32_e32 v17, s7
	v_add_co_u32_e32 v16, vcc, s6, v8
	v_addc_co_u32_e32 v17, vcc, v9, v17, vcc
	flat_load_dword v16, v[16:17]
.LBB1873_14:                            ;   in Loop: Header=BB1873_4 Depth=1
	s_or_b64 exec, exec, s[10:11]
	s_waitcnt vmcnt(0) lgkmcnt(0)
	ds_write_b32 v7, v16
	s_waitcnt lgkmcnt(0)
	s_barrier
	s_and_saveexec_b64 s[10:11], s[4:5]
	s_cbranch_execz .LBB1873_3
; %bb.15:                               ;   in Loop: Header=BB1873_4 Depth=1
	flat_load_dword v38, v[2:3]
	ds_read2_b32 v[32:33], v6 offset1:32
	ds_read_b128 v[16:19], v4
	ds_read_b128 v[20:23], v4 offset:16
	ds_read2_b32 v[34:35], v6 offset0:64 offset1:96
	ds_read_b128 v[24:27], v4 offset:32
	ds_read_b128 v[28:31], v4 offset:48
	ds_read2_b32 v[36:37], v6 offset0:128 offset1:160
	s_waitcnt lgkmcnt(0)
	v_fma_f32 v32, v16, v32, 0
	v_fmac_f32_e32 v32, v17, v33
	ds_read2_b32 v[16:17], v6 offset0:192 offset1:224
	v_fmac_f32_e32 v32, v18, v34
	v_fmac_f32_e32 v32, v19, v35
	;; [unrolled: 1-line block ×3, first 2 shown]
	v_add_u32_e32 v33, 0x400, v6
	ds_read2_b32 v[18:19], v33 offset1:32
	v_fmac_f32_e32 v32, v21, v37
	s_waitcnt lgkmcnt(0)
	v_fmac_f32_e32 v32, v22, v16
	v_fmac_f32_e32 v32, v23, v17
	ds_read2_b32 v[16:17], v33 offset0:64 offset1:96
	ds_read2_b32 v[20:21], v33 offset0:128 offset1:160
	v_fmac_f32_e32 v32, v24, v18
	v_fmac_f32_e32 v32, v25, v19
	ds_read2_b32 v[22:23], v33 offset0:192 offset1:224
	s_waitcnt lgkmcnt(0)
	v_fmac_f32_e32 v32, v26, v16
	v_fmac_f32_e32 v32, v27, v17
	;; [unrolled: 1-line block ×5, first 2 shown]
	v_add_u32_e32 v30, 0x800, v6
	ds_read_b128 v[16:19], v4 offset:64
	ds_read2_b32 v[24:25], v30 offset1:32
	v_fmac_f32_e32 v32, v31, v23
	ds_read2_b32 v[26:27], v30 offset0:64 offset1:96
	ds_read_b128 v[20:23], v4 offset:80
	ds_read2_b32 v[28:29], v30 offset0:128 offset1:160
	s_waitcnt lgkmcnt(0)
	v_fmac_f32_e32 v32, v16, v24
	v_fmac_f32_e32 v32, v17, v25
	ds_read2_b32 v[24:25], v30 offset0:192 offset1:224
	v_fmac_f32_e32 v32, v18, v26
	v_fmac_f32_e32 v32, v19, v27
	v_add_u32_e32 v30, 0xc00, v6
	v_fmac_f32_e32 v32, v20, v28
	ds_read_b128 v[16:19], v4 offset:96
	ds_read2_b32 v[26:27], v30 offset1:32
	v_fmac_f32_e32 v32, v21, v29
	s_waitcnt lgkmcnt(0)
	v_fmac_f32_e32 v32, v22, v24
	v_fmac_f32_e32 v32, v23, v25
	ds_read2_b32 v[24:25], v30 offset0:64 offset1:96
	ds_read_b128 v[20:23], v4 offset:112
	ds_read2_b32 v[28:29], v30 offset0:128 offset1:160
	v_fmac_f32_e32 v32, v16, v26
	v_fmac_f32_e32 v32, v17, v27
	ds_read2_b32 v[16:17], v30 offset0:192 offset1:224
	s_waitcnt lgkmcnt(0)
	v_fmac_f32_e32 v32, v18, v24
	v_fmac_f32_e32 v32, v19, v25
	;; [unrolled: 1-line block ×6, first 2 shown]
	s_waitcnt vmcnt(0)
	v_fmac_f32_e32 v38, s33, v32
	flat_store_dword v[2:3], v38
	s_branch .LBB1873_3
.LBB1873_16:
	s_endpgm
	.section	.rodata,"a",@progbits
	.p2align	6, 0x0
	.amdhsa_kernel _ZL26rocblas_syr2k_her2k_kernelIlLb1ELb0ELb1ELi32EfPKPKfPKPfEvbiT_T4_T5_S7_lS9_S7_lT6_S7_li
		.amdhsa_group_segment_fixed_size 8192
		.amdhsa_private_segment_fixed_size 0
		.amdhsa_kernarg_size 100
		.amdhsa_user_sgpr_count 6
		.amdhsa_user_sgpr_private_segment_buffer 1
		.amdhsa_user_sgpr_dispatch_ptr 0
		.amdhsa_user_sgpr_queue_ptr 0
		.amdhsa_user_sgpr_kernarg_segment_ptr 1
		.amdhsa_user_sgpr_dispatch_id 0
		.amdhsa_user_sgpr_flat_scratch_init 0
		.amdhsa_user_sgpr_private_segment_size 0
		.amdhsa_uses_dynamic_stack 0
		.amdhsa_system_sgpr_private_segment_wavefront_offset 0
		.amdhsa_system_sgpr_workgroup_id_x 1
		.amdhsa_system_sgpr_workgroup_id_y 1
		.amdhsa_system_sgpr_workgroup_id_z 1
		.amdhsa_system_sgpr_workgroup_info 0
		.amdhsa_system_vgpr_workitem_id 1
		.amdhsa_next_free_vgpr 39
		.amdhsa_next_free_sgpr 61
		.amdhsa_reserve_vcc 1
		.amdhsa_reserve_flat_scratch 0
		.amdhsa_float_round_mode_32 0
		.amdhsa_float_round_mode_16_64 0
		.amdhsa_float_denorm_mode_32 3
		.amdhsa_float_denorm_mode_16_64 3
		.amdhsa_dx10_clamp 1
		.amdhsa_ieee_mode 1
		.amdhsa_fp16_overflow 0
		.amdhsa_exception_fp_ieee_invalid_op 0
		.amdhsa_exception_fp_denorm_src 0
		.amdhsa_exception_fp_ieee_div_zero 0
		.amdhsa_exception_fp_ieee_overflow 0
		.amdhsa_exception_fp_ieee_underflow 0
		.amdhsa_exception_fp_ieee_inexact 0
		.amdhsa_exception_int_div_zero 0
	.end_amdhsa_kernel
	.section	.text._ZL26rocblas_syr2k_her2k_kernelIlLb1ELb0ELb1ELi32EfPKPKfPKPfEvbiT_T4_T5_S7_lS9_S7_lT6_S7_li,"axG",@progbits,_ZL26rocblas_syr2k_her2k_kernelIlLb1ELb0ELb1ELi32EfPKPKfPKPfEvbiT_T4_T5_S7_lS9_S7_lT6_S7_li,comdat
.Lfunc_end1873:
	.size	_ZL26rocblas_syr2k_her2k_kernelIlLb1ELb0ELb1ELi32EfPKPKfPKPfEvbiT_T4_T5_S7_lS9_S7_lT6_S7_li, .Lfunc_end1873-_ZL26rocblas_syr2k_her2k_kernelIlLb1ELb0ELb1ELi32EfPKPKfPKPfEvbiT_T4_T5_S7_lS9_S7_lT6_S7_li
                                        ; -- End function
	.set _ZL26rocblas_syr2k_her2k_kernelIlLb1ELb0ELb1ELi32EfPKPKfPKPfEvbiT_T4_T5_S7_lS9_S7_lT6_S7_li.num_vgpr, 39
	.set _ZL26rocblas_syr2k_her2k_kernelIlLb1ELb0ELb1ELi32EfPKPKfPKPfEvbiT_T4_T5_S7_lS9_S7_lT6_S7_li.num_agpr, 0
	.set _ZL26rocblas_syr2k_her2k_kernelIlLb1ELb0ELb1ELi32EfPKPKfPKPfEvbiT_T4_T5_S7_lS9_S7_lT6_S7_li.numbered_sgpr, 34
	.set _ZL26rocblas_syr2k_her2k_kernelIlLb1ELb0ELb1ELi32EfPKPKfPKPfEvbiT_T4_T5_S7_lS9_S7_lT6_S7_li.num_named_barrier, 0
	.set _ZL26rocblas_syr2k_her2k_kernelIlLb1ELb0ELb1ELi32EfPKPKfPKPfEvbiT_T4_T5_S7_lS9_S7_lT6_S7_li.private_seg_size, 0
	.set _ZL26rocblas_syr2k_her2k_kernelIlLb1ELb0ELb1ELi32EfPKPKfPKPfEvbiT_T4_T5_S7_lS9_S7_lT6_S7_li.uses_vcc, 1
	.set _ZL26rocblas_syr2k_her2k_kernelIlLb1ELb0ELb1ELi32EfPKPKfPKPfEvbiT_T4_T5_S7_lS9_S7_lT6_S7_li.uses_flat_scratch, 0
	.set _ZL26rocblas_syr2k_her2k_kernelIlLb1ELb0ELb1ELi32EfPKPKfPKPfEvbiT_T4_T5_S7_lS9_S7_lT6_S7_li.has_dyn_sized_stack, 0
	.set _ZL26rocblas_syr2k_her2k_kernelIlLb1ELb0ELb1ELi32EfPKPKfPKPfEvbiT_T4_T5_S7_lS9_S7_lT6_S7_li.has_recursion, 0
	.set _ZL26rocblas_syr2k_her2k_kernelIlLb1ELb0ELb1ELi32EfPKPKfPKPfEvbiT_T4_T5_S7_lS9_S7_lT6_S7_li.has_indirect_call, 0
	.section	.AMDGPU.csdata,"",@progbits
; Kernel info:
; codeLenInByte = 1740
; TotalNumSgprs: 38
; NumVgprs: 39
; ScratchSize: 0
; MemoryBound: 0
; FloatMode: 240
; IeeeMode: 1
; LDSByteSize: 8192 bytes/workgroup (compile time only)
; SGPRBlocks: 8
; VGPRBlocks: 9
; NumSGPRsForWavesPerEU: 65
; NumVGPRsForWavesPerEU: 39
; Occupancy: 6
; WaveLimiterHint : 1
; COMPUTE_PGM_RSRC2:SCRATCH_EN: 0
; COMPUTE_PGM_RSRC2:USER_SGPR: 6
; COMPUTE_PGM_RSRC2:TRAP_HANDLER: 0
; COMPUTE_PGM_RSRC2:TGID_X_EN: 1
; COMPUTE_PGM_RSRC2:TGID_Y_EN: 1
; COMPUTE_PGM_RSRC2:TGID_Z_EN: 1
; COMPUTE_PGM_RSRC2:TIDIG_COMP_CNT: 1
	.section	.text._ZL26rocblas_syr2k_her2k_kernelIlLb1ELb0ELb0ELi32EPKfPKS1_PKPfEvbiT_T4_T5_S7_lS9_S7_lT6_S7_li,"axG",@progbits,_ZL26rocblas_syr2k_her2k_kernelIlLb1ELb0ELb0ELi32EPKfPKS1_PKPfEvbiT_T4_T5_S7_lS9_S7_lT6_S7_li,comdat
	.globl	_ZL26rocblas_syr2k_her2k_kernelIlLb1ELb0ELb0ELi32EPKfPKS1_PKPfEvbiT_T4_T5_S7_lS9_S7_lT6_S7_li ; -- Begin function _ZL26rocblas_syr2k_her2k_kernelIlLb1ELb0ELb0ELi32EPKfPKS1_PKPfEvbiT_T4_T5_S7_lS9_S7_lT6_S7_li
	.p2align	8
	.type	_ZL26rocblas_syr2k_her2k_kernelIlLb1ELb0ELb0ELi32EPKfPKS1_PKPfEvbiT_T4_T5_S7_lS9_S7_lT6_S7_li,@function
_ZL26rocblas_syr2k_her2k_kernelIlLb1ELb0ELb0ELi32EPKfPKS1_PKPfEvbiT_T4_T5_S7_lS9_S7_lT6_S7_li: ; @_ZL26rocblas_syr2k_her2k_kernelIlLb1ELb0ELb0ELi32EPKfPKS1_PKPfEvbiT_T4_T5_S7_lS9_S7_lT6_S7_li
; %bb.0:
	s_load_dwordx16 s[12:27], s[4:5], 0x8
	s_waitcnt lgkmcnt(0)
	s_load_dword s33, s[14:15], 0x0
	s_waitcnt lgkmcnt(0)
	v_cmp_eq_f32_e64 s[0:1], s33, 0
	s_and_b64 vcc, exec, s[0:1]
	s_cbranch_vccnz .LBB1874_16
; %bb.1:
	s_load_dwordx2 s[10:11], s[4:5], 0x0
	s_lshl_b32 s2, s7, 5
	s_lshl_b32 s3, s6, 5
	s_waitcnt lgkmcnt(0)
	s_and_b32 s0, 1, s10
	s_cmp_eq_u32 s0, 1
	s_cselect_b64 s[0:1], -1, 0
	s_and_b64 s[6:7], s[0:1], exec
	s_cselect_b32 s6, s3, s2
	s_cselect_b32 s7, s2, s3
	s_cmp_gt_i32 s6, s7
	v_cmp_lt_i64_e64 s[6:7], s[12:13], 1
	s_cselect_b64 s[14:15], -1, 0
	s_or_b64 s[6:7], s[14:15], s[6:7]
	s_and_b64 vcc, exec, s[6:7]
	s_cbranch_vccnz .LBB1874_16
; %bb.2:
	s_mov_b32 s9, 0
	s_load_dwordx4 s[28:31], s[4:5], 0x48
	s_load_dwordx2 s[6:7], s[4:5], 0x58
	s_lshl_b64 s[4:5], s[8:9], 3
	s_add_u32 s8, s16, s4
	s_addc_u32 s9, s17, s5
	s_add_u32 s14, s22, s4
	s_addc_u32 s15, s23, s5
	s_waitcnt lgkmcnt(0)
	s_add_u32 s4, s28, s4
	s_addc_u32 s5, s29, s5
	s_load_dwordx2 s[16:17], s[4:5], 0x0
	s_load_dwordx2 s[28:29], s[8:9], 0x0
	;; [unrolled: 1-line block ×3, first 2 shown]
	s_lshl_b64 s[4:5], s[6:7], 2
	v_add_u32_e32 v8, s2, v1
	s_waitcnt lgkmcnt(0)
	s_add_u32 s8, s16, s4
	s_addc_u32 s6, s17, s5
	s_lshl_b64 s[4:5], s[26:27], 2
	s_add_u32 s22, s22, s4
	s_addc_u32 s23, s23, s5
	s_lshl_b64 s[4:5], s[20:21], 2
	v_lshlrev_b32_e32 v4, 7, v0
	v_lshlrev_b32_e32 v2, 2, v1
	s_add_u32 s20, s28, s4
	v_add_u32_e32 v5, v4, v2
	v_or_b32_e32 v6, 0x1000, v2
	v_ashrrev_i32_e32 v2, 31, v8
	s_addc_u32 s21, s29, s5
	v_mul_lo_u32 v15, s30, v2
	v_mul_lo_u32 v16, s31, v8
	v_mad_u64_u32 v[2:3], s[4:5], s30, v8, 0
	v_add_u32_e32 v12, s3, v0
	v_max_i32_e32 v14, v12, v8
	v_add3_u32 v3, v3, v15, v16
	v_cndmask_b32_e64 v10, v12, v8, s[0:1]
	v_cndmask_b32_e64 v11, v8, v12, s[0:1]
	v_cmp_gt_i32_e32 vcc, s11, v14
	v_lshlrev_b64 v[2:3], 2, v[2:3]
	v_mov_b32_e32 v16, s6
	v_mad_u64_u32 v[14:15], s[6:7], s18, v0, 0
	v_cmp_le_i32_e64 s[4:5], v11, v10
	s_and_b64 s[4:5], s[4:5], vcc
	v_ashrrev_i32_e32 v11, 31, v12
	v_mov_b32_e32 v10, v12
	v_add_co_u32_e32 v17, vcc, s8, v2
	v_addc_co_u32_e32 v16, vcc, v16, v3, vcc
	v_lshlrev_b64 v[2:3], 2, v[10:11]
	v_mov_b32_e32 v10, v15
	v_mad_u64_u32 v[10:11], s[6:7], s19, v0, v[10:11]
	v_add_co_u32_e32 v2, vcc, v17, v2
	v_addc_co_u32_e32 v3, vcc, v16, v3, vcc
	v_mad_u64_u32 v[16:17], s[6:7], s24, v0, 0
	v_mov_b32_e32 v13, 0
	s_ashr_i32 s3, s11, 31
	s_mov_b32 s2, s11
	v_mov_b32_e32 v9, v13
	v_mov_b32_e32 v15, v10
	v_cmp_gt_i64_e64 s[0:1], s[2:3], v[12:13]
	v_cmp_gt_i64_e64 s[2:3], s[2:3], v[8:9]
	v_lshlrev_b64 v[10:11], 2, v[14:15]
	v_lshlrev_b64 v[14:15], 2, v[8:9]
	v_mov_b32_e32 v8, v17
	v_mad_u64_u32 v[17:18], s[6:7], s25, v0, v[8:9]
	v_add_co_u32_e32 v8, vcc, v10, v14
	v_addc_co_u32_e32 v9, vcc, v11, v15, vcc
	v_lshlrev_b64 v[10:11], 2, v[16:17]
	v_mad_u64_u32 v[16:17], s[8:9], s24, v1, 0
	v_add_co_u32_e32 v10, vcc, v10, v14
	v_mov_b32_e32 v14, v17
	v_addc_co_u32_e32 v11, vcc, v11, v15, vcc
	v_mad_u64_u32 v[14:15], s[8:9], s25, v1, v[14:15]
	v_mad_u64_u32 v[18:19], s[10:11], s18, v1, 0
	v_mov_b32_e32 v17, v14
	v_lshlrev_b64 v[14:15], 2, v[16:17]
	v_lshlrev_b64 v[16:17], 2, v[12:13]
	v_mov_b32_e32 v12, v19
	v_mad_u64_u32 v[19:20], s[10:11], s19, v1, v[12:13]
	v_add_co_u32_e32 v12, vcc, v14, v16
	v_addc_co_u32_e32 v13, vcc, v15, v17, vcc
	v_lshlrev_b64 v[14:15], 2, v[18:19]
	v_add_u32_e32 v7, v6, v4
	v_add_co_u32_e32 v14, vcc, v14, v16
	s_lshl_b64 s[6:7], s[18:19], 7
	s_lshl_b64 s[8:9], s[24:25], 7
	v_addc_co_u32_e32 v15, vcc, v15, v17, vcc
	s_mov_b64 s[10:11], 0
	s_branch .LBB1874_4
.LBB1874_3:                             ;   in Loop: Header=BB1874_4 Depth=1
	s_or_b64 exec, exec, s[14:15]
	s_add_u32 s10, s10, 32
	s_addc_u32 s11, s11, 0
	v_mov_b32_e32 v17, s13
	s_add_u32 s20, s20, s6
	v_mov_b32_e32 v16, s12
	s_addc_u32 s21, s21, s7
	v_cmp_lt_i64_e32 vcc, s[10:11], v[16:17]
	s_add_u32 s22, s22, s8
	s_addc_u32 s23, s23, s9
	s_waitcnt vmcnt(0) lgkmcnt(0)
	s_barrier
	s_cbranch_vccz .LBB1874_16
.LBB1874_4:                             ; =>This Inner Loop Header: Depth=1
	v_mov_b32_e32 v17, s11
	v_add_co_u32_e32 v16, vcc, s10, v1
	v_addc_co_u32_e32 v17, vcc, 0, v17, vcc
	v_cmp_gt_i64_e32 vcc, s[12:13], v[16:17]
	v_mov_b32_e32 v16, 0
	s_and_b64 s[14:15], s[0:1], vcc
	s_and_saveexec_b64 s[16:17], s[14:15]
	s_cbranch_execz .LBB1874_6
; %bb.5:                                ;   in Loop: Header=BB1874_4 Depth=1
	v_mov_b32_e32 v17, s21
	v_add_co_u32_e32 v16, vcc, s20, v14
	v_addc_co_u32_e32 v17, vcc, v17, v15, vcc
	flat_load_dword v16, v[16:17]
.LBB1874_6:                             ;   in Loop: Header=BB1874_4 Depth=1
	s_or_b64 exec, exec, s[16:17]
	v_mov_b32_e32 v18, s11
	v_add_co_u32_e32 v17, vcc, s10, v0
	v_addc_co_u32_e32 v18, vcc, 0, v18, vcc
	v_cmp_gt_i64_e32 vcc, s[12:13], v[17:18]
	s_waitcnt vmcnt(0) lgkmcnt(0)
	ds_write_b32 v5, v16
	s_and_b64 s[16:17], s[2:3], vcc
	v_mov_b32_e32 v16, 0
	s_and_saveexec_b64 s[18:19], s[16:17]
	s_cbranch_execz .LBB1874_8
; %bb.7:                                ;   in Loop: Header=BB1874_4 Depth=1
	v_mov_b32_e32 v17, s23
	v_add_co_u32_e32 v16, vcc, s22, v10
	v_addc_co_u32_e32 v17, vcc, v17, v11, vcc
	flat_load_dword v16, v[16:17]
.LBB1874_8:                             ;   in Loop: Header=BB1874_4 Depth=1
	s_or_b64 exec, exec, s[18:19]
	s_waitcnt vmcnt(0) lgkmcnt(0)
	ds_write_b32 v7, v16
	s_waitcnt lgkmcnt(0)
	s_barrier
	s_and_saveexec_b64 s[18:19], s[4:5]
	s_cbranch_execz .LBB1874_10
; %bb.9:                                ;   in Loop: Header=BB1874_4 Depth=1
	flat_load_dword v38, v[2:3]
	ds_read2_b32 v[32:33], v6 offset1:32
	ds_read_b128 v[16:19], v4
	ds_read_b128 v[20:23], v4 offset:16
	ds_read2_b32 v[34:35], v6 offset0:64 offset1:96
	ds_read_b128 v[24:27], v4 offset:32
	ds_read_b128 v[28:31], v4 offset:48
	ds_read2_b32 v[36:37], v6 offset0:128 offset1:160
	s_waitcnt lgkmcnt(0)
	v_fma_f32 v32, v16, v32, 0
	v_fmac_f32_e32 v32, v17, v33
	ds_read2_b32 v[16:17], v6 offset0:192 offset1:224
	v_fmac_f32_e32 v32, v18, v34
	v_fmac_f32_e32 v32, v19, v35
	;; [unrolled: 1-line block ×3, first 2 shown]
	v_add_u32_e32 v33, 0x400, v6
	ds_read2_b32 v[18:19], v33 offset1:32
	v_fmac_f32_e32 v32, v21, v37
	s_waitcnt lgkmcnt(0)
	v_fmac_f32_e32 v32, v22, v16
	v_fmac_f32_e32 v32, v23, v17
	ds_read2_b32 v[16:17], v33 offset0:64 offset1:96
	ds_read2_b32 v[20:21], v33 offset0:128 offset1:160
	v_fmac_f32_e32 v32, v24, v18
	v_fmac_f32_e32 v32, v25, v19
	ds_read2_b32 v[22:23], v33 offset0:192 offset1:224
	s_waitcnt lgkmcnt(0)
	v_fmac_f32_e32 v32, v26, v16
	v_fmac_f32_e32 v32, v27, v17
	;; [unrolled: 1-line block ×5, first 2 shown]
	v_add_u32_e32 v30, 0x800, v6
	ds_read_b128 v[16:19], v4 offset:64
	ds_read2_b32 v[24:25], v30 offset1:32
	v_fmac_f32_e32 v32, v31, v23
	ds_read2_b32 v[26:27], v30 offset0:64 offset1:96
	ds_read_b128 v[20:23], v4 offset:80
	ds_read2_b32 v[28:29], v30 offset0:128 offset1:160
	s_waitcnt lgkmcnt(0)
	v_fmac_f32_e32 v32, v16, v24
	v_fmac_f32_e32 v32, v17, v25
	ds_read2_b32 v[24:25], v30 offset0:192 offset1:224
	v_fmac_f32_e32 v32, v18, v26
	v_fmac_f32_e32 v32, v19, v27
	v_add_u32_e32 v30, 0xc00, v6
	v_fmac_f32_e32 v32, v20, v28
	ds_read_b128 v[16:19], v4 offset:96
	ds_read2_b32 v[26:27], v30 offset1:32
	v_fmac_f32_e32 v32, v21, v29
	s_waitcnt lgkmcnt(0)
	v_fmac_f32_e32 v32, v22, v24
	v_fmac_f32_e32 v32, v23, v25
	ds_read2_b32 v[24:25], v30 offset0:64 offset1:96
	ds_read_b128 v[20:23], v4 offset:112
	ds_read2_b32 v[28:29], v30 offset0:128 offset1:160
	v_fmac_f32_e32 v32, v16, v26
	v_fmac_f32_e32 v32, v17, v27
	ds_read2_b32 v[16:17], v30 offset0:192 offset1:224
	s_waitcnt lgkmcnt(0)
	v_fmac_f32_e32 v32, v18, v24
	v_fmac_f32_e32 v32, v19, v25
	;; [unrolled: 1-line block ×6, first 2 shown]
	s_waitcnt vmcnt(0)
	v_fmac_f32_e32 v38, s33, v32
	flat_store_dword v[2:3], v38
.LBB1874_10:                            ;   in Loop: Header=BB1874_4 Depth=1
	s_or_b64 exec, exec, s[18:19]
	v_mov_b32_e32 v16, 0
	v_mov_b32_e32 v17, 0
	s_waitcnt vmcnt(0) lgkmcnt(0)
	s_barrier
	s_and_saveexec_b64 s[18:19], s[14:15]
	s_cbranch_execz .LBB1874_12
; %bb.11:                               ;   in Loop: Header=BB1874_4 Depth=1
	v_mov_b32_e32 v18, s23
	v_add_co_u32_e32 v17, vcc, s22, v12
	v_addc_co_u32_e32 v18, vcc, v18, v13, vcc
	flat_load_dword v17, v[17:18]
.LBB1874_12:                            ;   in Loop: Header=BB1874_4 Depth=1
	s_or_b64 exec, exec, s[18:19]
	s_waitcnt vmcnt(0) lgkmcnt(0)
	ds_write_b32 v5, v17
	s_and_saveexec_b64 s[14:15], s[16:17]
	s_cbranch_execz .LBB1874_14
; %bb.13:                               ;   in Loop: Header=BB1874_4 Depth=1
	v_mov_b32_e32 v17, s21
	v_add_co_u32_e32 v16, vcc, s20, v8
	v_addc_co_u32_e32 v17, vcc, v17, v9, vcc
	flat_load_dword v16, v[16:17]
.LBB1874_14:                            ;   in Loop: Header=BB1874_4 Depth=1
	s_or_b64 exec, exec, s[14:15]
	s_waitcnt vmcnt(0) lgkmcnt(0)
	ds_write_b32 v7, v16
	s_waitcnt lgkmcnt(0)
	s_barrier
	s_and_saveexec_b64 s[14:15], s[4:5]
	s_cbranch_execz .LBB1874_3
; %bb.15:                               ;   in Loop: Header=BB1874_4 Depth=1
	flat_load_dword v38, v[2:3]
	ds_read2_b32 v[32:33], v6 offset1:32
	ds_read_b128 v[16:19], v4
	ds_read_b128 v[20:23], v4 offset:16
	ds_read2_b32 v[34:35], v6 offset0:64 offset1:96
	ds_read_b128 v[24:27], v4 offset:32
	ds_read_b128 v[28:31], v4 offset:48
	ds_read2_b32 v[36:37], v6 offset0:128 offset1:160
	s_waitcnt lgkmcnt(0)
	v_fma_f32 v32, v16, v32, 0
	v_fmac_f32_e32 v32, v17, v33
	ds_read2_b32 v[16:17], v6 offset0:192 offset1:224
	v_fmac_f32_e32 v32, v18, v34
	v_fmac_f32_e32 v32, v19, v35
	;; [unrolled: 1-line block ×3, first 2 shown]
	v_add_u32_e32 v33, 0x400, v6
	ds_read2_b32 v[18:19], v33 offset1:32
	v_fmac_f32_e32 v32, v21, v37
	s_waitcnt lgkmcnt(0)
	v_fmac_f32_e32 v32, v22, v16
	v_fmac_f32_e32 v32, v23, v17
	ds_read2_b32 v[16:17], v33 offset0:64 offset1:96
	ds_read2_b32 v[20:21], v33 offset0:128 offset1:160
	v_fmac_f32_e32 v32, v24, v18
	v_fmac_f32_e32 v32, v25, v19
	ds_read2_b32 v[22:23], v33 offset0:192 offset1:224
	s_waitcnt lgkmcnt(0)
	v_fmac_f32_e32 v32, v26, v16
	v_fmac_f32_e32 v32, v27, v17
	;; [unrolled: 1-line block ×5, first 2 shown]
	v_add_u32_e32 v30, 0x800, v6
	ds_read_b128 v[16:19], v4 offset:64
	ds_read2_b32 v[24:25], v30 offset1:32
	v_fmac_f32_e32 v32, v31, v23
	ds_read2_b32 v[26:27], v30 offset0:64 offset1:96
	ds_read_b128 v[20:23], v4 offset:80
	ds_read2_b32 v[28:29], v30 offset0:128 offset1:160
	s_waitcnt lgkmcnt(0)
	v_fmac_f32_e32 v32, v16, v24
	v_fmac_f32_e32 v32, v17, v25
	ds_read2_b32 v[24:25], v30 offset0:192 offset1:224
	v_fmac_f32_e32 v32, v18, v26
	v_fmac_f32_e32 v32, v19, v27
	v_add_u32_e32 v30, 0xc00, v6
	v_fmac_f32_e32 v32, v20, v28
	ds_read_b128 v[16:19], v4 offset:96
	ds_read2_b32 v[26:27], v30 offset1:32
	v_fmac_f32_e32 v32, v21, v29
	s_waitcnt lgkmcnt(0)
	v_fmac_f32_e32 v32, v22, v24
	v_fmac_f32_e32 v32, v23, v25
	ds_read2_b32 v[24:25], v30 offset0:64 offset1:96
	ds_read_b128 v[20:23], v4 offset:112
	ds_read2_b32 v[28:29], v30 offset0:128 offset1:160
	v_fmac_f32_e32 v32, v16, v26
	v_fmac_f32_e32 v32, v17, v27
	ds_read2_b32 v[16:17], v30 offset0:192 offset1:224
	s_waitcnt lgkmcnt(0)
	v_fmac_f32_e32 v32, v18, v24
	v_fmac_f32_e32 v32, v19, v25
	;; [unrolled: 1-line block ×6, first 2 shown]
	s_waitcnt vmcnt(0)
	v_fmac_f32_e32 v38, s33, v32
	flat_store_dword v[2:3], v38
	s_branch .LBB1874_3
.LBB1874_16:
	s_endpgm
	.section	.rodata,"a",@progbits
	.p2align	6, 0x0
	.amdhsa_kernel _ZL26rocblas_syr2k_her2k_kernelIlLb1ELb0ELb0ELi32EPKfPKS1_PKPfEvbiT_T4_T5_S7_lS9_S7_lT6_S7_li
		.amdhsa_group_segment_fixed_size 8192
		.amdhsa_private_segment_fixed_size 0
		.amdhsa_kernarg_size 100
		.amdhsa_user_sgpr_count 6
		.amdhsa_user_sgpr_private_segment_buffer 1
		.amdhsa_user_sgpr_dispatch_ptr 0
		.amdhsa_user_sgpr_queue_ptr 0
		.amdhsa_user_sgpr_kernarg_segment_ptr 1
		.amdhsa_user_sgpr_dispatch_id 0
		.amdhsa_user_sgpr_flat_scratch_init 0
		.amdhsa_user_sgpr_private_segment_size 0
		.amdhsa_uses_dynamic_stack 0
		.amdhsa_system_sgpr_private_segment_wavefront_offset 0
		.amdhsa_system_sgpr_workgroup_id_x 1
		.amdhsa_system_sgpr_workgroup_id_y 1
		.amdhsa_system_sgpr_workgroup_id_z 1
		.amdhsa_system_sgpr_workgroup_info 0
		.amdhsa_system_vgpr_workitem_id 1
		.amdhsa_next_free_vgpr 39
		.amdhsa_next_free_sgpr 61
		.amdhsa_reserve_vcc 1
		.amdhsa_reserve_flat_scratch 0
		.amdhsa_float_round_mode_32 0
		.amdhsa_float_round_mode_16_64 0
		.amdhsa_float_denorm_mode_32 3
		.amdhsa_float_denorm_mode_16_64 3
		.amdhsa_dx10_clamp 1
		.amdhsa_ieee_mode 1
		.amdhsa_fp16_overflow 0
		.amdhsa_exception_fp_ieee_invalid_op 0
		.amdhsa_exception_fp_denorm_src 0
		.amdhsa_exception_fp_ieee_div_zero 0
		.amdhsa_exception_fp_ieee_overflow 0
		.amdhsa_exception_fp_ieee_underflow 0
		.amdhsa_exception_fp_ieee_inexact 0
		.amdhsa_exception_int_div_zero 0
	.end_amdhsa_kernel
	.section	.text._ZL26rocblas_syr2k_her2k_kernelIlLb1ELb0ELb0ELi32EPKfPKS1_PKPfEvbiT_T4_T5_S7_lS9_S7_lT6_S7_li,"axG",@progbits,_ZL26rocblas_syr2k_her2k_kernelIlLb1ELb0ELb0ELi32EPKfPKS1_PKPfEvbiT_T4_T5_S7_lS9_S7_lT6_S7_li,comdat
.Lfunc_end1874:
	.size	_ZL26rocblas_syr2k_her2k_kernelIlLb1ELb0ELb0ELi32EPKfPKS1_PKPfEvbiT_T4_T5_S7_lS9_S7_lT6_S7_li, .Lfunc_end1874-_ZL26rocblas_syr2k_her2k_kernelIlLb1ELb0ELb0ELi32EPKfPKS1_PKPfEvbiT_T4_T5_S7_lS9_S7_lT6_S7_li
                                        ; -- End function
	.set _ZL26rocblas_syr2k_her2k_kernelIlLb1ELb0ELb0ELi32EPKfPKS1_PKPfEvbiT_T4_T5_S7_lS9_S7_lT6_S7_li.num_vgpr, 39
	.set _ZL26rocblas_syr2k_her2k_kernelIlLb1ELb0ELb0ELi32EPKfPKS1_PKPfEvbiT_T4_T5_S7_lS9_S7_lT6_S7_li.num_agpr, 0
	.set _ZL26rocblas_syr2k_her2k_kernelIlLb1ELb0ELb0ELi32EPKfPKS1_PKPfEvbiT_T4_T5_S7_lS9_S7_lT6_S7_li.numbered_sgpr, 34
	.set _ZL26rocblas_syr2k_her2k_kernelIlLb1ELb0ELb0ELi32EPKfPKS1_PKPfEvbiT_T4_T5_S7_lS9_S7_lT6_S7_li.num_named_barrier, 0
	.set _ZL26rocblas_syr2k_her2k_kernelIlLb1ELb0ELb0ELi32EPKfPKS1_PKPfEvbiT_T4_T5_S7_lS9_S7_lT6_S7_li.private_seg_size, 0
	.set _ZL26rocblas_syr2k_her2k_kernelIlLb1ELb0ELb0ELi32EPKfPKS1_PKPfEvbiT_T4_T5_S7_lS9_S7_lT6_S7_li.uses_vcc, 1
	.set _ZL26rocblas_syr2k_her2k_kernelIlLb1ELb0ELb0ELi32EPKfPKS1_PKPfEvbiT_T4_T5_S7_lS9_S7_lT6_S7_li.uses_flat_scratch, 0
	.set _ZL26rocblas_syr2k_her2k_kernelIlLb1ELb0ELb0ELi32EPKfPKS1_PKPfEvbiT_T4_T5_S7_lS9_S7_lT6_S7_li.has_dyn_sized_stack, 0
	.set _ZL26rocblas_syr2k_her2k_kernelIlLb1ELb0ELb0ELi32EPKfPKS1_PKPfEvbiT_T4_T5_S7_lS9_S7_lT6_S7_li.has_recursion, 0
	.set _ZL26rocblas_syr2k_her2k_kernelIlLb1ELb0ELb0ELi32EPKfPKS1_PKPfEvbiT_T4_T5_S7_lS9_S7_lT6_S7_li.has_indirect_call, 0
	.section	.AMDGPU.csdata,"",@progbits
; Kernel info:
; codeLenInByte = 1720
; TotalNumSgprs: 38
; NumVgprs: 39
; ScratchSize: 0
; MemoryBound: 0
; FloatMode: 240
; IeeeMode: 1
; LDSByteSize: 8192 bytes/workgroup (compile time only)
; SGPRBlocks: 8
; VGPRBlocks: 9
; NumSGPRsForWavesPerEU: 65
; NumVGPRsForWavesPerEU: 39
; Occupancy: 6
; WaveLimiterHint : 1
; COMPUTE_PGM_RSRC2:SCRATCH_EN: 0
; COMPUTE_PGM_RSRC2:USER_SGPR: 6
; COMPUTE_PGM_RSRC2:TRAP_HANDLER: 0
; COMPUTE_PGM_RSRC2:TGID_X_EN: 1
; COMPUTE_PGM_RSRC2:TGID_Y_EN: 1
; COMPUTE_PGM_RSRC2:TGID_Z_EN: 1
; COMPUTE_PGM_RSRC2:TIDIG_COMP_CNT: 1
	.section	.text._ZL26rocblas_syr2k_her2k_kernelIlLb1ELb0ELb1ELi32EPKfPKS1_PKPfEvbiT_T4_T5_S7_lS9_S7_lT6_S7_li,"axG",@progbits,_ZL26rocblas_syr2k_her2k_kernelIlLb1ELb0ELb1ELi32EPKfPKS1_PKPfEvbiT_T4_T5_S7_lS9_S7_lT6_S7_li,comdat
	.globl	_ZL26rocblas_syr2k_her2k_kernelIlLb1ELb0ELb1ELi32EPKfPKS1_PKPfEvbiT_T4_T5_S7_lS9_S7_lT6_S7_li ; -- Begin function _ZL26rocblas_syr2k_her2k_kernelIlLb1ELb0ELb1ELi32EPKfPKS1_PKPfEvbiT_T4_T5_S7_lS9_S7_lT6_S7_li
	.p2align	8
	.type	_ZL26rocblas_syr2k_her2k_kernelIlLb1ELb0ELb1ELi32EPKfPKS1_PKPfEvbiT_T4_T5_S7_lS9_S7_lT6_S7_li,@function
_ZL26rocblas_syr2k_her2k_kernelIlLb1ELb0ELb1ELi32EPKfPKS1_PKPfEvbiT_T4_T5_S7_lS9_S7_lT6_S7_li: ; @_ZL26rocblas_syr2k_her2k_kernelIlLb1ELb0ELb1ELi32EPKfPKS1_PKPfEvbiT_T4_T5_S7_lS9_S7_lT6_S7_li
; %bb.0:
	s_load_dwordx16 s[12:27], s[4:5], 0x8
	s_waitcnt lgkmcnt(0)
	s_load_dword s33, s[14:15], 0x0
	s_waitcnt lgkmcnt(0)
	v_cmp_eq_f32_e64 s[0:1], s33, 0
	s_and_b64 vcc, exec, s[0:1]
	s_cbranch_vccnz .LBB1875_16
; %bb.1:
	s_load_dwordx2 s[10:11], s[4:5], 0x0
	s_lshl_b32 s2, s7, 5
	s_lshl_b32 s3, s6, 5
	s_waitcnt lgkmcnt(0)
	s_and_b32 s0, 1, s10
	s_cmp_eq_u32 s0, 1
	s_cselect_b64 s[0:1], -1, 0
	s_and_b64 s[6:7], s[0:1], exec
	s_cselect_b32 s6, s3, s2
	s_cselect_b32 s7, s2, s3
	s_cmp_gt_i32 s6, s7
	v_cmp_lt_i64_e64 s[6:7], s[12:13], 1
	s_cselect_b64 s[14:15], -1, 0
	s_or_b64 s[6:7], s[14:15], s[6:7]
	s_and_b64 vcc, exec, s[6:7]
	s_cbranch_vccnz .LBB1875_16
; %bb.2:
	s_mov_b32 s9, 0
	s_load_dwordx4 s[28:31], s[4:5], 0x48
	s_load_dwordx2 s[14:15], s[4:5], 0x58
	s_lshl_b64 s[4:5], s[8:9], 3
	s_add_u32 s16, s16, s4
	s_addc_u32 s17, s17, s5
	s_add_u32 s22, s22, s4
	s_addc_u32 s23, s23, s5
	s_waitcnt lgkmcnt(0)
	s_add_u32 s4, s28, s4
	s_addc_u32 s5, s29, s5
	s_load_dwordx2 s[28:29], s[4:5], 0x0
	s_load_dwordx2 s[6:7], s[16:17], 0x0
	;; [unrolled: 1-line block ×3, first 2 shown]
	s_lshl_b64 s[4:5], s[14:15], 2
	v_add_u32_e32 v8, s2, v1
	s_waitcnt lgkmcnt(0)
	s_add_u32 s14, s28, s4
	s_addc_u32 s10, s29, s5
	v_add_u32_e32 v12, s3, v0
	s_ashr_i32 s3, s11, 31
	s_mov_b32 s2, s11
	v_mov_b32_e32 v13, 0
	v_ashrrev_i32_e32 v2, 31, v8
	v_cndmask_b32_e64 v10, v12, v8, s[0:1]
	v_cndmask_b32_e64 v11, v8, v12, s[0:1]
	v_cmp_gt_i64_e64 s[0:1], s[2:3], v[12:13]
	v_mov_b32_e32 v9, v13
	v_mul_lo_u32 v13, s30, v2
	v_mul_lo_u32 v14, s31, v8
	v_mad_u64_u32 v[2:3], s[4:5], s30, v8, 0
	v_cmp_gt_i64_e64 s[2:3], s[2:3], v[8:9]
	v_max_i32_e32 v9, v12, v8
	v_cmp_gt_i32_e32 vcc, s11, v9
	v_cmp_le_i32_e64 s[4:5], v11, v10
	v_add3_u32 v3, v3, v13, v14
	v_mov_b32_e32 v11, s10
	v_mad_u64_u32 v[9:10], s[10:11], s18, v8, 0
	v_lshlrev_b64 v[2:3], 2, v[2:3]
	s_and_b64 s[4:5], s[4:5], vcc
	v_add_co_u32_e32 v14, vcc, s14, v2
	v_addc_co_u32_e32 v15, vcc, v11, v3, vcc
	v_mad_u64_u32 v[10:11], s[10:11], s19, v8, v[10:11]
	v_ashrrev_i32_e32 v13, 31, v12
	v_lshlrev_b64 v[2:3], 2, v[12:13]
	v_lshlrev_b64 v[9:10], 2, v[9:10]
	v_add_co_u32_e32 v2, vcc, v14, v2
	v_addc_co_u32_e32 v3, vcc, v15, v3, vcc
	s_lshl_b64 s[10:11], s[20:21], 2
	v_mov_b32_e32 v18, s11
	v_add_co_u32_e32 v9, vcc, s10, v9
	v_addc_co_u32_e32 v13, vcc, v10, v18, vcc
	v_mad_u64_u32 v[10:11], s[14:15], s24, v8, 0
	v_lshlrev_b32_e32 v15, 2, v0
	v_add_co_u32_e32 v16, vcc, v9, v15
	v_mov_b32_e32 v9, v11
	v_addc_co_u32_e32 v19, vcc, 0, v13, vcc
	v_mad_u64_u32 v[13:14], s[14:15], s25, v8, v[9:10]
	v_mov_b32_e32 v20, s7
	v_add_co_u32_e32 v8, vcc, s6, v16
	v_mov_b32_e32 v11, v13
	v_lshlrev_b64 v[10:11], 2, v[10:11]
	v_addc_co_u32_e32 v9, vcc, v20, v19, vcc
	s_lshl_b64 s[14:15], s[26:27], 2
	v_mad_u64_u32 v[13:14], s[16:17], s24, v12, 0
	v_mov_b32_e32 v16, s15
	v_add_co_u32_e32 v10, vcc, s14, v10
	v_addc_co_u32_e32 v11, vcc, v11, v16, vcc
	v_add_co_u32_e32 v19, vcc, v10, v15
	v_addc_co_u32_e32 v11, vcc, 0, v11, vcc
	v_mov_b32_e32 v10, v14
	v_mad_u64_u32 v[14:15], s[16:17], s25, v12, v[10:11]
	v_mov_b32_e32 v21, s9
	v_add_co_u32_e32 v10, vcc, s8, v19
	v_lshlrev_b64 v[13:14], 2, v[13:14]
	v_addc_co_u32_e32 v11, vcc, v21, v11, vcc
	v_add_co_u32_e32 v13, vcc, s14, v13
	v_addc_co_u32_e32 v16, vcc, v14, v16, vcc
	v_mad_u64_u32 v[14:15], s[14:15], s18, v12, 0
	v_lshlrev_b32_e32 v17, 2, v1
	v_add_co_u32_e32 v19, vcc, v13, v17
	v_mov_b32_e32 v13, v15
	v_addc_co_u32_e32 v22, vcc, 0, v16, vcc
	v_mad_u64_u32 v[15:16], s[14:15], s19, v12, v[13:14]
	v_add_co_u32_e32 v12, vcc, s8, v19
	v_lshlrev_b64 v[14:15], 2, v[14:15]
	v_addc_co_u32_e32 v13, vcc, v21, v22, vcc
	v_add_co_u32_e32 v14, vcc, s10, v14
	v_addc_co_u32_e32 v15, vcc, v15, v18, vcc
	v_add_co_u32_e32 v14, vcc, v14, v17
	v_addc_co_u32_e32 v15, vcc, 0, v15, vcc
	v_lshlrev_b32_e32 v4, 7, v0
	v_or_b32_e32 v6, 0x1000, v17
	v_add_co_u32_e32 v14, vcc, s6, v14
	v_add_u32_e32 v5, v4, v17
	v_add_u32_e32 v7, v6, v4
	v_addc_co_u32_e32 v15, vcc, v20, v15, vcc
	s_mov_b64 s[6:7], 0
	s_mov_b64 s[8:9], 0
	s_branch .LBB1875_4
.LBB1875_3:                             ;   in Loop: Header=BB1875_4 Depth=1
	s_or_b64 exec, exec, s[10:11]
	s_add_u32 s8, s8, 32
	v_mov_b32_e32 v17, s13
	s_addc_u32 s9, s9, 0
	v_mov_b32_e32 v16, s12
	v_cmp_lt_i64_e32 vcc, s[8:9], v[16:17]
	s_add_u32 s6, s6, 0x80
	s_addc_u32 s7, s7, 0
	s_waitcnt vmcnt(0) lgkmcnt(0)
	s_barrier
	s_cbranch_vccz .LBB1875_16
.LBB1875_4:                             ; =>This Inner Loop Header: Depth=1
	v_mov_b32_e32 v17, s9
	v_add_co_u32_e32 v16, vcc, s8, v1
	v_addc_co_u32_e32 v17, vcc, 0, v17, vcc
	v_cmp_gt_i64_e32 vcc, s[12:13], v[16:17]
	v_mov_b32_e32 v16, 0
	s_and_b64 s[10:11], s[0:1], vcc
	s_and_saveexec_b64 s[14:15], s[10:11]
	s_cbranch_execz .LBB1875_6
; %bb.5:                                ;   in Loop: Header=BB1875_4 Depth=1
	v_mov_b32_e32 v17, s7
	v_add_co_u32_e32 v16, vcc, s6, v14
	v_addc_co_u32_e32 v17, vcc, v15, v17, vcc
	flat_load_dword v16, v[16:17]
.LBB1875_6:                             ;   in Loop: Header=BB1875_4 Depth=1
	s_or_b64 exec, exec, s[14:15]
	v_mov_b32_e32 v18, s9
	v_add_co_u32_e32 v17, vcc, s8, v0
	v_addc_co_u32_e32 v18, vcc, 0, v18, vcc
	v_cmp_gt_i64_e32 vcc, s[12:13], v[17:18]
	s_waitcnt vmcnt(0) lgkmcnt(0)
	ds_write_b32 v5, v16
	s_and_b64 s[14:15], s[2:3], vcc
	v_mov_b32_e32 v16, 0
	s_and_saveexec_b64 s[16:17], s[14:15]
	s_cbranch_execz .LBB1875_8
; %bb.7:                                ;   in Loop: Header=BB1875_4 Depth=1
	v_mov_b32_e32 v17, s7
	v_add_co_u32_e32 v16, vcc, s6, v10
	v_addc_co_u32_e32 v17, vcc, v11, v17, vcc
	flat_load_dword v16, v[16:17]
.LBB1875_8:                             ;   in Loop: Header=BB1875_4 Depth=1
	s_or_b64 exec, exec, s[16:17]
	s_waitcnt vmcnt(0) lgkmcnt(0)
	ds_write_b32 v7, v16
	s_waitcnt lgkmcnt(0)
	s_barrier
	s_and_saveexec_b64 s[16:17], s[4:5]
	s_cbranch_execz .LBB1875_10
; %bb.9:                                ;   in Loop: Header=BB1875_4 Depth=1
	flat_load_dword v38, v[2:3]
	ds_read2_b32 v[32:33], v6 offset1:32
	ds_read_b128 v[16:19], v4
	ds_read_b128 v[20:23], v4 offset:16
	ds_read2_b32 v[34:35], v6 offset0:64 offset1:96
	ds_read_b128 v[24:27], v4 offset:32
	ds_read_b128 v[28:31], v4 offset:48
	ds_read2_b32 v[36:37], v6 offset0:128 offset1:160
	s_waitcnt lgkmcnt(0)
	v_fma_f32 v32, v16, v32, 0
	v_fmac_f32_e32 v32, v17, v33
	ds_read2_b32 v[16:17], v6 offset0:192 offset1:224
	v_fmac_f32_e32 v32, v18, v34
	v_fmac_f32_e32 v32, v19, v35
	;; [unrolled: 1-line block ×3, first 2 shown]
	v_add_u32_e32 v33, 0x400, v6
	ds_read2_b32 v[18:19], v33 offset1:32
	v_fmac_f32_e32 v32, v21, v37
	s_waitcnt lgkmcnt(0)
	v_fmac_f32_e32 v32, v22, v16
	v_fmac_f32_e32 v32, v23, v17
	ds_read2_b32 v[16:17], v33 offset0:64 offset1:96
	ds_read2_b32 v[20:21], v33 offset0:128 offset1:160
	v_fmac_f32_e32 v32, v24, v18
	v_fmac_f32_e32 v32, v25, v19
	ds_read2_b32 v[22:23], v33 offset0:192 offset1:224
	s_waitcnt lgkmcnt(0)
	v_fmac_f32_e32 v32, v26, v16
	v_fmac_f32_e32 v32, v27, v17
	;; [unrolled: 1-line block ×5, first 2 shown]
	v_add_u32_e32 v30, 0x800, v6
	ds_read_b128 v[16:19], v4 offset:64
	ds_read2_b32 v[24:25], v30 offset1:32
	v_fmac_f32_e32 v32, v31, v23
	ds_read2_b32 v[26:27], v30 offset0:64 offset1:96
	ds_read_b128 v[20:23], v4 offset:80
	ds_read2_b32 v[28:29], v30 offset0:128 offset1:160
	s_waitcnt lgkmcnt(0)
	v_fmac_f32_e32 v32, v16, v24
	v_fmac_f32_e32 v32, v17, v25
	ds_read2_b32 v[24:25], v30 offset0:192 offset1:224
	v_fmac_f32_e32 v32, v18, v26
	v_fmac_f32_e32 v32, v19, v27
	v_add_u32_e32 v30, 0xc00, v6
	v_fmac_f32_e32 v32, v20, v28
	ds_read_b128 v[16:19], v4 offset:96
	ds_read2_b32 v[26:27], v30 offset1:32
	v_fmac_f32_e32 v32, v21, v29
	s_waitcnt lgkmcnt(0)
	v_fmac_f32_e32 v32, v22, v24
	v_fmac_f32_e32 v32, v23, v25
	ds_read2_b32 v[24:25], v30 offset0:64 offset1:96
	ds_read_b128 v[20:23], v4 offset:112
	ds_read2_b32 v[28:29], v30 offset0:128 offset1:160
	v_fmac_f32_e32 v32, v16, v26
	v_fmac_f32_e32 v32, v17, v27
	ds_read2_b32 v[16:17], v30 offset0:192 offset1:224
	s_waitcnt lgkmcnt(0)
	v_fmac_f32_e32 v32, v18, v24
	v_fmac_f32_e32 v32, v19, v25
	;; [unrolled: 1-line block ×6, first 2 shown]
	s_waitcnt vmcnt(0)
	v_fmac_f32_e32 v38, s33, v32
	flat_store_dword v[2:3], v38
.LBB1875_10:                            ;   in Loop: Header=BB1875_4 Depth=1
	s_or_b64 exec, exec, s[16:17]
	v_mov_b32_e32 v16, 0
	v_mov_b32_e32 v17, 0
	s_waitcnt vmcnt(0) lgkmcnt(0)
	s_barrier
	s_and_saveexec_b64 s[16:17], s[10:11]
	s_cbranch_execz .LBB1875_12
; %bb.11:                               ;   in Loop: Header=BB1875_4 Depth=1
	v_mov_b32_e32 v18, s7
	v_add_co_u32_e32 v17, vcc, s6, v12
	v_addc_co_u32_e32 v18, vcc, v13, v18, vcc
	flat_load_dword v17, v[17:18]
.LBB1875_12:                            ;   in Loop: Header=BB1875_4 Depth=1
	s_or_b64 exec, exec, s[16:17]
	s_waitcnt vmcnt(0) lgkmcnt(0)
	ds_write_b32 v5, v17
	s_and_saveexec_b64 s[10:11], s[14:15]
	s_cbranch_execz .LBB1875_14
; %bb.13:                               ;   in Loop: Header=BB1875_4 Depth=1
	v_mov_b32_e32 v17, s7
	v_add_co_u32_e32 v16, vcc, s6, v8
	v_addc_co_u32_e32 v17, vcc, v9, v17, vcc
	flat_load_dword v16, v[16:17]
.LBB1875_14:                            ;   in Loop: Header=BB1875_4 Depth=1
	s_or_b64 exec, exec, s[10:11]
	s_waitcnt vmcnt(0) lgkmcnt(0)
	ds_write_b32 v7, v16
	s_waitcnt lgkmcnt(0)
	s_barrier
	s_and_saveexec_b64 s[10:11], s[4:5]
	s_cbranch_execz .LBB1875_3
; %bb.15:                               ;   in Loop: Header=BB1875_4 Depth=1
	flat_load_dword v38, v[2:3]
	ds_read2_b32 v[32:33], v6 offset1:32
	ds_read_b128 v[16:19], v4
	ds_read_b128 v[20:23], v4 offset:16
	ds_read2_b32 v[34:35], v6 offset0:64 offset1:96
	ds_read_b128 v[24:27], v4 offset:32
	ds_read_b128 v[28:31], v4 offset:48
	ds_read2_b32 v[36:37], v6 offset0:128 offset1:160
	s_waitcnt lgkmcnt(0)
	v_fma_f32 v32, v16, v32, 0
	v_fmac_f32_e32 v32, v17, v33
	ds_read2_b32 v[16:17], v6 offset0:192 offset1:224
	v_fmac_f32_e32 v32, v18, v34
	v_fmac_f32_e32 v32, v19, v35
	;; [unrolled: 1-line block ×3, first 2 shown]
	v_add_u32_e32 v33, 0x400, v6
	ds_read2_b32 v[18:19], v33 offset1:32
	v_fmac_f32_e32 v32, v21, v37
	s_waitcnt lgkmcnt(0)
	v_fmac_f32_e32 v32, v22, v16
	v_fmac_f32_e32 v32, v23, v17
	ds_read2_b32 v[16:17], v33 offset0:64 offset1:96
	ds_read2_b32 v[20:21], v33 offset0:128 offset1:160
	v_fmac_f32_e32 v32, v24, v18
	v_fmac_f32_e32 v32, v25, v19
	ds_read2_b32 v[22:23], v33 offset0:192 offset1:224
	s_waitcnt lgkmcnt(0)
	v_fmac_f32_e32 v32, v26, v16
	v_fmac_f32_e32 v32, v27, v17
	;; [unrolled: 1-line block ×5, first 2 shown]
	v_add_u32_e32 v30, 0x800, v6
	ds_read_b128 v[16:19], v4 offset:64
	ds_read2_b32 v[24:25], v30 offset1:32
	v_fmac_f32_e32 v32, v31, v23
	ds_read2_b32 v[26:27], v30 offset0:64 offset1:96
	ds_read_b128 v[20:23], v4 offset:80
	ds_read2_b32 v[28:29], v30 offset0:128 offset1:160
	s_waitcnt lgkmcnt(0)
	v_fmac_f32_e32 v32, v16, v24
	v_fmac_f32_e32 v32, v17, v25
	ds_read2_b32 v[24:25], v30 offset0:192 offset1:224
	v_fmac_f32_e32 v32, v18, v26
	v_fmac_f32_e32 v32, v19, v27
	v_add_u32_e32 v30, 0xc00, v6
	v_fmac_f32_e32 v32, v20, v28
	ds_read_b128 v[16:19], v4 offset:96
	ds_read2_b32 v[26:27], v30 offset1:32
	v_fmac_f32_e32 v32, v21, v29
	s_waitcnt lgkmcnt(0)
	v_fmac_f32_e32 v32, v22, v24
	v_fmac_f32_e32 v32, v23, v25
	ds_read2_b32 v[24:25], v30 offset0:64 offset1:96
	ds_read_b128 v[20:23], v4 offset:112
	ds_read2_b32 v[28:29], v30 offset0:128 offset1:160
	v_fmac_f32_e32 v32, v16, v26
	v_fmac_f32_e32 v32, v17, v27
	ds_read2_b32 v[16:17], v30 offset0:192 offset1:224
	s_waitcnt lgkmcnt(0)
	v_fmac_f32_e32 v32, v18, v24
	v_fmac_f32_e32 v32, v19, v25
	;; [unrolled: 1-line block ×6, first 2 shown]
	s_waitcnt vmcnt(0)
	v_fmac_f32_e32 v38, s33, v32
	flat_store_dword v[2:3], v38
	s_branch .LBB1875_3
.LBB1875_16:
	s_endpgm
	.section	.rodata,"a",@progbits
	.p2align	6, 0x0
	.amdhsa_kernel _ZL26rocblas_syr2k_her2k_kernelIlLb1ELb0ELb1ELi32EPKfPKS1_PKPfEvbiT_T4_T5_S7_lS9_S7_lT6_S7_li
		.amdhsa_group_segment_fixed_size 8192
		.amdhsa_private_segment_fixed_size 0
		.amdhsa_kernarg_size 100
		.amdhsa_user_sgpr_count 6
		.amdhsa_user_sgpr_private_segment_buffer 1
		.amdhsa_user_sgpr_dispatch_ptr 0
		.amdhsa_user_sgpr_queue_ptr 0
		.amdhsa_user_sgpr_kernarg_segment_ptr 1
		.amdhsa_user_sgpr_dispatch_id 0
		.amdhsa_user_sgpr_flat_scratch_init 0
		.amdhsa_user_sgpr_private_segment_size 0
		.amdhsa_uses_dynamic_stack 0
		.amdhsa_system_sgpr_private_segment_wavefront_offset 0
		.amdhsa_system_sgpr_workgroup_id_x 1
		.amdhsa_system_sgpr_workgroup_id_y 1
		.amdhsa_system_sgpr_workgroup_id_z 1
		.amdhsa_system_sgpr_workgroup_info 0
		.amdhsa_system_vgpr_workitem_id 1
		.amdhsa_next_free_vgpr 39
		.amdhsa_next_free_sgpr 61
		.amdhsa_reserve_vcc 1
		.amdhsa_reserve_flat_scratch 0
		.amdhsa_float_round_mode_32 0
		.amdhsa_float_round_mode_16_64 0
		.amdhsa_float_denorm_mode_32 3
		.amdhsa_float_denorm_mode_16_64 3
		.amdhsa_dx10_clamp 1
		.amdhsa_ieee_mode 1
		.amdhsa_fp16_overflow 0
		.amdhsa_exception_fp_ieee_invalid_op 0
		.amdhsa_exception_fp_denorm_src 0
		.amdhsa_exception_fp_ieee_div_zero 0
		.amdhsa_exception_fp_ieee_overflow 0
		.amdhsa_exception_fp_ieee_underflow 0
		.amdhsa_exception_fp_ieee_inexact 0
		.amdhsa_exception_int_div_zero 0
	.end_amdhsa_kernel
	.section	.text._ZL26rocblas_syr2k_her2k_kernelIlLb1ELb0ELb1ELi32EPKfPKS1_PKPfEvbiT_T4_T5_S7_lS9_S7_lT6_S7_li,"axG",@progbits,_ZL26rocblas_syr2k_her2k_kernelIlLb1ELb0ELb1ELi32EPKfPKS1_PKPfEvbiT_T4_T5_S7_lS9_S7_lT6_S7_li,comdat
.Lfunc_end1875:
	.size	_ZL26rocblas_syr2k_her2k_kernelIlLb1ELb0ELb1ELi32EPKfPKS1_PKPfEvbiT_T4_T5_S7_lS9_S7_lT6_S7_li, .Lfunc_end1875-_ZL26rocblas_syr2k_her2k_kernelIlLb1ELb0ELb1ELi32EPKfPKS1_PKPfEvbiT_T4_T5_S7_lS9_S7_lT6_S7_li
                                        ; -- End function
	.set _ZL26rocblas_syr2k_her2k_kernelIlLb1ELb0ELb1ELi32EPKfPKS1_PKPfEvbiT_T4_T5_S7_lS9_S7_lT6_S7_li.num_vgpr, 39
	.set _ZL26rocblas_syr2k_her2k_kernelIlLb1ELb0ELb1ELi32EPKfPKS1_PKPfEvbiT_T4_T5_S7_lS9_S7_lT6_S7_li.num_agpr, 0
	.set _ZL26rocblas_syr2k_her2k_kernelIlLb1ELb0ELb1ELi32EPKfPKS1_PKPfEvbiT_T4_T5_S7_lS9_S7_lT6_S7_li.numbered_sgpr, 34
	.set _ZL26rocblas_syr2k_her2k_kernelIlLb1ELb0ELb1ELi32EPKfPKS1_PKPfEvbiT_T4_T5_S7_lS9_S7_lT6_S7_li.num_named_barrier, 0
	.set _ZL26rocblas_syr2k_her2k_kernelIlLb1ELb0ELb1ELi32EPKfPKS1_PKPfEvbiT_T4_T5_S7_lS9_S7_lT6_S7_li.private_seg_size, 0
	.set _ZL26rocblas_syr2k_her2k_kernelIlLb1ELb0ELb1ELi32EPKfPKS1_PKPfEvbiT_T4_T5_S7_lS9_S7_lT6_S7_li.uses_vcc, 1
	.set _ZL26rocblas_syr2k_her2k_kernelIlLb1ELb0ELb1ELi32EPKfPKS1_PKPfEvbiT_T4_T5_S7_lS9_S7_lT6_S7_li.uses_flat_scratch, 0
	.set _ZL26rocblas_syr2k_her2k_kernelIlLb1ELb0ELb1ELi32EPKfPKS1_PKPfEvbiT_T4_T5_S7_lS9_S7_lT6_S7_li.has_dyn_sized_stack, 0
	.set _ZL26rocblas_syr2k_her2k_kernelIlLb1ELb0ELb1ELi32EPKfPKS1_PKPfEvbiT_T4_T5_S7_lS9_S7_lT6_S7_li.has_recursion, 0
	.set _ZL26rocblas_syr2k_her2k_kernelIlLb1ELb0ELb1ELi32EPKfPKS1_PKPfEvbiT_T4_T5_S7_lS9_S7_lT6_S7_li.has_indirect_call, 0
	.section	.AMDGPU.csdata,"",@progbits
; Kernel info:
; codeLenInByte = 1752
; TotalNumSgprs: 38
; NumVgprs: 39
; ScratchSize: 0
; MemoryBound: 0
; FloatMode: 240
; IeeeMode: 1
; LDSByteSize: 8192 bytes/workgroup (compile time only)
; SGPRBlocks: 8
; VGPRBlocks: 9
; NumSGPRsForWavesPerEU: 65
; NumVGPRsForWavesPerEU: 39
; Occupancy: 6
; WaveLimiterHint : 1
; COMPUTE_PGM_RSRC2:SCRATCH_EN: 0
; COMPUTE_PGM_RSRC2:USER_SGPR: 6
; COMPUTE_PGM_RSRC2:TRAP_HANDLER: 0
; COMPUTE_PGM_RSRC2:TGID_X_EN: 1
; COMPUTE_PGM_RSRC2:TGID_Y_EN: 1
; COMPUTE_PGM_RSRC2:TGID_Z_EN: 1
; COMPUTE_PGM_RSRC2:TIDIG_COMP_CNT: 1
	.section	.text._ZL26rocblas_syr2k_her2k_kernelIlLb1ELb0ELb0ELi32EdPKPKdPKPdEvbiT_T4_T5_S7_lS9_S7_lT6_S7_li,"axG",@progbits,_ZL26rocblas_syr2k_her2k_kernelIlLb1ELb0ELb0ELi32EdPKPKdPKPdEvbiT_T4_T5_S7_lS9_S7_lT6_S7_li,comdat
	.globl	_ZL26rocblas_syr2k_her2k_kernelIlLb1ELb0ELb0ELi32EdPKPKdPKPdEvbiT_T4_T5_S7_lS9_S7_lT6_S7_li ; -- Begin function _ZL26rocblas_syr2k_her2k_kernelIlLb1ELb0ELb0ELi32EdPKPKdPKPdEvbiT_T4_T5_S7_lS9_S7_lT6_S7_li
	.p2align	8
	.type	_ZL26rocblas_syr2k_her2k_kernelIlLb1ELb0ELb0ELi32EdPKPKdPKPdEvbiT_T4_T5_S7_lS9_S7_lT6_S7_li,@function
_ZL26rocblas_syr2k_her2k_kernelIlLb1ELb0ELb0ELi32EdPKPKdPKPdEvbiT_T4_T5_S7_lS9_S7_lT6_S7_li: ; @_ZL26rocblas_syr2k_her2k_kernelIlLb1ELb0ELb0ELi32EdPKPKdPKPdEvbiT_T4_T5_S7_lS9_S7_lT6_S7_li
; %bb.0:
	s_load_dwordx16 s[12:27], s[4:5], 0x8
	s_waitcnt lgkmcnt(0)
	v_cmp_eq_f64_e64 s[0:1], s[14:15], 0
	s_and_b64 vcc, exec, s[0:1]
	s_cbranch_vccnz .LBB1876_16
; %bb.1:
	s_load_dwordx2 s[10:11], s[4:5], 0x0
	s_lshl_b32 s2, s7, 5
	s_lshl_b32 s3, s6, 5
	s_waitcnt lgkmcnt(0)
	s_and_b32 s0, 1, s10
	s_cmp_eq_u32 s0, 1
	s_cselect_b64 s[0:1], -1, 0
	s_and_b64 s[6:7], s[0:1], exec
	s_cselect_b32 s6, s3, s2
	s_cselect_b32 s7, s2, s3
	s_cmp_gt_i32 s6, s7
	v_cmp_lt_i64_e64 s[6:7], s[12:13], 1
	s_cselect_b64 s[28:29], -1, 0
	s_or_b64 s[6:7], s[28:29], s[6:7]
	s_and_b64 vcc, exec, s[6:7]
	s_cbranch_vccnz .LBB1876_16
; %bb.2:
	s_mov_b32 s9, 0
	s_load_dwordx4 s[28:31], s[4:5], 0x48
	s_load_dwordx2 s[6:7], s[4:5], 0x58
	s_lshl_b64 s[4:5], s[8:9], 3
	s_add_u32 s8, s16, s4
	s_addc_u32 s9, s17, s5
	s_add_u32 s16, s22, s4
	s_addc_u32 s17, s23, s5
	s_waitcnt lgkmcnt(0)
	s_add_u32 s4, s28, s4
	s_addc_u32 s5, s29, s5
	s_load_dwordx2 s[22:23], s[4:5], 0x0
	s_load_dwordx2 s[28:29], s[8:9], 0x0
	;; [unrolled: 1-line block ×3, first 2 shown]
	s_lshl_b64 s[4:5], s[6:7], 3
	v_add_u32_e32 v4, s2, v1
	s_waitcnt lgkmcnt(0)
	s_add_u32 s8, s22, s4
	s_addc_u32 s6, s23, s5
	s_lshl_b64 s[4:5], s[26:27], 3
	s_add_u32 s22, s34, s4
	s_addc_u32 s23, s35, s5
	s_lshl_b64 s[4:5], s[20:21], 3
	v_lshlrev_b32_e32 v8, 8, v0
	v_lshlrev_b32_e32 v2, 3, v1
	s_add_u32 s26, s28, s4
	v_add_u32_e32 v9, v8, v2
	v_or_b32_e32 v10, 0x2000, v2
	v_ashrrev_i32_e32 v2, 31, v4
	s_addc_u32 s27, s29, s5
	v_mul_lo_u32 v15, s30, v2
	v_mul_lo_u32 v16, s31, v4
	v_mad_u64_u32 v[2:3], s[4:5], s30, v4, 0
	v_add_u32_e32 v6, s3, v0
	v_max_i32_e32 v14, v6, v4
	v_add3_u32 v3, v3, v15, v16
	v_cndmask_b32_e64 v12, v6, v4, s[0:1]
	v_cndmask_b32_e64 v13, v4, v6, s[0:1]
	v_cmp_gt_i32_e32 vcc, s11, v14
	v_lshlrev_b64 v[2:3], 3, v[2:3]
	v_mov_b32_e32 v16, s6
	v_mad_u64_u32 v[14:15], s[6:7], s18, v0, 0
	v_cmp_le_i32_e64 s[4:5], v13, v12
	s_and_b64 s[4:5], s[4:5], vcc
	v_ashrrev_i32_e32 v13, 31, v6
	v_mov_b32_e32 v12, v6
	v_add_co_u32_e32 v17, vcc, s8, v2
	v_addc_co_u32_e32 v16, vcc, v16, v3, vcc
	v_lshlrev_b64 v[2:3], 3, v[12:13]
	v_mov_b32_e32 v12, v15
	v_mad_u64_u32 v[12:13], s[6:7], s19, v0, v[12:13]
	v_add_co_u32_e32 v2, vcc, v17, v2
	v_addc_co_u32_e32 v3, vcc, v16, v3, vcc
	v_mad_u64_u32 v[16:17], s[6:7], s24, v0, 0
	v_mov_b32_e32 v15, v12
	v_lshlrev_b64 v[12:13], 3, v[14:15]
	v_mov_b32_e32 v14, v17
	v_mad_u64_u32 v[14:15], s[6:7], s25, v0, v[14:15]
	v_mov_b32_e32 v7, 0
	s_ashr_i32 s3, s11, 31
	s_mov_b32 s2, s11
	v_mov_b32_e32 v5, v7
	v_mov_b32_e32 v17, v14
	v_cmp_gt_i64_e64 s[0:1], s[2:3], v[6:7]
	v_cmp_gt_i64_e64 s[2:3], s[2:3], v[4:5]
	v_lshlrev_b64 v[4:5], 3, v[4:5]
	v_lshlrev_b64 v[14:15], 3, v[16:17]
	v_mad_u64_u32 v[16:17], s[8:9], s24, v1, 0
	v_add_co_u32_e32 v12, vcc, v12, v4
	v_addc_co_u32_e32 v13, vcc, v13, v5, vcc
	v_add_co_u32_e32 v14, vcc, v14, v4
	v_mov_b32_e32 v4, v17
	v_addc_co_u32_e32 v15, vcc, v15, v5, vcc
	v_mad_u64_u32 v[4:5], s[8:9], s25, v1, v[4:5]
	v_mad_u64_u32 v[18:19], s[10:11], s18, v1, 0
	v_mov_b32_e32 v17, v4
	v_lshlrev_b64 v[4:5], 3, v[16:17]
	v_mov_b32_e32 v16, v19
	v_mad_u64_u32 v[19:20], s[10:11], s19, v1, v[16:17]
	v_lshlrev_b64 v[6:7], 3, v[6:7]
	v_add_u32_e32 v11, v10, v8
	v_add_co_u32_e32 v16, vcc, v4, v6
	v_addc_co_u32_e32 v17, vcc, v5, v7, vcc
	v_lshlrev_b64 v[4:5], 3, v[18:19]
	s_lshl_b64 s[6:7], s[18:19], 8
	v_add_co_u32_e32 v18, vcc, v4, v6
	s_lshl_b64 s[8:9], s[24:25], 8
	v_addc_co_u32_e32 v19, vcc, v5, v7, vcc
	s_mov_b64 s[10:11], 0
	s_branch .LBB1876_4
.LBB1876_3:                             ;   in Loop: Header=BB1876_4 Depth=1
	s_or_b64 exec, exec, s[16:17]
	s_add_u32 s10, s10, 32
	s_addc_u32 s11, s11, 0
	v_mov_b32_e32 v4, s12
	s_add_u32 s26, s26, s6
	v_mov_b32_e32 v5, s13
	s_addc_u32 s27, s27, s7
	v_cmp_lt_i64_e32 vcc, s[10:11], v[4:5]
	s_add_u32 s22, s22, s8
	s_addc_u32 s23, s23, s9
	s_waitcnt vmcnt(0) lgkmcnt(0)
	s_barrier
	s_cbranch_vccz .LBB1876_16
.LBB1876_4:                             ; =>This Inner Loop Header: Depth=1
	v_mov_b32_e32 v5, s11
	v_add_co_u32_e32 v4, vcc, s10, v1
	v_addc_co_u32_e32 v5, vcc, 0, v5, vcc
	v_cmp_gt_i64_e32 vcc, s[12:13], v[4:5]
	v_mov_b32_e32 v4, 0
	v_mov_b32_e32 v6, 0
	;; [unrolled: 1-line block ×4, first 2 shown]
	s_and_b64 s[16:17], s[0:1], vcc
	s_and_saveexec_b64 s[18:19], s[16:17]
	s_cbranch_execz .LBB1876_6
; %bb.5:                                ;   in Loop: Header=BB1876_4 Depth=1
	v_mov_b32_e32 v7, s27
	v_add_co_u32_e32 v6, vcc, s26, v18
	v_addc_co_u32_e32 v7, vcc, v7, v19, vcc
	flat_load_dwordx2 v[6:7], v[6:7]
.LBB1876_6:                             ;   in Loop: Header=BB1876_4 Depth=1
	s_or_b64 exec, exec, s[18:19]
	v_mov_b32_e32 v21, s11
	v_add_co_u32_e32 v20, vcc, s10, v0
	v_addc_co_u32_e32 v21, vcc, 0, v21, vcc
	v_cmp_gt_i64_e32 vcc, s[12:13], v[20:21]
	s_waitcnt vmcnt(0) lgkmcnt(0)
	ds_write_b64 v9, v[6:7]
	s_and_b64 s[18:19], s[2:3], vcc
	s_and_saveexec_b64 s[20:21], s[18:19]
	s_cbranch_execz .LBB1876_8
; %bb.7:                                ;   in Loop: Header=BB1876_4 Depth=1
	v_mov_b32_e32 v5, s23
	v_add_co_u32_e32 v4, vcc, s22, v14
	v_addc_co_u32_e32 v5, vcc, v5, v15, vcc
	flat_load_dwordx2 v[4:5], v[4:5]
.LBB1876_8:                             ;   in Loop: Header=BB1876_4 Depth=1
	s_or_b64 exec, exec, s[20:21]
	s_waitcnt vmcnt(0) lgkmcnt(0)
	ds_write_b64 v11, v[4:5]
	s_waitcnt lgkmcnt(0)
	s_barrier
	s_and_saveexec_b64 s[20:21], s[4:5]
	s_cbranch_execz .LBB1876_10
; %bb.9:                                ;   in Loop: Header=BB1876_4 Depth=1
	ds_read2_b64 v[4:7], v10 offset1:32
	ds_read_b128 v[20:23], v8
	v_add_u32_e32 v26, 0x800, v10
	v_add_u32_e32 v28, 0x1800, v10
	s_waitcnt lgkmcnt(0)
	v_fma_f64 v[4:5], v[20:21], v[4:5], 0
	v_fma_f64 v[24:25], v[22:23], v[6:7], v[4:5]
	ds_read_b128 v[4:7], v8 offset:16
	ds_read2_b64 v[20:23], v10 offset0:64 offset1:96
	s_waitcnt lgkmcnt(0)
	v_fma_f64 v[4:5], v[4:5], v[20:21], v[24:25]
	v_fma_f64 v[24:25], v[6:7], v[22:23], v[4:5]
	ds_read2_b64 v[4:7], v10 offset0:128 offset1:160
	ds_read_b128 v[20:23], v8 offset:32
	s_waitcnt lgkmcnt(0)
	v_fma_f64 v[4:5], v[20:21], v[4:5], v[24:25]
	v_fma_f64 v[24:25], v[22:23], v[6:7], v[4:5]
	ds_read_b128 v[4:7], v8 offset:48
	ds_read2_b64 v[20:23], v10 offset0:192 offset1:224
	s_waitcnt lgkmcnt(0)
	v_fma_f64 v[4:5], v[4:5], v[20:21], v[24:25]
	v_fma_f64 v[24:25], v[6:7], v[22:23], v[4:5]
	ds_read_b128 v[4:7], v8 offset:64
	ds_read2_b64 v[20:23], v26 offset1:32
	s_waitcnt lgkmcnt(0)
	v_fma_f64 v[4:5], v[4:5], v[20:21], v[24:25]
	v_fma_f64 v[24:25], v[6:7], v[22:23], v[4:5]
	ds_read_b128 v[4:7], v8 offset:80
	ds_read2_b64 v[20:23], v26 offset0:64 offset1:96
	s_waitcnt lgkmcnt(0)
	v_fma_f64 v[4:5], v[4:5], v[20:21], v[24:25]
	v_fma_f64 v[24:25], v[6:7], v[22:23], v[4:5]
	ds_read_b128 v[4:7], v8 offset:96
	ds_read2_b64 v[20:23], v26 offset0:128 offset1:160
	;; [unrolled: 5-line block ×3, first 2 shown]
	v_add_u32_e32 v26, 0x1000, v10
	s_waitcnt lgkmcnt(0)
	v_fma_f64 v[4:5], v[4:5], v[20:21], v[24:25]
	v_fma_f64 v[24:25], v[6:7], v[22:23], v[4:5]
	ds_read_b128 v[4:7], v8 offset:128
	ds_read2_b64 v[20:23], v26 offset1:32
	s_waitcnt lgkmcnt(0)
	v_fma_f64 v[4:5], v[4:5], v[20:21], v[24:25]
	v_fma_f64 v[24:25], v[6:7], v[22:23], v[4:5]
	ds_read_b128 v[4:7], v8 offset:144
	ds_read2_b64 v[20:23], v26 offset0:64 offset1:96
	s_waitcnt lgkmcnt(0)
	v_fma_f64 v[4:5], v[4:5], v[20:21], v[24:25]
	v_fma_f64 v[24:25], v[6:7], v[22:23], v[4:5]
	ds_read_b128 v[4:7], v8 offset:160
	ds_read2_b64 v[20:23], v26 offset0:128 offset1:160
	;; [unrolled: 5-line block ×3, first 2 shown]
	s_waitcnt lgkmcnt(0)
	v_fma_f64 v[4:5], v[4:5], v[20:21], v[24:25]
	flat_load_dwordx2 v[24:25], v[2:3]
	v_fma_f64 v[26:27], v[6:7], v[22:23], v[4:5]
	ds_read2_b64 v[4:7], v28 offset1:32
	ds_read_b128 v[20:23], v8 offset:192
	s_waitcnt lgkmcnt(0)
	v_fma_f64 v[4:5], v[20:21], v[4:5], v[26:27]
	v_fma_f64 v[26:27], v[22:23], v[6:7], v[4:5]
	ds_read_b128 v[4:7], v8 offset:208
	ds_read2_b64 v[20:23], v28 offset0:64 offset1:96
	s_waitcnt lgkmcnt(0)
	v_fma_f64 v[4:5], v[4:5], v[20:21], v[26:27]
	v_fma_f64 v[26:27], v[6:7], v[22:23], v[4:5]
	ds_read2_b64 v[4:7], v28 offset0:128 offset1:160
	ds_read_b128 v[20:23], v8 offset:224
	s_waitcnt lgkmcnt(0)
	v_fma_f64 v[4:5], v[20:21], v[4:5], v[26:27]
	v_fma_f64 v[26:27], v[22:23], v[6:7], v[4:5]
	ds_read_b128 v[4:7], v8 offset:240
	ds_read2_b64 v[20:23], v28 offset0:192 offset1:224
	s_waitcnt lgkmcnt(0)
	v_fma_f64 v[4:5], v[4:5], v[20:21], v[26:27]
	v_fma_f64 v[4:5], v[6:7], v[22:23], v[4:5]
	s_waitcnt vmcnt(0)
	v_fma_f64 v[4:5], s[14:15], v[4:5], v[24:25]
	flat_store_dwordx2 v[2:3], v[4:5]
.LBB1876_10:                            ;   in Loop: Header=BB1876_4 Depth=1
	s_or_b64 exec, exec, s[20:21]
	v_mov_b32_e32 v4, 0
	v_mov_b32_e32 v6, 0
	;; [unrolled: 1-line block ×4, first 2 shown]
	s_waitcnt vmcnt(0) lgkmcnt(0)
	s_barrier
	s_and_saveexec_b64 s[20:21], s[16:17]
	s_cbranch_execz .LBB1876_12
; %bb.11:                               ;   in Loop: Header=BB1876_4 Depth=1
	v_mov_b32_e32 v7, s23
	v_add_co_u32_e32 v6, vcc, s22, v16
	v_addc_co_u32_e32 v7, vcc, v7, v17, vcc
	flat_load_dwordx2 v[6:7], v[6:7]
.LBB1876_12:                            ;   in Loop: Header=BB1876_4 Depth=1
	s_or_b64 exec, exec, s[20:21]
	s_waitcnt vmcnt(0) lgkmcnt(0)
	ds_write_b64 v9, v[6:7]
	s_and_saveexec_b64 s[16:17], s[18:19]
	s_cbranch_execz .LBB1876_14
; %bb.13:                               ;   in Loop: Header=BB1876_4 Depth=1
	v_mov_b32_e32 v5, s27
	v_add_co_u32_e32 v4, vcc, s26, v12
	v_addc_co_u32_e32 v5, vcc, v5, v13, vcc
	flat_load_dwordx2 v[4:5], v[4:5]
.LBB1876_14:                            ;   in Loop: Header=BB1876_4 Depth=1
	s_or_b64 exec, exec, s[16:17]
	s_waitcnt vmcnt(0) lgkmcnt(0)
	ds_write_b64 v11, v[4:5]
	s_waitcnt lgkmcnt(0)
	s_barrier
	s_and_saveexec_b64 s[16:17], s[4:5]
	s_cbranch_execz .LBB1876_3
; %bb.15:                               ;   in Loop: Header=BB1876_4 Depth=1
	ds_read2_b64 v[4:7], v10 offset1:32
	ds_read_b128 v[20:23], v8
	v_add_u32_e32 v26, 0x800, v10
	v_add_u32_e32 v28, 0x1800, v10
	s_waitcnt lgkmcnt(0)
	v_fma_f64 v[4:5], v[20:21], v[4:5], 0
	v_fma_f64 v[24:25], v[22:23], v[6:7], v[4:5]
	ds_read_b128 v[4:7], v8 offset:16
	ds_read2_b64 v[20:23], v10 offset0:64 offset1:96
	s_waitcnt lgkmcnt(0)
	v_fma_f64 v[4:5], v[4:5], v[20:21], v[24:25]
	v_fma_f64 v[24:25], v[6:7], v[22:23], v[4:5]
	ds_read2_b64 v[4:7], v10 offset0:128 offset1:160
	ds_read_b128 v[20:23], v8 offset:32
	s_waitcnt lgkmcnt(0)
	v_fma_f64 v[4:5], v[20:21], v[4:5], v[24:25]
	v_fma_f64 v[24:25], v[22:23], v[6:7], v[4:5]
	ds_read_b128 v[4:7], v8 offset:48
	ds_read2_b64 v[20:23], v10 offset0:192 offset1:224
	s_waitcnt lgkmcnt(0)
	v_fma_f64 v[4:5], v[4:5], v[20:21], v[24:25]
	v_fma_f64 v[24:25], v[6:7], v[22:23], v[4:5]
	ds_read_b128 v[4:7], v8 offset:64
	ds_read2_b64 v[20:23], v26 offset1:32
	s_waitcnt lgkmcnt(0)
	v_fma_f64 v[4:5], v[4:5], v[20:21], v[24:25]
	v_fma_f64 v[24:25], v[6:7], v[22:23], v[4:5]
	ds_read_b128 v[4:7], v8 offset:80
	ds_read2_b64 v[20:23], v26 offset0:64 offset1:96
	s_waitcnt lgkmcnt(0)
	v_fma_f64 v[4:5], v[4:5], v[20:21], v[24:25]
	v_fma_f64 v[24:25], v[6:7], v[22:23], v[4:5]
	ds_read_b128 v[4:7], v8 offset:96
	ds_read2_b64 v[20:23], v26 offset0:128 offset1:160
	;; [unrolled: 5-line block ×3, first 2 shown]
	v_add_u32_e32 v26, 0x1000, v10
	s_waitcnt lgkmcnt(0)
	v_fma_f64 v[4:5], v[4:5], v[20:21], v[24:25]
	v_fma_f64 v[24:25], v[6:7], v[22:23], v[4:5]
	ds_read_b128 v[4:7], v8 offset:128
	ds_read2_b64 v[20:23], v26 offset1:32
	s_waitcnt lgkmcnt(0)
	v_fma_f64 v[4:5], v[4:5], v[20:21], v[24:25]
	v_fma_f64 v[24:25], v[6:7], v[22:23], v[4:5]
	ds_read_b128 v[4:7], v8 offset:144
	ds_read2_b64 v[20:23], v26 offset0:64 offset1:96
	s_waitcnt lgkmcnt(0)
	v_fma_f64 v[4:5], v[4:5], v[20:21], v[24:25]
	v_fma_f64 v[24:25], v[6:7], v[22:23], v[4:5]
	ds_read_b128 v[4:7], v8 offset:160
	ds_read2_b64 v[20:23], v26 offset0:128 offset1:160
	;; [unrolled: 5-line block ×3, first 2 shown]
	s_waitcnt lgkmcnt(0)
	v_fma_f64 v[4:5], v[4:5], v[20:21], v[24:25]
	flat_load_dwordx2 v[24:25], v[2:3]
	v_fma_f64 v[26:27], v[6:7], v[22:23], v[4:5]
	ds_read2_b64 v[4:7], v28 offset1:32
	ds_read_b128 v[20:23], v8 offset:192
	s_waitcnt lgkmcnt(0)
	v_fma_f64 v[4:5], v[20:21], v[4:5], v[26:27]
	v_fma_f64 v[26:27], v[22:23], v[6:7], v[4:5]
	ds_read_b128 v[4:7], v8 offset:208
	ds_read2_b64 v[20:23], v28 offset0:64 offset1:96
	s_waitcnt lgkmcnt(0)
	v_fma_f64 v[4:5], v[4:5], v[20:21], v[26:27]
	v_fma_f64 v[26:27], v[6:7], v[22:23], v[4:5]
	ds_read2_b64 v[4:7], v28 offset0:128 offset1:160
	ds_read_b128 v[20:23], v8 offset:224
	s_waitcnt lgkmcnt(0)
	v_fma_f64 v[4:5], v[20:21], v[4:5], v[26:27]
	v_fma_f64 v[26:27], v[22:23], v[6:7], v[4:5]
	ds_read_b128 v[4:7], v8 offset:240
	ds_read2_b64 v[20:23], v28 offset0:192 offset1:224
	s_waitcnt lgkmcnt(0)
	v_fma_f64 v[4:5], v[4:5], v[20:21], v[26:27]
	v_fma_f64 v[4:5], v[6:7], v[22:23], v[4:5]
	s_waitcnt vmcnt(0)
	v_fma_f64 v[4:5], s[14:15], v[4:5], v[24:25]
	flat_store_dwordx2 v[2:3], v[4:5]
	s_branch .LBB1876_3
.LBB1876_16:
	s_endpgm
	.section	.rodata,"a",@progbits
	.p2align	6, 0x0
	.amdhsa_kernel _ZL26rocblas_syr2k_her2k_kernelIlLb1ELb0ELb0ELi32EdPKPKdPKPdEvbiT_T4_T5_S7_lS9_S7_lT6_S7_li
		.amdhsa_group_segment_fixed_size 16384
		.amdhsa_private_segment_fixed_size 0
		.amdhsa_kernarg_size 100
		.amdhsa_user_sgpr_count 6
		.amdhsa_user_sgpr_private_segment_buffer 1
		.amdhsa_user_sgpr_dispatch_ptr 0
		.amdhsa_user_sgpr_queue_ptr 0
		.amdhsa_user_sgpr_kernarg_segment_ptr 1
		.amdhsa_user_sgpr_dispatch_id 0
		.amdhsa_user_sgpr_flat_scratch_init 0
		.amdhsa_user_sgpr_private_segment_size 0
		.amdhsa_uses_dynamic_stack 0
		.amdhsa_system_sgpr_private_segment_wavefront_offset 0
		.amdhsa_system_sgpr_workgroup_id_x 1
		.amdhsa_system_sgpr_workgroup_id_y 1
		.amdhsa_system_sgpr_workgroup_id_z 1
		.amdhsa_system_sgpr_workgroup_info 0
		.amdhsa_system_vgpr_workitem_id 1
		.amdhsa_next_free_vgpr 29
		.amdhsa_next_free_sgpr 61
		.amdhsa_reserve_vcc 1
		.amdhsa_reserve_flat_scratch 0
		.amdhsa_float_round_mode_32 0
		.amdhsa_float_round_mode_16_64 0
		.amdhsa_float_denorm_mode_32 3
		.amdhsa_float_denorm_mode_16_64 3
		.amdhsa_dx10_clamp 1
		.amdhsa_ieee_mode 1
		.amdhsa_fp16_overflow 0
		.amdhsa_exception_fp_ieee_invalid_op 0
		.amdhsa_exception_fp_denorm_src 0
		.amdhsa_exception_fp_ieee_div_zero 0
		.amdhsa_exception_fp_ieee_overflow 0
		.amdhsa_exception_fp_ieee_underflow 0
		.amdhsa_exception_fp_ieee_inexact 0
		.amdhsa_exception_int_div_zero 0
	.end_amdhsa_kernel
	.section	.text._ZL26rocblas_syr2k_her2k_kernelIlLb1ELb0ELb0ELi32EdPKPKdPKPdEvbiT_T4_T5_S7_lS9_S7_lT6_S7_li,"axG",@progbits,_ZL26rocblas_syr2k_her2k_kernelIlLb1ELb0ELb0ELi32EdPKPKdPKPdEvbiT_T4_T5_S7_lS9_S7_lT6_S7_li,comdat
.Lfunc_end1876:
	.size	_ZL26rocblas_syr2k_her2k_kernelIlLb1ELb0ELb0ELi32EdPKPKdPKPdEvbiT_T4_T5_S7_lS9_S7_lT6_S7_li, .Lfunc_end1876-_ZL26rocblas_syr2k_her2k_kernelIlLb1ELb0ELb0ELi32EdPKPKdPKPdEvbiT_T4_T5_S7_lS9_S7_lT6_S7_li
                                        ; -- End function
	.set _ZL26rocblas_syr2k_her2k_kernelIlLb1ELb0ELb0ELi32EdPKPKdPKPdEvbiT_T4_T5_S7_lS9_S7_lT6_S7_li.num_vgpr, 29
	.set _ZL26rocblas_syr2k_her2k_kernelIlLb1ELb0ELb0ELi32EdPKPKdPKPdEvbiT_T4_T5_S7_lS9_S7_lT6_S7_li.num_agpr, 0
	.set _ZL26rocblas_syr2k_her2k_kernelIlLb1ELb0ELb0ELi32EdPKPKdPKPdEvbiT_T4_T5_S7_lS9_S7_lT6_S7_li.numbered_sgpr, 36
	.set _ZL26rocblas_syr2k_her2k_kernelIlLb1ELb0ELb0ELi32EdPKPKdPKPdEvbiT_T4_T5_S7_lS9_S7_lT6_S7_li.num_named_barrier, 0
	.set _ZL26rocblas_syr2k_her2k_kernelIlLb1ELb0ELb0ELi32EdPKPKdPKPdEvbiT_T4_T5_S7_lS9_S7_lT6_S7_li.private_seg_size, 0
	.set _ZL26rocblas_syr2k_her2k_kernelIlLb1ELb0ELb0ELi32EdPKPKdPKPdEvbiT_T4_T5_S7_lS9_S7_lT6_S7_li.uses_vcc, 1
	.set _ZL26rocblas_syr2k_her2k_kernelIlLb1ELb0ELb0ELi32EdPKPKdPKPdEvbiT_T4_T5_S7_lS9_S7_lT6_S7_li.uses_flat_scratch, 0
	.set _ZL26rocblas_syr2k_her2k_kernelIlLb1ELb0ELb0ELi32EdPKPKdPKPdEvbiT_T4_T5_S7_lS9_S7_lT6_S7_li.has_dyn_sized_stack, 0
	.set _ZL26rocblas_syr2k_her2k_kernelIlLb1ELb0ELb0ELi32EdPKPKdPKPdEvbiT_T4_T5_S7_lS9_S7_lT6_S7_li.has_recursion, 0
	.set _ZL26rocblas_syr2k_her2k_kernelIlLb1ELb0ELb0ELi32EdPKPKdPKPdEvbiT_T4_T5_S7_lS9_S7_lT6_S7_li.has_indirect_call, 0
	.section	.AMDGPU.csdata,"",@progbits
; Kernel info:
; codeLenInByte = 2192
; TotalNumSgprs: 40
; NumVgprs: 29
; ScratchSize: 0
; MemoryBound: 0
; FloatMode: 240
; IeeeMode: 1
; LDSByteSize: 16384 bytes/workgroup (compile time only)
; SGPRBlocks: 8
; VGPRBlocks: 7
; NumSGPRsForWavesPerEU: 65
; NumVGPRsForWavesPerEU: 29
; Occupancy: 8
; WaveLimiterHint : 1
; COMPUTE_PGM_RSRC2:SCRATCH_EN: 0
; COMPUTE_PGM_RSRC2:USER_SGPR: 6
; COMPUTE_PGM_RSRC2:TRAP_HANDLER: 0
; COMPUTE_PGM_RSRC2:TGID_X_EN: 1
; COMPUTE_PGM_RSRC2:TGID_Y_EN: 1
; COMPUTE_PGM_RSRC2:TGID_Z_EN: 1
; COMPUTE_PGM_RSRC2:TIDIG_COMP_CNT: 1
	.section	.text._ZL26rocblas_syr2k_her2k_kernelIlLb1ELb0ELb1ELi32EdPKPKdPKPdEvbiT_T4_T5_S7_lS9_S7_lT6_S7_li,"axG",@progbits,_ZL26rocblas_syr2k_her2k_kernelIlLb1ELb0ELb1ELi32EdPKPKdPKPdEvbiT_T4_T5_S7_lS9_S7_lT6_S7_li,comdat
	.globl	_ZL26rocblas_syr2k_her2k_kernelIlLb1ELb0ELb1ELi32EdPKPKdPKPdEvbiT_T4_T5_S7_lS9_S7_lT6_S7_li ; -- Begin function _ZL26rocblas_syr2k_her2k_kernelIlLb1ELb0ELb1ELi32EdPKPKdPKPdEvbiT_T4_T5_S7_lS9_S7_lT6_S7_li
	.p2align	8
	.type	_ZL26rocblas_syr2k_her2k_kernelIlLb1ELb0ELb1ELi32EdPKPKdPKPdEvbiT_T4_T5_S7_lS9_S7_lT6_S7_li,@function
_ZL26rocblas_syr2k_her2k_kernelIlLb1ELb0ELb1ELi32EdPKPKdPKPdEvbiT_T4_T5_S7_lS9_S7_lT6_S7_li: ; @_ZL26rocblas_syr2k_her2k_kernelIlLb1ELb0ELb1ELi32EdPKPKdPKPdEvbiT_T4_T5_S7_lS9_S7_lT6_S7_li
; %bb.0:
	s_load_dwordx16 s[12:27], s[4:5], 0x8
	s_waitcnt lgkmcnt(0)
	v_cmp_eq_f64_e64 s[0:1], s[14:15], 0
	s_and_b64 vcc, exec, s[0:1]
	s_cbranch_vccnz .LBB1877_16
; %bb.1:
	s_load_dwordx2 s[10:11], s[4:5], 0x0
	s_lshl_b32 s2, s7, 5
	s_lshl_b32 s3, s6, 5
	s_waitcnt lgkmcnt(0)
	s_and_b32 s0, 1, s10
	s_cmp_eq_u32 s0, 1
	s_cselect_b64 s[0:1], -1, 0
	s_and_b64 s[6:7], s[0:1], exec
	s_cselect_b32 s6, s3, s2
	s_cselect_b32 s7, s2, s3
	s_cmp_gt_i32 s6, s7
	v_cmp_lt_i64_e64 s[6:7], s[12:13], 1
	s_cselect_b64 s[28:29], -1, 0
	s_or_b64 s[6:7], s[28:29], s[6:7]
	s_and_b64 vcc, exec, s[6:7]
	s_cbranch_vccnz .LBB1877_16
; %bb.2:
	s_mov_b32 s9, 0
	s_load_dwordx4 s[28:31], s[4:5], 0x48
	s_load_dwordx2 s[34:35], s[4:5], 0x58
	s_lshl_b64 s[4:5], s[8:9], 3
	s_add_u32 s16, s16, s4
	s_addc_u32 s17, s17, s5
	s_add_u32 s22, s22, s4
	s_addc_u32 s23, s23, s5
	s_waitcnt lgkmcnt(0)
	s_add_u32 s4, s28, s4
	s_addc_u32 s5, s29, s5
	s_load_dwordx2 s[28:29], s[4:5], 0x0
	s_load_dwordx2 s[6:7], s[16:17], 0x0
	s_load_dwordx2 s[8:9], s[22:23], 0x0
	s_lshl_b64 s[4:5], s[34:35], 3
	v_add_u32_e32 v4, s2, v1
	s_waitcnt lgkmcnt(0)
	s_add_u32 s16, s28, s4
	s_addc_u32 s10, s29, s5
	v_add_u32_e32 v6, s3, v0
	s_ashr_i32 s3, s11, 31
	s_mov_b32 s2, s11
	v_mov_b32_e32 v7, 0
	v_ashrrev_i32_e32 v2, 31, v4
	v_cndmask_b32_e64 v12, v6, v4, s[0:1]
	v_cndmask_b32_e64 v13, v4, v6, s[0:1]
	v_cmp_gt_i64_e64 s[0:1], s[2:3], v[6:7]
	v_mov_b32_e32 v5, v7
	v_mul_lo_u32 v7, s30, v2
	v_mul_lo_u32 v14, s31, v4
	v_mad_u64_u32 v[2:3], s[4:5], s30, v4, 0
	v_cmp_gt_i64_e64 s[2:3], s[2:3], v[4:5]
	v_max_i32_e32 v5, v6, v4
	v_cmp_gt_i32_e32 vcc, s11, v5
	v_cmp_le_i32_e64 s[4:5], v13, v12
	v_add3_u32 v3, v3, v7, v14
	v_mov_b32_e32 v5, s10
	v_mad_u64_u32 v[12:13], s[10:11], s18, v4, 0
	v_lshlrev_b64 v[2:3], 3, v[2:3]
	s_and_b64 s[4:5], s[4:5], vcc
	v_add_co_u32_e32 v15, vcc, s16, v2
	v_addc_co_u32_e32 v16, vcc, v5, v3, vcc
	v_mov_b32_e32 v5, v13
	v_mad_u64_u32 v[13:14], s[10:11], s19, v4, v[5:6]
	v_ashrrev_i32_e32 v7, 31, v6
	v_lshlrev_b64 v[2:3], 3, v[6:7]
	v_lshlrev_b64 v[12:13], 3, v[12:13]
	v_add_co_u32_e32 v2, vcc, v15, v2
	v_mad_u64_u32 v[14:15], s[16:17], s24, v4, 0
	v_addc_co_u32_e32 v3, vcc, v16, v3, vcc
	s_lshl_b64 s[10:11], s[20:21], 3
	v_mov_b32_e32 v7, s11
	v_add_co_u32_e32 v5, vcc, s10, v12
	v_addc_co_u32_e32 v12, vcc, v13, v7, vcc
	v_lshlrev_b32_e32 v16, 3, v0
	v_add_co_u32_e32 v13, vcc, v5, v16
	v_mov_b32_e32 v5, v15
	v_mad_u64_u32 v[4:5], s[16:17], s25, v4, v[5:6]
	v_addc_co_u32_e32 v17, vcc, 0, v12, vcc
	v_mov_b32_e32 v15, v4
	v_mov_b32_e32 v19, s7
	v_add_co_u32_e32 v12, vcc, s6, v13
	v_lshlrev_b64 v[4:5], 3, v[14:15]
	v_addc_co_u32_e32 v13, vcc, v19, v17, vcc
	s_lshl_b64 s[16:17], s[26:27], 3
	v_mov_b32_e32 v20, s17
	v_add_co_u32_e32 v14, vcc, s16, v4
	v_addc_co_u32_e32 v15, vcc, v5, v20, vcc
	v_mad_u64_u32 v[4:5], s[20:21], s24, v6, 0
	v_add_co_u32_e32 v14, vcc, v14, v16
	v_mad_u64_u32 v[16:17], s[20:21], s25, v6, v[5:6]
	v_addc_co_u32_e32 v15, vcc, 0, v15, vcc
	v_mov_b32_e32 v5, v16
	v_mov_b32_e32 v21, s9
	v_add_co_u32_e32 v14, vcc, s8, v14
	v_lshlrev_b64 v[4:5], 3, v[4:5]
	v_addc_co_u32_e32 v15, vcc, v21, v15, vcc
	v_add_co_u32_e32 v16, vcc, s16, v4
	v_addc_co_u32_e32 v17, vcc, v5, v20, vcc
	v_mad_u64_u32 v[4:5], s[16:17], s18, v6, 0
	v_lshlrev_b32_e32 v18, 3, v1
	v_add_co_u32_e32 v16, vcc, v16, v18
	v_mad_u64_u32 v[5:6], s[16:17], s19, v6, v[5:6]
	v_addc_co_u32_e32 v17, vcc, 0, v17, vcc
	v_add_co_u32_e32 v16, vcc, s8, v16
	v_lshlrev_b64 v[4:5], 3, v[4:5]
	v_addc_co_u32_e32 v17, vcc, v21, v17, vcc
	v_add_co_u32_e32 v4, vcc, s10, v4
	v_addc_co_u32_e32 v5, vcc, v5, v7, vcc
	v_add_co_u32_e32 v4, vcc, v4, v18
	v_lshlrev_b32_e32 v8, 8, v0
	v_addc_co_u32_e32 v5, vcc, 0, v5, vcc
	v_add_u32_e32 v9, v8, v18
	v_or_b32_e32 v10, 0x2000, v18
	v_add_co_u32_e32 v18, vcc, s6, v4
	v_add_u32_e32 v11, v10, v8
	v_addc_co_u32_e32 v19, vcc, v19, v5, vcc
	s_mov_b64 s[6:7], 0
	s_mov_b64 s[8:9], 0
	s_branch .LBB1877_4
.LBB1877_3:                             ;   in Loop: Header=BB1877_4 Depth=1
	s_or_b64 exec, exec, s[10:11]
	s_add_u32 s8, s8, 32
	v_mov_b32_e32 v4, s12
	s_addc_u32 s9, s9, 0
	v_mov_b32_e32 v5, s13
	v_cmp_lt_i64_e32 vcc, s[8:9], v[4:5]
	s_add_u32 s6, s6, 0x100
	s_addc_u32 s7, s7, 0
	s_waitcnt vmcnt(0) lgkmcnt(0)
	s_barrier
	s_cbranch_vccz .LBB1877_16
.LBB1877_4:                             ; =>This Inner Loop Header: Depth=1
	v_mov_b32_e32 v5, s9
	v_add_co_u32_e32 v4, vcc, s8, v1
	v_addc_co_u32_e32 v5, vcc, 0, v5, vcc
	v_cmp_gt_i64_e32 vcc, s[12:13], v[4:5]
	v_mov_b32_e32 v4, 0
	v_mov_b32_e32 v6, 0
	;; [unrolled: 1-line block ×4, first 2 shown]
	s_and_b64 s[10:11], s[0:1], vcc
	s_and_saveexec_b64 s[16:17], s[10:11]
	s_cbranch_execz .LBB1877_6
; %bb.5:                                ;   in Loop: Header=BB1877_4 Depth=1
	v_mov_b32_e32 v7, s7
	v_add_co_u32_e32 v6, vcc, s6, v18
	v_addc_co_u32_e32 v7, vcc, v19, v7, vcc
	flat_load_dwordx2 v[6:7], v[6:7]
.LBB1877_6:                             ;   in Loop: Header=BB1877_4 Depth=1
	s_or_b64 exec, exec, s[16:17]
	v_mov_b32_e32 v21, s9
	v_add_co_u32_e32 v20, vcc, s8, v0
	v_addc_co_u32_e32 v21, vcc, 0, v21, vcc
	v_cmp_gt_i64_e32 vcc, s[12:13], v[20:21]
	s_waitcnt vmcnt(0) lgkmcnt(0)
	ds_write_b64 v9, v[6:7]
	s_and_b64 s[16:17], s[2:3], vcc
	s_and_saveexec_b64 s[18:19], s[16:17]
	s_cbranch_execz .LBB1877_8
; %bb.7:                                ;   in Loop: Header=BB1877_4 Depth=1
	v_mov_b32_e32 v5, s7
	v_add_co_u32_e32 v4, vcc, s6, v14
	v_addc_co_u32_e32 v5, vcc, v15, v5, vcc
	flat_load_dwordx2 v[4:5], v[4:5]
.LBB1877_8:                             ;   in Loop: Header=BB1877_4 Depth=1
	s_or_b64 exec, exec, s[18:19]
	s_waitcnt vmcnt(0) lgkmcnt(0)
	ds_write_b64 v11, v[4:5]
	s_waitcnt lgkmcnt(0)
	s_barrier
	s_and_saveexec_b64 s[18:19], s[4:5]
	s_cbranch_execz .LBB1877_10
; %bb.9:                                ;   in Loop: Header=BB1877_4 Depth=1
	ds_read2_b64 v[4:7], v10 offset1:32
	ds_read_b128 v[20:23], v8
	v_add_u32_e32 v26, 0x800, v10
	v_add_u32_e32 v28, 0x1800, v10
	s_waitcnt lgkmcnt(0)
	v_fma_f64 v[4:5], v[20:21], v[4:5], 0
	v_fma_f64 v[24:25], v[22:23], v[6:7], v[4:5]
	ds_read_b128 v[4:7], v8 offset:16
	ds_read2_b64 v[20:23], v10 offset0:64 offset1:96
	s_waitcnt lgkmcnt(0)
	v_fma_f64 v[4:5], v[4:5], v[20:21], v[24:25]
	v_fma_f64 v[24:25], v[6:7], v[22:23], v[4:5]
	ds_read2_b64 v[4:7], v10 offset0:128 offset1:160
	ds_read_b128 v[20:23], v8 offset:32
	s_waitcnt lgkmcnt(0)
	v_fma_f64 v[4:5], v[20:21], v[4:5], v[24:25]
	v_fma_f64 v[24:25], v[22:23], v[6:7], v[4:5]
	ds_read_b128 v[4:7], v8 offset:48
	ds_read2_b64 v[20:23], v10 offset0:192 offset1:224
	s_waitcnt lgkmcnt(0)
	v_fma_f64 v[4:5], v[4:5], v[20:21], v[24:25]
	v_fma_f64 v[24:25], v[6:7], v[22:23], v[4:5]
	ds_read_b128 v[4:7], v8 offset:64
	ds_read2_b64 v[20:23], v26 offset1:32
	s_waitcnt lgkmcnt(0)
	v_fma_f64 v[4:5], v[4:5], v[20:21], v[24:25]
	v_fma_f64 v[24:25], v[6:7], v[22:23], v[4:5]
	ds_read_b128 v[4:7], v8 offset:80
	ds_read2_b64 v[20:23], v26 offset0:64 offset1:96
	s_waitcnt lgkmcnt(0)
	v_fma_f64 v[4:5], v[4:5], v[20:21], v[24:25]
	v_fma_f64 v[24:25], v[6:7], v[22:23], v[4:5]
	ds_read_b128 v[4:7], v8 offset:96
	ds_read2_b64 v[20:23], v26 offset0:128 offset1:160
	s_waitcnt lgkmcnt(0)
	v_fma_f64 v[4:5], v[4:5], v[20:21], v[24:25]
	v_fma_f64 v[24:25], v[6:7], v[22:23], v[4:5]
	ds_read_b128 v[4:7], v8 offset:112
	ds_read2_b64 v[20:23], v26 offset0:192 offset1:224
	v_add_u32_e32 v26, 0x1000, v10
	s_waitcnt lgkmcnt(0)
	v_fma_f64 v[4:5], v[4:5], v[20:21], v[24:25]
	v_fma_f64 v[24:25], v[6:7], v[22:23], v[4:5]
	ds_read_b128 v[4:7], v8 offset:128
	ds_read2_b64 v[20:23], v26 offset1:32
	s_waitcnt lgkmcnt(0)
	v_fma_f64 v[4:5], v[4:5], v[20:21], v[24:25]
	v_fma_f64 v[24:25], v[6:7], v[22:23], v[4:5]
	ds_read_b128 v[4:7], v8 offset:144
	ds_read2_b64 v[20:23], v26 offset0:64 offset1:96
	s_waitcnt lgkmcnt(0)
	v_fma_f64 v[4:5], v[4:5], v[20:21], v[24:25]
	v_fma_f64 v[24:25], v[6:7], v[22:23], v[4:5]
	ds_read_b128 v[4:7], v8 offset:160
	ds_read2_b64 v[20:23], v26 offset0:128 offset1:160
	;; [unrolled: 5-line block ×3, first 2 shown]
	s_waitcnt lgkmcnt(0)
	v_fma_f64 v[4:5], v[4:5], v[20:21], v[24:25]
	flat_load_dwordx2 v[24:25], v[2:3]
	v_fma_f64 v[26:27], v[6:7], v[22:23], v[4:5]
	ds_read2_b64 v[4:7], v28 offset1:32
	ds_read_b128 v[20:23], v8 offset:192
	s_waitcnt lgkmcnt(0)
	v_fma_f64 v[4:5], v[20:21], v[4:5], v[26:27]
	v_fma_f64 v[26:27], v[22:23], v[6:7], v[4:5]
	ds_read_b128 v[4:7], v8 offset:208
	ds_read2_b64 v[20:23], v28 offset0:64 offset1:96
	s_waitcnt lgkmcnt(0)
	v_fma_f64 v[4:5], v[4:5], v[20:21], v[26:27]
	v_fma_f64 v[26:27], v[6:7], v[22:23], v[4:5]
	ds_read2_b64 v[4:7], v28 offset0:128 offset1:160
	ds_read_b128 v[20:23], v8 offset:224
	s_waitcnt lgkmcnt(0)
	v_fma_f64 v[4:5], v[20:21], v[4:5], v[26:27]
	v_fma_f64 v[26:27], v[22:23], v[6:7], v[4:5]
	ds_read_b128 v[4:7], v8 offset:240
	ds_read2_b64 v[20:23], v28 offset0:192 offset1:224
	s_waitcnt lgkmcnt(0)
	v_fma_f64 v[4:5], v[4:5], v[20:21], v[26:27]
	v_fma_f64 v[4:5], v[6:7], v[22:23], v[4:5]
	s_waitcnt vmcnt(0)
	v_fma_f64 v[4:5], s[14:15], v[4:5], v[24:25]
	flat_store_dwordx2 v[2:3], v[4:5]
.LBB1877_10:                            ;   in Loop: Header=BB1877_4 Depth=1
	s_or_b64 exec, exec, s[18:19]
	v_mov_b32_e32 v4, 0
	v_mov_b32_e32 v6, 0
	;; [unrolled: 1-line block ×4, first 2 shown]
	s_waitcnt vmcnt(0) lgkmcnt(0)
	s_barrier
	s_and_saveexec_b64 s[18:19], s[10:11]
	s_cbranch_execz .LBB1877_12
; %bb.11:                               ;   in Loop: Header=BB1877_4 Depth=1
	v_mov_b32_e32 v7, s7
	v_add_co_u32_e32 v6, vcc, s6, v16
	v_addc_co_u32_e32 v7, vcc, v17, v7, vcc
	flat_load_dwordx2 v[6:7], v[6:7]
.LBB1877_12:                            ;   in Loop: Header=BB1877_4 Depth=1
	s_or_b64 exec, exec, s[18:19]
	s_waitcnt vmcnt(0) lgkmcnt(0)
	ds_write_b64 v9, v[6:7]
	s_and_saveexec_b64 s[10:11], s[16:17]
	s_cbranch_execz .LBB1877_14
; %bb.13:                               ;   in Loop: Header=BB1877_4 Depth=1
	v_mov_b32_e32 v5, s7
	v_add_co_u32_e32 v4, vcc, s6, v12
	v_addc_co_u32_e32 v5, vcc, v13, v5, vcc
	flat_load_dwordx2 v[4:5], v[4:5]
.LBB1877_14:                            ;   in Loop: Header=BB1877_4 Depth=1
	s_or_b64 exec, exec, s[10:11]
	s_waitcnt vmcnt(0) lgkmcnt(0)
	ds_write_b64 v11, v[4:5]
	s_waitcnt lgkmcnt(0)
	s_barrier
	s_and_saveexec_b64 s[10:11], s[4:5]
	s_cbranch_execz .LBB1877_3
; %bb.15:                               ;   in Loop: Header=BB1877_4 Depth=1
	ds_read2_b64 v[4:7], v10 offset1:32
	ds_read_b128 v[20:23], v8
	v_add_u32_e32 v26, 0x800, v10
	v_add_u32_e32 v28, 0x1800, v10
	s_waitcnt lgkmcnt(0)
	v_fma_f64 v[4:5], v[20:21], v[4:5], 0
	v_fma_f64 v[24:25], v[22:23], v[6:7], v[4:5]
	ds_read_b128 v[4:7], v8 offset:16
	ds_read2_b64 v[20:23], v10 offset0:64 offset1:96
	s_waitcnt lgkmcnt(0)
	v_fma_f64 v[4:5], v[4:5], v[20:21], v[24:25]
	v_fma_f64 v[24:25], v[6:7], v[22:23], v[4:5]
	ds_read2_b64 v[4:7], v10 offset0:128 offset1:160
	ds_read_b128 v[20:23], v8 offset:32
	s_waitcnt lgkmcnt(0)
	v_fma_f64 v[4:5], v[20:21], v[4:5], v[24:25]
	v_fma_f64 v[24:25], v[22:23], v[6:7], v[4:5]
	ds_read_b128 v[4:7], v8 offset:48
	ds_read2_b64 v[20:23], v10 offset0:192 offset1:224
	s_waitcnt lgkmcnt(0)
	v_fma_f64 v[4:5], v[4:5], v[20:21], v[24:25]
	v_fma_f64 v[24:25], v[6:7], v[22:23], v[4:5]
	ds_read_b128 v[4:7], v8 offset:64
	ds_read2_b64 v[20:23], v26 offset1:32
	s_waitcnt lgkmcnt(0)
	v_fma_f64 v[4:5], v[4:5], v[20:21], v[24:25]
	v_fma_f64 v[24:25], v[6:7], v[22:23], v[4:5]
	ds_read_b128 v[4:7], v8 offset:80
	ds_read2_b64 v[20:23], v26 offset0:64 offset1:96
	s_waitcnt lgkmcnt(0)
	v_fma_f64 v[4:5], v[4:5], v[20:21], v[24:25]
	v_fma_f64 v[24:25], v[6:7], v[22:23], v[4:5]
	ds_read_b128 v[4:7], v8 offset:96
	ds_read2_b64 v[20:23], v26 offset0:128 offset1:160
	;; [unrolled: 5-line block ×3, first 2 shown]
	v_add_u32_e32 v26, 0x1000, v10
	s_waitcnt lgkmcnt(0)
	v_fma_f64 v[4:5], v[4:5], v[20:21], v[24:25]
	v_fma_f64 v[24:25], v[6:7], v[22:23], v[4:5]
	ds_read_b128 v[4:7], v8 offset:128
	ds_read2_b64 v[20:23], v26 offset1:32
	s_waitcnt lgkmcnt(0)
	v_fma_f64 v[4:5], v[4:5], v[20:21], v[24:25]
	v_fma_f64 v[24:25], v[6:7], v[22:23], v[4:5]
	ds_read_b128 v[4:7], v8 offset:144
	ds_read2_b64 v[20:23], v26 offset0:64 offset1:96
	s_waitcnt lgkmcnt(0)
	v_fma_f64 v[4:5], v[4:5], v[20:21], v[24:25]
	v_fma_f64 v[24:25], v[6:7], v[22:23], v[4:5]
	ds_read_b128 v[4:7], v8 offset:160
	ds_read2_b64 v[20:23], v26 offset0:128 offset1:160
	;; [unrolled: 5-line block ×3, first 2 shown]
	s_waitcnt lgkmcnt(0)
	v_fma_f64 v[4:5], v[4:5], v[20:21], v[24:25]
	flat_load_dwordx2 v[24:25], v[2:3]
	v_fma_f64 v[26:27], v[6:7], v[22:23], v[4:5]
	ds_read2_b64 v[4:7], v28 offset1:32
	ds_read_b128 v[20:23], v8 offset:192
	s_waitcnt lgkmcnt(0)
	v_fma_f64 v[4:5], v[20:21], v[4:5], v[26:27]
	v_fma_f64 v[26:27], v[22:23], v[6:7], v[4:5]
	ds_read_b128 v[4:7], v8 offset:208
	ds_read2_b64 v[20:23], v28 offset0:64 offset1:96
	s_waitcnt lgkmcnt(0)
	v_fma_f64 v[4:5], v[4:5], v[20:21], v[26:27]
	v_fma_f64 v[26:27], v[6:7], v[22:23], v[4:5]
	ds_read2_b64 v[4:7], v28 offset0:128 offset1:160
	ds_read_b128 v[20:23], v8 offset:224
	s_waitcnt lgkmcnt(0)
	v_fma_f64 v[4:5], v[20:21], v[4:5], v[26:27]
	v_fma_f64 v[26:27], v[22:23], v[6:7], v[4:5]
	ds_read_b128 v[4:7], v8 offset:240
	ds_read2_b64 v[20:23], v28 offset0:192 offset1:224
	s_waitcnt lgkmcnt(0)
	v_fma_f64 v[4:5], v[4:5], v[20:21], v[26:27]
	v_fma_f64 v[4:5], v[6:7], v[22:23], v[4:5]
	s_waitcnt vmcnt(0)
	v_fma_f64 v[4:5], s[14:15], v[4:5], v[24:25]
	flat_store_dwordx2 v[2:3], v[4:5]
	s_branch .LBB1877_3
.LBB1877_16:
	s_endpgm
	.section	.rodata,"a",@progbits
	.p2align	6, 0x0
	.amdhsa_kernel _ZL26rocblas_syr2k_her2k_kernelIlLb1ELb0ELb1ELi32EdPKPKdPKPdEvbiT_T4_T5_S7_lS9_S7_lT6_S7_li
		.amdhsa_group_segment_fixed_size 16384
		.amdhsa_private_segment_fixed_size 0
		.amdhsa_kernarg_size 100
		.amdhsa_user_sgpr_count 6
		.amdhsa_user_sgpr_private_segment_buffer 1
		.amdhsa_user_sgpr_dispatch_ptr 0
		.amdhsa_user_sgpr_queue_ptr 0
		.amdhsa_user_sgpr_kernarg_segment_ptr 1
		.amdhsa_user_sgpr_dispatch_id 0
		.amdhsa_user_sgpr_flat_scratch_init 0
		.amdhsa_user_sgpr_private_segment_size 0
		.amdhsa_uses_dynamic_stack 0
		.amdhsa_system_sgpr_private_segment_wavefront_offset 0
		.amdhsa_system_sgpr_workgroup_id_x 1
		.amdhsa_system_sgpr_workgroup_id_y 1
		.amdhsa_system_sgpr_workgroup_id_z 1
		.amdhsa_system_sgpr_workgroup_info 0
		.amdhsa_system_vgpr_workitem_id 1
		.amdhsa_next_free_vgpr 29
		.amdhsa_next_free_sgpr 61
		.amdhsa_reserve_vcc 1
		.amdhsa_reserve_flat_scratch 0
		.amdhsa_float_round_mode_32 0
		.amdhsa_float_round_mode_16_64 0
		.amdhsa_float_denorm_mode_32 3
		.amdhsa_float_denorm_mode_16_64 3
		.amdhsa_dx10_clamp 1
		.amdhsa_ieee_mode 1
		.amdhsa_fp16_overflow 0
		.amdhsa_exception_fp_ieee_invalid_op 0
		.amdhsa_exception_fp_denorm_src 0
		.amdhsa_exception_fp_ieee_div_zero 0
		.amdhsa_exception_fp_ieee_overflow 0
		.amdhsa_exception_fp_ieee_underflow 0
		.amdhsa_exception_fp_ieee_inexact 0
		.amdhsa_exception_int_div_zero 0
	.end_amdhsa_kernel
	.section	.text._ZL26rocblas_syr2k_her2k_kernelIlLb1ELb0ELb1ELi32EdPKPKdPKPdEvbiT_T4_T5_S7_lS9_S7_lT6_S7_li,"axG",@progbits,_ZL26rocblas_syr2k_her2k_kernelIlLb1ELb0ELb1ELi32EdPKPKdPKPdEvbiT_T4_T5_S7_lS9_S7_lT6_S7_li,comdat
.Lfunc_end1877:
	.size	_ZL26rocblas_syr2k_her2k_kernelIlLb1ELb0ELb1ELi32EdPKPKdPKPdEvbiT_T4_T5_S7_lS9_S7_lT6_S7_li, .Lfunc_end1877-_ZL26rocblas_syr2k_her2k_kernelIlLb1ELb0ELb1ELi32EdPKPKdPKPdEvbiT_T4_T5_S7_lS9_S7_lT6_S7_li
                                        ; -- End function
	.set _ZL26rocblas_syr2k_her2k_kernelIlLb1ELb0ELb1ELi32EdPKPKdPKPdEvbiT_T4_T5_S7_lS9_S7_lT6_S7_li.num_vgpr, 29
	.set _ZL26rocblas_syr2k_her2k_kernelIlLb1ELb0ELb1ELi32EdPKPKdPKPdEvbiT_T4_T5_S7_lS9_S7_lT6_S7_li.num_agpr, 0
	.set _ZL26rocblas_syr2k_her2k_kernelIlLb1ELb0ELb1ELi32EdPKPKdPKPdEvbiT_T4_T5_S7_lS9_S7_lT6_S7_li.numbered_sgpr, 36
	.set _ZL26rocblas_syr2k_her2k_kernelIlLb1ELb0ELb1ELi32EdPKPKdPKPdEvbiT_T4_T5_S7_lS9_S7_lT6_S7_li.num_named_barrier, 0
	.set _ZL26rocblas_syr2k_her2k_kernelIlLb1ELb0ELb1ELi32EdPKPKdPKPdEvbiT_T4_T5_S7_lS9_S7_lT6_S7_li.private_seg_size, 0
	.set _ZL26rocblas_syr2k_her2k_kernelIlLb1ELb0ELb1ELi32EdPKPKdPKPdEvbiT_T4_T5_S7_lS9_S7_lT6_S7_li.uses_vcc, 1
	.set _ZL26rocblas_syr2k_her2k_kernelIlLb1ELb0ELb1ELi32EdPKPKdPKPdEvbiT_T4_T5_S7_lS9_S7_lT6_S7_li.uses_flat_scratch, 0
	.set _ZL26rocblas_syr2k_her2k_kernelIlLb1ELb0ELb1ELi32EdPKPKdPKPdEvbiT_T4_T5_S7_lS9_S7_lT6_S7_li.has_dyn_sized_stack, 0
	.set _ZL26rocblas_syr2k_her2k_kernelIlLb1ELb0ELb1ELi32EdPKPKdPKPdEvbiT_T4_T5_S7_lS9_S7_lT6_S7_li.has_recursion, 0
	.set _ZL26rocblas_syr2k_her2k_kernelIlLb1ELb0ELb1ELi32EdPKPKdPKPdEvbiT_T4_T5_S7_lS9_S7_lT6_S7_li.has_indirect_call, 0
	.section	.AMDGPU.csdata,"",@progbits
; Kernel info:
; codeLenInByte = 2220
; TotalNumSgprs: 40
; NumVgprs: 29
; ScratchSize: 0
; MemoryBound: 0
; FloatMode: 240
; IeeeMode: 1
; LDSByteSize: 16384 bytes/workgroup (compile time only)
; SGPRBlocks: 8
; VGPRBlocks: 7
; NumSGPRsForWavesPerEU: 65
; NumVGPRsForWavesPerEU: 29
; Occupancy: 8
; WaveLimiterHint : 1
; COMPUTE_PGM_RSRC2:SCRATCH_EN: 0
; COMPUTE_PGM_RSRC2:USER_SGPR: 6
; COMPUTE_PGM_RSRC2:TRAP_HANDLER: 0
; COMPUTE_PGM_RSRC2:TGID_X_EN: 1
; COMPUTE_PGM_RSRC2:TGID_Y_EN: 1
; COMPUTE_PGM_RSRC2:TGID_Z_EN: 1
; COMPUTE_PGM_RSRC2:TIDIG_COMP_CNT: 1
	.section	.text._ZL26rocblas_syr2k_her2k_kernelIlLb1ELb0ELb0ELi32EPKdPKS1_PKPdEvbiT_T4_T5_S7_lS9_S7_lT6_S7_li,"axG",@progbits,_ZL26rocblas_syr2k_her2k_kernelIlLb1ELb0ELb0ELi32EPKdPKS1_PKPdEvbiT_T4_T5_S7_lS9_S7_lT6_S7_li,comdat
	.globl	_ZL26rocblas_syr2k_her2k_kernelIlLb1ELb0ELb0ELi32EPKdPKS1_PKPdEvbiT_T4_T5_S7_lS9_S7_lT6_S7_li ; -- Begin function _ZL26rocblas_syr2k_her2k_kernelIlLb1ELb0ELb0ELi32EPKdPKS1_PKPdEvbiT_T4_T5_S7_lS9_S7_lT6_S7_li
	.p2align	8
	.type	_ZL26rocblas_syr2k_her2k_kernelIlLb1ELb0ELb0ELi32EPKdPKS1_PKPdEvbiT_T4_T5_S7_lS9_S7_lT6_S7_li,@function
_ZL26rocblas_syr2k_her2k_kernelIlLb1ELb0ELb0ELi32EPKdPKS1_PKPdEvbiT_T4_T5_S7_lS9_S7_lT6_S7_li: ; @_ZL26rocblas_syr2k_her2k_kernelIlLb1ELb0ELb0ELi32EPKdPKS1_PKPdEvbiT_T4_T5_S7_lS9_S7_lT6_S7_li
; %bb.0:
	s_load_dwordx16 s[12:27], s[4:5], 0x8
	s_waitcnt lgkmcnt(0)
	s_load_dwordx2 s[10:11], s[14:15], 0x0
	s_waitcnt lgkmcnt(0)
	v_cmp_eq_f64_e64 s[0:1], s[10:11], 0
	s_and_b64 vcc, exec, s[0:1]
	s_cbranch_vccnz .LBB1878_16
; %bb.1:
	s_load_dwordx2 s[14:15], s[4:5], 0x0
	s_lshl_b32 s2, s7, 5
	s_lshl_b32 s3, s6, 5
	s_waitcnt lgkmcnt(0)
	s_and_b32 s0, 1, s14
	s_cmp_eq_u32 s0, 1
	s_cselect_b64 s[0:1], -1, 0
	s_and_b64 s[6:7], s[0:1], exec
	s_cselect_b32 s6, s3, s2
	s_cselect_b32 s7, s2, s3
	s_cmp_gt_i32 s6, s7
	v_cmp_lt_i64_e64 s[6:7], s[12:13], 1
	s_cselect_b64 s[28:29], -1, 0
	s_or_b64 s[6:7], s[28:29], s[6:7]
	s_and_b64 vcc, exec, s[6:7]
	s_cbranch_vccnz .LBB1878_16
; %bb.2:
	s_mov_b32 s9, 0
	s_load_dwordx4 s[28:31], s[4:5], 0x48
	s_load_dwordx2 s[6:7], s[4:5], 0x58
	s_lshl_b64 s[4:5], s[8:9], 3
	s_add_u32 s8, s16, s4
	s_addc_u32 s9, s17, s5
	s_add_u32 s16, s22, s4
	s_addc_u32 s17, s23, s5
	s_waitcnt lgkmcnt(0)
	s_add_u32 s4, s28, s4
	s_addc_u32 s5, s29, s5
	s_load_dwordx2 s[22:23], s[4:5], 0x0
	s_load_dwordx2 s[28:29], s[8:9], 0x0
	;; [unrolled: 1-line block ×3, first 2 shown]
	s_lshl_b64 s[4:5], s[6:7], 3
	v_add_u32_e32 v4, s2, v1
	s_waitcnt lgkmcnt(0)
	s_add_u32 s8, s22, s4
	s_addc_u32 s6, s23, s5
	s_lshl_b64 s[4:5], s[26:27], 3
	s_add_u32 s22, s34, s4
	s_addc_u32 s23, s35, s5
	s_lshl_b64 s[4:5], s[20:21], 3
	v_lshlrev_b32_e32 v8, 8, v0
	v_lshlrev_b32_e32 v2, 3, v1
	s_add_u32 s26, s28, s4
	v_add_u32_e32 v9, v8, v2
	v_or_b32_e32 v10, 0x2000, v2
	v_ashrrev_i32_e32 v2, 31, v4
	s_addc_u32 s27, s29, s5
	v_mul_lo_u32 v15, s30, v2
	v_mul_lo_u32 v16, s31, v4
	v_mad_u64_u32 v[2:3], s[4:5], s30, v4, 0
	v_add_u32_e32 v6, s3, v0
	v_max_i32_e32 v14, v6, v4
	v_add3_u32 v3, v3, v15, v16
	v_cndmask_b32_e64 v12, v6, v4, s[0:1]
	v_cndmask_b32_e64 v13, v4, v6, s[0:1]
	v_cmp_gt_i32_e32 vcc, s15, v14
	v_lshlrev_b64 v[2:3], 3, v[2:3]
	v_mov_b32_e32 v16, s6
	v_mad_u64_u32 v[14:15], s[6:7], s18, v0, 0
	v_cmp_le_i32_e64 s[4:5], v13, v12
	s_and_b64 s[4:5], s[4:5], vcc
	v_ashrrev_i32_e32 v13, 31, v6
	v_mov_b32_e32 v12, v6
	v_add_co_u32_e32 v17, vcc, s8, v2
	v_addc_co_u32_e32 v16, vcc, v16, v3, vcc
	v_lshlrev_b64 v[2:3], 3, v[12:13]
	v_mov_b32_e32 v12, v15
	v_mad_u64_u32 v[12:13], s[6:7], s19, v0, v[12:13]
	v_add_co_u32_e32 v2, vcc, v17, v2
	v_addc_co_u32_e32 v3, vcc, v16, v3, vcc
	v_mad_u64_u32 v[16:17], s[6:7], s24, v0, 0
	v_mov_b32_e32 v15, v12
	v_lshlrev_b64 v[12:13], 3, v[14:15]
	v_mov_b32_e32 v14, v17
	v_mad_u64_u32 v[14:15], s[6:7], s25, v0, v[14:15]
	v_mov_b32_e32 v7, 0
	s_ashr_i32 s3, s15, 31
	s_mov_b32 s2, s15
	v_mov_b32_e32 v5, v7
	v_mov_b32_e32 v17, v14
	v_cmp_gt_i64_e64 s[0:1], s[2:3], v[6:7]
	v_cmp_gt_i64_e64 s[2:3], s[2:3], v[4:5]
	v_lshlrev_b64 v[4:5], 3, v[4:5]
	v_lshlrev_b64 v[14:15], 3, v[16:17]
	v_mad_u64_u32 v[16:17], s[8:9], s24, v1, 0
	v_add_co_u32_e32 v12, vcc, v12, v4
	v_addc_co_u32_e32 v13, vcc, v13, v5, vcc
	v_add_co_u32_e32 v14, vcc, v14, v4
	v_mov_b32_e32 v4, v17
	v_addc_co_u32_e32 v15, vcc, v15, v5, vcc
	v_mad_u64_u32 v[4:5], s[8:9], s25, v1, v[4:5]
	v_mad_u64_u32 v[18:19], s[14:15], s18, v1, 0
	v_mov_b32_e32 v17, v4
	v_lshlrev_b64 v[4:5], 3, v[16:17]
	v_mov_b32_e32 v16, v19
	v_mad_u64_u32 v[19:20], s[14:15], s19, v1, v[16:17]
	v_lshlrev_b64 v[6:7], 3, v[6:7]
	v_add_u32_e32 v11, v10, v8
	v_add_co_u32_e32 v16, vcc, v4, v6
	v_addc_co_u32_e32 v17, vcc, v5, v7, vcc
	v_lshlrev_b64 v[4:5], 3, v[18:19]
	s_lshl_b64 s[6:7], s[18:19], 8
	v_add_co_u32_e32 v18, vcc, v4, v6
	s_lshl_b64 s[8:9], s[24:25], 8
	v_addc_co_u32_e32 v19, vcc, v5, v7, vcc
	s_mov_b64 s[14:15], 0
	s_branch .LBB1878_4
.LBB1878_3:                             ;   in Loop: Header=BB1878_4 Depth=1
	s_or_b64 exec, exec, s[16:17]
	s_add_u32 s14, s14, 32
	s_addc_u32 s15, s15, 0
	v_mov_b32_e32 v4, s12
	s_add_u32 s26, s26, s6
	v_mov_b32_e32 v5, s13
	s_addc_u32 s27, s27, s7
	v_cmp_lt_i64_e32 vcc, s[14:15], v[4:5]
	s_add_u32 s22, s22, s8
	s_addc_u32 s23, s23, s9
	s_waitcnt vmcnt(0) lgkmcnt(0)
	s_barrier
	s_cbranch_vccz .LBB1878_16
.LBB1878_4:                             ; =>This Inner Loop Header: Depth=1
	v_mov_b32_e32 v5, s15
	v_add_co_u32_e32 v4, vcc, s14, v1
	v_addc_co_u32_e32 v5, vcc, 0, v5, vcc
	v_cmp_gt_i64_e32 vcc, s[12:13], v[4:5]
	v_mov_b32_e32 v4, 0
	v_mov_b32_e32 v6, 0
	;; [unrolled: 1-line block ×4, first 2 shown]
	s_and_b64 s[16:17], s[0:1], vcc
	s_and_saveexec_b64 s[18:19], s[16:17]
	s_cbranch_execz .LBB1878_6
; %bb.5:                                ;   in Loop: Header=BB1878_4 Depth=1
	v_mov_b32_e32 v7, s27
	v_add_co_u32_e32 v6, vcc, s26, v18
	v_addc_co_u32_e32 v7, vcc, v7, v19, vcc
	flat_load_dwordx2 v[6:7], v[6:7]
.LBB1878_6:                             ;   in Loop: Header=BB1878_4 Depth=1
	s_or_b64 exec, exec, s[18:19]
	v_mov_b32_e32 v21, s15
	v_add_co_u32_e32 v20, vcc, s14, v0
	v_addc_co_u32_e32 v21, vcc, 0, v21, vcc
	v_cmp_gt_i64_e32 vcc, s[12:13], v[20:21]
	s_waitcnt vmcnt(0) lgkmcnt(0)
	ds_write_b64 v9, v[6:7]
	s_and_b64 s[18:19], s[2:3], vcc
	s_and_saveexec_b64 s[20:21], s[18:19]
	s_cbranch_execz .LBB1878_8
; %bb.7:                                ;   in Loop: Header=BB1878_4 Depth=1
	v_mov_b32_e32 v5, s23
	v_add_co_u32_e32 v4, vcc, s22, v14
	v_addc_co_u32_e32 v5, vcc, v5, v15, vcc
	flat_load_dwordx2 v[4:5], v[4:5]
.LBB1878_8:                             ;   in Loop: Header=BB1878_4 Depth=1
	s_or_b64 exec, exec, s[20:21]
	s_waitcnt vmcnt(0) lgkmcnt(0)
	ds_write_b64 v11, v[4:5]
	s_waitcnt lgkmcnt(0)
	s_barrier
	s_and_saveexec_b64 s[20:21], s[4:5]
	s_cbranch_execz .LBB1878_10
; %bb.9:                                ;   in Loop: Header=BB1878_4 Depth=1
	ds_read2_b64 v[4:7], v10 offset1:32
	ds_read_b128 v[20:23], v8
	v_add_u32_e32 v26, 0x800, v10
	v_add_u32_e32 v28, 0x1800, v10
	s_waitcnt lgkmcnt(0)
	v_fma_f64 v[4:5], v[20:21], v[4:5], 0
	v_fma_f64 v[24:25], v[22:23], v[6:7], v[4:5]
	ds_read_b128 v[4:7], v8 offset:16
	ds_read2_b64 v[20:23], v10 offset0:64 offset1:96
	s_waitcnt lgkmcnt(0)
	v_fma_f64 v[4:5], v[4:5], v[20:21], v[24:25]
	v_fma_f64 v[24:25], v[6:7], v[22:23], v[4:5]
	ds_read2_b64 v[4:7], v10 offset0:128 offset1:160
	ds_read_b128 v[20:23], v8 offset:32
	s_waitcnt lgkmcnt(0)
	v_fma_f64 v[4:5], v[20:21], v[4:5], v[24:25]
	v_fma_f64 v[24:25], v[22:23], v[6:7], v[4:5]
	ds_read_b128 v[4:7], v8 offset:48
	ds_read2_b64 v[20:23], v10 offset0:192 offset1:224
	s_waitcnt lgkmcnt(0)
	v_fma_f64 v[4:5], v[4:5], v[20:21], v[24:25]
	v_fma_f64 v[24:25], v[6:7], v[22:23], v[4:5]
	ds_read_b128 v[4:7], v8 offset:64
	ds_read2_b64 v[20:23], v26 offset1:32
	s_waitcnt lgkmcnt(0)
	v_fma_f64 v[4:5], v[4:5], v[20:21], v[24:25]
	v_fma_f64 v[24:25], v[6:7], v[22:23], v[4:5]
	ds_read_b128 v[4:7], v8 offset:80
	ds_read2_b64 v[20:23], v26 offset0:64 offset1:96
	s_waitcnt lgkmcnt(0)
	v_fma_f64 v[4:5], v[4:5], v[20:21], v[24:25]
	v_fma_f64 v[24:25], v[6:7], v[22:23], v[4:5]
	ds_read_b128 v[4:7], v8 offset:96
	ds_read2_b64 v[20:23], v26 offset0:128 offset1:160
	;; [unrolled: 5-line block ×3, first 2 shown]
	v_add_u32_e32 v26, 0x1000, v10
	s_waitcnt lgkmcnt(0)
	v_fma_f64 v[4:5], v[4:5], v[20:21], v[24:25]
	v_fma_f64 v[24:25], v[6:7], v[22:23], v[4:5]
	ds_read_b128 v[4:7], v8 offset:128
	ds_read2_b64 v[20:23], v26 offset1:32
	s_waitcnt lgkmcnt(0)
	v_fma_f64 v[4:5], v[4:5], v[20:21], v[24:25]
	v_fma_f64 v[24:25], v[6:7], v[22:23], v[4:5]
	ds_read_b128 v[4:7], v8 offset:144
	ds_read2_b64 v[20:23], v26 offset0:64 offset1:96
	s_waitcnt lgkmcnt(0)
	v_fma_f64 v[4:5], v[4:5], v[20:21], v[24:25]
	v_fma_f64 v[24:25], v[6:7], v[22:23], v[4:5]
	ds_read_b128 v[4:7], v8 offset:160
	ds_read2_b64 v[20:23], v26 offset0:128 offset1:160
	;; [unrolled: 5-line block ×3, first 2 shown]
	s_waitcnt lgkmcnt(0)
	v_fma_f64 v[4:5], v[4:5], v[20:21], v[24:25]
	flat_load_dwordx2 v[24:25], v[2:3]
	v_fma_f64 v[26:27], v[6:7], v[22:23], v[4:5]
	ds_read2_b64 v[4:7], v28 offset1:32
	ds_read_b128 v[20:23], v8 offset:192
	s_waitcnt lgkmcnt(0)
	v_fma_f64 v[4:5], v[20:21], v[4:5], v[26:27]
	v_fma_f64 v[26:27], v[22:23], v[6:7], v[4:5]
	ds_read_b128 v[4:7], v8 offset:208
	ds_read2_b64 v[20:23], v28 offset0:64 offset1:96
	s_waitcnt lgkmcnt(0)
	v_fma_f64 v[4:5], v[4:5], v[20:21], v[26:27]
	v_fma_f64 v[26:27], v[6:7], v[22:23], v[4:5]
	ds_read2_b64 v[4:7], v28 offset0:128 offset1:160
	ds_read_b128 v[20:23], v8 offset:224
	s_waitcnt lgkmcnt(0)
	v_fma_f64 v[4:5], v[20:21], v[4:5], v[26:27]
	v_fma_f64 v[26:27], v[22:23], v[6:7], v[4:5]
	ds_read_b128 v[4:7], v8 offset:240
	ds_read2_b64 v[20:23], v28 offset0:192 offset1:224
	s_waitcnt lgkmcnt(0)
	v_fma_f64 v[4:5], v[4:5], v[20:21], v[26:27]
	v_fma_f64 v[4:5], v[6:7], v[22:23], v[4:5]
	s_waitcnt vmcnt(0)
	v_fma_f64 v[4:5], s[10:11], v[4:5], v[24:25]
	flat_store_dwordx2 v[2:3], v[4:5]
.LBB1878_10:                            ;   in Loop: Header=BB1878_4 Depth=1
	s_or_b64 exec, exec, s[20:21]
	v_mov_b32_e32 v4, 0
	v_mov_b32_e32 v6, 0
	;; [unrolled: 1-line block ×4, first 2 shown]
	s_waitcnt vmcnt(0) lgkmcnt(0)
	s_barrier
	s_and_saveexec_b64 s[20:21], s[16:17]
	s_cbranch_execz .LBB1878_12
; %bb.11:                               ;   in Loop: Header=BB1878_4 Depth=1
	v_mov_b32_e32 v7, s23
	v_add_co_u32_e32 v6, vcc, s22, v16
	v_addc_co_u32_e32 v7, vcc, v7, v17, vcc
	flat_load_dwordx2 v[6:7], v[6:7]
.LBB1878_12:                            ;   in Loop: Header=BB1878_4 Depth=1
	s_or_b64 exec, exec, s[20:21]
	s_waitcnt vmcnt(0) lgkmcnt(0)
	ds_write_b64 v9, v[6:7]
	s_and_saveexec_b64 s[16:17], s[18:19]
	s_cbranch_execz .LBB1878_14
; %bb.13:                               ;   in Loop: Header=BB1878_4 Depth=1
	v_mov_b32_e32 v5, s27
	v_add_co_u32_e32 v4, vcc, s26, v12
	v_addc_co_u32_e32 v5, vcc, v5, v13, vcc
	flat_load_dwordx2 v[4:5], v[4:5]
.LBB1878_14:                            ;   in Loop: Header=BB1878_4 Depth=1
	s_or_b64 exec, exec, s[16:17]
	s_waitcnt vmcnt(0) lgkmcnt(0)
	ds_write_b64 v11, v[4:5]
	s_waitcnt lgkmcnt(0)
	s_barrier
	s_and_saveexec_b64 s[16:17], s[4:5]
	s_cbranch_execz .LBB1878_3
; %bb.15:                               ;   in Loop: Header=BB1878_4 Depth=1
	ds_read2_b64 v[4:7], v10 offset1:32
	ds_read_b128 v[20:23], v8
	v_add_u32_e32 v26, 0x800, v10
	v_add_u32_e32 v28, 0x1800, v10
	s_waitcnt lgkmcnt(0)
	v_fma_f64 v[4:5], v[20:21], v[4:5], 0
	v_fma_f64 v[24:25], v[22:23], v[6:7], v[4:5]
	ds_read_b128 v[4:7], v8 offset:16
	ds_read2_b64 v[20:23], v10 offset0:64 offset1:96
	s_waitcnt lgkmcnt(0)
	v_fma_f64 v[4:5], v[4:5], v[20:21], v[24:25]
	v_fma_f64 v[24:25], v[6:7], v[22:23], v[4:5]
	ds_read2_b64 v[4:7], v10 offset0:128 offset1:160
	ds_read_b128 v[20:23], v8 offset:32
	s_waitcnt lgkmcnt(0)
	v_fma_f64 v[4:5], v[20:21], v[4:5], v[24:25]
	v_fma_f64 v[24:25], v[22:23], v[6:7], v[4:5]
	ds_read_b128 v[4:7], v8 offset:48
	ds_read2_b64 v[20:23], v10 offset0:192 offset1:224
	s_waitcnt lgkmcnt(0)
	v_fma_f64 v[4:5], v[4:5], v[20:21], v[24:25]
	v_fma_f64 v[24:25], v[6:7], v[22:23], v[4:5]
	ds_read_b128 v[4:7], v8 offset:64
	ds_read2_b64 v[20:23], v26 offset1:32
	s_waitcnt lgkmcnt(0)
	v_fma_f64 v[4:5], v[4:5], v[20:21], v[24:25]
	v_fma_f64 v[24:25], v[6:7], v[22:23], v[4:5]
	ds_read_b128 v[4:7], v8 offset:80
	ds_read2_b64 v[20:23], v26 offset0:64 offset1:96
	s_waitcnt lgkmcnt(0)
	v_fma_f64 v[4:5], v[4:5], v[20:21], v[24:25]
	v_fma_f64 v[24:25], v[6:7], v[22:23], v[4:5]
	ds_read_b128 v[4:7], v8 offset:96
	ds_read2_b64 v[20:23], v26 offset0:128 offset1:160
	;; [unrolled: 5-line block ×3, first 2 shown]
	v_add_u32_e32 v26, 0x1000, v10
	s_waitcnt lgkmcnt(0)
	v_fma_f64 v[4:5], v[4:5], v[20:21], v[24:25]
	v_fma_f64 v[24:25], v[6:7], v[22:23], v[4:5]
	ds_read_b128 v[4:7], v8 offset:128
	ds_read2_b64 v[20:23], v26 offset1:32
	s_waitcnt lgkmcnt(0)
	v_fma_f64 v[4:5], v[4:5], v[20:21], v[24:25]
	v_fma_f64 v[24:25], v[6:7], v[22:23], v[4:5]
	ds_read_b128 v[4:7], v8 offset:144
	ds_read2_b64 v[20:23], v26 offset0:64 offset1:96
	s_waitcnt lgkmcnt(0)
	v_fma_f64 v[4:5], v[4:5], v[20:21], v[24:25]
	v_fma_f64 v[24:25], v[6:7], v[22:23], v[4:5]
	ds_read_b128 v[4:7], v8 offset:160
	ds_read2_b64 v[20:23], v26 offset0:128 offset1:160
	;; [unrolled: 5-line block ×3, first 2 shown]
	s_waitcnt lgkmcnt(0)
	v_fma_f64 v[4:5], v[4:5], v[20:21], v[24:25]
	flat_load_dwordx2 v[24:25], v[2:3]
	v_fma_f64 v[26:27], v[6:7], v[22:23], v[4:5]
	ds_read2_b64 v[4:7], v28 offset1:32
	ds_read_b128 v[20:23], v8 offset:192
	s_waitcnt lgkmcnt(0)
	v_fma_f64 v[4:5], v[20:21], v[4:5], v[26:27]
	v_fma_f64 v[26:27], v[22:23], v[6:7], v[4:5]
	ds_read_b128 v[4:7], v8 offset:208
	ds_read2_b64 v[20:23], v28 offset0:64 offset1:96
	s_waitcnt lgkmcnt(0)
	v_fma_f64 v[4:5], v[4:5], v[20:21], v[26:27]
	v_fma_f64 v[26:27], v[6:7], v[22:23], v[4:5]
	ds_read2_b64 v[4:7], v28 offset0:128 offset1:160
	ds_read_b128 v[20:23], v8 offset:224
	s_waitcnt lgkmcnt(0)
	v_fma_f64 v[4:5], v[20:21], v[4:5], v[26:27]
	v_fma_f64 v[26:27], v[22:23], v[6:7], v[4:5]
	ds_read_b128 v[4:7], v8 offset:240
	ds_read2_b64 v[20:23], v28 offset0:192 offset1:224
	s_waitcnt lgkmcnt(0)
	v_fma_f64 v[4:5], v[4:5], v[20:21], v[26:27]
	v_fma_f64 v[4:5], v[6:7], v[22:23], v[4:5]
	s_waitcnt vmcnt(0)
	v_fma_f64 v[4:5], s[10:11], v[4:5], v[24:25]
	flat_store_dwordx2 v[2:3], v[4:5]
	s_branch .LBB1878_3
.LBB1878_16:
	s_endpgm
	.section	.rodata,"a",@progbits
	.p2align	6, 0x0
	.amdhsa_kernel _ZL26rocblas_syr2k_her2k_kernelIlLb1ELb0ELb0ELi32EPKdPKS1_PKPdEvbiT_T4_T5_S7_lS9_S7_lT6_S7_li
		.amdhsa_group_segment_fixed_size 16384
		.amdhsa_private_segment_fixed_size 0
		.amdhsa_kernarg_size 100
		.amdhsa_user_sgpr_count 6
		.amdhsa_user_sgpr_private_segment_buffer 1
		.amdhsa_user_sgpr_dispatch_ptr 0
		.amdhsa_user_sgpr_queue_ptr 0
		.amdhsa_user_sgpr_kernarg_segment_ptr 1
		.amdhsa_user_sgpr_dispatch_id 0
		.amdhsa_user_sgpr_flat_scratch_init 0
		.amdhsa_user_sgpr_private_segment_size 0
		.amdhsa_uses_dynamic_stack 0
		.amdhsa_system_sgpr_private_segment_wavefront_offset 0
		.amdhsa_system_sgpr_workgroup_id_x 1
		.amdhsa_system_sgpr_workgroup_id_y 1
		.amdhsa_system_sgpr_workgroup_id_z 1
		.amdhsa_system_sgpr_workgroup_info 0
		.amdhsa_system_vgpr_workitem_id 1
		.amdhsa_next_free_vgpr 29
		.amdhsa_next_free_sgpr 61
		.amdhsa_reserve_vcc 1
		.amdhsa_reserve_flat_scratch 0
		.amdhsa_float_round_mode_32 0
		.amdhsa_float_round_mode_16_64 0
		.amdhsa_float_denorm_mode_32 3
		.amdhsa_float_denorm_mode_16_64 3
		.amdhsa_dx10_clamp 1
		.amdhsa_ieee_mode 1
		.amdhsa_fp16_overflow 0
		.amdhsa_exception_fp_ieee_invalid_op 0
		.amdhsa_exception_fp_denorm_src 0
		.amdhsa_exception_fp_ieee_div_zero 0
		.amdhsa_exception_fp_ieee_overflow 0
		.amdhsa_exception_fp_ieee_underflow 0
		.amdhsa_exception_fp_ieee_inexact 0
		.amdhsa_exception_int_div_zero 0
	.end_amdhsa_kernel
	.section	.text._ZL26rocblas_syr2k_her2k_kernelIlLb1ELb0ELb0ELi32EPKdPKS1_PKPdEvbiT_T4_T5_S7_lS9_S7_lT6_S7_li,"axG",@progbits,_ZL26rocblas_syr2k_her2k_kernelIlLb1ELb0ELb0ELi32EPKdPKS1_PKPdEvbiT_T4_T5_S7_lS9_S7_lT6_S7_li,comdat
.Lfunc_end1878:
	.size	_ZL26rocblas_syr2k_her2k_kernelIlLb1ELb0ELb0ELi32EPKdPKS1_PKPdEvbiT_T4_T5_S7_lS9_S7_lT6_S7_li, .Lfunc_end1878-_ZL26rocblas_syr2k_her2k_kernelIlLb1ELb0ELb0ELi32EPKdPKS1_PKPdEvbiT_T4_T5_S7_lS9_S7_lT6_S7_li
                                        ; -- End function
	.set _ZL26rocblas_syr2k_her2k_kernelIlLb1ELb0ELb0ELi32EPKdPKS1_PKPdEvbiT_T4_T5_S7_lS9_S7_lT6_S7_li.num_vgpr, 29
	.set _ZL26rocblas_syr2k_her2k_kernelIlLb1ELb0ELb0ELi32EPKdPKS1_PKPdEvbiT_T4_T5_S7_lS9_S7_lT6_S7_li.num_agpr, 0
	.set _ZL26rocblas_syr2k_her2k_kernelIlLb1ELb0ELb0ELi32EPKdPKS1_PKPdEvbiT_T4_T5_S7_lS9_S7_lT6_S7_li.numbered_sgpr, 36
	.set _ZL26rocblas_syr2k_her2k_kernelIlLb1ELb0ELb0ELi32EPKdPKS1_PKPdEvbiT_T4_T5_S7_lS9_S7_lT6_S7_li.num_named_barrier, 0
	.set _ZL26rocblas_syr2k_her2k_kernelIlLb1ELb0ELb0ELi32EPKdPKS1_PKPdEvbiT_T4_T5_S7_lS9_S7_lT6_S7_li.private_seg_size, 0
	.set _ZL26rocblas_syr2k_her2k_kernelIlLb1ELb0ELb0ELi32EPKdPKS1_PKPdEvbiT_T4_T5_S7_lS9_S7_lT6_S7_li.uses_vcc, 1
	.set _ZL26rocblas_syr2k_her2k_kernelIlLb1ELb0ELb0ELi32EPKdPKS1_PKPdEvbiT_T4_T5_S7_lS9_S7_lT6_S7_li.uses_flat_scratch, 0
	.set _ZL26rocblas_syr2k_her2k_kernelIlLb1ELb0ELb0ELi32EPKdPKS1_PKPdEvbiT_T4_T5_S7_lS9_S7_lT6_S7_li.has_dyn_sized_stack, 0
	.set _ZL26rocblas_syr2k_her2k_kernelIlLb1ELb0ELb0ELi32EPKdPKS1_PKPdEvbiT_T4_T5_S7_lS9_S7_lT6_S7_li.has_recursion, 0
	.set _ZL26rocblas_syr2k_her2k_kernelIlLb1ELb0ELb0ELi32EPKdPKS1_PKPdEvbiT_T4_T5_S7_lS9_S7_lT6_S7_li.has_indirect_call, 0
	.section	.AMDGPU.csdata,"",@progbits
; Kernel info:
; codeLenInByte = 2204
; TotalNumSgprs: 40
; NumVgprs: 29
; ScratchSize: 0
; MemoryBound: 0
; FloatMode: 240
; IeeeMode: 1
; LDSByteSize: 16384 bytes/workgroup (compile time only)
; SGPRBlocks: 8
; VGPRBlocks: 7
; NumSGPRsForWavesPerEU: 65
; NumVGPRsForWavesPerEU: 29
; Occupancy: 8
; WaveLimiterHint : 1
; COMPUTE_PGM_RSRC2:SCRATCH_EN: 0
; COMPUTE_PGM_RSRC2:USER_SGPR: 6
; COMPUTE_PGM_RSRC2:TRAP_HANDLER: 0
; COMPUTE_PGM_RSRC2:TGID_X_EN: 1
; COMPUTE_PGM_RSRC2:TGID_Y_EN: 1
; COMPUTE_PGM_RSRC2:TGID_Z_EN: 1
; COMPUTE_PGM_RSRC2:TIDIG_COMP_CNT: 1
	.section	.text._ZL26rocblas_syr2k_her2k_kernelIlLb1ELb0ELb1ELi32EPKdPKS1_PKPdEvbiT_T4_T5_S7_lS9_S7_lT6_S7_li,"axG",@progbits,_ZL26rocblas_syr2k_her2k_kernelIlLb1ELb0ELb1ELi32EPKdPKS1_PKPdEvbiT_T4_T5_S7_lS9_S7_lT6_S7_li,comdat
	.globl	_ZL26rocblas_syr2k_her2k_kernelIlLb1ELb0ELb1ELi32EPKdPKS1_PKPdEvbiT_T4_T5_S7_lS9_S7_lT6_S7_li ; -- Begin function _ZL26rocblas_syr2k_her2k_kernelIlLb1ELb0ELb1ELi32EPKdPKS1_PKPdEvbiT_T4_T5_S7_lS9_S7_lT6_S7_li
	.p2align	8
	.type	_ZL26rocblas_syr2k_her2k_kernelIlLb1ELb0ELb1ELi32EPKdPKS1_PKPdEvbiT_T4_T5_S7_lS9_S7_lT6_S7_li,@function
_ZL26rocblas_syr2k_her2k_kernelIlLb1ELb0ELb1ELi32EPKdPKS1_PKPdEvbiT_T4_T5_S7_lS9_S7_lT6_S7_li: ; @_ZL26rocblas_syr2k_her2k_kernelIlLb1ELb0ELb1ELi32EPKdPKS1_PKPdEvbiT_T4_T5_S7_lS9_S7_lT6_S7_li
; %bb.0:
	s_load_dwordx16 s[12:27], s[4:5], 0x8
	s_waitcnt lgkmcnt(0)
	s_load_dwordx2 s[10:11], s[14:15], 0x0
	s_waitcnt lgkmcnt(0)
	v_cmp_eq_f64_e64 s[0:1], s[10:11], 0
	s_and_b64 vcc, exec, s[0:1]
	s_cbranch_vccnz .LBB1879_16
; %bb.1:
	s_load_dwordx2 s[14:15], s[4:5], 0x0
	s_lshl_b32 s2, s7, 5
	s_lshl_b32 s3, s6, 5
	s_waitcnt lgkmcnt(0)
	s_and_b32 s0, 1, s14
	s_cmp_eq_u32 s0, 1
	s_cselect_b64 s[0:1], -1, 0
	s_and_b64 s[6:7], s[0:1], exec
	s_cselect_b32 s6, s3, s2
	s_cselect_b32 s7, s2, s3
	s_cmp_gt_i32 s6, s7
	v_cmp_lt_i64_e64 s[6:7], s[12:13], 1
	s_cselect_b64 s[28:29], -1, 0
	s_or_b64 s[6:7], s[28:29], s[6:7]
	s_and_b64 vcc, exec, s[6:7]
	s_cbranch_vccnz .LBB1879_16
; %bb.2:
	s_mov_b32 s9, 0
	s_load_dwordx4 s[28:31], s[4:5], 0x48
	s_load_dwordx2 s[34:35], s[4:5], 0x58
	s_lshl_b64 s[4:5], s[8:9], 3
	s_add_u32 s16, s16, s4
	s_addc_u32 s17, s17, s5
	s_add_u32 s22, s22, s4
	s_addc_u32 s23, s23, s5
	s_waitcnt lgkmcnt(0)
	s_add_u32 s4, s28, s4
	s_addc_u32 s5, s29, s5
	s_load_dwordx2 s[28:29], s[4:5], 0x0
	s_load_dwordx2 s[6:7], s[16:17], 0x0
	;; [unrolled: 1-line block ×3, first 2 shown]
	s_lshl_b64 s[4:5], s[34:35], 3
	v_add_u32_e32 v4, s2, v1
	s_waitcnt lgkmcnt(0)
	s_add_u32 s16, s28, s4
	s_addc_u32 s14, s29, s5
	v_add_u32_e32 v6, s3, v0
	s_ashr_i32 s3, s15, 31
	s_mov_b32 s2, s15
	v_mov_b32_e32 v7, 0
	v_ashrrev_i32_e32 v2, 31, v4
	v_cndmask_b32_e64 v12, v6, v4, s[0:1]
	v_cndmask_b32_e64 v13, v4, v6, s[0:1]
	v_cmp_gt_i64_e64 s[0:1], s[2:3], v[6:7]
	v_mov_b32_e32 v5, v7
	v_mul_lo_u32 v7, s30, v2
	v_mul_lo_u32 v14, s31, v4
	v_mad_u64_u32 v[2:3], s[4:5], s30, v4, 0
	v_cmp_gt_i64_e64 s[2:3], s[2:3], v[4:5]
	v_max_i32_e32 v5, v6, v4
	v_cmp_gt_i32_e32 vcc, s15, v5
	v_cmp_le_i32_e64 s[4:5], v13, v12
	v_add3_u32 v3, v3, v7, v14
	v_mov_b32_e32 v5, s14
	v_mad_u64_u32 v[12:13], s[14:15], s18, v4, 0
	v_lshlrev_b64 v[2:3], 3, v[2:3]
	s_and_b64 s[4:5], s[4:5], vcc
	v_add_co_u32_e32 v15, vcc, s16, v2
	v_addc_co_u32_e32 v16, vcc, v5, v3, vcc
	v_mov_b32_e32 v5, v13
	v_mad_u64_u32 v[13:14], s[14:15], s19, v4, v[5:6]
	v_ashrrev_i32_e32 v7, 31, v6
	v_lshlrev_b64 v[2:3], 3, v[6:7]
	v_lshlrev_b64 v[12:13], 3, v[12:13]
	v_add_co_u32_e32 v2, vcc, v15, v2
	v_mad_u64_u32 v[14:15], s[16:17], s24, v4, 0
	v_addc_co_u32_e32 v3, vcc, v16, v3, vcc
	s_lshl_b64 s[14:15], s[20:21], 3
	v_mov_b32_e32 v7, s15
	v_add_co_u32_e32 v5, vcc, s14, v12
	v_addc_co_u32_e32 v12, vcc, v13, v7, vcc
	v_lshlrev_b32_e32 v16, 3, v0
	v_add_co_u32_e32 v13, vcc, v5, v16
	v_mov_b32_e32 v5, v15
	v_mad_u64_u32 v[4:5], s[16:17], s25, v4, v[5:6]
	v_addc_co_u32_e32 v17, vcc, 0, v12, vcc
	v_mov_b32_e32 v15, v4
	v_mov_b32_e32 v19, s7
	v_add_co_u32_e32 v12, vcc, s6, v13
	v_lshlrev_b64 v[4:5], 3, v[14:15]
	v_addc_co_u32_e32 v13, vcc, v19, v17, vcc
	s_lshl_b64 s[16:17], s[26:27], 3
	v_mov_b32_e32 v20, s17
	v_add_co_u32_e32 v14, vcc, s16, v4
	v_addc_co_u32_e32 v15, vcc, v5, v20, vcc
	v_mad_u64_u32 v[4:5], s[20:21], s24, v6, 0
	v_add_co_u32_e32 v14, vcc, v14, v16
	v_mad_u64_u32 v[16:17], s[20:21], s25, v6, v[5:6]
	v_addc_co_u32_e32 v15, vcc, 0, v15, vcc
	v_mov_b32_e32 v5, v16
	v_mov_b32_e32 v21, s9
	v_add_co_u32_e32 v14, vcc, s8, v14
	v_lshlrev_b64 v[4:5], 3, v[4:5]
	v_addc_co_u32_e32 v15, vcc, v21, v15, vcc
	v_add_co_u32_e32 v16, vcc, s16, v4
	v_addc_co_u32_e32 v17, vcc, v5, v20, vcc
	v_mad_u64_u32 v[4:5], s[16:17], s18, v6, 0
	v_lshlrev_b32_e32 v18, 3, v1
	v_add_co_u32_e32 v16, vcc, v16, v18
	v_mad_u64_u32 v[5:6], s[16:17], s19, v6, v[5:6]
	v_addc_co_u32_e32 v17, vcc, 0, v17, vcc
	v_add_co_u32_e32 v16, vcc, s8, v16
	v_lshlrev_b64 v[4:5], 3, v[4:5]
	v_addc_co_u32_e32 v17, vcc, v21, v17, vcc
	v_add_co_u32_e32 v4, vcc, s14, v4
	v_addc_co_u32_e32 v5, vcc, v5, v7, vcc
	v_add_co_u32_e32 v4, vcc, v4, v18
	v_lshlrev_b32_e32 v8, 8, v0
	v_addc_co_u32_e32 v5, vcc, 0, v5, vcc
	v_add_u32_e32 v9, v8, v18
	v_or_b32_e32 v10, 0x2000, v18
	v_add_co_u32_e32 v18, vcc, s6, v4
	v_add_u32_e32 v11, v10, v8
	v_addc_co_u32_e32 v19, vcc, v19, v5, vcc
	s_mov_b64 s[6:7], 0
	s_mov_b64 s[8:9], 0
	s_branch .LBB1879_4
.LBB1879_3:                             ;   in Loop: Header=BB1879_4 Depth=1
	s_or_b64 exec, exec, s[14:15]
	s_add_u32 s8, s8, 32
	v_mov_b32_e32 v4, s12
	s_addc_u32 s9, s9, 0
	v_mov_b32_e32 v5, s13
	v_cmp_lt_i64_e32 vcc, s[8:9], v[4:5]
	s_add_u32 s6, s6, 0x100
	s_addc_u32 s7, s7, 0
	s_waitcnt vmcnt(0) lgkmcnt(0)
	s_barrier
	s_cbranch_vccz .LBB1879_16
.LBB1879_4:                             ; =>This Inner Loop Header: Depth=1
	v_mov_b32_e32 v5, s9
	v_add_co_u32_e32 v4, vcc, s8, v1
	v_addc_co_u32_e32 v5, vcc, 0, v5, vcc
	v_cmp_gt_i64_e32 vcc, s[12:13], v[4:5]
	v_mov_b32_e32 v4, 0
	v_mov_b32_e32 v6, 0
	;; [unrolled: 1-line block ×4, first 2 shown]
	s_and_b64 s[14:15], s[0:1], vcc
	s_and_saveexec_b64 s[16:17], s[14:15]
	s_cbranch_execz .LBB1879_6
; %bb.5:                                ;   in Loop: Header=BB1879_4 Depth=1
	v_mov_b32_e32 v7, s7
	v_add_co_u32_e32 v6, vcc, s6, v18
	v_addc_co_u32_e32 v7, vcc, v19, v7, vcc
	flat_load_dwordx2 v[6:7], v[6:7]
.LBB1879_6:                             ;   in Loop: Header=BB1879_4 Depth=1
	s_or_b64 exec, exec, s[16:17]
	v_mov_b32_e32 v21, s9
	v_add_co_u32_e32 v20, vcc, s8, v0
	v_addc_co_u32_e32 v21, vcc, 0, v21, vcc
	v_cmp_gt_i64_e32 vcc, s[12:13], v[20:21]
	s_waitcnt vmcnt(0) lgkmcnt(0)
	ds_write_b64 v9, v[6:7]
	s_and_b64 s[16:17], s[2:3], vcc
	s_and_saveexec_b64 s[18:19], s[16:17]
	s_cbranch_execz .LBB1879_8
; %bb.7:                                ;   in Loop: Header=BB1879_4 Depth=1
	v_mov_b32_e32 v5, s7
	v_add_co_u32_e32 v4, vcc, s6, v14
	v_addc_co_u32_e32 v5, vcc, v15, v5, vcc
	flat_load_dwordx2 v[4:5], v[4:5]
.LBB1879_8:                             ;   in Loop: Header=BB1879_4 Depth=1
	s_or_b64 exec, exec, s[18:19]
	s_waitcnt vmcnt(0) lgkmcnt(0)
	ds_write_b64 v11, v[4:5]
	s_waitcnt lgkmcnt(0)
	s_barrier
	s_and_saveexec_b64 s[18:19], s[4:5]
	s_cbranch_execz .LBB1879_10
; %bb.9:                                ;   in Loop: Header=BB1879_4 Depth=1
	ds_read2_b64 v[4:7], v10 offset1:32
	ds_read_b128 v[20:23], v8
	v_add_u32_e32 v26, 0x800, v10
	v_add_u32_e32 v28, 0x1800, v10
	s_waitcnt lgkmcnt(0)
	v_fma_f64 v[4:5], v[20:21], v[4:5], 0
	v_fma_f64 v[24:25], v[22:23], v[6:7], v[4:5]
	ds_read_b128 v[4:7], v8 offset:16
	ds_read2_b64 v[20:23], v10 offset0:64 offset1:96
	s_waitcnt lgkmcnt(0)
	v_fma_f64 v[4:5], v[4:5], v[20:21], v[24:25]
	v_fma_f64 v[24:25], v[6:7], v[22:23], v[4:5]
	ds_read2_b64 v[4:7], v10 offset0:128 offset1:160
	ds_read_b128 v[20:23], v8 offset:32
	s_waitcnt lgkmcnt(0)
	v_fma_f64 v[4:5], v[20:21], v[4:5], v[24:25]
	v_fma_f64 v[24:25], v[22:23], v[6:7], v[4:5]
	ds_read_b128 v[4:7], v8 offset:48
	ds_read2_b64 v[20:23], v10 offset0:192 offset1:224
	s_waitcnt lgkmcnt(0)
	v_fma_f64 v[4:5], v[4:5], v[20:21], v[24:25]
	v_fma_f64 v[24:25], v[6:7], v[22:23], v[4:5]
	ds_read_b128 v[4:7], v8 offset:64
	ds_read2_b64 v[20:23], v26 offset1:32
	s_waitcnt lgkmcnt(0)
	v_fma_f64 v[4:5], v[4:5], v[20:21], v[24:25]
	v_fma_f64 v[24:25], v[6:7], v[22:23], v[4:5]
	ds_read_b128 v[4:7], v8 offset:80
	ds_read2_b64 v[20:23], v26 offset0:64 offset1:96
	s_waitcnt lgkmcnt(0)
	v_fma_f64 v[4:5], v[4:5], v[20:21], v[24:25]
	v_fma_f64 v[24:25], v[6:7], v[22:23], v[4:5]
	ds_read_b128 v[4:7], v8 offset:96
	ds_read2_b64 v[20:23], v26 offset0:128 offset1:160
	s_waitcnt lgkmcnt(0)
	v_fma_f64 v[4:5], v[4:5], v[20:21], v[24:25]
	v_fma_f64 v[24:25], v[6:7], v[22:23], v[4:5]
	ds_read_b128 v[4:7], v8 offset:112
	ds_read2_b64 v[20:23], v26 offset0:192 offset1:224
	v_add_u32_e32 v26, 0x1000, v10
	s_waitcnt lgkmcnt(0)
	v_fma_f64 v[4:5], v[4:5], v[20:21], v[24:25]
	v_fma_f64 v[24:25], v[6:7], v[22:23], v[4:5]
	ds_read_b128 v[4:7], v8 offset:128
	ds_read2_b64 v[20:23], v26 offset1:32
	s_waitcnt lgkmcnt(0)
	v_fma_f64 v[4:5], v[4:5], v[20:21], v[24:25]
	v_fma_f64 v[24:25], v[6:7], v[22:23], v[4:5]
	ds_read_b128 v[4:7], v8 offset:144
	ds_read2_b64 v[20:23], v26 offset0:64 offset1:96
	s_waitcnt lgkmcnt(0)
	v_fma_f64 v[4:5], v[4:5], v[20:21], v[24:25]
	v_fma_f64 v[24:25], v[6:7], v[22:23], v[4:5]
	ds_read_b128 v[4:7], v8 offset:160
	ds_read2_b64 v[20:23], v26 offset0:128 offset1:160
	;; [unrolled: 5-line block ×3, first 2 shown]
	s_waitcnt lgkmcnt(0)
	v_fma_f64 v[4:5], v[4:5], v[20:21], v[24:25]
	flat_load_dwordx2 v[24:25], v[2:3]
	v_fma_f64 v[26:27], v[6:7], v[22:23], v[4:5]
	ds_read2_b64 v[4:7], v28 offset1:32
	ds_read_b128 v[20:23], v8 offset:192
	s_waitcnt lgkmcnt(0)
	v_fma_f64 v[4:5], v[20:21], v[4:5], v[26:27]
	v_fma_f64 v[26:27], v[22:23], v[6:7], v[4:5]
	ds_read_b128 v[4:7], v8 offset:208
	ds_read2_b64 v[20:23], v28 offset0:64 offset1:96
	s_waitcnt lgkmcnt(0)
	v_fma_f64 v[4:5], v[4:5], v[20:21], v[26:27]
	v_fma_f64 v[26:27], v[6:7], v[22:23], v[4:5]
	ds_read2_b64 v[4:7], v28 offset0:128 offset1:160
	ds_read_b128 v[20:23], v8 offset:224
	s_waitcnt lgkmcnt(0)
	v_fma_f64 v[4:5], v[20:21], v[4:5], v[26:27]
	v_fma_f64 v[26:27], v[22:23], v[6:7], v[4:5]
	ds_read_b128 v[4:7], v8 offset:240
	ds_read2_b64 v[20:23], v28 offset0:192 offset1:224
	s_waitcnt lgkmcnt(0)
	v_fma_f64 v[4:5], v[4:5], v[20:21], v[26:27]
	v_fma_f64 v[4:5], v[6:7], v[22:23], v[4:5]
	s_waitcnt vmcnt(0)
	v_fma_f64 v[4:5], s[10:11], v[4:5], v[24:25]
	flat_store_dwordx2 v[2:3], v[4:5]
.LBB1879_10:                            ;   in Loop: Header=BB1879_4 Depth=1
	s_or_b64 exec, exec, s[18:19]
	v_mov_b32_e32 v4, 0
	v_mov_b32_e32 v6, 0
	;; [unrolled: 1-line block ×4, first 2 shown]
	s_waitcnt vmcnt(0) lgkmcnt(0)
	s_barrier
	s_and_saveexec_b64 s[18:19], s[14:15]
	s_cbranch_execz .LBB1879_12
; %bb.11:                               ;   in Loop: Header=BB1879_4 Depth=1
	v_mov_b32_e32 v7, s7
	v_add_co_u32_e32 v6, vcc, s6, v16
	v_addc_co_u32_e32 v7, vcc, v17, v7, vcc
	flat_load_dwordx2 v[6:7], v[6:7]
.LBB1879_12:                            ;   in Loop: Header=BB1879_4 Depth=1
	s_or_b64 exec, exec, s[18:19]
	s_waitcnt vmcnt(0) lgkmcnt(0)
	ds_write_b64 v9, v[6:7]
	s_and_saveexec_b64 s[14:15], s[16:17]
	s_cbranch_execz .LBB1879_14
; %bb.13:                               ;   in Loop: Header=BB1879_4 Depth=1
	v_mov_b32_e32 v5, s7
	v_add_co_u32_e32 v4, vcc, s6, v12
	v_addc_co_u32_e32 v5, vcc, v13, v5, vcc
	flat_load_dwordx2 v[4:5], v[4:5]
.LBB1879_14:                            ;   in Loop: Header=BB1879_4 Depth=1
	s_or_b64 exec, exec, s[14:15]
	s_waitcnt vmcnt(0) lgkmcnt(0)
	ds_write_b64 v11, v[4:5]
	s_waitcnt lgkmcnt(0)
	s_barrier
	s_and_saveexec_b64 s[14:15], s[4:5]
	s_cbranch_execz .LBB1879_3
; %bb.15:                               ;   in Loop: Header=BB1879_4 Depth=1
	ds_read2_b64 v[4:7], v10 offset1:32
	ds_read_b128 v[20:23], v8
	v_add_u32_e32 v26, 0x800, v10
	v_add_u32_e32 v28, 0x1800, v10
	s_waitcnt lgkmcnt(0)
	v_fma_f64 v[4:5], v[20:21], v[4:5], 0
	v_fma_f64 v[24:25], v[22:23], v[6:7], v[4:5]
	ds_read_b128 v[4:7], v8 offset:16
	ds_read2_b64 v[20:23], v10 offset0:64 offset1:96
	s_waitcnt lgkmcnt(0)
	v_fma_f64 v[4:5], v[4:5], v[20:21], v[24:25]
	v_fma_f64 v[24:25], v[6:7], v[22:23], v[4:5]
	ds_read2_b64 v[4:7], v10 offset0:128 offset1:160
	ds_read_b128 v[20:23], v8 offset:32
	s_waitcnt lgkmcnt(0)
	v_fma_f64 v[4:5], v[20:21], v[4:5], v[24:25]
	v_fma_f64 v[24:25], v[22:23], v[6:7], v[4:5]
	ds_read_b128 v[4:7], v8 offset:48
	ds_read2_b64 v[20:23], v10 offset0:192 offset1:224
	s_waitcnt lgkmcnt(0)
	v_fma_f64 v[4:5], v[4:5], v[20:21], v[24:25]
	v_fma_f64 v[24:25], v[6:7], v[22:23], v[4:5]
	ds_read_b128 v[4:7], v8 offset:64
	ds_read2_b64 v[20:23], v26 offset1:32
	s_waitcnt lgkmcnt(0)
	v_fma_f64 v[4:5], v[4:5], v[20:21], v[24:25]
	v_fma_f64 v[24:25], v[6:7], v[22:23], v[4:5]
	ds_read_b128 v[4:7], v8 offset:80
	ds_read2_b64 v[20:23], v26 offset0:64 offset1:96
	s_waitcnt lgkmcnt(0)
	v_fma_f64 v[4:5], v[4:5], v[20:21], v[24:25]
	v_fma_f64 v[24:25], v[6:7], v[22:23], v[4:5]
	ds_read_b128 v[4:7], v8 offset:96
	ds_read2_b64 v[20:23], v26 offset0:128 offset1:160
	s_waitcnt lgkmcnt(0)
	v_fma_f64 v[4:5], v[4:5], v[20:21], v[24:25]
	v_fma_f64 v[24:25], v[6:7], v[22:23], v[4:5]
	ds_read_b128 v[4:7], v8 offset:112
	ds_read2_b64 v[20:23], v26 offset0:192 offset1:224
	v_add_u32_e32 v26, 0x1000, v10
	s_waitcnt lgkmcnt(0)
	v_fma_f64 v[4:5], v[4:5], v[20:21], v[24:25]
	v_fma_f64 v[24:25], v[6:7], v[22:23], v[4:5]
	ds_read_b128 v[4:7], v8 offset:128
	ds_read2_b64 v[20:23], v26 offset1:32
	s_waitcnt lgkmcnt(0)
	v_fma_f64 v[4:5], v[4:5], v[20:21], v[24:25]
	v_fma_f64 v[24:25], v[6:7], v[22:23], v[4:5]
	ds_read_b128 v[4:7], v8 offset:144
	ds_read2_b64 v[20:23], v26 offset0:64 offset1:96
	s_waitcnt lgkmcnt(0)
	v_fma_f64 v[4:5], v[4:5], v[20:21], v[24:25]
	v_fma_f64 v[24:25], v[6:7], v[22:23], v[4:5]
	ds_read_b128 v[4:7], v8 offset:160
	ds_read2_b64 v[20:23], v26 offset0:128 offset1:160
	;; [unrolled: 5-line block ×3, first 2 shown]
	s_waitcnt lgkmcnt(0)
	v_fma_f64 v[4:5], v[4:5], v[20:21], v[24:25]
	flat_load_dwordx2 v[24:25], v[2:3]
	v_fma_f64 v[26:27], v[6:7], v[22:23], v[4:5]
	ds_read2_b64 v[4:7], v28 offset1:32
	ds_read_b128 v[20:23], v8 offset:192
	s_waitcnt lgkmcnt(0)
	v_fma_f64 v[4:5], v[20:21], v[4:5], v[26:27]
	v_fma_f64 v[26:27], v[22:23], v[6:7], v[4:5]
	ds_read_b128 v[4:7], v8 offset:208
	ds_read2_b64 v[20:23], v28 offset0:64 offset1:96
	s_waitcnt lgkmcnt(0)
	v_fma_f64 v[4:5], v[4:5], v[20:21], v[26:27]
	v_fma_f64 v[26:27], v[6:7], v[22:23], v[4:5]
	ds_read2_b64 v[4:7], v28 offset0:128 offset1:160
	ds_read_b128 v[20:23], v8 offset:224
	s_waitcnt lgkmcnt(0)
	v_fma_f64 v[4:5], v[20:21], v[4:5], v[26:27]
	v_fma_f64 v[26:27], v[22:23], v[6:7], v[4:5]
	ds_read_b128 v[4:7], v8 offset:240
	ds_read2_b64 v[20:23], v28 offset0:192 offset1:224
	s_waitcnt lgkmcnt(0)
	v_fma_f64 v[4:5], v[4:5], v[20:21], v[26:27]
	v_fma_f64 v[4:5], v[6:7], v[22:23], v[4:5]
	s_waitcnt vmcnt(0)
	v_fma_f64 v[4:5], s[10:11], v[4:5], v[24:25]
	flat_store_dwordx2 v[2:3], v[4:5]
	s_branch .LBB1879_3
.LBB1879_16:
	s_endpgm
	.section	.rodata,"a",@progbits
	.p2align	6, 0x0
	.amdhsa_kernel _ZL26rocblas_syr2k_her2k_kernelIlLb1ELb0ELb1ELi32EPKdPKS1_PKPdEvbiT_T4_T5_S7_lS9_S7_lT6_S7_li
		.amdhsa_group_segment_fixed_size 16384
		.amdhsa_private_segment_fixed_size 0
		.amdhsa_kernarg_size 100
		.amdhsa_user_sgpr_count 6
		.amdhsa_user_sgpr_private_segment_buffer 1
		.amdhsa_user_sgpr_dispatch_ptr 0
		.amdhsa_user_sgpr_queue_ptr 0
		.amdhsa_user_sgpr_kernarg_segment_ptr 1
		.amdhsa_user_sgpr_dispatch_id 0
		.amdhsa_user_sgpr_flat_scratch_init 0
		.amdhsa_user_sgpr_private_segment_size 0
		.amdhsa_uses_dynamic_stack 0
		.amdhsa_system_sgpr_private_segment_wavefront_offset 0
		.amdhsa_system_sgpr_workgroup_id_x 1
		.amdhsa_system_sgpr_workgroup_id_y 1
		.amdhsa_system_sgpr_workgroup_id_z 1
		.amdhsa_system_sgpr_workgroup_info 0
		.amdhsa_system_vgpr_workitem_id 1
		.amdhsa_next_free_vgpr 29
		.amdhsa_next_free_sgpr 61
		.amdhsa_reserve_vcc 1
		.amdhsa_reserve_flat_scratch 0
		.amdhsa_float_round_mode_32 0
		.amdhsa_float_round_mode_16_64 0
		.amdhsa_float_denorm_mode_32 3
		.amdhsa_float_denorm_mode_16_64 3
		.amdhsa_dx10_clamp 1
		.amdhsa_ieee_mode 1
		.amdhsa_fp16_overflow 0
		.amdhsa_exception_fp_ieee_invalid_op 0
		.amdhsa_exception_fp_denorm_src 0
		.amdhsa_exception_fp_ieee_div_zero 0
		.amdhsa_exception_fp_ieee_overflow 0
		.amdhsa_exception_fp_ieee_underflow 0
		.amdhsa_exception_fp_ieee_inexact 0
		.amdhsa_exception_int_div_zero 0
	.end_amdhsa_kernel
	.section	.text._ZL26rocblas_syr2k_her2k_kernelIlLb1ELb0ELb1ELi32EPKdPKS1_PKPdEvbiT_T4_T5_S7_lS9_S7_lT6_S7_li,"axG",@progbits,_ZL26rocblas_syr2k_her2k_kernelIlLb1ELb0ELb1ELi32EPKdPKS1_PKPdEvbiT_T4_T5_S7_lS9_S7_lT6_S7_li,comdat
.Lfunc_end1879:
	.size	_ZL26rocblas_syr2k_her2k_kernelIlLb1ELb0ELb1ELi32EPKdPKS1_PKPdEvbiT_T4_T5_S7_lS9_S7_lT6_S7_li, .Lfunc_end1879-_ZL26rocblas_syr2k_her2k_kernelIlLb1ELb0ELb1ELi32EPKdPKS1_PKPdEvbiT_T4_T5_S7_lS9_S7_lT6_S7_li
                                        ; -- End function
	.set _ZL26rocblas_syr2k_her2k_kernelIlLb1ELb0ELb1ELi32EPKdPKS1_PKPdEvbiT_T4_T5_S7_lS9_S7_lT6_S7_li.num_vgpr, 29
	.set _ZL26rocblas_syr2k_her2k_kernelIlLb1ELb0ELb1ELi32EPKdPKS1_PKPdEvbiT_T4_T5_S7_lS9_S7_lT6_S7_li.num_agpr, 0
	.set _ZL26rocblas_syr2k_her2k_kernelIlLb1ELb0ELb1ELi32EPKdPKS1_PKPdEvbiT_T4_T5_S7_lS9_S7_lT6_S7_li.numbered_sgpr, 36
	.set _ZL26rocblas_syr2k_her2k_kernelIlLb1ELb0ELb1ELi32EPKdPKS1_PKPdEvbiT_T4_T5_S7_lS9_S7_lT6_S7_li.num_named_barrier, 0
	.set _ZL26rocblas_syr2k_her2k_kernelIlLb1ELb0ELb1ELi32EPKdPKS1_PKPdEvbiT_T4_T5_S7_lS9_S7_lT6_S7_li.private_seg_size, 0
	.set _ZL26rocblas_syr2k_her2k_kernelIlLb1ELb0ELb1ELi32EPKdPKS1_PKPdEvbiT_T4_T5_S7_lS9_S7_lT6_S7_li.uses_vcc, 1
	.set _ZL26rocblas_syr2k_her2k_kernelIlLb1ELb0ELb1ELi32EPKdPKS1_PKPdEvbiT_T4_T5_S7_lS9_S7_lT6_S7_li.uses_flat_scratch, 0
	.set _ZL26rocblas_syr2k_her2k_kernelIlLb1ELb0ELb1ELi32EPKdPKS1_PKPdEvbiT_T4_T5_S7_lS9_S7_lT6_S7_li.has_dyn_sized_stack, 0
	.set _ZL26rocblas_syr2k_her2k_kernelIlLb1ELb0ELb1ELi32EPKdPKS1_PKPdEvbiT_T4_T5_S7_lS9_S7_lT6_S7_li.has_recursion, 0
	.set _ZL26rocblas_syr2k_her2k_kernelIlLb1ELb0ELb1ELi32EPKdPKS1_PKPdEvbiT_T4_T5_S7_lS9_S7_lT6_S7_li.has_indirect_call, 0
	.section	.AMDGPU.csdata,"",@progbits
; Kernel info:
; codeLenInByte = 2232
; TotalNumSgprs: 40
; NumVgprs: 29
; ScratchSize: 0
; MemoryBound: 0
; FloatMode: 240
; IeeeMode: 1
; LDSByteSize: 16384 bytes/workgroup (compile time only)
; SGPRBlocks: 8
; VGPRBlocks: 7
; NumSGPRsForWavesPerEU: 65
; NumVGPRsForWavesPerEU: 29
; Occupancy: 8
; WaveLimiterHint : 1
; COMPUTE_PGM_RSRC2:SCRATCH_EN: 0
; COMPUTE_PGM_RSRC2:USER_SGPR: 6
; COMPUTE_PGM_RSRC2:TRAP_HANDLER: 0
; COMPUTE_PGM_RSRC2:TGID_X_EN: 1
; COMPUTE_PGM_RSRC2:TGID_Y_EN: 1
; COMPUTE_PGM_RSRC2:TGID_Z_EN: 1
; COMPUTE_PGM_RSRC2:TIDIG_COMP_CNT: 1
	.section	.text._ZL26rocblas_syr2k_her2k_kernelIlLb1ELb0ELb0ELi32E19rocblas_complex_numIfEPKPKS1_PKPS1_EvbiT_T4_T5_S9_lSB_S9_lT6_S9_li,"axG",@progbits,_ZL26rocblas_syr2k_her2k_kernelIlLb1ELb0ELb0ELi32E19rocblas_complex_numIfEPKPKS1_PKPS1_EvbiT_T4_T5_S9_lSB_S9_lT6_S9_li,comdat
	.globl	_ZL26rocblas_syr2k_her2k_kernelIlLb1ELb0ELb0ELi32E19rocblas_complex_numIfEPKPKS1_PKPS1_EvbiT_T4_T5_S9_lSB_S9_lT6_S9_li ; -- Begin function _ZL26rocblas_syr2k_her2k_kernelIlLb1ELb0ELb0ELi32E19rocblas_complex_numIfEPKPKS1_PKPS1_EvbiT_T4_T5_S9_lSB_S9_lT6_S9_li
	.p2align	8
	.type	_ZL26rocblas_syr2k_her2k_kernelIlLb1ELb0ELb0ELi32E19rocblas_complex_numIfEPKPKS1_PKPS1_EvbiT_T4_T5_S9_lSB_S9_lT6_S9_li,@function
_ZL26rocblas_syr2k_her2k_kernelIlLb1ELb0ELb0ELi32E19rocblas_complex_numIfEPKPKS1_PKPS1_EvbiT_T4_T5_S9_lSB_S9_lT6_S9_li: ; @_ZL26rocblas_syr2k_her2k_kernelIlLb1ELb0ELb0ELi32E19rocblas_complex_numIfEPKPKS1_PKPS1_EvbiT_T4_T5_S9_lSB_S9_lT6_S9_li
; %bb.0:
	s_load_dwordx2 s[10:11], s[4:5], 0x10
	s_waitcnt lgkmcnt(0)
	v_cmp_eq_f32_e64 s[0:1], s10, 0
	v_cmp_eq_f32_e64 s[2:3], s11, 0
	s_and_b64 s[0:1], s[0:1], s[2:3]
	s_and_b64 vcc, exec, s[0:1]
	s_cbranch_vccnz .LBB1880_16
; %bb.1:
	s_load_dwordx4 s[28:31], s[4:5], 0x0
	s_lshl_b32 s2, s7, 5
	s_lshl_b32 s3, s6, 5
	s_waitcnt lgkmcnt(0)
	s_and_b32 s0, 1, s28
	s_cmp_eq_u32 s0, 1
	s_cselect_b64 s[0:1], -1, 0
	s_and_b64 s[6:7], s[0:1], exec
	s_cselect_b32 s6, s3, s2
	s_cselect_b32 s7, s2, s3
	s_cmp_gt_i32 s6, s7
	v_cmp_lt_i64_e64 s[6:7], s[30:31], 1
	s_cselect_b64 s[12:13], -1, 0
	s_or_b64 s[6:7], s[12:13], s[6:7]
	s_and_b64 vcc, exec, s[6:7]
	s_cbranch_vccnz .LBB1880_16
; %bb.2:
	s_load_dwordx16 s[12:27], s[4:5], 0x18
	s_mov_b32 s9, 0
	s_lshl_b64 s[6:7], s[8:9], 3
	s_load_dwordx2 s[4:5], s[4:5], 0x58
	v_add_u32_e32 v2, s2, v1
	s_waitcnt lgkmcnt(0)
	s_add_u32 s8, s12, s6
	s_addc_u32 s9, s13, s7
	s_add_u32 s12, s18, s6
	s_addc_u32 s13, s19, s7
	;; [unrolled: 2-line block ×3, first 2 shown]
	s_load_dwordx2 s[18:19], s[6:7], 0x0
	s_load_dwordx2 s[24:25], s[8:9], 0x0
	;; [unrolled: 1-line block ×3, first 2 shown]
	s_lshl_b64 s[4:5], s[4:5], 3
	v_lshlrev_b32_e32 v12, 8, v0
	s_waitcnt lgkmcnt(0)
	s_add_u32 s8, s18, s4
	s_addc_u32 s6, s19, s5
	s_lshl_b64 s[4:5], s[22:23], 3
	s_add_u32 s22, s34, s4
	s_addc_u32 s23, s35, s5
	s_lshl_b64 s[4:5], s[16:17], 3
	v_lshlrev_b32_e32 v6, 3, v1
	s_add_u32 s24, s24, s4
	v_add_u32_e32 v13, v12, v6
	v_or_b32_e32 v14, 0x2000, v6
	v_ashrrev_i32_e32 v6, 31, v2
	s_addc_u32 s25, s25, s5
	v_mul_lo_u32 v11, s26, v6
	v_mul_lo_u32 v16, s27, v2
	v_mad_u64_u32 v[6:7], s[4:5], s26, v2, 0
	v_add_u32_e32 v4, s3, v0
	v_max_i32_e32 v10, v4, v2
	v_cmp_gt_i32_e32 vcc, s29, v10
	v_add3_u32 v7, v7, v11, v16
	v_mov_b32_e32 v10, s6
	v_mad_u64_u32 v[16:17], s[6:7], s14, v0, 0
	v_cndmask_b32_e64 v8, v4, v2, s[0:1]
	v_cndmask_b32_e64 v9, v2, v4, s[0:1]
	v_lshlrev_b64 v[6:7], 3, v[6:7]
	v_cmp_le_i32_e64 s[4:5], v9, v8
	s_and_b64 s[4:5], s[4:5], vcc
	v_ashrrev_i32_e32 v9, 31, v4
	v_mov_b32_e32 v8, v4
	v_add_co_u32_e32 v11, vcc, s8, v6
	v_addc_co_u32_e32 v18, vcc, v10, v7, vcc
	v_lshlrev_b64 v[6:7], 3, v[8:9]
	v_mov_b32_e32 v8, v17
	v_mad_u64_u32 v[8:9], s[6:7], s15, v0, v[8:9]
	v_mov_b32_e32 v5, 0
	s_ashr_i32 s3, s29, 31
	v_mov_b32_e32 v17, v8
	v_mad_u64_u32 v[8:9], s[6:7], s14, v1, 0
	s_mov_b32 s2, s29
	v_mov_b32_e32 v3, v5
	v_add_co_u32_e32 v10, vcc, v11, v6
	v_cmp_gt_i64_e64 s[0:1], s[2:3], v[4:5]
	v_cmp_gt_i64_e64 s[2:3], s[2:3], v[2:3]
	v_addc_co_u32_e32 v11, vcc, v18, v7, vcc
	v_lshlrev_b64 v[6:7], 3, v[16:17]
	v_lshlrev_b64 v[2:3], 3, v[2:3]
	v_mad_u64_u32 v[20:21], s[8:9], s20, v0, 0
	v_add_co_u32_e32 v16, vcc, v6, v2
	v_mov_b32_e32 v6, v9
	v_addc_co_u32_e32 v17, vcc, v7, v3, vcc
	v_mad_u64_u32 v[6:7], s[6:7], s15, v1, v[6:7]
	v_mad_u64_u32 v[22:23], s[8:9], s20, v1, 0
	v_mov_b32_e32 v9, v6
	v_lshlrev_b64 v[6:7], 3, v[8:9]
	v_mov_b32_e32 v8, v21
	v_mad_u64_u32 v[8:9], s[8:9], s21, v0, v[8:9]
	v_lshlrev_b64 v[4:5], 3, v[4:5]
	v_add_u32_e32 v15, v14, v12
	v_mov_b32_e32 v21, v8
	v_mov_b32_e32 v8, v23
	v_mad_u64_u32 v[8:9], s[8:9], s21, v1, v[8:9]
	v_add_co_u32_e32 v18, vcc, v6, v4
	v_addc_co_u32_e32 v19, vcc, v7, v5, vcc
	v_lshlrev_b64 v[6:7], 3, v[20:21]
	v_mov_b32_e32 v23, v8
	v_add_co_u32_e32 v20, vcc, v6, v2
	v_addc_co_u32_e32 v21, vcc, v7, v3, vcc
	v_lshlrev_b64 v[2:3], 3, v[22:23]
	s_lshl_b64 s[6:7], s[14:15], 8
	v_add_co_u32_e32 v22, vcc, v2, v4
	s_lshl_b64 s[8:9], s[20:21], 8
	v_addc_co_u32_e32 v23, vcc, v3, v5, vcc
	s_mov_b64 s[12:13], 0
	s_branch .LBB1880_4
.LBB1880_3:                             ;   in Loop: Header=BB1880_4 Depth=1
	s_or_b64 exec, exec, s[14:15]
	s_add_u32 s12, s12, 32
	s_addc_u32 s13, s13, 0
	v_mov_b32_e32 v2, s30
	s_add_u32 s24, s24, s6
	v_mov_b32_e32 v3, s31
	s_addc_u32 s25, s25, s7
	v_cmp_lt_i64_e32 vcc, s[12:13], v[2:3]
	s_add_u32 s22, s22, s8
	s_addc_u32 s23, s23, s9
	s_waitcnt vmcnt(0) lgkmcnt(0)
	s_barrier
	s_cbranch_vccz .LBB1880_16
.LBB1880_4:                             ; =>This Inner Loop Header: Depth=1
	v_mov_b32_e32 v3, s13
	v_add_co_u32_e32 v2, vcc, s12, v1
	v_addc_co_u32_e32 v3, vcc, 0, v3, vcc
	v_cmp_gt_i64_e32 vcc, s[30:31], v[2:3]
	v_mov_b32_e32 v2, 0
	s_and_b64 s[14:15], s[0:1], vcc
	v_mov_b32_e32 v3, 0
	s_and_saveexec_b64 s[16:17], s[14:15]
	s_cbranch_execz .LBB1880_6
; %bb.5:                                ;   in Loop: Header=BB1880_4 Depth=1
	v_mov_b32_e32 v3, s25
	v_add_co_u32_e32 v2, vcc, s24, v18
	v_addc_co_u32_e32 v3, vcc, v3, v19, vcc
	flat_load_dwordx2 v[2:3], v[2:3]
.LBB1880_6:                             ;   in Loop: Header=BB1880_4 Depth=1
	s_or_b64 exec, exec, s[16:17]
	v_mov_b32_e32 v5, s13
	v_add_co_u32_e32 v4, vcc, s12, v0
	v_addc_co_u32_e32 v5, vcc, 0, v5, vcc
	v_cmp_gt_i64_e32 vcc, s[30:31], v[4:5]
	s_waitcnt vmcnt(0) lgkmcnt(0)
	ds_write_b64 v13, v[2:3]
	s_and_b64 s[16:17], s[2:3], vcc
	v_mov_b32_e32 v2, 0
	v_mov_b32_e32 v3, 0
	s_and_saveexec_b64 s[18:19], s[16:17]
	s_cbranch_execz .LBB1880_8
; %bb.7:                                ;   in Loop: Header=BB1880_4 Depth=1
	v_mov_b32_e32 v3, s23
	v_add_co_u32_e32 v2, vcc, s22, v20
	v_addc_co_u32_e32 v3, vcc, v3, v21, vcc
	flat_load_dwordx2 v[2:3], v[2:3]
.LBB1880_8:                             ;   in Loop: Header=BB1880_4 Depth=1
	s_or_b64 exec, exec, s[18:19]
	v_add_u32_e32 v26, 0x800, v14
	v_add_u32_e32 v25, 0x1000, v14
	;; [unrolled: 1-line block ×3, first 2 shown]
	s_waitcnt vmcnt(0) lgkmcnt(0)
	ds_write_b64 v15, v[2:3]
	s_waitcnt lgkmcnt(0)
	s_barrier
	s_and_saveexec_b64 s[18:19], s[4:5]
	s_cbranch_execz .LBB1880_10
; %bb.9:                                ;   in Loop: Header=BB1880_4 Depth=1
	ds_read2_b64 v[2:5], v14 offset1:32
	ds_read_b128 v[6:9], v12
	ds_read_b128 v[27:30], v12 offset:16
	s_waitcnt lgkmcnt(1)
	v_mul_f32_e32 v31, v3, v7
	v_fma_f32 v36, v2, v6, -v31
	ds_read2_b64 v[31:34], v14 offset0:64 offset1:96
	v_mul_f32_e32 v35, v2, v7
	v_mul_f32_e32 v2, v5, v9
	v_fma_f32 v37, v4, v8, -v2
	v_fmac_f32_e32 v35, v3, v6
	s_waitcnt lgkmcnt(0)
	v_mul_f32_e32 v2, v32, v28
	v_mul_f32_e32 v38, v4, v9
	v_fma_f32 v39, v31, v27, -v2
	v_mul_f32_e32 v31, v31, v28
	v_mul_f32_e32 v2, v34, v30
	v_fmac_f32_e32 v38, v5, v8
	v_fmac_f32_e32 v31, v32, v27
	v_fma_f32 v32, v33, v29, -v2
	v_mul_f32_e32 v33, v33, v30
	v_add_f32_e32 v27, 0, v36
	v_add_f32_e32 v28, 0, v35
	v_fmac_f32_e32 v33, v34, v29
	ds_read_b128 v[2:5], v12 offset:32
	ds_read_b128 v[6:9], v12 offset:48
	v_add_f32_e32 v34, v27, v37
	v_add_f32_e32 v35, v28, v38
	ds_read2_b64 v[27:30], v14 offset0:128 offset1:160
	v_add_f32_e32 v31, v35, v31
	v_add_f32_e32 v34, v34, v39
	;; [unrolled: 1-line block ×4, first 2 shown]
	s_waitcnt lgkmcnt(0)
	v_mul_f32_e32 v33, v28, v3
	v_mul_f32_e32 v3, v27, v3
	v_fma_f32 v33, v27, v2, -v33
	v_fmac_f32_e32 v3, v28, v2
	v_add_f32_e32 v2, v32, v33
	v_add_f32_e32 v3, v31, v3
	ds_read2_b64 v[31:34], v14 offset0:192 offset1:224
	v_mul_f32_e32 v27, v30, v5
	v_mul_f32_e32 v5, v29, v5
	v_fma_f32 v27, v29, v4, -v27
	v_fmac_f32_e32 v5, v30, v4
	s_waitcnt lgkmcnt(0)
	v_mul_f32_e32 v4, v32, v7
	v_add_f32_e32 v2, v2, v27
	v_add_f32_e32 v3, v3, v5
	v_fma_f32 v4, v31, v6, -v4
	v_mul_f32_e32 v5, v31, v7
	v_fmac_f32_e32 v5, v32, v6
	v_add_f32_e32 v6, v2, v4
	v_mul_f32_e32 v2, v34, v9
	v_add_f32_e32 v7, v3, v5
	v_fma_f32 v31, v33, v8, -v2
	ds_read_b128 v[2:5], v12 offset:64
	ds_read2_b64 v[27:30], v26 offset1:32
	v_mul_f32_e32 v9, v33, v9
	v_fmac_f32_e32 v9, v34, v8
	v_add_f32_e32 v31, v6, v31
	v_add_f32_e32 v32, v7, v9
	s_waitcnt lgkmcnt(0)
	v_mul_f32_e32 v33, v28, v3
	v_mul_f32_e32 v3, v27, v3
	v_fma_f32 v33, v27, v2, -v33
	v_fmac_f32_e32 v3, v28, v2
	ds_read_b128 v[6:9], v12 offset:80
	v_add_f32_e32 v2, v31, v33
	v_add_f32_e32 v3, v32, v3
	ds_read2_b64 v[31:34], v26 offset0:64 offset1:96
	v_mul_f32_e32 v27, v30, v5
	v_mul_f32_e32 v5, v29, v5
	v_fma_f32 v27, v29, v4, -v27
	v_fmac_f32_e32 v5, v30, v4
	s_waitcnt lgkmcnt(0)
	v_mul_f32_e32 v4, v32, v7
	v_add_f32_e32 v2, v2, v27
	v_add_f32_e32 v3, v3, v5
	v_fma_f32 v4, v31, v6, -v4
	v_mul_f32_e32 v5, v31, v7
	v_fmac_f32_e32 v5, v32, v6
	v_add_f32_e32 v6, v2, v4
	v_mul_f32_e32 v2, v34, v9
	v_add_f32_e32 v7, v3, v5
	v_fma_f32 v31, v33, v8, -v2
	ds_read_b128 v[2:5], v12 offset:96
	ds_read2_b64 v[27:30], v26 offset0:128 offset1:160
	v_mul_f32_e32 v9, v33, v9
	v_fmac_f32_e32 v9, v34, v8
	v_add_f32_e32 v31, v6, v31
	v_add_f32_e32 v32, v7, v9
	s_waitcnt lgkmcnt(0)
	v_mul_f32_e32 v33, v28, v3
	v_mul_f32_e32 v3, v27, v3
	v_fma_f32 v33, v27, v2, -v33
	v_fmac_f32_e32 v3, v28, v2
	ds_read_b128 v[6:9], v12 offset:112
	v_add_f32_e32 v2, v31, v33
	v_add_f32_e32 v3, v32, v3
	ds_read2_b64 v[31:34], v26 offset0:192 offset1:224
	v_mul_f32_e32 v27, v30, v5
	v_mul_f32_e32 v5, v29, v5
	v_fma_f32 v27, v29, v4, -v27
	v_fmac_f32_e32 v5, v30, v4
	s_waitcnt lgkmcnt(0)
	v_mul_f32_e32 v4, v32, v7
	v_add_f32_e32 v2, v2, v27
	v_add_f32_e32 v3, v3, v5
	v_fma_f32 v4, v31, v6, -v4
	v_mul_f32_e32 v5, v31, v7
	v_fmac_f32_e32 v5, v32, v6
	v_add_f32_e32 v6, v2, v4
	v_mul_f32_e32 v2, v34, v9
	v_add_f32_e32 v7, v3, v5
	v_fma_f32 v31, v33, v8, -v2
	ds_read_b128 v[2:5], v12 offset:128
	ds_read2_b64 v[27:30], v25 offset1:32
	v_mul_f32_e32 v9, v33, v9
	v_fmac_f32_e32 v9, v34, v8
	v_add_f32_e32 v6, v6, v31
	ds_read_b128 v[31:34], v12 offset:144
	ds_read2_b64 v[35:38], v25 offset0:64 offset1:96
	s_waitcnt lgkmcnt(2)
	v_mul_f32_e32 v8, v28, v3
	v_fma_f32 v8, v27, v2, -v8
	v_mul_f32_e32 v3, v27, v3
	v_add_f32_e32 v7, v7, v9
	v_fmac_f32_e32 v3, v28, v2
	v_add_f32_e32 v2, v6, v8
	v_mul_f32_e32 v6, v30, v5
	v_mul_f32_e32 v5, v29, v5
	v_add_f32_e32 v3, v7, v3
	v_fma_f32 v6, v29, v4, -v6
	v_fmac_f32_e32 v5, v30, v4
	s_waitcnt lgkmcnt(0)
	v_mul_f32_e32 v4, v36, v32
	v_add_f32_e32 v2, v2, v6
	v_add_f32_e32 v3, v3, v5
	v_fma_f32 v4, v35, v31, -v4
	v_mul_f32_e32 v5, v35, v32
	v_fmac_f32_e32 v5, v36, v31
	v_add_f32_e32 v27, v2, v4
	v_mul_f32_e32 v2, v38, v34
	v_add_f32_e32 v28, v3, v5
	v_fma_f32 v29, v37, v33, -v2
	ds_read_b128 v[2:5], v12 offset:160
	ds_read2_b64 v[6:9], v25 offset0:128 offset1:160
	v_mul_f32_e32 v30, v37, v34
	v_fmac_f32_e32 v30, v38, v33
	v_add_f32_e32 v33, v27, v29
	v_add_f32_e32 v34, v28, v30
	s_waitcnt lgkmcnt(0)
	v_mul_f32_e32 v31, v7, v3
	v_fma_f32 v35, v6, v2, -v31
	flat_load_dwordx2 v[31:32], v[10:11]
	v_mul_f32_e32 v6, v6, v3
	v_fmac_f32_e32 v6, v7, v2
	v_mul_f32_e32 v2, v9, v5
	v_fma_f32 v7, v8, v4, -v2
	v_mul_f32_e32 v8, v8, v5
	ds_read_b128 v[27:30], v12 offset:176
	v_fmac_f32_e32 v8, v9, v4
	ds_read2_b64 v[2:5], v25 offset0:192 offset1:224
	v_add_f32_e32 v6, v34, v6
	v_add_f32_e32 v9, v33, v35
	;; [unrolled: 1-line block ×4, first 2 shown]
	s_waitcnt lgkmcnt(0)
	v_mul_f32_e32 v6, v3, v28
	v_fma_f32 v6, v2, v27, -v6
	v_mul_f32_e32 v28, v2, v28
	v_mul_f32_e32 v2, v5, v30
	;; [unrolled: 1-line block ×3, first 2 shown]
	v_fmac_f32_e32 v28, v3, v27
	v_add_f32_e32 v27, v7, v6
	v_fma_f32 v34, v4, v29, -v2
	v_fmac_f32_e32 v30, v5, v29
	ds_read_b128 v[2:5], v12 offset:192
	ds_read2_b64 v[6:9], v24 offset1:32
	v_add_f32_e32 v28, v33, v28
	v_add_f32_e32 v33, v27, v34
	;; [unrolled: 1-line block ×3, first 2 shown]
	ds_read_b128 v[27:30], v12 offset:208
	s_waitcnt lgkmcnt(0)
	v_mul_f32_e32 v35, v7, v3
	v_fma_f32 v35, v6, v2, -v35
	v_mul_f32_e32 v6, v6, v3
	v_fmac_f32_e32 v6, v7, v2
	v_mul_f32_e32 v2, v9, v5
	v_fma_f32 v7, v8, v4, -v2
	v_mul_f32_e32 v8, v8, v5
	v_fmac_f32_e32 v8, v9, v4
	ds_read2_b64 v[2:5], v24 offset0:64 offset1:96
	v_add_f32_e32 v6, v34, v6
	v_add_f32_e32 v9, v33, v35
	v_add_f32_e32 v33, v6, v8
	v_add_f32_e32 v7, v9, v7
	s_waitcnt lgkmcnt(0)
	v_mul_f32_e32 v6, v3, v28
	v_fma_f32 v6, v2, v27, -v6
	v_mul_f32_e32 v28, v2, v28
	v_mul_f32_e32 v2, v5, v30
	v_mul_f32_e32 v30, v4, v30
	v_fmac_f32_e32 v28, v3, v27
	v_add_f32_e32 v27, v7, v6
	v_fma_f32 v34, v4, v29, -v2
	v_fmac_f32_e32 v30, v5, v29
	ds_read_b128 v[2:5], v12 offset:224
	ds_read2_b64 v[6:9], v24 offset0:128 offset1:160
	v_add_f32_e32 v28, v33, v28
	v_add_f32_e32 v33, v27, v34
	;; [unrolled: 1-line block ×3, first 2 shown]
	ds_read_b128 v[27:30], v12 offset:240
	s_waitcnt lgkmcnt(0)
	v_mul_f32_e32 v35, v7, v3
	v_fma_f32 v35, v6, v2, -v35
	v_mul_f32_e32 v6, v6, v3
	v_fmac_f32_e32 v6, v7, v2
	v_mul_f32_e32 v2, v9, v5
	v_fma_f32 v7, v8, v4, -v2
	v_mul_f32_e32 v8, v8, v5
	v_fmac_f32_e32 v8, v9, v4
	ds_read2_b64 v[2:5], v24 offset0:192 offset1:224
	v_add_f32_e32 v6, v34, v6
	v_add_f32_e32 v6, v6, v8
	;; [unrolled: 1-line block ×4, first 2 shown]
	s_waitcnt lgkmcnt(0)
	v_mul_f32_e32 v8, v3, v28
	v_fma_f32 v8, v2, v27, -v8
	v_mul_f32_e32 v2, v2, v28
	v_fmac_f32_e32 v2, v3, v27
	v_add_f32_e32 v2, v6, v2
	v_mul_f32_e32 v6, v5, v30
	v_fma_f32 v6, v4, v29, -v6
	v_mul_f32_e32 v4, v4, v30
	v_fmac_f32_e32 v4, v5, v29
	v_add_f32_e32 v3, v7, v8
	v_add_f32_e32 v2, v2, v4
	;; [unrolled: 1-line block ×3, first 2 shown]
	v_mul_f32_e32 v4, s11, v2
	v_mul_f32_e32 v5, s10, v2
	v_fma_f32 v4, s10, v3, -v4
	v_fmac_f32_e32 v5, s11, v3
	s_waitcnt vmcnt(0)
	v_add_f32_e32 v2, v31, v4
	v_add_f32_e32 v3, v32, v5
	flat_store_dwordx2 v[10:11], v[2:3]
.LBB1880_10:                            ;   in Loop: Header=BB1880_4 Depth=1
	s_or_b64 exec, exec, s[18:19]
	v_mov_b32_e32 v3, 0
	v_mov_b32_e32 v5, 0
	;; [unrolled: 1-line block ×3, first 2 shown]
	s_waitcnt vmcnt(0) lgkmcnt(0)
	s_barrier
	s_and_saveexec_b64 s[18:19], s[14:15]
	s_cbranch_execz .LBB1880_12
; %bb.11:                               ;   in Loop: Header=BB1880_4 Depth=1
	v_mov_b32_e32 v2, s23
	v_add_co_u32_e32 v4, vcc, s22, v22
	v_addc_co_u32_e32 v5, vcc, v2, v23, vcc
	flat_load_dwordx2 v[4:5], v[4:5]
.LBB1880_12:                            ;   in Loop: Header=BB1880_4 Depth=1
	s_or_b64 exec, exec, s[18:19]
	v_mov_b32_e32 v2, 0
	s_waitcnt vmcnt(0) lgkmcnt(0)
	ds_write_b64 v13, v[4:5]
	s_and_saveexec_b64 s[14:15], s[16:17]
	s_cbranch_execz .LBB1880_14
; %bb.13:                               ;   in Loop: Header=BB1880_4 Depth=1
	v_mov_b32_e32 v3, s25
	v_add_co_u32_e32 v2, vcc, s24, v16
	v_addc_co_u32_e32 v3, vcc, v3, v17, vcc
	flat_load_dwordx2 v[2:3], v[2:3]
.LBB1880_14:                            ;   in Loop: Header=BB1880_4 Depth=1
	s_or_b64 exec, exec, s[14:15]
	s_waitcnt vmcnt(0) lgkmcnt(0)
	ds_write_b64 v15, v[2:3]
	s_waitcnt lgkmcnt(0)
	s_barrier
	s_and_saveexec_b64 s[14:15], s[4:5]
	s_cbranch_execz .LBB1880_3
; %bb.15:                               ;   in Loop: Header=BB1880_4 Depth=1
	ds_read2_b64 v[2:5], v14 offset1:32
	ds_read_b128 v[6:9], v12
	ds_read_b128 v[27:30], v12 offset:16
	s_waitcnt lgkmcnt(1)
	v_mul_f32_e32 v31, v3, v7
	v_mul_f32_e32 v35, v2, v7
	v_fma_f32 v36, v2, v6, -v31
	v_mul_f32_e32 v2, v5, v9
	v_mul_f32_e32 v38, v4, v9
	v_fmac_f32_e32 v35, v3, v6
	v_fma_f32 v37, v4, v8, -v2
	v_fmac_f32_e32 v38, v5, v8
	ds_read_b128 v[2:5], v12 offset:32
	ds_read_b128 v[6:9], v12 offset:48
	ds_read2_b64 v[31:34], v14 offset0:64 offset1:96
	v_add_f32_e32 v36, 0, v36
	v_add_f32_e32 v36, v36, v37
	v_add_f32_e32 v35, 0, v35
	v_add_f32_e32 v35, v35, v38
	s_waitcnt lgkmcnt(0)
	v_mul_f32_e32 v37, v32, v28
	v_fma_f32 v37, v31, v27, -v37
	v_mul_f32_e32 v31, v31, v28
	v_fmac_f32_e32 v31, v32, v27
	v_mul_f32_e32 v27, v34, v30
	v_fma_f32 v32, v33, v29, -v27
	v_mul_f32_e32 v33, v33, v30
	v_fmac_f32_e32 v33, v34, v29
	ds_read2_b64 v[27:30], v14 offset0:128 offset1:160
	v_add_f32_e32 v31, v35, v31
	v_add_f32_e32 v34, v36, v37
	;; [unrolled: 1-line block ×4, first 2 shown]
	s_waitcnt lgkmcnt(0)
	v_mul_f32_e32 v33, v28, v3
	v_mul_f32_e32 v3, v27, v3
	v_fma_f32 v33, v27, v2, -v33
	v_fmac_f32_e32 v3, v28, v2
	v_add_f32_e32 v2, v32, v33
	v_add_f32_e32 v3, v31, v3
	ds_read2_b64 v[31:34], v14 offset0:192 offset1:224
	v_mul_f32_e32 v27, v30, v5
	v_mul_f32_e32 v5, v29, v5
	v_fma_f32 v27, v29, v4, -v27
	v_fmac_f32_e32 v5, v30, v4
	s_waitcnt lgkmcnt(0)
	v_mul_f32_e32 v4, v32, v7
	v_add_f32_e32 v2, v2, v27
	v_add_f32_e32 v3, v3, v5
	v_fma_f32 v4, v31, v6, -v4
	v_mul_f32_e32 v5, v31, v7
	v_fmac_f32_e32 v5, v32, v6
	v_add_f32_e32 v6, v2, v4
	v_mul_f32_e32 v2, v34, v9
	v_add_f32_e32 v7, v3, v5
	v_fma_f32 v31, v33, v8, -v2
	ds_read_b128 v[2:5], v12 offset:64
	ds_read2_b64 v[27:30], v26 offset1:32
	v_mul_f32_e32 v9, v33, v9
	v_fmac_f32_e32 v9, v34, v8
	v_add_f32_e32 v31, v6, v31
	v_add_f32_e32 v32, v7, v9
	s_waitcnt lgkmcnt(0)
	v_mul_f32_e32 v33, v28, v3
	v_mul_f32_e32 v3, v27, v3
	v_fma_f32 v33, v27, v2, -v33
	v_fmac_f32_e32 v3, v28, v2
	ds_read_b128 v[6:9], v12 offset:80
	v_add_f32_e32 v2, v31, v33
	v_add_f32_e32 v3, v32, v3
	ds_read2_b64 v[31:34], v26 offset0:64 offset1:96
	v_mul_f32_e32 v27, v30, v5
	v_mul_f32_e32 v5, v29, v5
	v_fma_f32 v27, v29, v4, -v27
	v_fmac_f32_e32 v5, v30, v4
	s_waitcnt lgkmcnt(0)
	v_mul_f32_e32 v4, v32, v7
	v_add_f32_e32 v2, v2, v27
	v_add_f32_e32 v3, v3, v5
	v_fma_f32 v4, v31, v6, -v4
	v_mul_f32_e32 v5, v31, v7
	v_fmac_f32_e32 v5, v32, v6
	v_add_f32_e32 v6, v2, v4
	v_mul_f32_e32 v2, v34, v9
	v_add_f32_e32 v7, v3, v5
	v_fma_f32 v31, v33, v8, -v2
	ds_read_b128 v[2:5], v12 offset:96
	ds_read2_b64 v[27:30], v26 offset0:128 offset1:160
	v_mul_f32_e32 v9, v33, v9
	v_fmac_f32_e32 v9, v34, v8
	v_add_f32_e32 v31, v6, v31
	v_add_f32_e32 v32, v7, v9
	s_waitcnt lgkmcnt(0)
	v_mul_f32_e32 v33, v28, v3
	v_mul_f32_e32 v3, v27, v3
	v_fma_f32 v33, v27, v2, -v33
	v_fmac_f32_e32 v3, v28, v2
	ds_read_b128 v[6:9], v12 offset:112
	v_add_f32_e32 v2, v31, v33
	v_add_f32_e32 v3, v32, v3
	ds_read2_b64 v[31:34], v26 offset0:192 offset1:224
	v_mul_f32_e32 v27, v30, v5
	v_mul_f32_e32 v5, v29, v5
	v_fma_f32 v27, v29, v4, -v27
	v_fmac_f32_e32 v5, v30, v4
	s_waitcnt lgkmcnt(0)
	v_mul_f32_e32 v4, v32, v7
	v_add_f32_e32 v2, v2, v27
	v_add_f32_e32 v3, v3, v5
	v_fma_f32 v4, v31, v6, -v4
	v_mul_f32_e32 v5, v31, v7
	v_fmac_f32_e32 v5, v32, v6
	v_add_f32_e32 v6, v2, v4
	v_mul_f32_e32 v2, v34, v9
	v_add_f32_e32 v7, v3, v5
	v_fma_f32 v30, v33, v8, -v2
	ds_read_b128 v[2:5], v12 offset:128
	ds_read2_b64 v[26:29], v25 offset1:32
	v_mul_f32_e32 v9, v33, v9
	v_fmac_f32_e32 v9, v34, v8
	v_add_f32_e32 v6, v6, v30
	ds_read_b128 v[30:33], v12 offset:144
	ds_read2_b64 v[34:37], v25 offset0:64 offset1:96
	s_waitcnt lgkmcnt(2)
	v_mul_f32_e32 v8, v27, v3
	v_fma_f32 v8, v26, v2, -v8
	v_mul_f32_e32 v3, v26, v3
	v_add_f32_e32 v7, v7, v9
	v_fmac_f32_e32 v3, v27, v2
	v_add_f32_e32 v2, v6, v8
	v_mul_f32_e32 v6, v29, v5
	v_mul_f32_e32 v5, v28, v5
	v_add_f32_e32 v3, v7, v3
	v_fma_f32 v6, v28, v4, -v6
	v_fmac_f32_e32 v5, v29, v4
	s_waitcnt lgkmcnt(0)
	v_mul_f32_e32 v4, v35, v31
	v_add_f32_e32 v2, v2, v6
	v_add_f32_e32 v3, v3, v5
	v_fma_f32 v4, v34, v30, -v4
	v_mul_f32_e32 v5, v34, v31
	v_fmac_f32_e32 v5, v35, v30
	v_add_f32_e32 v26, v2, v4
	v_mul_f32_e32 v2, v37, v33
	v_add_f32_e32 v27, v3, v5
	v_fma_f32 v28, v36, v32, -v2
	ds_read_b128 v[2:5], v12 offset:160
	ds_read2_b64 v[6:9], v25 offset0:128 offset1:160
	flat_load_dwordx2 v[34:35], v[10:11]
	v_mul_f32_e32 v29, v36, v33
	v_fmac_f32_e32 v29, v37, v32
	v_add_f32_e32 v30, v26, v28
	s_waitcnt lgkmcnt(0)
	v_mul_f32_e32 v32, v7, v3
	v_mul_f32_e32 v3, v6, v3
	v_add_f32_e32 v31, v27, v29
	v_fma_f32 v32, v6, v2, -v32
	v_fmac_f32_e32 v3, v7, v2
	ds_read_b128 v[26:29], v12 offset:176
	v_add_f32_e32 v2, v30, v32
	v_add_f32_e32 v3, v31, v3
	ds_read2_b64 v[30:33], v25 offset0:192 offset1:224
	v_mul_f32_e32 v6, v9, v5
	v_mul_f32_e32 v5, v8, v5
	v_fma_f32 v6, v8, v4, -v6
	v_fmac_f32_e32 v5, v9, v4
	s_waitcnt lgkmcnt(0)
	v_mul_f32_e32 v4, v31, v27
	v_add_f32_e32 v2, v2, v6
	v_add_f32_e32 v3, v3, v5
	v_fma_f32 v4, v30, v26, -v4
	v_mul_f32_e32 v5, v30, v27
	v_fmac_f32_e32 v5, v31, v26
	v_add_f32_e32 v25, v2, v4
	v_mul_f32_e32 v2, v33, v29
	v_add_f32_e32 v26, v3, v5
	v_fma_f32 v27, v32, v28, -v2
	ds_read_b128 v[2:5], v12 offset:192
	ds_read2_b64 v[6:9], v24 offset1:32
	v_mul_f32_e32 v29, v32, v29
	v_fmac_f32_e32 v29, v33, v28
	v_add_f32_e32 v30, v25, v27
	v_add_f32_e32 v29, v26, v29
	s_waitcnt lgkmcnt(0)
	v_mul_f32_e32 v31, v7, v3
	v_mul_f32_e32 v3, v6, v3
	v_fma_f32 v31, v6, v2, -v31
	v_fmac_f32_e32 v3, v7, v2
	ds_read_b128 v[25:28], v12 offset:208
	v_add_f32_e32 v2, v30, v31
	v_add_f32_e32 v3, v29, v3
	ds_read2_b64 v[29:32], v24 offset0:64 offset1:96
	v_mul_f32_e32 v6, v9, v5
	v_mul_f32_e32 v5, v8, v5
	v_fma_f32 v6, v8, v4, -v6
	v_fmac_f32_e32 v5, v9, v4
	s_waitcnt lgkmcnt(0)
	v_mul_f32_e32 v4, v30, v26
	v_add_f32_e32 v2, v2, v6
	v_add_f32_e32 v3, v3, v5
	v_fma_f32 v4, v29, v25, -v4
	v_mul_f32_e32 v5, v29, v26
	v_fmac_f32_e32 v5, v30, v25
	v_add_f32_e32 v25, v2, v4
	v_mul_f32_e32 v2, v32, v28
	v_add_f32_e32 v26, v3, v5
	v_fma_f32 v29, v31, v27, -v2
	ds_read_b128 v[2:5], v12 offset:224
	ds_read2_b64 v[6:9], v24 offset0:128 offset1:160
	v_mul_f32_e32 v28, v31, v28
	v_fmac_f32_e32 v28, v32, v27
	v_add_f32_e32 v29, v25, v29
	v_add_f32_e32 v30, v26, v28
	s_waitcnt lgkmcnt(0)
	v_mul_f32_e32 v31, v7, v3
	v_mul_f32_e32 v3, v6, v3
	v_fma_f32 v31, v6, v2, -v31
	v_fmac_f32_e32 v3, v7, v2
	ds_read_b128 v[25:28], v12 offset:240
	v_add_f32_e32 v2, v29, v31
	v_add_f32_e32 v3, v30, v3
	ds_read2_b64 v[29:32], v24 offset0:192 offset1:224
	v_mul_f32_e32 v6, v9, v5
	v_mul_f32_e32 v5, v8, v5
	v_fmac_f32_e32 v5, v9, v4
	v_fma_f32 v6, v8, v4, -v6
	v_add_f32_e32 v3, v3, v5
	s_waitcnt lgkmcnt(0)
	v_mul_f32_e32 v4, v30, v26
	v_mul_f32_e32 v5, v29, v26
	v_add_f32_e32 v2, v2, v6
	v_fma_f32 v4, v29, v25, -v4
	v_fmac_f32_e32 v5, v30, v25
	v_add_f32_e32 v2, v2, v4
	v_add_f32_e32 v3, v3, v5
	v_mul_f32_e32 v4, v32, v28
	v_mul_f32_e32 v5, v31, v28
	v_fma_f32 v4, v31, v27, -v4
	v_fmac_f32_e32 v5, v32, v27
	v_add_f32_e32 v2, v2, v4
	v_add_f32_e32 v3, v3, v5
	v_mul_f32_e32 v4, s11, v3
	v_mul_f32_e32 v5, s11, v2
	v_fma_f32 v4, s10, v2, -v4
	v_fmac_f32_e32 v5, s10, v3
	s_waitcnt vmcnt(0)
	v_add_f32_e32 v2, v34, v4
	v_add_f32_e32 v3, v35, v5
	flat_store_dwordx2 v[10:11], v[2:3]
	s_branch .LBB1880_3
.LBB1880_16:
	s_endpgm
	.section	.rodata,"a",@progbits
	.p2align	6, 0x0
	.amdhsa_kernel _ZL26rocblas_syr2k_her2k_kernelIlLb1ELb0ELb0ELi32E19rocblas_complex_numIfEPKPKS1_PKPS1_EvbiT_T4_T5_S9_lSB_S9_lT6_S9_li
		.amdhsa_group_segment_fixed_size 16384
		.amdhsa_private_segment_fixed_size 0
		.amdhsa_kernarg_size 100
		.amdhsa_user_sgpr_count 6
		.amdhsa_user_sgpr_private_segment_buffer 1
		.amdhsa_user_sgpr_dispatch_ptr 0
		.amdhsa_user_sgpr_queue_ptr 0
		.amdhsa_user_sgpr_kernarg_segment_ptr 1
		.amdhsa_user_sgpr_dispatch_id 0
		.amdhsa_user_sgpr_flat_scratch_init 0
		.amdhsa_user_sgpr_private_segment_size 0
		.amdhsa_uses_dynamic_stack 0
		.amdhsa_system_sgpr_private_segment_wavefront_offset 0
		.amdhsa_system_sgpr_workgroup_id_x 1
		.amdhsa_system_sgpr_workgroup_id_y 1
		.amdhsa_system_sgpr_workgroup_id_z 1
		.amdhsa_system_sgpr_workgroup_info 0
		.amdhsa_system_vgpr_workitem_id 1
		.amdhsa_next_free_vgpr 40
		.amdhsa_next_free_sgpr 61
		.amdhsa_reserve_vcc 1
		.amdhsa_reserve_flat_scratch 0
		.amdhsa_float_round_mode_32 0
		.amdhsa_float_round_mode_16_64 0
		.amdhsa_float_denorm_mode_32 3
		.amdhsa_float_denorm_mode_16_64 3
		.amdhsa_dx10_clamp 1
		.amdhsa_ieee_mode 1
		.amdhsa_fp16_overflow 0
		.amdhsa_exception_fp_ieee_invalid_op 0
		.amdhsa_exception_fp_denorm_src 0
		.amdhsa_exception_fp_ieee_div_zero 0
		.amdhsa_exception_fp_ieee_overflow 0
		.amdhsa_exception_fp_ieee_underflow 0
		.amdhsa_exception_fp_ieee_inexact 0
		.amdhsa_exception_int_div_zero 0
	.end_amdhsa_kernel
	.section	.text._ZL26rocblas_syr2k_her2k_kernelIlLb1ELb0ELb0ELi32E19rocblas_complex_numIfEPKPKS1_PKPS1_EvbiT_T4_T5_S9_lSB_S9_lT6_S9_li,"axG",@progbits,_ZL26rocblas_syr2k_her2k_kernelIlLb1ELb0ELb0ELi32E19rocblas_complex_numIfEPKPKS1_PKPS1_EvbiT_T4_T5_S9_lSB_S9_lT6_S9_li,comdat
.Lfunc_end1880:
	.size	_ZL26rocblas_syr2k_her2k_kernelIlLb1ELb0ELb0ELi32E19rocblas_complex_numIfEPKPKS1_PKPS1_EvbiT_T4_T5_S9_lSB_S9_lT6_S9_li, .Lfunc_end1880-_ZL26rocblas_syr2k_her2k_kernelIlLb1ELb0ELb0ELi32E19rocblas_complex_numIfEPKPKS1_PKPS1_EvbiT_T4_T5_S9_lSB_S9_lT6_S9_li
                                        ; -- End function
	.set _ZL26rocblas_syr2k_her2k_kernelIlLb1ELb0ELb0ELi32E19rocblas_complex_numIfEPKPKS1_PKPS1_EvbiT_T4_T5_S9_lSB_S9_lT6_S9_li.num_vgpr, 40
	.set _ZL26rocblas_syr2k_her2k_kernelIlLb1ELb0ELb0ELi32E19rocblas_complex_numIfEPKPKS1_PKPS1_EvbiT_T4_T5_S9_lSB_S9_lT6_S9_li.num_agpr, 0
	.set _ZL26rocblas_syr2k_her2k_kernelIlLb1ELb0ELb0ELi32E19rocblas_complex_numIfEPKPKS1_PKPS1_EvbiT_T4_T5_S9_lSB_S9_lT6_S9_li.numbered_sgpr, 36
	.set _ZL26rocblas_syr2k_her2k_kernelIlLb1ELb0ELb0ELi32E19rocblas_complex_numIfEPKPKS1_PKPS1_EvbiT_T4_T5_S9_lSB_S9_lT6_S9_li.num_named_barrier, 0
	.set _ZL26rocblas_syr2k_her2k_kernelIlLb1ELb0ELb0ELi32E19rocblas_complex_numIfEPKPKS1_PKPS1_EvbiT_T4_T5_S9_lSB_S9_lT6_S9_li.private_seg_size, 0
	.set _ZL26rocblas_syr2k_her2k_kernelIlLb1ELb0ELb0ELi32E19rocblas_complex_numIfEPKPKS1_PKPS1_EvbiT_T4_T5_S9_lSB_S9_lT6_S9_li.uses_vcc, 1
	.set _ZL26rocblas_syr2k_her2k_kernelIlLb1ELb0ELb0ELi32E19rocblas_complex_numIfEPKPKS1_PKPS1_EvbiT_T4_T5_S9_lSB_S9_lT6_S9_li.uses_flat_scratch, 0
	.set _ZL26rocblas_syr2k_her2k_kernelIlLb1ELb0ELb0ELi32E19rocblas_complex_numIfEPKPKS1_PKPS1_EvbiT_T4_T5_S9_lSB_S9_lT6_S9_li.has_dyn_sized_stack, 0
	.set _ZL26rocblas_syr2k_her2k_kernelIlLb1ELb0ELb0ELi32E19rocblas_complex_numIfEPKPKS1_PKPS1_EvbiT_T4_T5_S9_lSB_S9_lT6_S9_li.has_recursion, 0
	.set _ZL26rocblas_syr2k_her2k_kernelIlLb1ELb0ELb0ELi32E19rocblas_complex_numIfEPKPKS1_PKPS1_EvbiT_T4_T5_S9_lSB_S9_lT6_S9_li.has_indirect_call, 0
	.section	.AMDGPU.csdata,"",@progbits
; Kernel info:
; codeLenInByte = 3504
; TotalNumSgprs: 40
; NumVgprs: 40
; ScratchSize: 0
; MemoryBound: 0
; FloatMode: 240
; IeeeMode: 1
; LDSByteSize: 16384 bytes/workgroup (compile time only)
; SGPRBlocks: 8
; VGPRBlocks: 9
; NumSGPRsForWavesPerEU: 65
; NumVGPRsForWavesPerEU: 40
; Occupancy: 6
; WaveLimiterHint : 1
; COMPUTE_PGM_RSRC2:SCRATCH_EN: 0
; COMPUTE_PGM_RSRC2:USER_SGPR: 6
; COMPUTE_PGM_RSRC2:TRAP_HANDLER: 0
; COMPUTE_PGM_RSRC2:TGID_X_EN: 1
; COMPUTE_PGM_RSRC2:TGID_Y_EN: 1
; COMPUTE_PGM_RSRC2:TGID_Z_EN: 1
; COMPUTE_PGM_RSRC2:TIDIG_COMP_CNT: 1
	.section	.text._ZL26rocblas_syr2k_her2k_kernelIlLb1ELb0ELb1ELi32E19rocblas_complex_numIfEPKPKS1_PKPS1_EvbiT_T4_T5_S9_lSB_S9_lT6_S9_li,"axG",@progbits,_ZL26rocblas_syr2k_her2k_kernelIlLb1ELb0ELb1ELi32E19rocblas_complex_numIfEPKPKS1_PKPS1_EvbiT_T4_T5_S9_lSB_S9_lT6_S9_li,comdat
	.globl	_ZL26rocblas_syr2k_her2k_kernelIlLb1ELb0ELb1ELi32E19rocblas_complex_numIfEPKPKS1_PKPS1_EvbiT_T4_T5_S9_lSB_S9_lT6_S9_li ; -- Begin function _ZL26rocblas_syr2k_her2k_kernelIlLb1ELb0ELb1ELi32E19rocblas_complex_numIfEPKPKS1_PKPS1_EvbiT_T4_T5_S9_lSB_S9_lT6_S9_li
	.p2align	8
	.type	_ZL26rocblas_syr2k_her2k_kernelIlLb1ELb0ELb1ELi32E19rocblas_complex_numIfEPKPKS1_PKPS1_EvbiT_T4_T5_S9_lSB_S9_lT6_S9_li,@function
_ZL26rocblas_syr2k_her2k_kernelIlLb1ELb0ELb1ELi32E19rocblas_complex_numIfEPKPKS1_PKPS1_EvbiT_T4_T5_S9_lSB_S9_lT6_S9_li: ; @_ZL26rocblas_syr2k_her2k_kernelIlLb1ELb0ELb1ELi32E19rocblas_complex_numIfEPKPKS1_PKPS1_EvbiT_T4_T5_S9_lSB_S9_lT6_S9_li
; %bb.0:
	s_load_dwordx2 s[10:11], s[4:5], 0x10
	s_waitcnt lgkmcnt(0)
	v_cmp_eq_f32_e64 s[0:1], s10, 0
	v_cmp_eq_f32_e64 s[2:3], s11, 0
	s_and_b64 s[0:1], s[0:1], s[2:3]
	s_and_b64 vcc, exec, s[0:1]
	s_cbranch_vccnz .LBB1881_16
; %bb.1:
	s_load_dwordx4 s[28:31], s[4:5], 0x0
	s_lshl_b32 s3, s7, 5
	s_lshl_b32 s2, s6, 5
	s_waitcnt lgkmcnt(0)
	s_and_b32 s0, 1, s28
	s_cmp_eq_u32 s0, 1
	s_cselect_b64 s[0:1], -1, 0
	s_and_b64 s[6:7], s[0:1], exec
	s_cselect_b32 s6, s2, s3
	s_cselect_b32 s7, s3, s2
	s_cmp_gt_i32 s6, s7
	v_cmp_lt_i64_e64 s[6:7], s[30:31], 1
	s_cselect_b64 s[12:13], -1, 0
	s_or_b64 s[6:7], s[12:13], s[6:7]
	s_and_b64 vcc, exec, s[6:7]
	s_cbranch_vccnz .LBB1881_16
; %bb.2:
	s_load_dwordx16 s[12:27], s[4:5], 0x18
	s_mov_b32 s9, 0
	s_lshl_b64 s[6:7], s[8:9], 3
	s_load_dwordx2 s[4:5], s[4:5], 0x58
	v_add_u32_e32 v2, s3, v1
	s_waitcnt lgkmcnt(0)
	s_add_u32 s8, s12, s6
	s_addc_u32 s9, s13, s7
	s_add_u32 s12, s18, s6
	s_addc_u32 s13, s19, s7
	;; [unrolled: 2-line block ×3, first 2 shown]
	s_load_dwordx2 s[18:19], s[6:7], 0x0
	v_add_u32_e32 v4, s2, v0
	s_lshl_b64 s[2:3], s[4:5], 3
	s_load_dwordx2 s[24:25], s[8:9], 0x0
	s_load_dwordx2 s[6:7], s[12:13], 0x0
	v_mov_b32_e32 v5, 0
	s_waitcnt lgkmcnt(0)
	s_add_u32 s12, s18, s2
	s_addc_u32 s8, s19, s3
	s_ashr_i32 s3, s29, 31
	s_mov_b32 s2, s29
	v_cndmask_b32_e64 v8, v4, v2, s[0:1]
	v_cndmask_b32_e64 v9, v2, v4, s[0:1]
	v_cmp_gt_i64_e64 s[0:1], s[2:3], v[4:5]
	v_mov_b32_e32 v3, v5
	v_ashrrev_i32_e32 v5, 31, v2
	v_mul_lo_u32 v5, s26, v5
	v_mul_lo_u32 v10, s27, v2
	v_mad_u64_u32 v[6:7], s[4:5], s26, v2, 0
	v_cmp_gt_i64_e64 s[2:3], s[2:3], v[2:3]
	v_max_i32_e32 v3, v4, v2
	v_cmp_gt_i32_e32 vcc, s29, v3
	v_cmp_le_i32_e64 s[4:5], v9, v8
	v_add3_u32 v7, v7, v5, v10
	v_mov_b32_e32 v3, s8
	v_mad_u64_u32 v[8:9], s[8:9], s14, v2, 0
	v_lshlrev_b64 v[6:7], 3, v[6:7]
	s_and_b64 s[4:5], s[4:5], vcc
	v_add_co_u32_e32 v11, vcc, s12, v6
	v_addc_co_u32_e32 v7, vcc, v3, v7, vcc
	v_mov_b32_e32 v3, v9
	v_ashrrev_i32_e32 v5, 31, v4
	v_mad_u64_u32 v[9:10], s[8:9], s15, v2, v[3:4]
	v_lshlrev_b64 v[5:6], 3, v[4:5]
	s_lshl_b64 s[8:9], s[16:17], 3
	v_add_co_u32_e32 v10, vcc, v11, v5
	v_addc_co_u32_e32 v11, vcc, v7, v6, vcc
	v_lshlrev_b64 v[5:6], 3, v[8:9]
	v_mov_b32_e32 v8, s9
	v_add_co_u32_e32 v3, vcc, s8, v5
	v_addc_co_u32_e32 v7, vcc, v6, v8, vcc
	v_mad_u64_u32 v[5:6], s[12:13], s14, v4, 0
	v_lshlrev_b32_e32 v9, 3, v0
	v_add_co_u32_e32 v16, vcc, v3, v9
	v_mov_b32_e32 v3, v6
	v_addc_co_u32_e32 v17, vcc, 0, v7, vcc
	v_mad_u64_u32 v[6:7], s[12:13], s15, v4, v[3:4]
	v_mov_b32_e32 v19, s25
	v_add_co_u32_e32 v16, vcc, s24, v16
	v_lshlrev_b64 v[5:6], 3, v[5:6]
	v_addc_co_u32_e32 v17, vcc, v19, v17, vcc
	v_add_co_u32_e32 v3, vcc, s8, v5
	v_addc_co_u32_e32 v7, vcc, v6, v8, vcc
	v_mad_u64_u32 v[5:6], s[8:9], s20, v2, 0
	v_lshlrev_b32_e32 v22, 3, v1
	v_add_co_u32_e32 v8, vcc, v3, v22
	v_mov_b32_e32 v3, v6
	v_mad_u64_u32 v[2:3], s[8:9], s21, v2, v[3:4]
	v_addc_co_u32_e32 v7, vcc, 0, v7, vcc
	v_mov_b32_e32 v6, v2
	v_add_co_u32_e32 v18, vcc, s24, v8
	v_lshlrev_b64 v[2:3], 3, v[5:6]
	v_addc_co_u32_e32 v19, vcc, v19, v7, vcc
	s_lshl_b64 s[8:9], s[22:23], 3
	v_mov_b32_e32 v5, s9
	v_add_co_u32_e32 v6, vcc, s8, v2
	v_addc_co_u32_e32 v7, vcc, v3, v5, vcc
	v_mad_u64_u32 v[2:3], s[12:13], s20, v4, 0
	v_add_co_u32_e32 v6, vcc, v6, v9
	v_mad_u64_u32 v[3:4], s[12:13], s21, v4, v[3:4]
	v_addc_co_u32_e32 v7, vcc, 0, v7, vcc
	v_mov_b32_e32 v8, s7
	v_add_co_u32_e32 v20, vcc, s6, v6
	v_lshlrev_b64 v[2:3], 3, v[2:3]
	v_addc_co_u32_e32 v21, vcc, v8, v7, vcc
	v_add_co_u32_e32 v2, vcc, s8, v2
	v_addc_co_u32_e32 v3, vcc, v3, v5, vcc
	v_add_co_u32_e32 v2, vcc, v2, v22
	v_lshlrev_b32_e32 v12, 8, v0
	v_addc_co_u32_e32 v3, vcc, 0, v3, vcc
	v_add_u32_e32 v13, v12, v22
	v_or_b32_e32 v14, 0x2000, v22
	v_add_co_u32_e32 v22, vcc, s6, v2
	v_add_u32_e32 v15, v14, v12
	v_addc_co_u32_e32 v23, vcc, v8, v3, vcc
	s_mov_b64 s[6:7], 0
	s_mov_b64 s[8:9], 0
	s_branch .LBB1881_4
.LBB1881_3:                             ;   in Loop: Header=BB1881_4 Depth=1
	s_or_b64 exec, exec, s[12:13]
	s_add_u32 s8, s8, 32
	v_mov_b32_e32 v2, s30
	s_addc_u32 s9, s9, 0
	v_mov_b32_e32 v3, s31
	v_cmp_lt_i64_e32 vcc, s[8:9], v[2:3]
	s_add_u32 s6, s6, 0x100
	s_addc_u32 s7, s7, 0
	s_waitcnt vmcnt(0) lgkmcnt(0)
	s_barrier
	s_cbranch_vccz .LBB1881_16
.LBB1881_4:                             ; =>This Inner Loop Header: Depth=1
	v_mov_b32_e32 v3, s9
	v_add_co_u32_e32 v2, vcc, s8, v1
	v_addc_co_u32_e32 v3, vcc, 0, v3, vcc
	v_cmp_gt_i64_e32 vcc, s[30:31], v[2:3]
	v_mov_b32_e32 v2, 0
	s_and_b64 s[12:13], s[0:1], vcc
	v_mov_b32_e32 v3, 0
	s_and_saveexec_b64 s[14:15], s[12:13]
	s_cbranch_execz .LBB1881_6
; %bb.5:                                ;   in Loop: Header=BB1881_4 Depth=1
	v_mov_b32_e32 v3, s7
	v_add_co_u32_e32 v2, vcc, s6, v18
	v_addc_co_u32_e32 v3, vcc, v19, v3, vcc
	flat_load_dwordx2 v[2:3], v[2:3]
.LBB1881_6:                             ;   in Loop: Header=BB1881_4 Depth=1
	s_or_b64 exec, exec, s[14:15]
	v_mov_b32_e32 v5, s9
	v_add_co_u32_e32 v4, vcc, s8, v0
	v_addc_co_u32_e32 v5, vcc, 0, v5, vcc
	v_cmp_gt_i64_e32 vcc, s[30:31], v[4:5]
	s_waitcnt vmcnt(0) lgkmcnt(0)
	ds_write_b64 v13, v[2:3]
	s_and_b64 s[14:15], s[2:3], vcc
	v_mov_b32_e32 v2, 0
	v_mov_b32_e32 v3, 0
	s_and_saveexec_b64 s[16:17], s[14:15]
	s_cbranch_execz .LBB1881_8
; %bb.7:                                ;   in Loop: Header=BB1881_4 Depth=1
	v_mov_b32_e32 v3, s7
	v_add_co_u32_e32 v2, vcc, s6, v20
	v_addc_co_u32_e32 v3, vcc, v21, v3, vcc
	flat_load_dwordx2 v[2:3], v[2:3]
.LBB1881_8:                             ;   in Loop: Header=BB1881_4 Depth=1
	s_or_b64 exec, exec, s[16:17]
	v_add_u32_e32 v26, 0x800, v14
	v_add_u32_e32 v25, 0x1000, v14
	;; [unrolled: 1-line block ×3, first 2 shown]
	s_waitcnt vmcnt(0) lgkmcnt(0)
	ds_write_b64 v15, v[2:3]
	s_waitcnt lgkmcnt(0)
	s_barrier
	s_and_saveexec_b64 s[16:17], s[4:5]
	s_cbranch_execz .LBB1881_10
; %bb.9:                                ;   in Loop: Header=BB1881_4 Depth=1
	ds_read2_b64 v[2:5], v14 offset1:32
	ds_read_b128 v[6:9], v12
	ds_read_b128 v[27:30], v12 offset:16
	s_waitcnt lgkmcnt(1)
	v_mul_f32_e32 v31, v3, v7
	v_fma_f32 v36, v2, v6, -v31
	ds_read2_b64 v[31:34], v14 offset0:64 offset1:96
	v_mul_f32_e32 v35, v2, v7
	v_mul_f32_e32 v2, v5, v9
	v_fma_f32 v37, v4, v8, -v2
	v_fmac_f32_e32 v35, v3, v6
	s_waitcnt lgkmcnt(0)
	v_mul_f32_e32 v2, v32, v28
	v_mul_f32_e32 v38, v4, v9
	v_fma_f32 v39, v31, v27, -v2
	v_mul_f32_e32 v31, v31, v28
	v_mul_f32_e32 v2, v34, v30
	v_fmac_f32_e32 v38, v5, v8
	v_fmac_f32_e32 v31, v32, v27
	v_fma_f32 v32, v33, v29, -v2
	v_mul_f32_e32 v33, v33, v30
	v_add_f32_e32 v27, 0, v36
	v_add_f32_e32 v28, 0, v35
	v_fmac_f32_e32 v33, v34, v29
	ds_read_b128 v[2:5], v12 offset:32
	ds_read_b128 v[6:9], v12 offset:48
	v_add_f32_e32 v34, v27, v37
	v_add_f32_e32 v35, v28, v38
	ds_read2_b64 v[27:30], v14 offset0:128 offset1:160
	v_add_f32_e32 v31, v35, v31
	v_add_f32_e32 v34, v34, v39
	;; [unrolled: 1-line block ×4, first 2 shown]
	s_waitcnt lgkmcnt(0)
	v_mul_f32_e32 v33, v28, v3
	v_mul_f32_e32 v3, v27, v3
	v_fma_f32 v33, v27, v2, -v33
	v_fmac_f32_e32 v3, v28, v2
	v_add_f32_e32 v2, v32, v33
	v_add_f32_e32 v3, v31, v3
	ds_read2_b64 v[31:34], v14 offset0:192 offset1:224
	v_mul_f32_e32 v27, v30, v5
	v_mul_f32_e32 v5, v29, v5
	v_fma_f32 v27, v29, v4, -v27
	v_fmac_f32_e32 v5, v30, v4
	s_waitcnt lgkmcnt(0)
	v_mul_f32_e32 v4, v32, v7
	v_add_f32_e32 v2, v2, v27
	v_add_f32_e32 v3, v3, v5
	v_fma_f32 v4, v31, v6, -v4
	v_mul_f32_e32 v5, v31, v7
	v_fmac_f32_e32 v5, v32, v6
	v_add_f32_e32 v6, v2, v4
	v_mul_f32_e32 v2, v34, v9
	v_add_f32_e32 v7, v3, v5
	v_fma_f32 v31, v33, v8, -v2
	ds_read_b128 v[2:5], v12 offset:64
	ds_read2_b64 v[27:30], v26 offset1:32
	v_mul_f32_e32 v9, v33, v9
	v_fmac_f32_e32 v9, v34, v8
	v_add_f32_e32 v31, v6, v31
	v_add_f32_e32 v32, v7, v9
	s_waitcnt lgkmcnt(0)
	v_mul_f32_e32 v33, v28, v3
	v_mul_f32_e32 v3, v27, v3
	v_fma_f32 v33, v27, v2, -v33
	v_fmac_f32_e32 v3, v28, v2
	ds_read_b128 v[6:9], v12 offset:80
	v_add_f32_e32 v2, v31, v33
	v_add_f32_e32 v3, v32, v3
	ds_read2_b64 v[31:34], v26 offset0:64 offset1:96
	v_mul_f32_e32 v27, v30, v5
	v_mul_f32_e32 v5, v29, v5
	v_fma_f32 v27, v29, v4, -v27
	v_fmac_f32_e32 v5, v30, v4
	s_waitcnt lgkmcnt(0)
	v_mul_f32_e32 v4, v32, v7
	v_add_f32_e32 v2, v2, v27
	v_add_f32_e32 v3, v3, v5
	v_fma_f32 v4, v31, v6, -v4
	v_mul_f32_e32 v5, v31, v7
	v_fmac_f32_e32 v5, v32, v6
	v_add_f32_e32 v6, v2, v4
	v_mul_f32_e32 v2, v34, v9
	v_add_f32_e32 v7, v3, v5
	v_fma_f32 v31, v33, v8, -v2
	ds_read_b128 v[2:5], v12 offset:96
	ds_read2_b64 v[27:30], v26 offset0:128 offset1:160
	v_mul_f32_e32 v9, v33, v9
	v_fmac_f32_e32 v9, v34, v8
	v_add_f32_e32 v31, v6, v31
	v_add_f32_e32 v32, v7, v9
	s_waitcnt lgkmcnt(0)
	v_mul_f32_e32 v33, v28, v3
	v_mul_f32_e32 v3, v27, v3
	v_fma_f32 v33, v27, v2, -v33
	v_fmac_f32_e32 v3, v28, v2
	ds_read_b128 v[6:9], v12 offset:112
	v_add_f32_e32 v2, v31, v33
	v_add_f32_e32 v3, v32, v3
	ds_read2_b64 v[31:34], v26 offset0:192 offset1:224
	v_mul_f32_e32 v27, v30, v5
	v_mul_f32_e32 v5, v29, v5
	v_fma_f32 v27, v29, v4, -v27
	v_fmac_f32_e32 v5, v30, v4
	s_waitcnt lgkmcnt(0)
	v_mul_f32_e32 v4, v32, v7
	v_add_f32_e32 v2, v2, v27
	v_add_f32_e32 v3, v3, v5
	v_fma_f32 v4, v31, v6, -v4
	v_mul_f32_e32 v5, v31, v7
	v_fmac_f32_e32 v5, v32, v6
	v_add_f32_e32 v6, v2, v4
	v_mul_f32_e32 v2, v34, v9
	v_add_f32_e32 v7, v3, v5
	v_fma_f32 v31, v33, v8, -v2
	ds_read_b128 v[2:5], v12 offset:128
	ds_read2_b64 v[27:30], v25 offset1:32
	v_mul_f32_e32 v9, v33, v9
	v_fmac_f32_e32 v9, v34, v8
	v_add_f32_e32 v6, v6, v31
	ds_read_b128 v[31:34], v12 offset:144
	ds_read2_b64 v[35:38], v25 offset0:64 offset1:96
	s_waitcnt lgkmcnt(2)
	v_mul_f32_e32 v8, v28, v3
	v_fma_f32 v8, v27, v2, -v8
	v_mul_f32_e32 v3, v27, v3
	v_add_f32_e32 v7, v7, v9
	v_fmac_f32_e32 v3, v28, v2
	v_add_f32_e32 v2, v6, v8
	v_mul_f32_e32 v6, v30, v5
	v_mul_f32_e32 v5, v29, v5
	v_add_f32_e32 v3, v7, v3
	v_fma_f32 v6, v29, v4, -v6
	v_fmac_f32_e32 v5, v30, v4
	s_waitcnt lgkmcnt(0)
	v_mul_f32_e32 v4, v36, v32
	v_add_f32_e32 v2, v2, v6
	v_add_f32_e32 v3, v3, v5
	v_fma_f32 v4, v35, v31, -v4
	v_mul_f32_e32 v5, v35, v32
	v_fmac_f32_e32 v5, v36, v31
	v_add_f32_e32 v27, v2, v4
	v_mul_f32_e32 v2, v38, v34
	v_add_f32_e32 v28, v3, v5
	v_fma_f32 v29, v37, v33, -v2
	ds_read_b128 v[2:5], v12 offset:160
	ds_read2_b64 v[6:9], v25 offset0:128 offset1:160
	v_mul_f32_e32 v30, v37, v34
	v_fmac_f32_e32 v30, v38, v33
	v_add_f32_e32 v33, v27, v29
	v_add_f32_e32 v34, v28, v30
	s_waitcnt lgkmcnt(0)
	v_mul_f32_e32 v31, v7, v3
	v_fma_f32 v35, v6, v2, -v31
	flat_load_dwordx2 v[31:32], v[10:11]
	v_mul_f32_e32 v6, v6, v3
	v_fmac_f32_e32 v6, v7, v2
	v_mul_f32_e32 v2, v9, v5
	v_fma_f32 v7, v8, v4, -v2
	v_mul_f32_e32 v8, v8, v5
	ds_read_b128 v[27:30], v12 offset:176
	v_fmac_f32_e32 v8, v9, v4
	ds_read2_b64 v[2:5], v25 offset0:192 offset1:224
	v_add_f32_e32 v6, v34, v6
	v_add_f32_e32 v9, v33, v35
	;; [unrolled: 1-line block ×4, first 2 shown]
	s_waitcnt lgkmcnt(0)
	v_mul_f32_e32 v6, v3, v28
	v_fma_f32 v6, v2, v27, -v6
	v_mul_f32_e32 v28, v2, v28
	v_mul_f32_e32 v2, v5, v30
	v_mul_f32_e32 v30, v4, v30
	v_fmac_f32_e32 v28, v3, v27
	v_add_f32_e32 v27, v7, v6
	v_fma_f32 v34, v4, v29, -v2
	v_fmac_f32_e32 v30, v5, v29
	ds_read_b128 v[2:5], v12 offset:192
	ds_read2_b64 v[6:9], v24 offset1:32
	v_add_f32_e32 v28, v33, v28
	v_add_f32_e32 v33, v27, v34
	v_add_f32_e32 v34, v28, v30
	ds_read_b128 v[27:30], v12 offset:208
	s_waitcnt lgkmcnt(0)
	v_mul_f32_e32 v35, v7, v3
	v_fma_f32 v35, v6, v2, -v35
	v_mul_f32_e32 v6, v6, v3
	v_fmac_f32_e32 v6, v7, v2
	v_mul_f32_e32 v2, v9, v5
	v_fma_f32 v7, v8, v4, -v2
	v_mul_f32_e32 v8, v8, v5
	v_fmac_f32_e32 v8, v9, v4
	ds_read2_b64 v[2:5], v24 offset0:64 offset1:96
	v_add_f32_e32 v6, v34, v6
	v_add_f32_e32 v9, v33, v35
	;; [unrolled: 1-line block ×4, first 2 shown]
	s_waitcnt lgkmcnt(0)
	v_mul_f32_e32 v6, v3, v28
	v_fma_f32 v6, v2, v27, -v6
	v_mul_f32_e32 v28, v2, v28
	v_mul_f32_e32 v2, v5, v30
	;; [unrolled: 1-line block ×3, first 2 shown]
	v_fmac_f32_e32 v28, v3, v27
	v_add_f32_e32 v27, v7, v6
	v_fma_f32 v34, v4, v29, -v2
	v_fmac_f32_e32 v30, v5, v29
	ds_read_b128 v[2:5], v12 offset:224
	ds_read2_b64 v[6:9], v24 offset0:128 offset1:160
	v_add_f32_e32 v28, v33, v28
	v_add_f32_e32 v33, v27, v34
	;; [unrolled: 1-line block ×3, first 2 shown]
	ds_read_b128 v[27:30], v12 offset:240
	s_waitcnt lgkmcnt(0)
	v_mul_f32_e32 v35, v7, v3
	v_fma_f32 v35, v6, v2, -v35
	v_mul_f32_e32 v6, v6, v3
	v_fmac_f32_e32 v6, v7, v2
	v_mul_f32_e32 v2, v9, v5
	v_fma_f32 v7, v8, v4, -v2
	v_mul_f32_e32 v8, v8, v5
	v_fmac_f32_e32 v8, v9, v4
	ds_read2_b64 v[2:5], v24 offset0:192 offset1:224
	v_add_f32_e32 v6, v34, v6
	v_add_f32_e32 v6, v6, v8
	v_add_f32_e32 v9, v33, v35
	v_add_f32_e32 v7, v9, v7
	s_waitcnt lgkmcnt(0)
	v_mul_f32_e32 v8, v3, v28
	v_fma_f32 v8, v2, v27, -v8
	v_mul_f32_e32 v2, v2, v28
	v_fmac_f32_e32 v2, v3, v27
	v_add_f32_e32 v2, v6, v2
	v_mul_f32_e32 v6, v5, v30
	v_fma_f32 v6, v4, v29, -v6
	v_mul_f32_e32 v4, v4, v30
	v_fmac_f32_e32 v4, v5, v29
	v_add_f32_e32 v3, v7, v8
	v_add_f32_e32 v2, v2, v4
	;; [unrolled: 1-line block ×3, first 2 shown]
	v_mul_f32_e32 v4, s11, v2
	v_mul_f32_e32 v5, s10, v2
	v_fma_f32 v4, s10, v3, -v4
	v_fmac_f32_e32 v5, s11, v3
	s_waitcnt vmcnt(0)
	v_add_f32_e32 v2, v31, v4
	v_add_f32_e32 v3, v32, v5
	flat_store_dwordx2 v[10:11], v[2:3]
.LBB1881_10:                            ;   in Loop: Header=BB1881_4 Depth=1
	s_or_b64 exec, exec, s[16:17]
	v_mov_b32_e32 v3, 0
	v_mov_b32_e32 v5, 0
	;; [unrolled: 1-line block ×3, first 2 shown]
	s_waitcnt vmcnt(0) lgkmcnt(0)
	s_barrier
	s_and_saveexec_b64 s[16:17], s[12:13]
	s_cbranch_execz .LBB1881_12
; %bb.11:                               ;   in Loop: Header=BB1881_4 Depth=1
	v_mov_b32_e32 v2, s7
	v_add_co_u32_e32 v4, vcc, s6, v22
	v_addc_co_u32_e32 v5, vcc, v23, v2, vcc
	flat_load_dwordx2 v[4:5], v[4:5]
.LBB1881_12:                            ;   in Loop: Header=BB1881_4 Depth=1
	s_or_b64 exec, exec, s[16:17]
	v_mov_b32_e32 v2, 0
	s_waitcnt vmcnt(0) lgkmcnt(0)
	ds_write_b64 v13, v[4:5]
	s_and_saveexec_b64 s[12:13], s[14:15]
	s_cbranch_execz .LBB1881_14
; %bb.13:                               ;   in Loop: Header=BB1881_4 Depth=1
	v_mov_b32_e32 v3, s7
	v_add_co_u32_e32 v2, vcc, s6, v16
	v_addc_co_u32_e32 v3, vcc, v17, v3, vcc
	flat_load_dwordx2 v[2:3], v[2:3]
.LBB1881_14:                            ;   in Loop: Header=BB1881_4 Depth=1
	s_or_b64 exec, exec, s[12:13]
	s_waitcnt vmcnt(0) lgkmcnt(0)
	ds_write_b64 v15, v[2:3]
	s_waitcnt lgkmcnt(0)
	s_barrier
	s_and_saveexec_b64 s[12:13], s[4:5]
	s_cbranch_execz .LBB1881_3
; %bb.15:                               ;   in Loop: Header=BB1881_4 Depth=1
	ds_read2_b64 v[2:5], v14 offset1:32
	ds_read_b128 v[6:9], v12
	ds_read_b128 v[27:30], v12 offset:16
	s_waitcnt lgkmcnt(1)
	v_mul_f32_e32 v31, v3, v7
	v_mul_f32_e32 v35, v2, v7
	v_fma_f32 v36, v2, v6, -v31
	v_mul_f32_e32 v2, v5, v9
	v_mul_f32_e32 v38, v4, v9
	v_fmac_f32_e32 v35, v3, v6
	v_fma_f32 v37, v4, v8, -v2
	v_fmac_f32_e32 v38, v5, v8
	ds_read_b128 v[2:5], v12 offset:32
	ds_read_b128 v[6:9], v12 offset:48
	ds_read2_b64 v[31:34], v14 offset0:64 offset1:96
	v_add_f32_e32 v36, 0, v36
	v_add_f32_e32 v36, v36, v37
	;; [unrolled: 1-line block ×4, first 2 shown]
	s_waitcnt lgkmcnt(0)
	v_mul_f32_e32 v37, v32, v28
	v_fma_f32 v37, v31, v27, -v37
	v_mul_f32_e32 v31, v31, v28
	v_fmac_f32_e32 v31, v32, v27
	v_mul_f32_e32 v27, v34, v30
	v_fma_f32 v32, v33, v29, -v27
	v_mul_f32_e32 v33, v33, v30
	v_fmac_f32_e32 v33, v34, v29
	ds_read2_b64 v[27:30], v14 offset0:128 offset1:160
	v_add_f32_e32 v31, v35, v31
	v_add_f32_e32 v34, v36, v37
	;; [unrolled: 1-line block ×4, first 2 shown]
	s_waitcnt lgkmcnt(0)
	v_mul_f32_e32 v33, v28, v3
	v_mul_f32_e32 v3, v27, v3
	v_fma_f32 v33, v27, v2, -v33
	v_fmac_f32_e32 v3, v28, v2
	v_add_f32_e32 v2, v32, v33
	v_add_f32_e32 v3, v31, v3
	ds_read2_b64 v[31:34], v14 offset0:192 offset1:224
	v_mul_f32_e32 v27, v30, v5
	v_mul_f32_e32 v5, v29, v5
	v_fma_f32 v27, v29, v4, -v27
	v_fmac_f32_e32 v5, v30, v4
	s_waitcnt lgkmcnt(0)
	v_mul_f32_e32 v4, v32, v7
	v_add_f32_e32 v2, v2, v27
	v_add_f32_e32 v3, v3, v5
	v_fma_f32 v4, v31, v6, -v4
	v_mul_f32_e32 v5, v31, v7
	v_fmac_f32_e32 v5, v32, v6
	v_add_f32_e32 v6, v2, v4
	v_mul_f32_e32 v2, v34, v9
	v_add_f32_e32 v7, v3, v5
	v_fma_f32 v31, v33, v8, -v2
	ds_read_b128 v[2:5], v12 offset:64
	ds_read2_b64 v[27:30], v26 offset1:32
	v_mul_f32_e32 v9, v33, v9
	v_fmac_f32_e32 v9, v34, v8
	v_add_f32_e32 v31, v6, v31
	v_add_f32_e32 v32, v7, v9
	s_waitcnt lgkmcnt(0)
	v_mul_f32_e32 v33, v28, v3
	v_mul_f32_e32 v3, v27, v3
	v_fma_f32 v33, v27, v2, -v33
	v_fmac_f32_e32 v3, v28, v2
	ds_read_b128 v[6:9], v12 offset:80
	v_add_f32_e32 v2, v31, v33
	v_add_f32_e32 v3, v32, v3
	ds_read2_b64 v[31:34], v26 offset0:64 offset1:96
	v_mul_f32_e32 v27, v30, v5
	v_mul_f32_e32 v5, v29, v5
	v_fma_f32 v27, v29, v4, -v27
	v_fmac_f32_e32 v5, v30, v4
	s_waitcnt lgkmcnt(0)
	v_mul_f32_e32 v4, v32, v7
	v_add_f32_e32 v2, v2, v27
	v_add_f32_e32 v3, v3, v5
	v_fma_f32 v4, v31, v6, -v4
	v_mul_f32_e32 v5, v31, v7
	v_fmac_f32_e32 v5, v32, v6
	v_add_f32_e32 v6, v2, v4
	v_mul_f32_e32 v2, v34, v9
	v_add_f32_e32 v7, v3, v5
	v_fma_f32 v31, v33, v8, -v2
	ds_read_b128 v[2:5], v12 offset:96
	ds_read2_b64 v[27:30], v26 offset0:128 offset1:160
	v_mul_f32_e32 v9, v33, v9
	v_fmac_f32_e32 v9, v34, v8
	v_add_f32_e32 v31, v6, v31
	v_add_f32_e32 v32, v7, v9
	s_waitcnt lgkmcnt(0)
	v_mul_f32_e32 v33, v28, v3
	v_mul_f32_e32 v3, v27, v3
	v_fma_f32 v33, v27, v2, -v33
	v_fmac_f32_e32 v3, v28, v2
	ds_read_b128 v[6:9], v12 offset:112
	v_add_f32_e32 v2, v31, v33
	v_add_f32_e32 v3, v32, v3
	ds_read2_b64 v[31:34], v26 offset0:192 offset1:224
	v_mul_f32_e32 v27, v30, v5
	v_mul_f32_e32 v5, v29, v5
	v_fma_f32 v27, v29, v4, -v27
	v_fmac_f32_e32 v5, v30, v4
	s_waitcnt lgkmcnt(0)
	v_mul_f32_e32 v4, v32, v7
	v_add_f32_e32 v2, v2, v27
	v_add_f32_e32 v3, v3, v5
	v_fma_f32 v4, v31, v6, -v4
	v_mul_f32_e32 v5, v31, v7
	v_fmac_f32_e32 v5, v32, v6
	v_add_f32_e32 v6, v2, v4
	v_mul_f32_e32 v2, v34, v9
	v_add_f32_e32 v7, v3, v5
	v_fma_f32 v30, v33, v8, -v2
	ds_read_b128 v[2:5], v12 offset:128
	ds_read2_b64 v[26:29], v25 offset1:32
	v_mul_f32_e32 v9, v33, v9
	v_fmac_f32_e32 v9, v34, v8
	v_add_f32_e32 v6, v6, v30
	ds_read_b128 v[30:33], v12 offset:144
	ds_read2_b64 v[34:37], v25 offset0:64 offset1:96
	s_waitcnt lgkmcnt(2)
	v_mul_f32_e32 v8, v27, v3
	v_fma_f32 v8, v26, v2, -v8
	v_mul_f32_e32 v3, v26, v3
	v_add_f32_e32 v7, v7, v9
	v_fmac_f32_e32 v3, v27, v2
	v_add_f32_e32 v2, v6, v8
	v_mul_f32_e32 v6, v29, v5
	v_mul_f32_e32 v5, v28, v5
	v_add_f32_e32 v3, v7, v3
	v_fma_f32 v6, v28, v4, -v6
	v_fmac_f32_e32 v5, v29, v4
	s_waitcnt lgkmcnt(0)
	v_mul_f32_e32 v4, v35, v31
	v_add_f32_e32 v2, v2, v6
	v_add_f32_e32 v3, v3, v5
	v_fma_f32 v4, v34, v30, -v4
	v_mul_f32_e32 v5, v34, v31
	v_fmac_f32_e32 v5, v35, v30
	v_add_f32_e32 v26, v2, v4
	v_mul_f32_e32 v2, v37, v33
	v_add_f32_e32 v27, v3, v5
	v_fma_f32 v28, v36, v32, -v2
	ds_read_b128 v[2:5], v12 offset:160
	ds_read2_b64 v[6:9], v25 offset0:128 offset1:160
	flat_load_dwordx2 v[34:35], v[10:11]
	v_mul_f32_e32 v29, v36, v33
	v_fmac_f32_e32 v29, v37, v32
	v_add_f32_e32 v30, v26, v28
	s_waitcnt lgkmcnt(0)
	v_mul_f32_e32 v32, v7, v3
	v_mul_f32_e32 v3, v6, v3
	v_add_f32_e32 v31, v27, v29
	v_fma_f32 v32, v6, v2, -v32
	v_fmac_f32_e32 v3, v7, v2
	ds_read_b128 v[26:29], v12 offset:176
	v_add_f32_e32 v2, v30, v32
	v_add_f32_e32 v3, v31, v3
	ds_read2_b64 v[30:33], v25 offset0:192 offset1:224
	v_mul_f32_e32 v6, v9, v5
	v_mul_f32_e32 v5, v8, v5
	v_fma_f32 v6, v8, v4, -v6
	v_fmac_f32_e32 v5, v9, v4
	s_waitcnt lgkmcnt(0)
	v_mul_f32_e32 v4, v31, v27
	v_add_f32_e32 v2, v2, v6
	v_add_f32_e32 v3, v3, v5
	v_fma_f32 v4, v30, v26, -v4
	v_mul_f32_e32 v5, v30, v27
	v_fmac_f32_e32 v5, v31, v26
	v_add_f32_e32 v25, v2, v4
	v_mul_f32_e32 v2, v33, v29
	v_add_f32_e32 v26, v3, v5
	v_fma_f32 v27, v32, v28, -v2
	ds_read_b128 v[2:5], v12 offset:192
	ds_read2_b64 v[6:9], v24 offset1:32
	v_mul_f32_e32 v29, v32, v29
	v_fmac_f32_e32 v29, v33, v28
	v_add_f32_e32 v30, v25, v27
	v_add_f32_e32 v29, v26, v29
	s_waitcnt lgkmcnt(0)
	v_mul_f32_e32 v31, v7, v3
	v_mul_f32_e32 v3, v6, v3
	v_fma_f32 v31, v6, v2, -v31
	v_fmac_f32_e32 v3, v7, v2
	ds_read_b128 v[25:28], v12 offset:208
	v_add_f32_e32 v2, v30, v31
	v_add_f32_e32 v3, v29, v3
	ds_read2_b64 v[29:32], v24 offset0:64 offset1:96
	v_mul_f32_e32 v6, v9, v5
	v_mul_f32_e32 v5, v8, v5
	v_fma_f32 v6, v8, v4, -v6
	v_fmac_f32_e32 v5, v9, v4
	s_waitcnt lgkmcnt(0)
	v_mul_f32_e32 v4, v30, v26
	v_add_f32_e32 v2, v2, v6
	v_add_f32_e32 v3, v3, v5
	v_fma_f32 v4, v29, v25, -v4
	v_mul_f32_e32 v5, v29, v26
	v_fmac_f32_e32 v5, v30, v25
	v_add_f32_e32 v25, v2, v4
	v_mul_f32_e32 v2, v32, v28
	v_add_f32_e32 v26, v3, v5
	v_fma_f32 v29, v31, v27, -v2
	ds_read_b128 v[2:5], v12 offset:224
	ds_read2_b64 v[6:9], v24 offset0:128 offset1:160
	v_mul_f32_e32 v28, v31, v28
	v_fmac_f32_e32 v28, v32, v27
	v_add_f32_e32 v29, v25, v29
	v_add_f32_e32 v30, v26, v28
	s_waitcnt lgkmcnt(0)
	v_mul_f32_e32 v31, v7, v3
	v_mul_f32_e32 v3, v6, v3
	v_fma_f32 v31, v6, v2, -v31
	v_fmac_f32_e32 v3, v7, v2
	ds_read_b128 v[25:28], v12 offset:240
	v_add_f32_e32 v2, v29, v31
	v_add_f32_e32 v3, v30, v3
	ds_read2_b64 v[29:32], v24 offset0:192 offset1:224
	v_mul_f32_e32 v6, v9, v5
	v_mul_f32_e32 v5, v8, v5
	v_fmac_f32_e32 v5, v9, v4
	v_fma_f32 v6, v8, v4, -v6
	v_add_f32_e32 v3, v3, v5
	s_waitcnt lgkmcnt(0)
	v_mul_f32_e32 v4, v30, v26
	v_mul_f32_e32 v5, v29, v26
	v_add_f32_e32 v2, v2, v6
	v_fma_f32 v4, v29, v25, -v4
	v_fmac_f32_e32 v5, v30, v25
	v_add_f32_e32 v2, v2, v4
	v_add_f32_e32 v3, v3, v5
	v_mul_f32_e32 v4, v32, v28
	v_mul_f32_e32 v5, v31, v28
	v_fma_f32 v4, v31, v27, -v4
	v_fmac_f32_e32 v5, v32, v27
	v_add_f32_e32 v2, v2, v4
	v_add_f32_e32 v3, v3, v5
	v_mul_f32_e32 v4, s11, v3
	v_mul_f32_e32 v5, s11, v2
	v_fma_f32 v4, s10, v2, -v4
	v_fmac_f32_e32 v5, s10, v3
	s_waitcnt vmcnt(0)
	v_add_f32_e32 v2, v34, v4
	v_add_f32_e32 v3, v35, v5
	flat_store_dwordx2 v[10:11], v[2:3]
	s_branch .LBB1881_3
.LBB1881_16:
	s_endpgm
	.section	.rodata,"a",@progbits
	.p2align	6, 0x0
	.amdhsa_kernel _ZL26rocblas_syr2k_her2k_kernelIlLb1ELb0ELb1ELi32E19rocblas_complex_numIfEPKPKS1_PKPS1_EvbiT_T4_T5_S9_lSB_S9_lT6_S9_li
		.amdhsa_group_segment_fixed_size 16384
		.amdhsa_private_segment_fixed_size 0
		.amdhsa_kernarg_size 100
		.amdhsa_user_sgpr_count 6
		.amdhsa_user_sgpr_private_segment_buffer 1
		.amdhsa_user_sgpr_dispatch_ptr 0
		.amdhsa_user_sgpr_queue_ptr 0
		.amdhsa_user_sgpr_kernarg_segment_ptr 1
		.amdhsa_user_sgpr_dispatch_id 0
		.amdhsa_user_sgpr_flat_scratch_init 0
		.amdhsa_user_sgpr_private_segment_size 0
		.amdhsa_uses_dynamic_stack 0
		.amdhsa_system_sgpr_private_segment_wavefront_offset 0
		.amdhsa_system_sgpr_workgroup_id_x 1
		.amdhsa_system_sgpr_workgroup_id_y 1
		.amdhsa_system_sgpr_workgroup_id_z 1
		.amdhsa_system_sgpr_workgroup_info 0
		.amdhsa_system_vgpr_workitem_id 1
		.amdhsa_next_free_vgpr 40
		.amdhsa_next_free_sgpr 61
		.amdhsa_reserve_vcc 1
		.amdhsa_reserve_flat_scratch 0
		.amdhsa_float_round_mode_32 0
		.amdhsa_float_round_mode_16_64 0
		.amdhsa_float_denorm_mode_32 3
		.amdhsa_float_denorm_mode_16_64 3
		.amdhsa_dx10_clamp 1
		.amdhsa_ieee_mode 1
		.amdhsa_fp16_overflow 0
		.amdhsa_exception_fp_ieee_invalid_op 0
		.amdhsa_exception_fp_denorm_src 0
		.amdhsa_exception_fp_ieee_div_zero 0
		.amdhsa_exception_fp_ieee_overflow 0
		.amdhsa_exception_fp_ieee_underflow 0
		.amdhsa_exception_fp_ieee_inexact 0
		.amdhsa_exception_int_div_zero 0
	.end_amdhsa_kernel
	.section	.text._ZL26rocblas_syr2k_her2k_kernelIlLb1ELb0ELb1ELi32E19rocblas_complex_numIfEPKPKS1_PKPS1_EvbiT_T4_T5_S9_lSB_S9_lT6_S9_li,"axG",@progbits,_ZL26rocblas_syr2k_her2k_kernelIlLb1ELb0ELb1ELi32E19rocblas_complex_numIfEPKPKS1_PKPS1_EvbiT_T4_T5_S9_lSB_S9_lT6_S9_li,comdat
.Lfunc_end1881:
	.size	_ZL26rocblas_syr2k_her2k_kernelIlLb1ELb0ELb1ELi32E19rocblas_complex_numIfEPKPKS1_PKPS1_EvbiT_T4_T5_S9_lSB_S9_lT6_S9_li, .Lfunc_end1881-_ZL26rocblas_syr2k_her2k_kernelIlLb1ELb0ELb1ELi32E19rocblas_complex_numIfEPKPKS1_PKPS1_EvbiT_T4_T5_S9_lSB_S9_lT6_S9_li
                                        ; -- End function
	.set _ZL26rocblas_syr2k_her2k_kernelIlLb1ELb0ELb1ELi32E19rocblas_complex_numIfEPKPKS1_PKPS1_EvbiT_T4_T5_S9_lSB_S9_lT6_S9_li.num_vgpr, 40
	.set _ZL26rocblas_syr2k_her2k_kernelIlLb1ELb0ELb1ELi32E19rocblas_complex_numIfEPKPKS1_PKPS1_EvbiT_T4_T5_S9_lSB_S9_lT6_S9_li.num_agpr, 0
	.set _ZL26rocblas_syr2k_her2k_kernelIlLb1ELb0ELb1ELi32E19rocblas_complex_numIfEPKPKS1_PKPS1_EvbiT_T4_T5_S9_lSB_S9_lT6_S9_li.numbered_sgpr, 32
	.set _ZL26rocblas_syr2k_her2k_kernelIlLb1ELb0ELb1ELi32E19rocblas_complex_numIfEPKPKS1_PKPS1_EvbiT_T4_T5_S9_lSB_S9_lT6_S9_li.num_named_barrier, 0
	.set _ZL26rocblas_syr2k_her2k_kernelIlLb1ELb0ELb1ELi32E19rocblas_complex_numIfEPKPKS1_PKPS1_EvbiT_T4_T5_S9_lSB_S9_lT6_S9_li.private_seg_size, 0
	.set _ZL26rocblas_syr2k_her2k_kernelIlLb1ELb0ELb1ELi32E19rocblas_complex_numIfEPKPKS1_PKPS1_EvbiT_T4_T5_S9_lSB_S9_lT6_S9_li.uses_vcc, 1
	.set _ZL26rocblas_syr2k_her2k_kernelIlLb1ELb0ELb1ELi32E19rocblas_complex_numIfEPKPKS1_PKPS1_EvbiT_T4_T5_S9_lSB_S9_lT6_S9_li.uses_flat_scratch, 0
	.set _ZL26rocblas_syr2k_her2k_kernelIlLb1ELb0ELb1ELi32E19rocblas_complex_numIfEPKPKS1_PKPS1_EvbiT_T4_T5_S9_lSB_S9_lT6_S9_li.has_dyn_sized_stack, 0
	.set _ZL26rocblas_syr2k_her2k_kernelIlLb1ELb0ELb1ELi32E19rocblas_complex_numIfEPKPKS1_PKPS1_EvbiT_T4_T5_S9_lSB_S9_lT6_S9_li.has_recursion, 0
	.set _ZL26rocblas_syr2k_her2k_kernelIlLb1ELb0ELb1ELi32E19rocblas_complex_numIfEPKPKS1_PKPS1_EvbiT_T4_T5_S9_lSB_S9_lT6_S9_li.has_indirect_call, 0
	.section	.AMDGPU.csdata,"",@progbits
; Kernel info:
; codeLenInByte = 3528
; TotalNumSgprs: 36
; NumVgprs: 40
; ScratchSize: 0
; MemoryBound: 0
; FloatMode: 240
; IeeeMode: 1
; LDSByteSize: 16384 bytes/workgroup (compile time only)
; SGPRBlocks: 8
; VGPRBlocks: 9
; NumSGPRsForWavesPerEU: 65
; NumVGPRsForWavesPerEU: 40
; Occupancy: 6
; WaveLimiterHint : 1
; COMPUTE_PGM_RSRC2:SCRATCH_EN: 0
; COMPUTE_PGM_RSRC2:USER_SGPR: 6
; COMPUTE_PGM_RSRC2:TRAP_HANDLER: 0
; COMPUTE_PGM_RSRC2:TGID_X_EN: 1
; COMPUTE_PGM_RSRC2:TGID_Y_EN: 1
; COMPUTE_PGM_RSRC2:TGID_Z_EN: 1
; COMPUTE_PGM_RSRC2:TIDIG_COMP_CNT: 1
	.section	.text._ZL26rocblas_syr2k_her2k_kernelIlLb1ELb0ELb0ELi32EPK19rocblas_complex_numIfEPKS3_PKPS1_EvbiT_T4_T5_S9_lSB_S9_lT6_S9_li,"axG",@progbits,_ZL26rocblas_syr2k_her2k_kernelIlLb1ELb0ELb0ELi32EPK19rocblas_complex_numIfEPKS3_PKPS1_EvbiT_T4_T5_S9_lSB_S9_lT6_S9_li,comdat
	.globl	_ZL26rocblas_syr2k_her2k_kernelIlLb1ELb0ELb0ELi32EPK19rocblas_complex_numIfEPKS3_PKPS1_EvbiT_T4_T5_S9_lSB_S9_lT6_S9_li ; -- Begin function _ZL26rocblas_syr2k_her2k_kernelIlLb1ELb0ELb0ELi32EPK19rocblas_complex_numIfEPKS3_PKPS1_EvbiT_T4_T5_S9_lSB_S9_lT6_S9_li
	.p2align	8
	.type	_ZL26rocblas_syr2k_her2k_kernelIlLb1ELb0ELb0ELi32EPK19rocblas_complex_numIfEPKS3_PKPS1_EvbiT_T4_T5_S9_lSB_S9_lT6_S9_li,@function
_ZL26rocblas_syr2k_her2k_kernelIlLb1ELb0ELb0ELi32EPK19rocblas_complex_numIfEPKS3_PKPS1_EvbiT_T4_T5_S9_lSB_S9_lT6_S9_li: ; @_ZL26rocblas_syr2k_her2k_kernelIlLb1ELb0ELb0ELi32EPK19rocblas_complex_numIfEPKS3_PKPS1_EvbiT_T4_T5_S9_lSB_S9_lT6_S9_li
; %bb.0:
	s_load_dwordx16 s[12:27], s[4:5], 0x8
	s_waitcnt lgkmcnt(0)
	s_load_dwordx2 s[10:11], s[14:15], 0x0
	s_waitcnt lgkmcnt(0)
	v_cmp_eq_f32_e64 s[0:1], s10, 0
	v_cmp_eq_f32_e64 s[2:3], s11, 0
	s_and_b64 s[0:1], s[0:1], s[2:3]
	s_and_b64 vcc, exec, s[0:1]
	s_cbranch_vccnz .LBB1882_16
; %bb.1:
	s_load_dwordx2 s[14:15], s[4:5], 0x0
	s_lshl_b32 s2, s7, 5
	s_lshl_b32 s3, s6, 5
	s_waitcnt lgkmcnt(0)
	s_and_b32 s0, 1, s14
	s_cmp_eq_u32 s0, 1
	s_cselect_b64 s[0:1], -1, 0
	s_and_b64 s[6:7], s[0:1], exec
	s_cselect_b32 s6, s3, s2
	s_cselect_b32 s7, s2, s3
	s_cmp_gt_i32 s6, s7
	v_cmp_lt_i64_e64 s[6:7], s[12:13], 1
	s_cselect_b64 s[28:29], -1, 0
	s_or_b64 s[6:7], s[28:29], s[6:7]
	s_and_b64 vcc, exec, s[6:7]
	s_cbranch_vccnz .LBB1882_16
; %bb.2:
	s_mov_b32 s9, 0
	s_load_dwordx4 s[28:31], s[4:5], 0x48
	s_load_dwordx2 s[6:7], s[4:5], 0x58
	s_lshl_b64 s[4:5], s[8:9], 3
	s_add_u32 s8, s16, s4
	s_addc_u32 s9, s17, s5
	s_add_u32 s16, s22, s4
	s_addc_u32 s17, s23, s5
	s_waitcnt lgkmcnt(0)
	s_add_u32 s4, s28, s4
	s_addc_u32 s5, s29, s5
	s_load_dwordx2 s[22:23], s[4:5], 0x0
	s_load_dwordx2 s[28:29], s[8:9], 0x0
	s_load_dwordx2 s[34:35], s[16:17], 0x0
	s_lshl_b64 s[4:5], s[6:7], 3
	v_add_u32_e32 v2, s2, v1
	s_waitcnt lgkmcnt(0)
	s_add_u32 s8, s22, s4
	s_addc_u32 s6, s23, s5
	s_lshl_b64 s[4:5], s[26:27], 3
	s_add_u32 s22, s34, s4
	s_addc_u32 s23, s35, s5
	s_lshl_b64 s[4:5], s[20:21], 3
	v_lshlrev_b32_e32 v12, 8, v0
	v_lshlrev_b32_e32 v6, 3, v1
	s_add_u32 s26, s28, s4
	v_add_u32_e32 v13, v12, v6
	v_or_b32_e32 v14, 0x2000, v6
	v_ashrrev_i32_e32 v6, 31, v2
	s_addc_u32 s27, s29, s5
	v_mul_lo_u32 v11, s30, v6
	v_mul_lo_u32 v16, s31, v2
	v_mad_u64_u32 v[6:7], s[4:5], s30, v2, 0
	v_add_u32_e32 v4, s3, v0
	v_max_i32_e32 v10, v4, v2
	v_cmp_gt_i32_e32 vcc, s15, v10
	v_add3_u32 v7, v7, v11, v16
	v_mov_b32_e32 v10, s6
	v_mad_u64_u32 v[16:17], s[6:7], s18, v0, 0
	v_cndmask_b32_e64 v8, v4, v2, s[0:1]
	v_cndmask_b32_e64 v9, v2, v4, s[0:1]
	v_lshlrev_b64 v[6:7], 3, v[6:7]
	v_cmp_le_i32_e64 s[4:5], v9, v8
	s_and_b64 s[4:5], s[4:5], vcc
	v_ashrrev_i32_e32 v9, 31, v4
	v_mov_b32_e32 v8, v4
	v_add_co_u32_e32 v11, vcc, s8, v6
	v_addc_co_u32_e32 v18, vcc, v10, v7, vcc
	v_lshlrev_b64 v[6:7], 3, v[8:9]
	v_mov_b32_e32 v8, v17
	v_mad_u64_u32 v[8:9], s[6:7], s19, v0, v[8:9]
	v_mov_b32_e32 v5, 0
	s_ashr_i32 s3, s15, 31
	v_mov_b32_e32 v17, v8
	v_mad_u64_u32 v[8:9], s[6:7], s18, v1, 0
	s_mov_b32 s2, s15
	v_mov_b32_e32 v3, v5
	v_add_co_u32_e32 v10, vcc, v11, v6
	v_cmp_gt_i64_e64 s[0:1], s[2:3], v[4:5]
	v_cmp_gt_i64_e64 s[2:3], s[2:3], v[2:3]
	v_addc_co_u32_e32 v11, vcc, v18, v7, vcc
	v_lshlrev_b64 v[6:7], 3, v[16:17]
	v_lshlrev_b64 v[2:3], 3, v[2:3]
	v_mad_u64_u32 v[20:21], s[8:9], s24, v0, 0
	v_add_co_u32_e32 v16, vcc, v6, v2
	v_mov_b32_e32 v6, v9
	v_addc_co_u32_e32 v17, vcc, v7, v3, vcc
	v_mad_u64_u32 v[6:7], s[6:7], s19, v1, v[6:7]
	v_mad_u64_u32 v[22:23], s[8:9], s24, v1, 0
	v_mov_b32_e32 v9, v6
	v_lshlrev_b64 v[6:7], 3, v[8:9]
	v_mov_b32_e32 v8, v21
	v_mad_u64_u32 v[8:9], s[8:9], s25, v0, v[8:9]
	v_lshlrev_b64 v[4:5], 3, v[4:5]
	v_add_u32_e32 v15, v14, v12
	v_mov_b32_e32 v21, v8
	v_mov_b32_e32 v8, v23
	v_mad_u64_u32 v[8:9], s[8:9], s25, v1, v[8:9]
	v_add_co_u32_e32 v18, vcc, v6, v4
	v_addc_co_u32_e32 v19, vcc, v7, v5, vcc
	v_lshlrev_b64 v[6:7], 3, v[20:21]
	v_mov_b32_e32 v23, v8
	v_add_co_u32_e32 v20, vcc, v6, v2
	v_addc_co_u32_e32 v21, vcc, v7, v3, vcc
	v_lshlrev_b64 v[2:3], 3, v[22:23]
	s_lshl_b64 s[6:7], s[18:19], 8
	v_add_co_u32_e32 v22, vcc, v2, v4
	s_lshl_b64 s[8:9], s[24:25], 8
	v_addc_co_u32_e32 v23, vcc, v3, v5, vcc
	s_mov_b64 s[14:15], 0
	s_branch .LBB1882_4
.LBB1882_3:                             ;   in Loop: Header=BB1882_4 Depth=1
	s_or_b64 exec, exec, s[16:17]
	s_add_u32 s14, s14, 32
	s_addc_u32 s15, s15, 0
	v_mov_b32_e32 v2, s12
	s_add_u32 s26, s26, s6
	v_mov_b32_e32 v3, s13
	s_addc_u32 s27, s27, s7
	v_cmp_lt_i64_e32 vcc, s[14:15], v[2:3]
	s_add_u32 s22, s22, s8
	s_addc_u32 s23, s23, s9
	s_waitcnt vmcnt(0) lgkmcnt(0)
	s_barrier
	s_cbranch_vccz .LBB1882_16
.LBB1882_4:                             ; =>This Inner Loop Header: Depth=1
	v_mov_b32_e32 v3, s15
	v_add_co_u32_e32 v2, vcc, s14, v1
	v_addc_co_u32_e32 v3, vcc, 0, v3, vcc
	v_cmp_gt_i64_e32 vcc, s[12:13], v[2:3]
	v_mov_b32_e32 v2, 0
	s_and_b64 s[16:17], s[0:1], vcc
	v_mov_b32_e32 v3, 0
	s_and_saveexec_b64 s[18:19], s[16:17]
	s_cbranch_execz .LBB1882_6
; %bb.5:                                ;   in Loop: Header=BB1882_4 Depth=1
	v_mov_b32_e32 v3, s27
	v_add_co_u32_e32 v2, vcc, s26, v18
	v_addc_co_u32_e32 v3, vcc, v3, v19, vcc
	flat_load_dwordx2 v[2:3], v[2:3]
.LBB1882_6:                             ;   in Loop: Header=BB1882_4 Depth=1
	s_or_b64 exec, exec, s[18:19]
	v_mov_b32_e32 v5, s15
	v_add_co_u32_e32 v4, vcc, s14, v0
	v_addc_co_u32_e32 v5, vcc, 0, v5, vcc
	v_cmp_gt_i64_e32 vcc, s[12:13], v[4:5]
	s_waitcnt vmcnt(0) lgkmcnt(0)
	ds_write_b64 v13, v[2:3]
	s_and_b64 s[18:19], s[2:3], vcc
	v_mov_b32_e32 v2, 0
	v_mov_b32_e32 v3, 0
	s_and_saveexec_b64 s[20:21], s[18:19]
	s_cbranch_execz .LBB1882_8
; %bb.7:                                ;   in Loop: Header=BB1882_4 Depth=1
	v_mov_b32_e32 v3, s23
	v_add_co_u32_e32 v2, vcc, s22, v20
	v_addc_co_u32_e32 v3, vcc, v3, v21, vcc
	flat_load_dwordx2 v[2:3], v[2:3]
.LBB1882_8:                             ;   in Loop: Header=BB1882_4 Depth=1
	s_or_b64 exec, exec, s[20:21]
	v_add_u32_e32 v26, 0x800, v14
	v_add_u32_e32 v25, 0x1000, v14
	;; [unrolled: 1-line block ×3, first 2 shown]
	s_waitcnt vmcnt(0) lgkmcnt(0)
	ds_write_b64 v15, v[2:3]
	s_waitcnt lgkmcnt(0)
	s_barrier
	s_and_saveexec_b64 s[20:21], s[4:5]
	s_cbranch_execz .LBB1882_10
; %bb.9:                                ;   in Loop: Header=BB1882_4 Depth=1
	ds_read2_b64 v[2:5], v14 offset1:32
	ds_read_b128 v[6:9], v12
	ds_read_b128 v[27:30], v12 offset:16
	s_waitcnt lgkmcnt(1)
	v_mul_f32_e32 v31, v3, v7
	v_fma_f32 v36, v2, v6, -v31
	ds_read2_b64 v[31:34], v14 offset0:64 offset1:96
	v_mul_f32_e32 v35, v2, v7
	v_mul_f32_e32 v2, v5, v9
	v_fma_f32 v37, v4, v8, -v2
	v_fmac_f32_e32 v35, v3, v6
	s_waitcnt lgkmcnt(0)
	v_mul_f32_e32 v2, v32, v28
	v_mul_f32_e32 v38, v4, v9
	v_fma_f32 v39, v31, v27, -v2
	v_mul_f32_e32 v31, v31, v28
	v_mul_f32_e32 v2, v34, v30
	v_fmac_f32_e32 v38, v5, v8
	v_fmac_f32_e32 v31, v32, v27
	v_fma_f32 v32, v33, v29, -v2
	v_mul_f32_e32 v33, v33, v30
	v_add_f32_e32 v27, 0, v36
	v_add_f32_e32 v28, 0, v35
	v_fmac_f32_e32 v33, v34, v29
	ds_read_b128 v[2:5], v12 offset:32
	ds_read_b128 v[6:9], v12 offset:48
	v_add_f32_e32 v34, v27, v37
	v_add_f32_e32 v35, v28, v38
	ds_read2_b64 v[27:30], v14 offset0:128 offset1:160
	v_add_f32_e32 v31, v35, v31
	v_add_f32_e32 v34, v34, v39
	;; [unrolled: 1-line block ×4, first 2 shown]
	s_waitcnt lgkmcnt(0)
	v_mul_f32_e32 v33, v28, v3
	v_mul_f32_e32 v3, v27, v3
	v_fma_f32 v33, v27, v2, -v33
	v_fmac_f32_e32 v3, v28, v2
	v_add_f32_e32 v2, v32, v33
	v_add_f32_e32 v3, v31, v3
	ds_read2_b64 v[31:34], v14 offset0:192 offset1:224
	v_mul_f32_e32 v27, v30, v5
	v_mul_f32_e32 v5, v29, v5
	v_fma_f32 v27, v29, v4, -v27
	v_fmac_f32_e32 v5, v30, v4
	s_waitcnt lgkmcnt(0)
	v_mul_f32_e32 v4, v32, v7
	v_add_f32_e32 v2, v2, v27
	v_add_f32_e32 v3, v3, v5
	v_fma_f32 v4, v31, v6, -v4
	v_mul_f32_e32 v5, v31, v7
	v_fmac_f32_e32 v5, v32, v6
	v_add_f32_e32 v6, v2, v4
	v_mul_f32_e32 v2, v34, v9
	v_add_f32_e32 v7, v3, v5
	v_fma_f32 v31, v33, v8, -v2
	ds_read_b128 v[2:5], v12 offset:64
	ds_read2_b64 v[27:30], v26 offset1:32
	v_mul_f32_e32 v9, v33, v9
	v_fmac_f32_e32 v9, v34, v8
	v_add_f32_e32 v31, v6, v31
	v_add_f32_e32 v32, v7, v9
	s_waitcnt lgkmcnt(0)
	v_mul_f32_e32 v33, v28, v3
	v_mul_f32_e32 v3, v27, v3
	v_fma_f32 v33, v27, v2, -v33
	v_fmac_f32_e32 v3, v28, v2
	ds_read_b128 v[6:9], v12 offset:80
	v_add_f32_e32 v2, v31, v33
	v_add_f32_e32 v3, v32, v3
	ds_read2_b64 v[31:34], v26 offset0:64 offset1:96
	v_mul_f32_e32 v27, v30, v5
	v_mul_f32_e32 v5, v29, v5
	v_fma_f32 v27, v29, v4, -v27
	v_fmac_f32_e32 v5, v30, v4
	s_waitcnt lgkmcnt(0)
	v_mul_f32_e32 v4, v32, v7
	v_add_f32_e32 v2, v2, v27
	v_add_f32_e32 v3, v3, v5
	v_fma_f32 v4, v31, v6, -v4
	v_mul_f32_e32 v5, v31, v7
	v_fmac_f32_e32 v5, v32, v6
	v_add_f32_e32 v6, v2, v4
	v_mul_f32_e32 v2, v34, v9
	v_add_f32_e32 v7, v3, v5
	v_fma_f32 v31, v33, v8, -v2
	ds_read_b128 v[2:5], v12 offset:96
	ds_read2_b64 v[27:30], v26 offset0:128 offset1:160
	v_mul_f32_e32 v9, v33, v9
	v_fmac_f32_e32 v9, v34, v8
	v_add_f32_e32 v31, v6, v31
	v_add_f32_e32 v32, v7, v9
	s_waitcnt lgkmcnt(0)
	v_mul_f32_e32 v33, v28, v3
	v_mul_f32_e32 v3, v27, v3
	v_fma_f32 v33, v27, v2, -v33
	v_fmac_f32_e32 v3, v28, v2
	ds_read_b128 v[6:9], v12 offset:112
	v_add_f32_e32 v2, v31, v33
	v_add_f32_e32 v3, v32, v3
	ds_read2_b64 v[31:34], v26 offset0:192 offset1:224
	v_mul_f32_e32 v27, v30, v5
	v_mul_f32_e32 v5, v29, v5
	v_fma_f32 v27, v29, v4, -v27
	v_fmac_f32_e32 v5, v30, v4
	s_waitcnt lgkmcnt(0)
	v_mul_f32_e32 v4, v32, v7
	v_add_f32_e32 v2, v2, v27
	v_add_f32_e32 v3, v3, v5
	v_fma_f32 v4, v31, v6, -v4
	v_mul_f32_e32 v5, v31, v7
	v_fmac_f32_e32 v5, v32, v6
	v_add_f32_e32 v6, v2, v4
	v_mul_f32_e32 v2, v34, v9
	v_add_f32_e32 v7, v3, v5
	v_fma_f32 v31, v33, v8, -v2
	ds_read_b128 v[2:5], v12 offset:128
	ds_read2_b64 v[27:30], v25 offset1:32
	v_mul_f32_e32 v9, v33, v9
	v_fmac_f32_e32 v9, v34, v8
	v_add_f32_e32 v6, v6, v31
	ds_read_b128 v[31:34], v12 offset:144
	ds_read2_b64 v[35:38], v25 offset0:64 offset1:96
	s_waitcnt lgkmcnt(2)
	v_mul_f32_e32 v8, v28, v3
	v_fma_f32 v8, v27, v2, -v8
	v_mul_f32_e32 v3, v27, v3
	v_add_f32_e32 v7, v7, v9
	v_fmac_f32_e32 v3, v28, v2
	v_add_f32_e32 v2, v6, v8
	v_mul_f32_e32 v6, v30, v5
	v_mul_f32_e32 v5, v29, v5
	v_add_f32_e32 v3, v7, v3
	v_fma_f32 v6, v29, v4, -v6
	v_fmac_f32_e32 v5, v30, v4
	s_waitcnt lgkmcnt(0)
	v_mul_f32_e32 v4, v36, v32
	v_add_f32_e32 v2, v2, v6
	v_add_f32_e32 v3, v3, v5
	v_fma_f32 v4, v35, v31, -v4
	v_mul_f32_e32 v5, v35, v32
	v_fmac_f32_e32 v5, v36, v31
	v_add_f32_e32 v27, v2, v4
	v_mul_f32_e32 v2, v38, v34
	v_add_f32_e32 v28, v3, v5
	v_fma_f32 v29, v37, v33, -v2
	ds_read_b128 v[2:5], v12 offset:160
	ds_read2_b64 v[6:9], v25 offset0:128 offset1:160
	v_mul_f32_e32 v30, v37, v34
	v_fmac_f32_e32 v30, v38, v33
	v_add_f32_e32 v33, v27, v29
	v_add_f32_e32 v34, v28, v30
	s_waitcnt lgkmcnt(0)
	v_mul_f32_e32 v31, v7, v3
	v_fma_f32 v35, v6, v2, -v31
	flat_load_dwordx2 v[31:32], v[10:11]
	v_mul_f32_e32 v6, v6, v3
	v_fmac_f32_e32 v6, v7, v2
	v_mul_f32_e32 v2, v9, v5
	v_fma_f32 v7, v8, v4, -v2
	v_mul_f32_e32 v8, v8, v5
	ds_read_b128 v[27:30], v12 offset:176
	v_fmac_f32_e32 v8, v9, v4
	ds_read2_b64 v[2:5], v25 offset0:192 offset1:224
	v_add_f32_e32 v6, v34, v6
	v_add_f32_e32 v9, v33, v35
	;; [unrolled: 1-line block ×4, first 2 shown]
	s_waitcnt lgkmcnt(0)
	v_mul_f32_e32 v6, v3, v28
	v_fma_f32 v6, v2, v27, -v6
	v_mul_f32_e32 v28, v2, v28
	v_mul_f32_e32 v2, v5, v30
	;; [unrolled: 1-line block ×3, first 2 shown]
	v_fmac_f32_e32 v28, v3, v27
	v_add_f32_e32 v27, v7, v6
	v_fma_f32 v34, v4, v29, -v2
	v_fmac_f32_e32 v30, v5, v29
	ds_read_b128 v[2:5], v12 offset:192
	ds_read2_b64 v[6:9], v24 offset1:32
	v_add_f32_e32 v28, v33, v28
	v_add_f32_e32 v33, v27, v34
	;; [unrolled: 1-line block ×3, first 2 shown]
	ds_read_b128 v[27:30], v12 offset:208
	s_waitcnt lgkmcnt(0)
	v_mul_f32_e32 v35, v7, v3
	v_fma_f32 v35, v6, v2, -v35
	v_mul_f32_e32 v6, v6, v3
	v_fmac_f32_e32 v6, v7, v2
	v_mul_f32_e32 v2, v9, v5
	v_fma_f32 v7, v8, v4, -v2
	v_mul_f32_e32 v8, v8, v5
	v_fmac_f32_e32 v8, v9, v4
	ds_read2_b64 v[2:5], v24 offset0:64 offset1:96
	v_add_f32_e32 v6, v34, v6
	v_add_f32_e32 v9, v33, v35
	;; [unrolled: 1-line block ×4, first 2 shown]
	s_waitcnt lgkmcnt(0)
	v_mul_f32_e32 v6, v3, v28
	v_fma_f32 v6, v2, v27, -v6
	v_mul_f32_e32 v28, v2, v28
	v_mul_f32_e32 v2, v5, v30
	;; [unrolled: 1-line block ×3, first 2 shown]
	v_fmac_f32_e32 v28, v3, v27
	v_add_f32_e32 v27, v7, v6
	v_fma_f32 v34, v4, v29, -v2
	v_fmac_f32_e32 v30, v5, v29
	ds_read_b128 v[2:5], v12 offset:224
	ds_read2_b64 v[6:9], v24 offset0:128 offset1:160
	v_add_f32_e32 v28, v33, v28
	v_add_f32_e32 v33, v27, v34
	v_add_f32_e32 v34, v28, v30
	ds_read_b128 v[27:30], v12 offset:240
	s_waitcnt lgkmcnt(0)
	v_mul_f32_e32 v35, v7, v3
	v_fma_f32 v35, v6, v2, -v35
	v_mul_f32_e32 v6, v6, v3
	v_fmac_f32_e32 v6, v7, v2
	v_mul_f32_e32 v2, v9, v5
	v_fma_f32 v7, v8, v4, -v2
	v_mul_f32_e32 v8, v8, v5
	v_fmac_f32_e32 v8, v9, v4
	ds_read2_b64 v[2:5], v24 offset0:192 offset1:224
	v_add_f32_e32 v6, v34, v6
	v_add_f32_e32 v6, v6, v8
	;; [unrolled: 1-line block ×4, first 2 shown]
	s_waitcnt lgkmcnt(0)
	v_mul_f32_e32 v8, v3, v28
	v_fma_f32 v8, v2, v27, -v8
	v_mul_f32_e32 v2, v2, v28
	v_fmac_f32_e32 v2, v3, v27
	v_add_f32_e32 v2, v6, v2
	v_mul_f32_e32 v6, v5, v30
	v_fma_f32 v6, v4, v29, -v6
	v_mul_f32_e32 v4, v4, v30
	v_fmac_f32_e32 v4, v5, v29
	v_add_f32_e32 v3, v7, v8
	v_add_f32_e32 v2, v2, v4
	;; [unrolled: 1-line block ×3, first 2 shown]
	v_mul_f32_e32 v4, s11, v2
	v_mul_f32_e32 v5, s10, v2
	v_fma_f32 v4, s10, v3, -v4
	v_fmac_f32_e32 v5, s11, v3
	s_waitcnt vmcnt(0)
	v_add_f32_e32 v2, v31, v4
	v_add_f32_e32 v3, v32, v5
	flat_store_dwordx2 v[10:11], v[2:3]
.LBB1882_10:                            ;   in Loop: Header=BB1882_4 Depth=1
	s_or_b64 exec, exec, s[20:21]
	v_mov_b32_e32 v3, 0
	v_mov_b32_e32 v5, 0
	;; [unrolled: 1-line block ×3, first 2 shown]
	s_waitcnt vmcnt(0) lgkmcnt(0)
	s_barrier
	s_and_saveexec_b64 s[20:21], s[16:17]
	s_cbranch_execz .LBB1882_12
; %bb.11:                               ;   in Loop: Header=BB1882_4 Depth=1
	v_mov_b32_e32 v2, s23
	v_add_co_u32_e32 v4, vcc, s22, v22
	v_addc_co_u32_e32 v5, vcc, v2, v23, vcc
	flat_load_dwordx2 v[4:5], v[4:5]
.LBB1882_12:                            ;   in Loop: Header=BB1882_4 Depth=1
	s_or_b64 exec, exec, s[20:21]
	v_mov_b32_e32 v2, 0
	s_waitcnt vmcnt(0) lgkmcnt(0)
	ds_write_b64 v13, v[4:5]
	s_and_saveexec_b64 s[16:17], s[18:19]
	s_cbranch_execz .LBB1882_14
; %bb.13:                               ;   in Loop: Header=BB1882_4 Depth=1
	v_mov_b32_e32 v3, s27
	v_add_co_u32_e32 v2, vcc, s26, v16
	v_addc_co_u32_e32 v3, vcc, v3, v17, vcc
	flat_load_dwordx2 v[2:3], v[2:3]
.LBB1882_14:                            ;   in Loop: Header=BB1882_4 Depth=1
	s_or_b64 exec, exec, s[16:17]
	s_waitcnt vmcnt(0) lgkmcnt(0)
	ds_write_b64 v15, v[2:3]
	s_waitcnt lgkmcnt(0)
	s_barrier
	s_and_saveexec_b64 s[16:17], s[4:5]
	s_cbranch_execz .LBB1882_3
; %bb.15:                               ;   in Loop: Header=BB1882_4 Depth=1
	ds_read2_b64 v[2:5], v14 offset1:32
	ds_read_b128 v[6:9], v12
	ds_read_b128 v[27:30], v12 offset:16
	s_waitcnt lgkmcnt(1)
	v_mul_f32_e32 v31, v3, v7
	v_mul_f32_e32 v35, v2, v7
	v_fma_f32 v36, v2, v6, -v31
	v_mul_f32_e32 v2, v5, v9
	v_mul_f32_e32 v38, v4, v9
	v_fmac_f32_e32 v35, v3, v6
	v_fma_f32 v37, v4, v8, -v2
	v_fmac_f32_e32 v38, v5, v8
	ds_read_b128 v[2:5], v12 offset:32
	ds_read_b128 v[6:9], v12 offset:48
	ds_read2_b64 v[31:34], v14 offset0:64 offset1:96
	v_add_f32_e32 v36, 0, v36
	v_add_f32_e32 v36, v36, v37
	;; [unrolled: 1-line block ×4, first 2 shown]
	s_waitcnt lgkmcnt(0)
	v_mul_f32_e32 v37, v32, v28
	v_fma_f32 v37, v31, v27, -v37
	v_mul_f32_e32 v31, v31, v28
	v_fmac_f32_e32 v31, v32, v27
	v_mul_f32_e32 v27, v34, v30
	v_fma_f32 v32, v33, v29, -v27
	v_mul_f32_e32 v33, v33, v30
	v_fmac_f32_e32 v33, v34, v29
	ds_read2_b64 v[27:30], v14 offset0:128 offset1:160
	v_add_f32_e32 v31, v35, v31
	v_add_f32_e32 v34, v36, v37
	;; [unrolled: 1-line block ×4, first 2 shown]
	s_waitcnt lgkmcnt(0)
	v_mul_f32_e32 v33, v28, v3
	v_mul_f32_e32 v3, v27, v3
	v_fma_f32 v33, v27, v2, -v33
	v_fmac_f32_e32 v3, v28, v2
	v_add_f32_e32 v2, v32, v33
	v_add_f32_e32 v3, v31, v3
	ds_read2_b64 v[31:34], v14 offset0:192 offset1:224
	v_mul_f32_e32 v27, v30, v5
	v_mul_f32_e32 v5, v29, v5
	v_fma_f32 v27, v29, v4, -v27
	v_fmac_f32_e32 v5, v30, v4
	s_waitcnt lgkmcnt(0)
	v_mul_f32_e32 v4, v32, v7
	v_add_f32_e32 v2, v2, v27
	v_add_f32_e32 v3, v3, v5
	v_fma_f32 v4, v31, v6, -v4
	v_mul_f32_e32 v5, v31, v7
	v_fmac_f32_e32 v5, v32, v6
	v_add_f32_e32 v6, v2, v4
	v_mul_f32_e32 v2, v34, v9
	v_add_f32_e32 v7, v3, v5
	v_fma_f32 v31, v33, v8, -v2
	ds_read_b128 v[2:5], v12 offset:64
	ds_read2_b64 v[27:30], v26 offset1:32
	v_mul_f32_e32 v9, v33, v9
	v_fmac_f32_e32 v9, v34, v8
	v_add_f32_e32 v31, v6, v31
	v_add_f32_e32 v32, v7, v9
	s_waitcnt lgkmcnt(0)
	v_mul_f32_e32 v33, v28, v3
	v_mul_f32_e32 v3, v27, v3
	v_fma_f32 v33, v27, v2, -v33
	v_fmac_f32_e32 v3, v28, v2
	ds_read_b128 v[6:9], v12 offset:80
	v_add_f32_e32 v2, v31, v33
	v_add_f32_e32 v3, v32, v3
	ds_read2_b64 v[31:34], v26 offset0:64 offset1:96
	v_mul_f32_e32 v27, v30, v5
	v_mul_f32_e32 v5, v29, v5
	v_fma_f32 v27, v29, v4, -v27
	v_fmac_f32_e32 v5, v30, v4
	s_waitcnt lgkmcnt(0)
	v_mul_f32_e32 v4, v32, v7
	v_add_f32_e32 v2, v2, v27
	v_add_f32_e32 v3, v3, v5
	v_fma_f32 v4, v31, v6, -v4
	v_mul_f32_e32 v5, v31, v7
	v_fmac_f32_e32 v5, v32, v6
	v_add_f32_e32 v6, v2, v4
	v_mul_f32_e32 v2, v34, v9
	v_add_f32_e32 v7, v3, v5
	v_fma_f32 v31, v33, v8, -v2
	ds_read_b128 v[2:5], v12 offset:96
	ds_read2_b64 v[27:30], v26 offset0:128 offset1:160
	v_mul_f32_e32 v9, v33, v9
	v_fmac_f32_e32 v9, v34, v8
	v_add_f32_e32 v31, v6, v31
	v_add_f32_e32 v32, v7, v9
	s_waitcnt lgkmcnt(0)
	v_mul_f32_e32 v33, v28, v3
	v_mul_f32_e32 v3, v27, v3
	v_fma_f32 v33, v27, v2, -v33
	v_fmac_f32_e32 v3, v28, v2
	ds_read_b128 v[6:9], v12 offset:112
	v_add_f32_e32 v2, v31, v33
	v_add_f32_e32 v3, v32, v3
	ds_read2_b64 v[31:34], v26 offset0:192 offset1:224
	v_mul_f32_e32 v27, v30, v5
	v_mul_f32_e32 v5, v29, v5
	v_fma_f32 v27, v29, v4, -v27
	v_fmac_f32_e32 v5, v30, v4
	s_waitcnt lgkmcnt(0)
	v_mul_f32_e32 v4, v32, v7
	v_add_f32_e32 v2, v2, v27
	v_add_f32_e32 v3, v3, v5
	v_fma_f32 v4, v31, v6, -v4
	v_mul_f32_e32 v5, v31, v7
	v_fmac_f32_e32 v5, v32, v6
	v_add_f32_e32 v6, v2, v4
	v_mul_f32_e32 v2, v34, v9
	v_add_f32_e32 v7, v3, v5
	v_fma_f32 v30, v33, v8, -v2
	ds_read_b128 v[2:5], v12 offset:128
	ds_read2_b64 v[26:29], v25 offset1:32
	v_mul_f32_e32 v9, v33, v9
	v_fmac_f32_e32 v9, v34, v8
	v_add_f32_e32 v6, v6, v30
	ds_read_b128 v[30:33], v12 offset:144
	ds_read2_b64 v[34:37], v25 offset0:64 offset1:96
	s_waitcnt lgkmcnt(2)
	v_mul_f32_e32 v8, v27, v3
	v_fma_f32 v8, v26, v2, -v8
	v_mul_f32_e32 v3, v26, v3
	v_add_f32_e32 v7, v7, v9
	v_fmac_f32_e32 v3, v27, v2
	v_add_f32_e32 v2, v6, v8
	v_mul_f32_e32 v6, v29, v5
	v_mul_f32_e32 v5, v28, v5
	v_add_f32_e32 v3, v7, v3
	v_fma_f32 v6, v28, v4, -v6
	v_fmac_f32_e32 v5, v29, v4
	s_waitcnt lgkmcnt(0)
	v_mul_f32_e32 v4, v35, v31
	v_add_f32_e32 v2, v2, v6
	v_add_f32_e32 v3, v3, v5
	v_fma_f32 v4, v34, v30, -v4
	v_mul_f32_e32 v5, v34, v31
	v_fmac_f32_e32 v5, v35, v30
	v_add_f32_e32 v26, v2, v4
	v_mul_f32_e32 v2, v37, v33
	v_add_f32_e32 v27, v3, v5
	v_fma_f32 v28, v36, v32, -v2
	ds_read_b128 v[2:5], v12 offset:160
	ds_read2_b64 v[6:9], v25 offset0:128 offset1:160
	flat_load_dwordx2 v[34:35], v[10:11]
	v_mul_f32_e32 v29, v36, v33
	v_fmac_f32_e32 v29, v37, v32
	v_add_f32_e32 v30, v26, v28
	s_waitcnt lgkmcnt(0)
	v_mul_f32_e32 v32, v7, v3
	v_mul_f32_e32 v3, v6, v3
	v_add_f32_e32 v31, v27, v29
	v_fma_f32 v32, v6, v2, -v32
	v_fmac_f32_e32 v3, v7, v2
	ds_read_b128 v[26:29], v12 offset:176
	v_add_f32_e32 v2, v30, v32
	v_add_f32_e32 v3, v31, v3
	ds_read2_b64 v[30:33], v25 offset0:192 offset1:224
	v_mul_f32_e32 v6, v9, v5
	v_mul_f32_e32 v5, v8, v5
	v_fma_f32 v6, v8, v4, -v6
	v_fmac_f32_e32 v5, v9, v4
	s_waitcnt lgkmcnt(0)
	v_mul_f32_e32 v4, v31, v27
	v_add_f32_e32 v2, v2, v6
	v_add_f32_e32 v3, v3, v5
	v_fma_f32 v4, v30, v26, -v4
	v_mul_f32_e32 v5, v30, v27
	v_fmac_f32_e32 v5, v31, v26
	v_add_f32_e32 v25, v2, v4
	v_mul_f32_e32 v2, v33, v29
	v_add_f32_e32 v26, v3, v5
	v_fma_f32 v27, v32, v28, -v2
	ds_read_b128 v[2:5], v12 offset:192
	ds_read2_b64 v[6:9], v24 offset1:32
	v_mul_f32_e32 v29, v32, v29
	v_fmac_f32_e32 v29, v33, v28
	v_add_f32_e32 v30, v25, v27
	v_add_f32_e32 v29, v26, v29
	s_waitcnt lgkmcnt(0)
	v_mul_f32_e32 v31, v7, v3
	v_mul_f32_e32 v3, v6, v3
	v_fma_f32 v31, v6, v2, -v31
	v_fmac_f32_e32 v3, v7, v2
	ds_read_b128 v[25:28], v12 offset:208
	v_add_f32_e32 v2, v30, v31
	v_add_f32_e32 v3, v29, v3
	ds_read2_b64 v[29:32], v24 offset0:64 offset1:96
	v_mul_f32_e32 v6, v9, v5
	v_mul_f32_e32 v5, v8, v5
	v_fma_f32 v6, v8, v4, -v6
	v_fmac_f32_e32 v5, v9, v4
	s_waitcnt lgkmcnt(0)
	v_mul_f32_e32 v4, v30, v26
	v_add_f32_e32 v2, v2, v6
	v_add_f32_e32 v3, v3, v5
	v_fma_f32 v4, v29, v25, -v4
	v_mul_f32_e32 v5, v29, v26
	v_fmac_f32_e32 v5, v30, v25
	v_add_f32_e32 v25, v2, v4
	v_mul_f32_e32 v2, v32, v28
	v_add_f32_e32 v26, v3, v5
	v_fma_f32 v29, v31, v27, -v2
	ds_read_b128 v[2:5], v12 offset:224
	ds_read2_b64 v[6:9], v24 offset0:128 offset1:160
	v_mul_f32_e32 v28, v31, v28
	v_fmac_f32_e32 v28, v32, v27
	v_add_f32_e32 v29, v25, v29
	v_add_f32_e32 v30, v26, v28
	s_waitcnt lgkmcnt(0)
	v_mul_f32_e32 v31, v7, v3
	v_mul_f32_e32 v3, v6, v3
	v_fma_f32 v31, v6, v2, -v31
	v_fmac_f32_e32 v3, v7, v2
	ds_read_b128 v[25:28], v12 offset:240
	v_add_f32_e32 v2, v29, v31
	v_add_f32_e32 v3, v30, v3
	ds_read2_b64 v[29:32], v24 offset0:192 offset1:224
	v_mul_f32_e32 v6, v9, v5
	v_mul_f32_e32 v5, v8, v5
	v_fmac_f32_e32 v5, v9, v4
	v_fma_f32 v6, v8, v4, -v6
	v_add_f32_e32 v3, v3, v5
	s_waitcnt lgkmcnt(0)
	v_mul_f32_e32 v4, v30, v26
	v_mul_f32_e32 v5, v29, v26
	v_add_f32_e32 v2, v2, v6
	v_fma_f32 v4, v29, v25, -v4
	v_fmac_f32_e32 v5, v30, v25
	v_add_f32_e32 v2, v2, v4
	v_add_f32_e32 v3, v3, v5
	v_mul_f32_e32 v4, v32, v28
	v_mul_f32_e32 v5, v31, v28
	v_fma_f32 v4, v31, v27, -v4
	v_fmac_f32_e32 v5, v32, v27
	v_add_f32_e32 v2, v2, v4
	v_add_f32_e32 v3, v3, v5
	v_mul_f32_e32 v4, s11, v3
	v_mul_f32_e32 v5, s11, v2
	v_fma_f32 v4, s10, v2, -v4
	v_fmac_f32_e32 v5, s10, v3
	s_waitcnt vmcnt(0)
	v_add_f32_e32 v2, v34, v4
	v_add_f32_e32 v3, v35, v5
	flat_store_dwordx2 v[10:11], v[2:3]
	s_branch .LBB1882_3
.LBB1882_16:
	s_endpgm
	.section	.rodata,"a",@progbits
	.p2align	6, 0x0
	.amdhsa_kernel _ZL26rocblas_syr2k_her2k_kernelIlLb1ELb0ELb0ELi32EPK19rocblas_complex_numIfEPKS3_PKPS1_EvbiT_T4_T5_S9_lSB_S9_lT6_S9_li
		.amdhsa_group_segment_fixed_size 16384
		.amdhsa_private_segment_fixed_size 0
		.amdhsa_kernarg_size 100
		.amdhsa_user_sgpr_count 6
		.amdhsa_user_sgpr_private_segment_buffer 1
		.amdhsa_user_sgpr_dispatch_ptr 0
		.amdhsa_user_sgpr_queue_ptr 0
		.amdhsa_user_sgpr_kernarg_segment_ptr 1
		.amdhsa_user_sgpr_dispatch_id 0
		.amdhsa_user_sgpr_flat_scratch_init 0
		.amdhsa_user_sgpr_private_segment_size 0
		.amdhsa_uses_dynamic_stack 0
		.amdhsa_system_sgpr_private_segment_wavefront_offset 0
		.amdhsa_system_sgpr_workgroup_id_x 1
		.amdhsa_system_sgpr_workgroup_id_y 1
		.amdhsa_system_sgpr_workgroup_id_z 1
		.amdhsa_system_sgpr_workgroup_info 0
		.amdhsa_system_vgpr_workitem_id 1
		.amdhsa_next_free_vgpr 40
		.amdhsa_next_free_sgpr 61
		.amdhsa_reserve_vcc 1
		.amdhsa_reserve_flat_scratch 0
		.amdhsa_float_round_mode_32 0
		.amdhsa_float_round_mode_16_64 0
		.amdhsa_float_denorm_mode_32 3
		.amdhsa_float_denorm_mode_16_64 3
		.amdhsa_dx10_clamp 1
		.amdhsa_ieee_mode 1
		.amdhsa_fp16_overflow 0
		.amdhsa_exception_fp_ieee_invalid_op 0
		.amdhsa_exception_fp_denorm_src 0
		.amdhsa_exception_fp_ieee_div_zero 0
		.amdhsa_exception_fp_ieee_overflow 0
		.amdhsa_exception_fp_ieee_underflow 0
		.amdhsa_exception_fp_ieee_inexact 0
		.amdhsa_exception_int_div_zero 0
	.end_amdhsa_kernel
	.section	.text._ZL26rocblas_syr2k_her2k_kernelIlLb1ELb0ELb0ELi32EPK19rocblas_complex_numIfEPKS3_PKPS1_EvbiT_T4_T5_S9_lSB_S9_lT6_S9_li,"axG",@progbits,_ZL26rocblas_syr2k_her2k_kernelIlLb1ELb0ELb0ELi32EPK19rocblas_complex_numIfEPKS3_PKPS1_EvbiT_T4_T5_S9_lSB_S9_lT6_S9_li,comdat
.Lfunc_end1882:
	.size	_ZL26rocblas_syr2k_her2k_kernelIlLb1ELb0ELb0ELi32EPK19rocblas_complex_numIfEPKS3_PKPS1_EvbiT_T4_T5_S9_lSB_S9_lT6_S9_li, .Lfunc_end1882-_ZL26rocblas_syr2k_her2k_kernelIlLb1ELb0ELb0ELi32EPK19rocblas_complex_numIfEPKS3_PKPS1_EvbiT_T4_T5_S9_lSB_S9_lT6_S9_li
                                        ; -- End function
	.set _ZL26rocblas_syr2k_her2k_kernelIlLb1ELb0ELb0ELi32EPK19rocblas_complex_numIfEPKS3_PKPS1_EvbiT_T4_T5_S9_lSB_S9_lT6_S9_li.num_vgpr, 40
	.set _ZL26rocblas_syr2k_her2k_kernelIlLb1ELb0ELb0ELi32EPK19rocblas_complex_numIfEPKS3_PKPS1_EvbiT_T4_T5_S9_lSB_S9_lT6_S9_li.num_agpr, 0
	.set _ZL26rocblas_syr2k_her2k_kernelIlLb1ELb0ELb0ELi32EPK19rocblas_complex_numIfEPKS3_PKPS1_EvbiT_T4_T5_S9_lSB_S9_lT6_S9_li.numbered_sgpr, 36
	.set _ZL26rocblas_syr2k_her2k_kernelIlLb1ELb0ELb0ELi32EPK19rocblas_complex_numIfEPKS3_PKPS1_EvbiT_T4_T5_S9_lSB_S9_lT6_S9_li.num_named_barrier, 0
	.set _ZL26rocblas_syr2k_her2k_kernelIlLb1ELb0ELb0ELi32EPK19rocblas_complex_numIfEPKS3_PKPS1_EvbiT_T4_T5_S9_lSB_S9_lT6_S9_li.private_seg_size, 0
	.set _ZL26rocblas_syr2k_her2k_kernelIlLb1ELb0ELb0ELi32EPK19rocblas_complex_numIfEPKS3_PKPS1_EvbiT_T4_T5_S9_lSB_S9_lT6_S9_li.uses_vcc, 1
	.set _ZL26rocblas_syr2k_her2k_kernelIlLb1ELb0ELb0ELi32EPK19rocblas_complex_numIfEPKS3_PKPS1_EvbiT_T4_T5_S9_lSB_S9_lT6_S9_li.uses_flat_scratch, 0
	.set _ZL26rocblas_syr2k_her2k_kernelIlLb1ELb0ELb0ELi32EPK19rocblas_complex_numIfEPKS3_PKPS1_EvbiT_T4_T5_S9_lSB_S9_lT6_S9_li.has_dyn_sized_stack, 0
	.set _ZL26rocblas_syr2k_her2k_kernelIlLb1ELb0ELb0ELi32EPK19rocblas_complex_numIfEPKS3_PKPS1_EvbiT_T4_T5_S9_lSB_S9_lT6_S9_li.has_recursion, 0
	.set _ZL26rocblas_syr2k_her2k_kernelIlLb1ELb0ELb0ELi32EPK19rocblas_complex_numIfEPKS3_PKPS1_EvbiT_T4_T5_S9_lSB_S9_lT6_S9_li.has_indirect_call, 0
	.section	.AMDGPU.csdata,"",@progbits
; Kernel info:
; codeLenInByte = 3516
; TotalNumSgprs: 40
; NumVgprs: 40
; ScratchSize: 0
; MemoryBound: 0
; FloatMode: 240
; IeeeMode: 1
; LDSByteSize: 16384 bytes/workgroup (compile time only)
; SGPRBlocks: 8
; VGPRBlocks: 9
; NumSGPRsForWavesPerEU: 65
; NumVGPRsForWavesPerEU: 40
; Occupancy: 6
; WaveLimiterHint : 1
; COMPUTE_PGM_RSRC2:SCRATCH_EN: 0
; COMPUTE_PGM_RSRC2:USER_SGPR: 6
; COMPUTE_PGM_RSRC2:TRAP_HANDLER: 0
; COMPUTE_PGM_RSRC2:TGID_X_EN: 1
; COMPUTE_PGM_RSRC2:TGID_Y_EN: 1
; COMPUTE_PGM_RSRC2:TGID_Z_EN: 1
; COMPUTE_PGM_RSRC2:TIDIG_COMP_CNT: 1
	.section	.text._ZL26rocblas_syr2k_her2k_kernelIlLb1ELb0ELb1ELi32EPK19rocblas_complex_numIfEPKS3_PKPS1_EvbiT_T4_T5_S9_lSB_S9_lT6_S9_li,"axG",@progbits,_ZL26rocblas_syr2k_her2k_kernelIlLb1ELb0ELb1ELi32EPK19rocblas_complex_numIfEPKS3_PKPS1_EvbiT_T4_T5_S9_lSB_S9_lT6_S9_li,comdat
	.globl	_ZL26rocblas_syr2k_her2k_kernelIlLb1ELb0ELb1ELi32EPK19rocblas_complex_numIfEPKS3_PKPS1_EvbiT_T4_T5_S9_lSB_S9_lT6_S9_li ; -- Begin function _ZL26rocblas_syr2k_her2k_kernelIlLb1ELb0ELb1ELi32EPK19rocblas_complex_numIfEPKS3_PKPS1_EvbiT_T4_T5_S9_lSB_S9_lT6_S9_li
	.p2align	8
	.type	_ZL26rocblas_syr2k_her2k_kernelIlLb1ELb0ELb1ELi32EPK19rocblas_complex_numIfEPKS3_PKPS1_EvbiT_T4_T5_S9_lSB_S9_lT6_S9_li,@function
_ZL26rocblas_syr2k_her2k_kernelIlLb1ELb0ELb1ELi32EPK19rocblas_complex_numIfEPKS3_PKPS1_EvbiT_T4_T5_S9_lSB_S9_lT6_S9_li: ; @_ZL26rocblas_syr2k_her2k_kernelIlLb1ELb0ELb1ELi32EPK19rocblas_complex_numIfEPKS3_PKPS1_EvbiT_T4_T5_S9_lSB_S9_lT6_S9_li
; %bb.0:
	s_load_dwordx16 s[12:27], s[4:5], 0x8
	s_waitcnt lgkmcnt(0)
	s_load_dwordx2 s[10:11], s[14:15], 0x0
	s_waitcnt lgkmcnt(0)
	v_cmp_eq_f32_e64 s[0:1], s10, 0
	v_cmp_eq_f32_e64 s[2:3], s11, 0
	s_and_b64 s[0:1], s[0:1], s[2:3]
	s_and_b64 vcc, exec, s[0:1]
	s_cbranch_vccnz .LBB1883_16
; %bb.1:
	s_load_dwordx2 s[14:15], s[4:5], 0x0
	s_lshl_b32 s2, s7, 5
	s_lshl_b32 s3, s6, 5
	s_waitcnt lgkmcnt(0)
	s_and_b32 s0, 1, s14
	s_cmp_eq_u32 s0, 1
	s_cselect_b64 s[0:1], -1, 0
	s_and_b64 s[6:7], s[0:1], exec
	s_cselect_b32 s6, s3, s2
	s_cselect_b32 s7, s2, s3
	s_cmp_gt_i32 s6, s7
	v_cmp_lt_i64_e64 s[6:7], s[12:13], 1
	s_cselect_b64 s[28:29], -1, 0
	s_or_b64 s[6:7], s[28:29], s[6:7]
	s_and_b64 vcc, exec, s[6:7]
	s_cbranch_vccnz .LBB1883_16
; %bb.2:
	s_mov_b32 s9, 0
	s_load_dwordx4 s[28:31], s[4:5], 0x48
	s_load_dwordx2 s[34:35], s[4:5], 0x58
	s_lshl_b64 s[4:5], s[8:9], 3
	s_add_u32 s16, s16, s4
	s_addc_u32 s17, s17, s5
	s_add_u32 s22, s22, s4
	s_addc_u32 s23, s23, s5
	s_waitcnt lgkmcnt(0)
	s_add_u32 s4, s28, s4
	s_addc_u32 s5, s29, s5
	s_load_dwordx2 s[28:29], s[4:5], 0x0
	s_load_dwordx2 s[8:9], s[16:17], 0x0
	;; [unrolled: 1-line block ×3, first 2 shown]
	s_lshl_b64 s[4:5], s[34:35], 3
	v_add_u32_e32 v2, s2, v1
	s_waitcnt lgkmcnt(0)
	s_add_u32 s16, s28, s4
	s_addc_u32 s14, s29, s5
	v_add_u32_e32 v4, s3, v0
	s_ashr_i32 s3, s15, 31
	s_mov_b32 s2, s15
	v_mov_b32_e32 v5, 0
	v_cndmask_b32_e64 v8, v4, v2, s[0:1]
	v_cndmask_b32_e64 v9, v2, v4, s[0:1]
	v_cmp_gt_i64_e64 s[0:1], s[2:3], v[4:5]
	v_mov_b32_e32 v3, v5
	v_ashrrev_i32_e32 v5, 31, v2
	v_mul_lo_u32 v5, s30, v5
	v_mul_lo_u32 v10, s31, v2
	v_mad_u64_u32 v[6:7], s[4:5], s30, v2, 0
	v_cmp_gt_i64_e64 s[2:3], s[2:3], v[2:3]
	v_max_i32_e32 v3, v4, v2
	v_cmp_gt_i32_e32 vcc, s15, v3
	v_cmp_le_i32_e64 s[4:5], v9, v8
	v_add3_u32 v7, v7, v5, v10
	v_mov_b32_e32 v3, s14
	v_mad_u64_u32 v[8:9], s[14:15], s18, v2, 0
	v_lshlrev_b64 v[6:7], 3, v[6:7]
	s_and_b64 s[4:5], s[4:5], vcc
	v_add_co_u32_e32 v11, vcc, s16, v6
	v_addc_co_u32_e32 v7, vcc, v3, v7, vcc
	v_mov_b32_e32 v3, v9
	v_ashrrev_i32_e32 v5, 31, v4
	v_mad_u64_u32 v[9:10], s[14:15], s19, v2, v[3:4]
	v_lshlrev_b64 v[5:6], 3, v[4:5]
	s_lshl_b64 s[14:15], s[20:21], 3
	v_add_co_u32_e32 v10, vcc, v11, v5
	v_addc_co_u32_e32 v11, vcc, v7, v6, vcc
	v_lshlrev_b64 v[5:6], 3, v[8:9]
	v_mov_b32_e32 v8, s15
	v_add_co_u32_e32 v3, vcc, s14, v5
	v_addc_co_u32_e32 v7, vcc, v6, v8, vcc
	v_mad_u64_u32 v[5:6], s[16:17], s18, v4, 0
	v_lshlrev_b32_e32 v9, 3, v0
	v_add_co_u32_e32 v16, vcc, v3, v9
	v_mov_b32_e32 v3, v6
	v_addc_co_u32_e32 v17, vcc, 0, v7, vcc
	v_mad_u64_u32 v[6:7], s[16:17], s19, v4, v[3:4]
	v_mov_b32_e32 v19, s9
	v_add_co_u32_e32 v16, vcc, s8, v16
	v_lshlrev_b64 v[5:6], 3, v[5:6]
	v_addc_co_u32_e32 v17, vcc, v19, v17, vcc
	v_add_co_u32_e32 v3, vcc, s14, v5
	v_addc_co_u32_e32 v7, vcc, v6, v8, vcc
	v_mad_u64_u32 v[5:6], s[14:15], s24, v2, 0
	v_lshlrev_b32_e32 v22, 3, v1
	v_add_co_u32_e32 v8, vcc, v3, v22
	v_mov_b32_e32 v3, v6
	v_mad_u64_u32 v[2:3], s[14:15], s25, v2, v[3:4]
	v_addc_co_u32_e32 v7, vcc, 0, v7, vcc
	v_mov_b32_e32 v6, v2
	v_add_co_u32_e32 v18, vcc, s8, v8
	v_lshlrev_b64 v[2:3], 3, v[5:6]
	v_addc_co_u32_e32 v19, vcc, v19, v7, vcc
	s_lshl_b64 s[8:9], s[26:27], 3
	v_mov_b32_e32 v5, s9
	v_add_co_u32_e32 v6, vcc, s8, v2
	v_addc_co_u32_e32 v7, vcc, v3, v5, vcc
	v_mad_u64_u32 v[2:3], s[14:15], s24, v4, 0
	v_add_co_u32_e32 v6, vcc, v6, v9
	v_mad_u64_u32 v[3:4], s[14:15], s25, v4, v[3:4]
	v_addc_co_u32_e32 v7, vcc, 0, v7, vcc
	v_mov_b32_e32 v8, s7
	v_add_co_u32_e32 v20, vcc, s6, v6
	v_lshlrev_b64 v[2:3], 3, v[2:3]
	v_addc_co_u32_e32 v21, vcc, v8, v7, vcc
	v_add_co_u32_e32 v2, vcc, s8, v2
	v_addc_co_u32_e32 v3, vcc, v3, v5, vcc
	v_add_co_u32_e32 v2, vcc, v2, v22
	v_lshlrev_b32_e32 v12, 8, v0
	v_addc_co_u32_e32 v3, vcc, 0, v3, vcc
	v_add_u32_e32 v13, v12, v22
	v_or_b32_e32 v14, 0x2000, v22
	v_add_co_u32_e32 v22, vcc, s6, v2
	v_add_u32_e32 v15, v14, v12
	v_addc_co_u32_e32 v23, vcc, v8, v3, vcc
	s_mov_b64 s[6:7], 0
	s_mov_b64 s[8:9], 0
	s_branch .LBB1883_4
.LBB1883_3:                             ;   in Loop: Header=BB1883_4 Depth=1
	s_or_b64 exec, exec, s[14:15]
	s_add_u32 s8, s8, 32
	v_mov_b32_e32 v2, s12
	s_addc_u32 s9, s9, 0
	v_mov_b32_e32 v3, s13
	v_cmp_lt_i64_e32 vcc, s[8:9], v[2:3]
	s_add_u32 s6, s6, 0x100
	s_addc_u32 s7, s7, 0
	s_waitcnt vmcnt(0) lgkmcnt(0)
	s_barrier
	s_cbranch_vccz .LBB1883_16
.LBB1883_4:                             ; =>This Inner Loop Header: Depth=1
	v_mov_b32_e32 v3, s9
	v_add_co_u32_e32 v2, vcc, s8, v1
	v_addc_co_u32_e32 v3, vcc, 0, v3, vcc
	v_cmp_gt_i64_e32 vcc, s[12:13], v[2:3]
	v_mov_b32_e32 v2, 0
	s_and_b64 s[14:15], s[0:1], vcc
	v_mov_b32_e32 v3, 0
	s_and_saveexec_b64 s[16:17], s[14:15]
	s_cbranch_execz .LBB1883_6
; %bb.5:                                ;   in Loop: Header=BB1883_4 Depth=1
	v_mov_b32_e32 v3, s7
	v_add_co_u32_e32 v2, vcc, s6, v18
	v_addc_co_u32_e32 v3, vcc, v19, v3, vcc
	flat_load_dwordx2 v[2:3], v[2:3]
.LBB1883_6:                             ;   in Loop: Header=BB1883_4 Depth=1
	s_or_b64 exec, exec, s[16:17]
	v_mov_b32_e32 v5, s9
	v_add_co_u32_e32 v4, vcc, s8, v0
	v_addc_co_u32_e32 v5, vcc, 0, v5, vcc
	v_cmp_gt_i64_e32 vcc, s[12:13], v[4:5]
	s_waitcnt vmcnt(0) lgkmcnt(0)
	ds_write_b64 v13, v[2:3]
	s_and_b64 s[16:17], s[2:3], vcc
	v_mov_b32_e32 v2, 0
	v_mov_b32_e32 v3, 0
	s_and_saveexec_b64 s[18:19], s[16:17]
	s_cbranch_execz .LBB1883_8
; %bb.7:                                ;   in Loop: Header=BB1883_4 Depth=1
	v_mov_b32_e32 v3, s7
	v_add_co_u32_e32 v2, vcc, s6, v20
	v_addc_co_u32_e32 v3, vcc, v21, v3, vcc
	flat_load_dwordx2 v[2:3], v[2:3]
.LBB1883_8:                             ;   in Loop: Header=BB1883_4 Depth=1
	s_or_b64 exec, exec, s[18:19]
	v_add_u32_e32 v26, 0x800, v14
	v_add_u32_e32 v25, 0x1000, v14
	;; [unrolled: 1-line block ×3, first 2 shown]
	s_waitcnt vmcnt(0) lgkmcnt(0)
	ds_write_b64 v15, v[2:3]
	s_waitcnt lgkmcnt(0)
	s_barrier
	s_and_saveexec_b64 s[18:19], s[4:5]
	s_cbranch_execz .LBB1883_10
; %bb.9:                                ;   in Loop: Header=BB1883_4 Depth=1
	ds_read2_b64 v[2:5], v14 offset1:32
	ds_read_b128 v[6:9], v12
	ds_read_b128 v[27:30], v12 offset:16
	s_waitcnt lgkmcnt(1)
	v_mul_f32_e32 v31, v3, v7
	v_fma_f32 v36, v2, v6, -v31
	ds_read2_b64 v[31:34], v14 offset0:64 offset1:96
	v_mul_f32_e32 v35, v2, v7
	v_mul_f32_e32 v2, v5, v9
	v_fma_f32 v37, v4, v8, -v2
	v_fmac_f32_e32 v35, v3, v6
	s_waitcnt lgkmcnt(0)
	v_mul_f32_e32 v2, v32, v28
	v_mul_f32_e32 v38, v4, v9
	v_fma_f32 v39, v31, v27, -v2
	v_mul_f32_e32 v31, v31, v28
	v_mul_f32_e32 v2, v34, v30
	v_fmac_f32_e32 v38, v5, v8
	v_fmac_f32_e32 v31, v32, v27
	v_fma_f32 v32, v33, v29, -v2
	v_mul_f32_e32 v33, v33, v30
	v_add_f32_e32 v27, 0, v36
	v_add_f32_e32 v28, 0, v35
	v_fmac_f32_e32 v33, v34, v29
	ds_read_b128 v[2:5], v12 offset:32
	ds_read_b128 v[6:9], v12 offset:48
	v_add_f32_e32 v34, v27, v37
	v_add_f32_e32 v35, v28, v38
	ds_read2_b64 v[27:30], v14 offset0:128 offset1:160
	v_add_f32_e32 v31, v35, v31
	v_add_f32_e32 v34, v34, v39
	;; [unrolled: 1-line block ×4, first 2 shown]
	s_waitcnt lgkmcnt(0)
	v_mul_f32_e32 v33, v28, v3
	v_mul_f32_e32 v3, v27, v3
	v_fma_f32 v33, v27, v2, -v33
	v_fmac_f32_e32 v3, v28, v2
	v_add_f32_e32 v2, v32, v33
	v_add_f32_e32 v3, v31, v3
	ds_read2_b64 v[31:34], v14 offset0:192 offset1:224
	v_mul_f32_e32 v27, v30, v5
	v_mul_f32_e32 v5, v29, v5
	v_fma_f32 v27, v29, v4, -v27
	v_fmac_f32_e32 v5, v30, v4
	s_waitcnt lgkmcnt(0)
	v_mul_f32_e32 v4, v32, v7
	v_add_f32_e32 v2, v2, v27
	v_add_f32_e32 v3, v3, v5
	v_fma_f32 v4, v31, v6, -v4
	v_mul_f32_e32 v5, v31, v7
	v_fmac_f32_e32 v5, v32, v6
	v_add_f32_e32 v6, v2, v4
	v_mul_f32_e32 v2, v34, v9
	v_add_f32_e32 v7, v3, v5
	v_fma_f32 v31, v33, v8, -v2
	ds_read_b128 v[2:5], v12 offset:64
	ds_read2_b64 v[27:30], v26 offset1:32
	v_mul_f32_e32 v9, v33, v9
	v_fmac_f32_e32 v9, v34, v8
	v_add_f32_e32 v31, v6, v31
	v_add_f32_e32 v32, v7, v9
	s_waitcnt lgkmcnt(0)
	v_mul_f32_e32 v33, v28, v3
	v_mul_f32_e32 v3, v27, v3
	v_fma_f32 v33, v27, v2, -v33
	v_fmac_f32_e32 v3, v28, v2
	ds_read_b128 v[6:9], v12 offset:80
	v_add_f32_e32 v2, v31, v33
	v_add_f32_e32 v3, v32, v3
	ds_read2_b64 v[31:34], v26 offset0:64 offset1:96
	v_mul_f32_e32 v27, v30, v5
	v_mul_f32_e32 v5, v29, v5
	v_fma_f32 v27, v29, v4, -v27
	v_fmac_f32_e32 v5, v30, v4
	s_waitcnt lgkmcnt(0)
	v_mul_f32_e32 v4, v32, v7
	v_add_f32_e32 v2, v2, v27
	v_add_f32_e32 v3, v3, v5
	v_fma_f32 v4, v31, v6, -v4
	v_mul_f32_e32 v5, v31, v7
	v_fmac_f32_e32 v5, v32, v6
	v_add_f32_e32 v6, v2, v4
	v_mul_f32_e32 v2, v34, v9
	v_add_f32_e32 v7, v3, v5
	v_fma_f32 v31, v33, v8, -v2
	ds_read_b128 v[2:5], v12 offset:96
	ds_read2_b64 v[27:30], v26 offset0:128 offset1:160
	v_mul_f32_e32 v9, v33, v9
	v_fmac_f32_e32 v9, v34, v8
	v_add_f32_e32 v31, v6, v31
	v_add_f32_e32 v32, v7, v9
	s_waitcnt lgkmcnt(0)
	v_mul_f32_e32 v33, v28, v3
	v_mul_f32_e32 v3, v27, v3
	v_fma_f32 v33, v27, v2, -v33
	v_fmac_f32_e32 v3, v28, v2
	ds_read_b128 v[6:9], v12 offset:112
	v_add_f32_e32 v2, v31, v33
	v_add_f32_e32 v3, v32, v3
	ds_read2_b64 v[31:34], v26 offset0:192 offset1:224
	v_mul_f32_e32 v27, v30, v5
	v_mul_f32_e32 v5, v29, v5
	v_fma_f32 v27, v29, v4, -v27
	v_fmac_f32_e32 v5, v30, v4
	s_waitcnt lgkmcnt(0)
	v_mul_f32_e32 v4, v32, v7
	v_add_f32_e32 v2, v2, v27
	v_add_f32_e32 v3, v3, v5
	v_fma_f32 v4, v31, v6, -v4
	v_mul_f32_e32 v5, v31, v7
	v_fmac_f32_e32 v5, v32, v6
	v_add_f32_e32 v6, v2, v4
	v_mul_f32_e32 v2, v34, v9
	v_add_f32_e32 v7, v3, v5
	v_fma_f32 v31, v33, v8, -v2
	ds_read_b128 v[2:5], v12 offset:128
	ds_read2_b64 v[27:30], v25 offset1:32
	v_mul_f32_e32 v9, v33, v9
	v_fmac_f32_e32 v9, v34, v8
	v_add_f32_e32 v6, v6, v31
	ds_read_b128 v[31:34], v12 offset:144
	ds_read2_b64 v[35:38], v25 offset0:64 offset1:96
	s_waitcnt lgkmcnt(2)
	v_mul_f32_e32 v8, v28, v3
	v_fma_f32 v8, v27, v2, -v8
	v_mul_f32_e32 v3, v27, v3
	v_add_f32_e32 v7, v7, v9
	v_fmac_f32_e32 v3, v28, v2
	v_add_f32_e32 v2, v6, v8
	v_mul_f32_e32 v6, v30, v5
	v_mul_f32_e32 v5, v29, v5
	v_add_f32_e32 v3, v7, v3
	v_fma_f32 v6, v29, v4, -v6
	v_fmac_f32_e32 v5, v30, v4
	s_waitcnt lgkmcnt(0)
	v_mul_f32_e32 v4, v36, v32
	v_add_f32_e32 v2, v2, v6
	v_add_f32_e32 v3, v3, v5
	v_fma_f32 v4, v35, v31, -v4
	v_mul_f32_e32 v5, v35, v32
	v_fmac_f32_e32 v5, v36, v31
	v_add_f32_e32 v27, v2, v4
	v_mul_f32_e32 v2, v38, v34
	v_add_f32_e32 v28, v3, v5
	v_fma_f32 v29, v37, v33, -v2
	ds_read_b128 v[2:5], v12 offset:160
	ds_read2_b64 v[6:9], v25 offset0:128 offset1:160
	v_mul_f32_e32 v30, v37, v34
	v_fmac_f32_e32 v30, v38, v33
	v_add_f32_e32 v33, v27, v29
	v_add_f32_e32 v34, v28, v30
	s_waitcnt lgkmcnt(0)
	v_mul_f32_e32 v31, v7, v3
	v_fma_f32 v35, v6, v2, -v31
	flat_load_dwordx2 v[31:32], v[10:11]
	v_mul_f32_e32 v6, v6, v3
	v_fmac_f32_e32 v6, v7, v2
	v_mul_f32_e32 v2, v9, v5
	v_fma_f32 v7, v8, v4, -v2
	v_mul_f32_e32 v8, v8, v5
	ds_read_b128 v[27:30], v12 offset:176
	v_fmac_f32_e32 v8, v9, v4
	ds_read2_b64 v[2:5], v25 offset0:192 offset1:224
	v_add_f32_e32 v6, v34, v6
	v_add_f32_e32 v9, v33, v35
	;; [unrolled: 1-line block ×4, first 2 shown]
	s_waitcnt lgkmcnt(0)
	v_mul_f32_e32 v6, v3, v28
	v_fma_f32 v6, v2, v27, -v6
	v_mul_f32_e32 v28, v2, v28
	v_mul_f32_e32 v2, v5, v30
	v_mul_f32_e32 v30, v4, v30
	v_fmac_f32_e32 v28, v3, v27
	v_add_f32_e32 v27, v7, v6
	v_fma_f32 v34, v4, v29, -v2
	v_fmac_f32_e32 v30, v5, v29
	ds_read_b128 v[2:5], v12 offset:192
	ds_read2_b64 v[6:9], v24 offset1:32
	v_add_f32_e32 v28, v33, v28
	v_add_f32_e32 v33, v27, v34
	;; [unrolled: 1-line block ×3, first 2 shown]
	ds_read_b128 v[27:30], v12 offset:208
	s_waitcnt lgkmcnt(0)
	v_mul_f32_e32 v35, v7, v3
	v_fma_f32 v35, v6, v2, -v35
	v_mul_f32_e32 v6, v6, v3
	v_fmac_f32_e32 v6, v7, v2
	v_mul_f32_e32 v2, v9, v5
	v_fma_f32 v7, v8, v4, -v2
	v_mul_f32_e32 v8, v8, v5
	v_fmac_f32_e32 v8, v9, v4
	ds_read2_b64 v[2:5], v24 offset0:64 offset1:96
	v_add_f32_e32 v6, v34, v6
	v_add_f32_e32 v9, v33, v35
	;; [unrolled: 1-line block ×4, first 2 shown]
	s_waitcnt lgkmcnt(0)
	v_mul_f32_e32 v6, v3, v28
	v_fma_f32 v6, v2, v27, -v6
	v_mul_f32_e32 v28, v2, v28
	v_mul_f32_e32 v2, v5, v30
	;; [unrolled: 1-line block ×3, first 2 shown]
	v_fmac_f32_e32 v28, v3, v27
	v_add_f32_e32 v27, v7, v6
	v_fma_f32 v34, v4, v29, -v2
	v_fmac_f32_e32 v30, v5, v29
	ds_read_b128 v[2:5], v12 offset:224
	ds_read2_b64 v[6:9], v24 offset0:128 offset1:160
	v_add_f32_e32 v28, v33, v28
	v_add_f32_e32 v33, v27, v34
	;; [unrolled: 1-line block ×3, first 2 shown]
	ds_read_b128 v[27:30], v12 offset:240
	s_waitcnt lgkmcnt(0)
	v_mul_f32_e32 v35, v7, v3
	v_fma_f32 v35, v6, v2, -v35
	v_mul_f32_e32 v6, v6, v3
	v_fmac_f32_e32 v6, v7, v2
	v_mul_f32_e32 v2, v9, v5
	v_fma_f32 v7, v8, v4, -v2
	v_mul_f32_e32 v8, v8, v5
	v_fmac_f32_e32 v8, v9, v4
	ds_read2_b64 v[2:5], v24 offset0:192 offset1:224
	v_add_f32_e32 v6, v34, v6
	v_add_f32_e32 v6, v6, v8
	;; [unrolled: 1-line block ×4, first 2 shown]
	s_waitcnt lgkmcnt(0)
	v_mul_f32_e32 v8, v3, v28
	v_fma_f32 v8, v2, v27, -v8
	v_mul_f32_e32 v2, v2, v28
	v_fmac_f32_e32 v2, v3, v27
	v_add_f32_e32 v2, v6, v2
	v_mul_f32_e32 v6, v5, v30
	v_fma_f32 v6, v4, v29, -v6
	v_mul_f32_e32 v4, v4, v30
	v_fmac_f32_e32 v4, v5, v29
	v_add_f32_e32 v3, v7, v8
	v_add_f32_e32 v2, v2, v4
	;; [unrolled: 1-line block ×3, first 2 shown]
	v_mul_f32_e32 v4, s11, v2
	v_mul_f32_e32 v5, s10, v2
	v_fma_f32 v4, s10, v3, -v4
	v_fmac_f32_e32 v5, s11, v3
	s_waitcnt vmcnt(0)
	v_add_f32_e32 v2, v31, v4
	v_add_f32_e32 v3, v32, v5
	flat_store_dwordx2 v[10:11], v[2:3]
.LBB1883_10:                            ;   in Loop: Header=BB1883_4 Depth=1
	s_or_b64 exec, exec, s[18:19]
	v_mov_b32_e32 v3, 0
	v_mov_b32_e32 v5, 0
	;; [unrolled: 1-line block ×3, first 2 shown]
	s_waitcnt vmcnt(0) lgkmcnt(0)
	s_barrier
	s_and_saveexec_b64 s[18:19], s[14:15]
	s_cbranch_execz .LBB1883_12
; %bb.11:                               ;   in Loop: Header=BB1883_4 Depth=1
	v_mov_b32_e32 v2, s7
	v_add_co_u32_e32 v4, vcc, s6, v22
	v_addc_co_u32_e32 v5, vcc, v23, v2, vcc
	flat_load_dwordx2 v[4:5], v[4:5]
.LBB1883_12:                            ;   in Loop: Header=BB1883_4 Depth=1
	s_or_b64 exec, exec, s[18:19]
	v_mov_b32_e32 v2, 0
	s_waitcnt vmcnt(0) lgkmcnt(0)
	ds_write_b64 v13, v[4:5]
	s_and_saveexec_b64 s[14:15], s[16:17]
	s_cbranch_execz .LBB1883_14
; %bb.13:                               ;   in Loop: Header=BB1883_4 Depth=1
	v_mov_b32_e32 v3, s7
	v_add_co_u32_e32 v2, vcc, s6, v16
	v_addc_co_u32_e32 v3, vcc, v17, v3, vcc
	flat_load_dwordx2 v[2:3], v[2:3]
.LBB1883_14:                            ;   in Loop: Header=BB1883_4 Depth=1
	s_or_b64 exec, exec, s[14:15]
	s_waitcnt vmcnt(0) lgkmcnt(0)
	ds_write_b64 v15, v[2:3]
	s_waitcnt lgkmcnt(0)
	s_barrier
	s_and_saveexec_b64 s[14:15], s[4:5]
	s_cbranch_execz .LBB1883_3
; %bb.15:                               ;   in Loop: Header=BB1883_4 Depth=1
	ds_read2_b64 v[2:5], v14 offset1:32
	ds_read_b128 v[6:9], v12
	ds_read_b128 v[27:30], v12 offset:16
	s_waitcnt lgkmcnt(1)
	v_mul_f32_e32 v31, v3, v7
	v_mul_f32_e32 v35, v2, v7
	v_fma_f32 v36, v2, v6, -v31
	v_mul_f32_e32 v2, v5, v9
	v_mul_f32_e32 v38, v4, v9
	v_fmac_f32_e32 v35, v3, v6
	v_fma_f32 v37, v4, v8, -v2
	v_fmac_f32_e32 v38, v5, v8
	ds_read_b128 v[2:5], v12 offset:32
	ds_read_b128 v[6:9], v12 offset:48
	ds_read2_b64 v[31:34], v14 offset0:64 offset1:96
	v_add_f32_e32 v36, 0, v36
	v_add_f32_e32 v36, v36, v37
	;; [unrolled: 1-line block ×4, first 2 shown]
	s_waitcnt lgkmcnt(0)
	v_mul_f32_e32 v37, v32, v28
	v_fma_f32 v37, v31, v27, -v37
	v_mul_f32_e32 v31, v31, v28
	v_fmac_f32_e32 v31, v32, v27
	v_mul_f32_e32 v27, v34, v30
	v_fma_f32 v32, v33, v29, -v27
	v_mul_f32_e32 v33, v33, v30
	v_fmac_f32_e32 v33, v34, v29
	ds_read2_b64 v[27:30], v14 offset0:128 offset1:160
	v_add_f32_e32 v31, v35, v31
	v_add_f32_e32 v34, v36, v37
	v_add_f32_e32 v31, v31, v33
	v_add_f32_e32 v32, v34, v32
	s_waitcnt lgkmcnt(0)
	v_mul_f32_e32 v33, v28, v3
	v_mul_f32_e32 v3, v27, v3
	v_fma_f32 v33, v27, v2, -v33
	v_fmac_f32_e32 v3, v28, v2
	v_add_f32_e32 v2, v32, v33
	v_add_f32_e32 v3, v31, v3
	ds_read2_b64 v[31:34], v14 offset0:192 offset1:224
	v_mul_f32_e32 v27, v30, v5
	v_mul_f32_e32 v5, v29, v5
	v_fma_f32 v27, v29, v4, -v27
	v_fmac_f32_e32 v5, v30, v4
	s_waitcnt lgkmcnt(0)
	v_mul_f32_e32 v4, v32, v7
	v_add_f32_e32 v2, v2, v27
	v_add_f32_e32 v3, v3, v5
	v_fma_f32 v4, v31, v6, -v4
	v_mul_f32_e32 v5, v31, v7
	v_fmac_f32_e32 v5, v32, v6
	v_add_f32_e32 v6, v2, v4
	v_mul_f32_e32 v2, v34, v9
	v_add_f32_e32 v7, v3, v5
	v_fma_f32 v31, v33, v8, -v2
	ds_read_b128 v[2:5], v12 offset:64
	ds_read2_b64 v[27:30], v26 offset1:32
	v_mul_f32_e32 v9, v33, v9
	v_fmac_f32_e32 v9, v34, v8
	v_add_f32_e32 v31, v6, v31
	v_add_f32_e32 v32, v7, v9
	s_waitcnt lgkmcnt(0)
	v_mul_f32_e32 v33, v28, v3
	v_mul_f32_e32 v3, v27, v3
	v_fma_f32 v33, v27, v2, -v33
	v_fmac_f32_e32 v3, v28, v2
	ds_read_b128 v[6:9], v12 offset:80
	v_add_f32_e32 v2, v31, v33
	v_add_f32_e32 v3, v32, v3
	ds_read2_b64 v[31:34], v26 offset0:64 offset1:96
	v_mul_f32_e32 v27, v30, v5
	v_mul_f32_e32 v5, v29, v5
	v_fma_f32 v27, v29, v4, -v27
	v_fmac_f32_e32 v5, v30, v4
	s_waitcnt lgkmcnt(0)
	v_mul_f32_e32 v4, v32, v7
	v_add_f32_e32 v2, v2, v27
	v_add_f32_e32 v3, v3, v5
	v_fma_f32 v4, v31, v6, -v4
	v_mul_f32_e32 v5, v31, v7
	v_fmac_f32_e32 v5, v32, v6
	v_add_f32_e32 v6, v2, v4
	v_mul_f32_e32 v2, v34, v9
	v_add_f32_e32 v7, v3, v5
	v_fma_f32 v31, v33, v8, -v2
	ds_read_b128 v[2:5], v12 offset:96
	ds_read2_b64 v[27:30], v26 offset0:128 offset1:160
	v_mul_f32_e32 v9, v33, v9
	v_fmac_f32_e32 v9, v34, v8
	v_add_f32_e32 v31, v6, v31
	v_add_f32_e32 v32, v7, v9
	s_waitcnt lgkmcnt(0)
	v_mul_f32_e32 v33, v28, v3
	v_mul_f32_e32 v3, v27, v3
	v_fma_f32 v33, v27, v2, -v33
	v_fmac_f32_e32 v3, v28, v2
	ds_read_b128 v[6:9], v12 offset:112
	v_add_f32_e32 v2, v31, v33
	v_add_f32_e32 v3, v32, v3
	ds_read2_b64 v[31:34], v26 offset0:192 offset1:224
	v_mul_f32_e32 v27, v30, v5
	v_mul_f32_e32 v5, v29, v5
	v_fma_f32 v27, v29, v4, -v27
	v_fmac_f32_e32 v5, v30, v4
	s_waitcnt lgkmcnt(0)
	v_mul_f32_e32 v4, v32, v7
	v_add_f32_e32 v2, v2, v27
	v_add_f32_e32 v3, v3, v5
	v_fma_f32 v4, v31, v6, -v4
	v_mul_f32_e32 v5, v31, v7
	v_fmac_f32_e32 v5, v32, v6
	v_add_f32_e32 v6, v2, v4
	v_mul_f32_e32 v2, v34, v9
	v_add_f32_e32 v7, v3, v5
	v_fma_f32 v30, v33, v8, -v2
	ds_read_b128 v[2:5], v12 offset:128
	ds_read2_b64 v[26:29], v25 offset1:32
	v_mul_f32_e32 v9, v33, v9
	v_fmac_f32_e32 v9, v34, v8
	v_add_f32_e32 v6, v6, v30
	ds_read_b128 v[30:33], v12 offset:144
	ds_read2_b64 v[34:37], v25 offset0:64 offset1:96
	s_waitcnt lgkmcnt(2)
	v_mul_f32_e32 v8, v27, v3
	v_fma_f32 v8, v26, v2, -v8
	v_mul_f32_e32 v3, v26, v3
	v_add_f32_e32 v7, v7, v9
	v_fmac_f32_e32 v3, v27, v2
	v_add_f32_e32 v2, v6, v8
	v_mul_f32_e32 v6, v29, v5
	v_mul_f32_e32 v5, v28, v5
	v_add_f32_e32 v3, v7, v3
	v_fma_f32 v6, v28, v4, -v6
	v_fmac_f32_e32 v5, v29, v4
	s_waitcnt lgkmcnt(0)
	v_mul_f32_e32 v4, v35, v31
	v_add_f32_e32 v2, v2, v6
	v_add_f32_e32 v3, v3, v5
	v_fma_f32 v4, v34, v30, -v4
	v_mul_f32_e32 v5, v34, v31
	v_fmac_f32_e32 v5, v35, v30
	v_add_f32_e32 v26, v2, v4
	v_mul_f32_e32 v2, v37, v33
	v_add_f32_e32 v27, v3, v5
	v_fma_f32 v28, v36, v32, -v2
	ds_read_b128 v[2:5], v12 offset:160
	ds_read2_b64 v[6:9], v25 offset0:128 offset1:160
	flat_load_dwordx2 v[34:35], v[10:11]
	v_mul_f32_e32 v29, v36, v33
	v_fmac_f32_e32 v29, v37, v32
	v_add_f32_e32 v30, v26, v28
	s_waitcnt lgkmcnt(0)
	v_mul_f32_e32 v32, v7, v3
	v_mul_f32_e32 v3, v6, v3
	v_add_f32_e32 v31, v27, v29
	v_fma_f32 v32, v6, v2, -v32
	v_fmac_f32_e32 v3, v7, v2
	ds_read_b128 v[26:29], v12 offset:176
	v_add_f32_e32 v2, v30, v32
	v_add_f32_e32 v3, v31, v3
	ds_read2_b64 v[30:33], v25 offset0:192 offset1:224
	v_mul_f32_e32 v6, v9, v5
	v_mul_f32_e32 v5, v8, v5
	v_fma_f32 v6, v8, v4, -v6
	v_fmac_f32_e32 v5, v9, v4
	s_waitcnt lgkmcnt(0)
	v_mul_f32_e32 v4, v31, v27
	v_add_f32_e32 v2, v2, v6
	v_add_f32_e32 v3, v3, v5
	v_fma_f32 v4, v30, v26, -v4
	v_mul_f32_e32 v5, v30, v27
	v_fmac_f32_e32 v5, v31, v26
	v_add_f32_e32 v25, v2, v4
	v_mul_f32_e32 v2, v33, v29
	v_add_f32_e32 v26, v3, v5
	v_fma_f32 v27, v32, v28, -v2
	ds_read_b128 v[2:5], v12 offset:192
	ds_read2_b64 v[6:9], v24 offset1:32
	v_mul_f32_e32 v29, v32, v29
	v_fmac_f32_e32 v29, v33, v28
	v_add_f32_e32 v30, v25, v27
	v_add_f32_e32 v29, v26, v29
	s_waitcnt lgkmcnt(0)
	v_mul_f32_e32 v31, v7, v3
	v_mul_f32_e32 v3, v6, v3
	v_fma_f32 v31, v6, v2, -v31
	v_fmac_f32_e32 v3, v7, v2
	ds_read_b128 v[25:28], v12 offset:208
	v_add_f32_e32 v2, v30, v31
	v_add_f32_e32 v3, v29, v3
	ds_read2_b64 v[29:32], v24 offset0:64 offset1:96
	v_mul_f32_e32 v6, v9, v5
	v_mul_f32_e32 v5, v8, v5
	v_fma_f32 v6, v8, v4, -v6
	v_fmac_f32_e32 v5, v9, v4
	s_waitcnt lgkmcnt(0)
	v_mul_f32_e32 v4, v30, v26
	v_add_f32_e32 v2, v2, v6
	v_add_f32_e32 v3, v3, v5
	v_fma_f32 v4, v29, v25, -v4
	v_mul_f32_e32 v5, v29, v26
	v_fmac_f32_e32 v5, v30, v25
	v_add_f32_e32 v25, v2, v4
	v_mul_f32_e32 v2, v32, v28
	v_add_f32_e32 v26, v3, v5
	v_fma_f32 v29, v31, v27, -v2
	ds_read_b128 v[2:5], v12 offset:224
	ds_read2_b64 v[6:9], v24 offset0:128 offset1:160
	v_mul_f32_e32 v28, v31, v28
	v_fmac_f32_e32 v28, v32, v27
	v_add_f32_e32 v29, v25, v29
	v_add_f32_e32 v30, v26, v28
	s_waitcnt lgkmcnt(0)
	v_mul_f32_e32 v31, v7, v3
	v_mul_f32_e32 v3, v6, v3
	v_fma_f32 v31, v6, v2, -v31
	v_fmac_f32_e32 v3, v7, v2
	ds_read_b128 v[25:28], v12 offset:240
	v_add_f32_e32 v2, v29, v31
	v_add_f32_e32 v3, v30, v3
	ds_read2_b64 v[29:32], v24 offset0:192 offset1:224
	v_mul_f32_e32 v6, v9, v5
	v_mul_f32_e32 v5, v8, v5
	v_fmac_f32_e32 v5, v9, v4
	v_fma_f32 v6, v8, v4, -v6
	v_add_f32_e32 v3, v3, v5
	s_waitcnt lgkmcnt(0)
	v_mul_f32_e32 v4, v30, v26
	v_mul_f32_e32 v5, v29, v26
	v_add_f32_e32 v2, v2, v6
	v_fma_f32 v4, v29, v25, -v4
	v_fmac_f32_e32 v5, v30, v25
	v_add_f32_e32 v2, v2, v4
	v_add_f32_e32 v3, v3, v5
	v_mul_f32_e32 v4, v32, v28
	v_mul_f32_e32 v5, v31, v28
	v_fma_f32 v4, v31, v27, -v4
	v_fmac_f32_e32 v5, v32, v27
	v_add_f32_e32 v2, v2, v4
	v_add_f32_e32 v3, v3, v5
	v_mul_f32_e32 v4, s11, v3
	v_mul_f32_e32 v5, s11, v2
	v_fma_f32 v4, s10, v2, -v4
	v_fmac_f32_e32 v5, s10, v3
	s_waitcnt vmcnt(0)
	v_add_f32_e32 v2, v34, v4
	v_add_f32_e32 v3, v35, v5
	flat_store_dwordx2 v[10:11], v[2:3]
	s_branch .LBB1883_3
.LBB1883_16:
	s_endpgm
	.section	.rodata,"a",@progbits
	.p2align	6, 0x0
	.amdhsa_kernel _ZL26rocblas_syr2k_her2k_kernelIlLb1ELb0ELb1ELi32EPK19rocblas_complex_numIfEPKS3_PKPS1_EvbiT_T4_T5_S9_lSB_S9_lT6_S9_li
		.amdhsa_group_segment_fixed_size 16384
		.amdhsa_private_segment_fixed_size 0
		.amdhsa_kernarg_size 100
		.amdhsa_user_sgpr_count 6
		.amdhsa_user_sgpr_private_segment_buffer 1
		.amdhsa_user_sgpr_dispatch_ptr 0
		.amdhsa_user_sgpr_queue_ptr 0
		.amdhsa_user_sgpr_kernarg_segment_ptr 1
		.amdhsa_user_sgpr_dispatch_id 0
		.amdhsa_user_sgpr_flat_scratch_init 0
		.amdhsa_user_sgpr_private_segment_size 0
		.amdhsa_uses_dynamic_stack 0
		.amdhsa_system_sgpr_private_segment_wavefront_offset 0
		.amdhsa_system_sgpr_workgroup_id_x 1
		.amdhsa_system_sgpr_workgroup_id_y 1
		.amdhsa_system_sgpr_workgroup_id_z 1
		.amdhsa_system_sgpr_workgroup_info 0
		.amdhsa_system_vgpr_workitem_id 1
		.amdhsa_next_free_vgpr 40
		.amdhsa_next_free_sgpr 61
		.amdhsa_reserve_vcc 1
		.amdhsa_reserve_flat_scratch 0
		.amdhsa_float_round_mode_32 0
		.amdhsa_float_round_mode_16_64 0
		.amdhsa_float_denorm_mode_32 3
		.amdhsa_float_denorm_mode_16_64 3
		.amdhsa_dx10_clamp 1
		.amdhsa_ieee_mode 1
		.amdhsa_fp16_overflow 0
		.amdhsa_exception_fp_ieee_invalid_op 0
		.amdhsa_exception_fp_denorm_src 0
		.amdhsa_exception_fp_ieee_div_zero 0
		.amdhsa_exception_fp_ieee_overflow 0
		.amdhsa_exception_fp_ieee_underflow 0
		.amdhsa_exception_fp_ieee_inexact 0
		.amdhsa_exception_int_div_zero 0
	.end_amdhsa_kernel
	.section	.text._ZL26rocblas_syr2k_her2k_kernelIlLb1ELb0ELb1ELi32EPK19rocblas_complex_numIfEPKS3_PKPS1_EvbiT_T4_T5_S9_lSB_S9_lT6_S9_li,"axG",@progbits,_ZL26rocblas_syr2k_her2k_kernelIlLb1ELb0ELb1ELi32EPK19rocblas_complex_numIfEPKS3_PKPS1_EvbiT_T4_T5_S9_lSB_S9_lT6_S9_li,comdat
.Lfunc_end1883:
	.size	_ZL26rocblas_syr2k_her2k_kernelIlLb1ELb0ELb1ELi32EPK19rocblas_complex_numIfEPKS3_PKPS1_EvbiT_T4_T5_S9_lSB_S9_lT6_S9_li, .Lfunc_end1883-_ZL26rocblas_syr2k_her2k_kernelIlLb1ELb0ELb1ELi32EPK19rocblas_complex_numIfEPKS3_PKPS1_EvbiT_T4_T5_S9_lSB_S9_lT6_S9_li
                                        ; -- End function
	.set _ZL26rocblas_syr2k_her2k_kernelIlLb1ELb0ELb1ELi32EPK19rocblas_complex_numIfEPKS3_PKPS1_EvbiT_T4_T5_S9_lSB_S9_lT6_S9_li.num_vgpr, 40
	.set _ZL26rocblas_syr2k_her2k_kernelIlLb1ELb0ELb1ELi32EPK19rocblas_complex_numIfEPKS3_PKPS1_EvbiT_T4_T5_S9_lSB_S9_lT6_S9_li.num_agpr, 0
	.set _ZL26rocblas_syr2k_her2k_kernelIlLb1ELb0ELb1ELi32EPK19rocblas_complex_numIfEPKS3_PKPS1_EvbiT_T4_T5_S9_lSB_S9_lT6_S9_li.numbered_sgpr, 36
	.set _ZL26rocblas_syr2k_her2k_kernelIlLb1ELb0ELb1ELi32EPK19rocblas_complex_numIfEPKS3_PKPS1_EvbiT_T4_T5_S9_lSB_S9_lT6_S9_li.num_named_barrier, 0
	.set _ZL26rocblas_syr2k_her2k_kernelIlLb1ELb0ELb1ELi32EPK19rocblas_complex_numIfEPKS3_PKPS1_EvbiT_T4_T5_S9_lSB_S9_lT6_S9_li.private_seg_size, 0
	.set _ZL26rocblas_syr2k_her2k_kernelIlLb1ELb0ELb1ELi32EPK19rocblas_complex_numIfEPKS3_PKPS1_EvbiT_T4_T5_S9_lSB_S9_lT6_S9_li.uses_vcc, 1
	.set _ZL26rocblas_syr2k_her2k_kernelIlLb1ELb0ELb1ELi32EPK19rocblas_complex_numIfEPKS3_PKPS1_EvbiT_T4_T5_S9_lSB_S9_lT6_S9_li.uses_flat_scratch, 0
	.set _ZL26rocblas_syr2k_her2k_kernelIlLb1ELb0ELb1ELi32EPK19rocblas_complex_numIfEPKS3_PKPS1_EvbiT_T4_T5_S9_lSB_S9_lT6_S9_li.has_dyn_sized_stack, 0
	.set _ZL26rocblas_syr2k_her2k_kernelIlLb1ELb0ELb1ELi32EPK19rocblas_complex_numIfEPKS3_PKPS1_EvbiT_T4_T5_S9_lSB_S9_lT6_S9_li.has_recursion, 0
	.set _ZL26rocblas_syr2k_her2k_kernelIlLb1ELb0ELb1ELi32EPK19rocblas_complex_numIfEPKS3_PKPS1_EvbiT_T4_T5_S9_lSB_S9_lT6_S9_li.has_indirect_call, 0
	.section	.AMDGPU.csdata,"",@progbits
; Kernel info:
; codeLenInByte = 3540
; TotalNumSgprs: 40
; NumVgprs: 40
; ScratchSize: 0
; MemoryBound: 0
; FloatMode: 240
; IeeeMode: 1
; LDSByteSize: 16384 bytes/workgroup (compile time only)
; SGPRBlocks: 8
; VGPRBlocks: 9
; NumSGPRsForWavesPerEU: 65
; NumVGPRsForWavesPerEU: 40
; Occupancy: 6
; WaveLimiterHint : 1
; COMPUTE_PGM_RSRC2:SCRATCH_EN: 0
; COMPUTE_PGM_RSRC2:USER_SGPR: 6
; COMPUTE_PGM_RSRC2:TRAP_HANDLER: 0
; COMPUTE_PGM_RSRC2:TGID_X_EN: 1
; COMPUTE_PGM_RSRC2:TGID_Y_EN: 1
; COMPUTE_PGM_RSRC2:TGID_Z_EN: 1
; COMPUTE_PGM_RSRC2:TIDIG_COMP_CNT: 1
	.section	.text._ZL26rocblas_syr2k_her2k_kernelIlLb1ELb0ELb0ELi32E19rocblas_complex_numIdEPKPKS1_PKPS1_EvbiT_T4_T5_S9_lSB_S9_lT6_S9_li,"axG",@progbits,_ZL26rocblas_syr2k_her2k_kernelIlLb1ELb0ELb0ELi32E19rocblas_complex_numIdEPKPKS1_PKPS1_EvbiT_T4_T5_S9_lSB_S9_lT6_S9_li,comdat
	.globl	_ZL26rocblas_syr2k_her2k_kernelIlLb1ELb0ELb0ELi32E19rocblas_complex_numIdEPKPKS1_PKPS1_EvbiT_T4_T5_S9_lSB_S9_lT6_S9_li ; -- Begin function _ZL26rocblas_syr2k_her2k_kernelIlLb1ELb0ELb0ELi32E19rocblas_complex_numIdEPKPKS1_PKPS1_EvbiT_T4_T5_S9_lSB_S9_lT6_S9_li
	.p2align	8
	.type	_ZL26rocblas_syr2k_her2k_kernelIlLb1ELb0ELb0ELi32E19rocblas_complex_numIdEPKPKS1_PKPS1_EvbiT_T4_T5_S9_lSB_S9_lT6_S9_li,@function
_ZL26rocblas_syr2k_her2k_kernelIlLb1ELb0ELb0ELi32E19rocblas_complex_numIdEPKPKS1_PKPS1_EvbiT_T4_T5_S9_lSB_S9_lT6_S9_li: ; @_ZL26rocblas_syr2k_her2k_kernelIlLb1ELb0ELb0ELi32E19rocblas_complex_numIdEPKPKS1_PKPS1_EvbiT_T4_T5_S9_lSB_S9_lT6_S9_li
; %bb.0:
	s_load_dwordx16 s[12:27], s[4:5], 0x8
	s_waitcnt lgkmcnt(0)
	v_cmp_eq_f64_e64 s[0:1], s[14:15], 0
	v_cmp_eq_f64_e64 s[2:3], s[16:17], 0
	s_and_b64 s[0:1], s[0:1], s[2:3]
	s_and_b64 vcc, exec, s[0:1]
	s_cbranch_vccnz .LBB1884_16
; %bb.1:
	s_load_dwordx2 s[10:11], s[4:5], 0x0
	s_lshl_b32 s2, s7, 5
	s_lshl_b32 s3, s6, 5
	s_waitcnt lgkmcnt(0)
	s_and_b32 s0, 1, s10
	s_cmp_eq_u32 s0, 1
	s_cselect_b64 s[0:1], -1, 0
	s_and_b64 s[6:7], s[0:1], exec
	s_cselect_b32 s6, s3, s2
	s_cselect_b32 s7, s2, s3
	s_cmp_gt_i32 s6, s7
	v_cmp_lt_i64_e64 s[6:7], s[12:13], 1
	s_cselect_b64 s[28:29], -1, 0
	s_or_b64 s[6:7], s[28:29], s[6:7]
	s_and_b64 vcc, exec, s[6:7]
	s_cbranch_vccnz .LBB1884_16
; %bb.2:
	s_mov_b32 s9, 0
	s_load_dwordx8 s[36:43], s[4:5], 0x48
	s_lshl_b64 s[4:5], s[8:9], 3
	s_add_u32 s6, s18, s4
	s_addc_u32 s7, s19, s5
	s_add_u32 s8, s24, s4
	s_addc_u32 s9, s25, s5
	s_waitcnt lgkmcnt(0)
	s_add_u32 s4, s38, s4
	s_addc_u32 s5, s39, s5
	s_load_dwordx2 s[18:19], s[4:5], 0x0
	s_load_dwordx2 s[28:29], s[6:7], 0x0
	;; [unrolled: 1-line block ×3, first 2 shown]
	s_lshl_b64 s[4:5], s[42:43], 4
	v_add_u32_e32 v2, s2, v1
	s_waitcnt lgkmcnt(0)
	s_add_u32 s8, s18, s4
	s_addc_u32 s6, s19, s5
	s_lshl_b64 s[4:5], s[36:37], 4
	s_add_u32 s24, s24, s4
	s_addc_u32 s25, s25, s5
	s_lshl_b64 s[4:5], s[22:23], 4
	v_lshlrev_b32_e32 v24, 9, v0
	v_lshlrev_b32_e32 v6, 4, v1
	s_add_u32 s28, s28, s4
	v_add_u32_e32 v25, v24, v6
	v_or_b32_e32 v26, 0x4000, v6
	v_ashrrev_i32_e32 v6, 31, v2
	s_addc_u32 s29, s29, s5
	v_mul_lo_u32 v11, s40, v6
	v_mul_lo_u32 v12, s41, v2
	v_mad_u64_u32 v[6:7], s[4:5], s40, v2, 0
	v_add_u32_e32 v4, s3, v0
	v_max_i32_e32 v10, v4, v2
	v_cmp_gt_i32_e32 vcc, s11, v10
	v_add3_u32 v7, v7, v11, v12
	v_mov_b32_e32 v12, s6
	v_mad_u64_u32 v[10:11], s[6:7], s20, v0, 0
	v_cndmask_b32_e64 v8, v4, v2, s[0:1]
	v_cndmask_b32_e64 v9, v2, v4, s[0:1]
	v_lshlrev_b64 v[6:7], 4, v[6:7]
	v_cmp_le_i32_e64 s[4:5], v9, v8
	s_and_b64 s[4:5], s[4:5], vcc
	v_ashrrev_i32_e32 v9, 31, v4
	v_mov_b32_e32 v8, v4
	v_add_co_u32_e32 v13, vcc, s8, v6
	v_addc_co_u32_e32 v12, vcc, v12, v7, vcc
	v_lshlrev_b64 v[6:7], 4, v[8:9]
	v_mov_b32_e32 v8, v11
	v_mad_u64_u32 v[8:9], s[6:7], s21, v0, v[8:9]
	v_mov_b32_e32 v5, 0
	s_ashr_i32 s3, s11, 31
	v_mov_b32_e32 v11, v8
	v_mad_u64_u32 v[8:9], s[6:7], s20, v1, 0
	s_mov_b32 s2, s11
	v_mov_b32_e32 v3, v5
	v_add_co_u32_e32 v22, vcc, v13, v6
	v_cmp_gt_i64_e64 s[0:1], s[2:3], v[4:5]
	v_cmp_gt_i64_e64 s[2:3], s[2:3], v[2:3]
	v_addc_co_u32_e32 v23, vcc, v12, v7, vcc
	v_lshlrev_b64 v[6:7], 4, v[10:11]
	v_lshlrev_b64 v[2:3], 4, v[2:3]
	v_mad_u64_u32 v[10:11], s[8:9], s26, v0, 0
	v_add_co_u32_e32 v28, vcc, v6, v2
	v_mov_b32_e32 v6, v9
	v_addc_co_u32_e32 v29, vcc, v7, v3, vcc
	v_mad_u64_u32 v[6:7], s[6:7], s21, v1, v[6:7]
	v_mad_u64_u32 v[12:13], s[8:9], s26, v1, 0
	v_mov_b32_e32 v9, v6
	v_lshlrev_b64 v[6:7], 4, v[8:9]
	v_mov_b32_e32 v8, v11
	v_mad_u64_u32 v[8:9], s[8:9], s27, v0, v[8:9]
	v_lshlrev_b64 v[4:5], 4, v[4:5]
	v_add_u32_e32 v27, v26, v24
	v_mov_b32_e32 v11, v8
	v_mov_b32_e32 v8, v13
	v_mad_u64_u32 v[8:9], s[8:9], s27, v1, v[8:9]
	v_add_co_u32_e32 v30, vcc, v6, v4
	v_addc_co_u32_e32 v31, vcc, v7, v5, vcc
	v_lshlrev_b64 v[6:7], 4, v[10:11]
	v_mov_b32_e32 v13, v8
	v_add_co_u32_e32 v32, vcc, v6, v2
	v_addc_co_u32_e32 v33, vcc, v7, v3, vcc
	v_lshlrev_b64 v[2:3], 4, v[12:13]
	s_lshl_b64 s[6:7], s[20:21], 9
	v_add_co_u32_e32 v34, vcc, v2, v4
	s_lshl_b64 s[8:9], s[26:27], 9
	v_addc_co_u32_e32 v35, vcc, v3, v5, vcc
	s_mov_b64 s[10:11], 0
	s_branch .LBB1884_4
.LBB1884_3:                             ;   in Loop: Header=BB1884_4 Depth=1
	s_or_b64 exec, exec, s[18:19]
	s_add_u32 s10, s10, 32
	s_addc_u32 s11, s11, 0
	v_mov_b32_e32 v2, s12
	s_add_u32 s28, s28, s6
	v_mov_b32_e32 v3, s13
	s_addc_u32 s29, s29, s7
	v_cmp_lt_i64_e32 vcc, s[10:11], v[2:3]
	s_add_u32 s24, s24, s8
	s_addc_u32 s25, s25, s9
	s_waitcnt vmcnt(0) lgkmcnt(0)
	s_barrier
	s_cbranch_vccz .LBB1884_16
.LBB1884_4:                             ; =>This Inner Loop Header: Depth=1
	v_mov_b32_e32 v3, s11
	v_add_co_u32_e32 v2, vcc, s10, v1
	v_addc_co_u32_e32 v3, vcc, 0, v3, vcc
	v_cmp_gt_i64_e32 vcc, s[12:13], v[2:3]
	v_mov_b32_e32 v2, 0
	v_mov_b32_e32 v4, 0
	;; [unrolled: 1-line block ×6, first 2 shown]
	s_and_b64 s[18:19], s[0:1], vcc
	s_and_saveexec_b64 s[20:21], s[18:19]
	s_cbranch_execz .LBB1884_6
; %bb.5:                                ;   in Loop: Header=BB1884_4 Depth=1
	v_mov_b32_e32 v5, s29
	v_add_co_u32_e32 v4, vcc, s28, v30
	v_addc_co_u32_e32 v5, vcc, v5, v31, vcc
	flat_load_dwordx4 v[4:7], v[4:5]
.LBB1884_6:                             ;   in Loop: Header=BB1884_4 Depth=1
	s_or_b64 exec, exec, s[20:21]
	s_waitcnt vmcnt(0) lgkmcnt(0)
	ds_write_b128 v25, v[4:7]
	v_mov_b32_e32 v5, s11
	v_add_co_u32_e32 v4, vcc, s10, v0
	v_addc_co_u32_e32 v5, vcc, 0, v5, vcc
	v_cmp_gt_i64_e32 vcc, s[12:13], v[4:5]
	v_mov_b32_e32 v4, 0
	v_mov_b32_e32 v5, 0
	s_and_b64 s[20:21], s[2:3], vcc
	s_and_saveexec_b64 s[22:23], s[20:21]
	s_cbranch_execz .LBB1884_8
; %bb.7:                                ;   in Loop: Header=BB1884_4 Depth=1
	v_mov_b32_e32 v3, s25
	v_add_co_u32_e32 v2, vcc, s24, v32
	v_addc_co_u32_e32 v3, vcc, v3, v33, vcc
	flat_load_dwordx4 v[2:5], v[2:3]
.LBB1884_8:                             ;   in Loop: Header=BB1884_4 Depth=1
	s_or_b64 exec, exec, s[22:23]
	s_waitcnt vmcnt(0) lgkmcnt(0)
	ds_write_b128 v27, v[2:5]
	s_waitcnt lgkmcnt(0)
	s_barrier
	s_and_saveexec_b64 s[22:23], s[4:5]
	s_cbranch_execz .LBB1884_10
; %bb.9:                                ;   in Loop: Header=BB1884_4 Depth=1
	ds_read_b128 v[6:9], v26
	ds_read_b128 v[10:13], v24
	ds_read_b128 v[14:17], v24 offset:16
	ds_read_b128 v[18:21], v24 offset:32
	;; [unrolled: 1-line block ×3, first 2 shown]
	s_waitcnt lgkmcnt(3)
	v_mul_f64 v[36:37], v[8:9], v[12:13]
	v_fma_f64 v[36:37], v[6:7], v[10:11], -v[36:37]
	v_mul_f64 v[6:7], v[6:7], v[12:13]
	v_fma_f64 v[6:7], v[8:9], v[10:11], v[6:7]
	v_add_f64 v[10:11], v[36:37], 0
	v_add_f64 v[12:13], v[6:7], 0
	ds_read_b128 v[6:9], v26 offset:512
	s_waitcnt lgkmcnt(0)
	v_mul_f64 v[36:37], v[8:9], v[16:17]
	v_fma_f64 v[36:37], v[6:7], v[14:15], -v[36:37]
	v_mul_f64 v[6:7], v[6:7], v[16:17]
	v_add_f64 v[10:11], v[10:11], v[36:37]
	v_fma_f64 v[6:7], v[8:9], v[14:15], v[6:7]
	v_add_f64 v[12:13], v[12:13], v[6:7]
	ds_read_b128 v[6:9], v26 offset:1024
	s_waitcnt lgkmcnt(0)
	v_mul_f64 v[14:15], v[8:9], v[20:21]
	v_fma_f64 v[14:15], v[6:7], v[18:19], -v[14:15]
	v_mul_f64 v[6:7], v[6:7], v[20:21]
	v_add_f64 v[10:11], v[10:11], v[14:15]
	v_fma_f64 v[6:7], v[8:9], v[18:19], v[6:7]
	v_add_f64 v[12:13], v[12:13], v[6:7]
	ds_read_b128 v[6:9], v26 offset:1536
	s_waitcnt lgkmcnt(0)
	v_mul_f64 v[14:15], v[8:9], v[4:5]
	v_mul_f64 v[4:5], v[6:7], v[4:5]
	v_fma_f64 v[14:15], v[6:7], v[2:3], -v[14:15]
	v_fma_f64 v[2:3], v[8:9], v[2:3], v[4:5]
	v_add_f64 v[10:11], v[10:11], v[14:15]
	v_add_f64 v[12:13], v[12:13], v[2:3]
	ds_read_b128 v[2:5], v26 offset:2048
	ds_read_b128 v[6:9], v24 offset:64
	s_waitcnt lgkmcnt(0)
	v_mul_f64 v[14:15], v[4:5], v[8:9]
	v_fma_f64 v[14:15], v[2:3], v[6:7], -v[14:15]
	v_mul_f64 v[2:3], v[2:3], v[8:9]
	v_add_f64 v[10:11], v[10:11], v[14:15]
	v_fma_f64 v[2:3], v[4:5], v[6:7], v[2:3]
	v_add_f64 v[12:13], v[12:13], v[2:3]
	ds_read_b128 v[2:5], v26 offset:2560
	ds_read_b128 v[6:9], v24 offset:80
	s_waitcnt lgkmcnt(0)
	v_mul_f64 v[14:15], v[4:5], v[8:9]
	v_fma_f64 v[14:15], v[2:3], v[6:7], -v[14:15]
	v_mul_f64 v[2:3], v[2:3], v[8:9]
	v_add_f64 v[10:11], v[10:11], v[14:15]
	v_fma_f64 v[2:3], v[4:5], v[6:7], v[2:3]
	;; [unrolled: 9-line block ×27, first 2 shown]
	v_add_f64 v[12:13], v[12:13], v[2:3]
	ds_read_b128 v[2:5], v26 offset:15872
	ds_read_b128 v[6:9], v24 offset:496
	s_waitcnt lgkmcnt(0)
	v_mul_f64 v[14:15], v[4:5], v[8:9]
	v_fma_f64 v[14:15], v[2:3], v[6:7], -v[14:15]
	v_mul_f64 v[2:3], v[2:3], v[8:9]
	v_fma_f64 v[2:3], v[4:5], v[6:7], v[2:3]
	v_add_f64 v[4:5], v[10:11], v[14:15]
	v_add_f64 v[2:3], v[12:13], v[2:3]
	v_mul_f64 v[6:7], s[16:17], v[2:3]
	v_mul_f64 v[2:3], s[14:15], v[2:3]
	v_fma_f64 v[6:7], s[14:15], v[4:5], -v[6:7]
	v_fma_f64 v[8:9], s[16:17], v[4:5], v[2:3]
	flat_load_dwordx4 v[2:5], v[22:23]
	s_waitcnt vmcnt(0) lgkmcnt(0)
	v_add_f64 v[2:3], v[2:3], v[6:7]
	v_add_f64 v[4:5], v[4:5], v[8:9]
	flat_store_dwordx4 v[22:23], v[2:5]
.LBB1884_10:                            ;   in Loop: Header=BB1884_4 Depth=1
	s_or_b64 exec, exec, s[22:23]
	v_mov_b32_e32 v4, 0
	v_mov_b32_e32 v8, 0
	;; [unrolled: 1-line block ×6, first 2 shown]
	s_waitcnt vmcnt(0) lgkmcnt(0)
	s_barrier
	s_and_saveexec_b64 s[22:23], s[18:19]
	s_cbranch_execz .LBB1884_12
; %bb.11:                               ;   in Loop: Header=BB1884_4 Depth=1
	v_mov_b32_e32 v3, s25
	v_add_co_u32_e32 v2, vcc, s24, v34
	v_addc_co_u32_e32 v3, vcc, v3, v35, vcc
	flat_load_dwordx4 v[6:9], v[2:3]
.LBB1884_12:                            ;   in Loop: Header=BB1884_4 Depth=1
	s_or_b64 exec, exec, s[22:23]
	v_mov_b32_e32 v2, 0
	v_mov_b32_e32 v3, 0
	s_waitcnt vmcnt(0) lgkmcnt(0)
	ds_write_b128 v25, v[6:9]
	s_and_saveexec_b64 s[18:19], s[20:21]
	s_cbranch_execz .LBB1884_14
; %bb.13:                               ;   in Loop: Header=BB1884_4 Depth=1
	v_mov_b32_e32 v3, s29
	v_add_co_u32_e32 v2, vcc, s28, v28
	v_addc_co_u32_e32 v3, vcc, v3, v29, vcc
	flat_load_dwordx4 v[2:5], v[2:3]
.LBB1884_14:                            ;   in Loop: Header=BB1884_4 Depth=1
	s_or_b64 exec, exec, s[18:19]
	s_waitcnt vmcnt(0) lgkmcnt(0)
	ds_write_b128 v27, v[2:5]
	s_waitcnt lgkmcnt(0)
	s_barrier
	s_and_saveexec_b64 s[18:19], s[4:5]
	s_cbranch_execz .LBB1884_3
; %bb.15:                               ;   in Loop: Header=BB1884_4 Depth=1
	ds_read_b128 v[2:5], v26
	ds_read_b128 v[6:9], v24
	ds_read_b128 v[10:13], v24 offset:16
	ds_read_b128 v[14:17], v26 offset:512
	;; [unrolled: 1-line block ×5, first 2 shown]
	s_waitcnt lgkmcnt(5)
	v_mul_f64 v[44:45], v[2:3], v[8:9]
	v_mul_f64 v[8:9], v[4:5], v[8:9]
	s_waitcnt lgkmcnt(3)
	v_mul_f64 v[46:47], v[16:17], v[12:13]
	v_mul_f64 v[12:13], v[14:15], v[12:13]
	;; [unrolled: 3-line block ×3, first 2 shown]
	v_fma_f64 v[44:45], v[4:5], v[6:7], v[44:45]
	v_fma_f64 v[48:49], v[2:3], v[6:7], -v[8:9]
	v_fma_f64 v[46:47], v[14:15], v[10:11], -v[46:47]
	v_fma_f64 v[52:53], v[16:17], v[10:11], v[12:13]
	ds_read_b128 v[2:5], v26 offset:1536
	ds_read_b128 v[6:9], v24 offset:64
	v_fma_f64 v[50:51], v[18:19], v[36:37], -v[50:51]
	v_fma_f64 v[56:57], v[20:21], v[36:37], v[38:39]
	ds_read_b128 v[10:13], v26 offset:2048
	ds_read_b128 v[14:17], v26 offset:2560
	v_add_f64 v[44:45], v[44:45], 0
	v_add_f64 v[48:49], v[48:49], 0
	s_waitcnt lgkmcnt(3)
	v_mul_f64 v[54:55], v[4:5], v[42:43]
	v_mul_f64 v[42:43], v[2:3], v[42:43]
	ds_read_b128 v[18:21], v24 offset:80
	ds_read_b128 v[36:39], v24 offset:96
	v_add_f64 v[44:45], v[44:45], v[52:53]
	v_add_f64 v[46:47], v[48:49], v[46:47]
	s_waitcnt lgkmcnt(3)
	v_mul_f64 v[48:49], v[12:13], v[8:9]
	v_mul_f64 v[8:9], v[10:11], v[8:9]
	v_fma_f64 v[52:53], v[2:3], v[40:41], -v[54:55]
	v_fma_f64 v[54:55], v[4:5], v[40:41], v[42:43]
	ds_read_b128 v[2:5], v26 offset:3072
	ds_read_b128 v[40:43], v26 offset:3584
	v_add_f64 v[44:45], v[44:45], v[56:57]
	v_add_f64 v[46:47], v[46:47], v[50:51]
	s_waitcnt lgkmcnt(3)
	v_mul_f64 v[50:51], v[16:17], v[20:21]
	v_mul_f64 v[20:21], v[14:15], v[20:21]
	v_fma_f64 v[48:49], v[10:11], v[6:7], -v[48:49]
	v_fma_f64 v[56:57], v[12:13], v[6:7], v[8:9]
	;; [unrolled: 9-line block ×15, first 2 shown]
	s_waitcnt lgkmcnt(1)
	v_mul_f64 v[54:55], v[42:43], v[8:9]
	v_mul_f64 v[56:57], v[40:41], v[8:9]
	v_add_f64 v[20:21], v[44:45], v[16:17]
	v_add_f64 v[48:49], v[46:47], v[48:49]
	v_fma_f64 v[52:53], v[2:3], v[36:37], -v[52:53]
	v_fma_f64 v[36:37], v[4:5], v[36:37], v[38:39]
	ds_read_b128 v[16:19], v26 offset:10240
	ds_read_b128 v[44:47], v26 offset:10752
	v_add_f64 v[20:21], v[20:21], v[10:11]
	v_add_f64 v[38:39], v[48:49], v[50:51]
	s_waitcnt lgkmcnt(1)
	v_mul_f64 v[48:49], v[18:19], v[14:15]
	v_mul_f64 v[14:15], v[16:17], v[14:15]
	v_fma_f64 v[50:51], v[40:41], v[6:7], -v[54:55]
	v_fma_f64 v[6:7], v[42:43], v[6:7], v[56:57]
	ds_read_b128 v[2:5], v24 offset:336
	ds_read_b128 v[8:11], v24 offset:352
	v_add_f64 v[20:21], v[20:21], v[36:37]
	v_add_f64 v[52:53], v[38:39], v[52:53]
	s_waitcnt lgkmcnt(1)
	v_mul_f64 v[54:55], v[46:47], v[4:5]
	v_mul_f64 v[4:5], v[44:45], v[4:5]
	v_fma_f64 v[56:57], v[16:17], v[12:13], -v[48:49]
	v_fma_f64 v[12:13], v[18:19], v[12:13], v[14:15]
	ds_read_b128 v[36:39], v26 offset:11264
	ds_read_b128 v[40:43], v26 offset:11776
	v_add_f64 v[6:7], v[20:21], v[6:7]
	v_add_f64 v[18:19], v[52:53], v[50:51]
	s_waitcnt lgkmcnt(1)
	v_mul_f64 v[20:21], v[38:39], v[10:11]
	v_mul_f64 v[10:11], v[36:37], v[10:11]
	v_fma_f64 v[52:53], v[44:45], v[2:3], -v[54:55]
	v_fma_f64 v[54:55], v[46:47], v[2:3], v[4:5]
	ds_read_b128 v[14:17], v24 offset:368
	ds_read_b128 v[48:51], v24 offset:384
	;; [unrolled: 1-line block ×4, first 2 shown]
	v_add_f64 v[6:7], v[6:7], v[12:13]
	v_add_f64 v[12:13], v[18:19], v[56:57]
	s_waitcnt lgkmcnt(3)
	v_mul_f64 v[18:19], v[42:43], v[16:17]
	v_mul_f64 v[16:17], v[40:41], v[16:17]
	v_fma_f64 v[20:21], v[36:37], v[8:9], -v[20:21]
	v_fma_f64 v[36:37], v[38:39], v[8:9], v[10:11]
	v_add_f64 v[38:39], v[6:7], v[54:55]
	v_add_f64 v[52:53], v[12:13], v[52:53]
	s_waitcnt lgkmcnt(1)
	v_mul_f64 v[54:55], v[46:47], v[50:51]
	v_mul_f64 v[50:51], v[44:45], v[50:51]
	v_fma_f64 v[40:41], v[40:41], v[14:15], -v[18:19]
	v_fma_f64 v[42:43], v[42:43], v[14:15], v[16:17]
	ds_read_b128 v[6:9], v24 offset:400
	ds_read_b128 v[10:13], v24 offset:416
	v_add_f64 v[36:37], v[38:39], v[36:37]
	v_add_f64 v[38:39], v[52:53], v[20:21]
	s_waitcnt lgkmcnt(1)
	v_mul_f64 v[52:53], v[4:5], v[8:9]
	v_mul_f64 v[8:9], v[2:3], v[8:9]
	v_fma_f64 v[44:45], v[44:45], v[48:49], -v[54:55]
	v_fma_f64 v[46:47], v[46:47], v[48:49], v[50:51]
	ds_read_b128 v[14:17], v26 offset:13312
	ds_read_b128 v[18:21], v26 offset:13824
	v_add_f64 v[48:49], v[36:37], v[42:43]
	v_add_f64 v[50:51], v[38:39], v[40:41]
	flat_load_dwordx4 v[40:43], v[22:23]
	s_waitcnt lgkmcnt(0)
	v_mul_f64 v[54:55], v[16:17], v[12:13]
	v_mul_f64 v[12:13], v[14:15], v[12:13]
	v_fma_f64 v[52:53], v[2:3], v[6:7], -v[52:53]
	v_fma_f64 v[56:57], v[4:5], v[6:7], v[8:9]
	ds_read_b128 v[36:39], v24 offset:432
	v_add_f64 v[46:47], v[48:49], v[46:47]
	v_add_f64 v[44:45], v[50:51], v[44:45]
	ds_read_b128 v[2:5], v24 offset:448
	ds_read_b128 v[6:9], v26 offset:14336
	v_fma_f64 v[50:51], v[14:15], v[10:11], -v[54:55]
	s_waitcnt lgkmcnt(0)
	v_mul_f64 v[48:49], v[20:21], v[38:39]
	v_mul_f64 v[38:39], v[18:19], v[38:39]
	v_fma_f64 v[54:55], v[16:17], v[10:11], v[12:13]
	ds_read_b128 v[10:13], v26 offset:14848
	ds_read_b128 v[14:17], v24 offset:464
	v_add_f64 v[46:47], v[46:47], v[56:57]
	v_add_f64 v[44:45], v[44:45], v[52:53]
	v_mul_f64 v[52:53], v[8:9], v[4:5]
	v_mul_f64 v[4:5], v[6:7], v[4:5]
	v_fma_f64 v[48:49], v[18:19], v[36:37], -v[48:49]
	v_fma_f64 v[56:57], v[20:21], v[36:37], v[38:39]
	ds_read_b128 v[18:21], v26 offset:15360
	ds_read_b128 v[36:39], v24 offset:480
	v_add_f64 v[46:47], v[46:47], v[54:55]
	v_add_f64 v[44:45], v[44:45], v[50:51]
	s_waitcnt lgkmcnt(0)
	v_mul_f64 v[50:51], v[12:13], v[16:17]
	v_mul_f64 v[16:17], v[10:11], v[16:17]
	v_fma_f64 v[52:53], v[6:7], v[2:3], -v[52:53]
	v_fma_f64 v[54:55], v[8:9], v[2:3], v[4:5]
	ds_read_b128 v[2:5], v26 offset:15872
	ds_read_b128 v[6:9], v24 offset:496
	v_add_f64 v[46:47], v[46:47], v[56:57]
	v_add_f64 v[44:45], v[44:45], v[48:49]
	v_mul_f64 v[48:49], v[20:21], v[38:39]
	v_mul_f64 v[38:39], v[18:19], v[38:39]
	v_fma_f64 v[10:11], v[10:11], v[14:15], -v[50:51]
	v_fma_f64 v[12:13], v[12:13], v[14:15], v[16:17]
	v_add_f64 v[14:15], v[46:47], v[54:55]
	v_add_f64 v[16:17], v[44:45], v[52:53]
	s_waitcnt lgkmcnt(0)
	v_mul_f64 v[44:45], v[4:5], v[8:9]
	v_mul_f64 v[8:9], v[2:3], v[8:9]
	v_fma_f64 v[18:19], v[18:19], v[36:37], -v[48:49]
	v_fma_f64 v[20:21], v[20:21], v[36:37], v[38:39]
	v_add_f64 v[12:13], v[14:15], v[12:13]
	v_add_f64 v[10:11], v[16:17], v[10:11]
	v_fma_f64 v[2:3], v[2:3], v[6:7], -v[44:45]
	v_fma_f64 v[4:5], v[4:5], v[6:7], v[8:9]
	v_add_f64 v[6:7], v[12:13], v[20:21]
	v_add_f64 v[8:9], v[10:11], v[18:19]
	;; [unrolled: 1-line block ×4, first 2 shown]
	v_mul_f64 v[6:7], s[16:17], v[4:5]
	v_mul_f64 v[8:9], s[16:17], v[2:3]
	v_fma_f64 v[2:3], s[14:15], v[2:3], -v[6:7]
	v_fma_f64 v[4:5], s[14:15], v[4:5], v[8:9]
	s_waitcnt vmcnt(0)
	v_add_f64 v[2:3], v[40:41], v[2:3]
	v_add_f64 v[4:5], v[42:43], v[4:5]
	flat_store_dwordx4 v[22:23], v[2:5]
	s_branch .LBB1884_3
.LBB1884_16:
	s_endpgm
	.section	.rodata,"a",@progbits
	.p2align	6, 0x0
	.amdhsa_kernel _ZL26rocblas_syr2k_her2k_kernelIlLb1ELb0ELb0ELi32E19rocblas_complex_numIdEPKPKS1_PKPS1_EvbiT_T4_T5_S9_lSB_S9_lT6_S9_li
		.amdhsa_group_segment_fixed_size 32768
		.amdhsa_private_segment_fixed_size 0
		.amdhsa_kernarg_size 108
		.amdhsa_user_sgpr_count 6
		.amdhsa_user_sgpr_private_segment_buffer 1
		.amdhsa_user_sgpr_dispatch_ptr 0
		.amdhsa_user_sgpr_queue_ptr 0
		.amdhsa_user_sgpr_kernarg_segment_ptr 1
		.amdhsa_user_sgpr_dispatch_id 0
		.amdhsa_user_sgpr_flat_scratch_init 0
		.amdhsa_user_sgpr_private_segment_size 0
		.amdhsa_uses_dynamic_stack 0
		.amdhsa_system_sgpr_private_segment_wavefront_offset 0
		.amdhsa_system_sgpr_workgroup_id_x 1
		.amdhsa_system_sgpr_workgroup_id_y 1
		.amdhsa_system_sgpr_workgroup_id_z 1
		.amdhsa_system_sgpr_workgroup_info 0
		.amdhsa_system_vgpr_workitem_id 1
		.amdhsa_next_free_vgpr 58
		.amdhsa_next_free_sgpr 61
		.amdhsa_reserve_vcc 1
		.amdhsa_reserve_flat_scratch 0
		.amdhsa_float_round_mode_32 0
		.amdhsa_float_round_mode_16_64 0
		.amdhsa_float_denorm_mode_32 3
		.amdhsa_float_denorm_mode_16_64 3
		.amdhsa_dx10_clamp 1
		.amdhsa_ieee_mode 1
		.amdhsa_fp16_overflow 0
		.amdhsa_exception_fp_ieee_invalid_op 0
		.amdhsa_exception_fp_denorm_src 0
		.amdhsa_exception_fp_ieee_div_zero 0
		.amdhsa_exception_fp_ieee_overflow 0
		.amdhsa_exception_fp_ieee_underflow 0
		.amdhsa_exception_fp_ieee_inexact 0
		.amdhsa_exception_int_div_zero 0
	.end_amdhsa_kernel
	.section	.text._ZL26rocblas_syr2k_her2k_kernelIlLb1ELb0ELb0ELi32E19rocblas_complex_numIdEPKPKS1_PKPS1_EvbiT_T4_T5_S9_lSB_S9_lT6_S9_li,"axG",@progbits,_ZL26rocblas_syr2k_her2k_kernelIlLb1ELb0ELb0ELi32E19rocblas_complex_numIdEPKPKS1_PKPS1_EvbiT_T4_T5_S9_lSB_S9_lT6_S9_li,comdat
.Lfunc_end1884:
	.size	_ZL26rocblas_syr2k_her2k_kernelIlLb1ELb0ELb0ELi32E19rocblas_complex_numIdEPKPKS1_PKPS1_EvbiT_T4_T5_S9_lSB_S9_lT6_S9_li, .Lfunc_end1884-_ZL26rocblas_syr2k_her2k_kernelIlLb1ELb0ELb0ELi32E19rocblas_complex_numIdEPKPKS1_PKPS1_EvbiT_T4_T5_S9_lSB_S9_lT6_S9_li
                                        ; -- End function
	.set _ZL26rocblas_syr2k_her2k_kernelIlLb1ELb0ELb0ELi32E19rocblas_complex_numIdEPKPKS1_PKPS1_EvbiT_T4_T5_S9_lSB_S9_lT6_S9_li.num_vgpr, 58
	.set _ZL26rocblas_syr2k_her2k_kernelIlLb1ELb0ELb0ELi32E19rocblas_complex_numIdEPKPKS1_PKPS1_EvbiT_T4_T5_S9_lSB_S9_lT6_S9_li.num_agpr, 0
	.set _ZL26rocblas_syr2k_her2k_kernelIlLb1ELb0ELb0ELi32E19rocblas_complex_numIdEPKPKS1_PKPS1_EvbiT_T4_T5_S9_lSB_S9_lT6_S9_li.numbered_sgpr, 44
	.set _ZL26rocblas_syr2k_her2k_kernelIlLb1ELb0ELb0ELi32E19rocblas_complex_numIdEPKPKS1_PKPS1_EvbiT_T4_T5_S9_lSB_S9_lT6_S9_li.num_named_barrier, 0
	.set _ZL26rocblas_syr2k_her2k_kernelIlLb1ELb0ELb0ELi32E19rocblas_complex_numIdEPKPKS1_PKPS1_EvbiT_T4_T5_S9_lSB_S9_lT6_S9_li.private_seg_size, 0
	.set _ZL26rocblas_syr2k_her2k_kernelIlLb1ELb0ELb0ELi32E19rocblas_complex_numIdEPKPKS1_PKPS1_EvbiT_T4_T5_S9_lSB_S9_lT6_S9_li.uses_vcc, 1
	.set _ZL26rocblas_syr2k_her2k_kernelIlLb1ELb0ELb0ELi32E19rocblas_complex_numIdEPKPKS1_PKPS1_EvbiT_T4_T5_S9_lSB_S9_lT6_S9_li.uses_flat_scratch, 0
	.set _ZL26rocblas_syr2k_her2k_kernelIlLb1ELb0ELb0ELi32E19rocblas_complex_numIdEPKPKS1_PKPS1_EvbiT_T4_T5_S9_lSB_S9_lT6_S9_li.has_dyn_sized_stack, 0
	.set _ZL26rocblas_syr2k_her2k_kernelIlLb1ELb0ELb0ELi32E19rocblas_complex_numIdEPKPKS1_PKPS1_EvbiT_T4_T5_S9_lSB_S9_lT6_S9_li.has_recursion, 0
	.set _ZL26rocblas_syr2k_her2k_kernelIlLb1ELb0ELb0ELi32E19rocblas_complex_numIdEPKPKS1_PKPS1_EvbiT_T4_T5_S9_lSB_S9_lT6_S9_li.has_indirect_call, 0
	.section	.AMDGPU.csdata,"",@progbits
; Kernel info:
; codeLenInByte = 5456
; TotalNumSgprs: 48
; NumVgprs: 58
; ScratchSize: 0
; MemoryBound: 1
; FloatMode: 240
; IeeeMode: 1
; LDSByteSize: 32768 bytes/workgroup (compile time only)
; SGPRBlocks: 8
; VGPRBlocks: 14
; NumSGPRsForWavesPerEU: 65
; NumVGPRsForWavesPerEU: 58
; Occupancy: 4
; WaveLimiterHint : 1
; COMPUTE_PGM_RSRC2:SCRATCH_EN: 0
; COMPUTE_PGM_RSRC2:USER_SGPR: 6
; COMPUTE_PGM_RSRC2:TRAP_HANDLER: 0
; COMPUTE_PGM_RSRC2:TGID_X_EN: 1
; COMPUTE_PGM_RSRC2:TGID_Y_EN: 1
; COMPUTE_PGM_RSRC2:TGID_Z_EN: 1
; COMPUTE_PGM_RSRC2:TIDIG_COMP_CNT: 1
	.section	.text._ZL26rocblas_syr2k_her2k_kernelIlLb1ELb0ELb1ELi32E19rocblas_complex_numIdEPKPKS1_PKPS1_EvbiT_T4_T5_S9_lSB_S9_lT6_S9_li,"axG",@progbits,_ZL26rocblas_syr2k_her2k_kernelIlLb1ELb0ELb1ELi32E19rocblas_complex_numIdEPKPKS1_PKPS1_EvbiT_T4_T5_S9_lSB_S9_lT6_S9_li,comdat
	.globl	_ZL26rocblas_syr2k_her2k_kernelIlLb1ELb0ELb1ELi32E19rocblas_complex_numIdEPKPKS1_PKPS1_EvbiT_T4_T5_S9_lSB_S9_lT6_S9_li ; -- Begin function _ZL26rocblas_syr2k_her2k_kernelIlLb1ELb0ELb1ELi32E19rocblas_complex_numIdEPKPKS1_PKPS1_EvbiT_T4_T5_S9_lSB_S9_lT6_S9_li
	.p2align	8
	.type	_ZL26rocblas_syr2k_her2k_kernelIlLb1ELb0ELb1ELi32E19rocblas_complex_numIdEPKPKS1_PKPS1_EvbiT_T4_T5_S9_lSB_S9_lT6_S9_li,@function
_ZL26rocblas_syr2k_her2k_kernelIlLb1ELb0ELb1ELi32E19rocblas_complex_numIdEPKPKS1_PKPS1_EvbiT_T4_T5_S9_lSB_S9_lT6_S9_li: ; @_ZL26rocblas_syr2k_her2k_kernelIlLb1ELb0ELb1ELi32E19rocblas_complex_numIdEPKPKS1_PKPS1_EvbiT_T4_T5_S9_lSB_S9_lT6_S9_li
; %bb.0:
	s_load_dwordx16 s[12:27], s[4:5], 0x8
	s_waitcnt lgkmcnt(0)
	v_cmp_eq_f64_e64 s[0:1], s[14:15], 0
	v_cmp_eq_f64_e64 s[2:3], s[16:17], 0
	s_and_b64 s[0:1], s[0:1], s[2:3]
	s_and_b64 vcc, exec, s[0:1]
	s_cbranch_vccnz .LBB1885_16
; %bb.1:
	s_load_dwordx2 s[10:11], s[4:5], 0x0
	s_lshl_b32 s2, s7, 5
	s_lshl_b32 s3, s6, 5
	s_waitcnt lgkmcnt(0)
	s_and_b32 s0, 1, s10
	s_cmp_eq_u32 s0, 1
	s_cselect_b64 s[0:1], -1, 0
	s_and_b64 s[6:7], s[0:1], exec
	s_cselect_b32 s6, s3, s2
	s_cselect_b32 s7, s2, s3
	s_cmp_gt_i32 s6, s7
	v_cmp_lt_i64_e64 s[6:7], s[12:13], 1
	s_cselect_b64 s[28:29], -1, 0
	s_or_b64 s[6:7], s[28:29], s[6:7]
	s_and_b64 vcc, exec, s[6:7]
	s_cbranch_vccnz .LBB1885_16
; %bb.2:
	s_mov_b32 s9, 0
	s_load_dwordx8 s[36:43], s[4:5], 0x48
	s_lshl_b64 s[4:5], s[8:9], 3
	s_add_u32 s18, s18, s4
	s_addc_u32 s19, s19, s5
	s_add_u32 s24, s24, s4
	s_addc_u32 s25, s25, s5
	s_waitcnt lgkmcnt(0)
	s_add_u32 s4, s38, s4
	s_addc_u32 s5, s39, s5
	s_load_dwordx2 s[28:29], s[4:5], 0x0
	s_load_dwordx2 s[8:9], s[18:19], 0x0
	s_load_dwordx2 s[6:7], s[24:25], 0x0
	s_lshl_b64 s[4:5], s[42:43], 4
	v_add_u32_e32 v2, s2, v1
	s_waitcnt lgkmcnt(0)
	s_add_u32 s18, s28, s4
	s_addc_u32 s10, s29, s5
	v_add_u32_e32 v4, s3, v0
	s_ashr_i32 s3, s11, 31
	s_mov_b32 s2, s11
	v_mov_b32_e32 v5, 0
	v_cndmask_b32_e64 v8, v4, v2, s[0:1]
	v_cndmask_b32_e64 v9, v2, v4, s[0:1]
	v_cmp_gt_i64_e64 s[0:1], s[2:3], v[4:5]
	v_mov_b32_e32 v3, v5
	v_ashrrev_i32_e32 v5, 31, v2
	v_mul_lo_u32 v5, s40, v5
	v_mul_lo_u32 v10, s41, v2
	v_mad_u64_u32 v[6:7], s[4:5], s40, v2, 0
	v_cmp_gt_i64_e64 s[2:3], s[2:3], v[2:3]
	v_max_i32_e32 v3, v4, v2
	v_cmp_gt_i32_e32 vcc, s11, v3
	v_cmp_le_i32_e64 s[4:5], v9, v8
	v_add3_u32 v7, v7, v5, v10
	v_mov_b32_e32 v3, s10
	v_mad_u64_u32 v[8:9], s[10:11], s20, v2, 0
	v_lshlrev_b64 v[6:7], 4, v[6:7]
	s_and_b64 s[4:5], s[4:5], vcc
	v_add_co_u32_e32 v12, vcc, s18, v6
	v_addc_co_u32_e32 v7, vcc, v3, v7, vcc
	v_mov_b32_e32 v3, v9
	v_ashrrev_i32_e32 v5, 31, v4
	v_mad_u64_u32 v[9:10], s[10:11], s21, v2, v[3:4]
	v_lshlrev_b64 v[5:6], 4, v[4:5]
	s_lshl_b64 s[10:11], s[22:23], 4
	v_add_co_u32_e32 v22, vcc, v12, v5
	v_addc_co_u32_e32 v23, vcc, v7, v6, vcc
	v_lshlrev_b64 v[5:6], 4, v[8:9]
	v_mov_b32_e32 v8, s11
	v_add_co_u32_e32 v3, vcc, s10, v5
	v_addc_co_u32_e32 v7, vcc, v6, v8, vcc
	v_mad_u64_u32 v[5:6], s[18:19], s20, v4, 0
	v_lshlrev_b32_e32 v9, 4, v0
	v_add_co_u32_e32 v10, vcc, v3, v9
	v_mov_b32_e32 v3, v6
	v_addc_co_u32_e32 v12, vcc, 0, v7, vcc
	v_mad_u64_u32 v[6:7], s[18:19], s21, v4, v[3:4]
	v_mov_b32_e32 v13, s9
	v_add_co_u32_e32 v28, vcc, s8, v10
	v_lshlrev_b64 v[5:6], 4, v[5:6]
	v_addc_co_u32_e32 v29, vcc, v13, v12, vcc
	v_add_co_u32_e32 v3, vcc, s10, v5
	v_addc_co_u32_e32 v7, vcc, v6, v8, vcc
	v_mad_u64_u32 v[5:6], s[10:11], s26, v2, 0
	v_lshlrev_b32_e32 v11, 4, v1
	v_add_co_u32_e32 v8, vcc, v3, v11
	v_mov_b32_e32 v3, v6
	v_mad_u64_u32 v[2:3], s[10:11], s27, v2, v[3:4]
	v_addc_co_u32_e32 v7, vcc, 0, v7, vcc
	v_mov_b32_e32 v6, v2
	v_add_co_u32_e32 v30, vcc, s8, v8
	v_lshlrev_b64 v[2:3], 4, v[5:6]
	v_addc_co_u32_e32 v31, vcc, v13, v7, vcc
	s_lshl_b64 s[8:9], s[36:37], 4
	v_mov_b32_e32 v5, s9
	v_add_co_u32_e32 v6, vcc, s8, v2
	v_addc_co_u32_e32 v7, vcc, v3, v5, vcc
	v_mad_u64_u32 v[2:3], s[10:11], s26, v4, 0
	v_add_co_u32_e32 v6, vcc, v6, v9
	v_mad_u64_u32 v[3:4], s[10:11], s27, v4, v[3:4]
	v_addc_co_u32_e32 v7, vcc, 0, v7, vcc
	v_mov_b32_e32 v8, s7
	v_add_co_u32_e32 v32, vcc, s6, v6
	v_lshlrev_b64 v[2:3], 4, v[2:3]
	v_addc_co_u32_e32 v33, vcc, v8, v7, vcc
	v_add_co_u32_e32 v2, vcc, s8, v2
	v_addc_co_u32_e32 v3, vcc, v3, v5, vcc
	v_add_co_u32_e32 v2, vcc, v2, v11
	v_addc_co_u32_e32 v3, vcc, 0, v3, vcc
	v_lshlrev_b32_e32 v24, 9, v0
	v_or_b32_e32 v26, 0x4000, v11
	v_add_co_u32_e32 v34, vcc, s6, v2
	v_add_u32_e32 v25, v24, v11
	v_add_u32_e32 v27, v26, v24
	v_addc_co_u32_e32 v35, vcc, v8, v3, vcc
	s_mov_b64 s[6:7], 0
	s_mov_b64 s[8:9], 0
	s_branch .LBB1885_4
.LBB1885_3:                             ;   in Loop: Header=BB1885_4 Depth=1
	s_or_b64 exec, exec, s[10:11]
	s_add_u32 s8, s8, 32
	v_mov_b32_e32 v2, s12
	s_addc_u32 s9, s9, 0
	v_mov_b32_e32 v3, s13
	v_cmp_lt_i64_e32 vcc, s[8:9], v[2:3]
	s_add_u32 s6, s6, 0x200
	s_addc_u32 s7, s7, 0
	s_waitcnt vmcnt(0) lgkmcnt(0)
	s_barrier
	s_cbranch_vccz .LBB1885_16
.LBB1885_4:                             ; =>This Inner Loop Header: Depth=1
	v_mov_b32_e32 v3, s9
	v_add_co_u32_e32 v2, vcc, s8, v1
	v_addc_co_u32_e32 v3, vcc, 0, v3, vcc
	v_cmp_gt_i64_e32 vcc, s[12:13], v[2:3]
	v_mov_b32_e32 v2, 0
	v_mov_b32_e32 v4, 0
	;; [unrolled: 1-line block ×6, first 2 shown]
	s_and_b64 s[10:11], s[0:1], vcc
	s_and_saveexec_b64 s[18:19], s[10:11]
	s_cbranch_execz .LBB1885_6
; %bb.5:                                ;   in Loop: Header=BB1885_4 Depth=1
	v_mov_b32_e32 v5, s7
	v_add_co_u32_e32 v4, vcc, s6, v30
	v_addc_co_u32_e32 v5, vcc, v31, v5, vcc
	flat_load_dwordx4 v[4:7], v[4:5]
.LBB1885_6:                             ;   in Loop: Header=BB1885_4 Depth=1
	s_or_b64 exec, exec, s[18:19]
	s_waitcnt vmcnt(0) lgkmcnt(0)
	ds_write_b128 v25, v[4:7]
	v_mov_b32_e32 v5, s9
	v_add_co_u32_e32 v4, vcc, s8, v0
	v_addc_co_u32_e32 v5, vcc, 0, v5, vcc
	v_cmp_gt_i64_e32 vcc, s[12:13], v[4:5]
	v_mov_b32_e32 v4, 0
	v_mov_b32_e32 v5, 0
	s_and_b64 s[18:19], s[2:3], vcc
	s_and_saveexec_b64 s[20:21], s[18:19]
	s_cbranch_execz .LBB1885_8
; %bb.7:                                ;   in Loop: Header=BB1885_4 Depth=1
	v_mov_b32_e32 v3, s7
	v_add_co_u32_e32 v2, vcc, s6, v32
	v_addc_co_u32_e32 v3, vcc, v33, v3, vcc
	flat_load_dwordx4 v[2:5], v[2:3]
.LBB1885_8:                             ;   in Loop: Header=BB1885_4 Depth=1
	s_or_b64 exec, exec, s[20:21]
	s_waitcnt vmcnt(0) lgkmcnt(0)
	ds_write_b128 v27, v[2:5]
	s_waitcnt lgkmcnt(0)
	s_barrier
	s_and_saveexec_b64 s[20:21], s[4:5]
	s_cbranch_execz .LBB1885_10
; %bb.9:                                ;   in Loop: Header=BB1885_4 Depth=1
	ds_read_b128 v[6:9], v26
	ds_read_b128 v[10:13], v24
	ds_read_b128 v[14:17], v24 offset:16
	ds_read_b128 v[18:21], v24 offset:32
	;; [unrolled: 1-line block ×3, first 2 shown]
	s_waitcnt lgkmcnt(3)
	v_mul_f64 v[36:37], v[8:9], v[12:13]
	v_fma_f64 v[36:37], v[6:7], v[10:11], -v[36:37]
	v_mul_f64 v[6:7], v[6:7], v[12:13]
	v_fma_f64 v[6:7], v[8:9], v[10:11], v[6:7]
	v_add_f64 v[10:11], v[36:37], 0
	v_add_f64 v[12:13], v[6:7], 0
	ds_read_b128 v[6:9], v26 offset:512
	s_waitcnt lgkmcnt(0)
	v_mul_f64 v[36:37], v[8:9], v[16:17]
	v_fma_f64 v[36:37], v[6:7], v[14:15], -v[36:37]
	v_mul_f64 v[6:7], v[6:7], v[16:17]
	v_add_f64 v[10:11], v[10:11], v[36:37]
	v_fma_f64 v[6:7], v[8:9], v[14:15], v[6:7]
	v_add_f64 v[12:13], v[12:13], v[6:7]
	ds_read_b128 v[6:9], v26 offset:1024
	s_waitcnt lgkmcnt(0)
	v_mul_f64 v[14:15], v[8:9], v[20:21]
	v_fma_f64 v[14:15], v[6:7], v[18:19], -v[14:15]
	v_mul_f64 v[6:7], v[6:7], v[20:21]
	v_add_f64 v[10:11], v[10:11], v[14:15]
	v_fma_f64 v[6:7], v[8:9], v[18:19], v[6:7]
	v_add_f64 v[12:13], v[12:13], v[6:7]
	ds_read_b128 v[6:9], v26 offset:1536
	s_waitcnt lgkmcnt(0)
	v_mul_f64 v[14:15], v[8:9], v[4:5]
	v_mul_f64 v[4:5], v[6:7], v[4:5]
	v_fma_f64 v[14:15], v[6:7], v[2:3], -v[14:15]
	v_fma_f64 v[2:3], v[8:9], v[2:3], v[4:5]
	v_add_f64 v[10:11], v[10:11], v[14:15]
	v_add_f64 v[12:13], v[12:13], v[2:3]
	ds_read_b128 v[2:5], v26 offset:2048
	ds_read_b128 v[6:9], v24 offset:64
	s_waitcnt lgkmcnt(0)
	v_mul_f64 v[14:15], v[4:5], v[8:9]
	v_fma_f64 v[14:15], v[2:3], v[6:7], -v[14:15]
	v_mul_f64 v[2:3], v[2:3], v[8:9]
	v_add_f64 v[10:11], v[10:11], v[14:15]
	v_fma_f64 v[2:3], v[4:5], v[6:7], v[2:3]
	v_add_f64 v[12:13], v[12:13], v[2:3]
	ds_read_b128 v[2:5], v26 offset:2560
	ds_read_b128 v[6:9], v24 offset:80
	s_waitcnt lgkmcnt(0)
	v_mul_f64 v[14:15], v[4:5], v[8:9]
	v_fma_f64 v[14:15], v[2:3], v[6:7], -v[14:15]
	v_mul_f64 v[2:3], v[2:3], v[8:9]
	v_add_f64 v[10:11], v[10:11], v[14:15]
	v_fma_f64 v[2:3], v[4:5], v[6:7], v[2:3]
	;; [unrolled: 9-line block ×27, first 2 shown]
	v_add_f64 v[12:13], v[12:13], v[2:3]
	ds_read_b128 v[2:5], v26 offset:15872
	ds_read_b128 v[6:9], v24 offset:496
	s_waitcnt lgkmcnt(0)
	v_mul_f64 v[14:15], v[4:5], v[8:9]
	v_fma_f64 v[14:15], v[2:3], v[6:7], -v[14:15]
	v_mul_f64 v[2:3], v[2:3], v[8:9]
	v_fma_f64 v[2:3], v[4:5], v[6:7], v[2:3]
	v_add_f64 v[4:5], v[10:11], v[14:15]
	v_add_f64 v[2:3], v[12:13], v[2:3]
	v_mul_f64 v[6:7], s[16:17], v[2:3]
	v_mul_f64 v[2:3], s[14:15], v[2:3]
	v_fma_f64 v[6:7], s[14:15], v[4:5], -v[6:7]
	v_fma_f64 v[8:9], s[16:17], v[4:5], v[2:3]
	flat_load_dwordx4 v[2:5], v[22:23]
	s_waitcnt vmcnt(0) lgkmcnt(0)
	v_add_f64 v[2:3], v[2:3], v[6:7]
	v_add_f64 v[4:5], v[4:5], v[8:9]
	flat_store_dwordx4 v[22:23], v[2:5]
.LBB1885_10:                            ;   in Loop: Header=BB1885_4 Depth=1
	s_or_b64 exec, exec, s[20:21]
	v_mov_b32_e32 v4, 0
	v_mov_b32_e32 v8, 0
	;; [unrolled: 1-line block ×6, first 2 shown]
	s_waitcnt vmcnt(0) lgkmcnt(0)
	s_barrier
	s_and_saveexec_b64 s[20:21], s[10:11]
	s_cbranch_execz .LBB1885_12
; %bb.11:                               ;   in Loop: Header=BB1885_4 Depth=1
	v_mov_b32_e32 v3, s7
	v_add_co_u32_e32 v2, vcc, s6, v34
	v_addc_co_u32_e32 v3, vcc, v35, v3, vcc
	flat_load_dwordx4 v[6:9], v[2:3]
.LBB1885_12:                            ;   in Loop: Header=BB1885_4 Depth=1
	s_or_b64 exec, exec, s[20:21]
	v_mov_b32_e32 v2, 0
	v_mov_b32_e32 v3, 0
	s_waitcnt vmcnt(0) lgkmcnt(0)
	ds_write_b128 v25, v[6:9]
	s_and_saveexec_b64 s[10:11], s[18:19]
	s_cbranch_execz .LBB1885_14
; %bb.13:                               ;   in Loop: Header=BB1885_4 Depth=1
	v_mov_b32_e32 v3, s7
	v_add_co_u32_e32 v2, vcc, s6, v28
	v_addc_co_u32_e32 v3, vcc, v29, v3, vcc
	flat_load_dwordx4 v[2:5], v[2:3]
.LBB1885_14:                            ;   in Loop: Header=BB1885_4 Depth=1
	s_or_b64 exec, exec, s[10:11]
	s_waitcnt vmcnt(0) lgkmcnt(0)
	ds_write_b128 v27, v[2:5]
	s_waitcnt lgkmcnt(0)
	s_barrier
	s_and_saveexec_b64 s[10:11], s[4:5]
	s_cbranch_execz .LBB1885_3
; %bb.15:                               ;   in Loop: Header=BB1885_4 Depth=1
	ds_read_b128 v[2:5], v26
	ds_read_b128 v[6:9], v24
	ds_read_b128 v[10:13], v24 offset:16
	ds_read_b128 v[14:17], v26 offset:512
	;; [unrolled: 1-line block ×5, first 2 shown]
	s_waitcnt lgkmcnt(5)
	v_mul_f64 v[44:45], v[2:3], v[8:9]
	v_mul_f64 v[8:9], v[4:5], v[8:9]
	s_waitcnt lgkmcnt(3)
	v_mul_f64 v[46:47], v[16:17], v[12:13]
	v_mul_f64 v[12:13], v[14:15], v[12:13]
	s_waitcnt lgkmcnt(1)
	v_mul_f64 v[50:51], v[20:21], v[38:39]
	v_mul_f64 v[38:39], v[18:19], v[38:39]
	v_fma_f64 v[44:45], v[4:5], v[6:7], v[44:45]
	v_fma_f64 v[48:49], v[2:3], v[6:7], -v[8:9]
	v_fma_f64 v[46:47], v[14:15], v[10:11], -v[46:47]
	v_fma_f64 v[52:53], v[16:17], v[10:11], v[12:13]
	ds_read_b128 v[2:5], v26 offset:1536
	ds_read_b128 v[6:9], v24 offset:64
	v_fma_f64 v[50:51], v[18:19], v[36:37], -v[50:51]
	v_fma_f64 v[56:57], v[20:21], v[36:37], v[38:39]
	ds_read_b128 v[10:13], v26 offset:2048
	ds_read_b128 v[14:17], v26 offset:2560
	v_add_f64 v[44:45], v[44:45], 0
	v_add_f64 v[48:49], v[48:49], 0
	s_waitcnt lgkmcnt(3)
	v_mul_f64 v[54:55], v[4:5], v[42:43]
	v_mul_f64 v[42:43], v[2:3], v[42:43]
	ds_read_b128 v[18:21], v24 offset:80
	ds_read_b128 v[36:39], v24 offset:96
	v_add_f64 v[44:45], v[44:45], v[52:53]
	v_add_f64 v[46:47], v[48:49], v[46:47]
	s_waitcnt lgkmcnt(3)
	v_mul_f64 v[48:49], v[12:13], v[8:9]
	v_mul_f64 v[8:9], v[10:11], v[8:9]
	v_fma_f64 v[52:53], v[2:3], v[40:41], -v[54:55]
	v_fma_f64 v[54:55], v[4:5], v[40:41], v[42:43]
	ds_read_b128 v[2:5], v26 offset:3072
	ds_read_b128 v[40:43], v26 offset:3584
	v_add_f64 v[44:45], v[44:45], v[56:57]
	v_add_f64 v[46:47], v[46:47], v[50:51]
	s_waitcnt lgkmcnt(3)
	v_mul_f64 v[50:51], v[16:17], v[20:21]
	v_mul_f64 v[20:21], v[14:15], v[20:21]
	v_fma_f64 v[48:49], v[10:11], v[6:7], -v[48:49]
	v_fma_f64 v[56:57], v[12:13], v[6:7], v[8:9]
	;; [unrolled: 9-line block ×15, first 2 shown]
	s_waitcnt lgkmcnt(1)
	v_mul_f64 v[54:55], v[42:43], v[8:9]
	v_mul_f64 v[56:57], v[40:41], v[8:9]
	v_add_f64 v[20:21], v[44:45], v[16:17]
	v_add_f64 v[48:49], v[46:47], v[48:49]
	v_fma_f64 v[52:53], v[2:3], v[36:37], -v[52:53]
	v_fma_f64 v[36:37], v[4:5], v[36:37], v[38:39]
	ds_read_b128 v[16:19], v26 offset:10240
	ds_read_b128 v[44:47], v26 offset:10752
	v_add_f64 v[20:21], v[20:21], v[10:11]
	v_add_f64 v[38:39], v[48:49], v[50:51]
	s_waitcnt lgkmcnt(1)
	v_mul_f64 v[48:49], v[18:19], v[14:15]
	v_mul_f64 v[14:15], v[16:17], v[14:15]
	v_fma_f64 v[50:51], v[40:41], v[6:7], -v[54:55]
	v_fma_f64 v[6:7], v[42:43], v[6:7], v[56:57]
	ds_read_b128 v[2:5], v24 offset:336
	ds_read_b128 v[8:11], v24 offset:352
	v_add_f64 v[20:21], v[20:21], v[36:37]
	v_add_f64 v[52:53], v[38:39], v[52:53]
	s_waitcnt lgkmcnt(1)
	v_mul_f64 v[54:55], v[46:47], v[4:5]
	v_mul_f64 v[4:5], v[44:45], v[4:5]
	;; [unrolled: 9-line block ×3, first 2 shown]
	v_fma_f64 v[52:53], v[44:45], v[2:3], -v[54:55]
	v_fma_f64 v[54:55], v[46:47], v[2:3], v[4:5]
	ds_read_b128 v[14:17], v24 offset:368
	ds_read_b128 v[48:51], v24 offset:384
	;; [unrolled: 1-line block ×4, first 2 shown]
	v_add_f64 v[6:7], v[6:7], v[12:13]
	v_add_f64 v[12:13], v[18:19], v[56:57]
	s_waitcnt lgkmcnt(3)
	v_mul_f64 v[18:19], v[42:43], v[16:17]
	v_mul_f64 v[16:17], v[40:41], v[16:17]
	v_fma_f64 v[20:21], v[36:37], v[8:9], -v[20:21]
	v_fma_f64 v[36:37], v[38:39], v[8:9], v[10:11]
	v_add_f64 v[38:39], v[6:7], v[54:55]
	v_add_f64 v[52:53], v[12:13], v[52:53]
	s_waitcnt lgkmcnt(1)
	v_mul_f64 v[54:55], v[46:47], v[50:51]
	v_mul_f64 v[50:51], v[44:45], v[50:51]
	v_fma_f64 v[40:41], v[40:41], v[14:15], -v[18:19]
	v_fma_f64 v[42:43], v[42:43], v[14:15], v[16:17]
	ds_read_b128 v[6:9], v24 offset:400
	ds_read_b128 v[10:13], v24 offset:416
	v_add_f64 v[36:37], v[38:39], v[36:37]
	v_add_f64 v[38:39], v[52:53], v[20:21]
	s_waitcnt lgkmcnt(1)
	v_mul_f64 v[52:53], v[4:5], v[8:9]
	v_mul_f64 v[8:9], v[2:3], v[8:9]
	v_fma_f64 v[44:45], v[44:45], v[48:49], -v[54:55]
	v_fma_f64 v[46:47], v[46:47], v[48:49], v[50:51]
	ds_read_b128 v[14:17], v26 offset:13312
	ds_read_b128 v[18:21], v26 offset:13824
	v_add_f64 v[48:49], v[36:37], v[42:43]
	v_add_f64 v[50:51], v[38:39], v[40:41]
	flat_load_dwordx4 v[40:43], v[22:23]
	s_waitcnt lgkmcnt(0)
	v_mul_f64 v[54:55], v[16:17], v[12:13]
	v_mul_f64 v[12:13], v[14:15], v[12:13]
	v_fma_f64 v[52:53], v[2:3], v[6:7], -v[52:53]
	v_fma_f64 v[56:57], v[4:5], v[6:7], v[8:9]
	ds_read_b128 v[36:39], v24 offset:432
	v_add_f64 v[46:47], v[48:49], v[46:47]
	v_add_f64 v[44:45], v[50:51], v[44:45]
	ds_read_b128 v[2:5], v24 offset:448
	ds_read_b128 v[6:9], v26 offset:14336
	v_fma_f64 v[50:51], v[14:15], v[10:11], -v[54:55]
	s_waitcnt lgkmcnt(0)
	v_mul_f64 v[48:49], v[20:21], v[38:39]
	v_mul_f64 v[38:39], v[18:19], v[38:39]
	v_fma_f64 v[54:55], v[16:17], v[10:11], v[12:13]
	ds_read_b128 v[10:13], v26 offset:14848
	ds_read_b128 v[14:17], v24 offset:464
	v_add_f64 v[46:47], v[46:47], v[56:57]
	v_add_f64 v[44:45], v[44:45], v[52:53]
	v_mul_f64 v[52:53], v[8:9], v[4:5]
	v_mul_f64 v[4:5], v[6:7], v[4:5]
	v_fma_f64 v[48:49], v[18:19], v[36:37], -v[48:49]
	v_fma_f64 v[56:57], v[20:21], v[36:37], v[38:39]
	ds_read_b128 v[18:21], v26 offset:15360
	ds_read_b128 v[36:39], v24 offset:480
	v_add_f64 v[46:47], v[46:47], v[54:55]
	v_add_f64 v[44:45], v[44:45], v[50:51]
	s_waitcnt lgkmcnt(0)
	v_mul_f64 v[50:51], v[12:13], v[16:17]
	v_mul_f64 v[16:17], v[10:11], v[16:17]
	v_fma_f64 v[52:53], v[6:7], v[2:3], -v[52:53]
	v_fma_f64 v[54:55], v[8:9], v[2:3], v[4:5]
	ds_read_b128 v[2:5], v26 offset:15872
	ds_read_b128 v[6:9], v24 offset:496
	v_add_f64 v[46:47], v[46:47], v[56:57]
	v_add_f64 v[44:45], v[44:45], v[48:49]
	v_mul_f64 v[48:49], v[20:21], v[38:39]
	v_mul_f64 v[38:39], v[18:19], v[38:39]
	v_fma_f64 v[10:11], v[10:11], v[14:15], -v[50:51]
	v_fma_f64 v[12:13], v[12:13], v[14:15], v[16:17]
	v_add_f64 v[14:15], v[46:47], v[54:55]
	v_add_f64 v[16:17], v[44:45], v[52:53]
	s_waitcnt lgkmcnt(0)
	v_mul_f64 v[44:45], v[4:5], v[8:9]
	v_mul_f64 v[8:9], v[2:3], v[8:9]
	v_fma_f64 v[18:19], v[18:19], v[36:37], -v[48:49]
	v_fma_f64 v[20:21], v[20:21], v[36:37], v[38:39]
	v_add_f64 v[12:13], v[14:15], v[12:13]
	v_add_f64 v[10:11], v[16:17], v[10:11]
	v_fma_f64 v[2:3], v[2:3], v[6:7], -v[44:45]
	v_fma_f64 v[4:5], v[4:5], v[6:7], v[8:9]
	v_add_f64 v[6:7], v[12:13], v[20:21]
	v_add_f64 v[8:9], v[10:11], v[18:19]
	;; [unrolled: 1-line block ×4, first 2 shown]
	v_mul_f64 v[6:7], s[16:17], v[4:5]
	v_mul_f64 v[8:9], s[16:17], v[2:3]
	v_fma_f64 v[2:3], s[14:15], v[2:3], -v[6:7]
	v_fma_f64 v[4:5], s[14:15], v[4:5], v[8:9]
	s_waitcnt vmcnt(0)
	v_add_f64 v[2:3], v[40:41], v[2:3]
	v_add_f64 v[4:5], v[42:43], v[4:5]
	flat_store_dwordx4 v[22:23], v[2:5]
	s_branch .LBB1885_3
.LBB1885_16:
	s_endpgm
	.section	.rodata,"a",@progbits
	.p2align	6, 0x0
	.amdhsa_kernel _ZL26rocblas_syr2k_her2k_kernelIlLb1ELb0ELb1ELi32E19rocblas_complex_numIdEPKPKS1_PKPS1_EvbiT_T4_T5_S9_lSB_S9_lT6_S9_li
		.amdhsa_group_segment_fixed_size 32768
		.amdhsa_private_segment_fixed_size 0
		.amdhsa_kernarg_size 108
		.amdhsa_user_sgpr_count 6
		.amdhsa_user_sgpr_private_segment_buffer 1
		.amdhsa_user_sgpr_dispatch_ptr 0
		.amdhsa_user_sgpr_queue_ptr 0
		.amdhsa_user_sgpr_kernarg_segment_ptr 1
		.amdhsa_user_sgpr_dispatch_id 0
		.amdhsa_user_sgpr_flat_scratch_init 0
		.amdhsa_user_sgpr_private_segment_size 0
		.amdhsa_uses_dynamic_stack 0
		.amdhsa_system_sgpr_private_segment_wavefront_offset 0
		.amdhsa_system_sgpr_workgroup_id_x 1
		.amdhsa_system_sgpr_workgroup_id_y 1
		.amdhsa_system_sgpr_workgroup_id_z 1
		.amdhsa_system_sgpr_workgroup_info 0
		.amdhsa_system_vgpr_workitem_id 1
		.amdhsa_next_free_vgpr 58
		.amdhsa_next_free_sgpr 61
		.amdhsa_reserve_vcc 1
		.amdhsa_reserve_flat_scratch 0
		.amdhsa_float_round_mode_32 0
		.amdhsa_float_round_mode_16_64 0
		.amdhsa_float_denorm_mode_32 3
		.amdhsa_float_denorm_mode_16_64 3
		.amdhsa_dx10_clamp 1
		.amdhsa_ieee_mode 1
		.amdhsa_fp16_overflow 0
		.amdhsa_exception_fp_ieee_invalid_op 0
		.amdhsa_exception_fp_denorm_src 0
		.amdhsa_exception_fp_ieee_div_zero 0
		.amdhsa_exception_fp_ieee_overflow 0
		.amdhsa_exception_fp_ieee_underflow 0
		.amdhsa_exception_fp_ieee_inexact 0
		.amdhsa_exception_int_div_zero 0
	.end_amdhsa_kernel
	.section	.text._ZL26rocblas_syr2k_her2k_kernelIlLb1ELb0ELb1ELi32E19rocblas_complex_numIdEPKPKS1_PKPS1_EvbiT_T4_T5_S9_lSB_S9_lT6_S9_li,"axG",@progbits,_ZL26rocblas_syr2k_her2k_kernelIlLb1ELb0ELb1ELi32E19rocblas_complex_numIdEPKPKS1_PKPS1_EvbiT_T4_T5_S9_lSB_S9_lT6_S9_li,comdat
.Lfunc_end1885:
	.size	_ZL26rocblas_syr2k_her2k_kernelIlLb1ELb0ELb1ELi32E19rocblas_complex_numIdEPKPKS1_PKPS1_EvbiT_T4_T5_S9_lSB_S9_lT6_S9_li, .Lfunc_end1885-_ZL26rocblas_syr2k_her2k_kernelIlLb1ELb0ELb1ELi32E19rocblas_complex_numIdEPKPKS1_PKPS1_EvbiT_T4_T5_S9_lSB_S9_lT6_S9_li
                                        ; -- End function
	.set _ZL26rocblas_syr2k_her2k_kernelIlLb1ELb0ELb1ELi32E19rocblas_complex_numIdEPKPKS1_PKPS1_EvbiT_T4_T5_S9_lSB_S9_lT6_S9_li.num_vgpr, 58
	.set _ZL26rocblas_syr2k_her2k_kernelIlLb1ELb0ELb1ELi32E19rocblas_complex_numIdEPKPKS1_PKPS1_EvbiT_T4_T5_S9_lSB_S9_lT6_S9_li.num_agpr, 0
	.set _ZL26rocblas_syr2k_her2k_kernelIlLb1ELb0ELb1ELi32E19rocblas_complex_numIdEPKPKS1_PKPS1_EvbiT_T4_T5_S9_lSB_S9_lT6_S9_li.numbered_sgpr, 44
	.set _ZL26rocblas_syr2k_her2k_kernelIlLb1ELb0ELb1ELi32E19rocblas_complex_numIdEPKPKS1_PKPS1_EvbiT_T4_T5_S9_lSB_S9_lT6_S9_li.num_named_barrier, 0
	.set _ZL26rocblas_syr2k_her2k_kernelIlLb1ELb0ELb1ELi32E19rocblas_complex_numIdEPKPKS1_PKPS1_EvbiT_T4_T5_S9_lSB_S9_lT6_S9_li.private_seg_size, 0
	.set _ZL26rocblas_syr2k_her2k_kernelIlLb1ELb0ELb1ELi32E19rocblas_complex_numIdEPKPKS1_PKPS1_EvbiT_T4_T5_S9_lSB_S9_lT6_S9_li.uses_vcc, 1
	.set _ZL26rocblas_syr2k_her2k_kernelIlLb1ELb0ELb1ELi32E19rocblas_complex_numIdEPKPKS1_PKPS1_EvbiT_T4_T5_S9_lSB_S9_lT6_S9_li.uses_flat_scratch, 0
	.set _ZL26rocblas_syr2k_her2k_kernelIlLb1ELb0ELb1ELi32E19rocblas_complex_numIdEPKPKS1_PKPS1_EvbiT_T4_T5_S9_lSB_S9_lT6_S9_li.has_dyn_sized_stack, 0
	.set _ZL26rocblas_syr2k_her2k_kernelIlLb1ELb0ELb1ELi32E19rocblas_complex_numIdEPKPKS1_PKPS1_EvbiT_T4_T5_S9_lSB_S9_lT6_S9_li.has_recursion, 0
	.set _ZL26rocblas_syr2k_her2k_kernelIlLb1ELb0ELb1ELi32E19rocblas_complex_numIdEPKPKS1_PKPS1_EvbiT_T4_T5_S9_lSB_S9_lT6_S9_li.has_indirect_call, 0
	.section	.AMDGPU.csdata,"",@progbits
; Kernel info:
; codeLenInByte = 5480
; TotalNumSgprs: 48
; NumVgprs: 58
; ScratchSize: 0
; MemoryBound: 1
; FloatMode: 240
; IeeeMode: 1
; LDSByteSize: 32768 bytes/workgroup (compile time only)
; SGPRBlocks: 8
; VGPRBlocks: 14
; NumSGPRsForWavesPerEU: 65
; NumVGPRsForWavesPerEU: 58
; Occupancy: 4
; WaveLimiterHint : 1
; COMPUTE_PGM_RSRC2:SCRATCH_EN: 0
; COMPUTE_PGM_RSRC2:USER_SGPR: 6
; COMPUTE_PGM_RSRC2:TRAP_HANDLER: 0
; COMPUTE_PGM_RSRC2:TGID_X_EN: 1
; COMPUTE_PGM_RSRC2:TGID_Y_EN: 1
; COMPUTE_PGM_RSRC2:TGID_Z_EN: 1
; COMPUTE_PGM_RSRC2:TIDIG_COMP_CNT: 1
	.section	.text._ZL26rocblas_syr2k_her2k_kernelIlLb1ELb0ELb0ELi32EPK19rocblas_complex_numIdEPKS3_PKPS1_EvbiT_T4_T5_S9_lSB_S9_lT6_S9_li,"axG",@progbits,_ZL26rocblas_syr2k_her2k_kernelIlLb1ELb0ELb0ELi32EPK19rocblas_complex_numIdEPKS3_PKPS1_EvbiT_T4_T5_S9_lSB_S9_lT6_S9_li,comdat
	.globl	_ZL26rocblas_syr2k_her2k_kernelIlLb1ELb0ELb0ELi32EPK19rocblas_complex_numIdEPKS3_PKPS1_EvbiT_T4_T5_S9_lSB_S9_lT6_S9_li ; -- Begin function _ZL26rocblas_syr2k_her2k_kernelIlLb1ELb0ELb0ELi32EPK19rocblas_complex_numIdEPKS3_PKPS1_EvbiT_T4_T5_S9_lSB_S9_lT6_S9_li
	.p2align	8
	.type	_ZL26rocblas_syr2k_her2k_kernelIlLb1ELb0ELb0ELi32EPK19rocblas_complex_numIdEPKS3_PKPS1_EvbiT_T4_T5_S9_lSB_S9_lT6_S9_li,@function
_ZL26rocblas_syr2k_her2k_kernelIlLb1ELb0ELb0ELi32EPK19rocblas_complex_numIdEPKS3_PKPS1_EvbiT_T4_T5_S9_lSB_S9_lT6_S9_li: ; @_ZL26rocblas_syr2k_her2k_kernelIlLb1ELb0ELb0ELi32EPK19rocblas_complex_numIdEPKS3_PKPS1_EvbiT_T4_T5_S9_lSB_S9_lT6_S9_li
; %bb.0:
	s_load_dwordx16 s[12:27], s[4:5], 0x8
	s_waitcnt lgkmcnt(0)
	s_load_dwordx4 s[28:31], s[14:15], 0x0
	s_waitcnt lgkmcnt(0)
	v_cmp_eq_f64_e64 s[0:1], s[28:29], 0
	v_cmp_eq_f64_e64 s[2:3], s[30:31], 0
	s_and_b64 s[0:1], s[0:1], s[2:3]
	s_and_b64 vcc, exec, s[0:1]
	s_cbranch_vccnz .LBB1886_16
; %bb.1:
	s_load_dwordx2 s[10:11], s[4:5], 0x0
	s_lshl_b32 s2, s7, 5
	s_lshl_b32 s3, s6, 5
	s_waitcnt lgkmcnt(0)
	s_and_b32 s0, 1, s10
	s_cmp_eq_u32 s0, 1
	s_cselect_b64 s[0:1], -1, 0
	s_and_b64 s[6:7], s[0:1], exec
	s_cselect_b32 s6, s3, s2
	s_cselect_b32 s7, s2, s3
	s_cmp_gt_i32 s6, s7
	v_cmp_lt_i64_e64 s[6:7], s[12:13], 1
	s_cselect_b64 s[14:15], -1, 0
	s_or_b64 s[6:7], s[14:15], s[6:7]
	s_and_b64 vcc, exec, s[6:7]
	s_cbranch_vccnz .LBB1886_16
; %bb.2:
	s_mov_b32 s9, 0
	s_load_dwordx4 s[36:39], s[4:5], 0x48
	s_load_dwordx2 s[6:7], s[4:5], 0x58
	s_lshl_b64 s[4:5], s[8:9], 3
	s_add_u32 s8, s16, s4
	s_addc_u32 s9, s17, s5
	s_add_u32 s14, s22, s4
	s_addc_u32 s15, s23, s5
	s_waitcnt lgkmcnt(0)
	s_add_u32 s4, s36, s4
	s_addc_u32 s5, s37, s5
	s_load_dwordx2 s[16:17], s[4:5], 0x0
	s_load_dwordx2 s[34:35], s[8:9], 0x0
	;; [unrolled: 1-line block ×3, first 2 shown]
	s_lshl_b64 s[4:5], s[6:7], 4
	v_add_u32_e32 v2, s2, v1
	s_waitcnt lgkmcnt(0)
	s_add_u32 s8, s16, s4
	s_addc_u32 s6, s17, s5
	s_lshl_b64 s[4:5], s[26:27], 4
	s_add_u32 s22, s22, s4
	s_addc_u32 s23, s23, s5
	s_lshl_b64 s[4:5], s[20:21], 4
	v_lshlrev_b32_e32 v24, 9, v0
	v_lshlrev_b32_e32 v6, 4, v1
	s_add_u32 s20, s34, s4
	v_add_u32_e32 v25, v24, v6
	v_or_b32_e32 v26, 0x4000, v6
	v_ashrrev_i32_e32 v6, 31, v2
	s_addc_u32 s21, s35, s5
	v_mul_lo_u32 v11, s38, v6
	v_mul_lo_u32 v12, s39, v2
	v_mad_u64_u32 v[6:7], s[4:5], s38, v2, 0
	v_add_u32_e32 v4, s3, v0
	v_max_i32_e32 v10, v4, v2
	v_cmp_gt_i32_e32 vcc, s11, v10
	v_add3_u32 v7, v7, v11, v12
	v_mov_b32_e32 v12, s6
	v_mad_u64_u32 v[10:11], s[6:7], s18, v0, 0
	v_cndmask_b32_e64 v8, v4, v2, s[0:1]
	v_cndmask_b32_e64 v9, v2, v4, s[0:1]
	v_lshlrev_b64 v[6:7], 4, v[6:7]
	v_cmp_le_i32_e64 s[4:5], v9, v8
	s_and_b64 s[4:5], s[4:5], vcc
	v_ashrrev_i32_e32 v9, 31, v4
	v_mov_b32_e32 v8, v4
	v_add_co_u32_e32 v13, vcc, s8, v6
	v_addc_co_u32_e32 v12, vcc, v12, v7, vcc
	v_lshlrev_b64 v[6:7], 4, v[8:9]
	v_mov_b32_e32 v8, v11
	v_mad_u64_u32 v[8:9], s[6:7], s19, v0, v[8:9]
	v_mov_b32_e32 v5, 0
	s_ashr_i32 s3, s11, 31
	v_mov_b32_e32 v11, v8
	v_mad_u64_u32 v[8:9], s[6:7], s18, v1, 0
	s_mov_b32 s2, s11
	v_mov_b32_e32 v3, v5
	v_add_co_u32_e32 v22, vcc, v13, v6
	v_cmp_gt_i64_e64 s[0:1], s[2:3], v[4:5]
	v_cmp_gt_i64_e64 s[2:3], s[2:3], v[2:3]
	v_addc_co_u32_e32 v23, vcc, v12, v7, vcc
	v_lshlrev_b64 v[6:7], 4, v[10:11]
	v_lshlrev_b64 v[2:3], 4, v[2:3]
	v_mad_u64_u32 v[10:11], s[8:9], s24, v0, 0
	v_add_co_u32_e32 v28, vcc, v6, v2
	v_mov_b32_e32 v6, v9
	v_addc_co_u32_e32 v29, vcc, v7, v3, vcc
	v_mad_u64_u32 v[6:7], s[6:7], s19, v1, v[6:7]
	v_mad_u64_u32 v[12:13], s[8:9], s24, v1, 0
	v_mov_b32_e32 v9, v6
	v_lshlrev_b64 v[6:7], 4, v[8:9]
	v_mov_b32_e32 v8, v11
	v_mad_u64_u32 v[8:9], s[8:9], s25, v0, v[8:9]
	v_lshlrev_b64 v[4:5], 4, v[4:5]
	v_add_u32_e32 v27, v26, v24
	v_mov_b32_e32 v11, v8
	v_mov_b32_e32 v8, v13
	v_mad_u64_u32 v[8:9], s[8:9], s25, v1, v[8:9]
	v_add_co_u32_e32 v30, vcc, v6, v4
	v_addc_co_u32_e32 v31, vcc, v7, v5, vcc
	v_lshlrev_b64 v[6:7], 4, v[10:11]
	v_mov_b32_e32 v13, v8
	v_add_co_u32_e32 v32, vcc, v6, v2
	v_addc_co_u32_e32 v33, vcc, v7, v3, vcc
	v_lshlrev_b64 v[2:3], 4, v[12:13]
	s_lshl_b64 s[6:7], s[18:19], 9
	v_add_co_u32_e32 v34, vcc, v2, v4
	s_lshl_b64 s[8:9], s[24:25], 9
	v_addc_co_u32_e32 v35, vcc, v3, v5, vcc
	s_mov_b64 s[10:11], 0
	s_branch .LBB1886_4
.LBB1886_3:                             ;   in Loop: Header=BB1886_4 Depth=1
	s_or_b64 exec, exec, s[14:15]
	s_add_u32 s10, s10, 32
	s_addc_u32 s11, s11, 0
	v_mov_b32_e32 v2, s12
	s_add_u32 s20, s20, s6
	v_mov_b32_e32 v3, s13
	s_addc_u32 s21, s21, s7
	v_cmp_lt_i64_e32 vcc, s[10:11], v[2:3]
	s_add_u32 s22, s22, s8
	s_addc_u32 s23, s23, s9
	s_waitcnt vmcnt(0) lgkmcnt(0)
	s_barrier
	s_cbranch_vccz .LBB1886_16
.LBB1886_4:                             ; =>This Inner Loop Header: Depth=1
	v_mov_b32_e32 v3, s11
	v_add_co_u32_e32 v2, vcc, s10, v1
	v_addc_co_u32_e32 v3, vcc, 0, v3, vcc
	v_cmp_gt_i64_e32 vcc, s[12:13], v[2:3]
	v_mov_b32_e32 v2, 0
	v_mov_b32_e32 v4, 0
	;; [unrolled: 1-line block ×6, first 2 shown]
	s_and_b64 s[14:15], s[0:1], vcc
	s_and_saveexec_b64 s[16:17], s[14:15]
	s_cbranch_execz .LBB1886_6
; %bb.5:                                ;   in Loop: Header=BB1886_4 Depth=1
	v_mov_b32_e32 v5, s21
	v_add_co_u32_e32 v4, vcc, s20, v30
	v_addc_co_u32_e32 v5, vcc, v5, v31, vcc
	flat_load_dwordx4 v[4:7], v[4:5]
.LBB1886_6:                             ;   in Loop: Header=BB1886_4 Depth=1
	s_or_b64 exec, exec, s[16:17]
	s_waitcnt vmcnt(0) lgkmcnt(0)
	ds_write_b128 v25, v[4:7]
	v_mov_b32_e32 v5, s11
	v_add_co_u32_e32 v4, vcc, s10, v0
	v_addc_co_u32_e32 v5, vcc, 0, v5, vcc
	v_cmp_gt_i64_e32 vcc, s[12:13], v[4:5]
	v_mov_b32_e32 v4, 0
	v_mov_b32_e32 v5, 0
	s_and_b64 s[16:17], s[2:3], vcc
	s_and_saveexec_b64 s[18:19], s[16:17]
	s_cbranch_execz .LBB1886_8
; %bb.7:                                ;   in Loop: Header=BB1886_4 Depth=1
	v_mov_b32_e32 v3, s23
	v_add_co_u32_e32 v2, vcc, s22, v32
	v_addc_co_u32_e32 v3, vcc, v3, v33, vcc
	flat_load_dwordx4 v[2:5], v[2:3]
.LBB1886_8:                             ;   in Loop: Header=BB1886_4 Depth=1
	s_or_b64 exec, exec, s[18:19]
	s_waitcnt vmcnt(0) lgkmcnt(0)
	ds_write_b128 v27, v[2:5]
	s_waitcnt lgkmcnt(0)
	s_barrier
	s_and_saveexec_b64 s[18:19], s[4:5]
	s_cbranch_execz .LBB1886_10
; %bb.9:                                ;   in Loop: Header=BB1886_4 Depth=1
	ds_read_b128 v[6:9], v26
	ds_read_b128 v[10:13], v24
	ds_read_b128 v[14:17], v24 offset:16
	ds_read_b128 v[18:21], v24 offset:32
	;; [unrolled: 1-line block ×3, first 2 shown]
	s_waitcnt lgkmcnt(3)
	v_mul_f64 v[36:37], v[8:9], v[12:13]
	v_fma_f64 v[36:37], v[6:7], v[10:11], -v[36:37]
	v_mul_f64 v[6:7], v[6:7], v[12:13]
	v_fma_f64 v[6:7], v[8:9], v[10:11], v[6:7]
	v_add_f64 v[10:11], v[36:37], 0
	v_add_f64 v[12:13], v[6:7], 0
	ds_read_b128 v[6:9], v26 offset:512
	s_waitcnt lgkmcnt(0)
	v_mul_f64 v[36:37], v[8:9], v[16:17]
	v_fma_f64 v[36:37], v[6:7], v[14:15], -v[36:37]
	v_mul_f64 v[6:7], v[6:7], v[16:17]
	v_add_f64 v[10:11], v[10:11], v[36:37]
	v_fma_f64 v[6:7], v[8:9], v[14:15], v[6:7]
	v_add_f64 v[12:13], v[12:13], v[6:7]
	ds_read_b128 v[6:9], v26 offset:1024
	s_waitcnt lgkmcnt(0)
	v_mul_f64 v[14:15], v[8:9], v[20:21]
	v_fma_f64 v[14:15], v[6:7], v[18:19], -v[14:15]
	v_mul_f64 v[6:7], v[6:7], v[20:21]
	v_add_f64 v[10:11], v[10:11], v[14:15]
	v_fma_f64 v[6:7], v[8:9], v[18:19], v[6:7]
	v_add_f64 v[12:13], v[12:13], v[6:7]
	ds_read_b128 v[6:9], v26 offset:1536
	s_waitcnt lgkmcnt(0)
	v_mul_f64 v[14:15], v[8:9], v[4:5]
	v_mul_f64 v[4:5], v[6:7], v[4:5]
	v_fma_f64 v[14:15], v[6:7], v[2:3], -v[14:15]
	v_fma_f64 v[2:3], v[8:9], v[2:3], v[4:5]
	v_add_f64 v[10:11], v[10:11], v[14:15]
	v_add_f64 v[12:13], v[12:13], v[2:3]
	ds_read_b128 v[2:5], v26 offset:2048
	ds_read_b128 v[6:9], v24 offset:64
	s_waitcnt lgkmcnt(0)
	v_mul_f64 v[14:15], v[4:5], v[8:9]
	v_fma_f64 v[14:15], v[2:3], v[6:7], -v[14:15]
	v_mul_f64 v[2:3], v[2:3], v[8:9]
	v_add_f64 v[10:11], v[10:11], v[14:15]
	v_fma_f64 v[2:3], v[4:5], v[6:7], v[2:3]
	v_add_f64 v[12:13], v[12:13], v[2:3]
	ds_read_b128 v[2:5], v26 offset:2560
	ds_read_b128 v[6:9], v24 offset:80
	s_waitcnt lgkmcnt(0)
	v_mul_f64 v[14:15], v[4:5], v[8:9]
	v_fma_f64 v[14:15], v[2:3], v[6:7], -v[14:15]
	v_mul_f64 v[2:3], v[2:3], v[8:9]
	v_add_f64 v[10:11], v[10:11], v[14:15]
	v_fma_f64 v[2:3], v[4:5], v[6:7], v[2:3]
	;; [unrolled: 9-line block ×27, first 2 shown]
	v_add_f64 v[12:13], v[12:13], v[2:3]
	ds_read_b128 v[2:5], v26 offset:15872
	ds_read_b128 v[6:9], v24 offset:496
	s_waitcnt lgkmcnt(0)
	v_mul_f64 v[14:15], v[4:5], v[8:9]
	v_fma_f64 v[14:15], v[2:3], v[6:7], -v[14:15]
	v_mul_f64 v[2:3], v[2:3], v[8:9]
	v_fma_f64 v[2:3], v[4:5], v[6:7], v[2:3]
	v_add_f64 v[4:5], v[10:11], v[14:15]
	v_add_f64 v[2:3], v[12:13], v[2:3]
	v_mul_f64 v[6:7], s[30:31], v[2:3]
	v_mul_f64 v[2:3], s[28:29], v[2:3]
	v_fma_f64 v[6:7], s[28:29], v[4:5], -v[6:7]
	v_fma_f64 v[8:9], s[30:31], v[4:5], v[2:3]
	flat_load_dwordx4 v[2:5], v[22:23]
	s_waitcnt vmcnt(0) lgkmcnt(0)
	v_add_f64 v[2:3], v[2:3], v[6:7]
	v_add_f64 v[4:5], v[4:5], v[8:9]
	flat_store_dwordx4 v[22:23], v[2:5]
.LBB1886_10:                            ;   in Loop: Header=BB1886_4 Depth=1
	s_or_b64 exec, exec, s[18:19]
	v_mov_b32_e32 v4, 0
	v_mov_b32_e32 v8, 0
	;; [unrolled: 1-line block ×6, first 2 shown]
	s_waitcnt vmcnt(0) lgkmcnt(0)
	s_barrier
	s_and_saveexec_b64 s[18:19], s[14:15]
	s_cbranch_execz .LBB1886_12
; %bb.11:                               ;   in Loop: Header=BB1886_4 Depth=1
	v_mov_b32_e32 v3, s23
	v_add_co_u32_e32 v2, vcc, s22, v34
	v_addc_co_u32_e32 v3, vcc, v3, v35, vcc
	flat_load_dwordx4 v[6:9], v[2:3]
.LBB1886_12:                            ;   in Loop: Header=BB1886_4 Depth=1
	s_or_b64 exec, exec, s[18:19]
	v_mov_b32_e32 v2, 0
	v_mov_b32_e32 v3, 0
	s_waitcnt vmcnt(0) lgkmcnt(0)
	ds_write_b128 v25, v[6:9]
	s_and_saveexec_b64 s[14:15], s[16:17]
	s_cbranch_execz .LBB1886_14
; %bb.13:                               ;   in Loop: Header=BB1886_4 Depth=1
	v_mov_b32_e32 v3, s21
	v_add_co_u32_e32 v2, vcc, s20, v28
	v_addc_co_u32_e32 v3, vcc, v3, v29, vcc
	flat_load_dwordx4 v[2:5], v[2:3]
.LBB1886_14:                            ;   in Loop: Header=BB1886_4 Depth=1
	s_or_b64 exec, exec, s[14:15]
	s_waitcnt vmcnt(0) lgkmcnt(0)
	ds_write_b128 v27, v[2:5]
	s_waitcnt lgkmcnt(0)
	s_barrier
	s_and_saveexec_b64 s[14:15], s[4:5]
	s_cbranch_execz .LBB1886_3
; %bb.15:                               ;   in Loop: Header=BB1886_4 Depth=1
	ds_read_b128 v[2:5], v26
	ds_read_b128 v[6:9], v24
	ds_read_b128 v[10:13], v24 offset:16
	ds_read_b128 v[14:17], v26 offset:512
	;; [unrolled: 1-line block ×5, first 2 shown]
	s_waitcnt lgkmcnt(5)
	v_mul_f64 v[44:45], v[2:3], v[8:9]
	v_mul_f64 v[8:9], v[4:5], v[8:9]
	s_waitcnt lgkmcnt(3)
	v_mul_f64 v[46:47], v[16:17], v[12:13]
	v_mul_f64 v[12:13], v[14:15], v[12:13]
	;; [unrolled: 3-line block ×3, first 2 shown]
	v_fma_f64 v[44:45], v[4:5], v[6:7], v[44:45]
	v_fma_f64 v[48:49], v[2:3], v[6:7], -v[8:9]
	v_fma_f64 v[46:47], v[14:15], v[10:11], -v[46:47]
	v_fma_f64 v[52:53], v[16:17], v[10:11], v[12:13]
	ds_read_b128 v[2:5], v26 offset:1536
	ds_read_b128 v[6:9], v24 offset:64
	v_fma_f64 v[50:51], v[18:19], v[36:37], -v[50:51]
	v_fma_f64 v[56:57], v[20:21], v[36:37], v[38:39]
	ds_read_b128 v[10:13], v26 offset:2048
	ds_read_b128 v[14:17], v26 offset:2560
	v_add_f64 v[44:45], v[44:45], 0
	v_add_f64 v[48:49], v[48:49], 0
	s_waitcnt lgkmcnt(3)
	v_mul_f64 v[54:55], v[4:5], v[42:43]
	v_mul_f64 v[42:43], v[2:3], v[42:43]
	ds_read_b128 v[18:21], v24 offset:80
	ds_read_b128 v[36:39], v24 offset:96
	v_add_f64 v[44:45], v[44:45], v[52:53]
	v_add_f64 v[46:47], v[48:49], v[46:47]
	s_waitcnt lgkmcnt(3)
	v_mul_f64 v[48:49], v[12:13], v[8:9]
	v_mul_f64 v[8:9], v[10:11], v[8:9]
	v_fma_f64 v[52:53], v[2:3], v[40:41], -v[54:55]
	v_fma_f64 v[54:55], v[4:5], v[40:41], v[42:43]
	ds_read_b128 v[2:5], v26 offset:3072
	ds_read_b128 v[40:43], v26 offset:3584
	v_add_f64 v[44:45], v[44:45], v[56:57]
	v_add_f64 v[46:47], v[46:47], v[50:51]
	s_waitcnt lgkmcnt(3)
	v_mul_f64 v[50:51], v[16:17], v[20:21]
	v_mul_f64 v[20:21], v[14:15], v[20:21]
	v_fma_f64 v[48:49], v[10:11], v[6:7], -v[48:49]
	v_fma_f64 v[56:57], v[12:13], v[6:7], v[8:9]
	;; [unrolled: 9-line block ×15, first 2 shown]
	s_waitcnt lgkmcnt(1)
	v_mul_f64 v[54:55], v[42:43], v[8:9]
	v_mul_f64 v[56:57], v[40:41], v[8:9]
	v_add_f64 v[20:21], v[44:45], v[16:17]
	v_add_f64 v[48:49], v[46:47], v[48:49]
	v_fma_f64 v[52:53], v[2:3], v[36:37], -v[52:53]
	v_fma_f64 v[36:37], v[4:5], v[36:37], v[38:39]
	ds_read_b128 v[16:19], v26 offset:10240
	ds_read_b128 v[44:47], v26 offset:10752
	v_add_f64 v[20:21], v[20:21], v[10:11]
	v_add_f64 v[38:39], v[48:49], v[50:51]
	s_waitcnt lgkmcnt(1)
	v_mul_f64 v[48:49], v[18:19], v[14:15]
	v_mul_f64 v[14:15], v[16:17], v[14:15]
	v_fma_f64 v[50:51], v[40:41], v[6:7], -v[54:55]
	v_fma_f64 v[6:7], v[42:43], v[6:7], v[56:57]
	ds_read_b128 v[2:5], v24 offset:336
	ds_read_b128 v[8:11], v24 offset:352
	v_add_f64 v[20:21], v[20:21], v[36:37]
	v_add_f64 v[52:53], v[38:39], v[52:53]
	s_waitcnt lgkmcnt(1)
	v_mul_f64 v[54:55], v[46:47], v[4:5]
	v_mul_f64 v[4:5], v[44:45], v[4:5]
	;; [unrolled: 9-line block ×3, first 2 shown]
	v_fma_f64 v[52:53], v[44:45], v[2:3], -v[54:55]
	v_fma_f64 v[54:55], v[46:47], v[2:3], v[4:5]
	ds_read_b128 v[14:17], v24 offset:368
	ds_read_b128 v[48:51], v24 offset:384
	;; [unrolled: 1-line block ×4, first 2 shown]
	v_add_f64 v[6:7], v[6:7], v[12:13]
	v_add_f64 v[12:13], v[18:19], v[56:57]
	s_waitcnt lgkmcnt(3)
	v_mul_f64 v[18:19], v[42:43], v[16:17]
	v_mul_f64 v[16:17], v[40:41], v[16:17]
	v_fma_f64 v[20:21], v[36:37], v[8:9], -v[20:21]
	v_fma_f64 v[36:37], v[38:39], v[8:9], v[10:11]
	v_add_f64 v[38:39], v[6:7], v[54:55]
	v_add_f64 v[52:53], v[12:13], v[52:53]
	s_waitcnt lgkmcnt(1)
	v_mul_f64 v[54:55], v[46:47], v[50:51]
	v_mul_f64 v[50:51], v[44:45], v[50:51]
	v_fma_f64 v[40:41], v[40:41], v[14:15], -v[18:19]
	v_fma_f64 v[42:43], v[42:43], v[14:15], v[16:17]
	ds_read_b128 v[6:9], v24 offset:400
	ds_read_b128 v[10:13], v24 offset:416
	v_add_f64 v[36:37], v[38:39], v[36:37]
	v_add_f64 v[38:39], v[52:53], v[20:21]
	s_waitcnt lgkmcnt(1)
	v_mul_f64 v[52:53], v[4:5], v[8:9]
	v_mul_f64 v[8:9], v[2:3], v[8:9]
	v_fma_f64 v[44:45], v[44:45], v[48:49], -v[54:55]
	v_fma_f64 v[46:47], v[46:47], v[48:49], v[50:51]
	ds_read_b128 v[14:17], v26 offset:13312
	ds_read_b128 v[18:21], v26 offset:13824
	v_add_f64 v[48:49], v[36:37], v[42:43]
	v_add_f64 v[50:51], v[38:39], v[40:41]
	flat_load_dwordx4 v[40:43], v[22:23]
	s_waitcnt lgkmcnt(0)
	v_mul_f64 v[54:55], v[16:17], v[12:13]
	v_mul_f64 v[12:13], v[14:15], v[12:13]
	v_fma_f64 v[52:53], v[2:3], v[6:7], -v[52:53]
	v_fma_f64 v[56:57], v[4:5], v[6:7], v[8:9]
	ds_read_b128 v[36:39], v24 offset:432
	v_add_f64 v[46:47], v[48:49], v[46:47]
	v_add_f64 v[44:45], v[50:51], v[44:45]
	ds_read_b128 v[2:5], v24 offset:448
	ds_read_b128 v[6:9], v26 offset:14336
	v_fma_f64 v[50:51], v[14:15], v[10:11], -v[54:55]
	s_waitcnt lgkmcnt(0)
	v_mul_f64 v[48:49], v[20:21], v[38:39]
	v_mul_f64 v[38:39], v[18:19], v[38:39]
	v_fma_f64 v[54:55], v[16:17], v[10:11], v[12:13]
	ds_read_b128 v[10:13], v26 offset:14848
	ds_read_b128 v[14:17], v24 offset:464
	v_add_f64 v[46:47], v[46:47], v[56:57]
	v_add_f64 v[44:45], v[44:45], v[52:53]
	v_mul_f64 v[52:53], v[8:9], v[4:5]
	v_mul_f64 v[4:5], v[6:7], v[4:5]
	v_fma_f64 v[48:49], v[18:19], v[36:37], -v[48:49]
	v_fma_f64 v[56:57], v[20:21], v[36:37], v[38:39]
	ds_read_b128 v[18:21], v26 offset:15360
	ds_read_b128 v[36:39], v24 offset:480
	v_add_f64 v[46:47], v[46:47], v[54:55]
	v_add_f64 v[44:45], v[44:45], v[50:51]
	s_waitcnt lgkmcnt(0)
	v_mul_f64 v[50:51], v[12:13], v[16:17]
	v_mul_f64 v[16:17], v[10:11], v[16:17]
	v_fma_f64 v[52:53], v[6:7], v[2:3], -v[52:53]
	v_fma_f64 v[54:55], v[8:9], v[2:3], v[4:5]
	ds_read_b128 v[2:5], v26 offset:15872
	ds_read_b128 v[6:9], v24 offset:496
	v_add_f64 v[46:47], v[46:47], v[56:57]
	v_add_f64 v[44:45], v[44:45], v[48:49]
	v_mul_f64 v[48:49], v[20:21], v[38:39]
	v_mul_f64 v[38:39], v[18:19], v[38:39]
	v_fma_f64 v[10:11], v[10:11], v[14:15], -v[50:51]
	v_fma_f64 v[12:13], v[12:13], v[14:15], v[16:17]
	v_add_f64 v[14:15], v[46:47], v[54:55]
	v_add_f64 v[16:17], v[44:45], v[52:53]
	s_waitcnt lgkmcnt(0)
	v_mul_f64 v[44:45], v[4:5], v[8:9]
	v_mul_f64 v[8:9], v[2:3], v[8:9]
	v_fma_f64 v[18:19], v[18:19], v[36:37], -v[48:49]
	v_fma_f64 v[20:21], v[20:21], v[36:37], v[38:39]
	v_add_f64 v[12:13], v[14:15], v[12:13]
	v_add_f64 v[10:11], v[16:17], v[10:11]
	v_fma_f64 v[2:3], v[2:3], v[6:7], -v[44:45]
	v_fma_f64 v[4:5], v[4:5], v[6:7], v[8:9]
	v_add_f64 v[6:7], v[12:13], v[20:21]
	v_add_f64 v[8:9], v[10:11], v[18:19]
	;; [unrolled: 1-line block ×4, first 2 shown]
	v_mul_f64 v[6:7], s[30:31], v[4:5]
	v_mul_f64 v[8:9], s[30:31], v[2:3]
	v_fma_f64 v[2:3], s[28:29], v[2:3], -v[6:7]
	v_fma_f64 v[4:5], s[28:29], v[4:5], v[8:9]
	s_waitcnt vmcnt(0)
	v_add_f64 v[2:3], v[40:41], v[2:3]
	v_add_f64 v[4:5], v[42:43], v[4:5]
	flat_store_dwordx4 v[22:23], v[2:5]
	s_branch .LBB1886_3
.LBB1886_16:
	s_endpgm
	.section	.rodata,"a",@progbits
	.p2align	6, 0x0
	.amdhsa_kernel _ZL26rocblas_syr2k_her2k_kernelIlLb1ELb0ELb0ELi32EPK19rocblas_complex_numIdEPKS3_PKPS1_EvbiT_T4_T5_S9_lSB_S9_lT6_S9_li
		.amdhsa_group_segment_fixed_size 32768
		.amdhsa_private_segment_fixed_size 0
		.amdhsa_kernarg_size 100
		.amdhsa_user_sgpr_count 6
		.amdhsa_user_sgpr_private_segment_buffer 1
		.amdhsa_user_sgpr_dispatch_ptr 0
		.amdhsa_user_sgpr_queue_ptr 0
		.amdhsa_user_sgpr_kernarg_segment_ptr 1
		.amdhsa_user_sgpr_dispatch_id 0
		.amdhsa_user_sgpr_flat_scratch_init 0
		.amdhsa_user_sgpr_private_segment_size 0
		.amdhsa_uses_dynamic_stack 0
		.amdhsa_system_sgpr_private_segment_wavefront_offset 0
		.amdhsa_system_sgpr_workgroup_id_x 1
		.amdhsa_system_sgpr_workgroup_id_y 1
		.amdhsa_system_sgpr_workgroup_id_z 1
		.amdhsa_system_sgpr_workgroup_info 0
		.amdhsa_system_vgpr_workitem_id 1
		.amdhsa_next_free_vgpr 58
		.amdhsa_next_free_sgpr 61
		.amdhsa_reserve_vcc 1
		.amdhsa_reserve_flat_scratch 0
		.amdhsa_float_round_mode_32 0
		.amdhsa_float_round_mode_16_64 0
		.amdhsa_float_denorm_mode_32 3
		.amdhsa_float_denorm_mode_16_64 3
		.amdhsa_dx10_clamp 1
		.amdhsa_ieee_mode 1
		.amdhsa_fp16_overflow 0
		.amdhsa_exception_fp_ieee_invalid_op 0
		.amdhsa_exception_fp_denorm_src 0
		.amdhsa_exception_fp_ieee_div_zero 0
		.amdhsa_exception_fp_ieee_overflow 0
		.amdhsa_exception_fp_ieee_underflow 0
		.amdhsa_exception_fp_ieee_inexact 0
		.amdhsa_exception_int_div_zero 0
	.end_amdhsa_kernel
	.section	.text._ZL26rocblas_syr2k_her2k_kernelIlLb1ELb0ELb0ELi32EPK19rocblas_complex_numIdEPKS3_PKPS1_EvbiT_T4_T5_S9_lSB_S9_lT6_S9_li,"axG",@progbits,_ZL26rocblas_syr2k_her2k_kernelIlLb1ELb0ELb0ELi32EPK19rocblas_complex_numIdEPKS3_PKPS1_EvbiT_T4_T5_S9_lSB_S9_lT6_S9_li,comdat
.Lfunc_end1886:
	.size	_ZL26rocblas_syr2k_her2k_kernelIlLb1ELb0ELb0ELi32EPK19rocblas_complex_numIdEPKS3_PKPS1_EvbiT_T4_T5_S9_lSB_S9_lT6_S9_li, .Lfunc_end1886-_ZL26rocblas_syr2k_her2k_kernelIlLb1ELb0ELb0ELi32EPK19rocblas_complex_numIdEPKS3_PKPS1_EvbiT_T4_T5_S9_lSB_S9_lT6_S9_li
                                        ; -- End function
	.set _ZL26rocblas_syr2k_her2k_kernelIlLb1ELb0ELb0ELi32EPK19rocblas_complex_numIdEPKS3_PKPS1_EvbiT_T4_T5_S9_lSB_S9_lT6_S9_li.num_vgpr, 58
	.set _ZL26rocblas_syr2k_her2k_kernelIlLb1ELb0ELb0ELi32EPK19rocblas_complex_numIdEPKS3_PKPS1_EvbiT_T4_T5_S9_lSB_S9_lT6_S9_li.num_agpr, 0
	.set _ZL26rocblas_syr2k_her2k_kernelIlLb1ELb0ELb0ELi32EPK19rocblas_complex_numIdEPKS3_PKPS1_EvbiT_T4_T5_S9_lSB_S9_lT6_S9_li.numbered_sgpr, 40
	.set _ZL26rocblas_syr2k_her2k_kernelIlLb1ELb0ELb0ELi32EPK19rocblas_complex_numIdEPKS3_PKPS1_EvbiT_T4_T5_S9_lSB_S9_lT6_S9_li.num_named_barrier, 0
	.set _ZL26rocblas_syr2k_her2k_kernelIlLb1ELb0ELb0ELi32EPK19rocblas_complex_numIdEPKS3_PKPS1_EvbiT_T4_T5_S9_lSB_S9_lT6_S9_li.private_seg_size, 0
	.set _ZL26rocblas_syr2k_her2k_kernelIlLb1ELb0ELb0ELi32EPK19rocblas_complex_numIdEPKS3_PKPS1_EvbiT_T4_T5_S9_lSB_S9_lT6_S9_li.uses_vcc, 1
	.set _ZL26rocblas_syr2k_her2k_kernelIlLb1ELb0ELb0ELi32EPK19rocblas_complex_numIdEPKS3_PKPS1_EvbiT_T4_T5_S9_lSB_S9_lT6_S9_li.uses_flat_scratch, 0
	.set _ZL26rocblas_syr2k_her2k_kernelIlLb1ELb0ELb0ELi32EPK19rocblas_complex_numIdEPKS3_PKPS1_EvbiT_T4_T5_S9_lSB_S9_lT6_S9_li.has_dyn_sized_stack, 0
	.set _ZL26rocblas_syr2k_her2k_kernelIlLb1ELb0ELb0ELi32EPK19rocblas_complex_numIdEPKS3_PKPS1_EvbiT_T4_T5_S9_lSB_S9_lT6_S9_li.has_recursion, 0
	.set _ZL26rocblas_syr2k_her2k_kernelIlLb1ELb0ELb0ELi32EPK19rocblas_complex_numIdEPKS3_PKPS1_EvbiT_T4_T5_S9_lSB_S9_lT6_S9_li.has_indirect_call, 0
	.section	.AMDGPU.csdata,"",@progbits
; Kernel info:
; codeLenInByte = 5476
; TotalNumSgprs: 44
; NumVgprs: 58
; ScratchSize: 0
; MemoryBound: 1
; FloatMode: 240
; IeeeMode: 1
; LDSByteSize: 32768 bytes/workgroup (compile time only)
; SGPRBlocks: 8
; VGPRBlocks: 14
; NumSGPRsForWavesPerEU: 65
; NumVGPRsForWavesPerEU: 58
; Occupancy: 4
; WaveLimiterHint : 1
; COMPUTE_PGM_RSRC2:SCRATCH_EN: 0
; COMPUTE_PGM_RSRC2:USER_SGPR: 6
; COMPUTE_PGM_RSRC2:TRAP_HANDLER: 0
; COMPUTE_PGM_RSRC2:TGID_X_EN: 1
; COMPUTE_PGM_RSRC2:TGID_Y_EN: 1
; COMPUTE_PGM_RSRC2:TGID_Z_EN: 1
; COMPUTE_PGM_RSRC2:TIDIG_COMP_CNT: 1
	.section	.text._ZL26rocblas_syr2k_her2k_kernelIlLb1ELb0ELb1ELi32EPK19rocblas_complex_numIdEPKS3_PKPS1_EvbiT_T4_T5_S9_lSB_S9_lT6_S9_li,"axG",@progbits,_ZL26rocblas_syr2k_her2k_kernelIlLb1ELb0ELb1ELi32EPK19rocblas_complex_numIdEPKS3_PKPS1_EvbiT_T4_T5_S9_lSB_S9_lT6_S9_li,comdat
	.globl	_ZL26rocblas_syr2k_her2k_kernelIlLb1ELb0ELb1ELi32EPK19rocblas_complex_numIdEPKS3_PKPS1_EvbiT_T4_T5_S9_lSB_S9_lT6_S9_li ; -- Begin function _ZL26rocblas_syr2k_her2k_kernelIlLb1ELb0ELb1ELi32EPK19rocblas_complex_numIdEPKS3_PKPS1_EvbiT_T4_T5_S9_lSB_S9_lT6_S9_li
	.p2align	8
	.type	_ZL26rocblas_syr2k_her2k_kernelIlLb1ELb0ELb1ELi32EPK19rocblas_complex_numIdEPKS3_PKPS1_EvbiT_T4_T5_S9_lSB_S9_lT6_S9_li,@function
_ZL26rocblas_syr2k_her2k_kernelIlLb1ELb0ELb1ELi32EPK19rocblas_complex_numIdEPKS3_PKPS1_EvbiT_T4_T5_S9_lSB_S9_lT6_S9_li: ; @_ZL26rocblas_syr2k_her2k_kernelIlLb1ELb0ELb1ELi32EPK19rocblas_complex_numIdEPKS3_PKPS1_EvbiT_T4_T5_S9_lSB_S9_lT6_S9_li
; %bb.0:
	s_load_dwordx16 s[12:27], s[4:5], 0x8
	s_waitcnt lgkmcnt(0)
	s_load_dwordx4 s[28:31], s[14:15], 0x0
	s_waitcnt lgkmcnt(0)
	v_cmp_eq_f64_e64 s[0:1], s[28:29], 0
	v_cmp_eq_f64_e64 s[2:3], s[30:31], 0
	s_and_b64 s[0:1], s[0:1], s[2:3]
	s_and_b64 vcc, exec, s[0:1]
	s_cbranch_vccnz .LBB1887_16
; %bb.1:
	s_load_dwordx2 s[10:11], s[4:5], 0x0
	s_lshl_b32 s2, s7, 5
	s_lshl_b32 s3, s6, 5
	s_waitcnt lgkmcnt(0)
	s_and_b32 s0, 1, s10
	s_cmp_eq_u32 s0, 1
	s_cselect_b64 s[0:1], -1, 0
	s_and_b64 s[6:7], s[0:1], exec
	s_cselect_b32 s6, s3, s2
	s_cselect_b32 s7, s2, s3
	s_cmp_gt_i32 s6, s7
	v_cmp_lt_i64_e64 s[6:7], s[12:13], 1
	s_cselect_b64 s[14:15], -1, 0
	s_or_b64 s[6:7], s[14:15], s[6:7]
	s_and_b64 vcc, exec, s[6:7]
	s_cbranch_vccnz .LBB1887_16
; %bb.2:
	s_mov_b32 s9, 0
	s_load_dwordx4 s[36:39], s[4:5], 0x48
	s_load_dwordx2 s[14:15], s[4:5], 0x58
	s_lshl_b64 s[4:5], s[8:9], 3
	s_add_u32 s16, s16, s4
	s_addc_u32 s17, s17, s5
	s_add_u32 s22, s22, s4
	s_addc_u32 s23, s23, s5
	s_waitcnt lgkmcnt(0)
	s_add_u32 s4, s36, s4
	s_addc_u32 s5, s37, s5
	s_load_dwordx2 s[34:35], s[4:5], 0x0
	s_load_dwordx2 s[8:9], s[16:17], 0x0
	;; [unrolled: 1-line block ×3, first 2 shown]
	s_lshl_b64 s[4:5], s[14:15], 4
	v_add_u32_e32 v2, s2, v1
	s_waitcnt lgkmcnt(0)
	s_add_u32 s14, s34, s4
	s_addc_u32 s10, s35, s5
	v_add_u32_e32 v4, s3, v0
	s_ashr_i32 s3, s11, 31
	s_mov_b32 s2, s11
	v_mov_b32_e32 v5, 0
	v_cndmask_b32_e64 v8, v4, v2, s[0:1]
	v_cndmask_b32_e64 v9, v2, v4, s[0:1]
	v_cmp_gt_i64_e64 s[0:1], s[2:3], v[4:5]
	v_mov_b32_e32 v3, v5
	v_ashrrev_i32_e32 v5, 31, v2
	v_mul_lo_u32 v5, s38, v5
	v_mul_lo_u32 v10, s39, v2
	v_mad_u64_u32 v[6:7], s[4:5], s38, v2, 0
	v_cmp_gt_i64_e64 s[2:3], s[2:3], v[2:3]
	v_max_i32_e32 v3, v4, v2
	v_cmp_gt_i32_e32 vcc, s11, v3
	v_cmp_le_i32_e64 s[4:5], v9, v8
	v_add3_u32 v7, v7, v5, v10
	v_mov_b32_e32 v3, s10
	v_mad_u64_u32 v[8:9], s[10:11], s18, v2, 0
	v_lshlrev_b64 v[6:7], 4, v[6:7]
	s_and_b64 s[4:5], s[4:5], vcc
	v_add_co_u32_e32 v12, vcc, s14, v6
	v_addc_co_u32_e32 v7, vcc, v3, v7, vcc
	v_mov_b32_e32 v3, v9
	v_ashrrev_i32_e32 v5, 31, v4
	v_mad_u64_u32 v[9:10], s[10:11], s19, v2, v[3:4]
	v_lshlrev_b64 v[5:6], 4, v[4:5]
	s_lshl_b64 s[10:11], s[20:21], 4
	v_add_co_u32_e32 v22, vcc, v12, v5
	v_addc_co_u32_e32 v23, vcc, v7, v6, vcc
	v_lshlrev_b64 v[5:6], 4, v[8:9]
	v_mov_b32_e32 v8, s11
	v_add_co_u32_e32 v3, vcc, s10, v5
	v_addc_co_u32_e32 v7, vcc, v6, v8, vcc
	v_mad_u64_u32 v[5:6], s[14:15], s18, v4, 0
	v_lshlrev_b32_e32 v9, 4, v0
	v_add_co_u32_e32 v10, vcc, v3, v9
	v_mov_b32_e32 v3, v6
	v_addc_co_u32_e32 v12, vcc, 0, v7, vcc
	v_mad_u64_u32 v[6:7], s[14:15], s19, v4, v[3:4]
	v_mov_b32_e32 v13, s9
	v_add_co_u32_e32 v28, vcc, s8, v10
	v_lshlrev_b64 v[5:6], 4, v[5:6]
	v_addc_co_u32_e32 v29, vcc, v13, v12, vcc
	v_add_co_u32_e32 v3, vcc, s10, v5
	v_addc_co_u32_e32 v7, vcc, v6, v8, vcc
	v_mad_u64_u32 v[5:6], s[10:11], s24, v2, 0
	v_lshlrev_b32_e32 v11, 4, v1
	v_add_co_u32_e32 v8, vcc, v3, v11
	v_mov_b32_e32 v3, v6
	v_mad_u64_u32 v[2:3], s[10:11], s25, v2, v[3:4]
	v_addc_co_u32_e32 v7, vcc, 0, v7, vcc
	v_mov_b32_e32 v6, v2
	v_add_co_u32_e32 v30, vcc, s8, v8
	v_lshlrev_b64 v[2:3], 4, v[5:6]
	v_addc_co_u32_e32 v31, vcc, v13, v7, vcc
	s_lshl_b64 s[8:9], s[26:27], 4
	v_mov_b32_e32 v5, s9
	v_add_co_u32_e32 v6, vcc, s8, v2
	v_addc_co_u32_e32 v7, vcc, v3, v5, vcc
	v_mad_u64_u32 v[2:3], s[10:11], s24, v4, 0
	v_add_co_u32_e32 v6, vcc, v6, v9
	v_mad_u64_u32 v[3:4], s[10:11], s25, v4, v[3:4]
	v_addc_co_u32_e32 v7, vcc, 0, v7, vcc
	v_mov_b32_e32 v8, s7
	v_add_co_u32_e32 v32, vcc, s6, v6
	v_lshlrev_b64 v[2:3], 4, v[2:3]
	v_addc_co_u32_e32 v33, vcc, v8, v7, vcc
	v_add_co_u32_e32 v2, vcc, s8, v2
	v_addc_co_u32_e32 v3, vcc, v3, v5, vcc
	v_add_co_u32_e32 v2, vcc, v2, v11
	v_addc_co_u32_e32 v3, vcc, 0, v3, vcc
	v_lshlrev_b32_e32 v24, 9, v0
	v_or_b32_e32 v26, 0x4000, v11
	v_add_co_u32_e32 v34, vcc, s6, v2
	v_add_u32_e32 v25, v24, v11
	v_add_u32_e32 v27, v26, v24
	v_addc_co_u32_e32 v35, vcc, v8, v3, vcc
	s_mov_b64 s[6:7], 0
	s_mov_b64 s[8:9], 0
	s_branch .LBB1887_4
.LBB1887_3:                             ;   in Loop: Header=BB1887_4 Depth=1
	s_or_b64 exec, exec, s[10:11]
	s_add_u32 s8, s8, 32
	v_mov_b32_e32 v2, s12
	s_addc_u32 s9, s9, 0
	v_mov_b32_e32 v3, s13
	v_cmp_lt_i64_e32 vcc, s[8:9], v[2:3]
	s_add_u32 s6, s6, 0x200
	s_addc_u32 s7, s7, 0
	s_waitcnt vmcnt(0) lgkmcnt(0)
	s_barrier
	s_cbranch_vccz .LBB1887_16
.LBB1887_4:                             ; =>This Inner Loop Header: Depth=1
	v_mov_b32_e32 v3, s9
	v_add_co_u32_e32 v2, vcc, s8, v1
	v_addc_co_u32_e32 v3, vcc, 0, v3, vcc
	v_cmp_gt_i64_e32 vcc, s[12:13], v[2:3]
	v_mov_b32_e32 v2, 0
	v_mov_b32_e32 v4, 0
	;; [unrolled: 1-line block ×6, first 2 shown]
	s_and_b64 s[10:11], s[0:1], vcc
	s_and_saveexec_b64 s[14:15], s[10:11]
	s_cbranch_execz .LBB1887_6
; %bb.5:                                ;   in Loop: Header=BB1887_4 Depth=1
	v_mov_b32_e32 v5, s7
	v_add_co_u32_e32 v4, vcc, s6, v30
	v_addc_co_u32_e32 v5, vcc, v31, v5, vcc
	flat_load_dwordx4 v[4:7], v[4:5]
.LBB1887_6:                             ;   in Loop: Header=BB1887_4 Depth=1
	s_or_b64 exec, exec, s[14:15]
	s_waitcnt vmcnt(0) lgkmcnt(0)
	ds_write_b128 v25, v[4:7]
	v_mov_b32_e32 v5, s9
	v_add_co_u32_e32 v4, vcc, s8, v0
	v_addc_co_u32_e32 v5, vcc, 0, v5, vcc
	v_cmp_gt_i64_e32 vcc, s[12:13], v[4:5]
	v_mov_b32_e32 v4, 0
	v_mov_b32_e32 v5, 0
	s_and_b64 s[14:15], s[2:3], vcc
	s_and_saveexec_b64 s[16:17], s[14:15]
	s_cbranch_execz .LBB1887_8
; %bb.7:                                ;   in Loop: Header=BB1887_4 Depth=1
	v_mov_b32_e32 v3, s7
	v_add_co_u32_e32 v2, vcc, s6, v32
	v_addc_co_u32_e32 v3, vcc, v33, v3, vcc
	flat_load_dwordx4 v[2:5], v[2:3]
.LBB1887_8:                             ;   in Loop: Header=BB1887_4 Depth=1
	s_or_b64 exec, exec, s[16:17]
	s_waitcnt vmcnt(0) lgkmcnt(0)
	ds_write_b128 v27, v[2:5]
	s_waitcnt lgkmcnt(0)
	s_barrier
	s_and_saveexec_b64 s[16:17], s[4:5]
	s_cbranch_execz .LBB1887_10
; %bb.9:                                ;   in Loop: Header=BB1887_4 Depth=1
	ds_read_b128 v[6:9], v26
	ds_read_b128 v[10:13], v24
	ds_read_b128 v[14:17], v24 offset:16
	ds_read_b128 v[18:21], v24 offset:32
	;; [unrolled: 1-line block ×3, first 2 shown]
	s_waitcnt lgkmcnt(3)
	v_mul_f64 v[36:37], v[8:9], v[12:13]
	v_fma_f64 v[36:37], v[6:7], v[10:11], -v[36:37]
	v_mul_f64 v[6:7], v[6:7], v[12:13]
	v_fma_f64 v[6:7], v[8:9], v[10:11], v[6:7]
	v_add_f64 v[10:11], v[36:37], 0
	v_add_f64 v[12:13], v[6:7], 0
	ds_read_b128 v[6:9], v26 offset:512
	s_waitcnt lgkmcnt(0)
	v_mul_f64 v[36:37], v[8:9], v[16:17]
	v_fma_f64 v[36:37], v[6:7], v[14:15], -v[36:37]
	v_mul_f64 v[6:7], v[6:7], v[16:17]
	v_add_f64 v[10:11], v[10:11], v[36:37]
	v_fma_f64 v[6:7], v[8:9], v[14:15], v[6:7]
	v_add_f64 v[12:13], v[12:13], v[6:7]
	ds_read_b128 v[6:9], v26 offset:1024
	s_waitcnt lgkmcnt(0)
	v_mul_f64 v[14:15], v[8:9], v[20:21]
	v_fma_f64 v[14:15], v[6:7], v[18:19], -v[14:15]
	v_mul_f64 v[6:7], v[6:7], v[20:21]
	v_add_f64 v[10:11], v[10:11], v[14:15]
	v_fma_f64 v[6:7], v[8:9], v[18:19], v[6:7]
	v_add_f64 v[12:13], v[12:13], v[6:7]
	ds_read_b128 v[6:9], v26 offset:1536
	s_waitcnt lgkmcnt(0)
	v_mul_f64 v[14:15], v[8:9], v[4:5]
	v_mul_f64 v[4:5], v[6:7], v[4:5]
	v_fma_f64 v[14:15], v[6:7], v[2:3], -v[14:15]
	v_fma_f64 v[2:3], v[8:9], v[2:3], v[4:5]
	v_add_f64 v[10:11], v[10:11], v[14:15]
	v_add_f64 v[12:13], v[12:13], v[2:3]
	ds_read_b128 v[2:5], v26 offset:2048
	ds_read_b128 v[6:9], v24 offset:64
	s_waitcnt lgkmcnt(0)
	v_mul_f64 v[14:15], v[4:5], v[8:9]
	v_fma_f64 v[14:15], v[2:3], v[6:7], -v[14:15]
	v_mul_f64 v[2:3], v[2:3], v[8:9]
	v_add_f64 v[10:11], v[10:11], v[14:15]
	v_fma_f64 v[2:3], v[4:5], v[6:7], v[2:3]
	v_add_f64 v[12:13], v[12:13], v[2:3]
	ds_read_b128 v[2:5], v26 offset:2560
	ds_read_b128 v[6:9], v24 offset:80
	s_waitcnt lgkmcnt(0)
	v_mul_f64 v[14:15], v[4:5], v[8:9]
	v_fma_f64 v[14:15], v[2:3], v[6:7], -v[14:15]
	v_mul_f64 v[2:3], v[2:3], v[8:9]
	v_add_f64 v[10:11], v[10:11], v[14:15]
	v_fma_f64 v[2:3], v[4:5], v[6:7], v[2:3]
	;; [unrolled: 9-line block ×27, first 2 shown]
	v_add_f64 v[12:13], v[12:13], v[2:3]
	ds_read_b128 v[2:5], v26 offset:15872
	ds_read_b128 v[6:9], v24 offset:496
	s_waitcnt lgkmcnt(0)
	v_mul_f64 v[14:15], v[4:5], v[8:9]
	v_fma_f64 v[14:15], v[2:3], v[6:7], -v[14:15]
	v_mul_f64 v[2:3], v[2:3], v[8:9]
	v_fma_f64 v[2:3], v[4:5], v[6:7], v[2:3]
	v_add_f64 v[4:5], v[10:11], v[14:15]
	v_add_f64 v[2:3], v[12:13], v[2:3]
	v_mul_f64 v[6:7], s[30:31], v[2:3]
	v_mul_f64 v[2:3], s[28:29], v[2:3]
	v_fma_f64 v[6:7], s[28:29], v[4:5], -v[6:7]
	v_fma_f64 v[8:9], s[30:31], v[4:5], v[2:3]
	flat_load_dwordx4 v[2:5], v[22:23]
	s_waitcnt vmcnt(0) lgkmcnt(0)
	v_add_f64 v[2:3], v[2:3], v[6:7]
	v_add_f64 v[4:5], v[4:5], v[8:9]
	flat_store_dwordx4 v[22:23], v[2:5]
.LBB1887_10:                            ;   in Loop: Header=BB1887_4 Depth=1
	s_or_b64 exec, exec, s[16:17]
	v_mov_b32_e32 v4, 0
	v_mov_b32_e32 v8, 0
	;; [unrolled: 1-line block ×6, first 2 shown]
	s_waitcnt vmcnt(0) lgkmcnt(0)
	s_barrier
	s_and_saveexec_b64 s[16:17], s[10:11]
	s_cbranch_execz .LBB1887_12
; %bb.11:                               ;   in Loop: Header=BB1887_4 Depth=1
	v_mov_b32_e32 v3, s7
	v_add_co_u32_e32 v2, vcc, s6, v34
	v_addc_co_u32_e32 v3, vcc, v35, v3, vcc
	flat_load_dwordx4 v[6:9], v[2:3]
.LBB1887_12:                            ;   in Loop: Header=BB1887_4 Depth=1
	s_or_b64 exec, exec, s[16:17]
	v_mov_b32_e32 v2, 0
	v_mov_b32_e32 v3, 0
	s_waitcnt vmcnt(0) lgkmcnt(0)
	ds_write_b128 v25, v[6:9]
	s_and_saveexec_b64 s[10:11], s[14:15]
	s_cbranch_execz .LBB1887_14
; %bb.13:                               ;   in Loop: Header=BB1887_4 Depth=1
	v_mov_b32_e32 v3, s7
	v_add_co_u32_e32 v2, vcc, s6, v28
	v_addc_co_u32_e32 v3, vcc, v29, v3, vcc
	flat_load_dwordx4 v[2:5], v[2:3]
.LBB1887_14:                            ;   in Loop: Header=BB1887_4 Depth=1
	s_or_b64 exec, exec, s[10:11]
	s_waitcnt vmcnt(0) lgkmcnt(0)
	ds_write_b128 v27, v[2:5]
	s_waitcnt lgkmcnt(0)
	s_barrier
	s_and_saveexec_b64 s[10:11], s[4:5]
	s_cbranch_execz .LBB1887_3
; %bb.15:                               ;   in Loop: Header=BB1887_4 Depth=1
	ds_read_b128 v[2:5], v26
	ds_read_b128 v[6:9], v24
	ds_read_b128 v[10:13], v24 offset:16
	ds_read_b128 v[14:17], v26 offset:512
	;; [unrolled: 1-line block ×5, first 2 shown]
	s_waitcnt lgkmcnt(5)
	v_mul_f64 v[44:45], v[2:3], v[8:9]
	v_mul_f64 v[8:9], v[4:5], v[8:9]
	s_waitcnt lgkmcnt(3)
	v_mul_f64 v[46:47], v[16:17], v[12:13]
	v_mul_f64 v[12:13], v[14:15], v[12:13]
	s_waitcnt lgkmcnt(1)
	v_mul_f64 v[50:51], v[20:21], v[38:39]
	v_mul_f64 v[38:39], v[18:19], v[38:39]
	v_fma_f64 v[44:45], v[4:5], v[6:7], v[44:45]
	v_fma_f64 v[48:49], v[2:3], v[6:7], -v[8:9]
	v_fma_f64 v[46:47], v[14:15], v[10:11], -v[46:47]
	v_fma_f64 v[52:53], v[16:17], v[10:11], v[12:13]
	ds_read_b128 v[2:5], v26 offset:1536
	ds_read_b128 v[6:9], v24 offset:64
	v_fma_f64 v[50:51], v[18:19], v[36:37], -v[50:51]
	v_fma_f64 v[56:57], v[20:21], v[36:37], v[38:39]
	ds_read_b128 v[10:13], v26 offset:2048
	ds_read_b128 v[14:17], v26 offset:2560
	v_add_f64 v[44:45], v[44:45], 0
	v_add_f64 v[48:49], v[48:49], 0
	s_waitcnt lgkmcnt(3)
	v_mul_f64 v[54:55], v[4:5], v[42:43]
	v_mul_f64 v[42:43], v[2:3], v[42:43]
	ds_read_b128 v[18:21], v24 offset:80
	ds_read_b128 v[36:39], v24 offset:96
	v_add_f64 v[44:45], v[44:45], v[52:53]
	v_add_f64 v[46:47], v[48:49], v[46:47]
	s_waitcnt lgkmcnt(3)
	v_mul_f64 v[48:49], v[12:13], v[8:9]
	v_mul_f64 v[8:9], v[10:11], v[8:9]
	v_fma_f64 v[52:53], v[2:3], v[40:41], -v[54:55]
	v_fma_f64 v[54:55], v[4:5], v[40:41], v[42:43]
	ds_read_b128 v[2:5], v26 offset:3072
	ds_read_b128 v[40:43], v26 offset:3584
	v_add_f64 v[44:45], v[44:45], v[56:57]
	v_add_f64 v[46:47], v[46:47], v[50:51]
	s_waitcnt lgkmcnt(3)
	v_mul_f64 v[50:51], v[16:17], v[20:21]
	v_mul_f64 v[20:21], v[14:15], v[20:21]
	v_fma_f64 v[48:49], v[10:11], v[6:7], -v[48:49]
	v_fma_f64 v[56:57], v[12:13], v[6:7], v[8:9]
	;; [unrolled: 9-line block ×15, first 2 shown]
	s_waitcnt lgkmcnt(1)
	v_mul_f64 v[54:55], v[42:43], v[8:9]
	v_mul_f64 v[56:57], v[40:41], v[8:9]
	v_add_f64 v[20:21], v[44:45], v[16:17]
	v_add_f64 v[48:49], v[46:47], v[48:49]
	v_fma_f64 v[52:53], v[2:3], v[36:37], -v[52:53]
	v_fma_f64 v[36:37], v[4:5], v[36:37], v[38:39]
	ds_read_b128 v[16:19], v26 offset:10240
	ds_read_b128 v[44:47], v26 offset:10752
	v_add_f64 v[20:21], v[20:21], v[10:11]
	v_add_f64 v[38:39], v[48:49], v[50:51]
	s_waitcnt lgkmcnt(1)
	v_mul_f64 v[48:49], v[18:19], v[14:15]
	v_mul_f64 v[14:15], v[16:17], v[14:15]
	v_fma_f64 v[50:51], v[40:41], v[6:7], -v[54:55]
	v_fma_f64 v[6:7], v[42:43], v[6:7], v[56:57]
	ds_read_b128 v[2:5], v24 offset:336
	ds_read_b128 v[8:11], v24 offset:352
	v_add_f64 v[20:21], v[20:21], v[36:37]
	v_add_f64 v[52:53], v[38:39], v[52:53]
	s_waitcnt lgkmcnt(1)
	v_mul_f64 v[54:55], v[46:47], v[4:5]
	v_mul_f64 v[4:5], v[44:45], v[4:5]
	;; [unrolled: 9-line block ×3, first 2 shown]
	v_fma_f64 v[52:53], v[44:45], v[2:3], -v[54:55]
	v_fma_f64 v[54:55], v[46:47], v[2:3], v[4:5]
	ds_read_b128 v[14:17], v24 offset:368
	ds_read_b128 v[48:51], v24 offset:384
	;; [unrolled: 1-line block ×4, first 2 shown]
	v_add_f64 v[6:7], v[6:7], v[12:13]
	v_add_f64 v[12:13], v[18:19], v[56:57]
	s_waitcnt lgkmcnt(3)
	v_mul_f64 v[18:19], v[42:43], v[16:17]
	v_mul_f64 v[16:17], v[40:41], v[16:17]
	v_fma_f64 v[20:21], v[36:37], v[8:9], -v[20:21]
	v_fma_f64 v[36:37], v[38:39], v[8:9], v[10:11]
	v_add_f64 v[38:39], v[6:7], v[54:55]
	v_add_f64 v[52:53], v[12:13], v[52:53]
	s_waitcnt lgkmcnt(1)
	v_mul_f64 v[54:55], v[46:47], v[50:51]
	v_mul_f64 v[50:51], v[44:45], v[50:51]
	v_fma_f64 v[40:41], v[40:41], v[14:15], -v[18:19]
	v_fma_f64 v[42:43], v[42:43], v[14:15], v[16:17]
	ds_read_b128 v[6:9], v24 offset:400
	ds_read_b128 v[10:13], v24 offset:416
	v_add_f64 v[36:37], v[38:39], v[36:37]
	v_add_f64 v[38:39], v[52:53], v[20:21]
	s_waitcnt lgkmcnt(1)
	v_mul_f64 v[52:53], v[4:5], v[8:9]
	v_mul_f64 v[8:9], v[2:3], v[8:9]
	v_fma_f64 v[44:45], v[44:45], v[48:49], -v[54:55]
	v_fma_f64 v[46:47], v[46:47], v[48:49], v[50:51]
	ds_read_b128 v[14:17], v26 offset:13312
	ds_read_b128 v[18:21], v26 offset:13824
	v_add_f64 v[48:49], v[36:37], v[42:43]
	v_add_f64 v[50:51], v[38:39], v[40:41]
	flat_load_dwordx4 v[40:43], v[22:23]
	s_waitcnt lgkmcnt(0)
	v_mul_f64 v[54:55], v[16:17], v[12:13]
	v_mul_f64 v[12:13], v[14:15], v[12:13]
	v_fma_f64 v[52:53], v[2:3], v[6:7], -v[52:53]
	v_fma_f64 v[56:57], v[4:5], v[6:7], v[8:9]
	ds_read_b128 v[36:39], v24 offset:432
	v_add_f64 v[46:47], v[48:49], v[46:47]
	v_add_f64 v[44:45], v[50:51], v[44:45]
	ds_read_b128 v[2:5], v24 offset:448
	ds_read_b128 v[6:9], v26 offset:14336
	v_fma_f64 v[50:51], v[14:15], v[10:11], -v[54:55]
	s_waitcnt lgkmcnt(0)
	v_mul_f64 v[48:49], v[20:21], v[38:39]
	v_mul_f64 v[38:39], v[18:19], v[38:39]
	v_fma_f64 v[54:55], v[16:17], v[10:11], v[12:13]
	ds_read_b128 v[10:13], v26 offset:14848
	ds_read_b128 v[14:17], v24 offset:464
	v_add_f64 v[46:47], v[46:47], v[56:57]
	v_add_f64 v[44:45], v[44:45], v[52:53]
	v_mul_f64 v[52:53], v[8:9], v[4:5]
	v_mul_f64 v[4:5], v[6:7], v[4:5]
	v_fma_f64 v[48:49], v[18:19], v[36:37], -v[48:49]
	v_fma_f64 v[56:57], v[20:21], v[36:37], v[38:39]
	ds_read_b128 v[18:21], v26 offset:15360
	ds_read_b128 v[36:39], v24 offset:480
	v_add_f64 v[46:47], v[46:47], v[54:55]
	v_add_f64 v[44:45], v[44:45], v[50:51]
	s_waitcnt lgkmcnt(0)
	v_mul_f64 v[50:51], v[12:13], v[16:17]
	v_mul_f64 v[16:17], v[10:11], v[16:17]
	v_fma_f64 v[52:53], v[6:7], v[2:3], -v[52:53]
	v_fma_f64 v[54:55], v[8:9], v[2:3], v[4:5]
	ds_read_b128 v[2:5], v26 offset:15872
	ds_read_b128 v[6:9], v24 offset:496
	v_add_f64 v[46:47], v[46:47], v[56:57]
	v_add_f64 v[44:45], v[44:45], v[48:49]
	v_mul_f64 v[48:49], v[20:21], v[38:39]
	v_mul_f64 v[38:39], v[18:19], v[38:39]
	v_fma_f64 v[10:11], v[10:11], v[14:15], -v[50:51]
	v_fma_f64 v[12:13], v[12:13], v[14:15], v[16:17]
	v_add_f64 v[14:15], v[46:47], v[54:55]
	v_add_f64 v[16:17], v[44:45], v[52:53]
	s_waitcnt lgkmcnt(0)
	v_mul_f64 v[44:45], v[4:5], v[8:9]
	v_mul_f64 v[8:9], v[2:3], v[8:9]
	v_fma_f64 v[18:19], v[18:19], v[36:37], -v[48:49]
	v_fma_f64 v[20:21], v[20:21], v[36:37], v[38:39]
	v_add_f64 v[12:13], v[14:15], v[12:13]
	v_add_f64 v[10:11], v[16:17], v[10:11]
	v_fma_f64 v[2:3], v[2:3], v[6:7], -v[44:45]
	v_fma_f64 v[4:5], v[4:5], v[6:7], v[8:9]
	v_add_f64 v[6:7], v[12:13], v[20:21]
	v_add_f64 v[8:9], v[10:11], v[18:19]
	;; [unrolled: 1-line block ×4, first 2 shown]
	v_mul_f64 v[6:7], s[30:31], v[4:5]
	v_mul_f64 v[8:9], s[30:31], v[2:3]
	v_fma_f64 v[2:3], s[28:29], v[2:3], -v[6:7]
	v_fma_f64 v[4:5], s[28:29], v[4:5], v[8:9]
	s_waitcnt vmcnt(0)
	v_add_f64 v[2:3], v[40:41], v[2:3]
	v_add_f64 v[4:5], v[42:43], v[4:5]
	flat_store_dwordx4 v[22:23], v[2:5]
	s_branch .LBB1887_3
.LBB1887_16:
	s_endpgm
	.section	.rodata,"a",@progbits
	.p2align	6, 0x0
	.amdhsa_kernel _ZL26rocblas_syr2k_her2k_kernelIlLb1ELb0ELb1ELi32EPK19rocblas_complex_numIdEPKS3_PKPS1_EvbiT_T4_T5_S9_lSB_S9_lT6_S9_li
		.amdhsa_group_segment_fixed_size 32768
		.amdhsa_private_segment_fixed_size 0
		.amdhsa_kernarg_size 100
		.amdhsa_user_sgpr_count 6
		.amdhsa_user_sgpr_private_segment_buffer 1
		.amdhsa_user_sgpr_dispatch_ptr 0
		.amdhsa_user_sgpr_queue_ptr 0
		.amdhsa_user_sgpr_kernarg_segment_ptr 1
		.amdhsa_user_sgpr_dispatch_id 0
		.amdhsa_user_sgpr_flat_scratch_init 0
		.amdhsa_user_sgpr_private_segment_size 0
		.amdhsa_uses_dynamic_stack 0
		.amdhsa_system_sgpr_private_segment_wavefront_offset 0
		.amdhsa_system_sgpr_workgroup_id_x 1
		.amdhsa_system_sgpr_workgroup_id_y 1
		.amdhsa_system_sgpr_workgroup_id_z 1
		.amdhsa_system_sgpr_workgroup_info 0
		.amdhsa_system_vgpr_workitem_id 1
		.amdhsa_next_free_vgpr 58
		.amdhsa_next_free_sgpr 61
		.amdhsa_reserve_vcc 1
		.amdhsa_reserve_flat_scratch 0
		.amdhsa_float_round_mode_32 0
		.amdhsa_float_round_mode_16_64 0
		.amdhsa_float_denorm_mode_32 3
		.amdhsa_float_denorm_mode_16_64 3
		.amdhsa_dx10_clamp 1
		.amdhsa_ieee_mode 1
		.amdhsa_fp16_overflow 0
		.amdhsa_exception_fp_ieee_invalid_op 0
		.amdhsa_exception_fp_denorm_src 0
		.amdhsa_exception_fp_ieee_div_zero 0
		.amdhsa_exception_fp_ieee_overflow 0
		.amdhsa_exception_fp_ieee_underflow 0
		.amdhsa_exception_fp_ieee_inexact 0
		.amdhsa_exception_int_div_zero 0
	.end_amdhsa_kernel
	.section	.text._ZL26rocblas_syr2k_her2k_kernelIlLb1ELb0ELb1ELi32EPK19rocblas_complex_numIdEPKS3_PKPS1_EvbiT_T4_T5_S9_lSB_S9_lT6_S9_li,"axG",@progbits,_ZL26rocblas_syr2k_her2k_kernelIlLb1ELb0ELb1ELi32EPK19rocblas_complex_numIdEPKS3_PKPS1_EvbiT_T4_T5_S9_lSB_S9_lT6_S9_li,comdat
.Lfunc_end1887:
	.size	_ZL26rocblas_syr2k_her2k_kernelIlLb1ELb0ELb1ELi32EPK19rocblas_complex_numIdEPKS3_PKPS1_EvbiT_T4_T5_S9_lSB_S9_lT6_S9_li, .Lfunc_end1887-_ZL26rocblas_syr2k_her2k_kernelIlLb1ELb0ELb1ELi32EPK19rocblas_complex_numIdEPKS3_PKPS1_EvbiT_T4_T5_S9_lSB_S9_lT6_S9_li
                                        ; -- End function
	.set _ZL26rocblas_syr2k_her2k_kernelIlLb1ELb0ELb1ELi32EPK19rocblas_complex_numIdEPKS3_PKPS1_EvbiT_T4_T5_S9_lSB_S9_lT6_S9_li.num_vgpr, 58
	.set _ZL26rocblas_syr2k_her2k_kernelIlLb1ELb0ELb1ELi32EPK19rocblas_complex_numIdEPKS3_PKPS1_EvbiT_T4_T5_S9_lSB_S9_lT6_S9_li.num_agpr, 0
	.set _ZL26rocblas_syr2k_her2k_kernelIlLb1ELb0ELb1ELi32EPK19rocblas_complex_numIdEPKS3_PKPS1_EvbiT_T4_T5_S9_lSB_S9_lT6_S9_li.numbered_sgpr, 40
	.set _ZL26rocblas_syr2k_her2k_kernelIlLb1ELb0ELb1ELi32EPK19rocblas_complex_numIdEPKS3_PKPS1_EvbiT_T4_T5_S9_lSB_S9_lT6_S9_li.num_named_barrier, 0
	.set _ZL26rocblas_syr2k_her2k_kernelIlLb1ELb0ELb1ELi32EPK19rocblas_complex_numIdEPKS3_PKPS1_EvbiT_T4_T5_S9_lSB_S9_lT6_S9_li.private_seg_size, 0
	.set _ZL26rocblas_syr2k_her2k_kernelIlLb1ELb0ELb1ELi32EPK19rocblas_complex_numIdEPKS3_PKPS1_EvbiT_T4_T5_S9_lSB_S9_lT6_S9_li.uses_vcc, 1
	.set _ZL26rocblas_syr2k_her2k_kernelIlLb1ELb0ELb1ELi32EPK19rocblas_complex_numIdEPKS3_PKPS1_EvbiT_T4_T5_S9_lSB_S9_lT6_S9_li.uses_flat_scratch, 0
	.set _ZL26rocblas_syr2k_her2k_kernelIlLb1ELb0ELb1ELi32EPK19rocblas_complex_numIdEPKS3_PKPS1_EvbiT_T4_T5_S9_lSB_S9_lT6_S9_li.has_dyn_sized_stack, 0
	.set _ZL26rocblas_syr2k_her2k_kernelIlLb1ELb0ELb1ELi32EPK19rocblas_complex_numIdEPKS3_PKPS1_EvbiT_T4_T5_S9_lSB_S9_lT6_S9_li.has_recursion, 0
	.set _ZL26rocblas_syr2k_her2k_kernelIlLb1ELb0ELb1ELi32EPK19rocblas_complex_numIdEPKS3_PKPS1_EvbiT_T4_T5_S9_lSB_S9_lT6_S9_li.has_indirect_call, 0
	.section	.AMDGPU.csdata,"",@progbits
; Kernel info:
; codeLenInByte = 5500
; TotalNumSgprs: 44
; NumVgprs: 58
; ScratchSize: 0
; MemoryBound: 1
; FloatMode: 240
; IeeeMode: 1
; LDSByteSize: 32768 bytes/workgroup (compile time only)
; SGPRBlocks: 8
; VGPRBlocks: 14
; NumSGPRsForWavesPerEU: 65
; NumVGPRsForWavesPerEU: 58
; Occupancy: 4
; WaveLimiterHint : 1
; COMPUTE_PGM_RSRC2:SCRATCH_EN: 0
; COMPUTE_PGM_RSRC2:USER_SGPR: 6
; COMPUTE_PGM_RSRC2:TRAP_HANDLER: 0
; COMPUTE_PGM_RSRC2:TGID_X_EN: 1
; COMPUTE_PGM_RSRC2:TGID_Y_EN: 1
; COMPUTE_PGM_RSRC2:TGID_Z_EN: 1
; COMPUTE_PGM_RSRC2:TIDIG_COMP_CNT: 1
	.section	.text._ZL26rocblas_syr2k_her2k_kernelIlLb1ELb1ELb0ELi32E19rocblas_complex_numIfEPKPKS1_PKPS1_EvbiT_T4_T5_S9_lSB_S9_lT6_S9_li,"axG",@progbits,_ZL26rocblas_syr2k_her2k_kernelIlLb1ELb1ELb0ELi32E19rocblas_complex_numIfEPKPKS1_PKPS1_EvbiT_T4_T5_S9_lSB_S9_lT6_S9_li,comdat
	.globl	_ZL26rocblas_syr2k_her2k_kernelIlLb1ELb1ELb0ELi32E19rocblas_complex_numIfEPKPKS1_PKPS1_EvbiT_T4_T5_S9_lSB_S9_lT6_S9_li ; -- Begin function _ZL26rocblas_syr2k_her2k_kernelIlLb1ELb1ELb0ELi32E19rocblas_complex_numIfEPKPKS1_PKPS1_EvbiT_T4_T5_S9_lSB_S9_lT6_S9_li
	.p2align	8
	.type	_ZL26rocblas_syr2k_her2k_kernelIlLb1ELb1ELb0ELi32E19rocblas_complex_numIfEPKPKS1_PKPS1_EvbiT_T4_T5_S9_lSB_S9_lT6_S9_li,@function
_ZL26rocblas_syr2k_her2k_kernelIlLb1ELb1ELb0ELi32E19rocblas_complex_numIfEPKPKS1_PKPS1_EvbiT_T4_T5_S9_lSB_S9_lT6_S9_li: ; @_ZL26rocblas_syr2k_her2k_kernelIlLb1ELb1ELb0ELi32E19rocblas_complex_numIfEPKPKS1_PKPS1_EvbiT_T4_T5_S9_lSB_S9_lT6_S9_li
; %bb.0:
	s_load_dwordx2 s[10:11], s[4:5], 0x10
	s_waitcnt lgkmcnt(0)
	v_cmp_eq_f32_e64 s[0:1], s10, 0
	v_cmp_eq_f32_e64 s[2:3], s11, 0
	s_and_b64 s[0:1], s[0:1], s[2:3]
	s_and_b64 vcc, exec, s[0:1]
	s_cbranch_vccnz .LBB1888_16
; %bb.1:
	s_load_dwordx4 s[28:31], s[4:5], 0x0
	s_lshl_b32 s3, s7, 5
	s_lshl_b32 s2, s6, 5
	s_waitcnt lgkmcnt(0)
	s_and_b32 s0, 1, s28
	s_cmp_eq_u32 s0, 1
	s_cselect_b64 s[0:1], -1, 0
	s_and_b64 s[6:7], s[0:1], exec
	s_cselect_b32 s6, s2, s3
	s_cselect_b32 s7, s3, s2
	s_cmp_gt_i32 s6, s7
	v_cmp_lt_i64_e64 s[6:7], s[30:31], 1
	s_cselect_b64 s[12:13], -1, 0
	s_or_b64 s[6:7], s[12:13], s[6:7]
	s_and_b64 vcc, exec, s[6:7]
	s_cbranch_vccnz .LBB1888_16
; %bb.2:
	s_load_dwordx16 s[12:27], s[4:5], 0x18
	s_mov_b32 s9, 0
	s_lshl_b64 s[6:7], s[8:9], 3
	s_load_dwordx2 s[4:5], s[4:5], 0x58
	v_add_u32_e32 v2, s3, v1
	s_waitcnt lgkmcnt(0)
	s_add_u32 s8, s12, s6
	s_addc_u32 s9, s13, s7
	s_add_u32 s12, s18, s6
	s_addc_u32 s13, s19, s7
	s_add_u32 s6, s24, s6
	v_lshlrev_b32_e32 v18, 8, v0
	v_lshlrev_b32_e32 v6, 3, v1
	s_addc_u32 s7, s25, s7
	v_add_u32_e32 v19, v18, v6
	v_or_b32_e32 v20, 0x2000, v6
	v_ashrrev_i32_e32 v6, 31, v2
	s_load_dwordx2 s[6:7], s[6:7], 0x0
	v_add_u32_e32 v4, s2, v0
	s_lshl_b64 s[2:3], s[4:5], 3
	v_mul_lo_u32 v11, s26, v6
	v_mul_lo_u32 v12, s27, v2
	v_mad_u64_u32 v[6:7], s[4:5], s26, v2, 0
	v_cndmask_b32_e64 v8, v4, v2, s[0:1]
	v_cndmask_b32_e64 v9, v2, v4, s[0:1]
	v_max_i32_e32 v10, v4, v2
	v_add3_u32 v7, v7, v11, v12
	s_load_dwordx2 s[18:19], s[8:9], 0x0
	s_load_dwordx2 s[24:25], s[12:13], 0x0
	s_waitcnt lgkmcnt(0)
	s_add_u32 s8, s6, s2
	v_cmp_gt_i32_e32 vcc, s29, v10
	v_cmp_le_i32_e64 s[4:5], v9, v8
	v_lshlrev_b64 v[6:7], 3, v[6:7]
	s_addc_u32 s9, s7, s3
	s_and_b64 s[6:7], s[4:5], vcc
	v_mad_u64_u32 v[14:15], s[4:5], s14, v0, 0
	v_ashrrev_i32_e32 v9, 31, v4
	v_mov_b32_e32 v8, v4
	v_mov_b32_e32 v10, s9
	v_add_co_u32_e32 v11, vcc, s8, v6
	v_addc_co_u32_e32 v12, vcc, v10, v7, vcc
	v_lshlrev_b64 v[6:7], 3, v[8:9]
	v_mov_b32_e32 v8, v15
	v_add_co_u32_e32 v10, vcc, v11, v6
	v_mad_u64_u32 v[8:9], s[4:5], s15, v0, v[8:9]
	v_addc_co_u32_e32 v11, vcc, v12, v7, vcc
	v_mad_u64_u32 v[6:7], s[8:9], s20, v0, 0
	s_ashr_i32 s3, s29, 31
	s_lshl_b64 s[4:5], s[16:17], 3
	s_add_u32 s12, s18, s4
	v_mov_b32_e32 v5, 0
	s_addc_u32 s8, s19, s5
	s_mov_b32 s2, s29
	v_mov_b32_e32 v3, v5
	v_mov_b32_e32 v15, v8
	;; [unrolled: 1-line block ×3, first 2 shown]
	v_mad_u64_u32 v[7:8], s[8:9], s21, v0, v[7:8]
	v_cmp_gt_i64_e64 s[0:1], s[2:3], v[4:5]
	v_cmp_gt_i64_e64 s[2:3], s[2:3], v[2:3]
	v_lshlrev_b64 v[12:13], 3, v[2:3]
	v_lshlrev_b64 v[2:3], 3, v[14:15]
	s_lshl_b64 s[8:9], s[14:15], 8
	v_add_co_u32_e32 v22, vcc, s12, v2
	v_addc_co_u32_e32 v23, vcc, v9, v3, vcc
	v_lshlrev_b64 v[2:3], 3, v[6:7]
	v_mad_u64_u32 v[6:7], s[12:13], s20, v1, 0
	s_lshl_b64 s[16:17], s[22:23], 3
	s_add_u32 s22, s24, s16
	s_addc_u32 s12, s25, s17
	v_mov_b32_e32 v9, s12
	v_mad_u64_u32 v[7:8], s[12:13], s21, v1, v[7:8]
	v_add_co_u32_e32 v24, vcc, s22, v2
	v_addc_co_u32_e32 v25, vcc, v9, v3, vcc
	v_lshlrev_b64 v[2:3], 3, v[6:7]
	v_mov_b32_e32 v6, s17
	v_add_co_u32_e32 v7, vcc, s16, v2
	v_addc_co_u32_e32 v6, vcc, v3, v6, vcc
	v_lshlrev_b64 v[2:3], 3, v[4:5]
	v_mad_u64_u32 v[4:5], s[16:17], s14, v1, 0
	v_add_co_u32_e32 v7, vcc, v7, v2
	v_addc_co_u32_e32 v8, vcc, v6, v3, vcc
	v_mad_u64_u32 v[5:6], s[14:15], s15, v1, v[5:6]
	v_mov_b32_e32 v9, s25
	v_add_co_u32_e32 v14, vcc, s24, v7
	v_lshlrev_b64 v[4:5], 3, v[4:5]
	v_addc_co_u32_e32 v15, vcc, v9, v8, vcc
	v_mov_b32_e32 v6, s5
	v_add_co_u32_e32 v4, vcc, s4, v4
	v_addc_co_u32_e32 v5, vcc, v5, v6, vcc
	v_add_co_u32_e32 v2, vcc, v4, v2
	v_addc_co_u32_e32 v3, vcc, v5, v3, vcc
	v_mov_b32_e32 v4, s19
	v_add_co_u32_e32 v16, vcc, s18, v2
	v_add_u32_e32 v21, v20, v18
	s_lshl_b64 s[12:13], s[20:21], 8
	v_addc_co_u32_e32 v17, vcc, v4, v3, vcc
	s_mov_b64 s[14:15], 0
	s_branch .LBB1888_4
.LBB1888_3:                             ;   in Loop: Header=BB1888_4 Depth=1
	s_or_b64 exec, exec, s[4:5]
	v_mov_b32_e32 v4, s9
	v_add_co_u32_e32 v22, vcc, s8, v22
	v_addc_co_u32_e32 v23, vcc, v23, v4, vcc
	v_mov_b32_e32 v2, s13
	v_add_co_u32_e32 v24, vcc, s12, v24
	v_addc_co_u32_e32 v25, vcc, v25, v2, vcc
	v_add_co_u32_e32 v14, vcc, s12, v14
	s_add_u32 s14, s14, 32
	v_addc_co_u32_e32 v15, vcc, v15, v2, vcc
	v_mov_b32_e32 v2, s30
	s_addc_u32 s15, s15, 0
	v_mov_b32_e32 v3, s31
	v_cmp_lt_i64_e32 vcc, s[14:15], v[2:3]
	v_add_co_u32_e64 v16, s[4:5], s8, v16
	v_addc_co_u32_e64 v17, s[4:5], v17, v4, s[4:5]
	s_waitcnt vmcnt(0) lgkmcnt(0)
	s_barrier
	s_cbranch_vccz .LBB1888_16
.LBB1888_4:                             ; =>This Inner Loop Header: Depth=1
	v_mov_b32_e32 v3, s15
	v_add_co_u32_e32 v2, vcc, s14, v1
	v_addc_co_u32_e32 v3, vcc, 0, v3, vcc
	v_cmp_gt_i64_e32 vcc, s[30:31], v[2:3]
	v_mov_b32_e32 v2, 0
	s_and_b64 s[4:5], s[0:1], vcc
	v_mov_b32_e32 v3, 0
	s_and_saveexec_b64 s[16:17], s[4:5]
	s_cbranch_execz .LBB1888_6
; %bb.5:                                ;   in Loop: Header=BB1888_4 Depth=1
	flat_load_dwordx2 v[2:3], v[16:17]
.LBB1888_6:                             ;   in Loop: Header=BB1888_4 Depth=1
	s_or_b64 exec, exec, s[16:17]
	v_mov_b32_e32 v5, s15
	v_add_co_u32_e32 v4, vcc, s14, v0
	v_addc_co_u32_e32 v5, vcc, 0, v5, vcc
	v_cmp_gt_i64_e32 vcc, s[30:31], v[4:5]
	s_waitcnt vmcnt(0) lgkmcnt(0)
	ds_write_b64 v19, v[2:3]
	s_and_b64 s[16:17], s[2:3], vcc
	v_mov_b32_e32 v3, 0
	v_mov_b32_e32 v2, 0
	s_and_saveexec_b64 s[18:19], s[16:17]
	s_cbranch_execz .LBB1888_8
; %bb.7:                                ;   in Loop: Header=BB1888_4 Depth=1
	v_add_co_u32_e32 v2, vcc, v24, v12
	v_addc_co_u32_e32 v3, vcc, v25, v13, vcc
	flat_load_dwordx2 v[2:3], v[2:3]
	s_waitcnt vmcnt(0) lgkmcnt(0)
	v_xor_b32_e32 v3, 0x80000000, v3
.LBB1888_8:                             ;   in Loop: Header=BB1888_4 Depth=1
	s_or_b64 exec, exec, s[18:19]
	v_add_u32_e32 v28, 0x800, v20
	v_add_u32_e32 v27, 0x1000, v20
	;; [unrolled: 1-line block ×3, first 2 shown]
	ds_write_b64 v21, v[2:3]
	s_waitcnt lgkmcnt(0)
	s_barrier
	s_and_saveexec_b64 s[18:19], s[6:7]
	s_cbranch_execz .LBB1888_10
; %bb.9:                                ;   in Loop: Header=BB1888_4 Depth=1
	ds_read2_b64 v[2:5], v20 offset1:32
	ds_read_b128 v[6:9], v18
	ds_read_b128 v[29:32], v18 offset:16
	s_waitcnt lgkmcnt(1)
	v_mul_f32_e32 v33, v3, v7
	v_fma_f32 v38, v2, v6, -v33
	ds_read2_b64 v[33:36], v20 offset0:64 offset1:96
	v_mul_f32_e32 v37, v2, v7
	v_mul_f32_e32 v2, v5, v9
	v_fma_f32 v39, v4, v8, -v2
	v_fmac_f32_e32 v37, v3, v6
	s_waitcnt lgkmcnt(0)
	v_mul_f32_e32 v2, v34, v30
	v_mul_f32_e32 v40, v4, v9
	v_fma_f32 v41, v33, v29, -v2
	v_mul_f32_e32 v33, v33, v30
	v_mul_f32_e32 v2, v36, v32
	v_fmac_f32_e32 v40, v5, v8
	v_fmac_f32_e32 v33, v34, v29
	v_fma_f32 v34, v35, v31, -v2
	v_mul_f32_e32 v35, v35, v32
	v_add_f32_e32 v29, 0, v38
	v_add_f32_e32 v30, 0, v37
	v_fmac_f32_e32 v35, v36, v31
	ds_read_b128 v[2:5], v18 offset:32
	ds_read_b128 v[6:9], v18 offset:48
	v_add_f32_e32 v36, v29, v39
	v_add_f32_e32 v37, v30, v40
	ds_read2_b64 v[29:32], v20 offset0:128 offset1:160
	v_add_f32_e32 v33, v37, v33
	v_add_f32_e32 v36, v36, v41
	;; [unrolled: 1-line block ×4, first 2 shown]
	s_waitcnt lgkmcnt(0)
	v_mul_f32_e32 v35, v30, v3
	v_mul_f32_e32 v3, v29, v3
	v_fma_f32 v35, v29, v2, -v35
	v_fmac_f32_e32 v3, v30, v2
	v_add_f32_e32 v2, v34, v35
	v_add_f32_e32 v3, v33, v3
	ds_read2_b64 v[33:36], v20 offset0:192 offset1:224
	v_mul_f32_e32 v29, v32, v5
	v_mul_f32_e32 v5, v31, v5
	v_fma_f32 v29, v31, v4, -v29
	v_fmac_f32_e32 v5, v32, v4
	s_waitcnt lgkmcnt(0)
	v_mul_f32_e32 v4, v34, v7
	v_add_f32_e32 v2, v2, v29
	v_add_f32_e32 v3, v3, v5
	v_fma_f32 v4, v33, v6, -v4
	v_mul_f32_e32 v5, v33, v7
	v_fmac_f32_e32 v5, v34, v6
	v_add_f32_e32 v6, v2, v4
	v_mul_f32_e32 v2, v36, v9
	v_add_f32_e32 v7, v3, v5
	v_fma_f32 v33, v35, v8, -v2
	ds_read_b128 v[2:5], v18 offset:64
	ds_read2_b64 v[29:32], v28 offset1:32
	v_mul_f32_e32 v9, v35, v9
	v_fmac_f32_e32 v9, v36, v8
	v_add_f32_e32 v33, v6, v33
	v_add_f32_e32 v34, v7, v9
	s_waitcnt lgkmcnt(0)
	v_mul_f32_e32 v35, v30, v3
	v_mul_f32_e32 v3, v29, v3
	v_fma_f32 v35, v29, v2, -v35
	v_fmac_f32_e32 v3, v30, v2
	ds_read_b128 v[6:9], v18 offset:80
	v_add_f32_e32 v2, v33, v35
	v_add_f32_e32 v3, v34, v3
	ds_read2_b64 v[33:36], v28 offset0:64 offset1:96
	v_mul_f32_e32 v29, v32, v5
	v_mul_f32_e32 v5, v31, v5
	v_fma_f32 v29, v31, v4, -v29
	v_fmac_f32_e32 v5, v32, v4
	s_waitcnt lgkmcnt(0)
	v_mul_f32_e32 v4, v34, v7
	v_add_f32_e32 v2, v2, v29
	v_add_f32_e32 v3, v3, v5
	v_fma_f32 v4, v33, v6, -v4
	v_mul_f32_e32 v5, v33, v7
	v_fmac_f32_e32 v5, v34, v6
	v_add_f32_e32 v6, v2, v4
	v_mul_f32_e32 v2, v36, v9
	v_add_f32_e32 v7, v3, v5
	v_fma_f32 v33, v35, v8, -v2
	ds_read_b128 v[2:5], v18 offset:96
	ds_read2_b64 v[29:32], v28 offset0:128 offset1:160
	v_mul_f32_e32 v9, v35, v9
	v_fmac_f32_e32 v9, v36, v8
	v_add_f32_e32 v33, v6, v33
	v_add_f32_e32 v34, v7, v9
	s_waitcnt lgkmcnt(0)
	v_mul_f32_e32 v35, v30, v3
	v_mul_f32_e32 v3, v29, v3
	v_fma_f32 v35, v29, v2, -v35
	v_fmac_f32_e32 v3, v30, v2
	ds_read_b128 v[6:9], v18 offset:112
	v_add_f32_e32 v2, v33, v35
	v_add_f32_e32 v3, v34, v3
	ds_read2_b64 v[33:36], v28 offset0:192 offset1:224
	v_mul_f32_e32 v29, v32, v5
	v_mul_f32_e32 v5, v31, v5
	v_fma_f32 v29, v31, v4, -v29
	v_fmac_f32_e32 v5, v32, v4
	s_waitcnt lgkmcnt(0)
	v_mul_f32_e32 v4, v34, v7
	v_add_f32_e32 v2, v2, v29
	v_add_f32_e32 v3, v3, v5
	v_fma_f32 v4, v33, v6, -v4
	v_mul_f32_e32 v5, v33, v7
	v_fmac_f32_e32 v5, v34, v6
	v_add_f32_e32 v6, v2, v4
	v_mul_f32_e32 v2, v36, v9
	v_add_f32_e32 v7, v3, v5
	v_fma_f32 v33, v35, v8, -v2
	ds_read_b128 v[2:5], v18 offset:128
	ds_read2_b64 v[29:32], v27 offset1:32
	v_mul_f32_e32 v9, v35, v9
	v_fmac_f32_e32 v9, v36, v8
	v_add_f32_e32 v6, v6, v33
	ds_read_b128 v[33:36], v18 offset:144
	ds_read2_b64 v[37:40], v27 offset0:64 offset1:96
	s_waitcnt lgkmcnt(2)
	v_mul_f32_e32 v8, v30, v3
	v_fma_f32 v8, v29, v2, -v8
	v_mul_f32_e32 v3, v29, v3
	v_add_f32_e32 v7, v7, v9
	v_fmac_f32_e32 v3, v30, v2
	v_add_f32_e32 v2, v6, v8
	v_mul_f32_e32 v6, v32, v5
	v_mul_f32_e32 v5, v31, v5
	v_add_f32_e32 v3, v7, v3
	v_fma_f32 v6, v31, v4, -v6
	v_fmac_f32_e32 v5, v32, v4
	s_waitcnt lgkmcnt(0)
	v_mul_f32_e32 v4, v38, v34
	v_add_f32_e32 v2, v2, v6
	v_add_f32_e32 v3, v3, v5
	v_fma_f32 v4, v37, v33, -v4
	v_mul_f32_e32 v5, v37, v34
	v_fmac_f32_e32 v5, v38, v33
	v_add_f32_e32 v29, v2, v4
	v_mul_f32_e32 v2, v40, v36
	v_add_f32_e32 v30, v3, v5
	v_fma_f32 v31, v39, v35, -v2
	ds_read_b128 v[2:5], v18 offset:160
	ds_read2_b64 v[6:9], v27 offset0:128 offset1:160
	v_mul_f32_e32 v32, v39, v36
	v_fmac_f32_e32 v32, v40, v35
	v_add_f32_e32 v35, v29, v31
	v_add_f32_e32 v36, v30, v32
	s_waitcnt lgkmcnt(0)
	v_mul_f32_e32 v33, v7, v3
	v_fma_f32 v37, v6, v2, -v33
	flat_load_dwordx2 v[33:34], v[10:11]
	v_mul_f32_e32 v6, v6, v3
	v_fmac_f32_e32 v6, v7, v2
	v_mul_f32_e32 v2, v9, v5
	v_fma_f32 v7, v8, v4, -v2
	v_mul_f32_e32 v8, v8, v5
	ds_read_b128 v[29:32], v18 offset:176
	v_fmac_f32_e32 v8, v9, v4
	ds_read2_b64 v[2:5], v27 offset0:192 offset1:224
	v_add_f32_e32 v6, v36, v6
	v_add_f32_e32 v9, v35, v37
	;; [unrolled: 1-line block ×4, first 2 shown]
	s_waitcnt lgkmcnt(0)
	v_mul_f32_e32 v6, v3, v30
	v_fma_f32 v6, v2, v29, -v6
	v_mul_f32_e32 v30, v2, v30
	v_mul_f32_e32 v2, v5, v32
	;; [unrolled: 1-line block ×3, first 2 shown]
	v_fmac_f32_e32 v30, v3, v29
	v_add_f32_e32 v29, v7, v6
	v_fma_f32 v36, v4, v31, -v2
	v_fmac_f32_e32 v32, v5, v31
	ds_read_b128 v[2:5], v18 offset:192
	ds_read2_b64 v[6:9], v26 offset1:32
	v_add_f32_e32 v30, v35, v30
	v_add_f32_e32 v35, v29, v36
	;; [unrolled: 1-line block ×3, first 2 shown]
	ds_read_b128 v[29:32], v18 offset:208
	s_waitcnt lgkmcnt(0)
	v_mul_f32_e32 v37, v7, v3
	v_fma_f32 v37, v6, v2, -v37
	v_mul_f32_e32 v6, v6, v3
	v_fmac_f32_e32 v6, v7, v2
	v_mul_f32_e32 v2, v9, v5
	v_fma_f32 v7, v8, v4, -v2
	v_mul_f32_e32 v8, v8, v5
	v_fmac_f32_e32 v8, v9, v4
	ds_read2_b64 v[2:5], v26 offset0:64 offset1:96
	v_add_f32_e32 v6, v36, v6
	v_add_f32_e32 v9, v35, v37
	;; [unrolled: 1-line block ×4, first 2 shown]
	s_waitcnt lgkmcnt(0)
	v_mul_f32_e32 v6, v3, v30
	v_fma_f32 v6, v2, v29, -v6
	v_mul_f32_e32 v30, v2, v30
	v_mul_f32_e32 v2, v5, v32
	;; [unrolled: 1-line block ×3, first 2 shown]
	v_fmac_f32_e32 v30, v3, v29
	v_add_f32_e32 v29, v7, v6
	v_fma_f32 v36, v4, v31, -v2
	v_fmac_f32_e32 v32, v5, v31
	ds_read_b128 v[2:5], v18 offset:224
	ds_read2_b64 v[6:9], v26 offset0:128 offset1:160
	v_add_f32_e32 v30, v35, v30
	v_add_f32_e32 v35, v29, v36
	;; [unrolled: 1-line block ×3, first 2 shown]
	ds_read_b128 v[29:32], v18 offset:240
	s_waitcnt lgkmcnt(0)
	v_mul_f32_e32 v37, v7, v3
	v_fma_f32 v37, v6, v2, -v37
	v_mul_f32_e32 v6, v6, v3
	v_fmac_f32_e32 v6, v7, v2
	v_mul_f32_e32 v2, v9, v5
	v_fma_f32 v7, v8, v4, -v2
	v_mul_f32_e32 v8, v8, v5
	v_fmac_f32_e32 v8, v9, v4
	ds_read2_b64 v[2:5], v26 offset0:192 offset1:224
	v_add_f32_e32 v6, v36, v6
	v_add_f32_e32 v6, v6, v8
	;; [unrolled: 1-line block ×4, first 2 shown]
	s_waitcnt lgkmcnt(0)
	v_mul_f32_e32 v8, v3, v30
	v_fma_f32 v8, v2, v29, -v8
	v_mul_f32_e32 v2, v2, v30
	v_fmac_f32_e32 v2, v3, v29
	v_add_f32_e32 v2, v6, v2
	v_mul_f32_e32 v6, v5, v32
	v_fma_f32 v6, v4, v31, -v6
	v_mul_f32_e32 v4, v4, v32
	v_fmac_f32_e32 v4, v5, v31
	v_add_f32_e32 v3, v7, v8
	v_add_f32_e32 v2, v2, v4
	;; [unrolled: 1-line block ×3, first 2 shown]
	v_mul_f32_e32 v4, s11, v2
	v_mul_f32_e32 v5, s10, v2
	v_fma_f32 v4, s10, v3, -v4
	v_fmac_f32_e32 v5, s11, v3
	s_waitcnt vmcnt(0)
	v_add_f32_e32 v2, v33, v4
	v_add_f32_e32 v3, v34, v5
	flat_store_dwordx2 v[10:11], v[2:3]
.LBB1888_10:                            ;   in Loop: Header=BB1888_4 Depth=1
	s_or_b64 exec, exec, s[18:19]
	v_mov_b32_e32 v3, 0
	v_mov_b32_e32 v5, 0
	;; [unrolled: 1-line block ×3, first 2 shown]
	s_waitcnt vmcnt(0) lgkmcnt(0)
	s_barrier
	s_and_saveexec_b64 s[18:19], s[4:5]
	s_cbranch_execz .LBB1888_12
; %bb.11:                               ;   in Loop: Header=BB1888_4 Depth=1
	flat_load_dwordx2 v[4:5], v[14:15]
.LBB1888_12:                            ;   in Loop: Header=BB1888_4 Depth=1
	s_or_b64 exec, exec, s[18:19]
	v_mov_b32_e32 v2, 0
	s_waitcnt vmcnt(0) lgkmcnt(0)
	ds_write_b64 v19, v[4:5]
	s_and_saveexec_b64 s[4:5], s[16:17]
	s_cbranch_execz .LBB1888_14
; %bb.13:                               ;   in Loop: Header=BB1888_4 Depth=1
	v_add_co_u32_e32 v2, vcc, v22, v12
	v_addc_co_u32_e32 v3, vcc, v23, v13, vcc
	flat_load_dwordx2 v[2:3], v[2:3]
	s_waitcnt vmcnt(0) lgkmcnt(0)
	v_xor_b32_e32 v3, 0x80000000, v3
.LBB1888_14:                            ;   in Loop: Header=BB1888_4 Depth=1
	s_or_b64 exec, exec, s[4:5]
	ds_write_b64 v21, v[2:3]
	s_waitcnt lgkmcnt(0)
	s_barrier
	s_and_saveexec_b64 s[4:5], s[6:7]
	s_cbranch_execz .LBB1888_3
; %bb.15:                               ;   in Loop: Header=BB1888_4 Depth=1
	ds_read2_b64 v[2:5], v20 offset1:32
	ds_read_b128 v[6:9], v18
	ds_read_b128 v[29:32], v18 offset:16
	s_waitcnt lgkmcnt(1)
	v_mul_f32_e32 v33, v3, v7
	v_mul_f32_e32 v37, v2, v7
	v_fma_f32 v38, v2, v6, -v33
	v_mul_f32_e32 v2, v5, v9
	v_mul_f32_e32 v40, v4, v9
	v_fmac_f32_e32 v37, v3, v6
	v_fma_f32 v39, v4, v8, -v2
	v_fmac_f32_e32 v40, v5, v8
	ds_read_b128 v[2:5], v18 offset:32
	ds_read_b128 v[6:9], v18 offset:48
	ds_read2_b64 v[33:36], v20 offset0:64 offset1:96
	v_add_f32_e32 v38, 0, v38
	v_add_f32_e32 v38, v38, v39
	;; [unrolled: 1-line block ×4, first 2 shown]
	s_waitcnt lgkmcnt(0)
	v_mul_f32_e32 v39, v34, v30
	v_fma_f32 v39, v33, v29, -v39
	v_mul_f32_e32 v33, v33, v30
	v_fmac_f32_e32 v33, v34, v29
	v_mul_f32_e32 v29, v36, v32
	v_fma_f32 v34, v35, v31, -v29
	v_mul_f32_e32 v35, v35, v32
	v_fmac_f32_e32 v35, v36, v31
	ds_read2_b64 v[29:32], v20 offset0:128 offset1:160
	v_add_f32_e32 v33, v37, v33
	v_add_f32_e32 v36, v38, v39
	v_add_f32_e32 v33, v33, v35
	v_add_f32_e32 v34, v36, v34
	s_waitcnt lgkmcnt(0)
	v_mul_f32_e32 v35, v30, v3
	v_mul_f32_e32 v3, v29, v3
	v_fma_f32 v35, v29, v2, -v35
	v_fmac_f32_e32 v3, v30, v2
	v_add_f32_e32 v2, v34, v35
	v_add_f32_e32 v3, v33, v3
	ds_read2_b64 v[33:36], v20 offset0:192 offset1:224
	v_mul_f32_e32 v29, v32, v5
	v_mul_f32_e32 v5, v31, v5
	v_fma_f32 v29, v31, v4, -v29
	v_fmac_f32_e32 v5, v32, v4
	s_waitcnt lgkmcnt(0)
	v_mul_f32_e32 v4, v34, v7
	v_add_f32_e32 v2, v2, v29
	v_add_f32_e32 v3, v3, v5
	v_fma_f32 v4, v33, v6, -v4
	v_mul_f32_e32 v5, v33, v7
	v_fmac_f32_e32 v5, v34, v6
	v_add_f32_e32 v6, v2, v4
	v_mul_f32_e32 v2, v36, v9
	v_add_f32_e32 v7, v3, v5
	v_fma_f32 v33, v35, v8, -v2
	ds_read_b128 v[2:5], v18 offset:64
	ds_read2_b64 v[29:32], v28 offset1:32
	v_mul_f32_e32 v9, v35, v9
	v_fmac_f32_e32 v9, v36, v8
	v_add_f32_e32 v33, v6, v33
	v_add_f32_e32 v34, v7, v9
	s_waitcnt lgkmcnt(0)
	v_mul_f32_e32 v35, v30, v3
	v_mul_f32_e32 v3, v29, v3
	v_fma_f32 v35, v29, v2, -v35
	v_fmac_f32_e32 v3, v30, v2
	ds_read_b128 v[6:9], v18 offset:80
	v_add_f32_e32 v2, v33, v35
	v_add_f32_e32 v3, v34, v3
	ds_read2_b64 v[33:36], v28 offset0:64 offset1:96
	v_mul_f32_e32 v29, v32, v5
	v_mul_f32_e32 v5, v31, v5
	v_fma_f32 v29, v31, v4, -v29
	v_fmac_f32_e32 v5, v32, v4
	s_waitcnt lgkmcnt(0)
	v_mul_f32_e32 v4, v34, v7
	v_add_f32_e32 v2, v2, v29
	v_add_f32_e32 v3, v3, v5
	v_fma_f32 v4, v33, v6, -v4
	v_mul_f32_e32 v5, v33, v7
	v_fmac_f32_e32 v5, v34, v6
	v_add_f32_e32 v6, v2, v4
	v_mul_f32_e32 v2, v36, v9
	v_add_f32_e32 v7, v3, v5
	v_fma_f32 v33, v35, v8, -v2
	ds_read_b128 v[2:5], v18 offset:96
	ds_read2_b64 v[29:32], v28 offset0:128 offset1:160
	v_mul_f32_e32 v9, v35, v9
	v_fmac_f32_e32 v9, v36, v8
	v_add_f32_e32 v33, v6, v33
	v_add_f32_e32 v34, v7, v9
	s_waitcnt lgkmcnt(0)
	v_mul_f32_e32 v35, v30, v3
	v_mul_f32_e32 v3, v29, v3
	v_fma_f32 v35, v29, v2, -v35
	v_fmac_f32_e32 v3, v30, v2
	ds_read_b128 v[6:9], v18 offset:112
	v_add_f32_e32 v2, v33, v35
	v_add_f32_e32 v3, v34, v3
	ds_read2_b64 v[33:36], v28 offset0:192 offset1:224
	v_mul_f32_e32 v29, v32, v5
	v_mul_f32_e32 v5, v31, v5
	v_fma_f32 v29, v31, v4, -v29
	v_fmac_f32_e32 v5, v32, v4
	s_waitcnt lgkmcnt(0)
	v_mul_f32_e32 v4, v34, v7
	v_add_f32_e32 v2, v2, v29
	v_add_f32_e32 v3, v3, v5
	v_fma_f32 v4, v33, v6, -v4
	v_mul_f32_e32 v5, v33, v7
	v_fmac_f32_e32 v5, v34, v6
	v_add_f32_e32 v6, v2, v4
	v_mul_f32_e32 v2, v36, v9
	v_add_f32_e32 v7, v3, v5
	v_fma_f32 v32, v35, v8, -v2
	ds_read_b128 v[2:5], v18 offset:128
	ds_read2_b64 v[28:31], v27 offset1:32
	v_mul_f32_e32 v9, v35, v9
	v_fmac_f32_e32 v9, v36, v8
	v_add_f32_e32 v6, v6, v32
	ds_read_b128 v[32:35], v18 offset:144
	ds_read2_b64 v[36:39], v27 offset0:64 offset1:96
	s_waitcnt lgkmcnt(2)
	v_mul_f32_e32 v8, v29, v3
	v_fma_f32 v8, v28, v2, -v8
	v_mul_f32_e32 v3, v28, v3
	v_add_f32_e32 v7, v7, v9
	v_fmac_f32_e32 v3, v29, v2
	v_add_f32_e32 v2, v6, v8
	v_mul_f32_e32 v6, v31, v5
	v_mul_f32_e32 v5, v30, v5
	v_add_f32_e32 v3, v7, v3
	v_fma_f32 v6, v30, v4, -v6
	v_fmac_f32_e32 v5, v31, v4
	s_waitcnt lgkmcnt(0)
	v_mul_f32_e32 v4, v37, v33
	v_add_f32_e32 v2, v2, v6
	v_add_f32_e32 v3, v3, v5
	v_fma_f32 v4, v36, v32, -v4
	v_mul_f32_e32 v5, v36, v33
	v_fmac_f32_e32 v5, v37, v32
	v_add_f32_e32 v28, v2, v4
	v_mul_f32_e32 v2, v39, v35
	v_add_f32_e32 v29, v3, v5
	v_fma_f32 v30, v38, v34, -v2
	ds_read_b128 v[2:5], v18 offset:160
	ds_read2_b64 v[6:9], v27 offset0:128 offset1:160
	flat_load_dwordx2 v[36:37], v[10:11]
	v_mul_f32_e32 v31, v38, v35
	v_fmac_f32_e32 v31, v39, v34
	v_add_f32_e32 v32, v28, v30
	s_waitcnt lgkmcnt(0)
	v_mul_f32_e32 v34, v7, v3
	v_mul_f32_e32 v3, v6, v3
	v_add_f32_e32 v33, v29, v31
	v_fma_f32 v34, v6, v2, -v34
	v_fmac_f32_e32 v3, v7, v2
	ds_read_b128 v[28:31], v18 offset:176
	v_add_f32_e32 v2, v32, v34
	v_add_f32_e32 v3, v33, v3
	ds_read2_b64 v[32:35], v27 offset0:192 offset1:224
	v_mul_f32_e32 v6, v9, v5
	v_mul_f32_e32 v5, v8, v5
	v_fma_f32 v6, v8, v4, -v6
	v_fmac_f32_e32 v5, v9, v4
	s_waitcnt lgkmcnt(0)
	v_mul_f32_e32 v4, v33, v29
	v_add_f32_e32 v2, v2, v6
	v_add_f32_e32 v3, v3, v5
	v_fma_f32 v4, v32, v28, -v4
	v_mul_f32_e32 v5, v32, v29
	v_fmac_f32_e32 v5, v33, v28
	v_add_f32_e32 v27, v2, v4
	v_mul_f32_e32 v2, v35, v31
	v_add_f32_e32 v28, v3, v5
	v_fma_f32 v29, v34, v30, -v2
	ds_read_b128 v[2:5], v18 offset:192
	ds_read2_b64 v[6:9], v26 offset1:32
	v_mul_f32_e32 v31, v34, v31
	v_fmac_f32_e32 v31, v35, v30
	v_add_f32_e32 v32, v27, v29
	v_add_f32_e32 v31, v28, v31
	s_waitcnt lgkmcnt(0)
	v_mul_f32_e32 v33, v7, v3
	v_mul_f32_e32 v3, v6, v3
	v_fma_f32 v33, v6, v2, -v33
	v_fmac_f32_e32 v3, v7, v2
	ds_read_b128 v[27:30], v18 offset:208
	v_add_f32_e32 v2, v32, v33
	v_add_f32_e32 v3, v31, v3
	ds_read2_b64 v[31:34], v26 offset0:64 offset1:96
	v_mul_f32_e32 v6, v9, v5
	v_mul_f32_e32 v5, v8, v5
	v_fma_f32 v6, v8, v4, -v6
	v_fmac_f32_e32 v5, v9, v4
	s_waitcnt lgkmcnt(0)
	v_mul_f32_e32 v4, v32, v28
	v_add_f32_e32 v2, v2, v6
	v_add_f32_e32 v3, v3, v5
	v_fma_f32 v4, v31, v27, -v4
	v_mul_f32_e32 v5, v31, v28
	v_fmac_f32_e32 v5, v32, v27
	v_add_f32_e32 v27, v2, v4
	v_mul_f32_e32 v2, v34, v30
	v_add_f32_e32 v28, v3, v5
	v_fma_f32 v31, v33, v29, -v2
	ds_read_b128 v[2:5], v18 offset:224
	ds_read2_b64 v[6:9], v26 offset0:128 offset1:160
	v_mul_f32_e32 v30, v33, v30
	v_fmac_f32_e32 v30, v34, v29
	v_add_f32_e32 v31, v27, v31
	v_add_f32_e32 v32, v28, v30
	s_waitcnt lgkmcnt(0)
	v_mul_f32_e32 v33, v7, v3
	v_mul_f32_e32 v3, v6, v3
	v_fma_f32 v33, v6, v2, -v33
	v_fmac_f32_e32 v3, v7, v2
	ds_read_b128 v[27:30], v18 offset:240
	v_add_f32_e32 v2, v31, v33
	v_add_f32_e32 v3, v32, v3
	ds_read2_b64 v[31:34], v26 offset0:192 offset1:224
	v_mul_f32_e32 v6, v9, v5
	v_mul_f32_e32 v5, v8, v5
	v_fma_f32 v6, v8, v4, -v6
	v_fmac_f32_e32 v5, v9, v4
	s_waitcnt lgkmcnt(0)
	v_mul_f32_e32 v4, v32, v28
	v_add_f32_e32 v2, v2, v6
	v_add_f32_e32 v3, v3, v5
	v_fma_f32 v4, v31, v27, -v4
	v_mul_f32_e32 v5, v31, v28
	v_fmac_f32_e32 v5, v32, v27
	v_add_f32_e32 v2, v2, v4
	v_mul_f32_e32 v4, v34, v30
	v_add_f32_e32 v3, v3, v5
	v_fma_f32 v4, v33, v29, -v4
	v_mul_f32_e32 v5, v33, v30
	v_fmac_f32_e32 v5, v34, v29
	v_add_f32_e32 v2, v2, v4
	v_add_f32_e32 v3, v3, v5
	v_mul_f32_e32 v4, s10, v2
	v_mul_f32_e32 v2, s11, v2
	v_fmac_f32_e32 v4, s11, v3
	v_fma_f32 v3, s10, v3, -v2
	s_waitcnt vmcnt(0)
	v_add_f32_e32 v2, v36, v4
	v_add_f32_e32 v3, v37, v3
	flat_store_dwordx2 v[10:11], v[2:3]
	s_branch .LBB1888_3
.LBB1888_16:
	s_endpgm
	.section	.rodata,"a",@progbits
	.p2align	6, 0x0
	.amdhsa_kernel _ZL26rocblas_syr2k_her2k_kernelIlLb1ELb1ELb0ELi32E19rocblas_complex_numIfEPKPKS1_PKPS1_EvbiT_T4_T5_S9_lSB_S9_lT6_S9_li
		.amdhsa_group_segment_fixed_size 16384
		.amdhsa_private_segment_fixed_size 0
		.amdhsa_kernarg_size 100
		.amdhsa_user_sgpr_count 6
		.amdhsa_user_sgpr_private_segment_buffer 1
		.amdhsa_user_sgpr_dispatch_ptr 0
		.amdhsa_user_sgpr_queue_ptr 0
		.amdhsa_user_sgpr_kernarg_segment_ptr 1
		.amdhsa_user_sgpr_dispatch_id 0
		.amdhsa_user_sgpr_flat_scratch_init 0
		.amdhsa_user_sgpr_private_segment_size 0
		.amdhsa_uses_dynamic_stack 0
		.amdhsa_system_sgpr_private_segment_wavefront_offset 0
		.amdhsa_system_sgpr_workgroup_id_x 1
		.amdhsa_system_sgpr_workgroup_id_y 1
		.amdhsa_system_sgpr_workgroup_id_z 1
		.amdhsa_system_sgpr_workgroup_info 0
		.amdhsa_system_vgpr_workitem_id 1
		.amdhsa_next_free_vgpr 42
		.amdhsa_next_free_sgpr 61
		.amdhsa_reserve_vcc 1
		.amdhsa_reserve_flat_scratch 0
		.amdhsa_float_round_mode_32 0
		.amdhsa_float_round_mode_16_64 0
		.amdhsa_float_denorm_mode_32 3
		.amdhsa_float_denorm_mode_16_64 3
		.amdhsa_dx10_clamp 1
		.amdhsa_ieee_mode 1
		.amdhsa_fp16_overflow 0
		.amdhsa_exception_fp_ieee_invalid_op 0
		.amdhsa_exception_fp_denorm_src 0
		.amdhsa_exception_fp_ieee_div_zero 0
		.amdhsa_exception_fp_ieee_overflow 0
		.amdhsa_exception_fp_ieee_underflow 0
		.amdhsa_exception_fp_ieee_inexact 0
		.amdhsa_exception_int_div_zero 0
	.end_amdhsa_kernel
	.section	.text._ZL26rocblas_syr2k_her2k_kernelIlLb1ELb1ELb0ELi32E19rocblas_complex_numIfEPKPKS1_PKPS1_EvbiT_T4_T5_S9_lSB_S9_lT6_S9_li,"axG",@progbits,_ZL26rocblas_syr2k_her2k_kernelIlLb1ELb1ELb0ELi32E19rocblas_complex_numIfEPKPKS1_PKPS1_EvbiT_T4_T5_S9_lSB_S9_lT6_S9_li,comdat
.Lfunc_end1888:
	.size	_ZL26rocblas_syr2k_her2k_kernelIlLb1ELb1ELb0ELi32E19rocblas_complex_numIfEPKPKS1_PKPS1_EvbiT_T4_T5_S9_lSB_S9_lT6_S9_li, .Lfunc_end1888-_ZL26rocblas_syr2k_her2k_kernelIlLb1ELb1ELb0ELi32E19rocblas_complex_numIfEPKPKS1_PKPS1_EvbiT_T4_T5_S9_lSB_S9_lT6_S9_li
                                        ; -- End function
	.set _ZL26rocblas_syr2k_her2k_kernelIlLb1ELb1ELb0ELi32E19rocblas_complex_numIfEPKPKS1_PKPS1_EvbiT_T4_T5_S9_lSB_S9_lT6_S9_li.num_vgpr, 42
	.set _ZL26rocblas_syr2k_her2k_kernelIlLb1ELb1ELb0ELi32E19rocblas_complex_numIfEPKPKS1_PKPS1_EvbiT_T4_T5_S9_lSB_S9_lT6_S9_li.num_agpr, 0
	.set _ZL26rocblas_syr2k_her2k_kernelIlLb1ELb1ELb0ELi32E19rocblas_complex_numIfEPKPKS1_PKPS1_EvbiT_T4_T5_S9_lSB_S9_lT6_S9_li.numbered_sgpr, 32
	.set _ZL26rocblas_syr2k_her2k_kernelIlLb1ELb1ELb0ELi32E19rocblas_complex_numIfEPKPKS1_PKPS1_EvbiT_T4_T5_S9_lSB_S9_lT6_S9_li.num_named_barrier, 0
	.set _ZL26rocblas_syr2k_her2k_kernelIlLb1ELb1ELb0ELi32E19rocblas_complex_numIfEPKPKS1_PKPS1_EvbiT_T4_T5_S9_lSB_S9_lT6_S9_li.private_seg_size, 0
	.set _ZL26rocblas_syr2k_her2k_kernelIlLb1ELb1ELb0ELi32E19rocblas_complex_numIfEPKPKS1_PKPS1_EvbiT_T4_T5_S9_lSB_S9_lT6_S9_li.uses_vcc, 1
	.set _ZL26rocblas_syr2k_her2k_kernelIlLb1ELb1ELb0ELi32E19rocblas_complex_numIfEPKPKS1_PKPS1_EvbiT_T4_T5_S9_lSB_S9_lT6_S9_li.uses_flat_scratch, 0
	.set _ZL26rocblas_syr2k_her2k_kernelIlLb1ELb1ELb0ELi32E19rocblas_complex_numIfEPKPKS1_PKPS1_EvbiT_T4_T5_S9_lSB_S9_lT6_S9_li.has_dyn_sized_stack, 0
	.set _ZL26rocblas_syr2k_her2k_kernelIlLb1ELb1ELb0ELi32E19rocblas_complex_numIfEPKPKS1_PKPS1_EvbiT_T4_T5_S9_lSB_S9_lT6_S9_li.has_recursion, 0
	.set _ZL26rocblas_syr2k_her2k_kernelIlLb1ELb1ELb0ELi32E19rocblas_complex_numIfEPKPKS1_PKPS1_EvbiT_T4_T5_S9_lSB_S9_lT6_S9_li.has_indirect_call, 0
	.section	.AMDGPU.csdata,"",@progbits
; Kernel info:
; codeLenInByte = 3552
; TotalNumSgprs: 36
; NumVgprs: 42
; ScratchSize: 0
; MemoryBound: 0
; FloatMode: 240
; IeeeMode: 1
; LDSByteSize: 16384 bytes/workgroup (compile time only)
; SGPRBlocks: 8
; VGPRBlocks: 10
; NumSGPRsForWavesPerEU: 65
; NumVGPRsForWavesPerEU: 42
; Occupancy: 5
; WaveLimiterHint : 1
; COMPUTE_PGM_RSRC2:SCRATCH_EN: 0
; COMPUTE_PGM_RSRC2:USER_SGPR: 6
; COMPUTE_PGM_RSRC2:TRAP_HANDLER: 0
; COMPUTE_PGM_RSRC2:TGID_X_EN: 1
; COMPUTE_PGM_RSRC2:TGID_Y_EN: 1
; COMPUTE_PGM_RSRC2:TGID_Z_EN: 1
; COMPUTE_PGM_RSRC2:TIDIG_COMP_CNT: 1
	.section	.text._ZL26rocblas_syr2k_her2k_kernelIlLb1ELb1ELb1ELi32E19rocblas_complex_numIfEPKPKS1_PKPS1_EvbiT_T4_T5_S9_lSB_S9_lT6_S9_li,"axG",@progbits,_ZL26rocblas_syr2k_her2k_kernelIlLb1ELb1ELb1ELi32E19rocblas_complex_numIfEPKPKS1_PKPS1_EvbiT_T4_T5_S9_lSB_S9_lT6_S9_li,comdat
	.globl	_ZL26rocblas_syr2k_her2k_kernelIlLb1ELb1ELb1ELi32E19rocblas_complex_numIfEPKPKS1_PKPS1_EvbiT_T4_T5_S9_lSB_S9_lT6_S9_li ; -- Begin function _ZL26rocblas_syr2k_her2k_kernelIlLb1ELb1ELb1ELi32E19rocblas_complex_numIfEPKPKS1_PKPS1_EvbiT_T4_T5_S9_lSB_S9_lT6_S9_li
	.p2align	8
	.type	_ZL26rocblas_syr2k_her2k_kernelIlLb1ELb1ELb1ELi32E19rocblas_complex_numIfEPKPKS1_PKPS1_EvbiT_T4_T5_S9_lSB_S9_lT6_S9_li,@function
_ZL26rocblas_syr2k_her2k_kernelIlLb1ELb1ELb1ELi32E19rocblas_complex_numIfEPKPKS1_PKPS1_EvbiT_T4_T5_S9_lSB_S9_lT6_S9_li: ; @_ZL26rocblas_syr2k_her2k_kernelIlLb1ELb1ELb1ELi32E19rocblas_complex_numIfEPKPKS1_PKPS1_EvbiT_T4_T5_S9_lSB_S9_lT6_S9_li
; %bb.0:
	s_load_dwordx2 s[10:11], s[4:5], 0x10
	s_waitcnt lgkmcnt(0)
	v_cmp_eq_f32_e64 s[0:1], s10, 0
	v_cmp_eq_f32_e64 s[2:3], s11, 0
	s_and_b64 s[0:1], s[0:1], s[2:3]
	s_and_b64 vcc, exec, s[0:1]
	s_cbranch_vccnz .LBB1889_16
; %bb.1:
	s_load_dwordx4 s[28:31], s[4:5], 0x0
	s_lshl_b32 s3, s7, 5
	s_lshl_b32 s2, s6, 5
	s_waitcnt lgkmcnt(0)
	s_and_b32 s0, 1, s28
	s_cmp_eq_u32 s0, 1
	s_cselect_b64 s[0:1], -1, 0
	s_and_b64 s[6:7], s[0:1], exec
	s_cselect_b32 s6, s2, s3
	s_cselect_b32 s7, s3, s2
	s_cmp_gt_i32 s6, s7
	v_cmp_lt_i64_e64 s[6:7], s[30:31], 1
	s_cselect_b64 s[12:13], -1, 0
	s_or_b64 s[6:7], s[12:13], s[6:7]
	s_and_b64 vcc, exec, s[6:7]
	s_cbranch_vccnz .LBB1889_16
; %bb.2:
	s_load_dwordx16 s[12:27], s[4:5], 0x18
	s_mov_b32 s9, 0
	s_lshl_b64 s[6:7], s[8:9], 3
	s_load_dwordx2 s[4:5], s[4:5], 0x58
	v_add_u32_e32 v2, s3, v1
	s_waitcnt lgkmcnt(0)
	s_add_u32 s8, s12, s6
	s_addc_u32 s9, s13, s7
	s_add_u32 s12, s18, s6
	s_addc_u32 s13, s19, s7
	;; [unrolled: 2-line block ×3, first 2 shown]
	s_load_dwordx2 s[18:19], s[6:7], 0x0
	v_add_u32_e32 v4, s2, v0
	s_lshl_b64 s[2:3], s[4:5], 3
	s_load_dwordx2 s[24:25], s[8:9], 0x0
	s_load_dwordx2 s[6:7], s[12:13], 0x0
	v_mov_b32_e32 v5, 0
	s_waitcnt lgkmcnt(0)
	s_add_u32 s12, s18, s2
	s_addc_u32 s8, s19, s3
	s_ashr_i32 s3, s29, 31
	s_mov_b32 s2, s29
	v_cndmask_b32_e64 v8, v4, v2, s[0:1]
	v_cndmask_b32_e64 v9, v2, v4, s[0:1]
	v_cmp_gt_i64_e64 s[0:1], s[2:3], v[4:5]
	v_mov_b32_e32 v3, v5
	v_ashrrev_i32_e32 v5, 31, v2
	v_mul_lo_u32 v5, s26, v5
	v_mul_lo_u32 v10, s27, v2
	v_mad_u64_u32 v[6:7], s[4:5], s26, v2, 0
	v_cmp_gt_i64_e64 s[2:3], s[2:3], v[2:3]
	v_max_i32_e32 v3, v4, v2
	v_cmp_gt_i32_e32 vcc, s29, v3
	v_cmp_le_i32_e64 s[4:5], v9, v8
	v_add3_u32 v7, v7, v5, v10
	v_mov_b32_e32 v3, s8
	v_mad_u64_u32 v[8:9], s[8:9], s14, v2, 0
	v_lshlrev_b64 v[6:7], 3, v[6:7]
	s_and_b64 s[4:5], s[4:5], vcc
	v_add_co_u32_e32 v11, vcc, s12, v6
	v_addc_co_u32_e32 v7, vcc, v3, v7, vcc
	v_mov_b32_e32 v3, v9
	v_ashrrev_i32_e32 v5, 31, v4
	v_mad_u64_u32 v[9:10], s[8:9], s15, v2, v[3:4]
	v_lshlrev_b64 v[5:6], 3, v[4:5]
	s_lshl_b64 s[8:9], s[16:17], 3
	v_add_co_u32_e32 v10, vcc, v11, v5
	v_addc_co_u32_e32 v11, vcc, v7, v6, vcc
	v_lshlrev_b64 v[5:6], 3, v[8:9]
	v_mov_b32_e32 v8, s9
	v_add_co_u32_e32 v3, vcc, s8, v5
	v_addc_co_u32_e32 v7, vcc, v6, v8, vcc
	v_mad_u64_u32 v[5:6], s[12:13], s14, v4, 0
	v_lshlrev_b32_e32 v9, 3, v0
	v_add_co_u32_e32 v16, vcc, v3, v9
	v_mov_b32_e32 v3, v6
	v_addc_co_u32_e32 v17, vcc, 0, v7, vcc
	v_mad_u64_u32 v[6:7], s[12:13], s15, v4, v[3:4]
	v_mov_b32_e32 v19, s25
	v_add_co_u32_e32 v16, vcc, s24, v16
	v_lshlrev_b64 v[5:6], 3, v[5:6]
	v_addc_co_u32_e32 v17, vcc, v19, v17, vcc
	v_add_co_u32_e32 v3, vcc, s8, v5
	v_addc_co_u32_e32 v7, vcc, v6, v8, vcc
	v_mad_u64_u32 v[5:6], s[8:9], s20, v2, 0
	v_lshlrev_b32_e32 v22, 3, v1
	v_add_co_u32_e32 v8, vcc, v3, v22
	v_mov_b32_e32 v3, v6
	v_mad_u64_u32 v[2:3], s[8:9], s21, v2, v[3:4]
	v_addc_co_u32_e32 v7, vcc, 0, v7, vcc
	v_mov_b32_e32 v6, v2
	v_add_co_u32_e32 v18, vcc, s24, v8
	v_lshlrev_b64 v[2:3], 3, v[5:6]
	v_addc_co_u32_e32 v19, vcc, v19, v7, vcc
	s_lshl_b64 s[8:9], s[22:23], 3
	v_mov_b32_e32 v5, s9
	v_add_co_u32_e32 v6, vcc, s8, v2
	v_addc_co_u32_e32 v7, vcc, v3, v5, vcc
	v_mad_u64_u32 v[2:3], s[12:13], s20, v4, 0
	v_add_co_u32_e32 v6, vcc, v6, v9
	v_mad_u64_u32 v[3:4], s[12:13], s21, v4, v[3:4]
	v_addc_co_u32_e32 v7, vcc, 0, v7, vcc
	v_mov_b32_e32 v8, s7
	v_add_co_u32_e32 v20, vcc, s6, v6
	v_lshlrev_b64 v[2:3], 3, v[2:3]
	v_addc_co_u32_e32 v21, vcc, v8, v7, vcc
	v_add_co_u32_e32 v2, vcc, s8, v2
	v_addc_co_u32_e32 v3, vcc, v3, v5, vcc
	v_add_co_u32_e32 v2, vcc, v2, v22
	v_lshlrev_b32_e32 v12, 8, v0
	v_addc_co_u32_e32 v3, vcc, 0, v3, vcc
	v_add_u32_e32 v13, v12, v22
	v_or_b32_e32 v14, 0x2000, v22
	v_add_co_u32_e32 v22, vcc, s6, v2
	v_add_u32_e32 v15, v14, v12
	v_addc_co_u32_e32 v23, vcc, v8, v3, vcc
	s_mov_b64 s[6:7], 0
	s_mov_b64 s[8:9], 0
	s_branch .LBB1889_4
.LBB1889_3:                             ;   in Loop: Header=BB1889_4 Depth=1
	s_or_b64 exec, exec, s[12:13]
	s_add_u32 s8, s8, 32
	v_mov_b32_e32 v2, s30
	s_addc_u32 s9, s9, 0
	v_mov_b32_e32 v3, s31
	v_cmp_lt_i64_e32 vcc, s[8:9], v[2:3]
	s_add_u32 s6, s6, 0x100
	s_addc_u32 s7, s7, 0
	s_waitcnt vmcnt(0) lgkmcnt(0)
	s_barrier
	s_cbranch_vccz .LBB1889_16
.LBB1889_4:                             ; =>This Inner Loop Header: Depth=1
	v_mov_b32_e32 v3, s9
	v_add_co_u32_e32 v2, vcc, s8, v1
	v_addc_co_u32_e32 v3, vcc, 0, v3, vcc
	v_cmp_gt_i64_e32 vcc, s[30:31], v[2:3]
	v_mov_b32_e32 v2, 0
	s_and_b64 s[12:13], s[0:1], vcc
	v_mov_b32_e32 v3, 0
	v_mov_b32_e32 v4, 0
	s_and_saveexec_b64 s[14:15], s[12:13]
	s_cbranch_execz .LBB1889_6
; %bb.5:                                ;   in Loop: Header=BB1889_4 Depth=1
	v_mov_b32_e32 v4, s7
	v_add_co_u32_e32 v3, vcc, s6, v18
	v_addc_co_u32_e32 v4, vcc, v19, v4, vcc
	flat_load_dwordx2 v[3:4], v[3:4]
	s_waitcnt vmcnt(0) lgkmcnt(0)
	v_xor_b32_e32 v4, 0x80000000, v4
.LBB1889_6:                             ;   in Loop: Header=BB1889_4 Depth=1
	s_or_b64 exec, exec, s[14:15]
	v_mov_b32_e32 v6, s9
	v_add_co_u32_e32 v5, vcc, s8, v0
	v_addc_co_u32_e32 v6, vcc, 0, v6, vcc
	v_cmp_gt_i64_e32 vcc, s[30:31], v[5:6]
	ds_write_b64 v13, v[3:4]
	s_and_b64 s[14:15], s[2:3], vcc
	v_mov_b32_e32 v3, 0
	s_and_saveexec_b64 s[16:17], s[14:15]
	s_cbranch_execz .LBB1889_8
; %bb.7:                                ;   in Loop: Header=BB1889_4 Depth=1
	v_mov_b32_e32 v3, s7
	v_add_co_u32_e32 v2, vcc, s6, v20
	v_addc_co_u32_e32 v3, vcc, v21, v3, vcc
	flat_load_dwordx2 v[2:3], v[2:3]
.LBB1889_8:                             ;   in Loop: Header=BB1889_4 Depth=1
	s_or_b64 exec, exec, s[16:17]
	v_add_u32_e32 v26, 0x800, v14
	v_add_u32_e32 v25, 0x1000, v14
	;; [unrolled: 1-line block ×3, first 2 shown]
	s_waitcnt vmcnt(0) lgkmcnt(0)
	ds_write_b64 v15, v[2:3]
	s_waitcnt lgkmcnt(0)
	s_barrier
	s_and_saveexec_b64 s[16:17], s[4:5]
	s_cbranch_execz .LBB1889_10
; %bb.9:                                ;   in Loop: Header=BB1889_4 Depth=1
	ds_read2_b64 v[2:5], v14 offset1:32
	ds_read_b128 v[6:9], v12
	ds_read_b128 v[27:30], v12 offset:16
	s_waitcnt lgkmcnt(1)
	v_mul_f32_e32 v31, v3, v7
	v_fma_f32 v36, v2, v6, -v31
	ds_read2_b64 v[31:34], v14 offset0:64 offset1:96
	v_mul_f32_e32 v35, v2, v7
	v_mul_f32_e32 v2, v5, v9
	v_fma_f32 v37, v4, v8, -v2
	v_fmac_f32_e32 v35, v3, v6
	s_waitcnt lgkmcnt(0)
	v_mul_f32_e32 v2, v32, v28
	v_mul_f32_e32 v38, v4, v9
	v_fma_f32 v39, v31, v27, -v2
	v_mul_f32_e32 v31, v31, v28
	v_mul_f32_e32 v2, v34, v30
	v_fmac_f32_e32 v38, v5, v8
	v_fmac_f32_e32 v31, v32, v27
	v_fma_f32 v32, v33, v29, -v2
	v_mul_f32_e32 v33, v33, v30
	v_add_f32_e32 v27, 0, v36
	v_add_f32_e32 v28, 0, v35
	v_fmac_f32_e32 v33, v34, v29
	ds_read_b128 v[2:5], v12 offset:32
	ds_read_b128 v[6:9], v12 offset:48
	v_add_f32_e32 v34, v27, v37
	v_add_f32_e32 v35, v28, v38
	ds_read2_b64 v[27:30], v14 offset0:128 offset1:160
	v_add_f32_e32 v31, v35, v31
	v_add_f32_e32 v34, v34, v39
	;; [unrolled: 1-line block ×4, first 2 shown]
	s_waitcnt lgkmcnt(0)
	v_mul_f32_e32 v33, v28, v3
	v_mul_f32_e32 v3, v27, v3
	v_fma_f32 v33, v27, v2, -v33
	v_fmac_f32_e32 v3, v28, v2
	v_add_f32_e32 v2, v32, v33
	v_add_f32_e32 v3, v31, v3
	ds_read2_b64 v[31:34], v14 offset0:192 offset1:224
	v_mul_f32_e32 v27, v30, v5
	v_mul_f32_e32 v5, v29, v5
	v_fma_f32 v27, v29, v4, -v27
	v_fmac_f32_e32 v5, v30, v4
	s_waitcnt lgkmcnt(0)
	v_mul_f32_e32 v4, v32, v7
	v_add_f32_e32 v2, v2, v27
	v_add_f32_e32 v3, v3, v5
	v_fma_f32 v4, v31, v6, -v4
	v_mul_f32_e32 v5, v31, v7
	v_fmac_f32_e32 v5, v32, v6
	v_add_f32_e32 v6, v2, v4
	v_mul_f32_e32 v2, v34, v9
	v_add_f32_e32 v7, v3, v5
	v_fma_f32 v31, v33, v8, -v2
	ds_read_b128 v[2:5], v12 offset:64
	ds_read2_b64 v[27:30], v26 offset1:32
	v_mul_f32_e32 v9, v33, v9
	v_fmac_f32_e32 v9, v34, v8
	v_add_f32_e32 v31, v6, v31
	v_add_f32_e32 v32, v7, v9
	s_waitcnt lgkmcnt(0)
	v_mul_f32_e32 v33, v28, v3
	v_mul_f32_e32 v3, v27, v3
	v_fma_f32 v33, v27, v2, -v33
	v_fmac_f32_e32 v3, v28, v2
	ds_read_b128 v[6:9], v12 offset:80
	v_add_f32_e32 v2, v31, v33
	v_add_f32_e32 v3, v32, v3
	ds_read2_b64 v[31:34], v26 offset0:64 offset1:96
	v_mul_f32_e32 v27, v30, v5
	v_mul_f32_e32 v5, v29, v5
	v_fma_f32 v27, v29, v4, -v27
	v_fmac_f32_e32 v5, v30, v4
	s_waitcnt lgkmcnt(0)
	v_mul_f32_e32 v4, v32, v7
	v_add_f32_e32 v2, v2, v27
	v_add_f32_e32 v3, v3, v5
	v_fma_f32 v4, v31, v6, -v4
	v_mul_f32_e32 v5, v31, v7
	v_fmac_f32_e32 v5, v32, v6
	v_add_f32_e32 v6, v2, v4
	v_mul_f32_e32 v2, v34, v9
	v_add_f32_e32 v7, v3, v5
	v_fma_f32 v31, v33, v8, -v2
	ds_read_b128 v[2:5], v12 offset:96
	ds_read2_b64 v[27:30], v26 offset0:128 offset1:160
	v_mul_f32_e32 v9, v33, v9
	v_fmac_f32_e32 v9, v34, v8
	v_add_f32_e32 v31, v6, v31
	v_add_f32_e32 v32, v7, v9
	s_waitcnt lgkmcnt(0)
	v_mul_f32_e32 v33, v28, v3
	v_mul_f32_e32 v3, v27, v3
	v_fma_f32 v33, v27, v2, -v33
	v_fmac_f32_e32 v3, v28, v2
	ds_read_b128 v[6:9], v12 offset:112
	v_add_f32_e32 v2, v31, v33
	v_add_f32_e32 v3, v32, v3
	ds_read2_b64 v[31:34], v26 offset0:192 offset1:224
	v_mul_f32_e32 v27, v30, v5
	v_mul_f32_e32 v5, v29, v5
	v_fma_f32 v27, v29, v4, -v27
	v_fmac_f32_e32 v5, v30, v4
	s_waitcnt lgkmcnt(0)
	v_mul_f32_e32 v4, v32, v7
	v_add_f32_e32 v2, v2, v27
	v_add_f32_e32 v3, v3, v5
	v_fma_f32 v4, v31, v6, -v4
	v_mul_f32_e32 v5, v31, v7
	v_fmac_f32_e32 v5, v32, v6
	v_add_f32_e32 v6, v2, v4
	v_mul_f32_e32 v2, v34, v9
	v_add_f32_e32 v7, v3, v5
	v_fma_f32 v31, v33, v8, -v2
	ds_read_b128 v[2:5], v12 offset:128
	ds_read2_b64 v[27:30], v25 offset1:32
	v_mul_f32_e32 v9, v33, v9
	v_fmac_f32_e32 v9, v34, v8
	v_add_f32_e32 v6, v6, v31
	ds_read_b128 v[31:34], v12 offset:144
	ds_read2_b64 v[35:38], v25 offset0:64 offset1:96
	s_waitcnt lgkmcnt(2)
	v_mul_f32_e32 v8, v28, v3
	v_fma_f32 v8, v27, v2, -v8
	v_mul_f32_e32 v3, v27, v3
	v_add_f32_e32 v7, v7, v9
	v_fmac_f32_e32 v3, v28, v2
	v_add_f32_e32 v2, v6, v8
	v_mul_f32_e32 v6, v30, v5
	v_mul_f32_e32 v5, v29, v5
	v_add_f32_e32 v3, v7, v3
	v_fma_f32 v6, v29, v4, -v6
	v_fmac_f32_e32 v5, v30, v4
	s_waitcnt lgkmcnt(0)
	v_mul_f32_e32 v4, v36, v32
	v_add_f32_e32 v2, v2, v6
	v_add_f32_e32 v3, v3, v5
	v_fma_f32 v4, v35, v31, -v4
	v_mul_f32_e32 v5, v35, v32
	v_fmac_f32_e32 v5, v36, v31
	v_add_f32_e32 v27, v2, v4
	v_mul_f32_e32 v2, v38, v34
	v_add_f32_e32 v28, v3, v5
	v_fma_f32 v29, v37, v33, -v2
	ds_read_b128 v[2:5], v12 offset:160
	ds_read2_b64 v[6:9], v25 offset0:128 offset1:160
	v_mul_f32_e32 v30, v37, v34
	v_fmac_f32_e32 v30, v38, v33
	v_add_f32_e32 v33, v27, v29
	v_add_f32_e32 v34, v28, v30
	s_waitcnt lgkmcnt(0)
	v_mul_f32_e32 v31, v7, v3
	v_fma_f32 v35, v6, v2, -v31
	flat_load_dwordx2 v[31:32], v[10:11]
	v_mul_f32_e32 v6, v6, v3
	v_fmac_f32_e32 v6, v7, v2
	v_mul_f32_e32 v2, v9, v5
	v_fma_f32 v7, v8, v4, -v2
	v_mul_f32_e32 v8, v8, v5
	ds_read_b128 v[27:30], v12 offset:176
	v_fmac_f32_e32 v8, v9, v4
	ds_read2_b64 v[2:5], v25 offset0:192 offset1:224
	v_add_f32_e32 v6, v34, v6
	v_add_f32_e32 v9, v33, v35
	;; [unrolled: 1-line block ×4, first 2 shown]
	s_waitcnt lgkmcnt(0)
	v_mul_f32_e32 v6, v3, v28
	v_fma_f32 v6, v2, v27, -v6
	v_mul_f32_e32 v28, v2, v28
	v_mul_f32_e32 v2, v5, v30
	;; [unrolled: 1-line block ×3, first 2 shown]
	v_fmac_f32_e32 v28, v3, v27
	v_add_f32_e32 v27, v7, v6
	v_fma_f32 v34, v4, v29, -v2
	v_fmac_f32_e32 v30, v5, v29
	ds_read_b128 v[2:5], v12 offset:192
	ds_read2_b64 v[6:9], v24 offset1:32
	v_add_f32_e32 v28, v33, v28
	v_add_f32_e32 v33, v27, v34
	;; [unrolled: 1-line block ×3, first 2 shown]
	ds_read_b128 v[27:30], v12 offset:208
	s_waitcnt lgkmcnt(0)
	v_mul_f32_e32 v35, v7, v3
	v_fma_f32 v35, v6, v2, -v35
	v_mul_f32_e32 v6, v6, v3
	v_fmac_f32_e32 v6, v7, v2
	v_mul_f32_e32 v2, v9, v5
	v_fma_f32 v7, v8, v4, -v2
	v_mul_f32_e32 v8, v8, v5
	v_fmac_f32_e32 v8, v9, v4
	ds_read2_b64 v[2:5], v24 offset0:64 offset1:96
	v_add_f32_e32 v6, v34, v6
	v_add_f32_e32 v9, v33, v35
	v_add_f32_e32 v33, v6, v8
	v_add_f32_e32 v7, v9, v7
	s_waitcnt lgkmcnt(0)
	v_mul_f32_e32 v6, v3, v28
	v_fma_f32 v6, v2, v27, -v6
	v_mul_f32_e32 v28, v2, v28
	v_mul_f32_e32 v2, v5, v30
	v_mul_f32_e32 v30, v4, v30
	v_fmac_f32_e32 v28, v3, v27
	v_add_f32_e32 v27, v7, v6
	v_fma_f32 v34, v4, v29, -v2
	v_fmac_f32_e32 v30, v5, v29
	ds_read_b128 v[2:5], v12 offset:224
	ds_read2_b64 v[6:9], v24 offset0:128 offset1:160
	v_add_f32_e32 v28, v33, v28
	v_add_f32_e32 v33, v27, v34
	;; [unrolled: 1-line block ×3, first 2 shown]
	ds_read_b128 v[27:30], v12 offset:240
	s_waitcnt lgkmcnt(0)
	v_mul_f32_e32 v35, v7, v3
	v_fma_f32 v35, v6, v2, -v35
	v_mul_f32_e32 v6, v6, v3
	v_fmac_f32_e32 v6, v7, v2
	v_mul_f32_e32 v2, v9, v5
	v_fma_f32 v7, v8, v4, -v2
	v_mul_f32_e32 v8, v8, v5
	v_fmac_f32_e32 v8, v9, v4
	ds_read2_b64 v[2:5], v24 offset0:192 offset1:224
	v_add_f32_e32 v6, v34, v6
	v_add_f32_e32 v6, v6, v8
	;; [unrolled: 1-line block ×4, first 2 shown]
	s_waitcnt lgkmcnt(0)
	v_mul_f32_e32 v8, v3, v28
	v_fma_f32 v8, v2, v27, -v8
	v_mul_f32_e32 v2, v2, v28
	v_fmac_f32_e32 v2, v3, v27
	v_add_f32_e32 v2, v6, v2
	v_mul_f32_e32 v6, v5, v30
	v_fma_f32 v6, v4, v29, -v6
	v_mul_f32_e32 v4, v4, v30
	v_fmac_f32_e32 v4, v5, v29
	v_add_f32_e32 v3, v7, v8
	v_add_f32_e32 v2, v2, v4
	;; [unrolled: 1-line block ×3, first 2 shown]
	v_mul_f32_e32 v4, s11, v2
	v_mul_f32_e32 v5, s10, v2
	v_fma_f32 v4, s10, v3, -v4
	v_fmac_f32_e32 v5, s11, v3
	s_waitcnt vmcnt(0)
	v_add_f32_e32 v2, v31, v4
	v_add_f32_e32 v3, v32, v5
	flat_store_dwordx2 v[10:11], v[2:3]
.LBB1889_10:                            ;   in Loop: Header=BB1889_4 Depth=1
	s_or_b64 exec, exec, s[16:17]
	v_mov_b32_e32 v4, 0
	v_mov_b32_e32 v3, 0
	;; [unrolled: 1-line block ×3, first 2 shown]
	s_waitcnt vmcnt(0) lgkmcnt(0)
	s_barrier
	s_and_saveexec_b64 s[16:17], s[12:13]
	s_cbranch_execz .LBB1889_12
; %bb.11:                               ;   in Loop: Header=BB1889_4 Depth=1
	v_mov_b32_e32 v2, s7
	v_add_co_u32_e32 v4, vcc, s6, v22
	v_addc_co_u32_e32 v5, vcc, v23, v2, vcc
	flat_load_dwordx2 v[4:5], v[4:5]
	s_waitcnt vmcnt(0) lgkmcnt(0)
	v_xor_b32_e32 v5, 0x80000000, v5
.LBB1889_12:                            ;   in Loop: Header=BB1889_4 Depth=1
	s_or_b64 exec, exec, s[16:17]
	v_mov_b32_e32 v2, 0
	ds_write_b64 v13, v[4:5]
	s_and_saveexec_b64 s[12:13], s[14:15]
	s_cbranch_execz .LBB1889_14
; %bb.13:                               ;   in Loop: Header=BB1889_4 Depth=1
	v_mov_b32_e32 v3, s7
	v_add_co_u32_e32 v2, vcc, s6, v16
	v_addc_co_u32_e32 v3, vcc, v17, v3, vcc
	flat_load_dwordx2 v[2:3], v[2:3]
.LBB1889_14:                            ;   in Loop: Header=BB1889_4 Depth=1
	s_or_b64 exec, exec, s[12:13]
	s_waitcnt vmcnt(0) lgkmcnt(0)
	ds_write_b64 v15, v[2:3]
	s_waitcnt lgkmcnt(0)
	s_barrier
	s_and_saveexec_b64 s[12:13], s[4:5]
	s_cbranch_execz .LBB1889_3
; %bb.15:                               ;   in Loop: Header=BB1889_4 Depth=1
	ds_read2_b64 v[2:5], v14 offset1:32
	ds_read_b128 v[6:9], v12
	ds_read_b128 v[27:30], v12 offset:16
	s_waitcnt lgkmcnt(1)
	v_mul_f32_e32 v31, v3, v7
	v_mul_f32_e32 v35, v2, v7
	v_fma_f32 v36, v2, v6, -v31
	v_mul_f32_e32 v2, v5, v9
	v_mul_f32_e32 v38, v4, v9
	v_fmac_f32_e32 v35, v3, v6
	v_fma_f32 v37, v4, v8, -v2
	v_fmac_f32_e32 v38, v5, v8
	ds_read_b128 v[2:5], v12 offset:32
	ds_read_b128 v[6:9], v12 offset:48
	ds_read2_b64 v[31:34], v14 offset0:64 offset1:96
	v_add_f32_e32 v36, 0, v36
	v_add_f32_e32 v36, v36, v37
	;; [unrolled: 1-line block ×4, first 2 shown]
	s_waitcnt lgkmcnt(0)
	v_mul_f32_e32 v37, v32, v28
	v_fma_f32 v37, v31, v27, -v37
	v_mul_f32_e32 v31, v31, v28
	v_fmac_f32_e32 v31, v32, v27
	v_mul_f32_e32 v27, v34, v30
	v_fma_f32 v32, v33, v29, -v27
	v_mul_f32_e32 v33, v33, v30
	v_fmac_f32_e32 v33, v34, v29
	ds_read2_b64 v[27:30], v14 offset0:128 offset1:160
	v_add_f32_e32 v31, v35, v31
	v_add_f32_e32 v34, v36, v37
	;; [unrolled: 1-line block ×4, first 2 shown]
	s_waitcnt lgkmcnt(0)
	v_mul_f32_e32 v33, v28, v3
	v_mul_f32_e32 v3, v27, v3
	v_fma_f32 v33, v27, v2, -v33
	v_fmac_f32_e32 v3, v28, v2
	v_add_f32_e32 v2, v32, v33
	v_add_f32_e32 v3, v31, v3
	ds_read2_b64 v[31:34], v14 offset0:192 offset1:224
	v_mul_f32_e32 v27, v30, v5
	v_mul_f32_e32 v5, v29, v5
	v_fma_f32 v27, v29, v4, -v27
	v_fmac_f32_e32 v5, v30, v4
	s_waitcnt lgkmcnt(0)
	v_mul_f32_e32 v4, v32, v7
	v_add_f32_e32 v2, v2, v27
	v_add_f32_e32 v3, v3, v5
	v_fma_f32 v4, v31, v6, -v4
	v_mul_f32_e32 v5, v31, v7
	v_fmac_f32_e32 v5, v32, v6
	v_add_f32_e32 v6, v2, v4
	v_mul_f32_e32 v2, v34, v9
	v_add_f32_e32 v7, v3, v5
	v_fma_f32 v31, v33, v8, -v2
	ds_read_b128 v[2:5], v12 offset:64
	ds_read2_b64 v[27:30], v26 offset1:32
	v_mul_f32_e32 v9, v33, v9
	v_fmac_f32_e32 v9, v34, v8
	v_add_f32_e32 v31, v6, v31
	v_add_f32_e32 v32, v7, v9
	s_waitcnt lgkmcnt(0)
	v_mul_f32_e32 v33, v28, v3
	v_mul_f32_e32 v3, v27, v3
	v_fma_f32 v33, v27, v2, -v33
	v_fmac_f32_e32 v3, v28, v2
	ds_read_b128 v[6:9], v12 offset:80
	v_add_f32_e32 v2, v31, v33
	v_add_f32_e32 v3, v32, v3
	ds_read2_b64 v[31:34], v26 offset0:64 offset1:96
	v_mul_f32_e32 v27, v30, v5
	v_mul_f32_e32 v5, v29, v5
	v_fma_f32 v27, v29, v4, -v27
	v_fmac_f32_e32 v5, v30, v4
	s_waitcnt lgkmcnt(0)
	v_mul_f32_e32 v4, v32, v7
	v_add_f32_e32 v2, v2, v27
	v_add_f32_e32 v3, v3, v5
	v_fma_f32 v4, v31, v6, -v4
	v_mul_f32_e32 v5, v31, v7
	v_fmac_f32_e32 v5, v32, v6
	v_add_f32_e32 v6, v2, v4
	v_mul_f32_e32 v2, v34, v9
	v_add_f32_e32 v7, v3, v5
	v_fma_f32 v31, v33, v8, -v2
	ds_read_b128 v[2:5], v12 offset:96
	ds_read2_b64 v[27:30], v26 offset0:128 offset1:160
	v_mul_f32_e32 v9, v33, v9
	v_fmac_f32_e32 v9, v34, v8
	v_add_f32_e32 v31, v6, v31
	v_add_f32_e32 v32, v7, v9
	s_waitcnt lgkmcnt(0)
	v_mul_f32_e32 v33, v28, v3
	v_mul_f32_e32 v3, v27, v3
	v_fma_f32 v33, v27, v2, -v33
	v_fmac_f32_e32 v3, v28, v2
	ds_read_b128 v[6:9], v12 offset:112
	v_add_f32_e32 v2, v31, v33
	v_add_f32_e32 v3, v32, v3
	ds_read2_b64 v[31:34], v26 offset0:192 offset1:224
	v_mul_f32_e32 v27, v30, v5
	v_mul_f32_e32 v5, v29, v5
	v_fma_f32 v27, v29, v4, -v27
	v_fmac_f32_e32 v5, v30, v4
	s_waitcnt lgkmcnt(0)
	v_mul_f32_e32 v4, v32, v7
	v_add_f32_e32 v2, v2, v27
	v_add_f32_e32 v3, v3, v5
	v_fma_f32 v4, v31, v6, -v4
	v_mul_f32_e32 v5, v31, v7
	v_fmac_f32_e32 v5, v32, v6
	v_add_f32_e32 v6, v2, v4
	v_mul_f32_e32 v2, v34, v9
	v_add_f32_e32 v7, v3, v5
	v_fma_f32 v30, v33, v8, -v2
	ds_read_b128 v[2:5], v12 offset:128
	ds_read2_b64 v[26:29], v25 offset1:32
	v_mul_f32_e32 v9, v33, v9
	v_fmac_f32_e32 v9, v34, v8
	v_add_f32_e32 v6, v6, v30
	ds_read_b128 v[30:33], v12 offset:144
	ds_read2_b64 v[34:37], v25 offset0:64 offset1:96
	s_waitcnt lgkmcnt(2)
	v_mul_f32_e32 v8, v27, v3
	v_fma_f32 v8, v26, v2, -v8
	v_mul_f32_e32 v3, v26, v3
	v_add_f32_e32 v7, v7, v9
	v_fmac_f32_e32 v3, v27, v2
	v_add_f32_e32 v2, v6, v8
	v_mul_f32_e32 v6, v29, v5
	v_mul_f32_e32 v5, v28, v5
	v_add_f32_e32 v3, v7, v3
	v_fma_f32 v6, v28, v4, -v6
	v_fmac_f32_e32 v5, v29, v4
	s_waitcnt lgkmcnt(0)
	v_mul_f32_e32 v4, v35, v31
	v_add_f32_e32 v2, v2, v6
	v_add_f32_e32 v3, v3, v5
	v_fma_f32 v4, v34, v30, -v4
	v_mul_f32_e32 v5, v34, v31
	v_fmac_f32_e32 v5, v35, v30
	v_add_f32_e32 v26, v2, v4
	v_mul_f32_e32 v2, v37, v33
	v_add_f32_e32 v27, v3, v5
	v_fma_f32 v28, v36, v32, -v2
	ds_read_b128 v[2:5], v12 offset:160
	ds_read2_b64 v[6:9], v25 offset0:128 offset1:160
	flat_load_dwordx2 v[34:35], v[10:11]
	v_mul_f32_e32 v29, v36, v33
	v_fmac_f32_e32 v29, v37, v32
	v_add_f32_e32 v30, v26, v28
	s_waitcnt lgkmcnt(0)
	v_mul_f32_e32 v32, v7, v3
	v_mul_f32_e32 v3, v6, v3
	v_add_f32_e32 v31, v27, v29
	v_fma_f32 v32, v6, v2, -v32
	v_fmac_f32_e32 v3, v7, v2
	ds_read_b128 v[26:29], v12 offset:176
	v_add_f32_e32 v2, v30, v32
	v_add_f32_e32 v3, v31, v3
	ds_read2_b64 v[30:33], v25 offset0:192 offset1:224
	v_mul_f32_e32 v6, v9, v5
	v_mul_f32_e32 v5, v8, v5
	v_fma_f32 v6, v8, v4, -v6
	v_fmac_f32_e32 v5, v9, v4
	s_waitcnt lgkmcnt(0)
	v_mul_f32_e32 v4, v31, v27
	v_add_f32_e32 v2, v2, v6
	v_add_f32_e32 v3, v3, v5
	v_fma_f32 v4, v30, v26, -v4
	v_mul_f32_e32 v5, v30, v27
	v_fmac_f32_e32 v5, v31, v26
	v_add_f32_e32 v25, v2, v4
	v_mul_f32_e32 v2, v33, v29
	v_add_f32_e32 v26, v3, v5
	v_fma_f32 v27, v32, v28, -v2
	ds_read_b128 v[2:5], v12 offset:192
	ds_read2_b64 v[6:9], v24 offset1:32
	v_mul_f32_e32 v29, v32, v29
	v_fmac_f32_e32 v29, v33, v28
	v_add_f32_e32 v30, v25, v27
	v_add_f32_e32 v29, v26, v29
	s_waitcnt lgkmcnt(0)
	v_mul_f32_e32 v31, v7, v3
	v_mul_f32_e32 v3, v6, v3
	v_fma_f32 v31, v6, v2, -v31
	v_fmac_f32_e32 v3, v7, v2
	ds_read_b128 v[25:28], v12 offset:208
	v_add_f32_e32 v2, v30, v31
	v_add_f32_e32 v3, v29, v3
	ds_read2_b64 v[29:32], v24 offset0:64 offset1:96
	v_mul_f32_e32 v6, v9, v5
	v_mul_f32_e32 v5, v8, v5
	v_fma_f32 v6, v8, v4, -v6
	v_fmac_f32_e32 v5, v9, v4
	s_waitcnt lgkmcnt(0)
	v_mul_f32_e32 v4, v30, v26
	v_add_f32_e32 v2, v2, v6
	v_add_f32_e32 v3, v3, v5
	v_fma_f32 v4, v29, v25, -v4
	v_mul_f32_e32 v5, v29, v26
	v_fmac_f32_e32 v5, v30, v25
	v_add_f32_e32 v25, v2, v4
	v_mul_f32_e32 v2, v32, v28
	v_add_f32_e32 v26, v3, v5
	v_fma_f32 v29, v31, v27, -v2
	ds_read_b128 v[2:5], v12 offset:224
	ds_read2_b64 v[6:9], v24 offset0:128 offset1:160
	v_mul_f32_e32 v28, v31, v28
	v_fmac_f32_e32 v28, v32, v27
	v_add_f32_e32 v29, v25, v29
	v_add_f32_e32 v30, v26, v28
	s_waitcnt lgkmcnt(0)
	v_mul_f32_e32 v31, v7, v3
	v_mul_f32_e32 v3, v6, v3
	v_fma_f32 v31, v6, v2, -v31
	v_fmac_f32_e32 v3, v7, v2
	ds_read_b128 v[25:28], v12 offset:240
	v_add_f32_e32 v2, v29, v31
	v_add_f32_e32 v3, v30, v3
	ds_read2_b64 v[29:32], v24 offset0:192 offset1:224
	v_mul_f32_e32 v6, v9, v5
	v_mul_f32_e32 v5, v8, v5
	v_fma_f32 v6, v8, v4, -v6
	v_fmac_f32_e32 v5, v9, v4
	s_waitcnt lgkmcnt(0)
	v_mul_f32_e32 v4, v30, v26
	v_add_f32_e32 v2, v2, v6
	v_add_f32_e32 v3, v3, v5
	v_fma_f32 v4, v29, v25, -v4
	v_mul_f32_e32 v5, v29, v26
	v_fmac_f32_e32 v5, v30, v25
	v_add_f32_e32 v2, v2, v4
	v_mul_f32_e32 v4, v32, v28
	v_add_f32_e32 v3, v3, v5
	v_fma_f32 v4, v31, v27, -v4
	v_mul_f32_e32 v5, v31, v28
	v_fmac_f32_e32 v5, v32, v27
	v_add_f32_e32 v2, v2, v4
	v_add_f32_e32 v3, v3, v5
	v_mul_f32_e32 v4, s10, v2
	v_mul_f32_e32 v2, s11, v2
	v_fmac_f32_e32 v4, s11, v3
	v_fma_f32 v3, s10, v3, -v2
	s_waitcnt vmcnt(0)
	v_add_f32_e32 v2, v34, v4
	v_add_f32_e32 v3, v35, v3
	flat_store_dwordx2 v[10:11], v[2:3]
	s_branch .LBB1889_3
.LBB1889_16:
	s_endpgm
	.section	.rodata,"a",@progbits
	.p2align	6, 0x0
	.amdhsa_kernel _ZL26rocblas_syr2k_her2k_kernelIlLb1ELb1ELb1ELi32E19rocblas_complex_numIfEPKPKS1_PKPS1_EvbiT_T4_T5_S9_lSB_S9_lT6_S9_li
		.amdhsa_group_segment_fixed_size 16384
		.amdhsa_private_segment_fixed_size 0
		.amdhsa_kernarg_size 100
		.amdhsa_user_sgpr_count 6
		.amdhsa_user_sgpr_private_segment_buffer 1
		.amdhsa_user_sgpr_dispatch_ptr 0
		.amdhsa_user_sgpr_queue_ptr 0
		.amdhsa_user_sgpr_kernarg_segment_ptr 1
		.amdhsa_user_sgpr_dispatch_id 0
		.amdhsa_user_sgpr_flat_scratch_init 0
		.amdhsa_user_sgpr_private_segment_size 0
		.amdhsa_uses_dynamic_stack 0
		.amdhsa_system_sgpr_private_segment_wavefront_offset 0
		.amdhsa_system_sgpr_workgroup_id_x 1
		.amdhsa_system_sgpr_workgroup_id_y 1
		.amdhsa_system_sgpr_workgroup_id_z 1
		.amdhsa_system_sgpr_workgroup_info 0
		.amdhsa_system_vgpr_workitem_id 1
		.amdhsa_next_free_vgpr 40
		.amdhsa_next_free_sgpr 61
		.amdhsa_reserve_vcc 1
		.amdhsa_reserve_flat_scratch 0
		.amdhsa_float_round_mode_32 0
		.amdhsa_float_round_mode_16_64 0
		.amdhsa_float_denorm_mode_32 3
		.amdhsa_float_denorm_mode_16_64 3
		.amdhsa_dx10_clamp 1
		.amdhsa_ieee_mode 1
		.amdhsa_fp16_overflow 0
		.amdhsa_exception_fp_ieee_invalid_op 0
		.amdhsa_exception_fp_denorm_src 0
		.amdhsa_exception_fp_ieee_div_zero 0
		.amdhsa_exception_fp_ieee_overflow 0
		.amdhsa_exception_fp_ieee_underflow 0
		.amdhsa_exception_fp_ieee_inexact 0
		.amdhsa_exception_int_div_zero 0
	.end_amdhsa_kernel
	.section	.text._ZL26rocblas_syr2k_her2k_kernelIlLb1ELb1ELb1ELi32E19rocblas_complex_numIfEPKPKS1_PKPS1_EvbiT_T4_T5_S9_lSB_S9_lT6_S9_li,"axG",@progbits,_ZL26rocblas_syr2k_her2k_kernelIlLb1ELb1ELb1ELi32E19rocblas_complex_numIfEPKPKS1_PKPS1_EvbiT_T4_T5_S9_lSB_S9_lT6_S9_li,comdat
.Lfunc_end1889:
	.size	_ZL26rocblas_syr2k_her2k_kernelIlLb1ELb1ELb1ELi32E19rocblas_complex_numIfEPKPKS1_PKPS1_EvbiT_T4_T5_S9_lSB_S9_lT6_S9_li, .Lfunc_end1889-_ZL26rocblas_syr2k_her2k_kernelIlLb1ELb1ELb1ELi32E19rocblas_complex_numIfEPKPKS1_PKPS1_EvbiT_T4_T5_S9_lSB_S9_lT6_S9_li
                                        ; -- End function
	.set _ZL26rocblas_syr2k_her2k_kernelIlLb1ELb1ELb1ELi32E19rocblas_complex_numIfEPKPKS1_PKPS1_EvbiT_T4_T5_S9_lSB_S9_lT6_S9_li.num_vgpr, 40
	.set _ZL26rocblas_syr2k_her2k_kernelIlLb1ELb1ELb1ELi32E19rocblas_complex_numIfEPKPKS1_PKPS1_EvbiT_T4_T5_S9_lSB_S9_lT6_S9_li.num_agpr, 0
	.set _ZL26rocblas_syr2k_her2k_kernelIlLb1ELb1ELb1ELi32E19rocblas_complex_numIfEPKPKS1_PKPS1_EvbiT_T4_T5_S9_lSB_S9_lT6_S9_li.numbered_sgpr, 32
	.set _ZL26rocblas_syr2k_her2k_kernelIlLb1ELb1ELb1ELi32E19rocblas_complex_numIfEPKPKS1_PKPS1_EvbiT_T4_T5_S9_lSB_S9_lT6_S9_li.num_named_barrier, 0
	.set _ZL26rocblas_syr2k_her2k_kernelIlLb1ELb1ELb1ELi32E19rocblas_complex_numIfEPKPKS1_PKPS1_EvbiT_T4_T5_S9_lSB_S9_lT6_S9_li.private_seg_size, 0
	.set _ZL26rocblas_syr2k_her2k_kernelIlLb1ELb1ELb1ELi32E19rocblas_complex_numIfEPKPKS1_PKPS1_EvbiT_T4_T5_S9_lSB_S9_lT6_S9_li.uses_vcc, 1
	.set _ZL26rocblas_syr2k_her2k_kernelIlLb1ELb1ELb1ELi32E19rocblas_complex_numIfEPKPKS1_PKPS1_EvbiT_T4_T5_S9_lSB_S9_lT6_S9_li.uses_flat_scratch, 0
	.set _ZL26rocblas_syr2k_her2k_kernelIlLb1ELb1ELb1ELi32E19rocblas_complex_numIfEPKPKS1_PKPS1_EvbiT_T4_T5_S9_lSB_S9_lT6_S9_li.has_dyn_sized_stack, 0
	.set _ZL26rocblas_syr2k_her2k_kernelIlLb1ELb1ELb1ELi32E19rocblas_complex_numIfEPKPKS1_PKPS1_EvbiT_T4_T5_S9_lSB_S9_lT6_S9_li.has_recursion, 0
	.set _ZL26rocblas_syr2k_her2k_kernelIlLb1ELb1ELb1ELi32E19rocblas_complex_numIfEPKPKS1_PKPS1_EvbiT_T4_T5_S9_lSB_S9_lT6_S9_li.has_indirect_call, 0
	.section	.AMDGPU.csdata,"",@progbits
; Kernel info:
; codeLenInByte = 3544
; TotalNumSgprs: 36
; NumVgprs: 40
; ScratchSize: 0
; MemoryBound: 0
; FloatMode: 240
; IeeeMode: 1
; LDSByteSize: 16384 bytes/workgroup (compile time only)
; SGPRBlocks: 8
; VGPRBlocks: 9
; NumSGPRsForWavesPerEU: 65
; NumVGPRsForWavesPerEU: 40
; Occupancy: 6
; WaveLimiterHint : 1
; COMPUTE_PGM_RSRC2:SCRATCH_EN: 0
; COMPUTE_PGM_RSRC2:USER_SGPR: 6
; COMPUTE_PGM_RSRC2:TRAP_HANDLER: 0
; COMPUTE_PGM_RSRC2:TGID_X_EN: 1
; COMPUTE_PGM_RSRC2:TGID_Y_EN: 1
; COMPUTE_PGM_RSRC2:TGID_Z_EN: 1
; COMPUTE_PGM_RSRC2:TIDIG_COMP_CNT: 1
	.section	.text._ZL26rocblas_syr2k_her2k_kernelIlLb1ELb1ELb0ELi32EPK19rocblas_complex_numIfEPKS3_PKPS1_EvbiT_T4_T5_S9_lSB_S9_lT6_S9_li,"axG",@progbits,_ZL26rocblas_syr2k_her2k_kernelIlLb1ELb1ELb0ELi32EPK19rocblas_complex_numIfEPKS3_PKPS1_EvbiT_T4_T5_S9_lSB_S9_lT6_S9_li,comdat
	.globl	_ZL26rocblas_syr2k_her2k_kernelIlLb1ELb1ELb0ELi32EPK19rocblas_complex_numIfEPKS3_PKPS1_EvbiT_T4_T5_S9_lSB_S9_lT6_S9_li ; -- Begin function _ZL26rocblas_syr2k_her2k_kernelIlLb1ELb1ELb0ELi32EPK19rocblas_complex_numIfEPKS3_PKPS1_EvbiT_T4_T5_S9_lSB_S9_lT6_S9_li
	.p2align	8
	.type	_ZL26rocblas_syr2k_her2k_kernelIlLb1ELb1ELb0ELi32EPK19rocblas_complex_numIfEPKS3_PKPS1_EvbiT_T4_T5_S9_lSB_S9_lT6_S9_li,@function
_ZL26rocblas_syr2k_her2k_kernelIlLb1ELb1ELb0ELi32EPK19rocblas_complex_numIfEPKS3_PKPS1_EvbiT_T4_T5_S9_lSB_S9_lT6_S9_li: ; @_ZL26rocblas_syr2k_her2k_kernelIlLb1ELb1ELb0ELi32EPK19rocblas_complex_numIfEPKS3_PKPS1_EvbiT_T4_T5_S9_lSB_S9_lT6_S9_li
; %bb.0:
	s_load_dwordx16 s[12:27], s[4:5], 0x8
	s_waitcnt lgkmcnt(0)
	s_load_dwordx2 s[10:11], s[14:15], 0x0
	s_waitcnt lgkmcnt(0)
	v_cmp_eq_f32_e64 s[0:1], s10, 0
	v_cmp_eq_f32_e64 s[2:3], s11, 0
	s_and_b64 s[0:1], s[0:1], s[2:3]
	s_and_b64 vcc, exec, s[0:1]
	s_cbranch_vccnz .LBB1890_16
; %bb.1:
	s_load_dwordx2 s[14:15], s[4:5], 0x0
	s_lshl_b32 s2, s7, 5
	s_lshl_b32 s3, s6, 5
	s_waitcnt lgkmcnt(0)
	s_and_b32 s0, 1, s14
	s_cmp_eq_u32 s0, 1
	s_cselect_b64 s[0:1], -1, 0
	s_and_b64 s[6:7], s[0:1], exec
	s_cselect_b32 s6, s3, s2
	s_cselect_b32 s7, s2, s3
	s_cmp_gt_i32 s6, s7
	v_cmp_lt_i64_e64 s[6:7], s[12:13], 1
	s_cselect_b64 s[28:29], -1, 0
	s_or_b64 s[6:7], s[28:29], s[6:7]
	s_and_b64 vcc, exec, s[6:7]
	s_cbranch_vccnz .LBB1890_16
; %bb.2:
	s_mov_b32 s9, 0
	s_load_dwordx4 s[28:31], s[4:5], 0x48
	s_load_dwordx2 s[6:7], s[4:5], 0x58
	s_lshl_b64 s[4:5], s[8:9], 3
	s_add_u32 s8, s16, s4
	s_addc_u32 s9, s17, s5
	s_add_u32 s34, s22, s4
	s_addc_u32 s35, s23, s5
	s_waitcnt lgkmcnt(0)
	s_add_u32 s4, s28, s4
	s_addc_u32 s5, s29, s5
	s_load_dwordx2 s[28:29], s[4:5], 0x0
	s_load_dwordx2 s[16:17], s[8:9], 0x0
	s_load_dwordx2 s[22:23], s[34:35], 0x0
	s_lshl_b64 s[4:5], s[6:7], 3
	v_add_u32_e32 v2, s2, v1
	v_lshlrev_b32_e32 v18, 8, v0
	v_lshlrev_b32_e32 v6, 3, v1
	s_waitcnt lgkmcnt(0)
	s_add_u32 s8, s28, s4
	v_add_u32_e32 v19, v18, v6
	v_or_b32_e32 v20, 0x2000, v6
	v_ashrrev_i32_e32 v6, 31, v2
	s_addc_u32 s9, s29, s5
	v_mul_lo_u32 v11, s30, v6
	v_mul_lo_u32 v12, s31, v2
	v_mad_u64_u32 v[6:7], s[4:5], s30, v2, 0
	v_add_u32_e32 v4, s3, v0
	v_cndmask_b32_e64 v8, v4, v2, s[0:1]
	v_cndmask_b32_e64 v9, v2, v4, s[0:1]
	v_max_i32_e32 v10, v4, v2
	v_add3_u32 v7, v7, v11, v12
	v_cmp_gt_i32_e32 vcc, s15, v10
	v_cmp_le_i32_e64 s[4:5], v9, v8
	v_lshlrev_b64 v[6:7], 3, v[6:7]
	s_and_b64 s[6:7], s[4:5], vcc
	v_mad_u64_u32 v[14:15], s[4:5], s18, v0, 0
	v_ashrrev_i32_e32 v9, 31, v4
	v_mov_b32_e32 v8, v4
	v_mov_b32_e32 v10, s9
	v_add_co_u32_e32 v11, vcc, s8, v6
	v_addc_co_u32_e32 v12, vcc, v10, v7, vcc
	v_lshlrev_b64 v[6:7], 3, v[8:9]
	v_mov_b32_e32 v8, v15
	v_add_co_u32_e32 v10, vcc, v11, v6
	v_mad_u64_u32 v[8:9], s[4:5], s19, v0, v[8:9]
	v_addc_co_u32_e32 v11, vcc, v12, v7, vcc
	v_mad_u64_u32 v[6:7], s[8:9], s24, v0, 0
	s_ashr_i32 s3, s15, 31
	s_lshl_b64 s[4:5], s[20:21], 3
	s_add_u32 s14, s16, s4
	v_mov_b32_e32 v5, 0
	s_addc_u32 s8, s17, s5
	s_mov_b32 s2, s15
	v_mov_b32_e32 v3, v5
	v_mov_b32_e32 v15, v8
	;; [unrolled: 1-line block ×3, first 2 shown]
	v_mad_u64_u32 v[7:8], s[8:9], s25, v0, v[7:8]
	v_cmp_gt_i64_e64 s[0:1], s[2:3], v[4:5]
	v_cmp_gt_i64_e64 s[2:3], s[2:3], v[2:3]
	v_lshlrev_b64 v[12:13], 3, v[2:3]
	v_lshlrev_b64 v[2:3], 3, v[14:15]
	s_lshl_b64 s[8:9], s[18:19], 8
	v_add_co_u32_e32 v22, vcc, s14, v2
	v_addc_co_u32_e32 v23, vcc, v9, v3, vcc
	v_lshlrev_b64 v[2:3], 3, v[6:7]
	v_mad_u64_u32 v[6:7], s[14:15], s24, v1, 0
	s_lshl_b64 s[20:21], s[26:27], 3
	s_add_u32 s26, s22, s20
	s_addc_u32 s14, s23, s21
	v_mov_b32_e32 v9, s14
	v_mad_u64_u32 v[7:8], s[14:15], s25, v1, v[7:8]
	v_add_co_u32_e32 v24, vcc, s26, v2
	v_addc_co_u32_e32 v25, vcc, v9, v3, vcc
	v_lshlrev_b64 v[2:3], 3, v[6:7]
	v_mov_b32_e32 v6, s21
	v_add_co_u32_e32 v7, vcc, s20, v2
	v_addc_co_u32_e32 v6, vcc, v3, v6, vcc
	v_lshlrev_b64 v[2:3], 3, v[4:5]
	v_mad_u64_u32 v[4:5], s[20:21], s18, v1, 0
	v_add_co_u32_e32 v7, vcc, v7, v2
	v_addc_co_u32_e32 v8, vcc, v6, v3, vcc
	v_mad_u64_u32 v[5:6], s[18:19], s19, v1, v[5:6]
	v_mov_b32_e32 v9, s23
	v_add_co_u32_e32 v14, vcc, s22, v7
	v_lshlrev_b64 v[4:5], 3, v[4:5]
	v_addc_co_u32_e32 v15, vcc, v9, v8, vcc
	v_mov_b32_e32 v6, s5
	v_add_co_u32_e32 v4, vcc, s4, v4
	v_addc_co_u32_e32 v5, vcc, v5, v6, vcc
	v_add_co_u32_e32 v2, vcc, v4, v2
	v_addc_co_u32_e32 v3, vcc, v5, v3, vcc
	v_mov_b32_e32 v4, s17
	v_add_co_u32_e32 v16, vcc, s16, v2
	v_add_u32_e32 v21, v20, v18
	s_lshl_b64 s[14:15], s[24:25], 8
	v_addc_co_u32_e32 v17, vcc, v4, v3, vcc
	s_mov_b64 s[16:17], 0
	s_branch .LBB1890_4
.LBB1890_3:                             ;   in Loop: Header=BB1890_4 Depth=1
	s_or_b64 exec, exec, s[4:5]
	v_mov_b32_e32 v4, s9
	v_add_co_u32_e32 v22, vcc, s8, v22
	v_addc_co_u32_e32 v23, vcc, v23, v4, vcc
	v_mov_b32_e32 v2, s15
	v_add_co_u32_e32 v24, vcc, s14, v24
	v_addc_co_u32_e32 v25, vcc, v25, v2, vcc
	v_add_co_u32_e32 v14, vcc, s14, v14
	s_add_u32 s16, s16, 32
	v_addc_co_u32_e32 v15, vcc, v15, v2, vcc
	v_mov_b32_e32 v2, s12
	s_addc_u32 s17, s17, 0
	v_mov_b32_e32 v3, s13
	v_cmp_lt_i64_e32 vcc, s[16:17], v[2:3]
	v_add_co_u32_e64 v16, s[4:5], s8, v16
	v_addc_co_u32_e64 v17, s[4:5], v17, v4, s[4:5]
	s_waitcnt vmcnt(0) lgkmcnt(0)
	s_barrier
	s_cbranch_vccz .LBB1890_16
.LBB1890_4:                             ; =>This Inner Loop Header: Depth=1
	v_mov_b32_e32 v3, s17
	v_add_co_u32_e32 v2, vcc, s16, v1
	v_addc_co_u32_e32 v3, vcc, 0, v3, vcc
	v_cmp_gt_i64_e32 vcc, s[12:13], v[2:3]
	v_mov_b32_e32 v2, 0
	s_and_b64 s[4:5], s[0:1], vcc
	v_mov_b32_e32 v3, 0
	s_and_saveexec_b64 s[18:19], s[4:5]
	s_cbranch_execz .LBB1890_6
; %bb.5:                                ;   in Loop: Header=BB1890_4 Depth=1
	flat_load_dwordx2 v[2:3], v[16:17]
.LBB1890_6:                             ;   in Loop: Header=BB1890_4 Depth=1
	s_or_b64 exec, exec, s[18:19]
	v_mov_b32_e32 v5, s17
	v_add_co_u32_e32 v4, vcc, s16, v0
	v_addc_co_u32_e32 v5, vcc, 0, v5, vcc
	v_cmp_gt_i64_e32 vcc, s[12:13], v[4:5]
	s_waitcnt vmcnt(0) lgkmcnt(0)
	ds_write_b64 v19, v[2:3]
	s_and_b64 s[18:19], s[2:3], vcc
	v_mov_b32_e32 v3, 0
	v_mov_b32_e32 v2, 0
	s_and_saveexec_b64 s[20:21], s[18:19]
	s_cbranch_execz .LBB1890_8
; %bb.7:                                ;   in Loop: Header=BB1890_4 Depth=1
	v_add_co_u32_e32 v2, vcc, v24, v12
	v_addc_co_u32_e32 v3, vcc, v25, v13, vcc
	flat_load_dwordx2 v[2:3], v[2:3]
	s_waitcnt vmcnt(0) lgkmcnt(0)
	v_xor_b32_e32 v3, 0x80000000, v3
.LBB1890_8:                             ;   in Loop: Header=BB1890_4 Depth=1
	s_or_b64 exec, exec, s[20:21]
	v_add_u32_e32 v28, 0x800, v20
	v_add_u32_e32 v27, 0x1000, v20
	;; [unrolled: 1-line block ×3, first 2 shown]
	ds_write_b64 v21, v[2:3]
	s_waitcnt lgkmcnt(0)
	s_barrier
	s_and_saveexec_b64 s[20:21], s[6:7]
	s_cbranch_execz .LBB1890_10
; %bb.9:                                ;   in Loop: Header=BB1890_4 Depth=1
	ds_read2_b64 v[2:5], v20 offset1:32
	ds_read_b128 v[6:9], v18
	ds_read_b128 v[29:32], v18 offset:16
	s_waitcnt lgkmcnt(1)
	v_mul_f32_e32 v33, v3, v7
	v_fma_f32 v38, v2, v6, -v33
	ds_read2_b64 v[33:36], v20 offset0:64 offset1:96
	v_mul_f32_e32 v37, v2, v7
	v_mul_f32_e32 v2, v5, v9
	v_fma_f32 v39, v4, v8, -v2
	v_fmac_f32_e32 v37, v3, v6
	s_waitcnt lgkmcnt(0)
	v_mul_f32_e32 v2, v34, v30
	v_mul_f32_e32 v40, v4, v9
	v_fma_f32 v41, v33, v29, -v2
	v_mul_f32_e32 v33, v33, v30
	v_mul_f32_e32 v2, v36, v32
	v_fmac_f32_e32 v40, v5, v8
	v_fmac_f32_e32 v33, v34, v29
	v_fma_f32 v34, v35, v31, -v2
	v_mul_f32_e32 v35, v35, v32
	v_add_f32_e32 v29, 0, v38
	v_add_f32_e32 v30, 0, v37
	v_fmac_f32_e32 v35, v36, v31
	ds_read_b128 v[2:5], v18 offset:32
	ds_read_b128 v[6:9], v18 offset:48
	v_add_f32_e32 v36, v29, v39
	v_add_f32_e32 v37, v30, v40
	ds_read2_b64 v[29:32], v20 offset0:128 offset1:160
	v_add_f32_e32 v33, v37, v33
	v_add_f32_e32 v36, v36, v41
	;; [unrolled: 1-line block ×4, first 2 shown]
	s_waitcnt lgkmcnt(0)
	v_mul_f32_e32 v35, v30, v3
	v_mul_f32_e32 v3, v29, v3
	v_fma_f32 v35, v29, v2, -v35
	v_fmac_f32_e32 v3, v30, v2
	v_add_f32_e32 v2, v34, v35
	v_add_f32_e32 v3, v33, v3
	ds_read2_b64 v[33:36], v20 offset0:192 offset1:224
	v_mul_f32_e32 v29, v32, v5
	v_mul_f32_e32 v5, v31, v5
	v_fma_f32 v29, v31, v4, -v29
	v_fmac_f32_e32 v5, v32, v4
	s_waitcnt lgkmcnt(0)
	v_mul_f32_e32 v4, v34, v7
	v_add_f32_e32 v2, v2, v29
	v_add_f32_e32 v3, v3, v5
	v_fma_f32 v4, v33, v6, -v4
	v_mul_f32_e32 v5, v33, v7
	v_fmac_f32_e32 v5, v34, v6
	v_add_f32_e32 v6, v2, v4
	v_mul_f32_e32 v2, v36, v9
	v_add_f32_e32 v7, v3, v5
	v_fma_f32 v33, v35, v8, -v2
	ds_read_b128 v[2:5], v18 offset:64
	ds_read2_b64 v[29:32], v28 offset1:32
	v_mul_f32_e32 v9, v35, v9
	v_fmac_f32_e32 v9, v36, v8
	v_add_f32_e32 v33, v6, v33
	v_add_f32_e32 v34, v7, v9
	s_waitcnt lgkmcnt(0)
	v_mul_f32_e32 v35, v30, v3
	v_mul_f32_e32 v3, v29, v3
	v_fma_f32 v35, v29, v2, -v35
	v_fmac_f32_e32 v3, v30, v2
	ds_read_b128 v[6:9], v18 offset:80
	v_add_f32_e32 v2, v33, v35
	v_add_f32_e32 v3, v34, v3
	ds_read2_b64 v[33:36], v28 offset0:64 offset1:96
	v_mul_f32_e32 v29, v32, v5
	v_mul_f32_e32 v5, v31, v5
	v_fma_f32 v29, v31, v4, -v29
	v_fmac_f32_e32 v5, v32, v4
	s_waitcnt lgkmcnt(0)
	v_mul_f32_e32 v4, v34, v7
	v_add_f32_e32 v2, v2, v29
	v_add_f32_e32 v3, v3, v5
	v_fma_f32 v4, v33, v6, -v4
	v_mul_f32_e32 v5, v33, v7
	v_fmac_f32_e32 v5, v34, v6
	v_add_f32_e32 v6, v2, v4
	v_mul_f32_e32 v2, v36, v9
	v_add_f32_e32 v7, v3, v5
	v_fma_f32 v33, v35, v8, -v2
	ds_read_b128 v[2:5], v18 offset:96
	ds_read2_b64 v[29:32], v28 offset0:128 offset1:160
	v_mul_f32_e32 v9, v35, v9
	v_fmac_f32_e32 v9, v36, v8
	v_add_f32_e32 v33, v6, v33
	v_add_f32_e32 v34, v7, v9
	s_waitcnt lgkmcnt(0)
	v_mul_f32_e32 v35, v30, v3
	v_mul_f32_e32 v3, v29, v3
	v_fma_f32 v35, v29, v2, -v35
	v_fmac_f32_e32 v3, v30, v2
	ds_read_b128 v[6:9], v18 offset:112
	v_add_f32_e32 v2, v33, v35
	v_add_f32_e32 v3, v34, v3
	ds_read2_b64 v[33:36], v28 offset0:192 offset1:224
	v_mul_f32_e32 v29, v32, v5
	v_mul_f32_e32 v5, v31, v5
	v_fma_f32 v29, v31, v4, -v29
	v_fmac_f32_e32 v5, v32, v4
	s_waitcnt lgkmcnt(0)
	v_mul_f32_e32 v4, v34, v7
	v_add_f32_e32 v2, v2, v29
	v_add_f32_e32 v3, v3, v5
	v_fma_f32 v4, v33, v6, -v4
	v_mul_f32_e32 v5, v33, v7
	v_fmac_f32_e32 v5, v34, v6
	v_add_f32_e32 v6, v2, v4
	v_mul_f32_e32 v2, v36, v9
	v_add_f32_e32 v7, v3, v5
	v_fma_f32 v33, v35, v8, -v2
	ds_read_b128 v[2:5], v18 offset:128
	ds_read2_b64 v[29:32], v27 offset1:32
	v_mul_f32_e32 v9, v35, v9
	v_fmac_f32_e32 v9, v36, v8
	v_add_f32_e32 v6, v6, v33
	ds_read_b128 v[33:36], v18 offset:144
	ds_read2_b64 v[37:40], v27 offset0:64 offset1:96
	s_waitcnt lgkmcnt(2)
	v_mul_f32_e32 v8, v30, v3
	v_fma_f32 v8, v29, v2, -v8
	v_mul_f32_e32 v3, v29, v3
	v_add_f32_e32 v7, v7, v9
	v_fmac_f32_e32 v3, v30, v2
	v_add_f32_e32 v2, v6, v8
	v_mul_f32_e32 v6, v32, v5
	v_mul_f32_e32 v5, v31, v5
	v_add_f32_e32 v3, v7, v3
	v_fma_f32 v6, v31, v4, -v6
	v_fmac_f32_e32 v5, v32, v4
	s_waitcnt lgkmcnt(0)
	v_mul_f32_e32 v4, v38, v34
	v_add_f32_e32 v2, v2, v6
	v_add_f32_e32 v3, v3, v5
	v_fma_f32 v4, v37, v33, -v4
	v_mul_f32_e32 v5, v37, v34
	v_fmac_f32_e32 v5, v38, v33
	v_add_f32_e32 v29, v2, v4
	v_mul_f32_e32 v2, v40, v36
	v_add_f32_e32 v30, v3, v5
	v_fma_f32 v31, v39, v35, -v2
	ds_read_b128 v[2:5], v18 offset:160
	ds_read2_b64 v[6:9], v27 offset0:128 offset1:160
	v_mul_f32_e32 v32, v39, v36
	v_fmac_f32_e32 v32, v40, v35
	v_add_f32_e32 v35, v29, v31
	v_add_f32_e32 v36, v30, v32
	s_waitcnt lgkmcnt(0)
	v_mul_f32_e32 v33, v7, v3
	v_fma_f32 v37, v6, v2, -v33
	flat_load_dwordx2 v[33:34], v[10:11]
	v_mul_f32_e32 v6, v6, v3
	v_fmac_f32_e32 v6, v7, v2
	v_mul_f32_e32 v2, v9, v5
	v_fma_f32 v7, v8, v4, -v2
	v_mul_f32_e32 v8, v8, v5
	ds_read_b128 v[29:32], v18 offset:176
	v_fmac_f32_e32 v8, v9, v4
	ds_read2_b64 v[2:5], v27 offset0:192 offset1:224
	v_add_f32_e32 v6, v36, v6
	v_add_f32_e32 v9, v35, v37
	;; [unrolled: 1-line block ×4, first 2 shown]
	s_waitcnt lgkmcnt(0)
	v_mul_f32_e32 v6, v3, v30
	v_fma_f32 v6, v2, v29, -v6
	v_mul_f32_e32 v30, v2, v30
	v_mul_f32_e32 v2, v5, v32
	;; [unrolled: 1-line block ×3, first 2 shown]
	v_fmac_f32_e32 v30, v3, v29
	v_add_f32_e32 v29, v7, v6
	v_fma_f32 v36, v4, v31, -v2
	v_fmac_f32_e32 v32, v5, v31
	ds_read_b128 v[2:5], v18 offset:192
	ds_read2_b64 v[6:9], v26 offset1:32
	v_add_f32_e32 v30, v35, v30
	v_add_f32_e32 v35, v29, v36
	;; [unrolled: 1-line block ×3, first 2 shown]
	ds_read_b128 v[29:32], v18 offset:208
	s_waitcnt lgkmcnt(0)
	v_mul_f32_e32 v37, v7, v3
	v_fma_f32 v37, v6, v2, -v37
	v_mul_f32_e32 v6, v6, v3
	v_fmac_f32_e32 v6, v7, v2
	v_mul_f32_e32 v2, v9, v5
	v_fma_f32 v7, v8, v4, -v2
	v_mul_f32_e32 v8, v8, v5
	v_fmac_f32_e32 v8, v9, v4
	ds_read2_b64 v[2:5], v26 offset0:64 offset1:96
	v_add_f32_e32 v6, v36, v6
	v_add_f32_e32 v9, v35, v37
	;; [unrolled: 1-line block ×4, first 2 shown]
	s_waitcnt lgkmcnt(0)
	v_mul_f32_e32 v6, v3, v30
	v_fma_f32 v6, v2, v29, -v6
	v_mul_f32_e32 v30, v2, v30
	v_mul_f32_e32 v2, v5, v32
	;; [unrolled: 1-line block ×3, first 2 shown]
	v_fmac_f32_e32 v30, v3, v29
	v_add_f32_e32 v29, v7, v6
	v_fma_f32 v36, v4, v31, -v2
	v_fmac_f32_e32 v32, v5, v31
	ds_read_b128 v[2:5], v18 offset:224
	ds_read2_b64 v[6:9], v26 offset0:128 offset1:160
	v_add_f32_e32 v30, v35, v30
	v_add_f32_e32 v35, v29, v36
	;; [unrolled: 1-line block ×3, first 2 shown]
	ds_read_b128 v[29:32], v18 offset:240
	s_waitcnt lgkmcnt(0)
	v_mul_f32_e32 v37, v7, v3
	v_fma_f32 v37, v6, v2, -v37
	v_mul_f32_e32 v6, v6, v3
	v_fmac_f32_e32 v6, v7, v2
	v_mul_f32_e32 v2, v9, v5
	v_fma_f32 v7, v8, v4, -v2
	v_mul_f32_e32 v8, v8, v5
	v_fmac_f32_e32 v8, v9, v4
	ds_read2_b64 v[2:5], v26 offset0:192 offset1:224
	v_add_f32_e32 v6, v36, v6
	v_add_f32_e32 v6, v6, v8
	;; [unrolled: 1-line block ×4, first 2 shown]
	s_waitcnt lgkmcnt(0)
	v_mul_f32_e32 v8, v3, v30
	v_fma_f32 v8, v2, v29, -v8
	v_mul_f32_e32 v2, v2, v30
	v_fmac_f32_e32 v2, v3, v29
	v_add_f32_e32 v2, v6, v2
	v_mul_f32_e32 v6, v5, v32
	v_fma_f32 v6, v4, v31, -v6
	v_mul_f32_e32 v4, v4, v32
	v_fmac_f32_e32 v4, v5, v31
	v_add_f32_e32 v3, v7, v8
	v_add_f32_e32 v2, v2, v4
	;; [unrolled: 1-line block ×3, first 2 shown]
	v_mul_f32_e32 v4, s11, v2
	v_mul_f32_e32 v5, s10, v2
	v_fma_f32 v4, s10, v3, -v4
	v_fmac_f32_e32 v5, s11, v3
	s_waitcnt vmcnt(0)
	v_add_f32_e32 v2, v33, v4
	v_add_f32_e32 v3, v34, v5
	flat_store_dwordx2 v[10:11], v[2:3]
.LBB1890_10:                            ;   in Loop: Header=BB1890_4 Depth=1
	s_or_b64 exec, exec, s[20:21]
	v_mov_b32_e32 v3, 0
	v_mov_b32_e32 v5, 0
	;; [unrolled: 1-line block ×3, first 2 shown]
	s_waitcnt vmcnt(0) lgkmcnt(0)
	s_barrier
	s_and_saveexec_b64 s[20:21], s[4:5]
	s_cbranch_execz .LBB1890_12
; %bb.11:                               ;   in Loop: Header=BB1890_4 Depth=1
	flat_load_dwordx2 v[4:5], v[14:15]
.LBB1890_12:                            ;   in Loop: Header=BB1890_4 Depth=1
	s_or_b64 exec, exec, s[20:21]
	v_mov_b32_e32 v2, 0
	s_waitcnt vmcnt(0) lgkmcnt(0)
	ds_write_b64 v19, v[4:5]
	s_and_saveexec_b64 s[4:5], s[18:19]
	s_cbranch_execz .LBB1890_14
; %bb.13:                               ;   in Loop: Header=BB1890_4 Depth=1
	v_add_co_u32_e32 v2, vcc, v22, v12
	v_addc_co_u32_e32 v3, vcc, v23, v13, vcc
	flat_load_dwordx2 v[2:3], v[2:3]
	s_waitcnt vmcnt(0) lgkmcnt(0)
	v_xor_b32_e32 v3, 0x80000000, v3
.LBB1890_14:                            ;   in Loop: Header=BB1890_4 Depth=1
	s_or_b64 exec, exec, s[4:5]
	ds_write_b64 v21, v[2:3]
	s_waitcnt lgkmcnt(0)
	s_barrier
	s_and_saveexec_b64 s[4:5], s[6:7]
	s_cbranch_execz .LBB1890_3
; %bb.15:                               ;   in Loop: Header=BB1890_4 Depth=1
	ds_read2_b64 v[2:5], v20 offset1:32
	ds_read_b128 v[6:9], v18
	ds_read_b128 v[29:32], v18 offset:16
	s_waitcnt lgkmcnt(1)
	v_mul_f32_e32 v33, v3, v7
	v_mul_f32_e32 v37, v2, v7
	v_fma_f32 v38, v2, v6, -v33
	v_mul_f32_e32 v2, v5, v9
	v_mul_f32_e32 v40, v4, v9
	v_fmac_f32_e32 v37, v3, v6
	v_fma_f32 v39, v4, v8, -v2
	v_fmac_f32_e32 v40, v5, v8
	ds_read_b128 v[2:5], v18 offset:32
	ds_read_b128 v[6:9], v18 offset:48
	ds_read2_b64 v[33:36], v20 offset0:64 offset1:96
	v_add_f32_e32 v38, 0, v38
	v_add_f32_e32 v38, v38, v39
	;; [unrolled: 1-line block ×4, first 2 shown]
	s_waitcnt lgkmcnt(0)
	v_mul_f32_e32 v39, v34, v30
	v_fma_f32 v39, v33, v29, -v39
	v_mul_f32_e32 v33, v33, v30
	v_fmac_f32_e32 v33, v34, v29
	v_mul_f32_e32 v29, v36, v32
	v_fma_f32 v34, v35, v31, -v29
	v_mul_f32_e32 v35, v35, v32
	v_fmac_f32_e32 v35, v36, v31
	ds_read2_b64 v[29:32], v20 offset0:128 offset1:160
	v_add_f32_e32 v33, v37, v33
	v_add_f32_e32 v36, v38, v39
	;; [unrolled: 1-line block ×4, first 2 shown]
	s_waitcnt lgkmcnt(0)
	v_mul_f32_e32 v35, v30, v3
	v_mul_f32_e32 v3, v29, v3
	v_fma_f32 v35, v29, v2, -v35
	v_fmac_f32_e32 v3, v30, v2
	v_add_f32_e32 v2, v34, v35
	v_add_f32_e32 v3, v33, v3
	ds_read2_b64 v[33:36], v20 offset0:192 offset1:224
	v_mul_f32_e32 v29, v32, v5
	v_mul_f32_e32 v5, v31, v5
	v_fma_f32 v29, v31, v4, -v29
	v_fmac_f32_e32 v5, v32, v4
	s_waitcnt lgkmcnt(0)
	v_mul_f32_e32 v4, v34, v7
	v_add_f32_e32 v2, v2, v29
	v_add_f32_e32 v3, v3, v5
	v_fma_f32 v4, v33, v6, -v4
	v_mul_f32_e32 v5, v33, v7
	v_fmac_f32_e32 v5, v34, v6
	v_add_f32_e32 v6, v2, v4
	v_mul_f32_e32 v2, v36, v9
	v_add_f32_e32 v7, v3, v5
	v_fma_f32 v33, v35, v8, -v2
	ds_read_b128 v[2:5], v18 offset:64
	ds_read2_b64 v[29:32], v28 offset1:32
	v_mul_f32_e32 v9, v35, v9
	v_fmac_f32_e32 v9, v36, v8
	v_add_f32_e32 v33, v6, v33
	v_add_f32_e32 v34, v7, v9
	s_waitcnt lgkmcnt(0)
	v_mul_f32_e32 v35, v30, v3
	v_mul_f32_e32 v3, v29, v3
	v_fma_f32 v35, v29, v2, -v35
	v_fmac_f32_e32 v3, v30, v2
	ds_read_b128 v[6:9], v18 offset:80
	v_add_f32_e32 v2, v33, v35
	v_add_f32_e32 v3, v34, v3
	ds_read2_b64 v[33:36], v28 offset0:64 offset1:96
	v_mul_f32_e32 v29, v32, v5
	v_mul_f32_e32 v5, v31, v5
	v_fma_f32 v29, v31, v4, -v29
	v_fmac_f32_e32 v5, v32, v4
	s_waitcnt lgkmcnt(0)
	v_mul_f32_e32 v4, v34, v7
	v_add_f32_e32 v2, v2, v29
	v_add_f32_e32 v3, v3, v5
	v_fma_f32 v4, v33, v6, -v4
	v_mul_f32_e32 v5, v33, v7
	v_fmac_f32_e32 v5, v34, v6
	v_add_f32_e32 v6, v2, v4
	v_mul_f32_e32 v2, v36, v9
	v_add_f32_e32 v7, v3, v5
	v_fma_f32 v33, v35, v8, -v2
	ds_read_b128 v[2:5], v18 offset:96
	ds_read2_b64 v[29:32], v28 offset0:128 offset1:160
	v_mul_f32_e32 v9, v35, v9
	v_fmac_f32_e32 v9, v36, v8
	v_add_f32_e32 v33, v6, v33
	v_add_f32_e32 v34, v7, v9
	s_waitcnt lgkmcnt(0)
	v_mul_f32_e32 v35, v30, v3
	v_mul_f32_e32 v3, v29, v3
	v_fma_f32 v35, v29, v2, -v35
	v_fmac_f32_e32 v3, v30, v2
	ds_read_b128 v[6:9], v18 offset:112
	v_add_f32_e32 v2, v33, v35
	v_add_f32_e32 v3, v34, v3
	ds_read2_b64 v[33:36], v28 offset0:192 offset1:224
	v_mul_f32_e32 v29, v32, v5
	v_mul_f32_e32 v5, v31, v5
	v_fma_f32 v29, v31, v4, -v29
	v_fmac_f32_e32 v5, v32, v4
	s_waitcnt lgkmcnt(0)
	v_mul_f32_e32 v4, v34, v7
	v_add_f32_e32 v2, v2, v29
	v_add_f32_e32 v3, v3, v5
	v_fma_f32 v4, v33, v6, -v4
	v_mul_f32_e32 v5, v33, v7
	v_fmac_f32_e32 v5, v34, v6
	v_add_f32_e32 v6, v2, v4
	v_mul_f32_e32 v2, v36, v9
	v_add_f32_e32 v7, v3, v5
	v_fma_f32 v32, v35, v8, -v2
	ds_read_b128 v[2:5], v18 offset:128
	ds_read2_b64 v[28:31], v27 offset1:32
	v_mul_f32_e32 v9, v35, v9
	v_fmac_f32_e32 v9, v36, v8
	v_add_f32_e32 v6, v6, v32
	ds_read_b128 v[32:35], v18 offset:144
	ds_read2_b64 v[36:39], v27 offset0:64 offset1:96
	s_waitcnt lgkmcnt(2)
	v_mul_f32_e32 v8, v29, v3
	v_fma_f32 v8, v28, v2, -v8
	v_mul_f32_e32 v3, v28, v3
	v_add_f32_e32 v7, v7, v9
	v_fmac_f32_e32 v3, v29, v2
	v_add_f32_e32 v2, v6, v8
	v_mul_f32_e32 v6, v31, v5
	v_mul_f32_e32 v5, v30, v5
	v_add_f32_e32 v3, v7, v3
	v_fma_f32 v6, v30, v4, -v6
	v_fmac_f32_e32 v5, v31, v4
	s_waitcnt lgkmcnt(0)
	v_mul_f32_e32 v4, v37, v33
	v_add_f32_e32 v2, v2, v6
	v_add_f32_e32 v3, v3, v5
	v_fma_f32 v4, v36, v32, -v4
	v_mul_f32_e32 v5, v36, v33
	v_fmac_f32_e32 v5, v37, v32
	v_add_f32_e32 v28, v2, v4
	v_mul_f32_e32 v2, v39, v35
	v_add_f32_e32 v29, v3, v5
	v_fma_f32 v30, v38, v34, -v2
	ds_read_b128 v[2:5], v18 offset:160
	ds_read2_b64 v[6:9], v27 offset0:128 offset1:160
	flat_load_dwordx2 v[36:37], v[10:11]
	v_mul_f32_e32 v31, v38, v35
	v_fmac_f32_e32 v31, v39, v34
	v_add_f32_e32 v32, v28, v30
	s_waitcnt lgkmcnt(0)
	v_mul_f32_e32 v34, v7, v3
	v_mul_f32_e32 v3, v6, v3
	v_add_f32_e32 v33, v29, v31
	v_fma_f32 v34, v6, v2, -v34
	v_fmac_f32_e32 v3, v7, v2
	ds_read_b128 v[28:31], v18 offset:176
	v_add_f32_e32 v2, v32, v34
	v_add_f32_e32 v3, v33, v3
	ds_read2_b64 v[32:35], v27 offset0:192 offset1:224
	v_mul_f32_e32 v6, v9, v5
	v_mul_f32_e32 v5, v8, v5
	v_fma_f32 v6, v8, v4, -v6
	v_fmac_f32_e32 v5, v9, v4
	s_waitcnt lgkmcnt(0)
	v_mul_f32_e32 v4, v33, v29
	v_add_f32_e32 v2, v2, v6
	v_add_f32_e32 v3, v3, v5
	v_fma_f32 v4, v32, v28, -v4
	v_mul_f32_e32 v5, v32, v29
	v_fmac_f32_e32 v5, v33, v28
	v_add_f32_e32 v27, v2, v4
	v_mul_f32_e32 v2, v35, v31
	v_add_f32_e32 v28, v3, v5
	v_fma_f32 v29, v34, v30, -v2
	ds_read_b128 v[2:5], v18 offset:192
	ds_read2_b64 v[6:9], v26 offset1:32
	v_mul_f32_e32 v31, v34, v31
	v_fmac_f32_e32 v31, v35, v30
	v_add_f32_e32 v32, v27, v29
	v_add_f32_e32 v31, v28, v31
	s_waitcnt lgkmcnt(0)
	v_mul_f32_e32 v33, v7, v3
	v_mul_f32_e32 v3, v6, v3
	v_fma_f32 v33, v6, v2, -v33
	v_fmac_f32_e32 v3, v7, v2
	ds_read_b128 v[27:30], v18 offset:208
	v_add_f32_e32 v2, v32, v33
	v_add_f32_e32 v3, v31, v3
	ds_read2_b64 v[31:34], v26 offset0:64 offset1:96
	v_mul_f32_e32 v6, v9, v5
	v_mul_f32_e32 v5, v8, v5
	v_fma_f32 v6, v8, v4, -v6
	v_fmac_f32_e32 v5, v9, v4
	s_waitcnt lgkmcnt(0)
	v_mul_f32_e32 v4, v32, v28
	v_add_f32_e32 v2, v2, v6
	v_add_f32_e32 v3, v3, v5
	v_fma_f32 v4, v31, v27, -v4
	v_mul_f32_e32 v5, v31, v28
	v_fmac_f32_e32 v5, v32, v27
	v_add_f32_e32 v27, v2, v4
	v_mul_f32_e32 v2, v34, v30
	v_add_f32_e32 v28, v3, v5
	v_fma_f32 v31, v33, v29, -v2
	ds_read_b128 v[2:5], v18 offset:224
	ds_read2_b64 v[6:9], v26 offset0:128 offset1:160
	v_mul_f32_e32 v30, v33, v30
	v_fmac_f32_e32 v30, v34, v29
	v_add_f32_e32 v31, v27, v31
	v_add_f32_e32 v32, v28, v30
	s_waitcnt lgkmcnt(0)
	v_mul_f32_e32 v33, v7, v3
	v_mul_f32_e32 v3, v6, v3
	v_fma_f32 v33, v6, v2, -v33
	v_fmac_f32_e32 v3, v7, v2
	ds_read_b128 v[27:30], v18 offset:240
	v_add_f32_e32 v2, v31, v33
	v_add_f32_e32 v3, v32, v3
	ds_read2_b64 v[31:34], v26 offset0:192 offset1:224
	v_mul_f32_e32 v6, v9, v5
	v_mul_f32_e32 v5, v8, v5
	v_fma_f32 v6, v8, v4, -v6
	v_fmac_f32_e32 v5, v9, v4
	s_waitcnt lgkmcnt(0)
	v_mul_f32_e32 v4, v32, v28
	v_add_f32_e32 v2, v2, v6
	v_add_f32_e32 v3, v3, v5
	v_fma_f32 v4, v31, v27, -v4
	v_mul_f32_e32 v5, v31, v28
	v_fmac_f32_e32 v5, v32, v27
	v_add_f32_e32 v2, v2, v4
	v_mul_f32_e32 v4, v34, v30
	v_add_f32_e32 v3, v3, v5
	v_fma_f32 v4, v33, v29, -v4
	v_mul_f32_e32 v5, v33, v30
	v_fmac_f32_e32 v5, v34, v29
	v_add_f32_e32 v2, v2, v4
	v_add_f32_e32 v3, v3, v5
	v_mul_f32_e32 v4, s10, v2
	v_mul_f32_e32 v2, s11, v2
	v_fmac_f32_e32 v4, s11, v3
	v_fma_f32 v3, s10, v3, -v2
	s_waitcnt vmcnt(0)
	v_add_f32_e32 v2, v36, v4
	v_add_f32_e32 v3, v37, v3
	flat_store_dwordx2 v[10:11], v[2:3]
	s_branch .LBB1890_3
.LBB1890_16:
	s_endpgm
	.section	.rodata,"a",@progbits
	.p2align	6, 0x0
	.amdhsa_kernel _ZL26rocblas_syr2k_her2k_kernelIlLb1ELb1ELb0ELi32EPK19rocblas_complex_numIfEPKS3_PKPS1_EvbiT_T4_T5_S9_lSB_S9_lT6_S9_li
		.amdhsa_group_segment_fixed_size 16384
		.amdhsa_private_segment_fixed_size 0
		.amdhsa_kernarg_size 100
		.amdhsa_user_sgpr_count 6
		.amdhsa_user_sgpr_private_segment_buffer 1
		.amdhsa_user_sgpr_dispatch_ptr 0
		.amdhsa_user_sgpr_queue_ptr 0
		.amdhsa_user_sgpr_kernarg_segment_ptr 1
		.amdhsa_user_sgpr_dispatch_id 0
		.amdhsa_user_sgpr_flat_scratch_init 0
		.amdhsa_user_sgpr_private_segment_size 0
		.amdhsa_uses_dynamic_stack 0
		.amdhsa_system_sgpr_private_segment_wavefront_offset 0
		.amdhsa_system_sgpr_workgroup_id_x 1
		.amdhsa_system_sgpr_workgroup_id_y 1
		.amdhsa_system_sgpr_workgroup_id_z 1
		.amdhsa_system_sgpr_workgroup_info 0
		.amdhsa_system_vgpr_workitem_id 1
		.amdhsa_next_free_vgpr 42
		.amdhsa_next_free_sgpr 61
		.amdhsa_reserve_vcc 1
		.amdhsa_reserve_flat_scratch 0
		.amdhsa_float_round_mode_32 0
		.amdhsa_float_round_mode_16_64 0
		.amdhsa_float_denorm_mode_32 3
		.amdhsa_float_denorm_mode_16_64 3
		.amdhsa_dx10_clamp 1
		.amdhsa_ieee_mode 1
		.amdhsa_fp16_overflow 0
		.amdhsa_exception_fp_ieee_invalid_op 0
		.amdhsa_exception_fp_denorm_src 0
		.amdhsa_exception_fp_ieee_div_zero 0
		.amdhsa_exception_fp_ieee_overflow 0
		.amdhsa_exception_fp_ieee_underflow 0
		.amdhsa_exception_fp_ieee_inexact 0
		.amdhsa_exception_int_div_zero 0
	.end_amdhsa_kernel
	.section	.text._ZL26rocblas_syr2k_her2k_kernelIlLb1ELb1ELb0ELi32EPK19rocblas_complex_numIfEPKS3_PKPS1_EvbiT_T4_T5_S9_lSB_S9_lT6_S9_li,"axG",@progbits,_ZL26rocblas_syr2k_her2k_kernelIlLb1ELb1ELb0ELi32EPK19rocblas_complex_numIfEPKS3_PKPS1_EvbiT_T4_T5_S9_lSB_S9_lT6_S9_li,comdat
.Lfunc_end1890:
	.size	_ZL26rocblas_syr2k_her2k_kernelIlLb1ELb1ELb0ELi32EPK19rocblas_complex_numIfEPKS3_PKPS1_EvbiT_T4_T5_S9_lSB_S9_lT6_S9_li, .Lfunc_end1890-_ZL26rocblas_syr2k_her2k_kernelIlLb1ELb1ELb0ELi32EPK19rocblas_complex_numIfEPKS3_PKPS1_EvbiT_T4_T5_S9_lSB_S9_lT6_S9_li
                                        ; -- End function
	.set _ZL26rocblas_syr2k_her2k_kernelIlLb1ELb1ELb0ELi32EPK19rocblas_complex_numIfEPKS3_PKPS1_EvbiT_T4_T5_S9_lSB_S9_lT6_S9_li.num_vgpr, 42
	.set _ZL26rocblas_syr2k_her2k_kernelIlLb1ELb1ELb0ELi32EPK19rocblas_complex_numIfEPKS3_PKPS1_EvbiT_T4_T5_S9_lSB_S9_lT6_S9_li.num_agpr, 0
	.set _ZL26rocblas_syr2k_her2k_kernelIlLb1ELb1ELb0ELi32EPK19rocblas_complex_numIfEPKS3_PKPS1_EvbiT_T4_T5_S9_lSB_S9_lT6_S9_li.numbered_sgpr, 36
	.set _ZL26rocblas_syr2k_her2k_kernelIlLb1ELb1ELb0ELi32EPK19rocblas_complex_numIfEPKS3_PKPS1_EvbiT_T4_T5_S9_lSB_S9_lT6_S9_li.num_named_barrier, 0
	.set _ZL26rocblas_syr2k_her2k_kernelIlLb1ELb1ELb0ELi32EPK19rocblas_complex_numIfEPKS3_PKPS1_EvbiT_T4_T5_S9_lSB_S9_lT6_S9_li.private_seg_size, 0
	.set _ZL26rocblas_syr2k_her2k_kernelIlLb1ELb1ELb0ELi32EPK19rocblas_complex_numIfEPKS3_PKPS1_EvbiT_T4_T5_S9_lSB_S9_lT6_S9_li.uses_vcc, 1
	.set _ZL26rocblas_syr2k_her2k_kernelIlLb1ELb1ELb0ELi32EPK19rocblas_complex_numIfEPKS3_PKPS1_EvbiT_T4_T5_S9_lSB_S9_lT6_S9_li.uses_flat_scratch, 0
	.set _ZL26rocblas_syr2k_her2k_kernelIlLb1ELb1ELb0ELi32EPK19rocblas_complex_numIfEPKS3_PKPS1_EvbiT_T4_T5_S9_lSB_S9_lT6_S9_li.has_dyn_sized_stack, 0
	.set _ZL26rocblas_syr2k_her2k_kernelIlLb1ELb1ELb0ELi32EPK19rocblas_complex_numIfEPKS3_PKPS1_EvbiT_T4_T5_S9_lSB_S9_lT6_S9_li.has_recursion, 0
	.set _ZL26rocblas_syr2k_her2k_kernelIlLb1ELb1ELb0ELi32EPK19rocblas_complex_numIfEPKS3_PKPS1_EvbiT_T4_T5_S9_lSB_S9_lT6_S9_li.has_indirect_call, 0
	.section	.AMDGPU.csdata,"",@progbits
; Kernel info:
; codeLenInByte = 3564
; TotalNumSgprs: 40
; NumVgprs: 42
; ScratchSize: 0
; MemoryBound: 0
; FloatMode: 240
; IeeeMode: 1
; LDSByteSize: 16384 bytes/workgroup (compile time only)
; SGPRBlocks: 8
; VGPRBlocks: 10
; NumSGPRsForWavesPerEU: 65
; NumVGPRsForWavesPerEU: 42
; Occupancy: 5
; WaveLimiterHint : 1
; COMPUTE_PGM_RSRC2:SCRATCH_EN: 0
; COMPUTE_PGM_RSRC2:USER_SGPR: 6
; COMPUTE_PGM_RSRC2:TRAP_HANDLER: 0
; COMPUTE_PGM_RSRC2:TGID_X_EN: 1
; COMPUTE_PGM_RSRC2:TGID_Y_EN: 1
; COMPUTE_PGM_RSRC2:TGID_Z_EN: 1
; COMPUTE_PGM_RSRC2:TIDIG_COMP_CNT: 1
	.section	.text._ZL26rocblas_syr2k_her2k_kernelIlLb1ELb1ELb1ELi32EPK19rocblas_complex_numIfEPKS3_PKPS1_EvbiT_T4_T5_S9_lSB_S9_lT6_S9_li,"axG",@progbits,_ZL26rocblas_syr2k_her2k_kernelIlLb1ELb1ELb1ELi32EPK19rocblas_complex_numIfEPKS3_PKPS1_EvbiT_T4_T5_S9_lSB_S9_lT6_S9_li,comdat
	.globl	_ZL26rocblas_syr2k_her2k_kernelIlLb1ELb1ELb1ELi32EPK19rocblas_complex_numIfEPKS3_PKPS1_EvbiT_T4_T5_S9_lSB_S9_lT6_S9_li ; -- Begin function _ZL26rocblas_syr2k_her2k_kernelIlLb1ELb1ELb1ELi32EPK19rocblas_complex_numIfEPKS3_PKPS1_EvbiT_T4_T5_S9_lSB_S9_lT6_S9_li
	.p2align	8
	.type	_ZL26rocblas_syr2k_her2k_kernelIlLb1ELb1ELb1ELi32EPK19rocblas_complex_numIfEPKS3_PKPS1_EvbiT_T4_T5_S9_lSB_S9_lT6_S9_li,@function
_ZL26rocblas_syr2k_her2k_kernelIlLb1ELb1ELb1ELi32EPK19rocblas_complex_numIfEPKS3_PKPS1_EvbiT_T4_T5_S9_lSB_S9_lT6_S9_li: ; @_ZL26rocblas_syr2k_her2k_kernelIlLb1ELb1ELb1ELi32EPK19rocblas_complex_numIfEPKS3_PKPS1_EvbiT_T4_T5_S9_lSB_S9_lT6_S9_li
; %bb.0:
	s_load_dwordx16 s[12:27], s[4:5], 0x8
	s_waitcnt lgkmcnt(0)
	s_load_dwordx2 s[10:11], s[14:15], 0x0
	s_waitcnt lgkmcnt(0)
	v_cmp_eq_f32_e64 s[0:1], s10, 0
	v_cmp_eq_f32_e64 s[2:3], s11, 0
	s_and_b64 s[0:1], s[0:1], s[2:3]
	s_and_b64 vcc, exec, s[0:1]
	s_cbranch_vccnz .LBB1891_16
; %bb.1:
	s_load_dwordx2 s[14:15], s[4:5], 0x0
	s_lshl_b32 s2, s7, 5
	s_lshl_b32 s3, s6, 5
	s_waitcnt lgkmcnt(0)
	s_and_b32 s0, 1, s14
	s_cmp_eq_u32 s0, 1
	s_cselect_b64 s[0:1], -1, 0
	s_and_b64 s[6:7], s[0:1], exec
	s_cselect_b32 s6, s3, s2
	s_cselect_b32 s7, s2, s3
	s_cmp_gt_i32 s6, s7
	v_cmp_lt_i64_e64 s[6:7], s[12:13], 1
	s_cselect_b64 s[28:29], -1, 0
	s_or_b64 s[6:7], s[28:29], s[6:7]
	s_and_b64 vcc, exec, s[6:7]
	s_cbranch_vccnz .LBB1891_16
; %bb.2:
	s_mov_b32 s9, 0
	s_load_dwordx4 s[28:31], s[4:5], 0x48
	s_load_dwordx2 s[34:35], s[4:5], 0x58
	s_lshl_b64 s[4:5], s[8:9], 3
	s_add_u32 s16, s16, s4
	s_addc_u32 s17, s17, s5
	s_add_u32 s22, s22, s4
	s_addc_u32 s23, s23, s5
	s_waitcnt lgkmcnt(0)
	s_add_u32 s4, s28, s4
	s_addc_u32 s5, s29, s5
	s_load_dwordx2 s[28:29], s[4:5], 0x0
	s_load_dwordx2 s[8:9], s[16:17], 0x0
	;; [unrolled: 1-line block ×3, first 2 shown]
	s_lshl_b64 s[4:5], s[34:35], 3
	v_add_u32_e32 v2, s2, v1
	s_waitcnt lgkmcnt(0)
	s_add_u32 s16, s28, s4
	s_addc_u32 s14, s29, s5
	v_add_u32_e32 v4, s3, v0
	s_ashr_i32 s3, s15, 31
	s_mov_b32 s2, s15
	v_mov_b32_e32 v5, 0
	v_cndmask_b32_e64 v8, v4, v2, s[0:1]
	v_cndmask_b32_e64 v9, v2, v4, s[0:1]
	v_cmp_gt_i64_e64 s[0:1], s[2:3], v[4:5]
	v_mov_b32_e32 v3, v5
	v_ashrrev_i32_e32 v5, 31, v2
	v_mul_lo_u32 v5, s30, v5
	v_mul_lo_u32 v10, s31, v2
	v_mad_u64_u32 v[6:7], s[4:5], s30, v2, 0
	v_cmp_gt_i64_e64 s[2:3], s[2:3], v[2:3]
	v_max_i32_e32 v3, v4, v2
	v_cmp_gt_i32_e32 vcc, s15, v3
	v_cmp_le_i32_e64 s[4:5], v9, v8
	v_add3_u32 v7, v7, v5, v10
	v_mov_b32_e32 v3, s14
	v_mad_u64_u32 v[8:9], s[14:15], s18, v2, 0
	v_lshlrev_b64 v[6:7], 3, v[6:7]
	s_and_b64 s[4:5], s[4:5], vcc
	v_add_co_u32_e32 v11, vcc, s16, v6
	v_addc_co_u32_e32 v7, vcc, v3, v7, vcc
	v_mov_b32_e32 v3, v9
	v_ashrrev_i32_e32 v5, 31, v4
	v_mad_u64_u32 v[9:10], s[14:15], s19, v2, v[3:4]
	v_lshlrev_b64 v[5:6], 3, v[4:5]
	s_lshl_b64 s[14:15], s[20:21], 3
	v_add_co_u32_e32 v10, vcc, v11, v5
	v_addc_co_u32_e32 v11, vcc, v7, v6, vcc
	v_lshlrev_b64 v[5:6], 3, v[8:9]
	v_mov_b32_e32 v8, s15
	v_add_co_u32_e32 v3, vcc, s14, v5
	v_addc_co_u32_e32 v7, vcc, v6, v8, vcc
	v_mad_u64_u32 v[5:6], s[16:17], s18, v4, 0
	v_lshlrev_b32_e32 v9, 3, v0
	v_add_co_u32_e32 v16, vcc, v3, v9
	v_mov_b32_e32 v3, v6
	v_addc_co_u32_e32 v17, vcc, 0, v7, vcc
	v_mad_u64_u32 v[6:7], s[16:17], s19, v4, v[3:4]
	v_mov_b32_e32 v19, s9
	v_add_co_u32_e32 v16, vcc, s8, v16
	v_lshlrev_b64 v[5:6], 3, v[5:6]
	v_addc_co_u32_e32 v17, vcc, v19, v17, vcc
	v_add_co_u32_e32 v3, vcc, s14, v5
	v_addc_co_u32_e32 v7, vcc, v6, v8, vcc
	v_mad_u64_u32 v[5:6], s[14:15], s24, v2, 0
	v_lshlrev_b32_e32 v22, 3, v1
	v_add_co_u32_e32 v8, vcc, v3, v22
	v_mov_b32_e32 v3, v6
	v_mad_u64_u32 v[2:3], s[14:15], s25, v2, v[3:4]
	v_addc_co_u32_e32 v7, vcc, 0, v7, vcc
	v_mov_b32_e32 v6, v2
	v_add_co_u32_e32 v18, vcc, s8, v8
	v_lshlrev_b64 v[2:3], 3, v[5:6]
	v_addc_co_u32_e32 v19, vcc, v19, v7, vcc
	s_lshl_b64 s[8:9], s[26:27], 3
	v_mov_b32_e32 v5, s9
	v_add_co_u32_e32 v6, vcc, s8, v2
	v_addc_co_u32_e32 v7, vcc, v3, v5, vcc
	v_mad_u64_u32 v[2:3], s[14:15], s24, v4, 0
	v_add_co_u32_e32 v6, vcc, v6, v9
	v_mad_u64_u32 v[3:4], s[14:15], s25, v4, v[3:4]
	v_addc_co_u32_e32 v7, vcc, 0, v7, vcc
	v_mov_b32_e32 v8, s7
	v_add_co_u32_e32 v20, vcc, s6, v6
	v_lshlrev_b64 v[2:3], 3, v[2:3]
	v_addc_co_u32_e32 v21, vcc, v8, v7, vcc
	v_add_co_u32_e32 v2, vcc, s8, v2
	v_addc_co_u32_e32 v3, vcc, v3, v5, vcc
	v_add_co_u32_e32 v2, vcc, v2, v22
	v_lshlrev_b32_e32 v12, 8, v0
	v_addc_co_u32_e32 v3, vcc, 0, v3, vcc
	v_add_u32_e32 v13, v12, v22
	v_or_b32_e32 v14, 0x2000, v22
	v_add_co_u32_e32 v22, vcc, s6, v2
	v_add_u32_e32 v15, v14, v12
	v_addc_co_u32_e32 v23, vcc, v8, v3, vcc
	s_mov_b64 s[6:7], 0
	s_mov_b64 s[8:9], 0
	s_branch .LBB1891_4
.LBB1891_3:                             ;   in Loop: Header=BB1891_4 Depth=1
	s_or_b64 exec, exec, s[14:15]
	s_add_u32 s8, s8, 32
	v_mov_b32_e32 v2, s12
	s_addc_u32 s9, s9, 0
	v_mov_b32_e32 v3, s13
	v_cmp_lt_i64_e32 vcc, s[8:9], v[2:3]
	s_add_u32 s6, s6, 0x100
	s_addc_u32 s7, s7, 0
	s_waitcnt vmcnt(0) lgkmcnt(0)
	s_barrier
	s_cbranch_vccz .LBB1891_16
.LBB1891_4:                             ; =>This Inner Loop Header: Depth=1
	v_mov_b32_e32 v3, s9
	v_add_co_u32_e32 v2, vcc, s8, v1
	v_addc_co_u32_e32 v3, vcc, 0, v3, vcc
	v_cmp_gt_i64_e32 vcc, s[12:13], v[2:3]
	v_mov_b32_e32 v2, 0
	s_and_b64 s[14:15], s[0:1], vcc
	v_mov_b32_e32 v3, 0
	v_mov_b32_e32 v4, 0
	s_and_saveexec_b64 s[16:17], s[14:15]
	s_cbranch_execz .LBB1891_6
; %bb.5:                                ;   in Loop: Header=BB1891_4 Depth=1
	v_mov_b32_e32 v4, s7
	v_add_co_u32_e32 v3, vcc, s6, v18
	v_addc_co_u32_e32 v4, vcc, v19, v4, vcc
	flat_load_dwordx2 v[3:4], v[3:4]
	s_waitcnt vmcnt(0) lgkmcnt(0)
	v_xor_b32_e32 v4, 0x80000000, v4
.LBB1891_6:                             ;   in Loop: Header=BB1891_4 Depth=1
	s_or_b64 exec, exec, s[16:17]
	v_mov_b32_e32 v6, s9
	v_add_co_u32_e32 v5, vcc, s8, v0
	v_addc_co_u32_e32 v6, vcc, 0, v6, vcc
	v_cmp_gt_i64_e32 vcc, s[12:13], v[5:6]
	ds_write_b64 v13, v[3:4]
	s_and_b64 s[16:17], s[2:3], vcc
	v_mov_b32_e32 v3, 0
	s_and_saveexec_b64 s[18:19], s[16:17]
	s_cbranch_execz .LBB1891_8
; %bb.7:                                ;   in Loop: Header=BB1891_4 Depth=1
	v_mov_b32_e32 v3, s7
	v_add_co_u32_e32 v2, vcc, s6, v20
	v_addc_co_u32_e32 v3, vcc, v21, v3, vcc
	flat_load_dwordx2 v[2:3], v[2:3]
.LBB1891_8:                             ;   in Loop: Header=BB1891_4 Depth=1
	s_or_b64 exec, exec, s[18:19]
	v_add_u32_e32 v26, 0x800, v14
	v_add_u32_e32 v25, 0x1000, v14
	;; [unrolled: 1-line block ×3, first 2 shown]
	s_waitcnt vmcnt(0) lgkmcnt(0)
	ds_write_b64 v15, v[2:3]
	s_waitcnt lgkmcnt(0)
	s_barrier
	s_and_saveexec_b64 s[18:19], s[4:5]
	s_cbranch_execz .LBB1891_10
; %bb.9:                                ;   in Loop: Header=BB1891_4 Depth=1
	ds_read2_b64 v[2:5], v14 offset1:32
	ds_read_b128 v[6:9], v12
	ds_read_b128 v[27:30], v12 offset:16
	s_waitcnt lgkmcnt(1)
	v_mul_f32_e32 v31, v3, v7
	v_fma_f32 v36, v2, v6, -v31
	ds_read2_b64 v[31:34], v14 offset0:64 offset1:96
	v_mul_f32_e32 v35, v2, v7
	v_mul_f32_e32 v2, v5, v9
	v_fma_f32 v37, v4, v8, -v2
	v_fmac_f32_e32 v35, v3, v6
	s_waitcnt lgkmcnt(0)
	v_mul_f32_e32 v2, v32, v28
	v_mul_f32_e32 v38, v4, v9
	v_fma_f32 v39, v31, v27, -v2
	v_mul_f32_e32 v31, v31, v28
	v_mul_f32_e32 v2, v34, v30
	v_fmac_f32_e32 v38, v5, v8
	v_fmac_f32_e32 v31, v32, v27
	v_fma_f32 v32, v33, v29, -v2
	v_mul_f32_e32 v33, v33, v30
	v_add_f32_e32 v27, 0, v36
	v_add_f32_e32 v28, 0, v35
	v_fmac_f32_e32 v33, v34, v29
	ds_read_b128 v[2:5], v12 offset:32
	ds_read_b128 v[6:9], v12 offset:48
	v_add_f32_e32 v34, v27, v37
	v_add_f32_e32 v35, v28, v38
	ds_read2_b64 v[27:30], v14 offset0:128 offset1:160
	v_add_f32_e32 v31, v35, v31
	v_add_f32_e32 v34, v34, v39
	v_add_f32_e32 v31, v31, v33
	v_add_f32_e32 v32, v34, v32
	s_waitcnt lgkmcnt(0)
	v_mul_f32_e32 v33, v28, v3
	v_mul_f32_e32 v3, v27, v3
	v_fma_f32 v33, v27, v2, -v33
	v_fmac_f32_e32 v3, v28, v2
	v_add_f32_e32 v2, v32, v33
	v_add_f32_e32 v3, v31, v3
	ds_read2_b64 v[31:34], v14 offset0:192 offset1:224
	v_mul_f32_e32 v27, v30, v5
	v_mul_f32_e32 v5, v29, v5
	v_fma_f32 v27, v29, v4, -v27
	v_fmac_f32_e32 v5, v30, v4
	s_waitcnt lgkmcnt(0)
	v_mul_f32_e32 v4, v32, v7
	v_add_f32_e32 v2, v2, v27
	v_add_f32_e32 v3, v3, v5
	v_fma_f32 v4, v31, v6, -v4
	v_mul_f32_e32 v5, v31, v7
	v_fmac_f32_e32 v5, v32, v6
	v_add_f32_e32 v6, v2, v4
	v_mul_f32_e32 v2, v34, v9
	v_add_f32_e32 v7, v3, v5
	v_fma_f32 v31, v33, v8, -v2
	ds_read_b128 v[2:5], v12 offset:64
	ds_read2_b64 v[27:30], v26 offset1:32
	v_mul_f32_e32 v9, v33, v9
	v_fmac_f32_e32 v9, v34, v8
	v_add_f32_e32 v31, v6, v31
	v_add_f32_e32 v32, v7, v9
	s_waitcnt lgkmcnt(0)
	v_mul_f32_e32 v33, v28, v3
	v_mul_f32_e32 v3, v27, v3
	v_fma_f32 v33, v27, v2, -v33
	v_fmac_f32_e32 v3, v28, v2
	ds_read_b128 v[6:9], v12 offset:80
	v_add_f32_e32 v2, v31, v33
	v_add_f32_e32 v3, v32, v3
	ds_read2_b64 v[31:34], v26 offset0:64 offset1:96
	v_mul_f32_e32 v27, v30, v5
	v_mul_f32_e32 v5, v29, v5
	v_fma_f32 v27, v29, v4, -v27
	v_fmac_f32_e32 v5, v30, v4
	s_waitcnt lgkmcnt(0)
	v_mul_f32_e32 v4, v32, v7
	v_add_f32_e32 v2, v2, v27
	v_add_f32_e32 v3, v3, v5
	v_fma_f32 v4, v31, v6, -v4
	v_mul_f32_e32 v5, v31, v7
	v_fmac_f32_e32 v5, v32, v6
	v_add_f32_e32 v6, v2, v4
	v_mul_f32_e32 v2, v34, v9
	v_add_f32_e32 v7, v3, v5
	v_fma_f32 v31, v33, v8, -v2
	ds_read_b128 v[2:5], v12 offset:96
	ds_read2_b64 v[27:30], v26 offset0:128 offset1:160
	v_mul_f32_e32 v9, v33, v9
	v_fmac_f32_e32 v9, v34, v8
	v_add_f32_e32 v31, v6, v31
	v_add_f32_e32 v32, v7, v9
	s_waitcnt lgkmcnt(0)
	v_mul_f32_e32 v33, v28, v3
	v_mul_f32_e32 v3, v27, v3
	v_fma_f32 v33, v27, v2, -v33
	v_fmac_f32_e32 v3, v28, v2
	ds_read_b128 v[6:9], v12 offset:112
	v_add_f32_e32 v2, v31, v33
	v_add_f32_e32 v3, v32, v3
	ds_read2_b64 v[31:34], v26 offset0:192 offset1:224
	v_mul_f32_e32 v27, v30, v5
	v_mul_f32_e32 v5, v29, v5
	v_fma_f32 v27, v29, v4, -v27
	v_fmac_f32_e32 v5, v30, v4
	s_waitcnt lgkmcnt(0)
	v_mul_f32_e32 v4, v32, v7
	v_add_f32_e32 v2, v2, v27
	v_add_f32_e32 v3, v3, v5
	v_fma_f32 v4, v31, v6, -v4
	v_mul_f32_e32 v5, v31, v7
	v_fmac_f32_e32 v5, v32, v6
	v_add_f32_e32 v6, v2, v4
	v_mul_f32_e32 v2, v34, v9
	v_add_f32_e32 v7, v3, v5
	v_fma_f32 v31, v33, v8, -v2
	ds_read_b128 v[2:5], v12 offset:128
	ds_read2_b64 v[27:30], v25 offset1:32
	v_mul_f32_e32 v9, v33, v9
	v_fmac_f32_e32 v9, v34, v8
	v_add_f32_e32 v6, v6, v31
	ds_read_b128 v[31:34], v12 offset:144
	ds_read2_b64 v[35:38], v25 offset0:64 offset1:96
	s_waitcnt lgkmcnt(2)
	v_mul_f32_e32 v8, v28, v3
	v_fma_f32 v8, v27, v2, -v8
	v_mul_f32_e32 v3, v27, v3
	v_add_f32_e32 v7, v7, v9
	v_fmac_f32_e32 v3, v28, v2
	v_add_f32_e32 v2, v6, v8
	v_mul_f32_e32 v6, v30, v5
	v_mul_f32_e32 v5, v29, v5
	v_add_f32_e32 v3, v7, v3
	v_fma_f32 v6, v29, v4, -v6
	v_fmac_f32_e32 v5, v30, v4
	s_waitcnt lgkmcnt(0)
	v_mul_f32_e32 v4, v36, v32
	v_add_f32_e32 v2, v2, v6
	v_add_f32_e32 v3, v3, v5
	v_fma_f32 v4, v35, v31, -v4
	v_mul_f32_e32 v5, v35, v32
	v_fmac_f32_e32 v5, v36, v31
	v_add_f32_e32 v27, v2, v4
	v_mul_f32_e32 v2, v38, v34
	v_add_f32_e32 v28, v3, v5
	v_fma_f32 v29, v37, v33, -v2
	ds_read_b128 v[2:5], v12 offset:160
	ds_read2_b64 v[6:9], v25 offset0:128 offset1:160
	v_mul_f32_e32 v30, v37, v34
	v_fmac_f32_e32 v30, v38, v33
	v_add_f32_e32 v33, v27, v29
	v_add_f32_e32 v34, v28, v30
	s_waitcnt lgkmcnt(0)
	v_mul_f32_e32 v31, v7, v3
	v_fma_f32 v35, v6, v2, -v31
	flat_load_dwordx2 v[31:32], v[10:11]
	v_mul_f32_e32 v6, v6, v3
	v_fmac_f32_e32 v6, v7, v2
	v_mul_f32_e32 v2, v9, v5
	v_fma_f32 v7, v8, v4, -v2
	v_mul_f32_e32 v8, v8, v5
	ds_read_b128 v[27:30], v12 offset:176
	v_fmac_f32_e32 v8, v9, v4
	ds_read2_b64 v[2:5], v25 offset0:192 offset1:224
	v_add_f32_e32 v6, v34, v6
	v_add_f32_e32 v9, v33, v35
	;; [unrolled: 1-line block ×4, first 2 shown]
	s_waitcnt lgkmcnt(0)
	v_mul_f32_e32 v6, v3, v28
	v_fma_f32 v6, v2, v27, -v6
	v_mul_f32_e32 v28, v2, v28
	v_mul_f32_e32 v2, v5, v30
	;; [unrolled: 1-line block ×3, first 2 shown]
	v_fmac_f32_e32 v28, v3, v27
	v_add_f32_e32 v27, v7, v6
	v_fma_f32 v34, v4, v29, -v2
	v_fmac_f32_e32 v30, v5, v29
	ds_read_b128 v[2:5], v12 offset:192
	ds_read2_b64 v[6:9], v24 offset1:32
	v_add_f32_e32 v28, v33, v28
	v_add_f32_e32 v33, v27, v34
	;; [unrolled: 1-line block ×3, first 2 shown]
	ds_read_b128 v[27:30], v12 offset:208
	s_waitcnt lgkmcnt(0)
	v_mul_f32_e32 v35, v7, v3
	v_fma_f32 v35, v6, v2, -v35
	v_mul_f32_e32 v6, v6, v3
	v_fmac_f32_e32 v6, v7, v2
	v_mul_f32_e32 v2, v9, v5
	v_fma_f32 v7, v8, v4, -v2
	v_mul_f32_e32 v8, v8, v5
	v_fmac_f32_e32 v8, v9, v4
	ds_read2_b64 v[2:5], v24 offset0:64 offset1:96
	v_add_f32_e32 v6, v34, v6
	v_add_f32_e32 v9, v33, v35
	;; [unrolled: 1-line block ×4, first 2 shown]
	s_waitcnt lgkmcnt(0)
	v_mul_f32_e32 v6, v3, v28
	v_fma_f32 v6, v2, v27, -v6
	v_mul_f32_e32 v28, v2, v28
	v_mul_f32_e32 v2, v5, v30
	;; [unrolled: 1-line block ×3, first 2 shown]
	v_fmac_f32_e32 v28, v3, v27
	v_add_f32_e32 v27, v7, v6
	v_fma_f32 v34, v4, v29, -v2
	v_fmac_f32_e32 v30, v5, v29
	ds_read_b128 v[2:5], v12 offset:224
	ds_read2_b64 v[6:9], v24 offset0:128 offset1:160
	v_add_f32_e32 v28, v33, v28
	v_add_f32_e32 v33, v27, v34
	;; [unrolled: 1-line block ×3, first 2 shown]
	ds_read_b128 v[27:30], v12 offset:240
	s_waitcnt lgkmcnt(0)
	v_mul_f32_e32 v35, v7, v3
	v_fma_f32 v35, v6, v2, -v35
	v_mul_f32_e32 v6, v6, v3
	v_fmac_f32_e32 v6, v7, v2
	v_mul_f32_e32 v2, v9, v5
	v_fma_f32 v7, v8, v4, -v2
	v_mul_f32_e32 v8, v8, v5
	v_fmac_f32_e32 v8, v9, v4
	ds_read2_b64 v[2:5], v24 offset0:192 offset1:224
	v_add_f32_e32 v6, v34, v6
	v_add_f32_e32 v6, v6, v8
	;; [unrolled: 1-line block ×4, first 2 shown]
	s_waitcnt lgkmcnt(0)
	v_mul_f32_e32 v8, v3, v28
	v_fma_f32 v8, v2, v27, -v8
	v_mul_f32_e32 v2, v2, v28
	v_fmac_f32_e32 v2, v3, v27
	v_add_f32_e32 v2, v6, v2
	v_mul_f32_e32 v6, v5, v30
	v_fma_f32 v6, v4, v29, -v6
	v_mul_f32_e32 v4, v4, v30
	v_fmac_f32_e32 v4, v5, v29
	v_add_f32_e32 v3, v7, v8
	v_add_f32_e32 v2, v2, v4
	;; [unrolled: 1-line block ×3, first 2 shown]
	v_mul_f32_e32 v4, s11, v2
	v_mul_f32_e32 v5, s10, v2
	v_fma_f32 v4, s10, v3, -v4
	v_fmac_f32_e32 v5, s11, v3
	s_waitcnt vmcnt(0)
	v_add_f32_e32 v2, v31, v4
	v_add_f32_e32 v3, v32, v5
	flat_store_dwordx2 v[10:11], v[2:3]
.LBB1891_10:                            ;   in Loop: Header=BB1891_4 Depth=1
	s_or_b64 exec, exec, s[18:19]
	v_mov_b32_e32 v4, 0
	v_mov_b32_e32 v3, 0
	;; [unrolled: 1-line block ×3, first 2 shown]
	s_waitcnt vmcnt(0) lgkmcnt(0)
	s_barrier
	s_and_saveexec_b64 s[18:19], s[14:15]
	s_cbranch_execz .LBB1891_12
; %bb.11:                               ;   in Loop: Header=BB1891_4 Depth=1
	v_mov_b32_e32 v2, s7
	v_add_co_u32_e32 v4, vcc, s6, v22
	v_addc_co_u32_e32 v5, vcc, v23, v2, vcc
	flat_load_dwordx2 v[4:5], v[4:5]
	s_waitcnt vmcnt(0) lgkmcnt(0)
	v_xor_b32_e32 v5, 0x80000000, v5
.LBB1891_12:                            ;   in Loop: Header=BB1891_4 Depth=1
	s_or_b64 exec, exec, s[18:19]
	v_mov_b32_e32 v2, 0
	ds_write_b64 v13, v[4:5]
	s_and_saveexec_b64 s[14:15], s[16:17]
	s_cbranch_execz .LBB1891_14
; %bb.13:                               ;   in Loop: Header=BB1891_4 Depth=1
	v_mov_b32_e32 v3, s7
	v_add_co_u32_e32 v2, vcc, s6, v16
	v_addc_co_u32_e32 v3, vcc, v17, v3, vcc
	flat_load_dwordx2 v[2:3], v[2:3]
.LBB1891_14:                            ;   in Loop: Header=BB1891_4 Depth=1
	s_or_b64 exec, exec, s[14:15]
	s_waitcnt vmcnt(0) lgkmcnt(0)
	ds_write_b64 v15, v[2:3]
	s_waitcnt lgkmcnt(0)
	s_barrier
	s_and_saveexec_b64 s[14:15], s[4:5]
	s_cbranch_execz .LBB1891_3
; %bb.15:                               ;   in Loop: Header=BB1891_4 Depth=1
	ds_read2_b64 v[2:5], v14 offset1:32
	ds_read_b128 v[6:9], v12
	ds_read_b128 v[27:30], v12 offset:16
	s_waitcnt lgkmcnt(1)
	v_mul_f32_e32 v31, v3, v7
	v_mul_f32_e32 v35, v2, v7
	v_fma_f32 v36, v2, v6, -v31
	v_mul_f32_e32 v2, v5, v9
	v_mul_f32_e32 v38, v4, v9
	v_fmac_f32_e32 v35, v3, v6
	v_fma_f32 v37, v4, v8, -v2
	v_fmac_f32_e32 v38, v5, v8
	ds_read_b128 v[2:5], v12 offset:32
	ds_read_b128 v[6:9], v12 offset:48
	ds_read2_b64 v[31:34], v14 offset0:64 offset1:96
	v_add_f32_e32 v36, 0, v36
	v_add_f32_e32 v36, v36, v37
	;; [unrolled: 1-line block ×4, first 2 shown]
	s_waitcnt lgkmcnt(0)
	v_mul_f32_e32 v37, v32, v28
	v_fma_f32 v37, v31, v27, -v37
	v_mul_f32_e32 v31, v31, v28
	v_fmac_f32_e32 v31, v32, v27
	v_mul_f32_e32 v27, v34, v30
	v_fma_f32 v32, v33, v29, -v27
	v_mul_f32_e32 v33, v33, v30
	v_fmac_f32_e32 v33, v34, v29
	ds_read2_b64 v[27:30], v14 offset0:128 offset1:160
	v_add_f32_e32 v31, v35, v31
	v_add_f32_e32 v34, v36, v37
	;; [unrolled: 1-line block ×4, first 2 shown]
	s_waitcnt lgkmcnt(0)
	v_mul_f32_e32 v33, v28, v3
	v_mul_f32_e32 v3, v27, v3
	v_fma_f32 v33, v27, v2, -v33
	v_fmac_f32_e32 v3, v28, v2
	v_add_f32_e32 v2, v32, v33
	v_add_f32_e32 v3, v31, v3
	ds_read2_b64 v[31:34], v14 offset0:192 offset1:224
	v_mul_f32_e32 v27, v30, v5
	v_mul_f32_e32 v5, v29, v5
	v_fma_f32 v27, v29, v4, -v27
	v_fmac_f32_e32 v5, v30, v4
	s_waitcnt lgkmcnt(0)
	v_mul_f32_e32 v4, v32, v7
	v_add_f32_e32 v2, v2, v27
	v_add_f32_e32 v3, v3, v5
	v_fma_f32 v4, v31, v6, -v4
	v_mul_f32_e32 v5, v31, v7
	v_fmac_f32_e32 v5, v32, v6
	v_add_f32_e32 v6, v2, v4
	v_mul_f32_e32 v2, v34, v9
	v_add_f32_e32 v7, v3, v5
	v_fma_f32 v31, v33, v8, -v2
	ds_read_b128 v[2:5], v12 offset:64
	ds_read2_b64 v[27:30], v26 offset1:32
	v_mul_f32_e32 v9, v33, v9
	v_fmac_f32_e32 v9, v34, v8
	v_add_f32_e32 v31, v6, v31
	v_add_f32_e32 v32, v7, v9
	s_waitcnt lgkmcnt(0)
	v_mul_f32_e32 v33, v28, v3
	v_mul_f32_e32 v3, v27, v3
	v_fma_f32 v33, v27, v2, -v33
	v_fmac_f32_e32 v3, v28, v2
	ds_read_b128 v[6:9], v12 offset:80
	v_add_f32_e32 v2, v31, v33
	v_add_f32_e32 v3, v32, v3
	ds_read2_b64 v[31:34], v26 offset0:64 offset1:96
	v_mul_f32_e32 v27, v30, v5
	v_mul_f32_e32 v5, v29, v5
	v_fma_f32 v27, v29, v4, -v27
	v_fmac_f32_e32 v5, v30, v4
	s_waitcnt lgkmcnt(0)
	v_mul_f32_e32 v4, v32, v7
	v_add_f32_e32 v2, v2, v27
	v_add_f32_e32 v3, v3, v5
	v_fma_f32 v4, v31, v6, -v4
	v_mul_f32_e32 v5, v31, v7
	v_fmac_f32_e32 v5, v32, v6
	v_add_f32_e32 v6, v2, v4
	v_mul_f32_e32 v2, v34, v9
	v_add_f32_e32 v7, v3, v5
	v_fma_f32 v31, v33, v8, -v2
	ds_read_b128 v[2:5], v12 offset:96
	ds_read2_b64 v[27:30], v26 offset0:128 offset1:160
	v_mul_f32_e32 v9, v33, v9
	v_fmac_f32_e32 v9, v34, v8
	v_add_f32_e32 v31, v6, v31
	v_add_f32_e32 v32, v7, v9
	s_waitcnt lgkmcnt(0)
	v_mul_f32_e32 v33, v28, v3
	v_mul_f32_e32 v3, v27, v3
	v_fma_f32 v33, v27, v2, -v33
	v_fmac_f32_e32 v3, v28, v2
	ds_read_b128 v[6:9], v12 offset:112
	v_add_f32_e32 v2, v31, v33
	v_add_f32_e32 v3, v32, v3
	ds_read2_b64 v[31:34], v26 offset0:192 offset1:224
	v_mul_f32_e32 v27, v30, v5
	v_mul_f32_e32 v5, v29, v5
	v_fma_f32 v27, v29, v4, -v27
	v_fmac_f32_e32 v5, v30, v4
	s_waitcnt lgkmcnt(0)
	v_mul_f32_e32 v4, v32, v7
	v_add_f32_e32 v2, v2, v27
	v_add_f32_e32 v3, v3, v5
	v_fma_f32 v4, v31, v6, -v4
	v_mul_f32_e32 v5, v31, v7
	v_fmac_f32_e32 v5, v32, v6
	v_add_f32_e32 v6, v2, v4
	v_mul_f32_e32 v2, v34, v9
	v_add_f32_e32 v7, v3, v5
	v_fma_f32 v30, v33, v8, -v2
	ds_read_b128 v[2:5], v12 offset:128
	ds_read2_b64 v[26:29], v25 offset1:32
	v_mul_f32_e32 v9, v33, v9
	v_fmac_f32_e32 v9, v34, v8
	v_add_f32_e32 v6, v6, v30
	ds_read_b128 v[30:33], v12 offset:144
	ds_read2_b64 v[34:37], v25 offset0:64 offset1:96
	s_waitcnt lgkmcnt(2)
	v_mul_f32_e32 v8, v27, v3
	v_fma_f32 v8, v26, v2, -v8
	v_mul_f32_e32 v3, v26, v3
	v_add_f32_e32 v7, v7, v9
	v_fmac_f32_e32 v3, v27, v2
	v_add_f32_e32 v2, v6, v8
	v_mul_f32_e32 v6, v29, v5
	v_mul_f32_e32 v5, v28, v5
	v_add_f32_e32 v3, v7, v3
	v_fma_f32 v6, v28, v4, -v6
	v_fmac_f32_e32 v5, v29, v4
	s_waitcnt lgkmcnt(0)
	v_mul_f32_e32 v4, v35, v31
	v_add_f32_e32 v2, v2, v6
	v_add_f32_e32 v3, v3, v5
	v_fma_f32 v4, v34, v30, -v4
	v_mul_f32_e32 v5, v34, v31
	v_fmac_f32_e32 v5, v35, v30
	v_add_f32_e32 v26, v2, v4
	v_mul_f32_e32 v2, v37, v33
	v_add_f32_e32 v27, v3, v5
	v_fma_f32 v28, v36, v32, -v2
	ds_read_b128 v[2:5], v12 offset:160
	ds_read2_b64 v[6:9], v25 offset0:128 offset1:160
	flat_load_dwordx2 v[34:35], v[10:11]
	v_mul_f32_e32 v29, v36, v33
	v_fmac_f32_e32 v29, v37, v32
	v_add_f32_e32 v30, v26, v28
	s_waitcnt lgkmcnt(0)
	v_mul_f32_e32 v32, v7, v3
	v_mul_f32_e32 v3, v6, v3
	v_add_f32_e32 v31, v27, v29
	v_fma_f32 v32, v6, v2, -v32
	v_fmac_f32_e32 v3, v7, v2
	ds_read_b128 v[26:29], v12 offset:176
	v_add_f32_e32 v2, v30, v32
	v_add_f32_e32 v3, v31, v3
	ds_read2_b64 v[30:33], v25 offset0:192 offset1:224
	v_mul_f32_e32 v6, v9, v5
	v_mul_f32_e32 v5, v8, v5
	v_fma_f32 v6, v8, v4, -v6
	v_fmac_f32_e32 v5, v9, v4
	s_waitcnt lgkmcnt(0)
	v_mul_f32_e32 v4, v31, v27
	v_add_f32_e32 v2, v2, v6
	v_add_f32_e32 v3, v3, v5
	v_fma_f32 v4, v30, v26, -v4
	v_mul_f32_e32 v5, v30, v27
	v_fmac_f32_e32 v5, v31, v26
	v_add_f32_e32 v25, v2, v4
	v_mul_f32_e32 v2, v33, v29
	v_add_f32_e32 v26, v3, v5
	v_fma_f32 v27, v32, v28, -v2
	ds_read_b128 v[2:5], v12 offset:192
	ds_read2_b64 v[6:9], v24 offset1:32
	v_mul_f32_e32 v29, v32, v29
	v_fmac_f32_e32 v29, v33, v28
	v_add_f32_e32 v30, v25, v27
	v_add_f32_e32 v29, v26, v29
	s_waitcnt lgkmcnt(0)
	v_mul_f32_e32 v31, v7, v3
	v_mul_f32_e32 v3, v6, v3
	v_fma_f32 v31, v6, v2, -v31
	v_fmac_f32_e32 v3, v7, v2
	ds_read_b128 v[25:28], v12 offset:208
	v_add_f32_e32 v2, v30, v31
	v_add_f32_e32 v3, v29, v3
	ds_read2_b64 v[29:32], v24 offset0:64 offset1:96
	v_mul_f32_e32 v6, v9, v5
	v_mul_f32_e32 v5, v8, v5
	v_fma_f32 v6, v8, v4, -v6
	v_fmac_f32_e32 v5, v9, v4
	s_waitcnt lgkmcnt(0)
	v_mul_f32_e32 v4, v30, v26
	v_add_f32_e32 v2, v2, v6
	v_add_f32_e32 v3, v3, v5
	v_fma_f32 v4, v29, v25, -v4
	v_mul_f32_e32 v5, v29, v26
	v_fmac_f32_e32 v5, v30, v25
	v_add_f32_e32 v25, v2, v4
	v_mul_f32_e32 v2, v32, v28
	v_add_f32_e32 v26, v3, v5
	v_fma_f32 v29, v31, v27, -v2
	ds_read_b128 v[2:5], v12 offset:224
	ds_read2_b64 v[6:9], v24 offset0:128 offset1:160
	v_mul_f32_e32 v28, v31, v28
	v_fmac_f32_e32 v28, v32, v27
	v_add_f32_e32 v29, v25, v29
	v_add_f32_e32 v30, v26, v28
	s_waitcnt lgkmcnt(0)
	v_mul_f32_e32 v31, v7, v3
	v_mul_f32_e32 v3, v6, v3
	v_fma_f32 v31, v6, v2, -v31
	v_fmac_f32_e32 v3, v7, v2
	ds_read_b128 v[25:28], v12 offset:240
	v_add_f32_e32 v2, v29, v31
	v_add_f32_e32 v3, v30, v3
	ds_read2_b64 v[29:32], v24 offset0:192 offset1:224
	v_mul_f32_e32 v6, v9, v5
	v_mul_f32_e32 v5, v8, v5
	v_fma_f32 v6, v8, v4, -v6
	v_fmac_f32_e32 v5, v9, v4
	s_waitcnt lgkmcnt(0)
	v_mul_f32_e32 v4, v30, v26
	v_add_f32_e32 v2, v2, v6
	v_add_f32_e32 v3, v3, v5
	v_fma_f32 v4, v29, v25, -v4
	v_mul_f32_e32 v5, v29, v26
	v_fmac_f32_e32 v5, v30, v25
	v_add_f32_e32 v2, v2, v4
	v_mul_f32_e32 v4, v32, v28
	v_add_f32_e32 v3, v3, v5
	v_fma_f32 v4, v31, v27, -v4
	v_mul_f32_e32 v5, v31, v28
	v_fmac_f32_e32 v5, v32, v27
	v_add_f32_e32 v2, v2, v4
	v_add_f32_e32 v3, v3, v5
	v_mul_f32_e32 v4, s10, v2
	v_mul_f32_e32 v2, s11, v2
	v_fmac_f32_e32 v4, s11, v3
	v_fma_f32 v3, s10, v3, -v2
	s_waitcnt vmcnt(0)
	v_add_f32_e32 v2, v34, v4
	v_add_f32_e32 v3, v35, v3
	flat_store_dwordx2 v[10:11], v[2:3]
	s_branch .LBB1891_3
.LBB1891_16:
	s_endpgm
	.section	.rodata,"a",@progbits
	.p2align	6, 0x0
	.amdhsa_kernel _ZL26rocblas_syr2k_her2k_kernelIlLb1ELb1ELb1ELi32EPK19rocblas_complex_numIfEPKS3_PKPS1_EvbiT_T4_T5_S9_lSB_S9_lT6_S9_li
		.amdhsa_group_segment_fixed_size 16384
		.amdhsa_private_segment_fixed_size 0
		.amdhsa_kernarg_size 100
		.amdhsa_user_sgpr_count 6
		.amdhsa_user_sgpr_private_segment_buffer 1
		.amdhsa_user_sgpr_dispatch_ptr 0
		.amdhsa_user_sgpr_queue_ptr 0
		.amdhsa_user_sgpr_kernarg_segment_ptr 1
		.amdhsa_user_sgpr_dispatch_id 0
		.amdhsa_user_sgpr_flat_scratch_init 0
		.amdhsa_user_sgpr_private_segment_size 0
		.amdhsa_uses_dynamic_stack 0
		.amdhsa_system_sgpr_private_segment_wavefront_offset 0
		.amdhsa_system_sgpr_workgroup_id_x 1
		.amdhsa_system_sgpr_workgroup_id_y 1
		.amdhsa_system_sgpr_workgroup_id_z 1
		.amdhsa_system_sgpr_workgroup_info 0
		.amdhsa_system_vgpr_workitem_id 1
		.amdhsa_next_free_vgpr 40
		.amdhsa_next_free_sgpr 61
		.amdhsa_reserve_vcc 1
		.amdhsa_reserve_flat_scratch 0
		.amdhsa_float_round_mode_32 0
		.amdhsa_float_round_mode_16_64 0
		.amdhsa_float_denorm_mode_32 3
		.amdhsa_float_denorm_mode_16_64 3
		.amdhsa_dx10_clamp 1
		.amdhsa_ieee_mode 1
		.amdhsa_fp16_overflow 0
		.amdhsa_exception_fp_ieee_invalid_op 0
		.amdhsa_exception_fp_denorm_src 0
		.amdhsa_exception_fp_ieee_div_zero 0
		.amdhsa_exception_fp_ieee_overflow 0
		.amdhsa_exception_fp_ieee_underflow 0
		.amdhsa_exception_fp_ieee_inexact 0
		.amdhsa_exception_int_div_zero 0
	.end_amdhsa_kernel
	.section	.text._ZL26rocblas_syr2k_her2k_kernelIlLb1ELb1ELb1ELi32EPK19rocblas_complex_numIfEPKS3_PKPS1_EvbiT_T4_T5_S9_lSB_S9_lT6_S9_li,"axG",@progbits,_ZL26rocblas_syr2k_her2k_kernelIlLb1ELb1ELb1ELi32EPK19rocblas_complex_numIfEPKS3_PKPS1_EvbiT_T4_T5_S9_lSB_S9_lT6_S9_li,comdat
.Lfunc_end1891:
	.size	_ZL26rocblas_syr2k_her2k_kernelIlLb1ELb1ELb1ELi32EPK19rocblas_complex_numIfEPKS3_PKPS1_EvbiT_T4_T5_S9_lSB_S9_lT6_S9_li, .Lfunc_end1891-_ZL26rocblas_syr2k_her2k_kernelIlLb1ELb1ELb1ELi32EPK19rocblas_complex_numIfEPKS3_PKPS1_EvbiT_T4_T5_S9_lSB_S9_lT6_S9_li
                                        ; -- End function
	.set _ZL26rocblas_syr2k_her2k_kernelIlLb1ELb1ELb1ELi32EPK19rocblas_complex_numIfEPKS3_PKPS1_EvbiT_T4_T5_S9_lSB_S9_lT6_S9_li.num_vgpr, 40
	.set _ZL26rocblas_syr2k_her2k_kernelIlLb1ELb1ELb1ELi32EPK19rocblas_complex_numIfEPKS3_PKPS1_EvbiT_T4_T5_S9_lSB_S9_lT6_S9_li.num_agpr, 0
	.set _ZL26rocblas_syr2k_her2k_kernelIlLb1ELb1ELb1ELi32EPK19rocblas_complex_numIfEPKS3_PKPS1_EvbiT_T4_T5_S9_lSB_S9_lT6_S9_li.numbered_sgpr, 36
	.set _ZL26rocblas_syr2k_her2k_kernelIlLb1ELb1ELb1ELi32EPK19rocblas_complex_numIfEPKS3_PKPS1_EvbiT_T4_T5_S9_lSB_S9_lT6_S9_li.num_named_barrier, 0
	.set _ZL26rocblas_syr2k_her2k_kernelIlLb1ELb1ELb1ELi32EPK19rocblas_complex_numIfEPKS3_PKPS1_EvbiT_T4_T5_S9_lSB_S9_lT6_S9_li.private_seg_size, 0
	.set _ZL26rocblas_syr2k_her2k_kernelIlLb1ELb1ELb1ELi32EPK19rocblas_complex_numIfEPKS3_PKPS1_EvbiT_T4_T5_S9_lSB_S9_lT6_S9_li.uses_vcc, 1
	.set _ZL26rocblas_syr2k_her2k_kernelIlLb1ELb1ELb1ELi32EPK19rocblas_complex_numIfEPKS3_PKPS1_EvbiT_T4_T5_S9_lSB_S9_lT6_S9_li.uses_flat_scratch, 0
	.set _ZL26rocblas_syr2k_her2k_kernelIlLb1ELb1ELb1ELi32EPK19rocblas_complex_numIfEPKS3_PKPS1_EvbiT_T4_T5_S9_lSB_S9_lT6_S9_li.has_dyn_sized_stack, 0
	.set _ZL26rocblas_syr2k_her2k_kernelIlLb1ELb1ELb1ELi32EPK19rocblas_complex_numIfEPKS3_PKPS1_EvbiT_T4_T5_S9_lSB_S9_lT6_S9_li.has_recursion, 0
	.set _ZL26rocblas_syr2k_her2k_kernelIlLb1ELb1ELb1ELi32EPK19rocblas_complex_numIfEPKS3_PKPS1_EvbiT_T4_T5_S9_lSB_S9_lT6_S9_li.has_indirect_call, 0
	.section	.AMDGPU.csdata,"",@progbits
; Kernel info:
; codeLenInByte = 3556
; TotalNumSgprs: 40
; NumVgprs: 40
; ScratchSize: 0
; MemoryBound: 0
; FloatMode: 240
; IeeeMode: 1
; LDSByteSize: 16384 bytes/workgroup (compile time only)
; SGPRBlocks: 8
; VGPRBlocks: 9
; NumSGPRsForWavesPerEU: 65
; NumVGPRsForWavesPerEU: 40
; Occupancy: 6
; WaveLimiterHint : 1
; COMPUTE_PGM_RSRC2:SCRATCH_EN: 0
; COMPUTE_PGM_RSRC2:USER_SGPR: 6
; COMPUTE_PGM_RSRC2:TRAP_HANDLER: 0
; COMPUTE_PGM_RSRC2:TGID_X_EN: 1
; COMPUTE_PGM_RSRC2:TGID_Y_EN: 1
; COMPUTE_PGM_RSRC2:TGID_Z_EN: 1
; COMPUTE_PGM_RSRC2:TIDIG_COMP_CNT: 1
	.section	.text._ZL26rocblas_syr2k_her2k_kernelIlLb1ELb1ELb0ELi32E19rocblas_complex_numIdEPKPKS1_PKPS1_EvbiT_T4_T5_S9_lSB_S9_lT6_S9_li,"axG",@progbits,_ZL26rocblas_syr2k_her2k_kernelIlLb1ELb1ELb0ELi32E19rocblas_complex_numIdEPKPKS1_PKPS1_EvbiT_T4_T5_S9_lSB_S9_lT6_S9_li,comdat
	.globl	_ZL26rocblas_syr2k_her2k_kernelIlLb1ELb1ELb0ELi32E19rocblas_complex_numIdEPKPKS1_PKPS1_EvbiT_T4_T5_S9_lSB_S9_lT6_S9_li ; -- Begin function _ZL26rocblas_syr2k_her2k_kernelIlLb1ELb1ELb0ELi32E19rocblas_complex_numIdEPKPKS1_PKPS1_EvbiT_T4_T5_S9_lSB_S9_lT6_S9_li
	.p2align	8
	.type	_ZL26rocblas_syr2k_her2k_kernelIlLb1ELb1ELb0ELi32E19rocblas_complex_numIdEPKPKS1_PKPS1_EvbiT_T4_T5_S9_lSB_S9_lT6_S9_li,@function
_ZL26rocblas_syr2k_her2k_kernelIlLb1ELb1ELb0ELi32E19rocblas_complex_numIdEPKPKS1_PKPS1_EvbiT_T4_T5_S9_lSB_S9_lT6_S9_li: ; @_ZL26rocblas_syr2k_her2k_kernelIlLb1ELb1ELb0ELi32E19rocblas_complex_numIdEPKPKS1_PKPS1_EvbiT_T4_T5_S9_lSB_S9_lT6_S9_li
; %bb.0:
	s_load_dwordx16 s[12:27], s[4:5], 0x8
	s_waitcnt lgkmcnt(0)
	v_cmp_eq_f64_e64 s[0:1], s[14:15], 0
	v_cmp_eq_f64_e64 s[2:3], s[16:17], 0
	s_and_b64 s[0:1], s[0:1], s[2:3]
	s_and_b64 vcc, exec, s[0:1]
	s_cbranch_vccnz .LBB1892_16
; %bb.1:
	s_load_dwordx2 s[10:11], s[4:5], 0x0
	s_lshl_b32 s2, s7, 5
	s_lshl_b32 s3, s6, 5
	s_waitcnt lgkmcnt(0)
	s_and_b32 s0, 1, s10
	s_cmp_eq_u32 s0, 1
	s_cselect_b64 s[0:1], -1, 0
	s_and_b64 s[6:7], s[0:1], exec
	s_cselect_b32 s6, s3, s2
	s_cselect_b32 s7, s2, s3
	s_cmp_gt_i32 s6, s7
	v_cmp_lt_i64_e64 s[6:7], s[12:13], 1
	s_cselect_b64 s[28:29], -1, 0
	s_or_b64 s[6:7], s[28:29], s[6:7]
	s_and_b64 vcc, exec, s[6:7]
	s_cbranch_vccnz .LBB1892_16
; %bb.2:
	s_mov_b32 s9, 0
	s_load_dwordx8 s[36:43], s[4:5], 0x48
	s_lshl_b64 s[4:5], s[8:9], 3
	s_add_u32 s6, s18, s4
	s_addc_u32 s7, s19, s5
	s_add_u32 s8, s24, s4
	s_addc_u32 s9, s25, s5
	s_waitcnt lgkmcnt(0)
	s_add_u32 s4, s38, s4
	s_addc_u32 s5, s39, s5
	s_load_dwordx2 s[18:19], s[4:5], 0x0
	s_load_dwordx2 s[28:29], s[6:7], 0x0
	;; [unrolled: 1-line block ×3, first 2 shown]
	s_lshl_b64 s[4:5], s[42:43], 4
	v_add_u32_e32 v2, s2, v1
	s_waitcnt lgkmcnt(0)
	s_add_u32 s8, s18, s4
	s_addc_u32 s6, s19, s5
	s_lshl_b64 s[4:5], s[36:37], 4
	s_add_u32 s24, s24, s4
	s_addc_u32 s25, s25, s5
	s_lshl_b64 s[4:5], s[22:23], 4
	v_lshlrev_b32_e32 v32, 9, v0
	v_lshlrev_b32_e32 v6, 4, v1
	s_add_u32 s28, s28, s4
	v_add_u32_e32 v33, v32, v6
	v_or_b32_e32 v34, 0x4000, v6
	v_ashrrev_i32_e32 v6, 31, v2
	s_addc_u32 s29, s29, s5
	v_mul_lo_u32 v11, s40, v6
	v_mul_lo_u32 v12, s41, v2
	v_mad_u64_u32 v[6:7], s[4:5], s40, v2, 0
	v_add_u32_e32 v4, s3, v0
	v_max_i32_e32 v10, v4, v2
	v_cmp_gt_i32_e32 vcc, s11, v10
	v_add3_u32 v7, v7, v11, v12
	v_mov_b32_e32 v12, s6
	v_mad_u64_u32 v[10:11], s[6:7], s20, v0, 0
	v_cndmask_b32_e64 v8, v4, v2, s[0:1]
	v_cndmask_b32_e64 v9, v2, v4, s[0:1]
	v_lshlrev_b64 v[6:7], 4, v[6:7]
	v_cmp_le_i32_e64 s[4:5], v9, v8
	s_and_b64 s[4:5], s[4:5], vcc
	v_ashrrev_i32_e32 v9, 31, v4
	v_mov_b32_e32 v8, v4
	v_add_co_u32_e32 v13, vcc, s8, v6
	v_addc_co_u32_e32 v12, vcc, v12, v7, vcc
	v_lshlrev_b64 v[6:7], 4, v[8:9]
	v_mov_b32_e32 v8, v11
	v_mad_u64_u32 v[8:9], s[6:7], s21, v0, v[8:9]
	v_mov_b32_e32 v5, 0
	s_ashr_i32 s3, s11, 31
	v_mov_b32_e32 v11, v8
	v_mad_u64_u32 v[8:9], s[6:7], s20, v1, 0
	s_mov_b32 s2, s11
	v_mov_b32_e32 v3, v5
	v_add_co_u32_e32 v30, vcc, v13, v6
	v_cmp_gt_i64_e64 s[0:1], s[2:3], v[4:5]
	v_cmp_gt_i64_e64 s[2:3], s[2:3], v[2:3]
	v_addc_co_u32_e32 v31, vcc, v12, v7, vcc
	v_lshlrev_b64 v[6:7], 4, v[10:11]
	v_lshlrev_b64 v[2:3], 4, v[2:3]
	v_mad_u64_u32 v[10:11], s[8:9], s26, v0, 0
	v_add_co_u32_e32 v36, vcc, v6, v2
	v_mov_b32_e32 v6, v9
	v_addc_co_u32_e32 v37, vcc, v7, v3, vcc
	v_mad_u64_u32 v[6:7], s[6:7], s21, v1, v[6:7]
	v_mad_u64_u32 v[12:13], s[8:9], s26, v1, 0
	v_mov_b32_e32 v9, v6
	v_lshlrev_b64 v[6:7], 4, v[8:9]
	v_mov_b32_e32 v8, v11
	v_mad_u64_u32 v[8:9], s[8:9], s27, v0, v[8:9]
	v_lshlrev_b64 v[4:5], 4, v[4:5]
	v_add_u32_e32 v35, v34, v32
	v_mov_b32_e32 v11, v8
	v_mov_b32_e32 v8, v13
	v_mad_u64_u32 v[8:9], s[8:9], s27, v1, v[8:9]
	v_add_co_u32_e32 v38, vcc, v6, v4
	v_addc_co_u32_e32 v39, vcc, v7, v5, vcc
	v_lshlrev_b64 v[6:7], 4, v[10:11]
	v_mov_b32_e32 v13, v8
	v_add_co_u32_e32 v40, vcc, v6, v2
	v_addc_co_u32_e32 v41, vcc, v7, v3, vcc
	v_lshlrev_b64 v[2:3], 4, v[12:13]
	s_lshl_b64 s[6:7], s[20:21], 9
	v_add_co_u32_e32 v42, vcc, v2, v4
	s_lshl_b64 s[8:9], s[26:27], 9
	v_addc_co_u32_e32 v43, vcc, v3, v5, vcc
	s_mov_b64 s[10:11], 0
	s_branch .LBB1892_4
.LBB1892_3:                             ;   in Loop: Header=BB1892_4 Depth=1
	s_or_b64 exec, exec, s[18:19]
	s_add_u32 s10, s10, 32
	s_addc_u32 s11, s11, 0
	v_mov_b32_e32 v2, s12
	s_add_u32 s28, s28, s6
	v_mov_b32_e32 v3, s13
	s_addc_u32 s29, s29, s7
	v_cmp_lt_i64_e32 vcc, s[10:11], v[2:3]
	s_add_u32 s24, s24, s8
	s_addc_u32 s25, s25, s9
	s_waitcnt vmcnt(0) lgkmcnt(0)
	s_barrier
	s_cbranch_vccz .LBB1892_16
.LBB1892_4:                             ; =>This Inner Loop Header: Depth=1
	v_mov_b32_e32 v3, s11
	v_add_co_u32_e32 v2, vcc, s10, v1
	v_addc_co_u32_e32 v3, vcc, 0, v3, vcc
	v_cmp_gt_i64_e32 vcc, s[12:13], v[2:3]
	v_mov_b32_e32 v2, 0
	v_mov_b32_e32 v4, 0
	;; [unrolled: 1-line block ×6, first 2 shown]
	s_and_b64 s[18:19], s[0:1], vcc
	s_and_saveexec_b64 s[20:21], s[18:19]
	s_cbranch_execz .LBB1892_6
; %bb.5:                                ;   in Loop: Header=BB1892_4 Depth=1
	v_mov_b32_e32 v5, s29
	v_add_co_u32_e32 v4, vcc, s28, v38
	v_addc_co_u32_e32 v5, vcc, v5, v39, vcc
	flat_load_dwordx4 v[4:7], v[4:5]
.LBB1892_6:                             ;   in Loop: Header=BB1892_4 Depth=1
	s_or_b64 exec, exec, s[20:21]
	s_waitcnt vmcnt(0) lgkmcnt(0)
	ds_write_b128 v33, v[4:7]
	v_mov_b32_e32 v5, s11
	v_add_co_u32_e32 v4, vcc, s10, v0
	v_addc_co_u32_e32 v5, vcc, 0, v5, vcc
	v_cmp_gt_i64_e32 vcc, s[12:13], v[4:5]
	v_mov_b32_e32 v4, 0
	v_mov_b32_e32 v5, 0
	s_and_b64 s[20:21], s[2:3], vcc
	s_and_saveexec_b64 s[22:23], s[20:21]
	s_cbranch_execz .LBB1892_8
; %bb.7:                                ;   in Loop: Header=BB1892_4 Depth=1
	v_mov_b32_e32 v3, s25
	v_add_co_u32_e32 v2, vcc, s24, v40
	v_addc_co_u32_e32 v3, vcc, v3, v41, vcc
	flat_load_dwordx4 v[2:5], v[2:3]
	s_waitcnt vmcnt(0) lgkmcnt(0)
	v_xor_b32_e32 v5, 0x80000000, v5
.LBB1892_8:                             ;   in Loop: Header=BB1892_4 Depth=1
	s_or_b64 exec, exec, s[22:23]
	ds_write_b128 v35, v[2:5]
	s_waitcnt lgkmcnt(0)
	s_barrier
	s_and_saveexec_b64 s[22:23], s[4:5]
	s_cbranch_execz .LBB1892_10
; %bb.9:                                ;   in Loop: Header=BB1892_4 Depth=1
	ds_read_b128 v[6:9], v34
	ds_read_b128 v[10:13], v32
	ds_read_b128 v[14:17], v32 offset:16
	ds_read_b128 v[18:21], v32 offset:32
	ds_read_b128 v[2:5], v32 offset:48
	s_waitcnt lgkmcnt(3)
	v_mul_f64 v[22:23], v[8:9], v[12:13]
	v_fma_f64 v[22:23], v[6:7], v[10:11], -v[22:23]
	v_mul_f64 v[6:7], v[6:7], v[12:13]
	v_fma_f64 v[6:7], v[8:9], v[10:11], v[6:7]
	v_add_f64 v[10:11], v[22:23], 0
	v_add_f64 v[12:13], v[6:7], 0
	ds_read_b128 v[6:9], v34 offset:512
	s_waitcnt lgkmcnt(0)
	v_mul_f64 v[22:23], v[8:9], v[16:17]
	v_fma_f64 v[22:23], v[6:7], v[14:15], -v[22:23]
	v_mul_f64 v[6:7], v[6:7], v[16:17]
	v_add_f64 v[10:11], v[10:11], v[22:23]
	v_fma_f64 v[6:7], v[8:9], v[14:15], v[6:7]
	v_add_f64 v[12:13], v[12:13], v[6:7]
	ds_read_b128 v[6:9], v34 offset:1024
	s_waitcnt lgkmcnt(0)
	v_mul_f64 v[14:15], v[8:9], v[20:21]
	v_fma_f64 v[14:15], v[6:7], v[18:19], -v[14:15]
	v_mul_f64 v[6:7], v[6:7], v[20:21]
	v_add_f64 v[10:11], v[10:11], v[14:15]
	v_fma_f64 v[6:7], v[8:9], v[18:19], v[6:7]
	v_add_f64 v[12:13], v[12:13], v[6:7]
	ds_read_b128 v[6:9], v34 offset:1536
	s_waitcnt lgkmcnt(0)
	v_mul_f64 v[14:15], v[8:9], v[4:5]
	v_mul_f64 v[4:5], v[6:7], v[4:5]
	v_fma_f64 v[14:15], v[6:7], v[2:3], -v[14:15]
	v_fma_f64 v[2:3], v[8:9], v[2:3], v[4:5]
	v_add_f64 v[10:11], v[10:11], v[14:15]
	v_add_f64 v[12:13], v[12:13], v[2:3]
	ds_read_b128 v[2:5], v34 offset:2048
	ds_read_b128 v[6:9], v32 offset:64
	s_waitcnt lgkmcnt(0)
	v_mul_f64 v[14:15], v[4:5], v[8:9]
	v_fma_f64 v[14:15], v[2:3], v[6:7], -v[14:15]
	v_mul_f64 v[2:3], v[2:3], v[8:9]
	v_add_f64 v[10:11], v[10:11], v[14:15]
	v_fma_f64 v[2:3], v[4:5], v[6:7], v[2:3]
	v_add_f64 v[12:13], v[12:13], v[2:3]
	ds_read_b128 v[2:5], v34 offset:2560
	ds_read_b128 v[6:9], v32 offset:80
	s_waitcnt lgkmcnt(0)
	v_mul_f64 v[14:15], v[4:5], v[8:9]
	v_fma_f64 v[14:15], v[2:3], v[6:7], -v[14:15]
	v_mul_f64 v[2:3], v[2:3], v[8:9]
	v_add_f64 v[10:11], v[10:11], v[14:15]
	v_fma_f64 v[2:3], v[4:5], v[6:7], v[2:3]
	;; [unrolled: 9-line block ×27, first 2 shown]
	v_add_f64 v[12:13], v[12:13], v[2:3]
	ds_read_b128 v[2:5], v34 offset:15872
	ds_read_b128 v[6:9], v32 offset:496
	s_waitcnt lgkmcnt(0)
	v_mul_f64 v[14:15], v[4:5], v[8:9]
	v_fma_f64 v[14:15], v[2:3], v[6:7], -v[14:15]
	v_mul_f64 v[2:3], v[2:3], v[8:9]
	v_fma_f64 v[2:3], v[4:5], v[6:7], v[2:3]
	v_add_f64 v[4:5], v[10:11], v[14:15]
	v_add_f64 v[2:3], v[12:13], v[2:3]
	v_mul_f64 v[6:7], s[16:17], v[2:3]
	v_mul_f64 v[2:3], s[14:15], v[2:3]
	v_fma_f64 v[6:7], s[14:15], v[4:5], -v[6:7]
	v_fma_f64 v[8:9], s[16:17], v[4:5], v[2:3]
	flat_load_dwordx4 v[2:5], v[30:31]
	s_waitcnt vmcnt(0) lgkmcnt(0)
	v_add_f64 v[2:3], v[2:3], v[6:7]
	v_add_f64 v[4:5], v[4:5], v[8:9]
	flat_store_dwordx4 v[30:31], v[2:5]
.LBB1892_10:                            ;   in Loop: Header=BB1892_4 Depth=1
	s_or_b64 exec, exec, s[22:23]
	v_mov_b32_e32 v4, 0
	v_mov_b32_e32 v8, 0
	;; [unrolled: 1-line block ×6, first 2 shown]
	s_waitcnt vmcnt(0) lgkmcnt(0)
	s_barrier
	s_and_saveexec_b64 s[22:23], s[18:19]
	s_cbranch_execz .LBB1892_12
; %bb.11:                               ;   in Loop: Header=BB1892_4 Depth=1
	v_mov_b32_e32 v3, s25
	v_add_co_u32_e32 v2, vcc, s24, v42
	v_addc_co_u32_e32 v3, vcc, v3, v43, vcc
	flat_load_dwordx4 v[6:9], v[2:3]
.LBB1892_12:                            ;   in Loop: Header=BB1892_4 Depth=1
	s_or_b64 exec, exec, s[22:23]
	v_mov_b32_e32 v2, 0
	v_mov_b32_e32 v3, 0
	s_waitcnt vmcnt(0) lgkmcnt(0)
	ds_write_b128 v33, v[6:9]
	s_and_saveexec_b64 s[18:19], s[20:21]
	s_cbranch_execz .LBB1892_14
; %bb.13:                               ;   in Loop: Header=BB1892_4 Depth=1
	v_mov_b32_e32 v3, s29
	v_add_co_u32_e32 v2, vcc, s28, v36
	v_addc_co_u32_e32 v3, vcc, v3, v37, vcc
	flat_load_dwordx4 v[2:5], v[2:3]
	s_waitcnt vmcnt(0) lgkmcnt(0)
	v_xor_b32_e32 v5, 0x80000000, v5
.LBB1892_14:                            ;   in Loop: Header=BB1892_4 Depth=1
	s_or_b64 exec, exec, s[18:19]
	ds_write_b128 v35, v[2:5]
	s_waitcnt lgkmcnt(0)
	s_barrier
	s_and_saveexec_b64 s[18:19], s[4:5]
	s_cbranch_execz .LBB1892_3
; %bb.15:                               ;   in Loop: Header=BB1892_4 Depth=1
	ds_read_b128 v[2:5], v34
	ds_read_b128 v[6:9], v32
	ds_read_b128 v[10:13], v32 offset:16
	ds_read_b128 v[14:17], v34 offset:512
	;; [unrolled: 1-line block ×3, first 2 shown]
	s_waitcnt lgkmcnt(3)
	v_mul_f64 v[22:23], v[4:5], v[8:9]
	v_mul_f64 v[8:9], v[2:3], v[8:9]
	s_waitcnt lgkmcnt(1)
	v_mul_f64 v[52:53], v[16:17], v[12:13]
	v_mul_f64 v[12:13], v[14:15], v[12:13]
	v_fma_f64 v[2:3], v[2:3], v[6:7], -v[22:23]
	ds_read_b128 v[22:25], v32 offset:32
	ds_read_b128 v[26:29], v32 offset:48
	;; [unrolled: 1-line block ×4, first 2 shown]
	v_fma_f64 v[56:57], v[4:5], v[6:7], v[8:9]
	s_waitcnt lgkmcnt(3)
	v_mul_f64 v[54:55], v[20:21], v[24:25]
	v_fma_f64 v[14:15], v[14:15], v[10:11], -v[52:53]
	v_mul_f64 v[24:25], v[18:19], v[24:25]
	s_waitcnt lgkmcnt(1)
	v_mul_f64 v[58:59], v[46:47], v[28:29]
	v_fma_f64 v[60:61], v[16:17], v[10:11], v[12:13]
	v_add_f64 v[52:53], v[2:3], 0
	ds_read_b128 v[2:5], v34 offset:2048
	ds_read_b128 v[6:9], v34 offset:2560
	v_mul_f64 v[28:29], v[44:45], v[28:29]
	v_fma_f64 v[18:19], v[18:19], v[22:23], -v[54:55]
	v_add_f64 v[54:55], v[56:57], 0
	s_waitcnt lgkmcnt(1)
	v_mul_f64 v[56:57], v[4:5], v[50:51]
	v_fma_f64 v[62:63], v[20:21], v[22:23], v[24:25]
	v_fma_f64 v[44:45], v[44:45], v[26:27], -v[58:59]
	v_add_f64 v[52:53], v[52:53], v[14:15]
	ds_read_b128 v[10:13], v32 offset:80
	ds_read_b128 v[14:17], v32 offset:96
	v_mul_f64 v[50:51], v[2:3], v[50:51]
	v_add_f64 v[54:55], v[54:55], v[60:61]
	s_waitcnt lgkmcnt(1)
	v_mul_f64 v[58:59], v[8:9], v[12:13]
	v_fma_f64 v[60:61], v[46:47], v[26:27], v[28:29]
	v_fma_f64 v[2:3], v[2:3], v[48:49], -v[56:57]
	v_add_f64 v[52:53], v[52:53], v[18:19]
	ds_read_b128 v[18:21], v34 offset:3072
	ds_read_b128 v[22:25], v34 offset:3584
	v_mul_f64 v[12:13], v[6:7], v[12:13]
	;; [unrolled: 9-line block ×7, first 2 shown]
	v_fma_f64 v[50:51], v[50:51], v[6:7], v[8:9]
	v_add_f64 v[54:55], v[54:55], v[60:61]
	s_waitcnt lgkmcnt(1)
	v_mul_f64 v[60:61], v[20:21], v[24:25]
	v_fma_f64 v[56:57], v[14:15], v[10:11], -v[56:57]
	v_mul_f64 v[24:25], v[18:19], v[24:25]
	v_add_f64 v[52:53], v[52:53], v[2:3]
	ds_read_b128 v[2:5], v34 offset:6144
	ds_read_b128 v[44:47], v34 offset:6656
	v_fma_f64 v[10:11], v[16:17], v[10:11], v[58:59]
	ds_read_b128 v[6:9], v32 offset:208
	ds_read_b128 v[12:15], v32 offset:224
	v_add_f64 v[54:55], v[54:55], v[62:63]
	v_fma_f64 v[58:59], v[18:19], v[22:23], -v[60:61]
	s_waitcnt lgkmcnt(1)
	v_mul_f64 v[60:61], v[46:47], v[8:9]
	v_add_f64 v[48:49], v[52:53], v[48:49]
	v_mul_f64 v[52:53], v[4:5], v[28:29]
	v_mul_f64 v[28:29], v[2:3], v[28:29]
	v_fma_f64 v[24:25], v[20:21], v[22:23], v[24:25]
	v_add_f64 v[54:55], v[54:55], v[50:51]
	v_add_f64 v[56:57], v[48:49], v[56:57]
	v_fma_f64 v[2:3], v[2:3], v[26:27], -v[52:53]
	ds_read_b128 v[16:19], v34 offset:7168
	ds_read_b128 v[48:51], v34 offset:7680
	v_fma_f64 v[26:27], v[4:5], v[26:27], v[28:29]
	v_add_f64 v[10:11], v[54:55], v[10:11]
	v_fma_f64 v[28:29], v[44:45], v[6:7], -v[60:61]
	s_waitcnt lgkmcnt(1)
	v_mul_f64 v[62:63], v[18:19], v[14:15]
	ds_read_b128 v[20:23], v32 offset:240
	ds_read_b128 v[52:55], v32 offset:256
	v_add_f64 v[56:57], v[56:57], v[58:59]
	v_mul_f64 v[58:59], v[44:45], v[8:9]
	s_waitcnt lgkmcnt(1)
	v_mul_f64 v[60:61], v[50:51], v[22:23]
	v_add_f64 v[24:25], v[10:11], v[24:25]
	v_mul_f64 v[22:23], v[48:49], v[22:23]
	v_add_f64 v[44:45], v[56:57], v[2:3]
	v_mul_f64 v[56:57], v[16:17], v[14:15]
	v_fma_f64 v[6:7], v[46:47], v[6:7], v[58:59]
	v_fma_f64 v[46:47], v[16:17], v[12:13], -v[62:63]
	v_add_f64 v[58:59], v[24:25], v[26:27]
	ds_read_b128 v[2:5], v34 offset:8192
	ds_read_b128 v[8:11], v34 offset:8704
	;; [unrolled: 1-line block ×4, first 2 shown]
	v_fma_f64 v[22:23], v[50:51], v[20:21], v[22:23]
	v_add_f64 v[28:29], v[44:45], v[28:29]
	s_waitcnt lgkmcnt(3)
	v_mul_f64 v[62:63], v[4:5], v[54:55]
	v_fma_f64 v[12:13], v[18:19], v[12:13], v[56:57]
	v_fma_f64 v[18:19], v[48:49], v[20:21], -v[60:61]
	v_add_f64 v[6:7], v[58:59], v[6:7]
	v_mul_f64 v[54:55], v[2:3], v[54:55]
	s_waitcnt lgkmcnt(1)
	v_mul_f64 v[60:61], v[10:11], v[16:17]
	v_mul_f64 v[16:17], v[8:9], v[16:17]
	v_add_f64 v[28:29], v[28:29], v[46:47]
	v_fma_f64 v[2:3], v[2:3], v[52:53], -v[62:63]
	ds_read_b128 v[44:47], v34 offset:9216
	ds_read_b128 v[56:59], v34 offset:9728
	v_add_f64 v[6:7], v[6:7], v[12:13]
	v_fma_f64 v[62:63], v[4:5], v[52:53], v[54:55]
	v_fma_f64 v[8:9], v[8:9], v[14:15], -v[60:61]
	v_fma_f64 v[10:11], v[10:11], v[14:15], v[16:17]
	v_add_f64 v[12:13], v[28:29], v[18:19]
	s_waitcnt lgkmcnt(1)
	v_mul_f64 v[28:29], v[46:47], v[26:27]
	ds_read_b128 v[18:21], v32 offset:304
	ds_read_b128 v[48:51], v32 offset:320
	v_add_f64 v[22:23], v[6:7], v[22:23]
	ds_read_b128 v[4:7], v34 offset:10240
	ds_read_b128 v[52:55], v34 offset:10752
	s_waitcnt lgkmcnt(3)
	v_mul_f64 v[60:61], v[58:59], v[20:21]
	v_add_f64 v[2:3], v[12:13], v[2:3]
	v_mul_f64 v[12:13], v[44:45], v[26:27]
	v_fma_f64 v[44:45], v[44:45], v[24:25], -v[28:29]
	ds_read_b128 v[14:17], v32 offset:336
	ds_read_b128 v[26:29], v32 offset:352
	v_add_f64 v[22:23], v[22:23], v[62:63]
	s_waitcnt lgkmcnt(3)
	v_mul_f64 v[62:63], v[6:7], v[50:51]
	v_mul_f64 v[50:51], v[4:5], v[50:51]
	v_add_f64 v[2:3], v[2:3], v[8:9]
	v_mul_f64 v[8:9], v[56:57], v[20:21]
	v_fma_f64 v[12:13], v[46:47], v[24:25], v[12:13]
	v_fma_f64 v[24:25], v[56:57], v[18:19], -v[60:61]
	v_add_f64 v[10:11], v[22:23], v[10:11]
	s_waitcnt lgkmcnt(1)
	v_mul_f64 v[60:61], v[54:55], v[16:17]
	v_mul_f64 v[16:17], v[52:53], v[16:17]
	v_add_f64 v[2:3], v[2:3], v[44:45]
	v_fma_f64 v[8:9], v[58:59], v[18:19], v[8:9]
	v_fma_f64 v[18:19], v[4:5], v[48:49], -v[62:63]
	ds_read_b128 v[20:23], v34 offset:11264
	ds_read_b128 v[44:47], v34 offset:11776
	v_add_f64 v[10:11], v[10:11], v[12:13]
	v_fma_f64 v[48:49], v[6:7], v[48:49], v[50:51]
	v_fma_f64 v[50:51], v[52:53], v[14:15], -v[60:61]
	v_fma_f64 v[54:55], v[54:55], v[14:15], v[16:17]
	v_add_f64 v[12:13], v[2:3], v[24:25]
	s_waitcnt lgkmcnt(1)
	v_mul_f64 v[24:25], v[22:23], v[28:29]
	ds_read_b128 v[56:59], v32 offset:368
	ds_read_b128 v[2:5], v32 offset:384
	v_mul_f64 v[28:29], v[20:21], v[28:29]
	v_add_f64 v[52:53], v[10:11], v[8:9]
	s_waitcnt lgkmcnt(1)
	v_mul_f64 v[60:61], v[46:47], v[58:59]
	v_add_f64 v[18:19], v[12:13], v[18:19]
	v_fma_f64 v[24:25], v[20:21], v[26:27], -v[24:25]
	ds_read_b128 v[6:9], v34 offset:12288
	ds_read_b128 v[10:13], v34 offset:12800
	v_fma_f64 v[62:63], v[22:23], v[26:27], v[28:29]
	v_add_f64 v[48:49], v[52:53], v[48:49]
	v_mul_f64 v[52:53], v[44:45], v[58:59]
	s_waitcnt lgkmcnt(1)
	v_mul_f64 v[58:59], v[8:9], v[4:5]
	v_fma_f64 v[44:45], v[44:45], v[56:57], -v[60:61]
	v_add_f64 v[50:51], v[18:19], v[50:51]
	ds_read_b128 v[14:17], v32 offset:400
	ds_read_b128 v[18:21], v32 offset:416
	v_add_f64 v[48:49], v[48:49], v[54:55]
	v_mul_f64 v[54:55], v[6:7], v[4:5]
	s_waitcnt lgkmcnt(1)
	v_mul_f64 v[60:61], v[12:13], v[16:17]
	v_fma_f64 v[52:53], v[46:47], v[56:57], v[52:53]
	v_add_f64 v[50:51], v[50:51], v[24:25]
	v_fma_f64 v[56:57], v[6:7], v[2:3], -v[58:59]
	ds_read_b128 v[26:29], v34 offset:13312
	ds_read_b128 v[22:25], v34 offset:13824
	v_mul_f64 v[16:17], v[10:11], v[16:17]
	v_add_f64 v[48:49], v[48:49], v[62:63]
	v_fma_f64 v[2:3], v[8:9], v[2:3], v[54:55]
	s_waitcnt lgkmcnt(1)
	v_mul_f64 v[58:59], v[28:29], v[20:21]
	v_fma_f64 v[54:55], v[10:11], v[14:15], -v[60:61]
	v_add_f64 v[50:51], v[50:51], v[44:45]
	flat_load_dwordx4 v[44:47], v[30:31]
	ds_read_b128 v[4:7], v32 offset:432
	v_mul_f64 v[20:21], v[26:27], v[20:21]
	v_add_f64 v[52:53], v[48:49], v[52:53]
	v_fma_f64 v[16:17], v[12:13], v[14:15], v[16:17]
	v_fma_f64 v[26:27], v[26:27], v[18:19], -v[58:59]
	s_waitcnt lgkmcnt(0)
	v_mul_f64 v[60:61], v[24:25], v[6:7]
	v_add_f64 v[56:57], v[50:51], v[56:57]
	ds_read_b128 v[8:11], v34 offset:14336
	ds_read_b128 v[48:51], v32 offset:448
	v_mul_f64 v[6:7], v[22:23], v[6:7]
	v_fma_f64 v[28:29], v[28:29], v[18:19], v[20:21]
	v_add_f64 v[2:3], v[52:53], v[2:3]
	s_waitcnt lgkmcnt(0)
	v_mul_f64 v[58:59], v[10:11], v[50:51]
	v_fma_f64 v[60:61], v[22:23], v[4:5], -v[60:61]
	v_add_f64 v[56:57], v[56:57], v[54:55]
	ds_read_b128 v[12:15], v34 offset:14848
	ds_read_b128 v[52:55], v32 offset:464
	v_mul_f64 v[50:51], v[8:9], v[50:51]
	v_fma_f64 v[24:25], v[24:25], v[4:5], v[6:7]
	v_add_f64 v[2:3], v[2:3], v[16:17]
	ds_read_b128 v[16:19], v34 offset:15360
	ds_read_b128 v[20:23], v32 offset:480
	v_fma_f64 v[58:59], v[8:9], v[48:49], -v[58:59]
	v_add_f64 v[26:27], v[56:57], v[26:27]
	s_waitcnt lgkmcnt(0)
	v_mul_f64 v[56:57], v[14:15], v[54:55]
	v_mul_f64 v[54:55], v[12:13], v[54:55]
	v_fma_f64 v[10:11], v[10:11], v[48:49], v[50:51]
	v_add_f64 v[28:29], v[2:3], v[28:29]
	ds_read_b128 v[2:5], v34 offset:15872
	ds_read_b128 v[6:9], v32 offset:496
	v_add_f64 v[26:27], v[26:27], v[60:61]
	v_mul_f64 v[60:61], v[18:19], v[22:23]
	v_fma_f64 v[12:13], v[12:13], v[52:53], -v[56:57]
	v_mul_f64 v[22:23], v[16:17], v[22:23]
	v_add_f64 v[24:25], v[28:29], v[24:25]
	s_waitcnt lgkmcnt(0)
	v_mul_f64 v[28:29], v[4:5], v[8:9]
	v_fma_f64 v[14:15], v[14:15], v[52:53], v[54:55]
	v_mul_f64 v[8:9], v[2:3], v[8:9]
	v_add_f64 v[26:27], v[26:27], v[58:59]
	v_fma_f64 v[16:17], v[16:17], v[20:21], -v[60:61]
	v_fma_f64 v[18:19], v[18:19], v[20:21], v[22:23]
	v_add_f64 v[10:11], v[24:25], v[10:11]
	v_fma_f64 v[2:3], v[2:3], v[6:7], -v[28:29]
	v_fma_f64 v[4:5], v[4:5], v[6:7], v[8:9]
	v_add_f64 v[12:13], v[26:27], v[12:13]
	v_add_f64 v[10:11], v[10:11], v[14:15]
	;; [unrolled: 1-line block ×6, first 2 shown]
	v_mul_f64 v[6:7], s[14:15], v[2:3]
	v_mul_f64 v[2:3], s[16:17], v[2:3]
	v_fma_f64 v[6:7], s[16:17], v[4:5], v[6:7]
	v_fma_f64 v[4:5], s[14:15], v[4:5], -v[2:3]
	s_waitcnt vmcnt(0)
	v_add_f64 v[2:3], v[44:45], v[6:7]
	v_add_f64 v[4:5], v[46:47], v[4:5]
	flat_store_dwordx4 v[30:31], v[2:5]
	s_branch .LBB1892_3
.LBB1892_16:
	s_endpgm
	.section	.rodata,"a",@progbits
	.p2align	6, 0x0
	.amdhsa_kernel _ZL26rocblas_syr2k_her2k_kernelIlLb1ELb1ELb0ELi32E19rocblas_complex_numIdEPKPKS1_PKPS1_EvbiT_T4_T5_S9_lSB_S9_lT6_S9_li
		.amdhsa_group_segment_fixed_size 32768
		.amdhsa_private_segment_fixed_size 0
		.amdhsa_kernarg_size 108
		.amdhsa_user_sgpr_count 6
		.amdhsa_user_sgpr_private_segment_buffer 1
		.amdhsa_user_sgpr_dispatch_ptr 0
		.amdhsa_user_sgpr_queue_ptr 0
		.amdhsa_user_sgpr_kernarg_segment_ptr 1
		.amdhsa_user_sgpr_dispatch_id 0
		.amdhsa_user_sgpr_flat_scratch_init 0
		.amdhsa_user_sgpr_private_segment_size 0
		.amdhsa_uses_dynamic_stack 0
		.amdhsa_system_sgpr_private_segment_wavefront_offset 0
		.amdhsa_system_sgpr_workgroup_id_x 1
		.amdhsa_system_sgpr_workgroup_id_y 1
		.amdhsa_system_sgpr_workgroup_id_z 1
		.amdhsa_system_sgpr_workgroup_info 0
		.amdhsa_system_vgpr_workitem_id 1
		.amdhsa_next_free_vgpr 64
		.amdhsa_next_free_sgpr 61
		.amdhsa_reserve_vcc 1
		.amdhsa_reserve_flat_scratch 0
		.amdhsa_float_round_mode_32 0
		.amdhsa_float_round_mode_16_64 0
		.amdhsa_float_denorm_mode_32 3
		.amdhsa_float_denorm_mode_16_64 3
		.amdhsa_dx10_clamp 1
		.amdhsa_ieee_mode 1
		.amdhsa_fp16_overflow 0
		.amdhsa_exception_fp_ieee_invalid_op 0
		.amdhsa_exception_fp_denorm_src 0
		.amdhsa_exception_fp_ieee_div_zero 0
		.amdhsa_exception_fp_ieee_overflow 0
		.amdhsa_exception_fp_ieee_underflow 0
		.amdhsa_exception_fp_ieee_inexact 0
		.amdhsa_exception_int_div_zero 0
	.end_amdhsa_kernel
	.section	.text._ZL26rocblas_syr2k_her2k_kernelIlLb1ELb1ELb0ELi32E19rocblas_complex_numIdEPKPKS1_PKPS1_EvbiT_T4_T5_S9_lSB_S9_lT6_S9_li,"axG",@progbits,_ZL26rocblas_syr2k_her2k_kernelIlLb1ELb1ELb0ELi32E19rocblas_complex_numIdEPKPKS1_PKPS1_EvbiT_T4_T5_S9_lSB_S9_lT6_S9_li,comdat
.Lfunc_end1892:
	.size	_ZL26rocblas_syr2k_her2k_kernelIlLb1ELb1ELb0ELi32E19rocblas_complex_numIdEPKPKS1_PKPS1_EvbiT_T4_T5_S9_lSB_S9_lT6_S9_li, .Lfunc_end1892-_ZL26rocblas_syr2k_her2k_kernelIlLb1ELb1ELb0ELi32E19rocblas_complex_numIdEPKPKS1_PKPS1_EvbiT_T4_T5_S9_lSB_S9_lT6_S9_li
                                        ; -- End function
	.set _ZL26rocblas_syr2k_her2k_kernelIlLb1ELb1ELb0ELi32E19rocblas_complex_numIdEPKPKS1_PKPS1_EvbiT_T4_T5_S9_lSB_S9_lT6_S9_li.num_vgpr, 64
	.set _ZL26rocblas_syr2k_her2k_kernelIlLb1ELb1ELb0ELi32E19rocblas_complex_numIdEPKPKS1_PKPS1_EvbiT_T4_T5_S9_lSB_S9_lT6_S9_li.num_agpr, 0
	.set _ZL26rocblas_syr2k_her2k_kernelIlLb1ELb1ELb0ELi32E19rocblas_complex_numIdEPKPKS1_PKPS1_EvbiT_T4_T5_S9_lSB_S9_lT6_S9_li.numbered_sgpr, 44
	.set _ZL26rocblas_syr2k_her2k_kernelIlLb1ELb1ELb0ELi32E19rocblas_complex_numIdEPKPKS1_PKPS1_EvbiT_T4_T5_S9_lSB_S9_lT6_S9_li.num_named_barrier, 0
	.set _ZL26rocblas_syr2k_her2k_kernelIlLb1ELb1ELb0ELi32E19rocblas_complex_numIdEPKPKS1_PKPS1_EvbiT_T4_T5_S9_lSB_S9_lT6_S9_li.private_seg_size, 0
	.set _ZL26rocblas_syr2k_her2k_kernelIlLb1ELb1ELb0ELi32E19rocblas_complex_numIdEPKPKS1_PKPS1_EvbiT_T4_T5_S9_lSB_S9_lT6_S9_li.uses_vcc, 1
	.set _ZL26rocblas_syr2k_her2k_kernelIlLb1ELb1ELb0ELi32E19rocblas_complex_numIdEPKPKS1_PKPS1_EvbiT_T4_T5_S9_lSB_S9_lT6_S9_li.uses_flat_scratch, 0
	.set _ZL26rocblas_syr2k_her2k_kernelIlLb1ELb1ELb0ELi32E19rocblas_complex_numIdEPKPKS1_PKPS1_EvbiT_T4_T5_S9_lSB_S9_lT6_S9_li.has_dyn_sized_stack, 0
	.set _ZL26rocblas_syr2k_her2k_kernelIlLb1ELb1ELb0ELi32E19rocblas_complex_numIdEPKPKS1_PKPS1_EvbiT_T4_T5_S9_lSB_S9_lT6_S9_li.has_recursion, 0
	.set _ZL26rocblas_syr2k_her2k_kernelIlLb1ELb1ELb0ELi32E19rocblas_complex_numIdEPKPKS1_PKPS1_EvbiT_T4_T5_S9_lSB_S9_lT6_S9_li.has_indirect_call, 0
	.section	.AMDGPU.csdata,"",@progbits
; Kernel info:
; codeLenInByte = 5472
; TotalNumSgprs: 48
; NumVgprs: 64
; ScratchSize: 0
; MemoryBound: 1
; FloatMode: 240
; IeeeMode: 1
; LDSByteSize: 32768 bytes/workgroup (compile time only)
; SGPRBlocks: 8
; VGPRBlocks: 15
; NumSGPRsForWavesPerEU: 65
; NumVGPRsForWavesPerEU: 64
; Occupancy: 4
; WaveLimiterHint : 1
; COMPUTE_PGM_RSRC2:SCRATCH_EN: 0
; COMPUTE_PGM_RSRC2:USER_SGPR: 6
; COMPUTE_PGM_RSRC2:TRAP_HANDLER: 0
; COMPUTE_PGM_RSRC2:TGID_X_EN: 1
; COMPUTE_PGM_RSRC2:TGID_Y_EN: 1
; COMPUTE_PGM_RSRC2:TGID_Z_EN: 1
; COMPUTE_PGM_RSRC2:TIDIG_COMP_CNT: 1
	.section	.text._ZL26rocblas_syr2k_her2k_kernelIlLb1ELb1ELb1ELi32E19rocblas_complex_numIdEPKPKS1_PKPS1_EvbiT_T4_T5_S9_lSB_S9_lT6_S9_li,"axG",@progbits,_ZL26rocblas_syr2k_her2k_kernelIlLb1ELb1ELb1ELi32E19rocblas_complex_numIdEPKPKS1_PKPS1_EvbiT_T4_T5_S9_lSB_S9_lT6_S9_li,comdat
	.globl	_ZL26rocblas_syr2k_her2k_kernelIlLb1ELb1ELb1ELi32E19rocblas_complex_numIdEPKPKS1_PKPS1_EvbiT_T4_T5_S9_lSB_S9_lT6_S9_li ; -- Begin function _ZL26rocblas_syr2k_her2k_kernelIlLb1ELb1ELb1ELi32E19rocblas_complex_numIdEPKPKS1_PKPS1_EvbiT_T4_T5_S9_lSB_S9_lT6_S9_li
	.p2align	8
	.type	_ZL26rocblas_syr2k_her2k_kernelIlLb1ELb1ELb1ELi32E19rocblas_complex_numIdEPKPKS1_PKPS1_EvbiT_T4_T5_S9_lSB_S9_lT6_S9_li,@function
_ZL26rocblas_syr2k_her2k_kernelIlLb1ELb1ELb1ELi32E19rocblas_complex_numIdEPKPKS1_PKPS1_EvbiT_T4_T5_S9_lSB_S9_lT6_S9_li: ; @_ZL26rocblas_syr2k_her2k_kernelIlLb1ELb1ELb1ELi32E19rocblas_complex_numIdEPKPKS1_PKPS1_EvbiT_T4_T5_S9_lSB_S9_lT6_S9_li
; %bb.0:
	s_load_dwordx16 s[12:27], s[4:5], 0x8
	s_waitcnt lgkmcnt(0)
	v_cmp_eq_f64_e64 s[0:1], s[14:15], 0
	v_cmp_eq_f64_e64 s[2:3], s[16:17], 0
	s_and_b64 s[0:1], s[0:1], s[2:3]
	s_and_b64 vcc, exec, s[0:1]
	s_cbranch_vccnz .LBB1893_16
; %bb.1:
	s_load_dwordx2 s[10:11], s[4:5], 0x0
	s_lshl_b32 s2, s7, 5
	s_lshl_b32 s3, s6, 5
	s_waitcnt lgkmcnt(0)
	s_and_b32 s0, 1, s10
	s_cmp_eq_u32 s0, 1
	s_cselect_b64 s[0:1], -1, 0
	s_and_b64 s[6:7], s[0:1], exec
	s_cselect_b32 s6, s3, s2
	s_cselect_b32 s7, s2, s3
	s_cmp_gt_i32 s6, s7
	v_cmp_lt_i64_e64 s[6:7], s[12:13], 1
	s_cselect_b64 s[28:29], -1, 0
	s_or_b64 s[6:7], s[28:29], s[6:7]
	s_and_b64 vcc, exec, s[6:7]
	s_cbranch_vccnz .LBB1893_16
; %bb.2:
	s_mov_b32 s9, 0
	s_load_dwordx8 s[36:43], s[4:5], 0x48
	s_lshl_b64 s[4:5], s[8:9], 3
	s_add_u32 s18, s18, s4
	s_addc_u32 s19, s19, s5
	s_add_u32 s24, s24, s4
	s_addc_u32 s25, s25, s5
	s_waitcnt lgkmcnt(0)
	s_add_u32 s4, s38, s4
	s_addc_u32 s5, s39, s5
	s_load_dwordx2 s[28:29], s[4:5], 0x0
	s_load_dwordx2 s[8:9], s[18:19], 0x0
	;; [unrolled: 1-line block ×3, first 2 shown]
	s_lshl_b64 s[4:5], s[42:43], 4
	v_add_u32_e32 v2, s2, v1
	s_waitcnt lgkmcnt(0)
	s_add_u32 s18, s28, s4
	s_addc_u32 s10, s29, s5
	v_add_u32_e32 v4, s3, v0
	s_ashr_i32 s3, s11, 31
	s_mov_b32 s2, s11
	v_mov_b32_e32 v5, 0
	v_cndmask_b32_e64 v8, v4, v2, s[0:1]
	v_cndmask_b32_e64 v9, v2, v4, s[0:1]
	v_cmp_gt_i64_e64 s[0:1], s[2:3], v[4:5]
	v_mov_b32_e32 v3, v5
	v_ashrrev_i32_e32 v5, 31, v2
	v_mul_lo_u32 v5, s40, v5
	v_mul_lo_u32 v10, s41, v2
	v_mad_u64_u32 v[6:7], s[4:5], s40, v2, 0
	v_cmp_gt_i64_e64 s[2:3], s[2:3], v[2:3]
	v_max_i32_e32 v3, v4, v2
	v_cmp_gt_i32_e32 vcc, s11, v3
	v_cmp_le_i32_e64 s[4:5], v9, v8
	v_add3_u32 v7, v7, v5, v10
	v_mov_b32_e32 v3, s10
	v_mad_u64_u32 v[8:9], s[10:11], s20, v2, 0
	v_lshlrev_b64 v[6:7], 4, v[6:7]
	s_and_b64 s[4:5], s[4:5], vcc
	v_add_co_u32_e32 v12, vcc, s18, v6
	v_addc_co_u32_e32 v7, vcc, v3, v7, vcc
	v_mov_b32_e32 v3, v9
	v_ashrrev_i32_e32 v5, 31, v4
	v_mad_u64_u32 v[9:10], s[10:11], s21, v2, v[3:4]
	v_lshlrev_b64 v[5:6], 4, v[4:5]
	s_lshl_b64 s[10:11], s[22:23], 4
	v_add_co_u32_e32 v30, vcc, v12, v5
	v_addc_co_u32_e32 v31, vcc, v7, v6, vcc
	v_lshlrev_b64 v[5:6], 4, v[8:9]
	v_mov_b32_e32 v8, s11
	v_add_co_u32_e32 v3, vcc, s10, v5
	v_addc_co_u32_e32 v7, vcc, v6, v8, vcc
	v_mad_u64_u32 v[5:6], s[18:19], s20, v4, 0
	v_lshlrev_b32_e32 v9, 4, v0
	v_add_co_u32_e32 v10, vcc, v3, v9
	v_mov_b32_e32 v3, v6
	v_addc_co_u32_e32 v12, vcc, 0, v7, vcc
	v_mad_u64_u32 v[6:7], s[18:19], s21, v4, v[3:4]
	v_mov_b32_e32 v13, s9
	v_add_co_u32_e32 v36, vcc, s8, v10
	v_lshlrev_b64 v[5:6], 4, v[5:6]
	v_addc_co_u32_e32 v37, vcc, v13, v12, vcc
	v_add_co_u32_e32 v3, vcc, s10, v5
	v_addc_co_u32_e32 v7, vcc, v6, v8, vcc
	v_mad_u64_u32 v[5:6], s[10:11], s26, v2, 0
	v_lshlrev_b32_e32 v11, 4, v1
	v_add_co_u32_e32 v8, vcc, v3, v11
	v_mov_b32_e32 v3, v6
	v_mad_u64_u32 v[2:3], s[10:11], s27, v2, v[3:4]
	v_addc_co_u32_e32 v7, vcc, 0, v7, vcc
	v_mov_b32_e32 v6, v2
	v_add_co_u32_e32 v38, vcc, s8, v8
	v_lshlrev_b64 v[2:3], 4, v[5:6]
	v_addc_co_u32_e32 v39, vcc, v13, v7, vcc
	s_lshl_b64 s[8:9], s[36:37], 4
	v_mov_b32_e32 v5, s9
	v_add_co_u32_e32 v6, vcc, s8, v2
	v_addc_co_u32_e32 v7, vcc, v3, v5, vcc
	v_mad_u64_u32 v[2:3], s[10:11], s26, v4, 0
	v_add_co_u32_e32 v6, vcc, v6, v9
	v_mad_u64_u32 v[3:4], s[10:11], s27, v4, v[3:4]
	v_addc_co_u32_e32 v7, vcc, 0, v7, vcc
	v_mov_b32_e32 v8, s7
	v_add_co_u32_e32 v40, vcc, s6, v6
	v_lshlrev_b64 v[2:3], 4, v[2:3]
	v_addc_co_u32_e32 v41, vcc, v8, v7, vcc
	v_add_co_u32_e32 v2, vcc, s8, v2
	v_addc_co_u32_e32 v3, vcc, v3, v5, vcc
	v_add_co_u32_e32 v2, vcc, v2, v11
	v_addc_co_u32_e32 v3, vcc, 0, v3, vcc
	v_lshlrev_b32_e32 v32, 9, v0
	v_or_b32_e32 v34, 0x4000, v11
	v_add_co_u32_e32 v42, vcc, s6, v2
	v_add_u32_e32 v33, v32, v11
	v_add_u32_e32 v35, v34, v32
	v_addc_co_u32_e32 v43, vcc, v8, v3, vcc
	s_mov_b64 s[6:7], 0
	s_mov_b64 s[8:9], 0
	s_branch .LBB1893_4
.LBB1893_3:                             ;   in Loop: Header=BB1893_4 Depth=1
	s_or_b64 exec, exec, s[10:11]
	s_add_u32 s8, s8, 32
	v_mov_b32_e32 v2, s12
	s_addc_u32 s9, s9, 0
	v_mov_b32_e32 v3, s13
	v_cmp_lt_i64_e32 vcc, s[8:9], v[2:3]
	s_add_u32 s6, s6, 0x200
	s_addc_u32 s7, s7, 0
	s_waitcnt vmcnt(0) lgkmcnt(0)
	s_barrier
	s_cbranch_vccz .LBB1893_16
.LBB1893_4:                             ; =>This Inner Loop Header: Depth=1
	v_mov_b32_e32 v3, s9
	v_add_co_u32_e32 v2, vcc, s8, v1
	v_addc_co_u32_e32 v3, vcc, 0, v3, vcc
	v_cmp_gt_i64_e32 vcc, s[12:13], v[2:3]
	v_mov_b32_e32 v2, 0
	v_mov_b32_e32 v4, 0
	;; [unrolled: 1-line block ×6, first 2 shown]
	s_and_b64 s[10:11], s[0:1], vcc
	s_and_saveexec_b64 s[18:19], s[10:11]
	s_cbranch_execz .LBB1893_6
; %bb.5:                                ;   in Loop: Header=BB1893_4 Depth=1
	v_mov_b32_e32 v5, s7
	v_add_co_u32_e32 v4, vcc, s6, v38
	v_addc_co_u32_e32 v5, vcc, v39, v5, vcc
	flat_load_dwordx4 v[4:7], v[4:5]
	s_waitcnt vmcnt(0) lgkmcnt(0)
	v_xor_b32_e32 v7, 0x80000000, v7
.LBB1893_6:                             ;   in Loop: Header=BB1893_4 Depth=1
	s_or_b64 exec, exec, s[18:19]
	ds_write_b128 v33, v[4:7]
	v_mov_b32_e32 v5, s9
	v_add_co_u32_e32 v4, vcc, s8, v0
	v_addc_co_u32_e32 v5, vcc, 0, v5, vcc
	v_cmp_gt_i64_e32 vcc, s[12:13], v[4:5]
	v_mov_b32_e32 v4, 0
	v_mov_b32_e32 v5, 0
	s_and_b64 s[18:19], s[2:3], vcc
	s_and_saveexec_b64 s[20:21], s[18:19]
	s_cbranch_execz .LBB1893_8
; %bb.7:                                ;   in Loop: Header=BB1893_4 Depth=1
	v_mov_b32_e32 v3, s7
	v_add_co_u32_e32 v2, vcc, s6, v40
	v_addc_co_u32_e32 v3, vcc, v41, v3, vcc
	flat_load_dwordx4 v[2:5], v[2:3]
.LBB1893_8:                             ;   in Loop: Header=BB1893_4 Depth=1
	s_or_b64 exec, exec, s[20:21]
	s_waitcnt vmcnt(0) lgkmcnt(0)
	ds_write_b128 v35, v[2:5]
	s_waitcnt lgkmcnt(0)
	s_barrier
	s_and_saveexec_b64 s[20:21], s[4:5]
	s_cbranch_execz .LBB1893_10
; %bb.9:                                ;   in Loop: Header=BB1893_4 Depth=1
	ds_read_b128 v[6:9], v34
	ds_read_b128 v[10:13], v32
	ds_read_b128 v[14:17], v32 offset:16
	ds_read_b128 v[18:21], v32 offset:32
	;; [unrolled: 1-line block ×3, first 2 shown]
	s_waitcnt lgkmcnt(3)
	v_mul_f64 v[22:23], v[8:9], v[12:13]
	v_fma_f64 v[22:23], v[6:7], v[10:11], -v[22:23]
	v_mul_f64 v[6:7], v[6:7], v[12:13]
	v_fma_f64 v[6:7], v[8:9], v[10:11], v[6:7]
	v_add_f64 v[10:11], v[22:23], 0
	v_add_f64 v[12:13], v[6:7], 0
	ds_read_b128 v[6:9], v34 offset:512
	s_waitcnt lgkmcnt(0)
	v_mul_f64 v[22:23], v[8:9], v[16:17]
	v_fma_f64 v[22:23], v[6:7], v[14:15], -v[22:23]
	v_mul_f64 v[6:7], v[6:7], v[16:17]
	v_add_f64 v[10:11], v[10:11], v[22:23]
	v_fma_f64 v[6:7], v[8:9], v[14:15], v[6:7]
	v_add_f64 v[12:13], v[12:13], v[6:7]
	ds_read_b128 v[6:9], v34 offset:1024
	s_waitcnt lgkmcnt(0)
	v_mul_f64 v[14:15], v[8:9], v[20:21]
	v_fma_f64 v[14:15], v[6:7], v[18:19], -v[14:15]
	v_mul_f64 v[6:7], v[6:7], v[20:21]
	v_add_f64 v[10:11], v[10:11], v[14:15]
	v_fma_f64 v[6:7], v[8:9], v[18:19], v[6:7]
	v_add_f64 v[12:13], v[12:13], v[6:7]
	ds_read_b128 v[6:9], v34 offset:1536
	s_waitcnt lgkmcnt(0)
	v_mul_f64 v[14:15], v[8:9], v[4:5]
	v_mul_f64 v[4:5], v[6:7], v[4:5]
	v_fma_f64 v[14:15], v[6:7], v[2:3], -v[14:15]
	v_fma_f64 v[2:3], v[8:9], v[2:3], v[4:5]
	v_add_f64 v[10:11], v[10:11], v[14:15]
	v_add_f64 v[12:13], v[12:13], v[2:3]
	ds_read_b128 v[2:5], v34 offset:2048
	ds_read_b128 v[6:9], v32 offset:64
	s_waitcnt lgkmcnt(0)
	v_mul_f64 v[14:15], v[4:5], v[8:9]
	v_fma_f64 v[14:15], v[2:3], v[6:7], -v[14:15]
	v_mul_f64 v[2:3], v[2:3], v[8:9]
	v_add_f64 v[10:11], v[10:11], v[14:15]
	v_fma_f64 v[2:3], v[4:5], v[6:7], v[2:3]
	v_add_f64 v[12:13], v[12:13], v[2:3]
	ds_read_b128 v[2:5], v34 offset:2560
	ds_read_b128 v[6:9], v32 offset:80
	s_waitcnt lgkmcnt(0)
	v_mul_f64 v[14:15], v[4:5], v[8:9]
	v_fma_f64 v[14:15], v[2:3], v[6:7], -v[14:15]
	v_mul_f64 v[2:3], v[2:3], v[8:9]
	v_add_f64 v[10:11], v[10:11], v[14:15]
	v_fma_f64 v[2:3], v[4:5], v[6:7], v[2:3]
	;; [unrolled: 9-line block ×27, first 2 shown]
	v_add_f64 v[12:13], v[12:13], v[2:3]
	ds_read_b128 v[2:5], v34 offset:15872
	ds_read_b128 v[6:9], v32 offset:496
	s_waitcnt lgkmcnt(0)
	v_mul_f64 v[14:15], v[4:5], v[8:9]
	v_fma_f64 v[14:15], v[2:3], v[6:7], -v[14:15]
	v_mul_f64 v[2:3], v[2:3], v[8:9]
	v_fma_f64 v[2:3], v[4:5], v[6:7], v[2:3]
	v_add_f64 v[4:5], v[10:11], v[14:15]
	v_add_f64 v[2:3], v[12:13], v[2:3]
	v_mul_f64 v[6:7], s[16:17], v[2:3]
	v_mul_f64 v[2:3], s[14:15], v[2:3]
	v_fma_f64 v[6:7], s[14:15], v[4:5], -v[6:7]
	v_fma_f64 v[8:9], s[16:17], v[4:5], v[2:3]
	flat_load_dwordx4 v[2:5], v[30:31]
	s_waitcnt vmcnt(0) lgkmcnt(0)
	v_add_f64 v[2:3], v[2:3], v[6:7]
	v_add_f64 v[4:5], v[4:5], v[8:9]
	flat_store_dwordx4 v[30:31], v[2:5]
.LBB1893_10:                            ;   in Loop: Header=BB1893_4 Depth=1
	s_or_b64 exec, exec, s[20:21]
	v_mov_b32_e32 v4, 0
	v_mov_b32_e32 v8, 0
	;; [unrolled: 1-line block ×6, first 2 shown]
	s_waitcnt vmcnt(0) lgkmcnt(0)
	s_barrier
	s_and_saveexec_b64 s[20:21], s[10:11]
	s_cbranch_execz .LBB1893_12
; %bb.11:                               ;   in Loop: Header=BB1893_4 Depth=1
	v_mov_b32_e32 v3, s7
	v_add_co_u32_e32 v2, vcc, s6, v42
	v_addc_co_u32_e32 v3, vcc, v43, v3, vcc
	flat_load_dwordx4 v[6:9], v[2:3]
	s_waitcnt vmcnt(0) lgkmcnt(0)
	v_xor_b32_e32 v9, 0x80000000, v9
.LBB1893_12:                            ;   in Loop: Header=BB1893_4 Depth=1
	s_or_b64 exec, exec, s[20:21]
	v_mov_b32_e32 v2, 0
	v_mov_b32_e32 v3, 0
	ds_write_b128 v33, v[6:9]
	s_and_saveexec_b64 s[10:11], s[18:19]
	s_cbranch_execz .LBB1893_14
; %bb.13:                               ;   in Loop: Header=BB1893_4 Depth=1
	v_mov_b32_e32 v3, s7
	v_add_co_u32_e32 v2, vcc, s6, v36
	v_addc_co_u32_e32 v3, vcc, v37, v3, vcc
	flat_load_dwordx4 v[2:5], v[2:3]
.LBB1893_14:                            ;   in Loop: Header=BB1893_4 Depth=1
	s_or_b64 exec, exec, s[10:11]
	s_waitcnt vmcnt(0) lgkmcnt(0)
	ds_write_b128 v35, v[2:5]
	s_waitcnt lgkmcnt(0)
	s_barrier
	s_and_saveexec_b64 s[10:11], s[4:5]
	s_cbranch_execz .LBB1893_3
; %bb.15:                               ;   in Loop: Header=BB1893_4 Depth=1
	ds_read_b128 v[2:5], v34
	ds_read_b128 v[6:9], v32
	ds_read_b128 v[10:13], v32 offset:16
	ds_read_b128 v[14:17], v34 offset:512
	;; [unrolled: 1-line block ×3, first 2 shown]
	s_waitcnt lgkmcnt(3)
	v_mul_f64 v[22:23], v[4:5], v[8:9]
	v_mul_f64 v[8:9], v[2:3], v[8:9]
	s_waitcnt lgkmcnt(1)
	v_mul_f64 v[52:53], v[16:17], v[12:13]
	v_mul_f64 v[12:13], v[14:15], v[12:13]
	v_fma_f64 v[2:3], v[2:3], v[6:7], -v[22:23]
	ds_read_b128 v[22:25], v32 offset:32
	ds_read_b128 v[26:29], v32 offset:48
	;; [unrolled: 1-line block ×4, first 2 shown]
	v_fma_f64 v[56:57], v[4:5], v[6:7], v[8:9]
	s_waitcnt lgkmcnt(3)
	v_mul_f64 v[54:55], v[20:21], v[24:25]
	v_fma_f64 v[14:15], v[14:15], v[10:11], -v[52:53]
	v_mul_f64 v[24:25], v[18:19], v[24:25]
	s_waitcnt lgkmcnt(1)
	v_mul_f64 v[58:59], v[46:47], v[28:29]
	v_fma_f64 v[60:61], v[16:17], v[10:11], v[12:13]
	v_add_f64 v[52:53], v[2:3], 0
	ds_read_b128 v[2:5], v34 offset:2048
	ds_read_b128 v[6:9], v34 offset:2560
	v_mul_f64 v[28:29], v[44:45], v[28:29]
	v_fma_f64 v[18:19], v[18:19], v[22:23], -v[54:55]
	v_add_f64 v[54:55], v[56:57], 0
	s_waitcnt lgkmcnt(1)
	v_mul_f64 v[56:57], v[4:5], v[50:51]
	v_fma_f64 v[62:63], v[20:21], v[22:23], v[24:25]
	v_fma_f64 v[44:45], v[44:45], v[26:27], -v[58:59]
	v_add_f64 v[52:53], v[52:53], v[14:15]
	ds_read_b128 v[10:13], v32 offset:80
	ds_read_b128 v[14:17], v32 offset:96
	v_mul_f64 v[50:51], v[2:3], v[50:51]
	v_add_f64 v[54:55], v[54:55], v[60:61]
	s_waitcnt lgkmcnt(1)
	v_mul_f64 v[58:59], v[8:9], v[12:13]
	v_fma_f64 v[60:61], v[46:47], v[26:27], v[28:29]
	v_fma_f64 v[2:3], v[2:3], v[48:49], -v[56:57]
	v_add_f64 v[52:53], v[52:53], v[18:19]
	ds_read_b128 v[18:21], v34 offset:3072
	ds_read_b128 v[22:25], v34 offset:3584
	v_mul_f64 v[12:13], v[6:7], v[12:13]
	;; [unrolled: 9-line block ×7, first 2 shown]
	v_fma_f64 v[50:51], v[50:51], v[6:7], v[8:9]
	v_add_f64 v[54:55], v[54:55], v[60:61]
	s_waitcnt lgkmcnt(1)
	v_mul_f64 v[60:61], v[20:21], v[24:25]
	v_fma_f64 v[56:57], v[14:15], v[10:11], -v[56:57]
	v_mul_f64 v[24:25], v[18:19], v[24:25]
	v_add_f64 v[52:53], v[52:53], v[2:3]
	ds_read_b128 v[2:5], v34 offset:6144
	ds_read_b128 v[44:47], v34 offset:6656
	v_fma_f64 v[10:11], v[16:17], v[10:11], v[58:59]
	ds_read_b128 v[6:9], v32 offset:208
	ds_read_b128 v[12:15], v32 offset:224
	v_add_f64 v[54:55], v[54:55], v[62:63]
	v_fma_f64 v[58:59], v[18:19], v[22:23], -v[60:61]
	s_waitcnt lgkmcnt(1)
	v_mul_f64 v[60:61], v[46:47], v[8:9]
	v_add_f64 v[48:49], v[52:53], v[48:49]
	v_mul_f64 v[52:53], v[4:5], v[28:29]
	v_mul_f64 v[28:29], v[2:3], v[28:29]
	v_fma_f64 v[24:25], v[20:21], v[22:23], v[24:25]
	v_add_f64 v[54:55], v[54:55], v[50:51]
	v_add_f64 v[56:57], v[48:49], v[56:57]
	v_fma_f64 v[2:3], v[2:3], v[26:27], -v[52:53]
	ds_read_b128 v[16:19], v34 offset:7168
	ds_read_b128 v[48:51], v34 offset:7680
	v_fma_f64 v[26:27], v[4:5], v[26:27], v[28:29]
	v_add_f64 v[10:11], v[54:55], v[10:11]
	v_fma_f64 v[28:29], v[44:45], v[6:7], -v[60:61]
	s_waitcnt lgkmcnt(1)
	v_mul_f64 v[62:63], v[18:19], v[14:15]
	ds_read_b128 v[20:23], v32 offset:240
	ds_read_b128 v[52:55], v32 offset:256
	v_add_f64 v[56:57], v[56:57], v[58:59]
	v_mul_f64 v[58:59], v[44:45], v[8:9]
	s_waitcnt lgkmcnt(1)
	v_mul_f64 v[60:61], v[50:51], v[22:23]
	v_add_f64 v[24:25], v[10:11], v[24:25]
	v_mul_f64 v[22:23], v[48:49], v[22:23]
	v_add_f64 v[44:45], v[56:57], v[2:3]
	v_mul_f64 v[56:57], v[16:17], v[14:15]
	v_fma_f64 v[6:7], v[46:47], v[6:7], v[58:59]
	v_fma_f64 v[46:47], v[16:17], v[12:13], -v[62:63]
	v_add_f64 v[58:59], v[24:25], v[26:27]
	ds_read_b128 v[2:5], v34 offset:8192
	ds_read_b128 v[8:11], v34 offset:8704
	;; [unrolled: 1-line block ×4, first 2 shown]
	v_fma_f64 v[22:23], v[50:51], v[20:21], v[22:23]
	v_add_f64 v[28:29], v[44:45], v[28:29]
	s_waitcnt lgkmcnt(3)
	v_mul_f64 v[62:63], v[4:5], v[54:55]
	v_fma_f64 v[12:13], v[18:19], v[12:13], v[56:57]
	v_fma_f64 v[18:19], v[48:49], v[20:21], -v[60:61]
	v_add_f64 v[6:7], v[58:59], v[6:7]
	v_mul_f64 v[54:55], v[2:3], v[54:55]
	s_waitcnt lgkmcnt(1)
	v_mul_f64 v[60:61], v[10:11], v[16:17]
	v_mul_f64 v[16:17], v[8:9], v[16:17]
	v_add_f64 v[28:29], v[28:29], v[46:47]
	v_fma_f64 v[2:3], v[2:3], v[52:53], -v[62:63]
	ds_read_b128 v[44:47], v34 offset:9216
	ds_read_b128 v[56:59], v34 offset:9728
	v_add_f64 v[6:7], v[6:7], v[12:13]
	v_fma_f64 v[62:63], v[4:5], v[52:53], v[54:55]
	v_fma_f64 v[8:9], v[8:9], v[14:15], -v[60:61]
	v_fma_f64 v[10:11], v[10:11], v[14:15], v[16:17]
	v_add_f64 v[12:13], v[28:29], v[18:19]
	s_waitcnt lgkmcnt(1)
	v_mul_f64 v[28:29], v[46:47], v[26:27]
	ds_read_b128 v[18:21], v32 offset:304
	ds_read_b128 v[48:51], v32 offset:320
	v_add_f64 v[22:23], v[6:7], v[22:23]
	ds_read_b128 v[4:7], v34 offset:10240
	ds_read_b128 v[52:55], v34 offset:10752
	s_waitcnt lgkmcnt(3)
	v_mul_f64 v[60:61], v[58:59], v[20:21]
	v_add_f64 v[2:3], v[12:13], v[2:3]
	v_mul_f64 v[12:13], v[44:45], v[26:27]
	v_fma_f64 v[44:45], v[44:45], v[24:25], -v[28:29]
	ds_read_b128 v[14:17], v32 offset:336
	ds_read_b128 v[26:29], v32 offset:352
	v_add_f64 v[22:23], v[22:23], v[62:63]
	s_waitcnt lgkmcnt(3)
	v_mul_f64 v[62:63], v[6:7], v[50:51]
	v_mul_f64 v[50:51], v[4:5], v[50:51]
	v_add_f64 v[2:3], v[2:3], v[8:9]
	v_mul_f64 v[8:9], v[56:57], v[20:21]
	v_fma_f64 v[12:13], v[46:47], v[24:25], v[12:13]
	v_fma_f64 v[24:25], v[56:57], v[18:19], -v[60:61]
	v_add_f64 v[10:11], v[22:23], v[10:11]
	s_waitcnt lgkmcnt(1)
	v_mul_f64 v[60:61], v[54:55], v[16:17]
	v_mul_f64 v[16:17], v[52:53], v[16:17]
	v_add_f64 v[2:3], v[2:3], v[44:45]
	v_fma_f64 v[8:9], v[58:59], v[18:19], v[8:9]
	v_fma_f64 v[18:19], v[4:5], v[48:49], -v[62:63]
	ds_read_b128 v[20:23], v34 offset:11264
	ds_read_b128 v[44:47], v34 offset:11776
	v_add_f64 v[10:11], v[10:11], v[12:13]
	v_fma_f64 v[48:49], v[6:7], v[48:49], v[50:51]
	v_fma_f64 v[50:51], v[52:53], v[14:15], -v[60:61]
	v_fma_f64 v[54:55], v[54:55], v[14:15], v[16:17]
	v_add_f64 v[12:13], v[2:3], v[24:25]
	s_waitcnt lgkmcnt(1)
	v_mul_f64 v[24:25], v[22:23], v[28:29]
	ds_read_b128 v[56:59], v32 offset:368
	ds_read_b128 v[2:5], v32 offset:384
	v_mul_f64 v[28:29], v[20:21], v[28:29]
	v_add_f64 v[52:53], v[10:11], v[8:9]
	s_waitcnt lgkmcnt(1)
	v_mul_f64 v[60:61], v[46:47], v[58:59]
	v_add_f64 v[18:19], v[12:13], v[18:19]
	v_fma_f64 v[24:25], v[20:21], v[26:27], -v[24:25]
	ds_read_b128 v[6:9], v34 offset:12288
	ds_read_b128 v[10:13], v34 offset:12800
	v_fma_f64 v[62:63], v[22:23], v[26:27], v[28:29]
	v_add_f64 v[48:49], v[52:53], v[48:49]
	v_mul_f64 v[52:53], v[44:45], v[58:59]
	s_waitcnt lgkmcnt(1)
	v_mul_f64 v[58:59], v[8:9], v[4:5]
	v_fma_f64 v[44:45], v[44:45], v[56:57], -v[60:61]
	v_add_f64 v[50:51], v[18:19], v[50:51]
	ds_read_b128 v[14:17], v32 offset:400
	ds_read_b128 v[18:21], v32 offset:416
	v_add_f64 v[48:49], v[48:49], v[54:55]
	v_mul_f64 v[54:55], v[6:7], v[4:5]
	s_waitcnt lgkmcnt(1)
	v_mul_f64 v[60:61], v[12:13], v[16:17]
	v_fma_f64 v[52:53], v[46:47], v[56:57], v[52:53]
	v_add_f64 v[50:51], v[50:51], v[24:25]
	v_fma_f64 v[56:57], v[6:7], v[2:3], -v[58:59]
	ds_read_b128 v[26:29], v34 offset:13312
	ds_read_b128 v[22:25], v34 offset:13824
	v_mul_f64 v[16:17], v[10:11], v[16:17]
	v_add_f64 v[48:49], v[48:49], v[62:63]
	v_fma_f64 v[2:3], v[8:9], v[2:3], v[54:55]
	s_waitcnt lgkmcnt(1)
	v_mul_f64 v[58:59], v[28:29], v[20:21]
	v_fma_f64 v[54:55], v[10:11], v[14:15], -v[60:61]
	v_add_f64 v[50:51], v[50:51], v[44:45]
	flat_load_dwordx4 v[44:47], v[30:31]
	ds_read_b128 v[4:7], v32 offset:432
	v_mul_f64 v[20:21], v[26:27], v[20:21]
	v_add_f64 v[52:53], v[48:49], v[52:53]
	v_fma_f64 v[16:17], v[12:13], v[14:15], v[16:17]
	v_fma_f64 v[26:27], v[26:27], v[18:19], -v[58:59]
	s_waitcnt lgkmcnt(0)
	v_mul_f64 v[60:61], v[24:25], v[6:7]
	v_add_f64 v[56:57], v[50:51], v[56:57]
	ds_read_b128 v[8:11], v34 offset:14336
	ds_read_b128 v[48:51], v32 offset:448
	v_mul_f64 v[6:7], v[22:23], v[6:7]
	v_fma_f64 v[28:29], v[28:29], v[18:19], v[20:21]
	v_add_f64 v[2:3], v[52:53], v[2:3]
	s_waitcnt lgkmcnt(0)
	v_mul_f64 v[58:59], v[10:11], v[50:51]
	v_fma_f64 v[60:61], v[22:23], v[4:5], -v[60:61]
	v_add_f64 v[56:57], v[56:57], v[54:55]
	ds_read_b128 v[12:15], v34 offset:14848
	ds_read_b128 v[52:55], v32 offset:464
	v_mul_f64 v[50:51], v[8:9], v[50:51]
	v_fma_f64 v[24:25], v[24:25], v[4:5], v[6:7]
	v_add_f64 v[2:3], v[2:3], v[16:17]
	ds_read_b128 v[16:19], v34 offset:15360
	ds_read_b128 v[20:23], v32 offset:480
	v_fma_f64 v[58:59], v[8:9], v[48:49], -v[58:59]
	v_add_f64 v[26:27], v[56:57], v[26:27]
	s_waitcnt lgkmcnt(0)
	v_mul_f64 v[56:57], v[14:15], v[54:55]
	v_mul_f64 v[54:55], v[12:13], v[54:55]
	v_fma_f64 v[10:11], v[10:11], v[48:49], v[50:51]
	v_add_f64 v[28:29], v[2:3], v[28:29]
	ds_read_b128 v[2:5], v34 offset:15872
	ds_read_b128 v[6:9], v32 offset:496
	v_add_f64 v[26:27], v[26:27], v[60:61]
	v_mul_f64 v[60:61], v[18:19], v[22:23]
	v_fma_f64 v[12:13], v[12:13], v[52:53], -v[56:57]
	v_mul_f64 v[22:23], v[16:17], v[22:23]
	v_add_f64 v[24:25], v[28:29], v[24:25]
	s_waitcnt lgkmcnt(0)
	v_mul_f64 v[28:29], v[4:5], v[8:9]
	v_fma_f64 v[14:15], v[14:15], v[52:53], v[54:55]
	v_mul_f64 v[8:9], v[2:3], v[8:9]
	v_add_f64 v[26:27], v[26:27], v[58:59]
	v_fma_f64 v[16:17], v[16:17], v[20:21], -v[60:61]
	v_fma_f64 v[18:19], v[18:19], v[20:21], v[22:23]
	v_add_f64 v[10:11], v[24:25], v[10:11]
	v_fma_f64 v[2:3], v[2:3], v[6:7], -v[28:29]
	v_fma_f64 v[4:5], v[4:5], v[6:7], v[8:9]
	v_add_f64 v[12:13], v[26:27], v[12:13]
	v_add_f64 v[10:11], v[10:11], v[14:15]
	;; [unrolled: 1-line block ×6, first 2 shown]
	v_mul_f64 v[6:7], s[14:15], v[2:3]
	v_mul_f64 v[2:3], s[16:17], v[2:3]
	v_fma_f64 v[6:7], s[16:17], v[4:5], v[6:7]
	v_fma_f64 v[4:5], s[14:15], v[4:5], -v[2:3]
	s_waitcnt vmcnt(0)
	v_add_f64 v[2:3], v[44:45], v[6:7]
	v_add_f64 v[4:5], v[46:47], v[4:5]
	flat_store_dwordx4 v[30:31], v[2:5]
	s_branch .LBB1893_3
.LBB1893_16:
	s_endpgm
	.section	.rodata,"a",@progbits
	.p2align	6, 0x0
	.amdhsa_kernel _ZL26rocblas_syr2k_her2k_kernelIlLb1ELb1ELb1ELi32E19rocblas_complex_numIdEPKPKS1_PKPS1_EvbiT_T4_T5_S9_lSB_S9_lT6_S9_li
		.amdhsa_group_segment_fixed_size 32768
		.amdhsa_private_segment_fixed_size 0
		.amdhsa_kernarg_size 108
		.amdhsa_user_sgpr_count 6
		.amdhsa_user_sgpr_private_segment_buffer 1
		.amdhsa_user_sgpr_dispatch_ptr 0
		.amdhsa_user_sgpr_queue_ptr 0
		.amdhsa_user_sgpr_kernarg_segment_ptr 1
		.amdhsa_user_sgpr_dispatch_id 0
		.amdhsa_user_sgpr_flat_scratch_init 0
		.amdhsa_user_sgpr_private_segment_size 0
		.amdhsa_uses_dynamic_stack 0
		.amdhsa_system_sgpr_private_segment_wavefront_offset 0
		.amdhsa_system_sgpr_workgroup_id_x 1
		.amdhsa_system_sgpr_workgroup_id_y 1
		.amdhsa_system_sgpr_workgroup_id_z 1
		.amdhsa_system_sgpr_workgroup_info 0
		.amdhsa_system_vgpr_workitem_id 1
		.amdhsa_next_free_vgpr 64
		.amdhsa_next_free_sgpr 61
		.amdhsa_reserve_vcc 1
		.amdhsa_reserve_flat_scratch 0
		.amdhsa_float_round_mode_32 0
		.amdhsa_float_round_mode_16_64 0
		.amdhsa_float_denorm_mode_32 3
		.amdhsa_float_denorm_mode_16_64 3
		.amdhsa_dx10_clamp 1
		.amdhsa_ieee_mode 1
		.amdhsa_fp16_overflow 0
		.amdhsa_exception_fp_ieee_invalid_op 0
		.amdhsa_exception_fp_denorm_src 0
		.amdhsa_exception_fp_ieee_div_zero 0
		.amdhsa_exception_fp_ieee_overflow 0
		.amdhsa_exception_fp_ieee_underflow 0
		.amdhsa_exception_fp_ieee_inexact 0
		.amdhsa_exception_int_div_zero 0
	.end_amdhsa_kernel
	.section	.text._ZL26rocblas_syr2k_her2k_kernelIlLb1ELb1ELb1ELi32E19rocblas_complex_numIdEPKPKS1_PKPS1_EvbiT_T4_T5_S9_lSB_S9_lT6_S9_li,"axG",@progbits,_ZL26rocblas_syr2k_her2k_kernelIlLb1ELb1ELb1ELi32E19rocblas_complex_numIdEPKPKS1_PKPS1_EvbiT_T4_T5_S9_lSB_S9_lT6_S9_li,comdat
.Lfunc_end1893:
	.size	_ZL26rocblas_syr2k_her2k_kernelIlLb1ELb1ELb1ELi32E19rocblas_complex_numIdEPKPKS1_PKPS1_EvbiT_T4_T5_S9_lSB_S9_lT6_S9_li, .Lfunc_end1893-_ZL26rocblas_syr2k_her2k_kernelIlLb1ELb1ELb1ELi32E19rocblas_complex_numIdEPKPKS1_PKPS1_EvbiT_T4_T5_S9_lSB_S9_lT6_S9_li
                                        ; -- End function
	.set _ZL26rocblas_syr2k_her2k_kernelIlLb1ELb1ELb1ELi32E19rocblas_complex_numIdEPKPKS1_PKPS1_EvbiT_T4_T5_S9_lSB_S9_lT6_S9_li.num_vgpr, 64
	.set _ZL26rocblas_syr2k_her2k_kernelIlLb1ELb1ELb1ELi32E19rocblas_complex_numIdEPKPKS1_PKPS1_EvbiT_T4_T5_S9_lSB_S9_lT6_S9_li.num_agpr, 0
	.set _ZL26rocblas_syr2k_her2k_kernelIlLb1ELb1ELb1ELi32E19rocblas_complex_numIdEPKPKS1_PKPS1_EvbiT_T4_T5_S9_lSB_S9_lT6_S9_li.numbered_sgpr, 44
	.set _ZL26rocblas_syr2k_her2k_kernelIlLb1ELb1ELb1ELi32E19rocblas_complex_numIdEPKPKS1_PKPS1_EvbiT_T4_T5_S9_lSB_S9_lT6_S9_li.num_named_barrier, 0
	.set _ZL26rocblas_syr2k_her2k_kernelIlLb1ELb1ELb1ELi32E19rocblas_complex_numIdEPKPKS1_PKPS1_EvbiT_T4_T5_S9_lSB_S9_lT6_S9_li.private_seg_size, 0
	.set _ZL26rocblas_syr2k_her2k_kernelIlLb1ELb1ELb1ELi32E19rocblas_complex_numIdEPKPKS1_PKPS1_EvbiT_T4_T5_S9_lSB_S9_lT6_S9_li.uses_vcc, 1
	.set _ZL26rocblas_syr2k_her2k_kernelIlLb1ELb1ELb1ELi32E19rocblas_complex_numIdEPKPKS1_PKPS1_EvbiT_T4_T5_S9_lSB_S9_lT6_S9_li.uses_flat_scratch, 0
	.set _ZL26rocblas_syr2k_her2k_kernelIlLb1ELb1ELb1ELi32E19rocblas_complex_numIdEPKPKS1_PKPS1_EvbiT_T4_T5_S9_lSB_S9_lT6_S9_li.has_dyn_sized_stack, 0
	.set _ZL26rocblas_syr2k_her2k_kernelIlLb1ELb1ELb1ELi32E19rocblas_complex_numIdEPKPKS1_PKPS1_EvbiT_T4_T5_S9_lSB_S9_lT6_S9_li.has_recursion, 0
	.set _ZL26rocblas_syr2k_her2k_kernelIlLb1ELb1ELb1ELi32E19rocblas_complex_numIdEPKPKS1_PKPS1_EvbiT_T4_T5_S9_lSB_S9_lT6_S9_li.has_indirect_call, 0
	.section	.AMDGPU.csdata,"",@progbits
; Kernel info:
; codeLenInByte = 5496
; TotalNumSgprs: 48
; NumVgprs: 64
; ScratchSize: 0
; MemoryBound: 1
; FloatMode: 240
; IeeeMode: 1
; LDSByteSize: 32768 bytes/workgroup (compile time only)
; SGPRBlocks: 8
; VGPRBlocks: 15
; NumSGPRsForWavesPerEU: 65
; NumVGPRsForWavesPerEU: 64
; Occupancy: 4
; WaveLimiterHint : 1
; COMPUTE_PGM_RSRC2:SCRATCH_EN: 0
; COMPUTE_PGM_RSRC2:USER_SGPR: 6
; COMPUTE_PGM_RSRC2:TRAP_HANDLER: 0
; COMPUTE_PGM_RSRC2:TGID_X_EN: 1
; COMPUTE_PGM_RSRC2:TGID_Y_EN: 1
; COMPUTE_PGM_RSRC2:TGID_Z_EN: 1
; COMPUTE_PGM_RSRC2:TIDIG_COMP_CNT: 1
	.section	.text._ZL26rocblas_syr2k_her2k_kernelIlLb1ELb1ELb0ELi32EPK19rocblas_complex_numIdEPKS3_PKPS1_EvbiT_T4_T5_S9_lSB_S9_lT6_S9_li,"axG",@progbits,_ZL26rocblas_syr2k_her2k_kernelIlLb1ELb1ELb0ELi32EPK19rocblas_complex_numIdEPKS3_PKPS1_EvbiT_T4_T5_S9_lSB_S9_lT6_S9_li,comdat
	.globl	_ZL26rocblas_syr2k_her2k_kernelIlLb1ELb1ELb0ELi32EPK19rocblas_complex_numIdEPKS3_PKPS1_EvbiT_T4_T5_S9_lSB_S9_lT6_S9_li ; -- Begin function _ZL26rocblas_syr2k_her2k_kernelIlLb1ELb1ELb0ELi32EPK19rocblas_complex_numIdEPKS3_PKPS1_EvbiT_T4_T5_S9_lSB_S9_lT6_S9_li
	.p2align	8
	.type	_ZL26rocblas_syr2k_her2k_kernelIlLb1ELb1ELb0ELi32EPK19rocblas_complex_numIdEPKS3_PKPS1_EvbiT_T4_T5_S9_lSB_S9_lT6_S9_li,@function
_ZL26rocblas_syr2k_her2k_kernelIlLb1ELb1ELb0ELi32EPK19rocblas_complex_numIdEPKS3_PKPS1_EvbiT_T4_T5_S9_lSB_S9_lT6_S9_li: ; @_ZL26rocblas_syr2k_her2k_kernelIlLb1ELb1ELb0ELi32EPK19rocblas_complex_numIdEPKS3_PKPS1_EvbiT_T4_T5_S9_lSB_S9_lT6_S9_li
; %bb.0:
	s_load_dwordx16 s[12:27], s[4:5], 0x8
	s_waitcnt lgkmcnt(0)
	s_load_dwordx4 s[28:31], s[14:15], 0x0
	s_waitcnt lgkmcnt(0)
	v_cmp_eq_f64_e64 s[0:1], s[28:29], 0
	v_cmp_eq_f64_e64 s[2:3], s[30:31], 0
	s_and_b64 s[0:1], s[0:1], s[2:3]
	s_and_b64 vcc, exec, s[0:1]
	s_cbranch_vccnz .LBB1894_16
; %bb.1:
	s_load_dwordx2 s[10:11], s[4:5], 0x0
	s_lshl_b32 s2, s7, 5
	s_lshl_b32 s3, s6, 5
	s_waitcnt lgkmcnt(0)
	s_and_b32 s0, 1, s10
	s_cmp_eq_u32 s0, 1
	s_cselect_b64 s[0:1], -1, 0
	s_and_b64 s[6:7], s[0:1], exec
	s_cselect_b32 s6, s3, s2
	s_cselect_b32 s7, s2, s3
	s_cmp_gt_i32 s6, s7
	v_cmp_lt_i64_e64 s[6:7], s[12:13], 1
	s_cselect_b64 s[14:15], -1, 0
	s_or_b64 s[6:7], s[14:15], s[6:7]
	s_and_b64 vcc, exec, s[6:7]
	s_cbranch_vccnz .LBB1894_16
; %bb.2:
	s_mov_b32 s9, 0
	s_load_dwordx4 s[36:39], s[4:5], 0x48
	s_load_dwordx2 s[6:7], s[4:5], 0x58
	s_lshl_b64 s[4:5], s[8:9], 3
	s_add_u32 s8, s16, s4
	s_addc_u32 s9, s17, s5
	s_add_u32 s14, s22, s4
	s_addc_u32 s15, s23, s5
	s_waitcnt lgkmcnt(0)
	s_add_u32 s4, s36, s4
	s_addc_u32 s5, s37, s5
	s_load_dwordx2 s[16:17], s[4:5], 0x0
	s_load_dwordx2 s[34:35], s[8:9], 0x0
	;; [unrolled: 1-line block ×3, first 2 shown]
	s_lshl_b64 s[4:5], s[6:7], 4
	v_add_u32_e32 v2, s2, v1
	s_waitcnt lgkmcnt(0)
	s_add_u32 s8, s16, s4
	s_addc_u32 s6, s17, s5
	s_lshl_b64 s[4:5], s[26:27], 4
	s_add_u32 s22, s22, s4
	s_addc_u32 s23, s23, s5
	s_lshl_b64 s[4:5], s[20:21], 4
	v_lshlrev_b32_e32 v32, 9, v0
	v_lshlrev_b32_e32 v6, 4, v1
	s_add_u32 s20, s34, s4
	v_add_u32_e32 v33, v32, v6
	v_or_b32_e32 v34, 0x4000, v6
	v_ashrrev_i32_e32 v6, 31, v2
	s_addc_u32 s21, s35, s5
	v_mul_lo_u32 v11, s38, v6
	v_mul_lo_u32 v12, s39, v2
	v_mad_u64_u32 v[6:7], s[4:5], s38, v2, 0
	v_add_u32_e32 v4, s3, v0
	v_max_i32_e32 v10, v4, v2
	v_cmp_gt_i32_e32 vcc, s11, v10
	v_add3_u32 v7, v7, v11, v12
	v_mov_b32_e32 v12, s6
	v_mad_u64_u32 v[10:11], s[6:7], s18, v0, 0
	v_cndmask_b32_e64 v8, v4, v2, s[0:1]
	v_cndmask_b32_e64 v9, v2, v4, s[0:1]
	v_lshlrev_b64 v[6:7], 4, v[6:7]
	v_cmp_le_i32_e64 s[4:5], v9, v8
	s_and_b64 s[4:5], s[4:5], vcc
	v_ashrrev_i32_e32 v9, 31, v4
	v_mov_b32_e32 v8, v4
	v_add_co_u32_e32 v13, vcc, s8, v6
	v_addc_co_u32_e32 v12, vcc, v12, v7, vcc
	v_lshlrev_b64 v[6:7], 4, v[8:9]
	v_mov_b32_e32 v8, v11
	v_mad_u64_u32 v[8:9], s[6:7], s19, v0, v[8:9]
	v_mov_b32_e32 v5, 0
	s_ashr_i32 s3, s11, 31
	v_mov_b32_e32 v11, v8
	v_mad_u64_u32 v[8:9], s[6:7], s18, v1, 0
	s_mov_b32 s2, s11
	v_mov_b32_e32 v3, v5
	v_add_co_u32_e32 v30, vcc, v13, v6
	v_cmp_gt_i64_e64 s[0:1], s[2:3], v[4:5]
	v_cmp_gt_i64_e64 s[2:3], s[2:3], v[2:3]
	v_addc_co_u32_e32 v31, vcc, v12, v7, vcc
	v_lshlrev_b64 v[6:7], 4, v[10:11]
	v_lshlrev_b64 v[2:3], 4, v[2:3]
	v_mad_u64_u32 v[10:11], s[8:9], s24, v0, 0
	v_add_co_u32_e32 v36, vcc, v6, v2
	v_mov_b32_e32 v6, v9
	v_addc_co_u32_e32 v37, vcc, v7, v3, vcc
	v_mad_u64_u32 v[6:7], s[6:7], s19, v1, v[6:7]
	v_mad_u64_u32 v[12:13], s[8:9], s24, v1, 0
	v_mov_b32_e32 v9, v6
	v_lshlrev_b64 v[6:7], 4, v[8:9]
	v_mov_b32_e32 v8, v11
	v_mad_u64_u32 v[8:9], s[8:9], s25, v0, v[8:9]
	v_lshlrev_b64 v[4:5], 4, v[4:5]
	v_add_u32_e32 v35, v34, v32
	v_mov_b32_e32 v11, v8
	v_mov_b32_e32 v8, v13
	v_mad_u64_u32 v[8:9], s[8:9], s25, v1, v[8:9]
	v_add_co_u32_e32 v38, vcc, v6, v4
	v_addc_co_u32_e32 v39, vcc, v7, v5, vcc
	v_lshlrev_b64 v[6:7], 4, v[10:11]
	v_mov_b32_e32 v13, v8
	v_add_co_u32_e32 v40, vcc, v6, v2
	v_addc_co_u32_e32 v41, vcc, v7, v3, vcc
	v_lshlrev_b64 v[2:3], 4, v[12:13]
	s_lshl_b64 s[6:7], s[18:19], 9
	v_add_co_u32_e32 v42, vcc, v2, v4
	s_lshl_b64 s[8:9], s[24:25], 9
	v_addc_co_u32_e32 v43, vcc, v3, v5, vcc
	s_mov_b64 s[10:11], 0
	s_branch .LBB1894_4
.LBB1894_3:                             ;   in Loop: Header=BB1894_4 Depth=1
	s_or_b64 exec, exec, s[14:15]
	s_add_u32 s10, s10, 32
	s_addc_u32 s11, s11, 0
	v_mov_b32_e32 v2, s12
	s_add_u32 s20, s20, s6
	v_mov_b32_e32 v3, s13
	s_addc_u32 s21, s21, s7
	v_cmp_lt_i64_e32 vcc, s[10:11], v[2:3]
	s_add_u32 s22, s22, s8
	s_addc_u32 s23, s23, s9
	s_waitcnt vmcnt(0) lgkmcnt(0)
	s_barrier
	s_cbranch_vccz .LBB1894_16
.LBB1894_4:                             ; =>This Inner Loop Header: Depth=1
	v_mov_b32_e32 v3, s11
	v_add_co_u32_e32 v2, vcc, s10, v1
	v_addc_co_u32_e32 v3, vcc, 0, v3, vcc
	v_cmp_gt_i64_e32 vcc, s[12:13], v[2:3]
	v_mov_b32_e32 v2, 0
	v_mov_b32_e32 v4, 0
	;; [unrolled: 1-line block ×6, first 2 shown]
	s_and_b64 s[14:15], s[0:1], vcc
	s_and_saveexec_b64 s[16:17], s[14:15]
	s_cbranch_execz .LBB1894_6
; %bb.5:                                ;   in Loop: Header=BB1894_4 Depth=1
	v_mov_b32_e32 v5, s21
	v_add_co_u32_e32 v4, vcc, s20, v38
	v_addc_co_u32_e32 v5, vcc, v5, v39, vcc
	flat_load_dwordx4 v[4:7], v[4:5]
.LBB1894_6:                             ;   in Loop: Header=BB1894_4 Depth=1
	s_or_b64 exec, exec, s[16:17]
	s_waitcnt vmcnt(0) lgkmcnt(0)
	ds_write_b128 v33, v[4:7]
	v_mov_b32_e32 v5, s11
	v_add_co_u32_e32 v4, vcc, s10, v0
	v_addc_co_u32_e32 v5, vcc, 0, v5, vcc
	v_cmp_gt_i64_e32 vcc, s[12:13], v[4:5]
	v_mov_b32_e32 v4, 0
	v_mov_b32_e32 v5, 0
	s_and_b64 s[16:17], s[2:3], vcc
	s_and_saveexec_b64 s[18:19], s[16:17]
	s_cbranch_execz .LBB1894_8
; %bb.7:                                ;   in Loop: Header=BB1894_4 Depth=1
	v_mov_b32_e32 v3, s23
	v_add_co_u32_e32 v2, vcc, s22, v40
	v_addc_co_u32_e32 v3, vcc, v3, v41, vcc
	flat_load_dwordx4 v[2:5], v[2:3]
	s_waitcnt vmcnt(0) lgkmcnt(0)
	v_xor_b32_e32 v5, 0x80000000, v5
.LBB1894_8:                             ;   in Loop: Header=BB1894_4 Depth=1
	s_or_b64 exec, exec, s[18:19]
	ds_write_b128 v35, v[2:5]
	s_waitcnt lgkmcnt(0)
	s_barrier
	s_and_saveexec_b64 s[18:19], s[4:5]
	s_cbranch_execz .LBB1894_10
; %bb.9:                                ;   in Loop: Header=BB1894_4 Depth=1
	ds_read_b128 v[6:9], v34
	ds_read_b128 v[10:13], v32
	ds_read_b128 v[14:17], v32 offset:16
	ds_read_b128 v[18:21], v32 offset:32
	;; [unrolled: 1-line block ×3, first 2 shown]
	s_waitcnt lgkmcnt(3)
	v_mul_f64 v[22:23], v[8:9], v[12:13]
	v_fma_f64 v[22:23], v[6:7], v[10:11], -v[22:23]
	v_mul_f64 v[6:7], v[6:7], v[12:13]
	v_fma_f64 v[6:7], v[8:9], v[10:11], v[6:7]
	v_add_f64 v[10:11], v[22:23], 0
	v_add_f64 v[12:13], v[6:7], 0
	ds_read_b128 v[6:9], v34 offset:512
	s_waitcnt lgkmcnt(0)
	v_mul_f64 v[22:23], v[8:9], v[16:17]
	v_fma_f64 v[22:23], v[6:7], v[14:15], -v[22:23]
	v_mul_f64 v[6:7], v[6:7], v[16:17]
	v_add_f64 v[10:11], v[10:11], v[22:23]
	v_fma_f64 v[6:7], v[8:9], v[14:15], v[6:7]
	v_add_f64 v[12:13], v[12:13], v[6:7]
	ds_read_b128 v[6:9], v34 offset:1024
	s_waitcnt lgkmcnt(0)
	v_mul_f64 v[14:15], v[8:9], v[20:21]
	v_fma_f64 v[14:15], v[6:7], v[18:19], -v[14:15]
	v_mul_f64 v[6:7], v[6:7], v[20:21]
	v_add_f64 v[10:11], v[10:11], v[14:15]
	v_fma_f64 v[6:7], v[8:9], v[18:19], v[6:7]
	v_add_f64 v[12:13], v[12:13], v[6:7]
	ds_read_b128 v[6:9], v34 offset:1536
	s_waitcnt lgkmcnt(0)
	v_mul_f64 v[14:15], v[8:9], v[4:5]
	v_mul_f64 v[4:5], v[6:7], v[4:5]
	v_fma_f64 v[14:15], v[6:7], v[2:3], -v[14:15]
	v_fma_f64 v[2:3], v[8:9], v[2:3], v[4:5]
	v_add_f64 v[10:11], v[10:11], v[14:15]
	v_add_f64 v[12:13], v[12:13], v[2:3]
	ds_read_b128 v[2:5], v34 offset:2048
	ds_read_b128 v[6:9], v32 offset:64
	s_waitcnt lgkmcnt(0)
	v_mul_f64 v[14:15], v[4:5], v[8:9]
	v_fma_f64 v[14:15], v[2:3], v[6:7], -v[14:15]
	v_mul_f64 v[2:3], v[2:3], v[8:9]
	v_add_f64 v[10:11], v[10:11], v[14:15]
	v_fma_f64 v[2:3], v[4:5], v[6:7], v[2:3]
	v_add_f64 v[12:13], v[12:13], v[2:3]
	ds_read_b128 v[2:5], v34 offset:2560
	ds_read_b128 v[6:9], v32 offset:80
	s_waitcnt lgkmcnt(0)
	v_mul_f64 v[14:15], v[4:5], v[8:9]
	v_fma_f64 v[14:15], v[2:3], v[6:7], -v[14:15]
	v_mul_f64 v[2:3], v[2:3], v[8:9]
	v_add_f64 v[10:11], v[10:11], v[14:15]
	v_fma_f64 v[2:3], v[4:5], v[6:7], v[2:3]
	;; [unrolled: 9-line block ×27, first 2 shown]
	v_add_f64 v[12:13], v[12:13], v[2:3]
	ds_read_b128 v[2:5], v34 offset:15872
	ds_read_b128 v[6:9], v32 offset:496
	s_waitcnt lgkmcnt(0)
	v_mul_f64 v[14:15], v[4:5], v[8:9]
	v_fma_f64 v[14:15], v[2:3], v[6:7], -v[14:15]
	v_mul_f64 v[2:3], v[2:3], v[8:9]
	v_fma_f64 v[2:3], v[4:5], v[6:7], v[2:3]
	v_add_f64 v[4:5], v[10:11], v[14:15]
	v_add_f64 v[2:3], v[12:13], v[2:3]
	v_mul_f64 v[6:7], s[30:31], v[2:3]
	v_mul_f64 v[2:3], s[28:29], v[2:3]
	v_fma_f64 v[6:7], s[28:29], v[4:5], -v[6:7]
	v_fma_f64 v[8:9], s[30:31], v[4:5], v[2:3]
	flat_load_dwordx4 v[2:5], v[30:31]
	s_waitcnt vmcnt(0) lgkmcnt(0)
	v_add_f64 v[2:3], v[2:3], v[6:7]
	v_add_f64 v[4:5], v[4:5], v[8:9]
	flat_store_dwordx4 v[30:31], v[2:5]
.LBB1894_10:                            ;   in Loop: Header=BB1894_4 Depth=1
	s_or_b64 exec, exec, s[18:19]
	v_mov_b32_e32 v4, 0
	v_mov_b32_e32 v8, 0
	;; [unrolled: 1-line block ×6, first 2 shown]
	s_waitcnt vmcnt(0) lgkmcnt(0)
	s_barrier
	s_and_saveexec_b64 s[18:19], s[14:15]
	s_cbranch_execz .LBB1894_12
; %bb.11:                               ;   in Loop: Header=BB1894_4 Depth=1
	v_mov_b32_e32 v3, s23
	v_add_co_u32_e32 v2, vcc, s22, v42
	v_addc_co_u32_e32 v3, vcc, v3, v43, vcc
	flat_load_dwordx4 v[6:9], v[2:3]
.LBB1894_12:                            ;   in Loop: Header=BB1894_4 Depth=1
	s_or_b64 exec, exec, s[18:19]
	v_mov_b32_e32 v2, 0
	v_mov_b32_e32 v3, 0
	s_waitcnt vmcnt(0) lgkmcnt(0)
	ds_write_b128 v33, v[6:9]
	s_and_saveexec_b64 s[14:15], s[16:17]
	s_cbranch_execz .LBB1894_14
; %bb.13:                               ;   in Loop: Header=BB1894_4 Depth=1
	v_mov_b32_e32 v3, s21
	v_add_co_u32_e32 v2, vcc, s20, v36
	v_addc_co_u32_e32 v3, vcc, v3, v37, vcc
	flat_load_dwordx4 v[2:5], v[2:3]
	s_waitcnt vmcnt(0) lgkmcnt(0)
	v_xor_b32_e32 v5, 0x80000000, v5
.LBB1894_14:                            ;   in Loop: Header=BB1894_4 Depth=1
	s_or_b64 exec, exec, s[14:15]
	ds_write_b128 v35, v[2:5]
	s_waitcnt lgkmcnt(0)
	s_barrier
	s_and_saveexec_b64 s[14:15], s[4:5]
	s_cbranch_execz .LBB1894_3
; %bb.15:                               ;   in Loop: Header=BB1894_4 Depth=1
	ds_read_b128 v[2:5], v34
	ds_read_b128 v[6:9], v32
	ds_read_b128 v[10:13], v32 offset:16
	ds_read_b128 v[14:17], v34 offset:512
	;; [unrolled: 1-line block ×3, first 2 shown]
	s_waitcnt lgkmcnt(3)
	v_mul_f64 v[22:23], v[4:5], v[8:9]
	v_mul_f64 v[8:9], v[2:3], v[8:9]
	s_waitcnt lgkmcnt(1)
	v_mul_f64 v[52:53], v[16:17], v[12:13]
	v_mul_f64 v[12:13], v[14:15], v[12:13]
	v_fma_f64 v[2:3], v[2:3], v[6:7], -v[22:23]
	ds_read_b128 v[22:25], v32 offset:32
	ds_read_b128 v[26:29], v32 offset:48
	;; [unrolled: 1-line block ×4, first 2 shown]
	v_fma_f64 v[56:57], v[4:5], v[6:7], v[8:9]
	s_waitcnt lgkmcnt(3)
	v_mul_f64 v[54:55], v[20:21], v[24:25]
	v_fma_f64 v[14:15], v[14:15], v[10:11], -v[52:53]
	v_mul_f64 v[24:25], v[18:19], v[24:25]
	s_waitcnt lgkmcnt(1)
	v_mul_f64 v[58:59], v[46:47], v[28:29]
	v_fma_f64 v[60:61], v[16:17], v[10:11], v[12:13]
	v_add_f64 v[52:53], v[2:3], 0
	ds_read_b128 v[2:5], v34 offset:2048
	ds_read_b128 v[6:9], v34 offset:2560
	v_mul_f64 v[28:29], v[44:45], v[28:29]
	v_fma_f64 v[18:19], v[18:19], v[22:23], -v[54:55]
	v_add_f64 v[54:55], v[56:57], 0
	s_waitcnt lgkmcnt(1)
	v_mul_f64 v[56:57], v[4:5], v[50:51]
	v_fma_f64 v[62:63], v[20:21], v[22:23], v[24:25]
	v_fma_f64 v[44:45], v[44:45], v[26:27], -v[58:59]
	v_add_f64 v[52:53], v[52:53], v[14:15]
	ds_read_b128 v[10:13], v32 offset:80
	ds_read_b128 v[14:17], v32 offset:96
	v_mul_f64 v[50:51], v[2:3], v[50:51]
	v_add_f64 v[54:55], v[54:55], v[60:61]
	s_waitcnt lgkmcnt(1)
	v_mul_f64 v[58:59], v[8:9], v[12:13]
	v_fma_f64 v[60:61], v[46:47], v[26:27], v[28:29]
	v_fma_f64 v[2:3], v[2:3], v[48:49], -v[56:57]
	v_add_f64 v[52:53], v[52:53], v[18:19]
	ds_read_b128 v[18:21], v34 offset:3072
	ds_read_b128 v[22:25], v34 offset:3584
	v_mul_f64 v[12:13], v[6:7], v[12:13]
	;; [unrolled: 9-line block ×7, first 2 shown]
	v_fma_f64 v[50:51], v[50:51], v[6:7], v[8:9]
	v_add_f64 v[54:55], v[54:55], v[60:61]
	s_waitcnt lgkmcnt(1)
	v_mul_f64 v[60:61], v[20:21], v[24:25]
	v_fma_f64 v[56:57], v[14:15], v[10:11], -v[56:57]
	v_mul_f64 v[24:25], v[18:19], v[24:25]
	v_add_f64 v[52:53], v[52:53], v[2:3]
	ds_read_b128 v[2:5], v34 offset:6144
	ds_read_b128 v[44:47], v34 offset:6656
	v_fma_f64 v[10:11], v[16:17], v[10:11], v[58:59]
	ds_read_b128 v[6:9], v32 offset:208
	ds_read_b128 v[12:15], v32 offset:224
	v_add_f64 v[54:55], v[54:55], v[62:63]
	v_fma_f64 v[58:59], v[18:19], v[22:23], -v[60:61]
	s_waitcnt lgkmcnt(1)
	v_mul_f64 v[60:61], v[46:47], v[8:9]
	v_add_f64 v[48:49], v[52:53], v[48:49]
	v_mul_f64 v[52:53], v[4:5], v[28:29]
	v_mul_f64 v[28:29], v[2:3], v[28:29]
	v_fma_f64 v[24:25], v[20:21], v[22:23], v[24:25]
	v_add_f64 v[54:55], v[54:55], v[50:51]
	v_add_f64 v[56:57], v[48:49], v[56:57]
	v_fma_f64 v[2:3], v[2:3], v[26:27], -v[52:53]
	ds_read_b128 v[16:19], v34 offset:7168
	ds_read_b128 v[48:51], v34 offset:7680
	v_fma_f64 v[26:27], v[4:5], v[26:27], v[28:29]
	v_add_f64 v[10:11], v[54:55], v[10:11]
	v_fma_f64 v[28:29], v[44:45], v[6:7], -v[60:61]
	s_waitcnt lgkmcnt(1)
	v_mul_f64 v[62:63], v[18:19], v[14:15]
	ds_read_b128 v[20:23], v32 offset:240
	ds_read_b128 v[52:55], v32 offset:256
	v_add_f64 v[56:57], v[56:57], v[58:59]
	v_mul_f64 v[58:59], v[44:45], v[8:9]
	s_waitcnt lgkmcnt(1)
	v_mul_f64 v[60:61], v[50:51], v[22:23]
	v_add_f64 v[24:25], v[10:11], v[24:25]
	v_mul_f64 v[22:23], v[48:49], v[22:23]
	v_add_f64 v[44:45], v[56:57], v[2:3]
	v_mul_f64 v[56:57], v[16:17], v[14:15]
	v_fma_f64 v[6:7], v[46:47], v[6:7], v[58:59]
	v_fma_f64 v[46:47], v[16:17], v[12:13], -v[62:63]
	v_add_f64 v[58:59], v[24:25], v[26:27]
	ds_read_b128 v[2:5], v34 offset:8192
	ds_read_b128 v[8:11], v34 offset:8704
	;; [unrolled: 1-line block ×4, first 2 shown]
	v_fma_f64 v[22:23], v[50:51], v[20:21], v[22:23]
	v_add_f64 v[28:29], v[44:45], v[28:29]
	s_waitcnt lgkmcnt(3)
	v_mul_f64 v[62:63], v[4:5], v[54:55]
	v_fma_f64 v[12:13], v[18:19], v[12:13], v[56:57]
	v_fma_f64 v[18:19], v[48:49], v[20:21], -v[60:61]
	v_add_f64 v[6:7], v[58:59], v[6:7]
	v_mul_f64 v[54:55], v[2:3], v[54:55]
	s_waitcnt lgkmcnt(1)
	v_mul_f64 v[60:61], v[10:11], v[16:17]
	v_mul_f64 v[16:17], v[8:9], v[16:17]
	v_add_f64 v[28:29], v[28:29], v[46:47]
	v_fma_f64 v[2:3], v[2:3], v[52:53], -v[62:63]
	ds_read_b128 v[44:47], v34 offset:9216
	ds_read_b128 v[56:59], v34 offset:9728
	v_add_f64 v[6:7], v[6:7], v[12:13]
	v_fma_f64 v[62:63], v[4:5], v[52:53], v[54:55]
	v_fma_f64 v[8:9], v[8:9], v[14:15], -v[60:61]
	v_fma_f64 v[10:11], v[10:11], v[14:15], v[16:17]
	v_add_f64 v[12:13], v[28:29], v[18:19]
	s_waitcnt lgkmcnt(1)
	v_mul_f64 v[28:29], v[46:47], v[26:27]
	ds_read_b128 v[18:21], v32 offset:304
	ds_read_b128 v[48:51], v32 offset:320
	v_add_f64 v[22:23], v[6:7], v[22:23]
	ds_read_b128 v[4:7], v34 offset:10240
	ds_read_b128 v[52:55], v34 offset:10752
	s_waitcnt lgkmcnt(3)
	v_mul_f64 v[60:61], v[58:59], v[20:21]
	v_add_f64 v[2:3], v[12:13], v[2:3]
	v_mul_f64 v[12:13], v[44:45], v[26:27]
	v_fma_f64 v[44:45], v[44:45], v[24:25], -v[28:29]
	ds_read_b128 v[14:17], v32 offset:336
	ds_read_b128 v[26:29], v32 offset:352
	v_add_f64 v[22:23], v[22:23], v[62:63]
	s_waitcnt lgkmcnt(3)
	v_mul_f64 v[62:63], v[6:7], v[50:51]
	v_mul_f64 v[50:51], v[4:5], v[50:51]
	v_add_f64 v[2:3], v[2:3], v[8:9]
	v_mul_f64 v[8:9], v[56:57], v[20:21]
	v_fma_f64 v[12:13], v[46:47], v[24:25], v[12:13]
	v_fma_f64 v[24:25], v[56:57], v[18:19], -v[60:61]
	v_add_f64 v[10:11], v[22:23], v[10:11]
	s_waitcnt lgkmcnt(1)
	v_mul_f64 v[60:61], v[54:55], v[16:17]
	v_mul_f64 v[16:17], v[52:53], v[16:17]
	v_add_f64 v[2:3], v[2:3], v[44:45]
	v_fma_f64 v[8:9], v[58:59], v[18:19], v[8:9]
	v_fma_f64 v[18:19], v[4:5], v[48:49], -v[62:63]
	ds_read_b128 v[20:23], v34 offset:11264
	ds_read_b128 v[44:47], v34 offset:11776
	v_add_f64 v[10:11], v[10:11], v[12:13]
	v_fma_f64 v[48:49], v[6:7], v[48:49], v[50:51]
	v_fma_f64 v[50:51], v[52:53], v[14:15], -v[60:61]
	v_fma_f64 v[54:55], v[54:55], v[14:15], v[16:17]
	v_add_f64 v[12:13], v[2:3], v[24:25]
	s_waitcnt lgkmcnt(1)
	v_mul_f64 v[24:25], v[22:23], v[28:29]
	ds_read_b128 v[56:59], v32 offset:368
	ds_read_b128 v[2:5], v32 offset:384
	v_mul_f64 v[28:29], v[20:21], v[28:29]
	v_add_f64 v[52:53], v[10:11], v[8:9]
	s_waitcnt lgkmcnt(1)
	v_mul_f64 v[60:61], v[46:47], v[58:59]
	v_add_f64 v[18:19], v[12:13], v[18:19]
	v_fma_f64 v[24:25], v[20:21], v[26:27], -v[24:25]
	ds_read_b128 v[6:9], v34 offset:12288
	ds_read_b128 v[10:13], v34 offset:12800
	v_fma_f64 v[62:63], v[22:23], v[26:27], v[28:29]
	v_add_f64 v[48:49], v[52:53], v[48:49]
	v_mul_f64 v[52:53], v[44:45], v[58:59]
	s_waitcnt lgkmcnt(1)
	v_mul_f64 v[58:59], v[8:9], v[4:5]
	v_fma_f64 v[44:45], v[44:45], v[56:57], -v[60:61]
	v_add_f64 v[50:51], v[18:19], v[50:51]
	ds_read_b128 v[14:17], v32 offset:400
	ds_read_b128 v[18:21], v32 offset:416
	v_add_f64 v[48:49], v[48:49], v[54:55]
	v_mul_f64 v[54:55], v[6:7], v[4:5]
	s_waitcnt lgkmcnt(1)
	v_mul_f64 v[60:61], v[12:13], v[16:17]
	v_fma_f64 v[52:53], v[46:47], v[56:57], v[52:53]
	v_add_f64 v[50:51], v[50:51], v[24:25]
	v_fma_f64 v[56:57], v[6:7], v[2:3], -v[58:59]
	ds_read_b128 v[26:29], v34 offset:13312
	ds_read_b128 v[22:25], v34 offset:13824
	v_mul_f64 v[16:17], v[10:11], v[16:17]
	v_add_f64 v[48:49], v[48:49], v[62:63]
	v_fma_f64 v[2:3], v[8:9], v[2:3], v[54:55]
	s_waitcnt lgkmcnt(1)
	v_mul_f64 v[58:59], v[28:29], v[20:21]
	v_fma_f64 v[54:55], v[10:11], v[14:15], -v[60:61]
	v_add_f64 v[50:51], v[50:51], v[44:45]
	flat_load_dwordx4 v[44:47], v[30:31]
	ds_read_b128 v[4:7], v32 offset:432
	v_mul_f64 v[20:21], v[26:27], v[20:21]
	v_add_f64 v[52:53], v[48:49], v[52:53]
	v_fma_f64 v[16:17], v[12:13], v[14:15], v[16:17]
	v_fma_f64 v[26:27], v[26:27], v[18:19], -v[58:59]
	s_waitcnt lgkmcnt(0)
	v_mul_f64 v[60:61], v[24:25], v[6:7]
	v_add_f64 v[56:57], v[50:51], v[56:57]
	ds_read_b128 v[8:11], v34 offset:14336
	ds_read_b128 v[48:51], v32 offset:448
	v_mul_f64 v[6:7], v[22:23], v[6:7]
	v_fma_f64 v[28:29], v[28:29], v[18:19], v[20:21]
	v_add_f64 v[2:3], v[52:53], v[2:3]
	s_waitcnt lgkmcnt(0)
	v_mul_f64 v[58:59], v[10:11], v[50:51]
	v_fma_f64 v[60:61], v[22:23], v[4:5], -v[60:61]
	v_add_f64 v[56:57], v[56:57], v[54:55]
	ds_read_b128 v[12:15], v34 offset:14848
	ds_read_b128 v[52:55], v32 offset:464
	v_mul_f64 v[50:51], v[8:9], v[50:51]
	v_fma_f64 v[24:25], v[24:25], v[4:5], v[6:7]
	v_add_f64 v[2:3], v[2:3], v[16:17]
	ds_read_b128 v[16:19], v34 offset:15360
	ds_read_b128 v[20:23], v32 offset:480
	v_fma_f64 v[58:59], v[8:9], v[48:49], -v[58:59]
	v_add_f64 v[26:27], v[56:57], v[26:27]
	s_waitcnt lgkmcnt(0)
	v_mul_f64 v[56:57], v[14:15], v[54:55]
	v_mul_f64 v[54:55], v[12:13], v[54:55]
	v_fma_f64 v[10:11], v[10:11], v[48:49], v[50:51]
	v_add_f64 v[28:29], v[2:3], v[28:29]
	ds_read_b128 v[2:5], v34 offset:15872
	ds_read_b128 v[6:9], v32 offset:496
	v_add_f64 v[26:27], v[26:27], v[60:61]
	v_mul_f64 v[60:61], v[18:19], v[22:23]
	v_fma_f64 v[12:13], v[12:13], v[52:53], -v[56:57]
	v_mul_f64 v[22:23], v[16:17], v[22:23]
	v_add_f64 v[24:25], v[28:29], v[24:25]
	s_waitcnt lgkmcnt(0)
	v_mul_f64 v[28:29], v[4:5], v[8:9]
	v_fma_f64 v[14:15], v[14:15], v[52:53], v[54:55]
	v_mul_f64 v[8:9], v[2:3], v[8:9]
	v_add_f64 v[26:27], v[26:27], v[58:59]
	v_fma_f64 v[16:17], v[16:17], v[20:21], -v[60:61]
	v_fma_f64 v[18:19], v[18:19], v[20:21], v[22:23]
	v_add_f64 v[10:11], v[24:25], v[10:11]
	v_fma_f64 v[2:3], v[2:3], v[6:7], -v[28:29]
	v_fma_f64 v[4:5], v[4:5], v[6:7], v[8:9]
	v_add_f64 v[12:13], v[26:27], v[12:13]
	v_add_f64 v[10:11], v[10:11], v[14:15]
	;; [unrolled: 1-line block ×6, first 2 shown]
	v_mul_f64 v[6:7], s[28:29], v[2:3]
	v_mul_f64 v[2:3], s[30:31], v[2:3]
	v_fma_f64 v[6:7], s[30:31], v[4:5], v[6:7]
	v_fma_f64 v[4:5], s[28:29], v[4:5], -v[2:3]
	s_waitcnt vmcnt(0)
	v_add_f64 v[2:3], v[44:45], v[6:7]
	v_add_f64 v[4:5], v[46:47], v[4:5]
	flat_store_dwordx4 v[30:31], v[2:5]
	s_branch .LBB1894_3
.LBB1894_16:
	s_endpgm
	.section	.rodata,"a",@progbits
	.p2align	6, 0x0
	.amdhsa_kernel _ZL26rocblas_syr2k_her2k_kernelIlLb1ELb1ELb0ELi32EPK19rocblas_complex_numIdEPKS3_PKPS1_EvbiT_T4_T5_S9_lSB_S9_lT6_S9_li
		.amdhsa_group_segment_fixed_size 32768
		.amdhsa_private_segment_fixed_size 0
		.amdhsa_kernarg_size 100
		.amdhsa_user_sgpr_count 6
		.amdhsa_user_sgpr_private_segment_buffer 1
		.amdhsa_user_sgpr_dispatch_ptr 0
		.amdhsa_user_sgpr_queue_ptr 0
		.amdhsa_user_sgpr_kernarg_segment_ptr 1
		.amdhsa_user_sgpr_dispatch_id 0
		.amdhsa_user_sgpr_flat_scratch_init 0
		.amdhsa_user_sgpr_private_segment_size 0
		.amdhsa_uses_dynamic_stack 0
		.amdhsa_system_sgpr_private_segment_wavefront_offset 0
		.amdhsa_system_sgpr_workgroup_id_x 1
		.amdhsa_system_sgpr_workgroup_id_y 1
		.amdhsa_system_sgpr_workgroup_id_z 1
		.amdhsa_system_sgpr_workgroup_info 0
		.amdhsa_system_vgpr_workitem_id 1
		.amdhsa_next_free_vgpr 64
		.amdhsa_next_free_sgpr 61
		.amdhsa_reserve_vcc 1
		.amdhsa_reserve_flat_scratch 0
		.amdhsa_float_round_mode_32 0
		.amdhsa_float_round_mode_16_64 0
		.amdhsa_float_denorm_mode_32 3
		.amdhsa_float_denorm_mode_16_64 3
		.amdhsa_dx10_clamp 1
		.amdhsa_ieee_mode 1
		.amdhsa_fp16_overflow 0
		.amdhsa_exception_fp_ieee_invalid_op 0
		.amdhsa_exception_fp_denorm_src 0
		.amdhsa_exception_fp_ieee_div_zero 0
		.amdhsa_exception_fp_ieee_overflow 0
		.amdhsa_exception_fp_ieee_underflow 0
		.amdhsa_exception_fp_ieee_inexact 0
		.amdhsa_exception_int_div_zero 0
	.end_amdhsa_kernel
	.section	.text._ZL26rocblas_syr2k_her2k_kernelIlLb1ELb1ELb0ELi32EPK19rocblas_complex_numIdEPKS3_PKPS1_EvbiT_T4_T5_S9_lSB_S9_lT6_S9_li,"axG",@progbits,_ZL26rocblas_syr2k_her2k_kernelIlLb1ELb1ELb0ELi32EPK19rocblas_complex_numIdEPKS3_PKPS1_EvbiT_T4_T5_S9_lSB_S9_lT6_S9_li,comdat
.Lfunc_end1894:
	.size	_ZL26rocblas_syr2k_her2k_kernelIlLb1ELb1ELb0ELi32EPK19rocblas_complex_numIdEPKS3_PKPS1_EvbiT_T4_T5_S9_lSB_S9_lT6_S9_li, .Lfunc_end1894-_ZL26rocblas_syr2k_her2k_kernelIlLb1ELb1ELb0ELi32EPK19rocblas_complex_numIdEPKS3_PKPS1_EvbiT_T4_T5_S9_lSB_S9_lT6_S9_li
                                        ; -- End function
	.set _ZL26rocblas_syr2k_her2k_kernelIlLb1ELb1ELb0ELi32EPK19rocblas_complex_numIdEPKS3_PKPS1_EvbiT_T4_T5_S9_lSB_S9_lT6_S9_li.num_vgpr, 64
	.set _ZL26rocblas_syr2k_her2k_kernelIlLb1ELb1ELb0ELi32EPK19rocblas_complex_numIdEPKS3_PKPS1_EvbiT_T4_T5_S9_lSB_S9_lT6_S9_li.num_agpr, 0
	.set _ZL26rocblas_syr2k_her2k_kernelIlLb1ELb1ELb0ELi32EPK19rocblas_complex_numIdEPKS3_PKPS1_EvbiT_T4_T5_S9_lSB_S9_lT6_S9_li.numbered_sgpr, 40
	.set _ZL26rocblas_syr2k_her2k_kernelIlLb1ELb1ELb0ELi32EPK19rocblas_complex_numIdEPKS3_PKPS1_EvbiT_T4_T5_S9_lSB_S9_lT6_S9_li.num_named_barrier, 0
	.set _ZL26rocblas_syr2k_her2k_kernelIlLb1ELb1ELb0ELi32EPK19rocblas_complex_numIdEPKS3_PKPS1_EvbiT_T4_T5_S9_lSB_S9_lT6_S9_li.private_seg_size, 0
	.set _ZL26rocblas_syr2k_her2k_kernelIlLb1ELb1ELb0ELi32EPK19rocblas_complex_numIdEPKS3_PKPS1_EvbiT_T4_T5_S9_lSB_S9_lT6_S9_li.uses_vcc, 1
	.set _ZL26rocblas_syr2k_her2k_kernelIlLb1ELb1ELb0ELi32EPK19rocblas_complex_numIdEPKS3_PKPS1_EvbiT_T4_T5_S9_lSB_S9_lT6_S9_li.uses_flat_scratch, 0
	.set _ZL26rocblas_syr2k_her2k_kernelIlLb1ELb1ELb0ELi32EPK19rocblas_complex_numIdEPKS3_PKPS1_EvbiT_T4_T5_S9_lSB_S9_lT6_S9_li.has_dyn_sized_stack, 0
	.set _ZL26rocblas_syr2k_her2k_kernelIlLb1ELb1ELb0ELi32EPK19rocblas_complex_numIdEPKS3_PKPS1_EvbiT_T4_T5_S9_lSB_S9_lT6_S9_li.has_recursion, 0
	.set _ZL26rocblas_syr2k_her2k_kernelIlLb1ELb1ELb0ELi32EPK19rocblas_complex_numIdEPKS3_PKPS1_EvbiT_T4_T5_S9_lSB_S9_lT6_S9_li.has_indirect_call, 0
	.section	.AMDGPU.csdata,"",@progbits
; Kernel info:
; codeLenInByte = 5492
; TotalNumSgprs: 44
; NumVgprs: 64
; ScratchSize: 0
; MemoryBound: 1
; FloatMode: 240
; IeeeMode: 1
; LDSByteSize: 32768 bytes/workgroup (compile time only)
; SGPRBlocks: 8
; VGPRBlocks: 15
; NumSGPRsForWavesPerEU: 65
; NumVGPRsForWavesPerEU: 64
; Occupancy: 4
; WaveLimiterHint : 1
; COMPUTE_PGM_RSRC2:SCRATCH_EN: 0
; COMPUTE_PGM_RSRC2:USER_SGPR: 6
; COMPUTE_PGM_RSRC2:TRAP_HANDLER: 0
; COMPUTE_PGM_RSRC2:TGID_X_EN: 1
; COMPUTE_PGM_RSRC2:TGID_Y_EN: 1
; COMPUTE_PGM_RSRC2:TGID_Z_EN: 1
; COMPUTE_PGM_RSRC2:TIDIG_COMP_CNT: 1
	.section	.text._ZL26rocblas_syr2k_her2k_kernelIlLb1ELb1ELb1ELi32EPK19rocblas_complex_numIdEPKS3_PKPS1_EvbiT_T4_T5_S9_lSB_S9_lT6_S9_li,"axG",@progbits,_ZL26rocblas_syr2k_her2k_kernelIlLb1ELb1ELb1ELi32EPK19rocblas_complex_numIdEPKS3_PKPS1_EvbiT_T4_T5_S9_lSB_S9_lT6_S9_li,comdat
	.globl	_ZL26rocblas_syr2k_her2k_kernelIlLb1ELb1ELb1ELi32EPK19rocblas_complex_numIdEPKS3_PKPS1_EvbiT_T4_T5_S9_lSB_S9_lT6_S9_li ; -- Begin function _ZL26rocblas_syr2k_her2k_kernelIlLb1ELb1ELb1ELi32EPK19rocblas_complex_numIdEPKS3_PKPS1_EvbiT_T4_T5_S9_lSB_S9_lT6_S9_li
	.p2align	8
	.type	_ZL26rocblas_syr2k_her2k_kernelIlLb1ELb1ELb1ELi32EPK19rocblas_complex_numIdEPKS3_PKPS1_EvbiT_T4_T5_S9_lSB_S9_lT6_S9_li,@function
_ZL26rocblas_syr2k_her2k_kernelIlLb1ELb1ELb1ELi32EPK19rocblas_complex_numIdEPKS3_PKPS1_EvbiT_T4_T5_S9_lSB_S9_lT6_S9_li: ; @_ZL26rocblas_syr2k_her2k_kernelIlLb1ELb1ELb1ELi32EPK19rocblas_complex_numIdEPKS3_PKPS1_EvbiT_T4_T5_S9_lSB_S9_lT6_S9_li
; %bb.0:
	s_load_dwordx16 s[12:27], s[4:5], 0x8
	s_waitcnt lgkmcnt(0)
	s_load_dwordx4 s[28:31], s[14:15], 0x0
	s_waitcnt lgkmcnt(0)
	v_cmp_eq_f64_e64 s[0:1], s[28:29], 0
	v_cmp_eq_f64_e64 s[2:3], s[30:31], 0
	s_and_b64 s[0:1], s[0:1], s[2:3]
	s_and_b64 vcc, exec, s[0:1]
	s_cbranch_vccnz .LBB1895_16
; %bb.1:
	s_load_dwordx2 s[10:11], s[4:5], 0x0
	s_lshl_b32 s2, s7, 5
	s_lshl_b32 s3, s6, 5
	s_waitcnt lgkmcnt(0)
	s_and_b32 s0, 1, s10
	s_cmp_eq_u32 s0, 1
	s_cselect_b64 s[0:1], -1, 0
	s_and_b64 s[6:7], s[0:1], exec
	s_cselect_b32 s6, s3, s2
	s_cselect_b32 s7, s2, s3
	s_cmp_gt_i32 s6, s7
	v_cmp_lt_i64_e64 s[6:7], s[12:13], 1
	s_cselect_b64 s[14:15], -1, 0
	s_or_b64 s[6:7], s[14:15], s[6:7]
	s_and_b64 vcc, exec, s[6:7]
	s_cbranch_vccnz .LBB1895_16
; %bb.2:
	s_mov_b32 s9, 0
	s_load_dwordx4 s[36:39], s[4:5], 0x48
	s_load_dwordx2 s[14:15], s[4:5], 0x58
	s_lshl_b64 s[4:5], s[8:9], 3
	s_add_u32 s16, s16, s4
	s_addc_u32 s17, s17, s5
	s_add_u32 s22, s22, s4
	s_addc_u32 s23, s23, s5
	s_waitcnt lgkmcnt(0)
	s_add_u32 s4, s36, s4
	s_addc_u32 s5, s37, s5
	s_load_dwordx2 s[34:35], s[4:5], 0x0
	s_load_dwordx2 s[8:9], s[16:17], 0x0
	;; [unrolled: 1-line block ×3, first 2 shown]
	s_lshl_b64 s[4:5], s[14:15], 4
	v_add_u32_e32 v2, s2, v1
	s_waitcnt lgkmcnt(0)
	s_add_u32 s14, s34, s4
	s_addc_u32 s10, s35, s5
	v_add_u32_e32 v4, s3, v0
	s_ashr_i32 s3, s11, 31
	s_mov_b32 s2, s11
	v_mov_b32_e32 v5, 0
	v_cndmask_b32_e64 v8, v4, v2, s[0:1]
	v_cndmask_b32_e64 v9, v2, v4, s[0:1]
	v_cmp_gt_i64_e64 s[0:1], s[2:3], v[4:5]
	v_mov_b32_e32 v3, v5
	v_ashrrev_i32_e32 v5, 31, v2
	v_mul_lo_u32 v5, s38, v5
	v_mul_lo_u32 v10, s39, v2
	v_mad_u64_u32 v[6:7], s[4:5], s38, v2, 0
	v_cmp_gt_i64_e64 s[2:3], s[2:3], v[2:3]
	v_max_i32_e32 v3, v4, v2
	v_cmp_gt_i32_e32 vcc, s11, v3
	v_cmp_le_i32_e64 s[4:5], v9, v8
	v_add3_u32 v7, v7, v5, v10
	v_mov_b32_e32 v3, s10
	v_mad_u64_u32 v[8:9], s[10:11], s18, v2, 0
	v_lshlrev_b64 v[6:7], 4, v[6:7]
	s_and_b64 s[4:5], s[4:5], vcc
	v_add_co_u32_e32 v12, vcc, s14, v6
	v_addc_co_u32_e32 v7, vcc, v3, v7, vcc
	v_mov_b32_e32 v3, v9
	v_ashrrev_i32_e32 v5, 31, v4
	v_mad_u64_u32 v[9:10], s[10:11], s19, v2, v[3:4]
	v_lshlrev_b64 v[5:6], 4, v[4:5]
	s_lshl_b64 s[10:11], s[20:21], 4
	v_add_co_u32_e32 v30, vcc, v12, v5
	v_addc_co_u32_e32 v31, vcc, v7, v6, vcc
	v_lshlrev_b64 v[5:6], 4, v[8:9]
	v_mov_b32_e32 v8, s11
	v_add_co_u32_e32 v3, vcc, s10, v5
	v_addc_co_u32_e32 v7, vcc, v6, v8, vcc
	v_mad_u64_u32 v[5:6], s[14:15], s18, v4, 0
	v_lshlrev_b32_e32 v9, 4, v0
	v_add_co_u32_e32 v10, vcc, v3, v9
	v_mov_b32_e32 v3, v6
	v_addc_co_u32_e32 v12, vcc, 0, v7, vcc
	v_mad_u64_u32 v[6:7], s[14:15], s19, v4, v[3:4]
	v_mov_b32_e32 v13, s9
	v_add_co_u32_e32 v36, vcc, s8, v10
	v_lshlrev_b64 v[5:6], 4, v[5:6]
	v_addc_co_u32_e32 v37, vcc, v13, v12, vcc
	v_add_co_u32_e32 v3, vcc, s10, v5
	v_addc_co_u32_e32 v7, vcc, v6, v8, vcc
	v_mad_u64_u32 v[5:6], s[10:11], s24, v2, 0
	v_lshlrev_b32_e32 v11, 4, v1
	v_add_co_u32_e32 v8, vcc, v3, v11
	v_mov_b32_e32 v3, v6
	v_mad_u64_u32 v[2:3], s[10:11], s25, v2, v[3:4]
	v_addc_co_u32_e32 v7, vcc, 0, v7, vcc
	v_mov_b32_e32 v6, v2
	v_add_co_u32_e32 v38, vcc, s8, v8
	v_lshlrev_b64 v[2:3], 4, v[5:6]
	v_addc_co_u32_e32 v39, vcc, v13, v7, vcc
	s_lshl_b64 s[8:9], s[26:27], 4
	v_mov_b32_e32 v5, s9
	v_add_co_u32_e32 v6, vcc, s8, v2
	v_addc_co_u32_e32 v7, vcc, v3, v5, vcc
	v_mad_u64_u32 v[2:3], s[10:11], s24, v4, 0
	v_add_co_u32_e32 v6, vcc, v6, v9
	v_mad_u64_u32 v[3:4], s[10:11], s25, v4, v[3:4]
	v_addc_co_u32_e32 v7, vcc, 0, v7, vcc
	v_mov_b32_e32 v8, s7
	v_add_co_u32_e32 v40, vcc, s6, v6
	v_lshlrev_b64 v[2:3], 4, v[2:3]
	v_addc_co_u32_e32 v41, vcc, v8, v7, vcc
	v_add_co_u32_e32 v2, vcc, s8, v2
	v_addc_co_u32_e32 v3, vcc, v3, v5, vcc
	v_add_co_u32_e32 v2, vcc, v2, v11
	v_addc_co_u32_e32 v3, vcc, 0, v3, vcc
	v_lshlrev_b32_e32 v32, 9, v0
	v_or_b32_e32 v34, 0x4000, v11
	v_add_co_u32_e32 v42, vcc, s6, v2
	v_add_u32_e32 v33, v32, v11
	v_add_u32_e32 v35, v34, v32
	v_addc_co_u32_e32 v43, vcc, v8, v3, vcc
	s_mov_b64 s[6:7], 0
	s_mov_b64 s[8:9], 0
	s_branch .LBB1895_4
.LBB1895_3:                             ;   in Loop: Header=BB1895_4 Depth=1
	s_or_b64 exec, exec, s[10:11]
	s_add_u32 s8, s8, 32
	v_mov_b32_e32 v2, s12
	s_addc_u32 s9, s9, 0
	v_mov_b32_e32 v3, s13
	v_cmp_lt_i64_e32 vcc, s[8:9], v[2:3]
	s_add_u32 s6, s6, 0x200
	s_addc_u32 s7, s7, 0
	s_waitcnt vmcnt(0) lgkmcnt(0)
	s_barrier
	s_cbranch_vccz .LBB1895_16
.LBB1895_4:                             ; =>This Inner Loop Header: Depth=1
	v_mov_b32_e32 v3, s9
	v_add_co_u32_e32 v2, vcc, s8, v1
	v_addc_co_u32_e32 v3, vcc, 0, v3, vcc
	v_cmp_gt_i64_e32 vcc, s[12:13], v[2:3]
	v_mov_b32_e32 v2, 0
	v_mov_b32_e32 v4, 0
	;; [unrolled: 1-line block ×6, first 2 shown]
	s_and_b64 s[10:11], s[0:1], vcc
	s_and_saveexec_b64 s[14:15], s[10:11]
	s_cbranch_execz .LBB1895_6
; %bb.5:                                ;   in Loop: Header=BB1895_4 Depth=1
	v_mov_b32_e32 v5, s7
	v_add_co_u32_e32 v4, vcc, s6, v38
	v_addc_co_u32_e32 v5, vcc, v39, v5, vcc
	flat_load_dwordx4 v[4:7], v[4:5]
	s_waitcnt vmcnt(0) lgkmcnt(0)
	v_xor_b32_e32 v7, 0x80000000, v7
.LBB1895_6:                             ;   in Loop: Header=BB1895_4 Depth=1
	s_or_b64 exec, exec, s[14:15]
	ds_write_b128 v33, v[4:7]
	v_mov_b32_e32 v5, s9
	v_add_co_u32_e32 v4, vcc, s8, v0
	v_addc_co_u32_e32 v5, vcc, 0, v5, vcc
	v_cmp_gt_i64_e32 vcc, s[12:13], v[4:5]
	v_mov_b32_e32 v4, 0
	v_mov_b32_e32 v5, 0
	s_and_b64 s[14:15], s[2:3], vcc
	s_and_saveexec_b64 s[16:17], s[14:15]
	s_cbranch_execz .LBB1895_8
; %bb.7:                                ;   in Loop: Header=BB1895_4 Depth=1
	v_mov_b32_e32 v3, s7
	v_add_co_u32_e32 v2, vcc, s6, v40
	v_addc_co_u32_e32 v3, vcc, v41, v3, vcc
	flat_load_dwordx4 v[2:5], v[2:3]
.LBB1895_8:                             ;   in Loop: Header=BB1895_4 Depth=1
	s_or_b64 exec, exec, s[16:17]
	s_waitcnt vmcnt(0) lgkmcnt(0)
	ds_write_b128 v35, v[2:5]
	s_waitcnt lgkmcnt(0)
	s_barrier
	s_and_saveexec_b64 s[16:17], s[4:5]
	s_cbranch_execz .LBB1895_10
; %bb.9:                                ;   in Loop: Header=BB1895_4 Depth=1
	ds_read_b128 v[6:9], v34
	ds_read_b128 v[10:13], v32
	ds_read_b128 v[14:17], v32 offset:16
	ds_read_b128 v[18:21], v32 offset:32
	;; [unrolled: 1-line block ×3, first 2 shown]
	s_waitcnt lgkmcnt(3)
	v_mul_f64 v[22:23], v[8:9], v[12:13]
	v_fma_f64 v[22:23], v[6:7], v[10:11], -v[22:23]
	v_mul_f64 v[6:7], v[6:7], v[12:13]
	v_fma_f64 v[6:7], v[8:9], v[10:11], v[6:7]
	v_add_f64 v[10:11], v[22:23], 0
	v_add_f64 v[12:13], v[6:7], 0
	ds_read_b128 v[6:9], v34 offset:512
	s_waitcnt lgkmcnt(0)
	v_mul_f64 v[22:23], v[8:9], v[16:17]
	v_fma_f64 v[22:23], v[6:7], v[14:15], -v[22:23]
	v_mul_f64 v[6:7], v[6:7], v[16:17]
	v_add_f64 v[10:11], v[10:11], v[22:23]
	v_fma_f64 v[6:7], v[8:9], v[14:15], v[6:7]
	v_add_f64 v[12:13], v[12:13], v[6:7]
	ds_read_b128 v[6:9], v34 offset:1024
	s_waitcnt lgkmcnt(0)
	v_mul_f64 v[14:15], v[8:9], v[20:21]
	v_fma_f64 v[14:15], v[6:7], v[18:19], -v[14:15]
	v_mul_f64 v[6:7], v[6:7], v[20:21]
	v_add_f64 v[10:11], v[10:11], v[14:15]
	v_fma_f64 v[6:7], v[8:9], v[18:19], v[6:7]
	v_add_f64 v[12:13], v[12:13], v[6:7]
	ds_read_b128 v[6:9], v34 offset:1536
	s_waitcnt lgkmcnt(0)
	v_mul_f64 v[14:15], v[8:9], v[4:5]
	v_mul_f64 v[4:5], v[6:7], v[4:5]
	v_fma_f64 v[14:15], v[6:7], v[2:3], -v[14:15]
	v_fma_f64 v[2:3], v[8:9], v[2:3], v[4:5]
	v_add_f64 v[10:11], v[10:11], v[14:15]
	v_add_f64 v[12:13], v[12:13], v[2:3]
	ds_read_b128 v[2:5], v34 offset:2048
	ds_read_b128 v[6:9], v32 offset:64
	s_waitcnt lgkmcnt(0)
	v_mul_f64 v[14:15], v[4:5], v[8:9]
	v_fma_f64 v[14:15], v[2:3], v[6:7], -v[14:15]
	v_mul_f64 v[2:3], v[2:3], v[8:9]
	v_add_f64 v[10:11], v[10:11], v[14:15]
	v_fma_f64 v[2:3], v[4:5], v[6:7], v[2:3]
	v_add_f64 v[12:13], v[12:13], v[2:3]
	ds_read_b128 v[2:5], v34 offset:2560
	ds_read_b128 v[6:9], v32 offset:80
	s_waitcnt lgkmcnt(0)
	v_mul_f64 v[14:15], v[4:5], v[8:9]
	v_fma_f64 v[14:15], v[2:3], v[6:7], -v[14:15]
	v_mul_f64 v[2:3], v[2:3], v[8:9]
	v_add_f64 v[10:11], v[10:11], v[14:15]
	v_fma_f64 v[2:3], v[4:5], v[6:7], v[2:3]
	;; [unrolled: 9-line block ×27, first 2 shown]
	v_add_f64 v[12:13], v[12:13], v[2:3]
	ds_read_b128 v[2:5], v34 offset:15872
	ds_read_b128 v[6:9], v32 offset:496
	s_waitcnt lgkmcnt(0)
	v_mul_f64 v[14:15], v[4:5], v[8:9]
	v_fma_f64 v[14:15], v[2:3], v[6:7], -v[14:15]
	v_mul_f64 v[2:3], v[2:3], v[8:9]
	v_fma_f64 v[2:3], v[4:5], v[6:7], v[2:3]
	v_add_f64 v[4:5], v[10:11], v[14:15]
	v_add_f64 v[2:3], v[12:13], v[2:3]
	v_mul_f64 v[6:7], s[30:31], v[2:3]
	v_mul_f64 v[2:3], s[28:29], v[2:3]
	v_fma_f64 v[6:7], s[28:29], v[4:5], -v[6:7]
	v_fma_f64 v[8:9], s[30:31], v[4:5], v[2:3]
	flat_load_dwordx4 v[2:5], v[30:31]
	s_waitcnt vmcnt(0) lgkmcnt(0)
	v_add_f64 v[2:3], v[2:3], v[6:7]
	v_add_f64 v[4:5], v[4:5], v[8:9]
	flat_store_dwordx4 v[30:31], v[2:5]
.LBB1895_10:                            ;   in Loop: Header=BB1895_4 Depth=1
	s_or_b64 exec, exec, s[16:17]
	v_mov_b32_e32 v4, 0
	v_mov_b32_e32 v8, 0
	;; [unrolled: 1-line block ×6, first 2 shown]
	s_waitcnt vmcnt(0) lgkmcnt(0)
	s_barrier
	s_and_saveexec_b64 s[16:17], s[10:11]
	s_cbranch_execz .LBB1895_12
; %bb.11:                               ;   in Loop: Header=BB1895_4 Depth=1
	v_mov_b32_e32 v3, s7
	v_add_co_u32_e32 v2, vcc, s6, v42
	v_addc_co_u32_e32 v3, vcc, v43, v3, vcc
	flat_load_dwordx4 v[6:9], v[2:3]
	s_waitcnt vmcnt(0) lgkmcnt(0)
	v_xor_b32_e32 v9, 0x80000000, v9
.LBB1895_12:                            ;   in Loop: Header=BB1895_4 Depth=1
	s_or_b64 exec, exec, s[16:17]
	v_mov_b32_e32 v2, 0
	v_mov_b32_e32 v3, 0
	ds_write_b128 v33, v[6:9]
	s_and_saveexec_b64 s[10:11], s[14:15]
	s_cbranch_execz .LBB1895_14
; %bb.13:                               ;   in Loop: Header=BB1895_4 Depth=1
	v_mov_b32_e32 v3, s7
	v_add_co_u32_e32 v2, vcc, s6, v36
	v_addc_co_u32_e32 v3, vcc, v37, v3, vcc
	flat_load_dwordx4 v[2:5], v[2:3]
.LBB1895_14:                            ;   in Loop: Header=BB1895_4 Depth=1
	s_or_b64 exec, exec, s[10:11]
	s_waitcnt vmcnt(0) lgkmcnt(0)
	ds_write_b128 v35, v[2:5]
	s_waitcnt lgkmcnt(0)
	s_barrier
	s_and_saveexec_b64 s[10:11], s[4:5]
	s_cbranch_execz .LBB1895_3
; %bb.15:                               ;   in Loop: Header=BB1895_4 Depth=1
	ds_read_b128 v[2:5], v34
	ds_read_b128 v[6:9], v32
	ds_read_b128 v[10:13], v32 offset:16
	ds_read_b128 v[14:17], v34 offset:512
	;; [unrolled: 1-line block ×3, first 2 shown]
	s_waitcnt lgkmcnt(3)
	v_mul_f64 v[22:23], v[4:5], v[8:9]
	v_mul_f64 v[8:9], v[2:3], v[8:9]
	s_waitcnt lgkmcnt(1)
	v_mul_f64 v[52:53], v[16:17], v[12:13]
	v_mul_f64 v[12:13], v[14:15], v[12:13]
	v_fma_f64 v[2:3], v[2:3], v[6:7], -v[22:23]
	ds_read_b128 v[22:25], v32 offset:32
	ds_read_b128 v[26:29], v32 offset:48
	;; [unrolled: 1-line block ×4, first 2 shown]
	v_fma_f64 v[56:57], v[4:5], v[6:7], v[8:9]
	s_waitcnt lgkmcnt(3)
	v_mul_f64 v[54:55], v[20:21], v[24:25]
	v_fma_f64 v[14:15], v[14:15], v[10:11], -v[52:53]
	v_mul_f64 v[24:25], v[18:19], v[24:25]
	s_waitcnt lgkmcnt(1)
	v_mul_f64 v[58:59], v[46:47], v[28:29]
	v_fma_f64 v[60:61], v[16:17], v[10:11], v[12:13]
	v_add_f64 v[52:53], v[2:3], 0
	ds_read_b128 v[2:5], v34 offset:2048
	ds_read_b128 v[6:9], v34 offset:2560
	v_mul_f64 v[28:29], v[44:45], v[28:29]
	v_fma_f64 v[18:19], v[18:19], v[22:23], -v[54:55]
	v_add_f64 v[54:55], v[56:57], 0
	s_waitcnt lgkmcnt(1)
	v_mul_f64 v[56:57], v[4:5], v[50:51]
	v_fma_f64 v[62:63], v[20:21], v[22:23], v[24:25]
	v_fma_f64 v[44:45], v[44:45], v[26:27], -v[58:59]
	v_add_f64 v[52:53], v[52:53], v[14:15]
	ds_read_b128 v[10:13], v32 offset:80
	ds_read_b128 v[14:17], v32 offset:96
	v_mul_f64 v[50:51], v[2:3], v[50:51]
	v_add_f64 v[54:55], v[54:55], v[60:61]
	s_waitcnt lgkmcnt(1)
	v_mul_f64 v[58:59], v[8:9], v[12:13]
	v_fma_f64 v[60:61], v[46:47], v[26:27], v[28:29]
	v_fma_f64 v[2:3], v[2:3], v[48:49], -v[56:57]
	v_add_f64 v[52:53], v[52:53], v[18:19]
	ds_read_b128 v[18:21], v34 offset:3072
	ds_read_b128 v[22:25], v34 offset:3584
	v_mul_f64 v[12:13], v[6:7], v[12:13]
	v_add_f64 v[54:55], v[54:55], v[62:63]
	s_waitcnt lgkmcnt(1)
	v_mul_f64 v[56:57], v[20:21], v[16:17]
	v_fma_f64 v[62:63], v[4:5], v[48:49], v[50:51]
	v_fma_f64 v[6:7], v[6:7], v[10:11], -v[58:59]
	v_add_f64 v[52:53], v[52:53], v[44:45]
	ds_read_b128 v[26:29], v32 offset:112
	ds_read_b128 v[44:47], v32 offset:128
	v_mul_f64 v[16:17], v[18:19], v[16:17]
	v_add_f64 v[54:55], v[54:55], v[60:61]
	s_waitcnt lgkmcnt(1)
	v_mul_f64 v[58:59], v[24:25], v[28:29]
	v_fma_f64 v[60:61], v[8:9], v[10:11], v[12:13]
	v_fma_f64 v[18:19], v[18:19], v[14:15], -v[56:57]
	v_add_f64 v[52:53], v[52:53], v[2:3]
	ds_read_b128 v[2:5], v34 offset:4096
	ds_read_b128 v[48:51], v34 offset:4608
	v_mul_f64 v[28:29], v[22:23], v[28:29]
	v_add_f64 v[54:55], v[54:55], v[62:63]
	s_waitcnt lgkmcnt(1)
	v_mul_f64 v[56:57], v[4:5], v[46:47]
	v_fma_f64 v[62:63], v[20:21], v[14:15], v[16:17]
	v_fma_f64 v[22:23], v[22:23], v[26:27], -v[58:59]
	v_add_f64 v[52:53], v[52:53], v[6:7]
	ds_read_b128 v[6:9], v32 offset:144
	ds_read_b128 v[10:13], v32 offset:160
	v_mul_f64 v[46:47], v[2:3], v[46:47]
	v_add_f64 v[54:55], v[54:55], v[60:61]
	s_waitcnt lgkmcnt(1)
	v_mul_f64 v[58:59], v[50:51], v[8:9]
	v_fma_f64 v[60:61], v[24:25], v[26:27], v[28:29]
	v_fma_f64 v[2:3], v[2:3], v[44:45], -v[56:57]
	v_add_f64 v[52:53], v[52:53], v[18:19]
	ds_read_b128 v[14:17], v34 offset:5120
	ds_read_b128 v[18:21], v34 offset:5632
	v_mul_f64 v[8:9], v[48:49], v[8:9]
	v_add_f64 v[54:55], v[54:55], v[62:63]
	s_waitcnt lgkmcnt(1)
	v_mul_f64 v[56:57], v[16:17], v[12:13]
	v_fma_f64 v[62:63], v[4:5], v[44:45], v[46:47]
	v_fma_f64 v[48:49], v[48:49], v[6:7], -v[58:59]
	v_add_f64 v[52:53], v[52:53], v[22:23]
	ds_read_b128 v[22:25], v32 offset:176
	ds_read_b128 v[26:29], v32 offset:192
	v_mul_f64 v[58:59], v[14:15], v[12:13]
	v_fma_f64 v[50:51], v[50:51], v[6:7], v[8:9]
	v_add_f64 v[54:55], v[54:55], v[60:61]
	s_waitcnt lgkmcnt(1)
	v_mul_f64 v[60:61], v[20:21], v[24:25]
	v_fma_f64 v[56:57], v[14:15], v[10:11], -v[56:57]
	v_mul_f64 v[24:25], v[18:19], v[24:25]
	v_add_f64 v[52:53], v[52:53], v[2:3]
	ds_read_b128 v[2:5], v34 offset:6144
	ds_read_b128 v[44:47], v34 offset:6656
	v_fma_f64 v[10:11], v[16:17], v[10:11], v[58:59]
	ds_read_b128 v[6:9], v32 offset:208
	ds_read_b128 v[12:15], v32 offset:224
	v_add_f64 v[54:55], v[54:55], v[62:63]
	v_fma_f64 v[58:59], v[18:19], v[22:23], -v[60:61]
	s_waitcnt lgkmcnt(1)
	v_mul_f64 v[60:61], v[46:47], v[8:9]
	v_add_f64 v[48:49], v[52:53], v[48:49]
	v_mul_f64 v[52:53], v[4:5], v[28:29]
	v_mul_f64 v[28:29], v[2:3], v[28:29]
	v_fma_f64 v[24:25], v[20:21], v[22:23], v[24:25]
	v_add_f64 v[54:55], v[54:55], v[50:51]
	v_add_f64 v[56:57], v[48:49], v[56:57]
	v_fma_f64 v[2:3], v[2:3], v[26:27], -v[52:53]
	ds_read_b128 v[16:19], v34 offset:7168
	ds_read_b128 v[48:51], v34 offset:7680
	v_fma_f64 v[26:27], v[4:5], v[26:27], v[28:29]
	v_add_f64 v[10:11], v[54:55], v[10:11]
	v_fma_f64 v[28:29], v[44:45], v[6:7], -v[60:61]
	s_waitcnt lgkmcnt(1)
	v_mul_f64 v[62:63], v[18:19], v[14:15]
	ds_read_b128 v[20:23], v32 offset:240
	ds_read_b128 v[52:55], v32 offset:256
	v_add_f64 v[56:57], v[56:57], v[58:59]
	v_mul_f64 v[58:59], v[44:45], v[8:9]
	s_waitcnt lgkmcnt(1)
	v_mul_f64 v[60:61], v[50:51], v[22:23]
	v_add_f64 v[24:25], v[10:11], v[24:25]
	v_mul_f64 v[22:23], v[48:49], v[22:23]
	v_add_f64 v[44:45], v[56:57], v[2:3]
	v_mul_f64 v[56:57], v[16:17], v[14:15]
	v_fma_f64 v[6:7], v[46:47], v[6:7], v[58:59]
	v_fma_f64 v[46:47], v[16:17], v[12:13], -v[62:63]
	v_add_f64 v[58:59], v[24:25], v[26:27]
	ds_read_b128 v[2:5], v34 offset:8192
	ds_read_b128 v[8:11], v34 offset:8704
	;; [unrolled: 1-line block ×4, first 2 shown]
	v_fma_f64 v[22:23], v[50:51], v[20:21], v[22:23]
	v_add_f64 v[28:29], v[44:45], v[28:29]
	s_waitcnt lgkmcnt(3)
	v_mul_f64 v[62:63], v[4:5], v[54:55]
	v_fma_f64 v[12:13], v[18:19], v[12:13], v[56:57]
	v_fma_f64 v[18:19], v[48:49], v[20:21], -v[60:61]
	v_add_f64 v[6:7], v[58:59], v[6:7]
	v_mul_f64 v[54:55], v[2:3], v[54:55]
	s_waitcnt lgkmcnt(1)
	v_mul_f64 v[60:61], v[10:11], v[16:17]
	v_mul_f64 v[16:17], v[8:9], v[16:17]
	v_add_f64 v[28:29], v[28:29], v[46:47]
	v_fma_f64 v[2:3], v[2:3], v[52:53], -v[62:63]
	ds_read_b128 v[44:47], v34 offset:9216
	ds_read_b128 v[56:59], v34 offset:9728
	v_add_f64 v[6:7], v[6:7], v[12:13]
	v_fma_f64 v[62:63], v[4:5], v[52:53], v[54:55]
	v_fma_f64 v[8:9], v[8:9], v[14:15], -v[60:61]
	v_fma_f64 v[10:11], v[10:11], v[14:15], v[16:17]
	v_add_f64 v[12:13], v[28:29], v[18:19]
	s_waitcnt lgkmcnt(1)
	v_mul_f64 v[28:29], v[46:47], v[26:27]
	ds_read_b128 v[18:21], v32 offset:304
	ds_read_b128 v[48:51], v32 offset:320
	v_add_f64 v[22:23], v[6:7], v[22:23]
	ds_read_b128 v[4:7], v34 offset:10240
	ds_read_b128 v[52:55], v34 offset:10752
	s_waitcnt lgkmcnt(3)
	v_mul_f64 v[60:61], v[58:59], v[20:21]
	v_add_f64 v[2:3], v[12:13], v[2:3]
	v_mul_f64 v[12:13], v[44:45], v[26:27]
	v_fma_f64 v[44:45], v[44:45], v[24:25], -v[28:29]
	ds_read_b128 v[14:17], v32 offset:336
	ds_read_b128 v[26:29], v32 offset:352
	v_add_f64 v[22:23], v[22:23], v[62:63]
	s_waitcnt lgkmcnt(3)
	v_mul_f64 v[62:63], v[6:7], v[50:51]
	v_mul_f64 v[50:51], v[4:5], v[50:51]
	v_add_f64 v[2:3], v[2:3], v[8:9]
	v_mul_f64 v[8:9], v[56:57], v[20:21]
	v_fma_f64 v[12:13], v[46:47], v[24:25], v[12:13]
	v_fma_f64 v[24:25], v[56:57], v[18:19], -v[60:61]
	v_add_f64 v[10:11], v[22:23], v[10:11]
	s_waitcnt lgkmcnt(1)
	v_mul_f64 v[60:61], v[54:55], v[16:17]
	v_mul_f64 v[16:17], v[52:53], v[16:17]
	v_add_f64 v[2:3], v[2:3], v[44:45]
	v_fma_f64 v[8:9], v[58:59], v[18:19], v[8:9]
	v_fma_f64 v[18:19], v[4:5], v[48:49], -v[62:63]
	ds_read_b128 v[20:23], v34 offset:11264
	ds_read_b128 v[44:47], v34 offset:11776
	v_add_f64 v[10:11], v[10:11], v[12:13]
	v_fma_f64 v[48:49], v[6:7], v[48:49], v[50:51]
	v_fma_f64 v[50:51], v[52:53], v[14:15], -v[60:61]
	v_fma_f64 v[54:55], v[54:55], v[14:15], v[16:17]
	v_add_f64 v[12:13], v[2:3], v[24:25]
	s_waitcnt lgkmcnt(1)
	v_mul_f64 v[24:25], v[22:23], v[28:29]
	ds_read_b128 v[56:59], v32 offset:368
	ds_read_b128 v[2:5], v32 offset:384
	v_mul_f64 v[28:29], v[20:21], v[28:29]
	v_add_f64 v[52:53], v[10:11], v[8:9]
	s_waitcnt lgkmcnt(1)
	v_mul_f64 v[60:61], v[46:47], v[58:59]
	v_add_f64 v[18:19], v[12:13], v[18:19]
	v_fma_f64 v[24:25], v[20:21], v[26:27], -v[24:25]
	ds_read_b128 v[6:9], v34 offset:12288
	ds_read_b128 v[10:13], v34 offset:12800
	v_fma_f64 v[62:63], v[22:23], v[26:27], v[28:29]
	v_add_f64 v[48:49], v[52:53], v[48:49]
	v_mul_f64 v[52:53], v[44:45], v[58:59]
	s_waitcnt lgkmcnt(1)
	v_mul_f64 v[58:59], v[8:9], v[4:5]
	v_fma_f64 v[44:45], v[44:45], v[56:57], -v[60:61]
	v_add_f64 v[50:51], v[18:19], v[50:51]
	ds_read_b128 v[14:17], v32 offset:400
	ds_read_b128 v[18:21], v32 offset:416
	v_add_f64 v[48:49], v[48:49], v[54:55]
	v_mul_f64 v[54:55], v[6:7], v[4:5]
	s_waitcnt lgkmcnt(1)
	v_mul_f64 v[60:61], v[12:13], v[16:17]
	v_fma_f64 v[52:53], v[46:47], v[56:57], v[52:53]
	v_add_f64 v[50:51], v[50:51], v[24:25]
	v_fma_f64 v[56:57], v[6:7], v[2:3], -v[58:59]
	ds_read_b128 v[26:29], v34 offset:13312
	ds_read_b128 v[22:25], v34 offset:13824
	v_mul_f64 v[16:17], v[10:11], v[16:17]
	v_add_f64 v[48:49], v[48:49], v[62:63]
	v_fma_f64 v[2:3], v[8:9], v[2:3], v[54:55]
	s_waitcnt lgkmcnt(1)
	v_mul_f64 v[58:59], v[28:29], v[20:21]
	v_fma_f64 v[54:55], v[10:11], v[14:15], -v[60:61]
	v_add_f64 v[50:51], v[50:51], v[44:45]
	flat_load_dwordx4 v[44:47], v[30:31]
	ds_read_b128 v[4:7], v32 offset:432
	v_mul_f64 v[20:21], v[26:27], v[20:21]
	v_add_f64 v[52:53], v[48:49], v[52:53]
	v_fma_f64 v[16:17], v[12:13], v[14:15], v[16:17]
	v_fma_f64 v[26:27], v[26:27], v[18:19], -v[58:59]
	s_waitcnt lgkmcnt(0)
	v_mul_f64 v[60:61], v[24:25], v[6:7]
	v_add_f64 v[56:57], v[50:51], v[56:57]
	ds_read_b128 v[8:11], v34 offset:14336
	ds_read_b128 v[48:51], v32 offset:448
	v_mul_f64 v[6:7], v[22:23], v[6:7]
	v_fma_f64 v[28:29], v[28:29], v[18:19], v[20:21]
	v_add_f64 v[2:3], v[52:53], v[2:3]
	s_waitcnt lgkmcnt(0)
	v_mul_f64 v[58:59], v[10:11], v[50:51]
	v_fma_f64 v[60:61], v[22:23], v[4:5], -v[60:61]
	v_add_f64 v[56:57], v[56:57], v[54:55]
	ds_read_b128 v[12:15], v34 offset:14848
	ds_read_b128 v[52:55], v32 offset:464
	v_mul_f64 v[50:51], v[8:9], v[50:51]
	v_fma_f64 v[24:25], v[24:25], v[4:5], v[6:7]
	v_add_f64 v[2:3], v[2:3], v[16:17]
	ds_read_b128 v[16:19], v34 offset:15360
	ds_read_b128 v[20:23], v32 offset:480
	v_fma_f64 v[58:59], v[8:9], v[48:49], -v[58:59]
	v_add_f64 v[26:27], v[56:57], v[26:27]
	s_waitcnt lgkmcnt(0)
	v_mul_f64 v[56:57], v[14:15], v[54:55]
	v_mul_f64 v[54:55], v[12:13], v[54:55]
	v_fma_f64 v[10:11], v[10:11], v[48:49], v[50:51]
	v_add_f64 v[28:29], v[2:3], v[28:29]
	ds_read_b128 v[2:5], v34 offset:15872
	ds_read_b128 v[6:9], v32 offset:496
	v_add_f64 v[26:27], v[26:27], v[60:61]
	v_mul_f64 v[60:61], v[18:19], v[22:23]
	v_fma_f64 v[12:13], v[12:13], v[52:53], -v[56:57]
	v_mul_f64 v[22:23], v[16:17], v[22:23]
	v_add_f64 v[24:25], v[28:29], v[24:25]
	s_waitcnt lgkmcnt(0)
	v_mul_f64 v[28:29], v[4:5], v[8:9]
	v_fma_f64 v[14:15], v[14:15], v[52:53], v[54:55]
	v_mul_f64 v[8:9], v[2:3], v[8:9]
	v_add_f64 v[26:27], v[26:27], v[58:59]
	v_fma_f64 v[16:17], v[16:17], v[20:21], -v[60:61]
	v_fma_f64 v[18:19], v[18:19], v[20:21], v[22:23]
	v_add_f64 v[10:11], v[24:25], v[10:11]
	v_fma_f64 v[2:3], v[2:3], v[6:7], -v[28:29]
	v_fma_f64 v[4:5], v[4:5], v[6:7], v[8:9]
	v_add_f64 v[12:13], v[26:27], v[12:13]
	v_add_f64 v[10:11], v[10:11], v[14:15]
	v_add_f64 v[12:13], v[12:13], v[16:17]
	v_add_f64 v[6:7], v[10:11], v[18:19]
	v_add_f64 v[2:3], v[12:13], v[2:3]
	v_add_f64 v[4:5], v[6:7], v[4:5]
	v_mul_f64 v[6:7], s[28:29], v[2:3]
	v_mul_f64 v[2:3], s[30:31], v[2:3]
	v_fma_f64 v[6:7], s[30:31], v[4:5], v[6:7]
	v_fma_f64 v[4:5], s[28:29], v[4:5], -v[2:3]
	s_waitcnt vmcnt(0)
	v_add_f64 v[2:3], v[44:45], v[6:7]
	v_add_f64 v[4:5], v[46:47], v[4:5]
	flat_store_dwordx4 v[30:31], v[2:5]
	s_branch .LBB1895_3
.LBB1895_16:
	s_endpgm
	.section	.rodata,"a",@progbits
	.p2align	6, 0x0
	.amdhsa_kernel _ZL26rocblas_syr2k_her2k_kernelIlLb1ELb1ELb1ELi32EPK19rocblas_complex_numIdEPKS3_PKPS1_EvbiT_T4_T5_S9_lSB_S9_lT6_S9_li
		.amdhsa_group_segment_fixed_size 32768
		.amdhsa_private_segment_fixed_size 0
		.amdhsa_kernarg_size 100
		.amdhsa_user_sgpr_count 6
		.amdhsa_user_sgpr_private_segment_buffer 1
		.amdhsa_user_sgpr_dispatch_ptr 0
		.amdhsa_user_sgpr_queue_ptr 0
		.amdhsa_user_sgpr_kernarg_segment_ptr 1
		.amdhsa_user_sgpr_dispatch_id 0
		.amdhsa_user_sgpr_flat_scratch_init 0
		.amdhsa_user_sgpr_private_segment_size 0
		.amdhsa_uses_dynamic_stack 0
		.amdhsa_system_sgpr_private_segment_wavefront_offset 0
		.amdhsa_system_sgpr_workgroup_id_x 1
		.amdhsa_system_sgpr_workgroup_id_y 1
		.amdhsa_system_sgpr_workgroup_id_z 1
		.amdhsa_system_sgpr_workgroup_info 0
		.amdhsa_system_vgpr_workitem_id 1
		.amdhsa_next_free_vgpr 64
		.amdhsa_next_free_sgpr 61
		.amdhsa_reserve_vcc 1
		.amdhsa_reserve_flat_scratch 0
		.amdhsa_float_round_mode_32 0
		.amdhsa_float_round_mode_16_64 0
		.amdhsa_float_denorm_mode_32 3
		.amdhsa_float_denorm_mode_16_64 3
		.amdhsa_dx10_clamp 1
		.amdhsa_ieee_mode 1
		.amdhsa_fp16_overflow 0
		.amdhsa_exception_fp_ieee_invalid_op 0
		.amdhsa_exception_fp_denorm_src 0
		.amdhsa_exception_fp_ieee_div_zero 0
		.amdhsa_exception_fp_ieee_overflow 0
		.amdhsa_exception_fp_ieee_underflow 0
		.amdhsa_exception_fp_ieee_inexact 0
		.amdhsa_exception_int_div_zero 0
	.end_amdhsa_kernel
	.section	.text._ZL26rocblas_syr2k_her2k_kernelIlLb1ELb1ELb1ELi32EPK19rocblas_complex_numIdEPKS3_PKPS1_EvbiT_T4_T5_S9_lSB_S9_lT6_S9_li,"axG",@progbits,_ZL26rocblas_syr2k_her2k_kernelIlLb1ELb1ELb1ELi32EPK19rocblas_complex_numIdEPKS3_PKPS1_EvbiT_T4_T5_S9_lSB_S9_lT6_S9_li,comdat
.Lfunc_end1895:
	.size	_ZL26rocblas_syr2k_her2k_kernelIlLb1ELb1ELb1ELi32EPK19rocblas_complex_numIdEPKS3_PKPS1_EvbiT_T4_T5_S9_lSB_S9_lT6_S9_li, .Lfunc_end1895-_ZL26rocblas_syr2k_her2k_kernelIlLb1ELb1ELb1ELi32EPK19rocblas_complex_numIdEPKS3_PKPS1_EvbiT_T4_T5_S9_lSB_S9_lT6_S9_li
                                        ; -- End function
	.set _ZL26rocblas_syr2k_her2k_kernelIlLb1ELb1ELb1ELi32EPK19rocblas_complex_numIdEPKS3_PKPS1_EvbiT_T4_T5_S9_lSB_S9_lT6_S9_li.num_vgpr, 64
	.set _ZL26rocblas_syr2k_her2k_kernelIlLb1ELb1ELb1ELi32EPK19rocblas_complex_numIdEPKS3_PKPS1_EvbiT_T4_T5_S9_lSB_S9_lT6_S9_li.num_agpr, 0
	.set _ZL26rocblas_syr2k_her2k_kernelIlLb1ELb1ELb1ELi32EPK19rocblas_complex_numIdEPKS3_PKPS1_EvbiT_T4_T5_S9_lSB_S9_lT6_S9_li.numbered_sgpr, 40
	.set _ZL26rocblas_syr2k_her2k_kernelIlLb1ELb1ELb1ELi32EPK19rocblas_complex_numIdEPKS3_PKPS1_EvbiT_T4_T5_S9_lSB_S9_lT6_S9_li.num_named_barrier, 0
	.set _ZL26rocblas_syr2k_her2k_kernelIlLb1ELb1ELb1ELi32EPK19rocblas_complex_numIdEPKS3_PKPS1_EvbiT_T4_T5_S9_lSB_S9_lT6_S9_li.private_seg_size, 0
	.set _ZL26rocblas_syr2k_her2k_kernelIlLb1ELb1ELb1ELi32EPK19rocblas_complex_numIdEPKS3_PKPS1_EvbiT_T4_T5_S9_lSB_S9_lT6_S9_li.uses_vcc, 1
	.set _ZL26rocblas_syr2k_her2k_kernelIlLb1ELb1ELb1ELi32EPK19rocblas_complex_numIdEPKS3_PKPS1_EvbiT_T4_T5_S9_lSB_S9_lT6_S9_li.uses_flat_scratch, 0
	.set _ZL26rocblas_syr2k_her2k_kernelIlLb1ELb1ELb1ELi32EPK19rocblas_complex_numIdEPKS3_PKPS1_EvbiT_T4_T5_S9_lSB_S9_lT6_S9_li.has_dyn_sized_stack, 0
	.set _ZL26rocblas_syr2k_her2k_kernelIlLb1ELb1ELb1ELi32EPK19rocblas_complex_numIdEPKS3_PKPS1_EvbiT_T4_T5_S9_lSB_S9_lT6_S9_li.has_recursion, 0
	.set _ZL26rocblas_syr2k_her2k_kernelIlLb1ELb1ELb1ELi32EPK19rocblas_complex_numIdEPKS3_PKPS1_EvbiT_T4_T5_S9_lSB_S9_lT6_S9_li.has_indirect_call, 0
	.section	.AMDGPU.csdata,"",@progbits
; Kernel info:
; codeLenInByte = 5516
; TotalNumSgprs: 44
; NumVgprs: 64
; ScratchSize: 0
; MemoryBound: 1
; FloatMode: 240
; IeeeMode: 1
; LDSByteSize: 32768 bytes/workgroup (compile time only)
; SGPRBlocks: 8
; VGPRBlocks: 15
; NumSGPRsForWavesPerEU: 65
; NumVGPRsForWavesPerEU: 64
; Occupancy: 4
; WaveLimiterHint : 1
; COMPUTE_PGM_RSRC2:SCRATCH_EN: 0
; COMPUTE_PGM_RSRC2:USER_SGPR: 6
; COMPUTE_PGM_RSRC2:TRAP_HANDLER: 0
; COMPUTE_PGM_RSRC2:TGID_X_EN: 1
; COMPUTE_PGM_RSRC2:TGID_Y_EN: 1
; COMPUTE_PGM_RSRC2:TGID_Z_EN: 1
; COMPUTE_PGM_RSRC2:TIDIG_COMP_CNT: 1
	.section	.text._ZL26rocblas_syr2k_her2k_kernelIiLb1ELb0ELb0ELi32EfPKfPfEvbiT_T4_T5_S3_lS5_S3_lT6_S3_li,"axG",@progbits,_ZL26rocblas_syr2k_her2k_kernelIiLb1ELb0ELb0ELi32EfPKfPfEvbiT_T4_T5_S3_lS5_S3_lT6_S3_li,comdat
	.globl	_ZL26rocblas_syr2k_her2k_kernelIiLb1ELb0ELb0ELi32EfPKfPfEvbiT_T4_T5_S3_lS5_S3_lT6_S3_li ; -- Begin function _ZL26rocblas_syr2k_her2k_kernelIiLb1ELb0ELb0ELi32EfPKfPfEvbiT_T4_T5_S3_lS5_S3_lT6_S3_li
	.p2align	8
	.type	_ZL26rocblas_syr2k_her2k_kernelIiLb1ELb0ELb0ELi32EfPKfPfEvbiT_T4_T5_S3_lS5_S3_lT6_S3_li,@function
_ZL26rocblas_syr2k_her2k_kernelIiLb1ELb0ELb0ELi32EfPKfPfEvbiT_T4_T5_S3_lS5_S3_lT6_S3_li: ; @_ZL26rocblas_syr2k_her2k_kernelIiLb1ELb0ELb0ELi32EfPKfPfEvbiT_T4_T5_S3_lS5_S3_lT6_S3_li
; %bb.0:
	s_load_dwordx4 s[12:15], s[4:5], 0x0
	s_waitcnt lgkmcnt(0)
	v_cmp_eq_f32_e64 s[0:1], s15, 0
	s_and_b64 vcc, exec, s[0:1]
	s_cbranch_vccnz .LBB1896_17
; %bb.1:
	s_and_b32 s2, 1, s12
	s_lshl_b32 s0, s7, 5
	s_lshl_b32 s1, s6, 5
	s_cmp_eq_u32 s2, 1
	s_cselect_b64 vcc, -1, 0
	s_and_b64 s[2:3], vcc, exec
	s_cselect_b32 s2, s1, s0
	s_cselect_b32 s3, s0, s1
	s_cmp_gt_i32 s2, s3
	s_cbranch_scc1 .LBB1896_17
; %bb.2:
	s_cmp_lt_i32 s14, 1
	s_cbranch_scc1 .LBB1896_17
; %bb.3:
	s_load_dwordx2 s[2:3], s[4:5], 0x10
	s_load_dword s12, s[4:5], 0x18
	s_load_dwordx4 s[20:23], s[4:5], 0x20
	s_load_dword s16, s[4:5], 0x30
	s_load_dwordx4 s[24:27], s[4:5], 0x38
	s_load_dword s9, s[4:5], 0x48
	s_load_dwordx2 s[6:7], s[4:5], 0x50
	s_waitcnt lgkmcnt(0)
	s_mul_i32 s4, s21, s8
	s_mul_hi_u32 s5, s20, s8
	s_add_i32 s5, s5, s4
	s_mul_i32 s4, s20, s8
	s_lshl_b64 s[4:5], s[4:5], 2
	s_add_u32 s10, s2, s4
	s_addc_u32 s11, s3, s5
	s_mul_i32 s2, s25, s8
	s_mul_hi_u32 s3, s24, s8
	v_add_u32_e32 v3, s1, v0
	s_add_i32 s3, s3, s2
	s_mul_i32 s2, s24, s8
	v_ashrrev_i32_e32 v4, 31, v3
	s_lshl_b64 s[2:3], s[2:3], 2
	v_lshlrev_b64 v[12:13], 2, v[3:4]
	s_add_u32 s17, s22, s2
	v_add_u32_e32 v2, s0, v1
	s_addc_u32 s18, s23, s3
	s_mul_i32 s2, s7, s8
	s_mul_hi_u32 s3, s6, s8
	v_cndmask_b32_e32 v16, v3, v2, vcc
	v_cndmask_b32_e32 v17, v2, v3, vcc
	v_cmp_gt_i32_e32 vcc, s13, v3
	v_mov_b32_e32 v3, s11
	v_add_co_u32_e64 v4, s[0:1], s10, v12
	s_add_i32 s3, s3, s2
	s_mul_i32 s2, s6, s8
	v_addc_co_u32_e64 v5, s[0:1], v3, v13, s[0:1]
	v_ashrrev_i32_e32 v3, 31, v2
	s_lshl_b64 s[2:3], s[2:3], 2
	v_lshlrev_b64 v[14:15], 2, v[2:3]
	s_add_u32 s6, s26, s2
	s_addc_u32 s7, s27, s3
	v_mov_b32_e32 v3, s18
	v_add_co_u32_e64 v8, s[2:3], s17, v14
	v_cmp_gt_i32_e64 s[0:1], s13, v2
	v_addc_co_u32_e64 v9, s[2:3], v3, v15, s[2:3]
	v_mad_i64_i32 v[2:3], s[2:3], s9, v2, 0
	v_cmp_le_i32_e64 s[2:3], v17, v16
	s_and_b64 s[4:5], s[0:1], vcc
	v_lshlrev_b64 v[2:3], 2, v[2:3]
	s_and_b64 s[4:5], s[4:5], s[2:3]
	v_mov_b32_e32 v16, s7
	v_add_co_u32_e64 v2, s[2:3], s6, v2
	v_addc_co_u32_e64 v3, s[2:3], v16, v3, s[2:3]
	v_add_co_u32_e64 v2, s[2:3], v2, v12
	v_addc_co_u32_e64 v3, s[2:3], v3, v13, s[2:3]
	v_mov_b32_e32 v16, s18
	v_add_co_u32_e64 v12, s[2:3], s17, v12
	v_lshlrev_b32_e32 v6, 7, v0
	v_lshlrev_b32_e32 v10, 2, v1
	v_addc_co_u32_e64 v13, s[2:3], v16, v13, s[2:3]
	v_add_u32_e32 v7, v6, v10
	v_or_b32_e32 v10, 0x1000, v10
	v_mov_b32_e32 v16, s11
	v_add_co_u32_e64 v14, s[2:3], s10, v14
	v_add_u32_e32 v11, v10, v6
	v_addc_co_u32_e64 v15, s[2:3], v16, v15, s[2:3]
	s_mov_b32 s13, 0
	v_add_u32_e32 v16, 0x400, v10
	v_add_u32_e32 v17, 0x800, v10
	;; [unrolled: 1-line block ×3, first 2 shown]
	s_branch .LBB1896_5
.LBB1896_4:                             ;   in Loop: Header=BB1896_5 Depth=1
	s_or_b64 exec, exec, s[2:3]
	s_add_i32 s13, s13, 32
	s_cmp_lt_i32 s13, s14
	s_waitcnt vmcnt(0)
	s_barrier
	s_cbranch_scc0 .LBB1896_17
.LBB1896_5:                             ; =>This Inner Loop Header: Depth=1
	v_add_u32_e32 v19, s13, v1
	v_cmp_gt_i32_e64 s[2:3], s14, v19
	s_and_b64 s[6:7], vcc, s[2:3]
	v_mov_b32_e32 v20, 0
	s_and_saveexec_b64 s[8:9], s[6:7]
	s_cbranch_execz .LBB1896_7
; %bb.6:                                ;   in Loop: Header=BB1896_5 Depth=1
	v_mad_i64_i32 v[20:21], s[2:3], v19, s12, 0
	v_lshlrev_b64 v[20:21], 2, v[20:21]
	v_add_co_u32_e64 v20, s[2:3], v4, v20
	v_addc_co_u32_e64 v21, s[2:3], v5, v21, s[2:3]
	global_load_dword v20, v[20:21], off
.LBB1896_7:                             ;   in Loop: Header=BB1896_5 Depth=1
	s_or_b64 exec, exec, s[8:9]
	s_waitcnt vmcnt(0)
	ds_write_b32 v7, v20
	v_add_u32_e32 v20, s13, v0
	v_cmp_gt_i32_e64 s[2:3], s14, v20
	s_and_b64 s[8:9], s[0:1], s[2:3]
	v_mov_b32_e32 v21, 0
	s_and_saveexec_b64 s[10:11], s[8:9]
	s_cbranch_execz .LBB1896_9
; %bb.8:                                ;   in Loop: Header=BB1896_5 Depth=1
	v_mad_i64_i32 v[21:22], s[2:3], v20, s16, 0
	v_lshlrev_b64 v[21:22], 2, v[21:22]
	v_add_co_u32_e64 v21, s[2:3], v8, v21
	v_addc_co_u32_e64 v22, s[2:3], v9, v22, s[2:3]
	global_load_dword v21, v[21:22], off
.LBB1896_9:                             ;   in Loop: Header=BB1896_5 Depth=1
	s_or_b64 exec, exec, s[10:11]
	s_waitcnt vmcnt(0)
	ds_write_b32 v11, v21
	s_waitcnt lgkmcnt(0)
	s_barrier
	s_and_saveexec_b64 s[2:3], s[4:5]
	s_cbranch_execz .LBB1896_11
; %bb.10:                               ;   in Loop: Header=BB1896_5 Depth=1
	global_load_dword v35, v[2:3], off
	ds_read_b128 v[21:24], v6
	ds_read2_b32 v[29:30], v10 offset1:32
	ds_read2_b32 v[31:32], v10 offset0:64 offset1:96
	ds_read_b128 v[25:28], v6 offset:16
	s_waitcnt lgkmcnt(2)
	v_fma_f32 v36, v21, v29, 0
	v_fmac_f32_e32 v36, v22, v30
	ds_read2_b32 v[29:30], v10 offset0:128 offset1:160
	s_waitcnt lgkmcnt(2)
	v_fmac_f32_e32 v36, v23, v31
	v_fmac_f32_e32 v36, v24, v32
	ds_read2_b32 v[31:32], v10 offset0:192 offset1:224
	ds_read_b128 v[21:24], v6 offset:32
	ds_read2_b32 v[33:34], v16 offset1:32
	s_waitcnt lgkmcnt(3)
	v_fmac_f32_e32 v36, v25, v29
	v_fmac_f32_e32 v36, v26, v30
	ds_read2_b32 v[29:30], v16 offset0:64 offset1:96
	s_waitcnt lgkmcnt(3)
	v_fmac_f32_e32 v36, v27, v31
	v_fmac_f32_e32 v36, v28, v32
	ds_read_b128 v[25:28], v6 offset:48
	s_waitcnt lgkmcnt(2)
	v_fmac_f32_e32 v36, v21, v33
	ds_read2_b32 v[31:32], v16 offset0:128 offset1:160
	v_fmac_f32_e32 v36, v22, v34
	s_waitcnt lgkmcnt(2)
	v_fmac_f32_e32 v36, v23, v29
	v_fmac_f32_e32 v36, v24, v30
	ds_read2_b32 v[29:30], v16 offset0:192 offset1:224
	s_waitcnt lgkmcnt(1)
	v_fmac_f32_e32 v36, v25, v31
	v_fmac_f32_e32 v36, v26, v32
	ds_read_b128 v[21:24], v6 offset:64
	ds_read2_b32 v[31:32], v17 offset1:32
	s_waitcnt lgkmcnt(2)
	v_fmac_f32_e32 v36, v27, v29
	v_fmac_f32_e32 v36, v28, v30
	ds_read2_b32 v[29:30], v17 offset0:64 offset1:96
	ds_read_b128 v[25:28], v6 offset:80
	s_waitcnt lgkmcnt(2)
	v_fmac_f32_e32 v36, v21, v31
	ds_read2_b32 v[33:34], v17 offset0:128 offset1:160
	v_fmac_f32_e32 v36, v22, v32
	s_waitcnt lgkmcnt(2)
	v_fmac_f32_e32 v36, v23, v29
	v_fmac_f32_e32 v36, v24, v30
	ds_read2_b32 v[29:30], v17 offset0:192 offset1:224
	s_waitcnt lgkmcnt(1)
	v_fmac_f32_e32 v36, v25, v33
	ds_read_b128 v[21:24], v6 offset:96
	ds_read2_b32 v[31:32], v18 offset1:32
	v_fmac_f32_e32 v36, v26, v34
	s_waitcnt lgkmcnt(2)
	v_fmac_f32_e32 v36, v27, v29
	v_fmac_f32_e32 v36, v28, v30
	ds_read2_b32 v[29:30], v18 offset0:64 offset1:96
	ds_read_b128 v[25:28], v6 offset:112
	ds_read2_b32 v[33:34], v18 offset0:128 offset1:160
	s_waitcnt lgkmcnt(3)
	v_fmac_f32_e32 v36, v21, v31
	v_fmac_f32_e32 v36, v22, v32
	ds_read2_b32 v[21:22], v18 offset0:192 offset1:224
	s_waitcnt lgkmcnt(3)
	v_fmac_f32_e32 v36, v23, v29
	v_fmac_f32_e32 v36, v24, v30
	s_waitcnt lgkmcnt(1)
	v_fmac_f32_e32 v36, v25, v33
	v_fmac_f32_e32 v36, v26, v34
	;; [unrolled: 3-line block ×3, first 2 shown]
	s_waitcnt vmcnt(0)
	v_fmac_f32_e32 v35, s15, v36
	global_store_dword v[2:3], v35, off
.LBB1896_11:                            ;   in Loop: Header=BB1896_5 Depth=1
	s_or_b64 exec, exec, s[2:3]
	v_mov_b32_e32 v21, 0
	v_mov_b32_e32 v22, 0
	s_waitcnt vmcnt(0)
	s_barrier
	s_and_saveexec_b64 s[10:11], s[6:7]
	s_cbranch_execz .LBB1896_13
; %bb.12:                               ;   in Loop: Header=BB1896_5 Depth=1
	v_mad_i64_i32 v[22:23], s[2:3], v19, s16, 0
	v_lshlrev_b64 v[22:23], 2, v[22:23]
	v_add_co_u32_e64 v22, s[2:3], v12, v22
	v_addc_co_u32_e64 v23, s[2:3], v13, v23, s[2:3]
	global_load_dword v22, v[22:23], off
.LBB1896_13:                            ;   in Loop: Header=BB1896_5 Depth=1
	s_or_b64 exec, exec, s[10:11]
	s_waitcnt vmcnt(0)
	ds_write_b32 v7, v22
	s_and_saveexec_b64 s[6:7], s[8:9]
	s_cbranch_execz .LBB1896_15
; %bb.14:                               ;   in Loop: Header=BB1896_5 Depth=1
	v_mad_i64_i32 v[19:20], s[2:3], v20, s12, 0
	v_lshlrev_b64 v[19:20], 2, v[19:20]
	v_add_co_u32_e64 v19, s[2:3], v14, v19
	v_addc_co_u32_e64 v20, s[2:3], v15, v20, s[2:3]
	global_load_dword v21, v[19:20], off
.LBB1896_15:                            ;   in Loop: Header=BB1896_5 Depth=1
	s_or_b64 exec, exec, s[6:7]
	s_waitcnt vmcnt(0)
	ds_write_b32 v11, v21
	s_waitcnt lgkmcnt(0)
	s_barrier
	s_and_saveexec_b64 s[2:3], s[4:5]
	s_cbranch_execz .LBB1896_4
; %bb.16:                               ;   in Loop: Header=BB1896_5 Depth=1
	global_load_dword v33, v[2:3], off
	ds_read_b128 v[19:22], v6
	ds_read2_b32 v[27:28], v10 offset1:32
	ds_read2_b32 v[29:30], v10 offset0:64 offset1:96
	ds_read_b128 v[23:26], v6 offset:16
	ds_read2_b32 v[31:32], v10 offset0:192 offset1:224
	s_waitcnt lgkmcnt(3)
	v_fma_f32 v34, v19, v27, 0
	v_fmac_f32_e32 v34, v20, v28
	ds_read2_b32 v[27:28], v10 offset0:128 offset1:160
	s_waitcnt lgkmcnt(3)
	v_fmac_f32_e32 v34, v21, v29
	v_fmac_f32_e32 v34, v22, v30
	ds_read_b128 v[19:22], v6 offset:32
	s_waitcnt lgkmcnt(1)
	v_fmac_f32_e32 v34, v23, v27
	v_fmac_f32_e32 v34, v24, v28
	ds_read2_b32 v[27:28], v16 offset1:32
	v_fmac_f32_e32 v34, v25, v31
	v_fmac_f32_e32 v34, v26, v32
	ds_read2_b32 v[29:30], v16 offset0:64 offset1:96
	ds_read_b128 v[23:26], v6 offset:48
	ds_read2_b32 v[31:32], v16 offset0:128 offset1:160
	s_waitcnt lgkmcnt(3)
	v_fmac_f32_e32 v34, v19, v27
	v_fmac_f32_e32 v34, v20, v28
	s_waitcnt lgkmcnt(2)
	v_fmac_f32_e32 v34, v21, v29
	v_fmac_f32_e32 v34, v22, v30
	ds_read2_b32 v[27:28], v16 offset0:192 offset1:224
	ds_read_b128 v[19:22], v6 offset:64
	ds_read2_b32 v[29:30], v17 offset1:32
	s_waitcnt lgkmcnt(3)
	v_fmac_f32_e32 v34, v23, v31
	v_fmac_f32_e32 v34, v24, v32
	ds_read2_b32 v[31:32], v17 offset0:64 offset1:96
	s_waitcnt lgkmcnt(3)
	v_fmac_f32_e32 v34, v25, v27
	v_fmac_f32_e32 v34, v26, v28
	ds_read_b128 v[23:26], v6 offset:80
	ds_read2_b32 v[27:28], v17 offset0:128 offset1:160
	s_waitcnt lgkmcnt(3)
	v_fmac_f32_e32 v34, v19, v29
	v_fmac_f32_e32 v34, v20, v30
	s_waitcnt lgkmcnt(2)
	v_fmac_f32_e32 v34, v21, v31
	v_fmac_f32_e32 v34, v22, v32
	ds_read2_b32 v[29:30], v17 offset0:192 offset1:224
	ds_read_b128 v[19:22], v6 offset:96
	ds_read2_b32 v[31:32], v18 offset1:32
	s_waitcnt lgkmcnt(3)
	v_fmac_f32_e32 v34, v23, v27
	v_fmac_f32_e32 v34, v24, v28
	s_waitcnt lgkmcnt(2)
	v_fmac_f32_e32 v34, v25, v29
	v_fmac_f32_e32 v34, v26, v30
	ds_read2_b32 v[27:28], v18 offset0:64 offset1:96
	ds_read_b128 v[23:26], v6 offset:112
	ds_read2_b32 v[29:30], v18 offset0:128 offset1:160
	s_waitcnt lgkmcnt(3)
	v_fmac_f32_e32 v34, v19, v31
	v_fmac_f32_e32 v34, v20, v32
	ds_read2_b32 v[19:20], v18 offset0:192 offset1:224
	s_waitcnt lgkmcnt(3)
	v_fmac_f32_e32 v34, v21, v27
	v_fmac_f32_e32 v34, v22, v28
	s_waitcnt lgkmcnt(1)
	v_fmac_f32_e32 v34, v23, v29
	v_fmac_f32_e32 v34, v24, v30
	;; [unrolled: 3-line block ×3, first 2 shown]
	s_waitcnt vmcnt(0)
	v_fmac_f32_e32 v33, s15, v34
	global_store_dword v[2:3], v33, off
	s_branch .LBB1896_4
.LBB1896_17:
	s_endpgm
	.section	.rodata,"a",@progbits
	.p2align	6, 0x0
	.amdhsa_kernel _ZL26rocblas_syr2k_her2k_kernelIiLb1ELb0ELb0ELi32EfPKfPfEvbiT_T4_T5_S3_lS5_S3_lT6_S3_li
		.amdhsa_group_segment_fixed_size 8192
		.amdhsa_private_segment_fixed_size 0
		.amdhsa_kernarg_size 92
		.amdhsa_user_sgpr_count 6
		.amdhsa_user_sgpr_private_segment_buffer 1
		.amdhsa_user_sgpr_dispatch_ptr 0
		.amdhsa_user_sgpr_queue_ptr 0
		.amdhsa_user_sgpr_kernarg_segment_ptr 1
		.amdhsa_user_sgpr_dispatch_id 0
		.amdhsa_user_sgpr_flat_scratch_init 0
		.amdhsa_user_sgpr_private_segment_size 0
		.amdhsa_uses_dynamic_stack 0
		.amdhsa_system_sgpr_private_segment_wavefront_offset 0
		.amdhsa_system_sgpr_workgroup_id_x 1
		.amdhsa_system_sgpr_workgroup_id_y 1
		.amdhsa_system_sgpr_workgroup_id_z 1
		.amdhsa_system_sgpr_workgroup_info 0
		.amdhsa_system_vgpr_workitem_id 1
		.amdhsa_next_free_vgpr 37
		.amdhsa_next_free_sgpr 61
		.amdhsa_reserve_vcc 1
		.amdhsa_reserve_flat_scratch 0
		.amdhsa_float_round_mode_32 0
		.amdhsa_float_round_mode_16_64 0
		.amdhsa_float_denorm_mode_32 3
		.amdhsa_float_denorm_mode_16_64 3
		.amdhsa_dx10_clamp 1
		.amdhsa_ieee_mode 1
		.amdhsa_fp16_overflow 0
		.amdhsa_exception_fp_ieee_invalid_op 0
		.amdhsa_exception_fp_denorm_src 0
		.amdhsa_exception_fp_ieee_div_zero 0
		.amdhsa_exception_fp_ieee_overflow 0
		.amdhsa_exception_fp_ieee_underflow 0
		.amdhsa_exception_fp_ieee_inexact 0
		.amdhsa_exception_int_div_zero 0
	.end_amdhsa_kernel
	.section	.text._ZL26rocblas_syr2k_her2k_kernelIiLb1ELb0ELb0ELi32EfPKfPfEvbiT_T4_T5_S3_lS5_S3_lT6_S3_li,"axG",@progbits,_ZL26rocblas_syr2k_her2k_kernelIiLb1ELb0ELb0ELi32EfPKfPfEvbiT_T4_T5_S3_lS5_S3_lT6_S3_li,comdat
.Lfunc_end1896:
	.size	_ZL26rocblas_syr2k_her2k_kernelIiLb1ELb0ELb0ELi32EfPKfPfEvbiT_T4_T5_S3_lS5_S3_lT6_S3_li, .Lfunc_end1896-_ZL26rocblas_syr2k_her2k_kernelIiLb1ELb0ELb0ELi32EfPKfPfEvbiT_T4_T5_S3_lS5_S3_lT6_S3_li
                                        ; -- End function
	.set _ZL26rocblas_syr2k_her2k_kernelIiLb1ELb0ELb0ELi32EfPKfPfEvbiT_T4_T5_S3_lS5_S3_lT6_S3_li.num_vgpr, 37
	.set _ZL26rocblas_syr2k_her2k_kernelIiLb1ELb0ELb0ELi32EfPKfPfEvbiT_T4_T5_S3_lS5_S3_lT6_S3_li.num_agpr, 0
	.set _ZL26rocblas_syr2k_her2k_kernelIiLb1ELb0ELb0ELi32EfPKfPfEvbiT_T4_T5_S3_lS5_S3_lT6_S3_li.numbered_sgpr, 28
	.set _ZL26rocblas_syr2k_her2k_kernelIiLb1ELb0ELb0ELi32EfPKfPfEvbiT_T4_T5_S3_lS5_S3_lT6_S3_li.num_named_barrier, 0
	.set _ZL26rocblas_syr2k_her2k_kernelIiLb1ELb0ELb0ELi32EfPKfPfEvbiT_T4_T5_S3_lS5_S3_lT6_S3_li.private_seg_size, 0
	.set _ZL26rocblas_syr2k_her2k_kernelIiLb1ELb0ELb0ELi32EfPKfPfEvbiT_T4_T5_S3_lS5_S3_lT6_S3_li.uses_vcc, 1
	.set _ZL26rocblas_syr2k_her2k_kernelIiLb1ELb0ELb0ELi32EfPKfPfEvbiT_T4_T5_S3_lS5_S3_lT6_S3_li.uses_flat_scratch, 0
	.set _ZL26rocblas_syr2k_her2k_kernelIiLb1ELb0ELb0ELi32EfPKfPfEvbiT_T4_T5_S3_lS5_S3_lT6_S3_li.has_dyn_sized_stack, 0
	.set _ZL26rocblas_syr2k_her2k_kernelIiLb1ELb0ELb0ELi32EfPKfPfEvbiT_T4_T5_S3_lS5_S3_lT6_S3_li.has_recursion, 0
	.set _ZL26rocblas_syr2k_her2k_kernelIiLb1ELb0ELb0ELi32EfPKfPfEvbiT_T4_T5_S3_lS5_S3_lT6_S3_li.has_indirect_call, 0
	.section	.AMDGPU.csdata,"",@progbits
; Kernel info:
; codeLenInByte = 1676
; TotalNumSgprs: 32
; NumVgprs: 37
; ScratchSize: 0
; MemoryBound: 0
; FloatMode: 240
; IeeeMode: 1
; LDSByteSize: 8192 bytes/workgroup (compile time only)
; SGPRBlocks: 8
; VGPRBlocks: 9
; NumSGPRsForWavesPerEU: 65
; NumVGPRsForWavesPerEU: 37
; Occupancy: 6
; WaveLimiterHint : 0
; COMPUTE_PGM_RSRC2:SCRATCH_EN: 0
; COMPUTE_PGM_RSRC2:USER_SGPR: 6
; COMPUTE_PGM_RSRC2:TRAP_HANDLER: 0
; COMPUTE_PGM_RSRC2:TGID_X_EN: 1
; COMPUTE_PGM_RSRC2:TGID_Y_EN: 1
; COMPUTE_PGM_RSRC2:TGID_Z_EN: 1
; COMPUTE_PGM_RSRC2:TIDIG_COMP_CNT: 1
	.section	.text._ZL26rocblas_syr2k_her2k_kernelIiLb1ELb0ELb1ELi32EfPKfPfEvbiT_T4_T5_S3_lS5_S3_lT6_S3_li,"axG",@progbits,_ZL26rocblas_syr2k_her2k_kernelIiLb1ELb0ELb1ELi32EfPKfPfEvbiT_T4_T5_S3_lS5_S3_lT6_S3_li,comdat
	.globl	_ZL26rocblas_syr2k_her2k_kernelIiLb1ELb0ELb1ELi32EfPKfPfEvbiT_T4_T5_S3_lS5_S3_lT6_S3_li ; -- Begin function _ZL26rocblas_syr2k_her2k_kernelIiLb1ELb0ELb1ELi32EfPKfPfEvbiT_T4_T5_S3_lS5_S3_lT6_S3_li
	.p2align	8
	.type	_ZL26rocblas_syr2k_her2k_kernelIiLb1ELb0ELb1ELi32EfPKfPfEvbiT_T4_T5_S3_lS5_S3_lT6_S3_li,@function
_ZL26rocblas_syr2k_her2k_kernelIiLb1ELb0ELb1ELi32EfPKfPfEvbiT_T4_T5_S3_lS5_S3_lT6_S3_li: ; @_ZL26rocblas_syr2k_her2k_kernelIiLb1ELb0ELb1ELi32EfPKfPfEvbiT_T4_T5_S3_lS5_S3_lT6_S3_li
; %bb.0:
	s_load_dwordx4 s[12:15], s[4:5], 0x0
	s_waitcnt lgkmcnt(0)
	v_cmp_eq_f32_e64 s[0:1], s15, 0
	s_and_b64 vcc, exec, s[0:1]
	s_cbranch_vccnz .LBB1897_17
; %bb.1:
	s_and_b32 s2, 1, s12
	s_lshl_b32 s0, s7, 5
	s_lshl_b32 s1, s6, 5
	s_cmp_eq_u32 s2, 1
	s_cselect_b64 vcc, -1, 0
	s_and_b64 s[2:3], vcc, exec
	s_cselect_b32 s2, s1, s0
	s_cselect_b32 s3, s0, s1
	s_cmp_gt_i32 s2, s3
	s_cbranch_scc1 .LBB1897_17
; %bb.2:
	s_cmp_lt_i32 s14, 1
	s_cbranch_scc1 .LBB1897_17
; %bb.3:
	v_add_u32_e32 v2, s1, v0
	s_load_dwordx2 s[2:3], s[4:5], 0x10
	s_load_dword s9, s[4:5], 0x18
	s_load_dwordx4 s[16:19], s[4:5], 0x20
	s_load_dword s10, s[4:5], 0x30
	s_load_dwordx4 s[20:23], s[4:5], 0x38
	s_load_dword s11, s[4:5], 0x48
	s_load_dwordx2 s[6:7], s[4:5], 0x50
	v_add_u32_e32 v7, s0, v1
	s_waitcnt lgkmcnt(0)
	v_mad_i64_i32 v[4:5], s[0:1], s9, v2, 0
	s_mul_i32 s4, s17, s8
	s_mul_hi_u32 s5, s16, s8
	s_add_i32 s5, s5, s4
	s_mul_i32 s4, s16, s8
	s_lshl_b64 s[4:5], s[4:5], 2
	s_add_u32 s12, s2, s4
	v_lshlrev_b64 v[4:5], 2, v[4:5]
	s_addc_u32 s16, s3, s5
	s_mul_i32 s2, s21, s8
	s_mul_hi_u32 s3, s20, s8
	s_add_i32 s3, s3, s2
	s_mul_i32 s2, s20, s8
	v_mov_b32_e32 v9, s16
	v_add_co_u32_e64 v8, s[0:1], s12, v4
	s_lshl_b64 s[2:3], s[2:3], 2
	v_addc_co_u32_e64 v9, s[0:1], v9, v5, s[0:1]
	v_mad_i64_i32 v[4:5], s[0:1], s10, v7, 0
	s_add_u32 s17, s18, s2
	s_addc_u32 s18, s19, s3
	s_mul_i32 s2, s7, s8
	s_mul_hi_u32 s3, s6, s8
	s_add_i32 s3, s3, s2
	s_mul_i32 s2, s6, s8
	s_lshl_b64 s[2:3], s[2:3], 2
	v_lshlrev_b64 v[4:5], 2, v[4:5]
	s_add_u32 s6, s22, s2
	s_addc_u32 s7, s23, s3
	v_mov_b32_e32 v13, s18
	v_add_co_u32_e64 v12, s[2:3], s17, v4
	v_addc_co_u32_e64 v13, s[2:3], v13, v5, s[2:3]
	v_mad_i64_i32 v[4:5], s[2:3], s11, v7, 0
	v_cndmask_b32_e32 v6, v2, v7, vcc
	v_cndmask_b32_e32 v16, v7, v2, vcc
	v_cmp_gt_i32_e32 vcc, s13, v2
	v_cmp_gt_i32_e64 s[0:1], s13, v7
	v_lshlrev_b64 v[4:5], 2, v[4:5]
	v_cmp_le_i32_e64 s[2:3], v16, v6
	s_and_b64 s[4:5], s[0:1], vcc
	s_and_b64 s[4:5], s[4:5], s[2:3]
	v_mov_b32_e32 v6, s7
	v_add_co_u32_e64 v16, s[2:3], s6, v4
	v_ashrrev_i32_e32 v3, 31, v2
	v_addc_co_u32_e64 v17, s[2:3], v6, v5, s[2:3]
	v_mad_i64_i32 v[5:6], s[2:3], s10, v2, 0
	v_lshlrev_b64 v[3:4], 2, v[2:3]
	v_lshlrev_b32_e32 v10, 7, v0
	v_add_co_u32_e64 v2, s[2:3], v16, v3
	v_addc_co_u32_e64 v3, s[2:3], v17, v4, s[2:3]
	v_lshlrev_b64 v[4:5], 2, v[5:6]
	v_mad_i64_i32 v[6:7], s[2:3], s9, v7, 0
	v_mov_b32_e32 v17, s18
	v_add_co_u32_e64 v16, s[2:3], s17, v4
	v_addc_co_u32_e64 v17, s[2:3], v17, v5, s[2:3]
	v_lshlrev_b64 v[4:5], 2, v[6:7]
	v_lshlrev_b32_e32 v14, 2, v1
	v_add_u32_e32 v11, v10, v14
	v_or_b32_e32 v14, 0x1000, v14
	v_mov_b32_e32 v6, s16
	v_add_co_u32_e64 v18, s[2:3], s12, v4
	v_add_u32_e32 v15, v14, v10
	v_addc_co_u32_e64 v19, s[2:3], v6, v5, s[2:3]
	s_mov_b32 s12, 0
	v_add_u32_e32 v20, 0x400, v14
	v_add_u32_e32 v21, 0x800, v14
	;; [unrolled: 1-line block ×3, first 2 shown]
	s_branch .LBB1897_5
.LBB1897_4:                             ;   in Loop: Header=BB1897_5 Depth=1
	s_or_b64 exec, exec, s[2:3]
	s_add_i32 s12, s12, 32
	s_cmp_lt_i32 s12, s14
	s_waitcnt vmcnt(0)
	s_barrier
	s_cbranch_scc0 .LBB1897_17
.LBB1897_5:                             ; =>This Inner Loop Header: Depth=1
	v_add_u32_e32 v4, s12, v1
	v_cmp_gt_i32_e64 s[2:3], s14, v4
	s_and_b64 s[6:7], vcc, s[2:3]
	v_ashrrev_i32_e32 v5, 31, v4
	v_mov_b32_e32 v6, 0
	s_and_saveexec_b64 s[8:9], s[6:7]
	s_cbranch_execz .LBB1897_7
; %bb.6:                                ;   in Loop: Header=BB1897_5 Depth=1
	v_lshlrev_b64 v[6:7], 2, v[4:5]
	v_add_co_u32_e64 v6, s[2:3], v8, v6
	v_addc_co_u32_e64 v7, s[2:3], v9, v7, s[2:3]
	global_load_dword v6, v[6:7], off
.LBB1897_7:                             ;   in Loop: Header=BB1897_5 Depth=1
	s_or_b64 exec, exec, s[8:9]
	s_waitcnt vmcnt(0)
	ds_write_b32 v11, v6
	v_add_u32_e32 v6, s12, v0
	v_cmp_gt_i32_e64 s[2:3], s14, v6
	s_and_b64 s[8:9], s[0:1], s[2:3]
	v_mov_b32_e32 v23, 0
	v_ashrrev_i32_e32 v7, 31, v6
	s_and_saveexec_b64 s[10:11], s[8:9]
	s_cbranch_execz .LBB1897_9
; %bb.8:                                ;   in Loop: Header=BB1897_5 Depth=1
	v_lshlrev_b64 v[23:24], 2, v[6:7]
	v_add_co_u32_e64 v23, s[2:3], v12, v23
	v_addc_co_u32_e64 v24, s[2:3], v13, v24, s[2:3]
	global_load_dword v23, v[23:24], off
.LBB1897_9:                             ;   in Loop: Header=BB1897_5 Depth=1
	s_or_b64 exec, exec, s[10:11]
	s_waitcnt vmcnt(0)
	ds_write_b32 v15, v23
	s_waitcnt lgkmcnt(0)
	s_barrier
	s_and_saveexec_b64 s[2:3], s[4:5]
	s_cbranch_execz .LBB1897_11
; %bb.10:                               ;   in Loop: Header=BB1897_5 Depth=1
	global_load_dword v41, v[2:3], off
	ds_read_b128 v[23:26], v10
	ds_read2_b32 v[31:32], v14 offset1:32
	ds_read2_b32 v[33:34], v14 offset0:64 offset1:96
	ds_read_b128 v[27:30], v10 offset:16
	ds_read2_b32 v[35:36], v14 offset0:128 offset1:160
	s_waitcnt lgkmcnt(3)
	v_fma_f32 v42, v23, v31, 0
	v_fmac_f32_e32 v42, v24, v32
	s_waitcnt lgkmcnt(2)
	v_fmac_f32_e32 v42, v25, v33
	v_fmac_f32_e32 v42, v26, v34
	ds_read2_b32 v[37:38], v14 offset0:192 offset1:224
	ds_read_b128 v[23:26], v10 offset:32
	ds_read_b128 v[31:34], v10 offset:48
	ds_read2_b32 v[39:40], v20 offset1:32
	s_waitcnt lgkmcnt(4)
	v_fmac_f32_e32 v42, v27, v35
	v_fmac_f32_e32 v42, v28, v36
	ds_read2_b32 v[27:28], v20 offset0:64 offset1:96
	s_waitcnt lgkmcnt(4)
	v_fmac_f32_e32 v42, v29, v37
	v_fmac_f32_e32 v42, v30, v38
	s_waitcnt lgkmcnt(1)
	v_fmac_f32_e32 v42, v23, v39
	ds_read2_b32 v[29:30], v20 offset0:128 offset1:160
	v_fmac_f32_e32 v42, v24, v40
	s_waitcnt lgkmcnt(1)
	v_fmac_f32_e32 v42, v25, v27
	v_fmac_f32_e32 v42, v26, v28
	ds_read2_b32 v[27:28], v20 offset0:192 offset1:224
	s_waitcnt lgkmcnt(1)
	v_fmac_f32_e32 v42, v31, v29
	v_fmac_f32_e32 v42, v32, v30
	ds_read_b128 v[23:26], v10 offset:64
	ds_read2_b32 v[31:32], v21 offset1:32
	s_waitcnt lgkmcnt(2)
	v_fmac_f32_e32 v42, v33, v27
	v_fmac_f32_e32 v42, v34, v28
	ds_read2_b32 v[33:34], v21 offset0:64 offset1:96
	ds_read_b128 v[27:30], v10 offset:80
	ds_read2_b32 v[35:36], v21 offset0:128 offset1:160
	s_waitcnt lgkmcnt(3)
	v_fmac_f32_e32 v42, v23, v31
	v_fmac_f32_e32 v42, v24, v32
	ds_read2_b32 v[31:32], v21 offset0:192 offset1:224
	s_waitcnt lgkmcnt(3)
	v_fmac_f32_e32 v42, v25, v33
	v_fmac_f32_e32 v42, v26, v34
	s_waitcnt lgkmcnt(1)
	v_fmac_f32_e32 v42, v27, v35
	ds_read_b128 v[23:26], v10 offset:96
	ds_read2_b32 v[33:34], v22 offset1:32
	v_fmac_f32_e32 v42, v28, v36
	s_waitcnt lgkmcnt(2)
	v_fmac_f32_e32 v42, v29, v31
	v_fmac_f32_e32 v42, v30, v32
	ds_read2_b32 v[31:32], v22 offset0:64 offset1:96
	ds_read_b128 v[27:30], v10 offset:112
	ds_read2_b32 v[35:36], v22 offset0:128 offset1:160
	s_waitcnt lgkmcnt(3)
	v_fmac_f32_e32 v42, v23, v33
	v_fmac_f32_e32 v42, v24, v34
	ds_read2_b32 v[23:24], v22 offset0:192 offset1:224
	s_waitcnt lgkmcnt(3)
	v_fmac_f32_e32 v42, v25, v31
	v_fmac_f32_e32 v42, v26, v32
	s_waitcnt lgkmcnt(1)
	v_fmac_f32_e32 v42, v27, v35
	v_fmac_f32_e32 v42, v28, v36
	;; [unrolled: 3-line block ×3, first 2 shown]
	s_waitcnt vmcnt(0)
	v_fmac_f32_e32 v41, s15, v42
	global_store_dword v[2:3], v41, off
.LBB1897_11:                            ;   in Loop: Header=BB1897_5 Depth=1
	s_or_b64 exec, exec, s[2:3]
	v_mov_b32_e32 v23, 0
	v_mov_b32_e32 v24, 0
	s_waitcnt vmcnt(0)
	s_barrier
	s_and_saveexec_b64 s[10:11], s[6:7]
	s_cbranch_execz .LBB1897_13
; %bb.12:                               ;   in Loop: Header=BB1897_5 Depth=1
	v_lshlrev_b64 v[4:5], 2, v[4:5]
	v_add_co_u32_e64 v4, s[2:3], v16, v4
	v_addc_co_u32_e64 v5, s[2:3], v17, v5, s[2:3]
	global_load_dword v24, v[4:5], off
.LBB1897_13:                            ;   in Loop: Header=BB1897_5 Depth=1
	s_or_b64 exec, exec, s[10:11]
	s_waitcnt vmcnt(0)
	ds_write_b32 v11, v24
	s_and_saveexec_b64 s[6:7], s[8:9]
	s_cbranch_execz .LBB1897_15
; %bb.14:                               ;   in Loop: Header=BB1897_5 Depth=1
	v_lshlrev_b64 v[4:5], 2, v[6:7]
	v_add_co_u32_e64 v4, s[2:3], v18, v4
	v_addc_co_u32_e64 v5, s[2:3], v19, v5, s[2:3]
	global_load_dword v23, v[4:5], off
.LBB1897_15:                            ;   in Loop: Header=BB1897_5 Depth=1
	s_or_b64 exec, exec, s[6:7]
	s_waitcnt vmcnt(0)
	ds_write_b32 v15, v23
	s_waitcnt lgkmcnt(0)
	s_barrier
	s_and_saveexec_b64 s[2:3], s[4:5]
	s_cbranch_execz .LBB1897_4
; %bb.16:                               ;   in Loop: Header=BB1897_5 Depth=1
	global_load_dword v41, v[2:3], off
	ds_read2_b32 v[35:36], v14 offset1:32
	ds_read_b128 v[4:7], v10
	ds_read_b128 v[23:26], v10 offset:16
	ds_read2_b32 v[37:38], v14 offset0:64 offset1:96
	ds_read_b128 v[27:30], v10 offset:32
	ds_read_b128 v[31:34], v10 offset:48
	ds_read2_b32 v[39:40], v14 offset0:128 offset1:160
	s_waitcnt lgkmcnt(5)
	v_fma_f32 v35, v4, v35, 0
	v_fmac_f32_e32 v35, v5, v36
	ds_read2_b32 v[4:5], v14 offset0:192 offset1:224
	s_waitcnt lgkmcnt(4)
	v_fmac_f32_e32 v35, v6, v37
	v_fmac_f32_e32 v35, v7, v38
	ds_read2_b32 v[6:7], v20 offset1:32
	s_waitcnt lgkmcnt(2)
	v_fmac_f32_e32 v35, v23, v39
	v_fmac_f32_e32 v35, v24, v40
	ds_read2_b32 v[23:24], v20 offset0:64 offset1:96
	s_waitcnt lgkmcnt(2)
	v_fmac_f32_e32 v35, v25, v4
	v_fmac_f32_e32 v35, v26, v5
	s_waitcnt lgkmcnt(1)
	v_fmac_f32_e32 v35, v27, v6
	ds_read2_b32 v[4:5], v20 offset0:128 offset1:160
	v_fmac_f32_e32 v35, v28, v7
	s_waitcnt lgkmcnt(1)
	v_fmac_f32_e32 v35, v29, v23
	v_fmac_f32_e32 v35, v30, v24
	ds_read2_b32 v[23:24], v20 offset0:192 offset1:224
	s_waitcnt lgkmcnt(1)
	v_fmac_f32_e32 v35, v31, v4
	v_fmac_f32_e32 v35, v32, v5
	ds_read_b128 v[4:7], v10 offset:64
	ds_read2_b32 v[27:28], v21 offset1:32
	s_waitcnt lgkmcnt(2)
	v_fmac_f32_e32 v35, v33, v23
	v_fmac_f32_e32 v35, v34, v24
	ds_read2_b32 v[29:30], v21 offset0:64 offset1:96
	ds_read_b128 v[23:26], v10 offset:80
	ds_read2_b32 v[31:32], v21 offset0:128 offset1:160
	s_waitcnt lgkmcnt(3)
	v_fmac_f32_e32 v35, v4, v27
	v_fmac_f32_e32 v35, v5, v28
	ds_read2_b32 v[27:28], v21 offset0:192 offset1:224
	s_waitcnt lgkmcnt(3)
	v_fmac_f32_e32 v35, v6, v29
	v_fmac_f32_e32 v35, v7, v30
	s_waitcnt lgkmcnt(1)
	v_fmac_f32_e32 v35, v23, v31
	ds_read_b128 v[4:7], v10 offset:96
	ds_read2_b32 v[29:30], v22 offset1:32
	v_fmac_f32_e32 v35, v24, v32
	s_waitcnt lgkmcnt(2)
	v_fmac_f32_e32 v35, v25, v27
	v_fmac_f32_e32 v35, v26, v28
	ds_read2_b32 v[27:28], v22 offset0:64 offset1:96
	ds_read_b128 v[23:26], v10 offset:112
	ds_read2_b32 v[31:32], v22 offset0:128 offset1:160
	s_waitcnt lgkmcnt(3)
	v_fmac_f32_e32 v35, v4, v29
	v_fmac_f32_e32 v35, v5, v30
	ds_read2_b32 v[4:5], v22 offset0:192 offset1:224
	s_waitcnt lgkmcnt(3)
	v_fmac_f32_e32 v35, v6, v27
	v_fmac_f32_e32 v35, v7, v28
	s_waitcnt lgkmcnt(1)
	v_fmac_f32_e32 v35, v23, v31
	v_fmac_f32_e32 v35, v24, v32
	;; [unrolled: 3-line block ×3, first 2 shown]
	s_waitcnt vmcnt(0)
	v_fmac_f32_e32 v41, s15, v35
	global_store_dword v[2:3], v41, off
	s_branch .LBB1897_4
.LBB1897_17:
	s_endpgm
	.section	.rodata,"a",@progbits
	.p2align	6, 0x0
	.amdhsa_kernel _ZL26rocblas_syr2k_her2k_kernelIiLb1ELb0ELb1ELi32EfPKfPfEvbiT_T4_T5_S3_lS5_S3_lT6_S3_li
		.amdhsa_group_segment_fixed_size 8192
		.amdhsa_private_segment_fixed_size 0
		.amdhsa_kernarg_size 92
		.amdhsa_user_sgpr_count 6
		.amdhsa_user_sgpr_private_segment_buffer 1
		.amdhsa_user_sgpr_dispatch_ptr 0
		.amdhsa_user_sgpr_queue_ptr 0
		.amdhsa_user_sgpr_kernarg_segment_ptr 1
		.amdhsa_user_sgpr_dispatch_id 0
		.amdhsa_user_sgpr_flat_scratch_init 0
		.amdhsa_user_sgpr_private_segment_size 0
		.amdhsa_uses_dynamic_stack 0
		.amdhsa_system_sgpr_private_segment_wavefront_offset 0
		.amdhsa_system_sgpr_workgroup_id_x 1
		.amdhsa_system_sgpr_workgroup_id_y 1
		.amdhsa_system_sgpr_workgroup_id_z 1
		.amdhsa_system_sgpr_workgroup_info 0
		.amdhsa_system_vgpr_workitem_id 1
		.amdhsa_next_free_vgpr 43
		.amdhsa_next_free_sgpr 61
		.amdhsa_reserve_vcc 1
		.amdhsa_reserve_flat_scratch 0
		.amdhsa_float_round_mode_32 0
		.amdhsa_float_round_mode_16_64 0
		.amdhsa_float_denorm_mode_32 3
		.amdhsa_float_denorm_mode_16_64 3
		.amdhsa_dx10_clamp 1
		.amdhsa_ieee_mode 1
		.amdhsa_fp16_overflow 0
		.amdhsa_exception_fp_ieee_invalid_op 0
		.amdhsa_exception_fp_denorm_src 0
		.amdhsa_exception_fp_ieee_div_zero 0
		.amdhsa_exception_fp_ieee_overflow 0
		.amdhsa_exception_fp_ieee_underflow 0
		.amdhsa_exception_fp_ieee_inexact 0
		.amdhsa_exception_int_div_zero 0
	.end_amdhsa_kernel
	.section	.text._ZL26rocblas_syr2k_her2k_kernelIiLb1ELb0ELb1ELi32EfPKfPfEvbiT_T4_T5_S3_lS5_S3_lT6_S3_li,"axG",@progbits,_ZL26rocblas_syr2k_her2k_kernelIiLb1ELb0ELb1ELi32EfPKfPfEvbiT_T4_T5_S3_lS5_S3_lT6_S3_li,comdat
.Lfunc_end1897:
	.size	_ZL26rocblas_syr2k_her2k_kernelIiLb1ELb0ELb1ELi32EfPKfPfEvbiT_T4_T5_S3_lS5_S3_lT6_S3_li, .Lfunc_end1897-_ZL26rocblas_syr2k_her2k_kernelIiLb1ELb0ELb1ELi32EfPKfPfEvbiT_T4_T5_S3_lS5_S3_lT6_S3_li
                                        ; -- End function
	.set _ZL26rocblas_syr2k_her2k_kernelIiLb1ELb0ELb1ELi32EfPKfPfEvbiT_T4_T5_S3_lS5_S3_lT6_S3_li.num_vgpr, 43
	.set _ZL26rocblas_syr2k_her2k_kernelIiLb1ELb0ELb1ELi32EfPKfPfEvbiT_T4_T5_S3_lS5_S3_lT6_S3_li.num_agpr, 0
	.set _ZL26rocblas_syr2k_her2k_kernelIiLb1ELb0ELb1ELi32EfPKfPfEvbiT_T4_T5_S3_lS5_S3_lT6_S3_li.numbered_sgpr, 24
	.set _ZL26rocblas_syr2k_her2k_kernelIiLb1ELb0ELb1ELi32EfPKfPfEvbiT_T4_T5_S3_lS5_S3_lT6_S3_li.num_named_barrier, 0
	.set _ZL26rocblas_syr2k_her2k_kernelIiLb1ELb0ELb1ELi32EfPKfPfEvbiT_T4_T5_S3_lS5_S3_lT6_S3_li.private_seg_size, 0
	.set _ZL26rocblas_syr2k_her2k_kernelIiLb1ELb0ELb1ELi32EfPKfPfEvbiT_T4_T5_S3_lS5_S3_lT6_S3_li.uses_vcc, 1
	.set _ZL26rocblas_syr2k_her2k_kernelIiLb1ELb0ELb1ELi32EfPKfPfEvbiT_T4_T5_S3_lS5_S3_lT6_S3_li.uses_flat_scratch, 0
	.set _ZL26rocblas_syr2k_her2k_kernelIiLb1ELb0ELb1ELi32EfPKfPfEvbiT_T4_T5_S3_lS5_S3_lT6_S3_li.has_dyn_sized_stack, 0
	.set _ZL26rocblas_syr2k_her2k_kernelIiLb1ELb0ELb1ELi32EfPKfPfEvbiT_T4_T5_S3_lS5_S3_lT6_S3_li.has_recursion, 0
	.set _ZL26rocblas_syr2k_her2k_kernelIiLb1ELb0ELb1ELi32EfPKfPfEvbiT_T4_T5_S3_lS5_S3_lT6_S3_li.has_indirect_call, 0
	.section	.AMDGPU.csdata,"",@progbits
; Kernel info:
; codeLenInByte = 1708
; TotalNumSgprs: 28
; NumVgprs: 43
; ScratchSize: 0
; MemoryBound: 0
; FloatMode: 240
; IeeeMode: 1
; LDSByteSize: 8192 bytes/workgroup (compile time only)
; SGPRBlocks: 8
; VGPRBlocks: 10
; NumSGPRsForWavesPerEU: 65
; NumVGPRsForWavesPerEU: 43
; Occupancy: 5
; WaveLimiterHint : 0
; COMPUTE_PGM_RSRC2:SCRATCH_EN: 0
; COMPUTE_PGM_RSRC2:USER_SGPR: 6
; COMPUTE_PGM_RSRC2:TRAP_HANDLER: 0
; COMPUTE_PGM_RSRC2:TGID_X_EN: 1
; COMPUTE_PGM_RSRC2:TGID_Y_EN: 1
; COMPUTE_PGM_RSRC2:TGID_Z_EN: 1
; COMPUTE_PGM_RSRC2:TIDIG_COMP_CNT: 1
	.section	.text._ZL26rocblas_syr2k_her2k_kernelIiLb1ELb0ELb0ELi32EPKfS1_PfEvbiT_T4_T5_S3_lS5_S3_lT6_S3_li,"axG",@progbits,_ZL26rocblas_syr2k_her2k_kernelIiLb1ELb0ELb0ELi32EPKfS1_PfEvbiT_T4_T5_S3_lS5_S3_lT6_S3_li,comdat
	.globl	_ZL26rocblas_syr2k_her2k_kernelIiLb1ELb0ELb0ELi32EPKfS1_PfEvbiT_T4_T5_S3_lS5_S3_lT6_S3_li ; -- Begin function _ZL26rocblas_syr2k_her2k_kernelIiLb1ELb0ELb0ELi32EPKfS1_PfEvbiT_T4_T5_S3_lS5_S3_lT6_S3_li
	.p2align	8
	.type	_ZL26rocblas_syr2k_her2k_kernelIiLb1ELb0ELb0ELi32EPKfS1_PfEvbiT_T4_T5_S3_lS5_S3_lT6_S3_li,@function
_ZL26rocblas_syr2k_her2k_kernelIiLb1ELb0ELb0ELi32EPKfS1_PfEvbiT_T4_T5_S3_lS5_S3_lT6_S3_li: ; @_ZL26rocblas_syr2k_her2k_kernelIiLb1ELb0ELb0ELi32EPKfS1_PfEvbiT_T4_T5_S3_lS5_S3_lT6_S3_li
; %bb.0:
	s_load_dwordx4 s[0:3], s[4:5], 0x10
	s_waitcnt lgkmcnt(0)
	s_load_dword s16, s[0:1], 0x0
	s_waitcnt lgkmcnt(0)
	v_cmp_eq_f32_e64 s[0:1], s16, 0
	s_and_b64 vcc, exec, s[0:1]
	s_cbranch_vccnz .LBB1898_17
; %bb.1:
	s_load_dwordx4 s[12:15], s[4:5], 0x0
	s_lshl_b32 s0, s7, 5
	s_lshl_b32 s1, s6, 5
	s_waitcnt lgkmcnt(0)
	s_and_b32 s6, 1, s12
	s_cmp_eq_u32 s6, 1
	s_cselect_b64 vcc, -1, 0
	s_and_b64 s[6:7], vcc, exec
	s_cselect_b32 s6, s1, s0
	s_cselect_b32 s7, s0, s1
	s_cmp_gt_i32 s6, s7
	s_cbranch_scc1 .LBB1898_17
; %bb.2:
	s_cmp_lt_i32 s14, 1
	s_cbranch_scc1 .LBB1898_17
; %bb.3:
	s_load_dword s12, s[4:5], 0x20
	s_load_dwordx4 s[20:23], s[4:5], 0x28
	s_load_dword s15, s[4:5], 0x38
	s_load_dwordx4 s[24:27], s[4:5], 0x40
	s_load_dword s9, s[4:5], 0x50
	s_load_dwordx2 s[6:7], s[4:5], 0x58
	s_waitcnt lgkmcnt(0)
	s_mul_i32 s4, s21, s8
	s_mul_hi_u32 s5, s20, s8
	s_add_i32 s5, s5, s4
	s_mul_i32 s4, s20, s8
	s_lshl_b64 s[4:5], s[4:5], 2
	s_add_u32 s10, s2, s4
	s_addc_u32 s11, s3, s5
	s_mul_i32 s2, s25, s8
	s_mul_hi_u32 s3, s24, s8
	v_add_u32_e32 v3, s1, v0
	s_add_i32 s3, s3, s2
	s_mul_i32 s2, s24, s8
	v_ashrrev_i32_e32 v4, 31, v3
	s_lshl_b64 s[2:3], s[2:3], 2
	v_lshlrev_b64 v[12:13], 2, v[3:4]
	s_add_u32 s17, s22, s2
	v_add_u32_e32 v2, s0, v1
	s_addc_u32 s18, s23, s3
	s_mul_i32 s2, s7, s8
	s_mul_hi_u32 s3, s6, s8
	v_cndmask_b32_e32 v16, v3, v2, vcc
	v_cndmask_b32_e32 v17, v2, v3, vcc
	v_cmp_gt_i32_e32 vcc, s13, v3
	v_mov_b32_e32 v3, s11
	v_add_co_u32_e64 v4, s[0:1], s10, v12
	s_add_i32 s3, s3, s2
	s_mul_i32 s2, s6, s8
	v_addc_co_u32_e64 v5, s[0:1], v3, v13, s[0:1]
	v_ashrrev_i32_e32 v3, 31, v2
	s_lshl_b64 s[2:3], s[2:3], 2
	v_lshlrev_b64 v[14:15], 2, v[2:3]
	s_add_u32 s6, s26, s2
	s_addc_u32 s7, s27, s3
	v_mov_b32_e32 v3, s18
	v_add_co_u32_e64 v8, s[2:3], s17, v14
	v_cmp_gt_i32_e64 s[0:1], s13, v2
	v_addc_co_u32_e64 v9, s[2:3], v3, v15, s[2:3]
	v_mad_i64_i32 v[2:3], s[2:3], s9, v2, 0
	v_cmp_le_i32_e64 s[2:3], v17, v16
	s_and_b64 s[4:5], s[0:1], vcc
	v_lshlrev_b64 v[2:3], 2, v[2:3]
	s_and_b64 s[4:5], s[4:5], s[2:3]
	v_mov_b32_e32 v16, s7
	v_add_co_u32_e64 v2, s[2:3], s6, v2
	v_addc_co_u32_e64 v3, s[2:3], v16, v3, s[2:3]
	v_add_co_u32_e64 v2, s[2:3], v2, v12
	v_addc_co_u32_e64 v3, s[2:3], v3, v13, s[2:3]
	v_mov_b32_e32 v16, s18
	v_add_co_u32_e64 v12, s[2:3], s17, v12
	v_lshlrev_b32_e32 v6, 7, v0
	v_lshlrev_b32_e32 v10, 2, v1
	v_addc_co_u32_e64 v13, s[2:3], v16, v13, s[2:3]
	v_add_u32_e32 v7, v6, v10
	v_or_b32_e32 v10, 0x1000, v10
	v_mov_b32_e32 v16, s11
	v_add_co_u32_e64 v14, s[2:3], s10, v14
	v_add_u32_e32 v11, v10, v6
	v_addc_co_u32_e64 v15, s[2:3], v16, v15, s[2:3]
	s_mov_b32 s13, 0
	v_add_u32_e32 v16, 0x400, v10
	v_add_u32_e32 v17, 0x800, v10
	;; [unrolled: 1-line block ×3, first 2 shown]
	s_branch .LBB1898_5
.LBB1898_4:                             ;   in Loop: Header=BB1898_5 Depth=1
	s_or_b64 exec, exec, s[2:3]
	s_add_i32 s13, s13, 32
	s_cmp_lt_i32 s13, s14
	s_waitcnt vmcnt(0)
	s_barrier
	s_cbranch_scc0 .LBB1898_17
.LBB1898_5:                             ; =>This Inner Loop Header: Depth=1
	v_add_u32_e32 v19, s13, v1
	v_cmp_gt_i32_e64 s[2:3], s14, v19
	s_and_b64 s[6:7], vcc, s[2:3]
	v_mov_b32_e32 v20, 0
	s_and_saveexec_b64 s[8:9], s[6:7]
	s_cbranch_execz .LBB1898_7
; %bb.6:                                ;   in Loop: Header=BB1898_5 Depth=1
	v_mad_i64_i32 v[20:21], s[2:3], v19, s12, 0
	v_lshlrev_b64 v[20:21], 2, v[20:21]
	v_add_co_u32_e64 v20, s[2:3], v4, v20
	v_addc_co_u32_e64 v21, s[2:3], v5, v21, s[2:3]
	global_load_dword v20, v[20:21], off
.LBB1898_7:                             ;   in Loop: Header=BB1898_5 Depth=1
	s_or_b64 exec, exec, s[8:9]
	s_waitcnt vmcnt(0)
	ds_write_b32 v7, v20
	v_add_u32_e32 v20, s13, v0
	v_cmp_gt_i32_e64 s[2:3], s14, v20
	s_and_b64 s[8:9], s[0:1], s[2:3]
	v_mov_b32_e32 v21, 0
	s_and_saveexec_b64 s[10:11], s[8:9]
	s_cbranch_execz .LBB1898_9
; %bb.8:                                ;   in Loop: Header=BB1898_5 Depth=1
	v_mad_i64_i32 v[21:22], s[2:3], v20, s15, 0
	v_lshlrev_b64 v[21:22], 2, v[21:22]
	v_add_co_u32_e64 v21, s[2:3], v8, v21
	v_addc_co_u32_e64 v22, s[2:3], v9, v22, s[2:3]
	global_load_dword v21, v[21:22], off
.LBB1898_9:                             ;   in Loop: Header=BB1898_5 Depth=1
	s_or_b64 exec, exec, s[10:11]
	s_waitcnt vmcnt(0)
	ds_write_b32 v11, v21
	s_waitcnt lgkmcnt(0)
	s_barrier
	s_and_saveexec_b64 s[2:3], s[4:5]
	s_cbranch_execz .LBB1898_11
; %bb.10:                               ;   in Loop: Header=BB1898_5 Depth=1
	global_load_dword v35, v[2:3], off
	ds_read_b128 v[21:24], v6
	ds_read2_b32 v[29:30], v10 offset1:32
	ds_read2_b32 v[31:32], v10 offset0:64 offset1:96
	ds_read_b128 v[25:28], v6 offset:16
	s_waitcnt lgkmcnt(2)
	v_fma_f32 v36, v21, v29, 0
	v_fmac_f32_e32 v36, v22, v30
	ds_read2_b32 v[29:30], v10 offset0:128 offset1:160
	s_waitcnt lgkmcnt(2)
	v_fmac_f32_e32 v36, v23, v31
	v_fmac_f32_e32 v36, v24, v32
	ds_read2_b32 v[31:32], v10 offset0:192 offset1:224
	ds_read_b128 v[21:24], v6 offset:32
	ds_read2_b32 v[33:34], v16 offset1:32
	s_waitcnt lgkmcnt(3)
	v_fmac_f32_e32 v36, v25, v29
	v_fmac_f32_e32 v36, v26, v30
	ds_read2_b32 v[29:30], v16 offset0:64 offset1:96
	s_waitcnt lgkmcnt(3)
	v_fmac_f32_e32 v36, v27, v31
	v_fmac_f32_e32 v36, v28, v32
	ds_read_b128 v[25:28], v6 offset:48
	s_waitcnt lgkmcnt(2)
	v_fmac_f32_e32 v36, v21, v33
	ds_read2_b32 v[31:32], v16 offset0:128 offset1:160
	v_fmac_f32_e32 v36, v22, v34
	s_waitcnt lgkmcnt(2)
	v_fmac_f32_e32 v36, v23, v29
	v_fmac_f32_e32 v36, v24, v30
	ds_read2_b32 v[29:30], v16 offset0:192 offset1:224
	s_waitcnt lgkmcnt(1)
	v_fmac_f32_e32 v36, v25, v31
	v_fmac_f32_e32 v36, v26, v32
	ds_read_b128 v[21:24], v6 offset:64
	ds_read2_b32 v[31:32], v17 offset1:32
	s_waitcnt lgkmcnt(2)
	v_fmac_f32_e32 v36, v27, v29
	v_fmac_f32_e32 v36, v28, v30
	ds_read2_b32 v[29:30], v17 offset0:64 offset1:96
	ds_read_b128 v[25:28], v6 offset:80
	s_waitcnt lgkmcnt(2)
	v_fmac_f32_e32 v36, v21, v31
	ds_read2_b32 v[33:34], v17 offset0:128 offset1:160
	v_fmac_f32_e32 v36, v22, v32
	s_waitcnt lgkmcnt(2)
	v_fmac_f32_e32 v36, v23, v29
	v_fmac_f32_e32 v36, v24, v30
	ds_read2_b32 v[29:30], v17 offset0:192 offset1:224
	s_waitcnt lgkmcnt(1)
	v_fmac_f32_e32 v36, v25, v33
	ds_read_b128 v[21:24], v6 offset:96
	ds_read2_b32 v[31:32], v18 offset1:32
	v_fmac_f32_e32 v36, v26, v34
	s_waitcnt lgkmcnt(2)
	v_fmac_f32_e32 v36, v27, v29
	v_fmac_f32_e32 v36, v28, v30
	ds_read2_b32 v[29:30], v18 offset0:64 offset1:96
	ds_read_b128 v[25:28], v6 offset:112
	ds_read2_b32 v[33:34], v18 offset0:128 offset1:160
	s_waitcnt lgkmcnt(3)
	v_fmac_f32_e32 v36, v21, v31
	v_fmac_f32_e32 v36, v22, v32
	ds_read2_b32 v[21:22], v18 offset0:192 offset1:224
	s_waitcnt lgkmcnt(3)
	v_fmac_f32_e32 v36, v23, v29
	v_fmac_f32_e32 v36, v24, v30
	s_waitcnt lgkmcnt(1)
	v_fmac_f32_e32 v36, v25, v33
	v_fmac_f32_e32 v36, v26, v34
	;; [unrolled: 3-line block ×3, first 2 shown]
	s_waitcnt vmcnt(0)
	v_fmac_f32_e32 v35, s16, v36
	global_store_dword v[2:3], v35, off
.LBB1898_11:                            ;   in Loop: Header=BB1898_5 Depth=1
	s_or_b64 exec, exec, s[2:3]
	v_mov_b32_e32 v21, 0
	v_mov_b32_e32 v22, 0
	s_waitcnt vmcnt(0)
	s_barrier
	s_and_saveexec_b64 s[10:11], s[6:7]
	s_cbranch_execz .LBB1898_13
; %bb.12:                               ;   in Loop: Header=BB1898_5 Depth=1
	v_mad_i64_i32 v[22:23], s[2:3], v19, s15, 0
	v_lshlrev_b64 v[22:23], 2, v[22:23]
	v_add_co_u32_e64 v22, s[2:3], v12, v22
	v_addc_co_u32_e64 v23, s[2:3], v13, v23, s[2:3]
	global_load_dword v22, v[22:23], off
.LBB1898_13:                            ;   in Loop: Header=BB1898_5 Depth=1
	s_or_b64 exec, exec, s[10:11]
	s_waitcnt vmcnt(0)
	ds_write_b32 v7, v22
	s_and_saveexec_b64 s[6:7], s[8:9]
	s_cbranch_execz .LBB1898_15
; %bb.14:                               ;   in Loop: Header=BB1898_5 Depth=1
	v_mad_i64_i32 v[19:20], s[2:3], v20, s12, 0
	v_lshlrev_b64 v[19:20], 2, v[19:20]
	v_add_co_u32_e64 v19, s[2:3], v14, v19
	v_addc_co_u32_e64 v20, s[2:3], v15, v20, s[2:3]
	global_load_dword v21, v[19:20], off
.LBB1898_15:                            ;   in Loop: Header=BB1898_5 Depth=1
	s_or_b64 exec, exec, s[6:7]
	s_waitcnt vmcnt(0)
	ds_write_b32 v11, v21
	s_waitcnt lgkmcnt(0)
	s_barrier
	s_and_saveexec_b64 s[2:3], s[4:5]
	s_cbranch_execz .LBB1898_4
; %bb.16:                               ;   in Loop: Header=BB1898_5 Depth=1
	global_load_dword v33, v[2:3], off
	ds_read_b128 v[19:22], v6
	ds_read2_b32 v[27:28], v10 offset1:32
	ds_read2_b32 v[29:30], v10 offset0:64 offset1:96
	ds_read_b128 v[23:26], v6 offset:16
	ds_read2_b32 v[31:32], v10 offset0:192 offset1:224
	s_waitcnt lgkmcnt(3)
	v_fma_f32 v34, v19, v27, 0
	v_fmac_f32_e32 v34, v20, v28
	ds_read2_b32 v[27:28], v10 offset0:128 offset1:160
	s_waitcnt lgkmcnt(3)
	v_fmac_f32_e32 v34, v21, v29
	v_fmac_f32_e32 v34, v22, v30
	ds_read_b128 v[19:22], v6 offset:32
	s_waitcnt lgkmcnt(1)
	v_fmac_f32_e32 v34, v23, v27
	v_fmac_f32_e32 v34, v24, v28
	ds_read2_b32 v[27:28], v16 offset1:32
	v_fmac_f32_e32 v34, v25, v31
	v_fmac_f32_e32 v34, v26, v32
	ds_read2_b32 v[29:30], v16 offset0:64 offset1:96
	ds_read_b128 v[23:26], v6 offset:48
	ds_read2_b32 v[31:32], v16 offset0:128 offset1:160
	s_waitcnt lgkmcnt(3)
	v_fmac_f32_e32 v34, v19, v27
	v_fmac_f32_e32 v34, v20, v28
	s_waitcnt lgkmcnt(2)
	v_fmac_f32_e32 v34, v21, v29
	v_fmac_f32_e32 v34, v22, v30
	ds_read2_b32 v[27:28], v16 offset0:192 offset1:224
	ds_read_b128 v[19:22], v6 offset:64
	ds_read2_b32 v[29:30], v17 offset1:32
	s_waitcnt lgkmcnt(3)
	v_fmac_f32_e32 v34, v23, v31
	v_fmac_f32_e32 v34, v24, v32
	ds_read2_b32 v[31:32], v17 offset0:64 offset1:96
	s_waitcnt lgkmcnt(3)
	v_fmac_f32_e32 v34, v25, v27
	v_fmac_f32_e32 v34, v26, v28
	ds_read_b128 v[23:26], v6 offset:80
	ds_read2_b32 v[27:28], v17 offset0:128 offset1:160
	s_waitcnt lgkmcnt(3)
	v_fmac_f32_e32 v34, v19, v29
	v_fmac_f32_e32 v34, v20, v30
	s_waitcnt lgkmcnt(2)
	v_fmac_f32_e32 v34, v21, v31
	v_fmac_f32_e32 v34, v22, v32
	ds_read2_b32 v[29:30], v17 offset0:192 offset1:224
	ds_read_b128 v[19:22], v6 offset:96
	ds_read2_b32 v[31:32], v18 offset1:32
	s_waitcnt lgkmcnt(3)
	v_fmac_f32_e32 v34, v23, v27
	v_fmac_f32_e32 v34, v24, v28
	s_waitcnt lgkmcnt(2)
	v_fmac_f32_e32 v34, v25, v29
	v_fmac_f32_e32 v34, v26, v30
	ds_read2_b32 v[27:28], v18 offset0:64 offset1:96
	ds_read_b128 v[23:26], v6 offset:112
	ds_read2_b32 v[29:30], v18 offset0:128 offset1:160
	s_waitcnt lgkmcnt(3)
	v_fmac_f32_e32 v34, v19, v31
	v_fmac_f32_e32 v34, v20, v32
	ds_read2_b32 v[19:20], v18 offset0:192 offset1:224
	s_waitcnt lgkmcnt(3)
	v_fmac_f32_e32 v34, v21, v27
	v_fmac_f32_e32 v34, v22, v28
	s_waitcnt lgkmcnt(1)
	v_fmac_f32_e32 v34, v23, v29
	v_fmac_f32_e32 v34, v24, v30
	;; [unrolled: 3-line block ×3, first 2 shown]
	s_waitcnt vmcnt(0)
	v_fmac_f32_e32 v33, s16, v34
	global_store_dword v[2:3], v33, off
	s_branch .LBB1898_4
.LBB1898_17:
	s_endpgm
	.section	.rodata,"a",@progbits
	.p2align	6, 0x0
	.amdhsa_kernel _ZL26rocblas_syr2k_her2k_kernelIiLb1ELb0ELb0ELi32EPKfS1_PfEvbiT_T4_T5_S3_lS5_S3_lT6_S3_li
		.amdhsa_group_segment_fixed_size 8192
		.amdhsa_private_segment_fixed_size 0
		.amdhsa_kernarg_size 100
		.amdhsa_user_sgpr_count 6
		.amdhsa_user_sgpr_private_segment_buffer 1
		.amdhsa_user_sgpr_dispatch_ptr 0
		.amdhsa_user_sgpr_queue_ptr 0
		.amdhsa_user_sgpr_kernarg_segment_ptr 1
		.amdhsa_user_sgpr_dispatch_id 0
		.amdhsa_user_sgpr_flat_scratch_init 0
		.amdhsa_user_sgpr_private_segment_size 0
		.amdhsa_uses_dynamic_stack 0
		.amdhsa_system_sgpr_private_segment_wavefront_offset 0
		.amdhsa_system_sgpr_workgroup_id_x 1
		.amdhsa_system_sgpr_workgroup_id_y 1
		.amdhsa_system_sgpr_workgroup_id_z 1
		.amdhsa_system_sgpr_workgroup_info 0
		.amdhsa_system_vgpr_workitem_id 1
		.amdhsa_next_free_vgpr 37
		.amdhsa_next_free_sgpr 61
		.amdhsa_reserve_vcc 1
		.amdhsa_reserve_flat_scratch 0
		.amdhsa_float_round_mode_32 0
		.amdhsa_float_round_mode_16_64 0
		.amdhsa_float_denorm_mode_32 3
		.amdhsa_float_denorm_mode_16_64 3
		.amdhsa_dx10_clamp 1
		.amdhsa_ieee_mode 1
		.amdhsa_fp16_overflow 0
		.amdhsa_exception_fp_ieee_invalid_op 0
		.amdhsa_exception_fp_denorm_src 0
		.amdhsa_exception_fp_ieee_div_zero 0
		.amdhsa_exception_fp_ieee_overflow 0
		.amdhsa_exception_fp_ieee_underflow 0
		.amdhsa_exception_fp_ieee_inexact 0
		.amdhsa_exception_int_div_zero 0
	.end_amdhsa_kernel
	.section	.text._ZL26rocblas_syr2k_her2k_kernelIiLb1ELb0ELb0ELi32EPKfS1_PfEvbiT_T4_T5_S3_lS5_S3_lT6_S3_li,"axG",@progbits,_ZL26rocblas_syr2k_her2k_kernelIiLb1ELb0ELb0ELi32EPKfS1_PfEvbiT_T4_T5_S3_lS5_S3_lT6_S3_li,comdat
.Lfunc_end1898:
	.size	_ZL26rocblas_syr2k_her2k_kernelIiLb1ELb0ELb0ELi32EPKfS1_PfEvbiT_T4_T5_S3_lS5_S3_lT6_S3_li, .Lfunc_end1898-_ZL26rocblas_syr2k_her2k_kernelIiLb1ELb0ELb0ELi32EPKfS1_PfEvbiT_T4_T5_S3_lS5_S3_lT6_S3_li
                                        ; -- End function
	.set _ZL26rocblas_syr2k_her2k_kernelIiLb1ELb0ELb0ELi32EPKfS1_PfEvbiT_T4_T5_S3_lS5_S3_lT6_S3_li.num_vgpr, 37
	.set _ZL26rocblas_syr2k_her2k_kernelIiLb1ELb0ELb0ELi32EPKfS1_PfEvbiT_T4_T5_S3_lS5_S3_lT6_S3_li.num_agpr, 0
	.set _ZL26rocblas_syr2k_her2k_kernelIiLb1ELb0ELb0ELi32EPKfS1_PfEvbiT_T4_T5_S3_lS5_S3_lT6_S3_li.numbered_sgpr, 28
	.set _ZL26rocblas_syr2k_her2k_kernelIiLb1ELb0ELb0ELi32EPKfS1_PfEvbiT_T4_T5_S3_lS5_S3_lT6_S3_li.num_named_barrier, 0
	.set _ZL26rocblas_syr2k_her2k_kernelIiLb1ELb0ELb0ELi32EPKfS1_PfEvbiT_T4_T5_S3_lS5_S3_lT6_S3_li.private_seg_size, 0
	.set _ZL26rocblas_syr2k_her2k_kernelIiLb1ELb0ELb0ELi32EPKfS1_PfEvbiT_T4_T5_S3_lS5_S3_lT6_S3_li.uses_vcc, 1
	.set _ZL26rocblas_syr2k_her2k_kernelIiLb1ELb0ELb0ELi32EPKfS1_PfEvbiT_T4_T5_S3_lS5_S3_lT6_S3_li.uses_flat_scratch, 0
	.set _ZL26rocblas_syr2k_her2k_kernelIiLb1ELb0ELb0ELi32EPKfS1_PfEvbiT_T4_T5_S3_lS5_S3_lT6_S3_li.has_dyn_sized_stack, 0
	.set _ZL26rocblas_syr2k_her2k_kernelIiLb1ELb0ELb0ELi32EPKfS1_PfEvbiT_T4_T5_S3_lS5_S3_lT6_S3_li.has_recursion, 0
	.set _ZL26rocblas_syr2k_her2k_kernelIiLb1ELb0ELb0ELi32EPKfS1_PfEvbiT_T4_T5_S3_lS5_S3_lT6_S3_li.has_indirect_call, 0
	.section	.AMDGPU.csdata,"",@progbits
; Kernel info:
; codeLenInByte = 1692
; TotalNumSgprs: 32
; NumVgprs: 37
; ScratchSize: 0
; MemoryBound: 0
; FloatMode: 240
; IeeeMode: 1
; LDSByteSize: 8192 bytes/workgroup (compile time only)
; SGPRBlocks: 8
; VGPRBlocks: 9
; NumSGPRsForWavesPerEU: 65
; NumVGPRsForWavesPerEU: 37
; Occupancy: 6
; WaveLimiterHint : 0
; COMPUTE_PGM_RSRC2:SCRATCH_EN: 0
; COMPUTE_PGM_RSRC2:USER_SGPR: 6
; COMPUTE_PGM_RSRC2:TRAP_HANDLER: 0
; COMPUTE_PGM_RSRC2:TGID_X_EN: 1
; COMPUTE_PGM_RSRC2:TGID_Y_EN: 1
; COMPUTE_PGM_RSRC2:TGID_Z_EN: 1
; COMPUTE_PGM_RSRC2:TIDIG_COMP_CNT: 1
	.section	.text._ZL26rocblas_syr2k_her2k_kernelIiLb1ELb0ELb1ELi32EPKfS1_PfEvbiT_T4_T5_S3_lS5_S3_lT6_S3_li,"axG",@progbits,_ZL26rocblas_syr2k_her2k_kernelIiLb1ELb0ELb1ELi32EPKfS1_PfEvbiT_T4_T5_S3_lS5_S3_lT6_S3_li,comdat
	.globl	_ZL26rocblas_syr2k_her2k_kernelIiLb1ELb0ELb1ELi32EPKfS1_PfEvbiT_T4_T5_S3_lS5_S3_lT6_S3_li ; -- Begin function _ZL26rocblas_syr2k_her2k_kernelIiLb1ELb0ELb1ELi32EPKfS1_PfEvbiT_T4_T5_S3_lS5_S3_lT6_S3_li
	.p2align	8
	.type	_ZL26rocblas_syr2k_her2k_kernelIiLb1ELb0ELb1ELi32EPKfS1_PfEvbiT_T4_T5_S3_lS5_S3_lT6_S3_li,@function
_ZL26rocblas_syr2k_her2k_kernelIiLb1ELb0ELb1ELi32EPKfS1_PfEvbiT_T4_T5_S3_lS5_S3_lT6_S3_li: ; @_ZL26rocblas_syr2k_her2k_kernelIiLb1ELb0ELb1ELi32EPKfS1_PfEvbiT_T4_T5_S3_lS5_S3_lT6_S3_li
; %bb.0:
	s_load_dwordx4 s[0:3], s[4:5], 0x10
	s_waitcnt lgkmcnt(0)
	s_load_dword s16, s[0:1], 0x0
	s_waitcnt lgkmcnt(0)
	v_cmp_eq_f32_e64 s[0:1], s16, 0
	s_and_b64 vcc, exec, s[0:1]
	s_cbranch_vccnz .LBB1899_17
; %bb.1:
	s_load_dwordx4 s[12:15], s[4:5], 0x0
	s_lshl_b32 s0, s7, 5
	s_lshl_b32 s1, s6, 5
	s_waitcnt lgkmcnt(0)
	s_and_b32 s6, 1, s12
	s_cmp_eq_u32 s6, 1
	s_cselect_b64 vcc, -1, 0
	s_and_b64 s[6:7], vcc, exec
	s_cselect_b32 s6, s1, s0
	s_cselect_b32 s7, s0, s1
	s_cmp_gt_i32 s6, s7
	s_cbranch_scc1 .LBB1899_17
; %bb.2:
	s_cmp_lt_i32 s14, 1
	s_cbranch_scc1 .LBB1899_17
; %bb.3:
	v_add_u32_e32 v2, s1, v0
	s_load_dword s9, s[4:5], 0x20
	s_load_dwordx4 s[20:23], s[4:5], 0x28
	s_load_dword s10, s[4:5], 0x38
	s_load_dwordx4 s[24:27], s[4:5], 0x40
	s_load_dword s11, s[4:5], 0x50
	s_load_dwordx2 s[6:7], s[4:5], 0x58
	v_add_u32_e32 v7, s0, v1
	s_waitcnt lgkmcnt(0)
	v_mad_i64_i32 v[4:5], s[0:1], s9, v2, 0
	s_mul_i32 s4, s21, s8
	s_mul_hi_u32 s5, s20, s8
	s_add_i32 s5, s5, s4
	s_mul_i32 s4, s20, s8
	s_lshl_b64 s[4:5], s[4:5], 2
	s_add_u32 s12, s2, s4
	v_lshlrev_b64 v[4:5], 2, v[4:5]
	s_addc_u32 s15, s3, s5
	s_mul_i32 s2, s25, s8
	s_mul_hi_u32 s3, s24, s8
	s_add_i32 s3, s3, s2
	s_mul_i32 s2, s24, s8
	v_mov_b32_e32 v9, s15
	v_add_co_u32_e64 v8, s[0:1], s12, v4
	s_lshl_b64 s[2:3], s[2:3], 2
	v_addc_co_u32_e64 v9, s[0:1], v9, v5, s[0:1]
	v_mad_i64_i32 v[4:5], s[0:1], s10, v7, 0
	s_add_u32 s17, s22, s2
	s_addc_u32 s18, s23, s3
	s_mul_i32 s2, s7, s8
	s_mul_hi_u32 s3, s6, s8
	s_add_i32 s3, s3, s2
	s_mul_i32 s2, s6, s8
	s_lshl_b64 s[2:3], s[2:3], 2
	v_lshlrev_b64 v[4:5], 2, v[4:5]
	s_add_u32 s6, s26, s2
	s_addc_u32 s7, s27, s3
	v_mov_b32_e32 v13, s18
	v_add_co_u32_e64 v12, s[2:3], s17, v4
	v_addc_co_u32_e64 v13, s[2:3], v13, v5, s[2:3]
	v_mad_i64_i32 v[4:5], s[2:3], s11, v7, 0
	v_cndmask_b32_e32 v6, v2, v7, vcc
	v_cndmask_b32_e32 v16, v7, v2, vcc
	v_cmp_gt_i32_e32 vcc, s13, v2
	v_cmp_gt_i32_e64 s[0:1], s13, v7
	v_lshlrev_b64 v[4:5], 2, v[4:5]
	v_cmp_le_i32_e64 s[2:3], v16, v6
	s_and_b64 s[4:5], s[0:1], vcc
	s_and_b64 s[4:5], s[4:5], s[2:3]
	v_mov_b32_e32 v6, s7
	v_add_co_u32_e64 v16, s[2:3], s6, v4
	v_ashrrev_i32_e32 v3, 31, v2
	v_addc_co_u32_e64 v17, s[2:3], v6, v5, s[2:3]
	v_mad_i64_i32 v[5:6], s[2:3], s10, v2, 0
	v_lshlrev_b64 v[3:4], 2, v[2:3]
	v_lshlrev_b32_e32 v10, 7, v0
	v_add_co_u32_e64 v2, s[2:3], v16, v3
	v_addc_co_u32_e64 v3, s[2:3], v17, v4, s[2:3]
	v_lshlrev_b64 v[4:5], 2, v[5:6]
	v_mad_i64_i32 v[6:7], s[2:3], s9, v7, 0
	v_mov_b32_e32 v17, s18
	v_add_co_u32_e64 v16, s[2:3], s17, v4
	v_addc_co_u32_e64 v17, s[2:3], v17, v5, s[2:3]
	v_lshlrev_b64 v[4:5], 2, v[6:7]
	v_lshlrev_b32_e32 v14, 2, v1
	v_add_u32_e32 v11, v10, v14
	v_or_b32_e32 v14, 0x1000, v14
	v_mov_b32_e32 v6, s15
	v_add_co_u32_e64 v18, s[2:3], s12, v4
	v_add_u32_e32 v15, v14, v10
	v_addc_co_u32_e64 v19, s[2:3], v6, v5, s[2:3]
	s_mov_b32 s12, 0
	v_add_u32_e32 v20, 0x400, v14
	v_add_u32_e32 v21, 0x800, v14
	;; [unrolled: 1-line block ×3, first 2 shown]
	s_branch .LBB1899_5
.LBB1899_4:                             ;   in Loop: Header=BB1899_5 Depth=1
	s_or_b64 exec, exec, s[2:3]
	s_add_i32 s12, s12, 32
	s_cmp_lt_i32 s12, s14
	s_waitcnt vmcnt(0)
	s_barrier
	s_cbranch_scc0 .LBB1899_17
.LBB1899_5:                             ; =>This Inner Loop Header: Depth=1
	v_add_u32_e32 v4, s12, v1
	v_cmp_gt_i32_e64 s[2:3], s14, v4
	s_and_b64 s[6:7], vcc, s[2:3]
	v_ashrrev_i32_e32 v5, 31, v4
	v_mov_b32_e32 v6, 0
	s_and_saveexec_b64 s[8:9], s[6:7]
	s_cbranch_execz .LBB1899_7
; %bb.6:                                ;   in Loop: Header=BB1899_5 Depth=1
	v_lshlrev_b64 v[6:7], 2, v[4:5]
	v_add_co_u32_e64 v6, s[2:3], v8, v6
	v_addc_co_u32_e64 v7, s[2:3], v9, v7, s[2:3]
	global_load_dword v6, v[6:7], off
.LBB1899_7:                             ;   in Loop: Header=BB1899_5 Depth=1
	s_or_b64 exec, exec, s[8:9]
	s_waitcnt vmcnt(0)
	ds_write_b32 v11, v6
	v_add_u32_e32 v6, s12, v0
	v_cmp_gt_i32_e64 s[2:3], s14, v6
	s_and_b64 s[8:9], s[0:1], s[2:3]
	v_mov_b32_e32 v23, 0
	v_ashrrev_i32_e32 v7, 31, v6
	s_and_saveexec_b64 s[10:11], s[8:9]
	s_cbranch_execz .LBB1899_9
; %bb.8:                                ;   in Loop: Header=BB1899_5 Depth=1
	v_lshlrev_b64 v[23:24], 2, v[6:7]
	v_add_co_u32_e64 v23, s[2:3], v12, v23
	v_addc_co_u32_e64 v24, s[2:3], v13, v24, s[2:3]
	global_load_dword v23, v[23:24], off
.LBB1899_9:                             ;   in Loop: Header=BB1899_5 Depth=1
	s_or_b64 exec, exec, s[10:11]
	s_waitcnt vmcnt(0)
	ds_write_b32 v15, v23
	s_waitcnt lgkmcnt(0)
	s_barrier
	s_and_saveexec_b64 s[2:3], s[4:5]
	s_cbranch_execz .LBB1899_11
; %bb.10:                               ;   in Loop: Header=BB1899_5 Depth=1
	global_load_dword v41, v[2:3], off
	ds_read_b128 v[23:26], v10
	ds_read2_b32 v[31:32], v14 offset1:32
	ds_read2_b32 v[33:34], v14 offset0:64 offset1:96
	ds_read_b128 v[27:30], v10 offset:16
	ds_read2_b32 v[35:36], v14 offset0:128 offset1:160
	s_waitcnt lgkmcnt(3)
	v_fma_f32 v42, v23, v31, 0
	v_fmac_f32_e32 v42, v24, v32
	s_waitcnt lgkmcnt(2)
	v_fmac_f32_e32 v42, v25, v33
	v_fmac_f32_e32 v42, v26, v34
	ds_read2_b32 v[37:38], v14 offset0:192 offset1:224
	ds_read_b128 v[23:26], v10 offset:32
	ds_read_b128 v[31:34], v10 offset:48
	ds_read2_b32 v[39:40], v20 offset1:32
	s_waitcnt lgkmcnt(4)
	v_fmac_f32_e32 v42, v27, v35
	v_fmac_f32_e32 v42, v28, v36
	ds_read2_b32 v[27:28], v20 offset0:64 offset1:96
	s_waitcnt lgkmcnt(4)
	v_fmac_f32_e32 v42, v29, v37
	v_fmac_f32_e32 v42, v30, v38
	s_waitcnt lgkmcnt(1)
	v_fmac_f32_e32 v42, v23, v39
	ds_read2_b32 v[29:30], v20 offset0:128 offset1:160
	v_fmac_f32_e32 v42, v24, v40
	s_waitcnt lgkmcnt(1)
	v_fmac_f32_e32 v42, v25, v27
	v_fmac_f32_e32 v42, v26, v28
	ds_read2_b32 v[27:28], v20 offset0:192 offset1:224
	s_waitcnt lgkmcnt(1)
	v_fmac_f32_e32 v42, v31, v29
	v_fmac_f32_e32 v42, v32, v30
	ds_read_b128 v[23:26], v10 offset:64
	ds_read2_b32 v[31:32], v21 offset1:32
	s_waitcnt lgkmcnt(2)
	v_fmac_f32_e32 v42, v33, v27
	v_fmac_f32_e32 v42, v34, v28
	ds_read2_b32 v[33:34], v21 offset0:64 offset1:96
	ds_read_b128 v[27:30], v10 offset:80
	ds_read2_b32 v[35:36], v21 offset0:128 offset1:160
	s_waitcnt lgkmcnt(3)
	v_fmac_f32_e32 v42, v23, v31
	v_fmac_f32_e32 v42, v24, v32
	ds_read2_b32 v[31:32], v21 offset0:192 offset1:224
	s_waitcnt lgkmcnt(3)
	v_fmac_f32_e32 v42, v25, v33
	v_fmac_f32_e32 v42, v26, v34
	s_waitcnt lgkmcnt(1)
	v_fmac_f32_e32 v42, v27, v35
	ds_read_b128 v[23:26], v10 offset:96
	ds_read2_b32 v[33:34], v22 offset1:32
	v_fmac_f32_e32 v42, v28, v36
	s_waitcnt lgkmcnt(2)
	v_fmac_f32_e32 v42, v29, v31
	v_fmac_f32_e32 v42, v30, v32
	ds_read2_b32 v[31:32], v22 offset0:64 offset1:96
	ds_read_b128 v[27:30], v10 offset:112
	ds_read2_b32 v[35:36], v22 offset0:128 offset1:160
	s_waitcnt lgkmcnt(3)
	v_fmac_f32_e32 v42, v23, v33
	v_fmac_f32_e32 v42, v24, v34
	ds_read2_b32 v[23:24], v22 offset0:192 offset1:224
	s_waitcnt lgkmcnt(3)
	v_fmac_f32_e32 v42, v25, v31
	v_fmac_f32_e32 v42, v26, v32
	s_waitcnt lgkmcnt(1)
	v_fmac_f32_e32 v42, v27, v35
	v_fmac_f32_e32 v42, v28, v36
	;; [unrolled: 3-line block ×3, first 2 shown]
	s_waitcnt vmcnt(0)
	v_fmac_f32_e32 v41, s16, v42
	global_store_dword v[2:3], v41, off
.LBB1899_11:                            ;   in Loop: Header=BB1899_5 Depth=1
	s_or_b64 exec, exec, s[2:3]
	v_mov_b32_e32 v23, 0
	v_mov_b32_e32 v24, 0
	s_waitcnt vmcnt(0)
	s_barrier
	s_and_saveexec_b64 s[10:11], s[6:7]
	s_cbranch_execz .LBB1899_13
; %bb.12:                               ;   in Loop: Header=BB1899_5 Depth=1
	v_lshlrev_b64 v[4:5], 2, v[4:5]
	v_add_co_u32_e64 v4, s[2:3], v16, v4
	v_addc_co_u32_e64 v5, s[2:3], v17, v5, s[2:3]
	global_load_dword v24, v[4:5], off
.LBB1899_13:                            ;   in Loop: Header=BB1899_5 Depth=1
	s_or_b64 exec, exec, s[10:11]
	s_waitcnt vmcnt(0)
	ds_write_b32 v11, v24
	s_and_saveexec_b64 s[6:7], s[8:9]
	s_cbranch_execz .LBB1899_15
; %bb.14:                               ;   in Loop: Header=BB1899_5 Depth=1
	v_lshlrev_b64 v[4:5], 2, v[6:7]
	v_add_co_u32_e64 v4, s[2:3], v18, v4
	v_addc_co_u32_e64 v5, s[2:3], v19, v5, s[2:3]
	global_load_dword v23, v[4:5], off
.LBB1899_15:                            ;   in Loop: Header=BB1899_5 Depth=1
	s_or_b64 exec, exec, s[6:7]
	s_waitcnt vmcnt(0)
	ds_write_b32 v15, v23
	s_waitcnt lgkmcnt(0)
	s_barrier
	s_and_saveexec_b64 s[2:3], s[4:5]
	s_cbranch_execz .LBB1899_4
; %bb.16:                               ;   in Loop: Header=BB1899_5 Depth=1
	global_load_dword v41, v[2:3], off
	ds_read2_b32 v[35:36], v14 offset1:32
	ds_read_b128 v[4:7], v10
	ds_read_b128 v[23:26], v10 offset:16
	ds_read2_b32 v[37:38], v14 offset0:64 offset1:96
	ds_read_b128 v[27:30], v10 offset:32
	ds_read_b128 v[31:34], v10 offset:48
	ds_read2_b32 v[39:40], v14 offset0:128 offset1:160
	s_waitcnt lgkmcnt(5)
	v_fma_f32 v35, v4, v35, 0
	v_fmac_f32_e32 v35, v5, v36
	ds_read2_b32 v[4:5], v14 offset0:192 offset1:224
	s_waitcnt lgkmcnt(4)
	v_fmac_f32_e32 v35, v6, v37
	v_fmac_f32_e32 v35, v7, v38
	ds_read2_b32 v[6:7], v20 offset1:32
	s_waitcnt lgkmcnt(2)
	v_fmac_f32_e32 v35, v23, v39
	v_fmac_f32_e32 v35, v24, v40
	ds_read2_b32 v[23:24], v20 offset0:64 offset1:96
	s_waitcnt lgkmcnt(2)
	v_fmac_f32_e32 v35, v25, v4
	v_fmac_f32_e32 v35, v26, v5
	s_waitcnt lgkmcnt(1)
	v_fmac_f32_e32 v35, v27, v6
	ds_read2_b32 v[4:5], v20 offset0:128 offset1:160
	v_fmac_f32_e32 v35, v28, v7
	s_waitcnt lgkmcnt(1)
	v_fmac_f32_e32 v35, v29, v23
	v_fmac_f32_e32 v35, v30, v24
	ds_read2_b32 v[23:24], v20 offset0:192 offset1:224
	s_waitcnt lgkmcnt(1)
	v_fmac_f32_e32 v35, v31, v4
	v_fmac_f32_e32 v35, v32, v5
	ds_read_b128 v[4:7], v10 offset:64
	ds_read2_b32 v[27:28], v21 offset1:32
	s_waitcnt lgkmcnt(2)
	v_fmac_f32_e32 v35, v33, v23
	v_fmac_f32_e32 v35, v34, v24
	ds_read2_b32 v[29:30], v21 offset0:64 offset1:96
	ds_read_b128 v[23:26], v10 offset:80
	ds_read2_b32 v[31:32], v21 offset0:128 offset1:160
	s_waitcnt lgkmcnt(3)
	v_fmac_f32_e32 v35, v4, v27
	v_fmac_f32_e32 v35, v5, v28
	ds_read2_b32 v[27:28], v21 offset0:192 offset1:224
	s_waitcnt lgkmcnt(3)
	v_fmac_f32_e32 v35, v6, v29
	v_fmac_f32_e32 v35, v7, v30
	s_waitcnt lgkmcnt(1)
	v_fmac_f32_e32 v35, v23, v31
	ds_read_b128 v[4:7], v10 offset:96
	ds_read2_b32 v[29:30], v22 offset1:32
	v_fmac_f32_e32 v35, v24, v32
	s_waitcnt lgkmcnt(2)
	v_fmac_f32_e32 v35, v25, v27
	v_fmac_f32_e32 v35, v26, v28
	ds_read2_b32 v[27:28], v22 offset0:64 offset1:96
	ds_read_b128 v[23:26], v10 offset:112
	ds_read2_b32 v[31:32], v22 offset0:128 offset1:160
	s_waitcnt lgkmcnt(3)
	v_fmac_f32_e32 v35, v4, v29
	v_fmac_f32_e32 v35, v5, v30
	ds_read2_b32 v[4:5], v22 offset0:192 offset1:224
	s_waitcnt lgkmcnt(3)
	v_fmac_f32_e32 v35, v6, v27
	v_fmac_f32_e32 v35, v7, v28
	s_waitcnt lgkmcnt(1)
	v_fmac_f32_e32 v35, v23, v31
	v_fmac_f32_e32 v35, v24, v32
	;; [unrolled: 3-line block ×3, first 2 shown]
	s_waitcnt vmcnt(0)
	v_fmac_f32_e32 v41, s16, v35
	global_store_dword v[2:3], v41, off
	s_branch .LBB1899_4
.LBB1899_17:
	s_endpgm
	.section	.rodata,"a",@progbits
	.p2align	6, 0x0
	.amdhsa_kernel _ZL26rocblas_syr2k_her2k_kernelIiLb1ELb0ELb1ELi32EPKfS1_PfEvbiT_T4_T5_S3_lS5_S3_lT6_S3_li
		.amdhsa_group_segment_fixed_size 8192
		.amdhsa_private_segment_fixed_size 0
		.amdhsa_kernarg_size 100
		.amdhsa_user_sgpr_count 6
		.amdhsa_user_sgpr_private_segment_buffer 1
		.amdhsa_user_sgpr_dispatch_ptr 0
		.amdhsa_user_sgpr_queue_ptr 0
		.amdhsa_user_sgpr_kernarg_segment_ptr 1
		.amdhsa_user_sgpr_dispatch_id 0
		.amdhsa_user_sgpr_flat_scratch_init 0
		.amdhsa_user_sgpr_private_segment_size 0
		.amdhsa_uses_dynamic_stack 0
		.amdhsa_system_sgpr_private_segment_wavefront_offset 0
		.amdhsa_system_sgpr_workgroup_id_x 1
		.amdhsa_system_sgpr_workgroup_id_y 1
		.amdhsa_system_sgpr_workgroup_id_z 1
		.amdhsa_system_sgpr_workgroup_info 0
		.amdhsa_system_vgpr_workitem_id 1
		.amdhsa_next_free_vgpr 43
		.amdhsa_next_free_sgpr 61
		.amdhsa_reserve_vcc 1
		.amdhsa_reserve_flat_scratch 0
		.amdhsa_float_round_mode_32 0
		.amdhsa_float_round_mode_16_64 0
		.amdhsa_float_denorm_mode_32 3
		.amdhsa_float_denorm_mode_16_64 3
		.amdhsa_dx10_clamp 1
		.amdhsa_ieee_mode 1
		.amdhsa_fp16_overflow 0
		.amdhsa_exception_fp_ieee_invalid_op 0
		.amdhsa_exception_fp_denorm_src 0
		.amdhsa_exception_fp_ieee_div_zero 0
		.amdhsa_exception_fp_ieee_overflow 0
		.amdhsa_exception_fp_ieee_underflow 0
		.amdhsa_exception_fp_ieee_inexact 0
		.amdhsa_exception_int_div_zero 0
	.end_amdhsa_kernel
	.section	.text._ZL26rocblas_syr2k_her2k_kernelIiLb1ELb0ELb1ELi32EPKfS1_PfEvbiT_T4_T5_S3_lS5_S3_lT6_S3_li,"axG",@progbits,_ZL26rocblas_syr2k_her2k_kernelIiLb1ELb0ELb1ELi32EPKfS1_PfEvbiT_T4_T5_S3_lS5_S3_lT6_S3_li,comdat
.Lfunc_end1899:
	.size	_ZL26rocblas_syr2k_her2k_kernelIiLb1ELb0ELb1ELi32EPKfS1_PfEvbiT_T4_T5_S3_lS5_S3_lT6_S3_li, .Lfunc_end1899-_ZL26rocblas_syr2k_her2k_kernelIiLb1ELb0ELb1ELi32EPKfS1_PfEvbiT_T4_T5_S3_lS5_S3_lT6_S3_li
                                        ; -- End function
	.set _ZL26rocblas_syr2k_her2k_kernelIiLb1ELb0ELb1ELi32EPKfS1_PfEvbiT_T4_T5_S3_lS5_S3_lT6_S3_li.num_vgpr, 43
	.set _ZL26rocblas_syr2k_her2k_kernelIiLb1ELb0ELb1ELi32EPKfS1_PfEvbiT_T4_T5_S3_lS5_S3_lT6_S3_li.num_agpr, 0
	.set _ZL26rocblas_syr2k_her2k_kernelIiLb1ELb0ELb1ELi32EPKfS1_PfEvbiT_T4_T5_S3_lS5_S3_lT6_S3_li.numbered_sgpr, 28
	.set _ZL26rocblas_syr2k_her2k_kernelIiLb1ELb0ELb1ELi32EPKfS1_PfEvbiT_T4_T5_S3_lS5_S3_lT6_S3_li.num_named_barrier, 0
	.set _ZL26rocblas_syr2k_her2k_kernelIiLb1ELb0ELb1ELi32EPKfS1_PfEvbiT_T4_T5_S3_lS5_S3_lT6_S3_li.private_seg_size, 0
	.set _ZL26rocblas_syr2k_her2k_kernelIiLb1ELb0ELb1ELi32EPKfS1_PfEvbiT_T4_T5_S3_lS5_S3_lT6_S3_li.uses_vcc, 1
	.set _ZL26rocblas_syr2k_her2k_kernelIiLb1ELb0ELb1ELi32EPKfS1_PfEvbiT_T4_T5_S3_lS5_S3_lT6_S3_li.uses_flat_scratch, 0
	.set _ZL26rocblas_syr2k_her2k_kernelIiLb1ELb0ELb1ELi32EPKfS1_PfEvbiT_T4_T5_S3_lS5_S3_lT6_S3_li.has_dyn_sized_stack, 0
	.set _ZL26rocblas_syr2k_her2k_kernelIiLb1ELb0ELb1ELi32EPKfS1_PfEvbiT_T4_T5_S3_lS5_S3_lT6_S3_li.has_recursion, 0
	.set _ZL26rocblas_syr2k_her2k_kernelIiLb1ELb0ELb1ELi32EPKfS1_PfEvbiT_T4_T5_S3_lS5_S3_lT6_S3_li.has_indirect_call, 0
	.section	.AMDGPU.csdata,"",@progbits
; Kernel info:
; codeLenInByte = 1724
; TotalNumSgprs: 32
; NumVgprs: 43
; ScratchSize: 0
; MemoryBound: 0
; FloatMode: 240
; IeeeMode: 1
; LDSByteSize: 8192 bytes/workgroup (compile time only)
; SGPRBlocks: 8
; VGPRBlocks: 10
; NumSGPRsForWavesPerEU: 65
; NumVGPRsForWavesPerEU: 43
; Occupancy: 5
; WaveLimiterHint : 0
; COMPUTE_PGM_RSRC2:SCRATCH_EN: 0
; COMPUTE_PGM_RSRC2:USER_SGPR: 6
; COMPUTE_PGM_RSRC2:TRAP_HANDLER: 0
; COMPUTE_PGM_RSRC2:TGID_X_EN: 1
; COMPUTE_PGM_RSRC2:TGID_Y_EN: 1
; COMPUTE_PGM_RSRC2:TGID_Z_EN: 1
; COMPUTE_PGM_RSRC2:TIDIG_COMP_CNT: 1
	.section	.text._ZL26rocblas_syr2k_her2k_kernelIiLb1ELb0ELb0ELi32EdPKdPdEvbiT_T4_T5_S3_lS5_S3_lT6_S3_li,"axG",@progbits,_ZL26rocblas_syr2k_her2k_kernelIiLb1ELb0ELb0ELi32EdPKdPdEvbiT_T4_T5_S3_lS5_S3_lT6_S3_li,comdat
	.globl	_ZL26rocblas_syr2k_her2k_kernelIiLb1ELb0ELb0ELi32EdPKdPdEvbiT_T4_T5_S3_lS5_S3_lT6_S3_li ; -- Begin function _ZL26rocblas_syr2k_her2k_kernelIiLb1ELb0ELb0ELi32EdPKdPdEvbiT_T4_T5_S3_lS5_S3_lT6_S3_li
	.p2align	8
	.type	_ZL26rocblas_syr2k_her2k_kernelIiLb1ELb0ELb0ELi32EdPKdPdEvbiT_T4_T5_S3_lS5_S3_lT6_S3_li,@function
_ZL26rocblas_syr2k_her2k_kernelIiLb1ELb0ELb0ELi32EdPKdPdEvbiT_T4_T5_S3_lS5_S3_lT6_S3_li: ; @_ZL26rocblas_syr2k_her2k_kernelIiLb1ELb0ELb0ELi32EdPKdPdEvbiT_T4_T5_S3_lS5_S3_lT6_S3_li
; %bb.0:
	s_load_dwordx4 s[12:15], s[4:5], 0x10
	s_waitcnt lgkmcnt(0)
	v_cmp_eq_f64_e64 s[0:1], s[12:13], 0
	s_and_b64 vcc, exec, s[0:1]
	s_cbranch_vccnz .LBB1900_17
; %bb.1:
	s_load_dwordx4 s[16:19], s[4:5], 0x0
	s_lshl_b32 s0, s7, 5
	s_lshl_b32 s1, s6, 5
	s_waitcnt lgkmcnt(0)
	s_and_b32 s2, 1, s16
	s_cmp_eq_u32 s2, 1
	s_cselect_b64 vcc, -1, 0
	s_and_b64 s[2:3], vcc, exec
	s_cselect_b32 s2, s1, s0
	s_cselect_b32 s3, s0, s1
	s_cmp_gt_i32 s2, s3
	s_cbranch_scc1 .LBB1900_17
; %bb.2:
	s_cmp_lt_i32 s18, 1
	s_cbranch_scc1 .LBB1900_17
; %bb.3:
	s_load_dword s16, s[4:5], 0x20
	s_load_dwordx4 s[20:23], s[4:5], 0x28
	s_load_dword s19, s[4:5], 0x38
	s_load_dwordx4 s[24:27], s[4:5], 0x40
	s_load_dword s6, s[4:5], 0x50
	s_load_dwordx2 s[2:3], s[4:5], 0x58
	s_waitcnt lgkmcnt(0)
	s_mul_i32 s4, s21, s8
	s_mul_hi_u32 s5, s20, s8
	s_add_i32 s5, s5, s4
	s_mul_i32 s4, s20, s8
	s_lshl_b64 s[4:5], s[4:5], 3
	s_add_u32 s7, s14, s4
	v_add_u32_e32 v3, s1, v0
	s_addc_u32 s9, s15, s5
	s_mul_i32 s4, s25, s8
	s_mul_hi_u32 s5, s24, s8
	v_ashrrev_i32_e32 v4, 31, v3
	s_add_i32 s5, s5, s4
	s_mul_i32 s4, s24, s8
	v_lshlrev_b64 v[4:5], 3, v[3:4]
	s_lshl_b64 s[4:5], s[4:5], 3
	v_add_u32_e32 v2, s0, v1
	s_add_u32 s10, s22, s4
	s_mul_i32 s3, s3, s8
	s_mul_hi_u32 s4, s2, s8
	v_cndmask_b32_e32 v16, v3, v2, vcc
	v_cndmask_b32_e32 v17, v2, v3, vcc
	v_cmp_gt_i32_e32 vcc, s17, v3
	v_mov_b32_e32 v3, s9
	v_add_co_u32_e64 v8, s[0:1], s7, v4
	s_addc_u32 s11, s23, s5
	s_add_i32 s3, s4, s3
	s_mul_i32 s2, s2, s8
	v_addc_co_u32_e64 v9, s[0:1], v3, v5, s[0:1]
	v_ashrrev_i32_e32 v3, 31, v2
	s_lshl_b64 s[2:3], s[2:3], 3
	v_lshlrev_b64 v[6:7], 3, v[2:3]
	s_add_u32 s8, s26, s2
	s_addc_u32 s14, s27, s3
	v_mov_b32_e32 v3, s11
	v_add_co_u32_e64 v12, s[2:3], s10, v6
	v_cmp_gt_i32_e64 s[0:1], s17, v2
	v_addc_co_u32_e64 v13, s[2:3], v3, v7, s[2:3]
	v_mad_i64_i32 v[2:3], s[2:3], s6, v2, 0
	v_cmp_le_i32_e64 s[2:3], v17, v16
	s_and_b64 s[4:5], s[0:1], vcc
	v_lshlrev_b64 v[2:3], 3, v[2:3]
	s_and_b64 s[4:5], s[4:5], s[2:3]
	v_mov_b32_e32 v16, s14
	v_add_co_u32_e64 v2, s[2:3], s8, v2
	v_addc_co_u32_e64 v3, s[2:3], v16, v3, s[2:3]
	v_add_co_u32_e64 v2, s[2:3], v2, v4
	v_addc_co_u32_e64 v3, s[2:3], v3, v5, s[2:3]
	v_mov_b32_e32 v17, s11
	v_add_co_u32_e64 v16, s[2:3], s10, v4
	v_lshlrev_b32_e32 v10, 8, v0
	v_lshlrev_b32_e32 v14, 3, v1
	v_addc_co_u32_e64 v17, s[2:3], v17, v5, s[2:3]
	v_add_u32_e32 v11, v10, v14
	v_or_b32_e32 v14, 0x2000, v14
	v_mov_b32_e32 v4, s9
	v_add_co_u32_e64 v18, s[2:3], s7, v6
	v_add_u32_e32 v15, v14, v10
	v_addc_co_u32_e64 v19, s[2:3], v4, v7, s[2:3]
	s_mov_b32 s14, 0
	v_add_u32_e32 v20, 0x800, v14
	v_add_u32_e32 v21, 0x1000, v14
	;; [unrolled: 1-line block ×3, first 2 shown]
	s_branch .LBB1900_5
.LBB1900_4:                             ;   in Loop: Header=BB1900_5 Depth=1
	s_or_b64 exec, exec, s[2:3]
	s_add_i32 s14, s14, 32
	s_cmp_lt_i32 s14, s18
	s_waitcnt vmcnt(0)
	s_barrier
	s_cbranch_scc0 .LBB1900_17
.LBB1900_5:                             ; =>This Inner Loop Header: Depth=1
	v_add_u32_e32 v23, s14, v1
	v_cmp_gt_i32_e64 s[2:3], s18, v23
	v_mov_b32_e32 v4, 0
	v_mov_b32_e32 v6, 0
	;; [unrolled: 1-line block ×4, first 2 shown]
	s_and_b64 s[6:7], vcc, s[2:3]
	s_and_saveexec_b64 s[8:9], s[6:7]
	s_cbranch_execz .LBB1900_7
; %bb.6:                                ;   in Loop: Header=BB1900_5 Depth=1
	v_mad_i64_i32 v[6:7], s[2:3], v23, s16, 0
	v_lshlrev_b64 v[6:7], 3, v[6:7]
	v_add_co_u32_e64 v6, s[2:3], v8, v6
	v_addc_co_u32_e64 v7, s[2:3], v9, v7, s[2:3]
	global_load_dwordx2 v[6:7], v[6:7], off
.LBB1900_7:                             ;   in Loop: Header=BB1900_5 Depth=1
	s_or_b64 exec, exec, s[8:9]
	v_add_u32_e32 v24, s14, v0
	v_cmp_gt_i32_e64 s[2:3], s18, v24
	s_and_b64 s[8:9], s[0:1], s[2:3]
	s_waitcnt vmcnt(0)
	ds_write_b64 v11, v[6:7]
	s_and_saveexec_b64 s[10:11], s[8:9]
	s_cbranch_execz .LBB1900_9
; %bb.8:                                ;   in Loop: Header=BB1900_5 Depth=1
	v_mad_i64_i32 v[4:5], s[2:3], v24, s19, 0
	v_lshlrev_b64 v[4:5], 3, v[4:5]
	v_add_co_u32_e64 v4, s[2:3], v12, v4
	v_addc_co_u32_e64 v5, s[2:3], v13, v5, s[2:3]
	global_load_dwordx2 v[4:5], v[4:5], off
.LBB1900_9:                             ;   in Loop: Header=BB1900_5 Depth=1
	s_or_b64 exec, exec, s[10:11]
	s_waitcnt vmcnt(0)
	ds_write_b64 v15, v[4:5]
	s_waitcnt lgkmcnt(0)
	s_barrier
	s_and_saveexec_b64 s[2:3], s[4:5]
	s_cbranch_execz .LBB1900_11
; %bb.10:                               ;   in Loop: Header=BB1900_5 Depth=1
	ds_read2_b64 v[4:7], v14 offset1:32
	ds_read_b128 v[25:28], v10
	s_waitcnt lgkmcnt(0)
	v_fma_f64 v[4:5], v[25:26], v[4:5], 0
	v_fma_f64 v[29:30], v[27:28], v[6:7], v[4:5]
	ds_read_b128 v[4:7], v10 offset:16
	ds_read2_b64 v[25:28], v14 offset0:64 offset1:96
	s_waitcnt lgkmcnt(0)
	v_fma_f64 v[4:5], v[4:5], v[25:26], v[29:30]
	v_fma_f64 v[29:30], v[6:7], v[27:28], v[4:5]
	ds_read2_b64 v[4:7], v14 offset0:128 offset1:160
	ds_read_b128 v[25:28], v10 offset:32
	s_waitcnt lgkmcnt(0)
	v_fma_f64 v[4:5], v[25:26], v[4:5], v[29:30]
	v_fma_f64 v[29:30], v[27:28], v[6:7], v[4:5]
	ds_read_b128 v[4:7], v10 offset:48
	ds_read2_b64 v[25:28], v14 offset0:192 offset1:224
	s_waitcnt lgkmcnt(0)
	v_fma_f64 v[4:5], v[4:5], v[25:26], v[29:30]
	v_fma_f64 v[29:30], v[6:7], v[27:28], v[4:5]
	ds_read2_b64 v[4:7], v20 offset1:32
	ds_read_b128 v[25:28], v10 offset:64
	s_waitcnt lgkmcnt(0)
	v_fma_f64 v[4:5], v[25:26], v[4:5], v[29:30]
	v_fma_f64 v[29:30], v[27:28], v[6:7], v[4:5]
	ds_read_b128 v[4:7], v10 offset:80
	ds_read2_b64 v[25:28], v20 offset0:64 offset1:96
	s_waitcnt lgkmcnt(0)
	v_fma_f64 v[4:5], v[4:5], v[25:26], v[29:30]
	v_fma_f64 v[29:30], v[6:7], v[27:28], v[4:5]
	ds_read2_b64 v[4:7], v20 offset0:128 offset1:160
	ds_read_b128 v[25:28], v10 offset:96
	s_waitcnt lgkmcnt(0)
	v_fma_f64 v[4:5], v[25:26], v[4:5], v[29:30]
	v_fma_f64 v[29:30], v[27:28], v[6:7], v[4:5]
	ds_read_b128 v[4:7], v10 offset:112
	ds_read2_b64 v[25:28], v20 offset0:192 offset1:224
	s_waitcnt lgkmcnt(0)
	v_fma_f64 v[4:5], v[4:5], v[25:26], v[29:30]
	v_fma_f64 v[29:30], v[6:7], v[27:28], v[4:5]
	ds_read2_b64 v[4:7], v21 offset1:32
	ds_read_b128 v[25:28], v10 offset:128
	s_waitcnt lgkmcnt(0)
	v_fma_f64 v[4:5], v[25:26], v[4:5], v[29:30]
	v_fma_f64 v[29:30], v[27:28], v[6:7], v[4:5]
	ds_read_b128 v[4:7], v10 offset:144
	ds_read2_b64 v[25:28], v21 offset0:64 offset1:96
	s_waitcnt lgkmcnt(0)
	v_fma_f64 v[4:5], v[4:5], v[25:26], v[29:30]
	v_fma_f64 v[29:30], v[6:7], v[27:28], v[4:5]
	ds_read2_b64 v[4:7], v21 offset0:128 offset1:160
	ds_read_b128 v[25:28], v10 offset:160
	s_waitcnt lgkmcnt(0)
	v_fma_f64 v[4:5], v[25:26], v[4:5], v[29:30]
	v_fma_f64 v[29:30], v[27:28], v[6:7], v[4:5]
	ds_read_b128 v[4:7], v10 offset:176
	ds_read2_b64 v[25:28], v21 offset0:192 offset1:224
	s_waitcnt lgkmcnt(0)
	v_fma_f64 v[4:5], v[4:5], v[25:26], v[29:30]
	global_load_dwordx2 v[29:30], v[2:3], off
	v_fma_f64 v[31:32], v[6:7], v[27:28], v[4:5]
	ds_read2_b64 v[4:7], v22 offset1:32
	ds_read_b128 v[25:28], v10 offset:192
	s_waitcnt lgkmcnt(0)
	v_fma_f64 v[4:5], v[25:26], v[4:5], v[31:32]
	v_fma_f64 v[31:32], v[27:28], v[6:7], v[4:5]
	ds_read_b128 v[4:7], v10 offset:208
	ds_read2_b64 v[25:28], v22 offset0:64 offset1:96
	s_waitcnt lgkmcnt(0)
	v_fma_f64 v[4:5], v[4:5], v[25:26], v[31:32]
	v_fma_f64 v[31:32], v[6:7], v[27:28], v[4:5]
	ds_read2_b64 v[4:7], v22 offset0:128 offset1:160
	ds_read_b128 v[25:28], v10 offset:224
	s_waitcnt lgkmcnt(0)
	v_fma_f64 v[4:5], v[25:26], v[4:5], v[31:32]
	v_fma_f64 v[31:32], v[27:28], v[6:7], v[4:5]
	ds_read_b128 v[4:7], v10 offset:240
	ds_read2_b64 v[25:28], v22 offset0:192 offset1:224
	s_waitcnt lgkmcnt(0)
	v_fma_f64 v[4:5], v[4:5], v[25:26], v[31:32]
	v_fma_f64 v[4:5], v[6:7], v[27:28], v[4:5]
	s_waitcnt vmcnt(0)
	v_fma_f64 v[4:5], s[12:13], v[4:5], v[29:30]
	global_store_dwordx2 v[2:3], v[4:5], off
.LBB1900_11:                            ;   in Loop: Header=BB1900_5 Depth=1
	s_or_b64 exec, exec, s[2:3]
	v_mov_b32_e32 v4, 0
	v_mov_b32_e32 v6, 0
	;; [unrolled: 1-line block ×4, first 2 shown]
	s_waitcnt vmcnt(0)
	s_barrier
	s_and_saveexec_b64 s[10:11], s[6:7]
	s_cbranch_execz .LBB1900_13
; %bb.12:                               ;   in Loop: Header=BB1900_5 Depth=1
	v_mad_i64_i32 v[6:7], s[2:3], v23, s19, 0
	v_lshlrev_b64 v[6:7], 3, v[6:7]
	v_add_co_u32_e64 v6, s[2:3], v16, v6
	v_addc_co_u32_e64 v7, s[2:3], v17, v7, s[2:3]
	global_load_dwordx2 v[6:7], v[6:7], off
.LBB1900_13:                            ;   in Loop: Header=BB1900_5 Depth=1
	s_or_b64 exec, exec, s[10:11]
	s_waitcnt vmcnt(0)
	ds_write_b64 v11, v[6:7]
	s_and_saveexec_b64 s[6:7], s[8:9]
	s_cbranch_execz .LBB1900_15
; %bb.14:                               ;   in Loop: Header=BB1900_5 Depth=1
	v_mad_i64_i32 v[4:5], s[2:3], v24, s16, 0
	v_lshlrev_b64 v[4:5], 3, v[4:5]
	v_add_co_u32_e64 v4, s[2:3], v18, v4
	v_addc_co_u32_e64 v5, s[2:3], v19, v5, s[2:3]
	global_load_dwordx2 v[4:5], v[4:5], off
.LBB1900_15:                            ;   in Loop: Header=BB1900_5 Depth=1
	s_or_b64 exec, exec, s[6:7]
	s_waitcnt vmcnt(0)
	ds_write_b64 v15, v[4:5]
	s_waitcnt lgkmcnt(0)
	s_barrier
	s_and_saveexec_b64 s[2:3], s[4:5]
	s_cbranch_execz .LBB1900_4
; %bb.16:                               ;   in Loop: Header=BB1900_5 Depth=1
	ds_read2_b64 v[4:7], v14 offset1:32
	ds_read_b128 v[23:26], v10
	s_waitcnt lgkmcnt(0)
	v_fma_f64 v[4:5], v[23:24], v[4:5], 0
	v_fma_f64 v[27:28], v[25:26], v[6:7], v[4:5]
	ds_read_b128 v[4:7], v10 offset:16
	ds_read2_b64 v[23:26], v14 offset0:64 offset1:96
	s_waitcnt lgkmcnt(0)
	v_fma_f64 v[4:5], v[4:5], v[23:24], v[27:28]
	v_fma_f64 v[27:28], v[6:7], v[25:26], v[4:5]
	ds_read2_b64 v[4:7], v14 offset0:128 offset1:160
	ds_read_b128 v[23:26], v10 offset:32
	s_waitcnt lgkmcnt(0)
	v_fma_f64 v[4:5], v[23:24], v[4:5], v[27:28]
	v_fma_f64 v[27:28], v[25:26], v[6:7], v[4:5]
	ds_read_b128 v[4:7], v10 offset:48
	ds_read2_b64 v[23:26], v14 offset0:192 offset1:224
	s_waitcnt lgkmcnt(0)
	v_fma_f64 v[4:5], v[4:5], v[23:24], v[27:28]
	v_fma_f64 v[27:28], v[6:7], v[25:26], v[4:5]
	ds_read2_b64 v[4:7], v20 offset1:32
	ds_read_b128 v[23:26], v10 offset:64
	s_waitcnt lgkmcnt(0)
	v_fma_f64 v[4:5], v[23:24], v[4:5], v[27:28]
	v_fma_f64 v[27:28], v[25:26], v[6:7], v[4:5]
	ds_read_b128 v[4:7], v10 offset:80
	ds_read2_b64 v[23:26], v20 offset0:64 offset1:96
	s_waitcnt lgkmcnt(0)
	v_fma_f64 v[4:5], v[4:5], v[23:24], v[27:28]
	v_fma_f64 v[27:28], v[6:7], v[25:26], v[4:5]
	ds_read2_b64 v[4:7], v20 offset0:128 offset1:160
	ds_read_b128 v[23:26], v10 offset:96
	s_waitcnt lgkmcnt(0)
	v_fma_f64 v[4:5], v[23:24], v[4:5], v[27:28]
	v_fma_f64 v[27:28], v[25:26], v[6:7], v[4:5]
	ds_read_b128 v[4:7], v10 offset:112
	ds_read2_b64 v[23:26], v20 offset0:192 offset1:224
	s_waitcnt lgkmcnt(0)
	v_fma_f64 v[4:5], v[4:5], v[23:24], v[27:28]
	v_fma_f64 v[27:28], v[6:7], v[25:26], v[4:5]
	ds_read2_b64 v[4:7], v21 offset1:32
	ds_read_b128 v[23:26], v10 offset:128
	s_waitcnt lgkmcnt(0)
	v_fma_f64 v[4:5], v[23:24], v[4:5], v[27:28]
	v_fma_f64 v[27:28], v[25:26], v[6:7], v[4:5]
	ds_read_b128 v[4:7], v10 offset:144
	ds_read2_b64 v[23:26], v21 offset0:64 offset1:96
	s_waitcnt lgkmcnt(0)
	v_fma_f64 v[4:5], v[4:5], v[23:24], v[27:28]
	v_fma_f64 v[27:28], v[6:7], v[25:26], v[4:5]
	ds_read2_b64 v[4:7], v21 offset0:128 offset1:160
	ds_read_b128 v[23:26], v10 offset:160
	s_waitcnt lgkmcnt(0)
	v_fma_f64 v[4:5], v[23:24], v[4:5], v[27:28]
	v_fma_f64 v[27:28], v[25:26], v[6:7], v[4:5]
	ds_read_b128 v[4:7], v10 offset:176
	ds_read2_b64 v[23:26], v21 offset0:192 offset1:224
	s_waitcnt lgkmcnt(0)
	v_fma_f64 v[4:5], v[4:5], v[23:24], v[27:28]
	global_load_dwordx2 v[27:28], v[2:3], off
	v_fma_f64 v[29:30], v[6:7], v[25:26], v[4:5]
	ds_read2_b64 v[4:7], v22 offset1:32
	ds_read_b128 v[23:26], v10 offset:192
	s_waitcnt lgkmcnt(0)
	v_fma_f64 v[4:5], v[23:24], v[4:5], v[29:30]
	v_fma_f64 v[29:30], v[25:26], v[6:7], v[4:5]
	ds_read_b128 v[4:7], v10 offset:208
	ds_read2_b64 v[23:26], v22 offset0:64 offset1:96
	s_waitcnt lgkmcnt(0)
	v_fma_f64 v[4:5], v[4:5], v[23:24], v[29:30]
	v_fma_f64 v[29:30], v[6:7], v[25:26], v[4:5]
	ds_read2_b64 v[4:7], v22 offset0:128 offset1:160
	ds_read_b128 v[23:26], v10 offset:224
	s_waitcnt lgkmcnt(0)
	v_fma_f64 v[4:5], v[23:24], v[4:5], v[29:30]
	v_fma_f64 v[29:30], v[25:26], v[6:7], v[4:5]
	ds_read_b128 v[4:7], v10 offset:240
	ds_read2_b64 v[23:26], v22 offset0:192 offset1:224
	s_waitcnt lgkmcnt(0)
	v_fma_f64 v[4:5], v[4:5], v[23:24], v[29:30]
	v_fma_f64 v[4:5], v[6:7], v[25:26], v[4:5]
	s_waitcnt vmcnt(0)
	v_fma_f64 v[4:5], s[12:13], v[4:5], v[27:28]
	global_store_dwordx2 v[2:3], v[4:5], off
	s_branch .LBB1900_4
.LBB1900_17:
	s_endpgm
	.section	.rodata,"a",@progbits
	.p2align	6, 0x0
	.amdhsa_kernel _ZL26rocblas_syr2k_her2k_kernelIiLb1ELb0ELb0ELi32EdPKdPdEvbiT_T4_T5_S3_lS5_S3_lT6_S3_li
		.amdhsa_group_segment_fixed_size 16384
		.amdhsa_private_segment_fixed_size 0
		.amdhsa_kernarg_size 100
		.amdhsa_user_sgpr_count 6
		.amdhsa_user_sgpr_private_segment_buffer 1
		.amdhsa_user_sgpr_dispatch_ptr 0
		.amdhsa_user_sgpr_queue_ptr 0
		.amdhsa_user_sgpr_kernarg_segment_ptr 1
		.amdhsa_user_sgpr_dispatch_id 0
		.amdhsa_user_sgpr_flat_scratch_init 0
		.amdhsa_user_sgpr_private_segment_size 0
		.amdhsa_uses_dynamic_stack 0
		.amdhsa_system_sgpr_private_segment_wavefront_offset 0
		.amdhsa_system_sgpr_workgroup_id_x 1
		.amdhsa_system_sgpr_workgroup_id_y 1
		.amdhsa_system_sgpr_workgroup_id_z 1
		.amdhsa_system_sgpr_workgroup_info 0
		.amdhsa_system_vgpr_workitem_id 1
		.amdhsa_next_free_vgpr 33
		.amdhsa_next_free_sgpr 61
		.amdhsa_reserve_vcc 1
		.amdhsa_reserve_flat_scratch 0
		.amdhsa_float_round_mode_32 0
		.amdhsa_float_round_mode_16_64 0
		.amdhsa_float_denorm_mode_32 3
		.amdhsa_float_denorm_mode_16_64 3
		.amdhsa_dx10_clamp 1
		.amdhsa_ieee_mode 1
		.amdhsa_fp16_overflow 0
		.amdhsa_exception_fp_ieee_invalid_op 0
		.amdhsa_exception_fp_denorm_src 0
		.amdhsa_exception_fp_ieee_div_zero 0
		.amdhsa_exception_fp_ieee_overflow 0
		.amdhsa_exception_fp_ieee_underflow 0
		.amdhsa_exception_fp_ieee_inexact 0
		.amdhsa_exception_int_div_zero 0
	.end_amdhsa_kernel
	.section	.text._ZL26rocblas_syr2k_her2k_kernelIiLb1ELb0ELb0ELi32EdPKdPdEvbiT_T4_T5_S3_lS5_S3_lT6_S3_li,"axG",@progbits,_ZL26rocblas_syr2k_her2k_kernelIiLb1ELb0ELb0ELi32EdPKdPdEvbiT_T4_T5_S3_lS5_S3_lT6_S3_li,comdat
.Lfunc_end1900:
	.size	_ZL26rocblas_syr2k_her2k_kernelIiLb1ELb0ELb0ELi32EdPKdPdEvbiT_T4_T5_S3_lS5_S3_lT6_S3_li, .Lfunc_end1900-_ZL26rocblas_syr2k_her2k_kernelIiLb1ELb0ELb0ELi32EdPKdPdEvbiT_T4_T5_S3_lS5_S3_lT6_S3_li
                                        ; -- End function
	.set _ZL26rocblas_syr2k_her2k_kernelIiLb1ELb0ELb0ELi32EdPKdPdEvbiT_T4_T5_S3_lS5_S3_lT6_S3_li.num_vgpr, 33
	.set _ZL26rocblas_syr2k_her2k_kernelIiLb1ELb0ELb0ELi32EdPKdPdEvbiT_T4_T5_S3_lS5_S3_lT6_S3_li.num_agpr, 0
	.set _ZL26rocblas_syr2k_her2k_kernelIiLb1ELb0ELb0ELi32EdPKdPdEvbiT_T4_T5_S3_lS5_S3_lT6_S3_li.numbered_sgpr, 28
	.set _ZL26rocblas_syr2k_her2k_kernelIiLb1ELb0ELb0ELi32EdPKdPdEvbiT_T4_T5_S3_lS5_S3_lT6_S3_li.num_named_barrier, 0
	.set _ZL26rocblas_syr2k_her2k_kernelIiLb1ELb0ELb0ELi32EdPKdPdEvbiT_T4_T5_S3_lS5_S3_lT6_S3_li.private_seg_size, 0
	.set _ZL26rocblas_syr2k_her2k_kernelIiLb1ELb0ELb0ELi32EdPKdPdEvbiT_T4_T5_S3_lS5_S3_lT6_S3_li.uses_vcc, 1
	.set _ZL26rocblas_syr2k_her2k_kernelIiLb1ELb0ELb0ELi32EdPKdPdEvbiT_T4_T5_S3_lS5_S3_lT6_S3_li.uses_flat_scratch, 0
	.set _ZL26rocblas_syr2k_her2k_kernelIiLb1ELb0ELb0ELi32EdPKdPdEvbiT_T4_T5_S3_lS5_S3_lT6_S3_li.has_dyn_sized_stack, 0
	.set _ZL26rocblas_syr2k_her2k_kernelIiLb1ELb0ELb0ELi32EdPKdPdEvbiT_T4_T5_S3_lS5_S3_lT6_S3_li.has_recursion, 0
	.set _ZL26rocblas_syr2k_her2k_kernelIiLb1ELb0ELb0ELi32EdPKdPdEvbiT_T4_T5_S3_lS5_S3_lT6_S3_li.has_indirect_call, 0
	.section	.AMDGPU.csdata,"",@progbits
; Kernel info:
; codeLenInByte = 2084
; TotalNumSgprs: 32
; NumVgprs: 33
; ScratchSize: 0
; MemoryBound: 0
; FloatMode: 240
; IeeeMode: 1
; LDSByteSize: 16384 bytes/workgroup (compile time only)
; SGPRBlocks: 8
; VGPRBlocks: 8
; NumSGPRsForWavesPerEU: 65
; NumVGPRsForWavesPerEU: 33
; Occupancy: 7
; WaveLimiterHint : 0
; COMPUTE_PGM_RSRC2:SCRATCH_EN: 0
; COMPUTE_PGM_RSRC2:USER_SGPR: 6
; COMPUTE_PGM_RSRC2:TRAP_HANDLER: 0
; COMPUTE_PGM_RSRC2:TGID_X_EN: 1
; COMPUTE_PGM_RSRC2:TGID_Y_EN: 1
; COMPUTE_PGM_RSRC2:TGID_Z_EN: 1
; COMPUTE_PGM_RSRC2:TIDIG_COMP_CNT: 1
	.section	.text._ZL26rocblas_syr2k_her2k_kernelIiLb1ELb0ELb1ELi32EdPKdPdEvbiT_T4_T5_S3_lS5_S3_lT6_S3_li,"axG",@progbits,_ZL26rocblas_syr2k_her2k_kernelIiLb1ELb0ELb1ELi32EdPKdPdEvbiT_T4_T5_S3_lS5_S3_lT6_S3_li,comdat
	.globl	_ZL26rocblas_syr2k_her2k_kernelIiLb1ELb0ELb1ELi32EdPKdPdEvbiT_T4_T5_S3_lS5_S3_lT6_S3_li ; -- Begin function _ZL26rocblas_syr2k_her2k_kernelIiLb1ELb0ELb1ELi32EdPKdPdEvbiT_T4_T5_S3_lS5_S3_lT6_S3_li
	.p2align	8
	.type	_ZL26rocblas_syr2k_her2k_kernelIiLb1ELb0ELb1ELi32EdPKdPdEvbiT_T4_T5_S3_lS5_S3_lT6_S3_li,@function
_ZL26rocblas_syr2k_her2k_kernelIiLb1ELb0ELb1ELi32EdPKdPdEvbiT_T4_T5_S3_lS5_S3_lT6_S3_li: ; @_ZL26rocblas_syr2k_her2k_kernelIiLb1ELb0ELb1ELi32EdPKdPdEvbiT_T4_T5_S3_lS5_S3_lT6_S3_li
; %bb.0:
	s_load_dwordx4 s[12:15], s[4:5], 0x10
	s_waitcnt lgkmcnt(0)
	v_cmp_eq_f64_e64 s[0:1], s[12:13], 0
	s_and_b64 vcc, exec, s[0:1]
	s_cbranch_vccnz .LBB1901_17
; %bb.1:
	s_load_dwordx4 s[16:19], s[4:5], 0x0
	s_lshl_b32 s0, s7, 5
	s_lshl_b32 s1, s6, 5
	s_waitcnt lgkmcnt(0)
	s_and_b32 s2, 1, s16
	s_cmp_eq_u32 s2, 1
	s_cselect_b64 vcc, -1, 0
	s_and_b64 s[2:3], vcc, exec
	s_cselect_b32 s2, s1, s0
	s_cselect_b32 s3, s0, s1
	s_cmp_gt_i32 s2, s3
	s_cbranch_scc1 .LBB1901_17
; %bb.2:
	s_cmp_lt_i32 s18, 1
	s_cbranch_scc1 .LBB1901_17
; %bb.3:
	v_add_u32_e32 v2, s1, v0
	s_load_dword s6, s[4:5], 0x20
	s_load_dwordx4 s[20:23], s[4:5], 0x28
	s_load_dword s7, s[4:5], 0x38
	s_load_dwordx4 s[24:27], s[4:5], 0x40
	s_load_dword s9, s[4:5], 0x50
	s_load_dwordx2 s[2:3], s[4:5], 0x58
	v_add_u32_e32 v7, s0, v1
	s_waitcnt lgkmcnt(0)
	v_mad_i64_i32 v[4:5], s[0:1], s6, v2, 0
	s_mul_i32 s4, s21, s8
	s_mul_hi_u32 s5, s20, s8
	s_add_i32 s5, s5, s4
	s_mul_i32 s4, s20, s8
	s_lshl_b64 s[4:5], s[4:5], 3
	s_add_u32 s10, s14, s4
	v_lshlrev_b64 v[4:5], 3, v[4:5]
	s_addc_u32 s11, s15, s5
	s_mul_i32 s4, s25, s8
	s_mul_hi_u32 s5, s24, s8
	v_mov_b32_e32 v9, s11
	v_add_co_u32_e64 v12, s[0:1], s10, v4
	s_add_i32 s5, s5, s4
	s_mul_i32 s4, s24, s8
	v_addc_co_u32_e64 v13, s[0:1], v9, v5, s[0:1]
	v_mad_i64_i32 v[4:5], s[0:1], s7, v7, 0
	s_lshl_b64 s[4:5], s[4:5], 3
	s_add_u32 s14, s22, s4
	s_mul_i32 s3, s3, s8
	s_mul_hi_u32 s4, s2, s8
	s_addc_u32 s15, s23, s5
	s_add_i32 s3, s4, s3
	s_mul_i32 s2, s2, s8
	s_lshl_b64 s[2:3], s[2:3], 3
	v_lshlrev_b64 v[4:5], 3, v[4:5]
	s_add_u32 s8, s26, s2
	s_addc_u32 s16, s27, s3
	v_mov_b32_e32 v10, s15
	v_add_co_u32_e64 v16, s[2:3], s14, v4
	v_addc_co_u32_e64 v17, s[2:3], v10, v5, s[2:3]
	v_mad_i64_i32 v[4:5], s[2:3], s9, v7, 0
	v_cndmask_b32_e32 v6, v2, v7, vcc
	v_cndmask_b32_e32 v8, v7, v2, vcc
	v_cmp_gt_i32_e32 vcc, s17, v2
	v_cmp_gt_i32_e64 s[0:1], s17, v7
	v_lshlrev_b64 v[4:5], 3, v[4:5]
	v_cmp_le_i32_e64 s[2:3], v8, v6
	s_and_b64 s[4:5], s[0:1], vcc
	v_lshlrev_b32_e32 v14, 8, v0
	v_lshlrev_b32_e32 v9, 3, v1
	s_and_b64 s[4:5], s[4:5], s[2:3]
	v_mov_b32_e32 v6, s16
	v_add_co_u32_e64 v8, s[2:3], s8, v4
	v_ashrrev_i32_e32 v3, 31, v2
	v_add_u32_e32 v15, v14, v9
	v_or_b32_e32 v18, 0x2000, v9
	v_addc_co_u32_e64 v9, s[2:3], v6, v5, s[2:3]
	v_mad_i64_i32 v[5:6], s[2:3], s7, v2, 0
	v_lshlrev_b64 v[3:4], 3, v[2:3]
	v_add_u32_e32 v19, v18, v14
	v_add_co_u32_e64 v2, s[2:3], v8, v3
	v_addc_co_u32_e64 v3, s[2:3], v9, v4, s[2:3]
	v_lshlrev_b64 v[4:5], 3, v[5:6]
	v_mad_i64_i32 v[6:7], s[2:3], s6, v7, 0
	v_mov_b32_e32 v8, s15
	v_add_co_u32_e64 v20, s[2:3], s14, v4
	v_addc_co_u32_e64 v21, s[2:3], v8, v5, s[2:3]
	v_lshlrev_b64 v[4:5], 3, v[6:7]
	v_mov_b32_e32 v6, s11
	v_add_co_u32_e64 v22, s[2:3], s10, v4
	v_addc_co_u32_e64 v23, s[2:3], v6, v5, s[2:3]
	s_mov_b32 s14, 0
	v_add_u32_e32 v24, 0x800, v18
	v_add_u32_e32 v25, 0x1000, v18
	v_add_u32_e32 v26, 0x1800, v18
	s_branch .LBB1901_5
.LBB1901_4:                             ;   in Loop: Header=BB1901_5 Depth=1
	s_or_b64 exec, exec, s[2:3]
	s_add_i32 s14, s14, 32
	s_cmp_lt_i32 s14, s18
	s_waitcnt vmcnt(0)
	s_barrier
	s_cbranch_scc0 .LBB1901_17
.LBB1901_5:                             ; =>This Inner Loop Header: Depth=1
	v_add_u32_e32 v4, s14, v1
	v_cmp_gt_i32_e64 s[2:3], s18, v4
	v_mov_b32_e32 v8, 0
	v_mov_b32_e32 v6, 0
	s_and_b64 s[6:7], vcc, s[2:3]
	v_mov_b32_e32 v9, 0
	v_mov_b32_e32 v7, 0
	v_ashrrev_i32_e32 v5, 31, v4
	s_and_saveexec_b64 s[8:9], s[6:7]
	s_cbranch_execz .LBB1901_7
; %bb.6:                                ;   in Loop: Header=BB1901_5 Depth=1
	v_lshlrev_b64 v[6:7], 3, v[4:5]
	v_add_co_u32_e64 v6, s[2:3], v12, v6
	v_addc_co_u32_e64 v7, s[2:3], v13, v7, s[2:3]
	global_load_dwordx2 v[6:7], v[6:7], off
.LBB1901_7:                             ;   in Loop: Header=BB1901_5 Depth=1
	s_or_b64 exec, exec, s[8:9]
	s_waitcnt vmcnt(0)
	ds_write_b64 v15, v[6:7]
	v_add_u32_e32 v6, s14, v0
	v_cmp_gt_i32_e64 s[2:3], s18, v6
	s_and_b64 s[8:9], s[0:1], s[2:3]
	v_ashrrev_i32_e32 v7, 31, v6
	s_and_saveexec_b64 s[10:11], s[8:9]
	s_cbranch_execz .LBB1901_9
; %bb.8:                                ;   in Loop: Header=BB1901_5 Depth=1
	v_lshlrev_b64 v[8:9], 3, v[6:7]
	v_add_co_u32_e64 v8, s[2:3], v16, v8
	v_addc_co_u32_e64 v9, s[2:3], v17, v9, s[2:3]
	global_load_dwordx2 v[8:9], v[8:9], off
.LBB1901_9:                             ;   in Loop: Header=BB1901_5 Depth=1
	s_or_b64 exec, exec, s[10:11]
	s_waitcnt vmcnt(0)
	ds_write_b64 v19, v[8:9]
	s_waitcnt lgkmcnt(0)
	s_barrier
	s_and_saveexec_b64 s[2:3], s[4:5]
	s_cbranch_execz .LBB1901_11
; %bb.10:                               ;   in Loop: Header=BB1901_5 Depth=1
	ds_read2_b64 v[8:11], v18 offset1:32
	ds_read_b128 v[27:30], v14
	s_waitcnt lgkmcnt(0)
	v_fma_f64 v[8:9], v[27:28], v[8:9], 0
	v_fma_f64 v[31:32], v[29:30], v[10:11], v[8:9]
	ds_read_b128 v[8:11], v14 offset:16
	ds_read2_b64 v[27:30], v18 offset0:64 offset1:96
	s_waitcnt lgkmcnt(0)
	v_fma_f64 v[8:9], v[8:9], v[27:28], v[31:32]
	v_fma_f64 v[31:32], v[10:11], v[29:30], v[8:9]
	ds_read2_b64 v[8:11], v18 offset0:128 offset1:160
	ds_read_b128 v[27:30], v14 offset:32
	s_waitcnt lgkmcnt(0)
	v_fma_f64 v[8:9], v[27:28], v[8:9], v[31:32]
	v_fma_f64 v[31:32], v[29:30], v[10:11], v[8:9]
	ds_read_b128 v[8:11], v14 offset:48
	ds_read2_b64 v[27:30], v18 offset0:192 offset1:224
	s_waitcnt lgkmcnt(0)
	v_fma_f64 v[8:9], v[8:9], v[27:28], v[31:32]
	v_fma_f64 v[31:32], v[10:11], v[29:30], v[8:9]
	ds_read2_b64 v[8:11], v24 offset1:32
	ds_read_b128 v[27:30], v14 offset:64
	s_waitcnt lgkmcnt(0)
	v_fma_f64 v[8:9], v[27:28], v[8:9], v[31:32]
	v_fma_f64 v[31:32], v[29:30], v[10:11], v[8:9]
	ds_read_b128 v[8:11], v14 offset:80
	ds_read2_b64 v[27:30], v24 offset0:64 offset1:96
	s_waitcnt lgkmcnt(0)
	v_fma_f64 v[8:9], v[8:9], v[27:28], v[31:32]
	v_fma_f64 v[31:32], v[10:11], v[29:30], v[8:9]
	ds_read2_b64 v[8:11], v24 offset0:128 offset1:160
	ds_read_b128 v[27:30], v14 offset:96
	s_waitcnt lgkmcnt(0)
	v_fma_f64 v[8:9], v[27:28], v[8:9], v[31:32]
	v_fma_f64 v[31:32], v[29:30], v[10:11], v[8:9]
	ds_read_b128 v[8:11], v14 offset:112
	ds_read2_b64 v[27:30], v24 offset0:192 offset1:224
	s_waitcnt lgkmcnt(0)
	v_fma_f64 v[8:9], v[8:9], v[27:28], v[31:32]
	v_fma_f64 v[31:32], v[10:11], v[29:30], v[8:9]
	ds_read2_b64 v[8:11], v25 offset1:32
	ds_read_b128 v[27:30], v14 offset:128
	s_waitcnt lgkmcnt(0)
	v_fma_f64 v[8:9], v[27:28], v[8:9], v[31:32]
	v_fma_f64 v[31:32], v[29:30], v[10:11], v[8:9]
	ds_read_b128 v[8:11], v14 offset:144
	ds_read2_b64 v[27:30], v25 offset0:64 offset1:96
	s_waitcnt lgkmcnt(0)
	v_fma_f64 v[8:9], v[8:9], v[27:28], v[31:32]
	v_fma_f64 v[31:32], v[10:11], v[29:30], v[8:9]
	ds_read2_b64 v[8:11], v25 offset0:128 offset1:160
	ds_read_b128 v[27:30], v14 offset:160
	s_waitcnt lgkmcnt(0)
	v_fma_f64 v[8:9], v[27:28], v[8:9], v[31:32]
	v_fma_f64 v[31:32], v[29:30], v[10:11], v[8:9]
	ds_read_b128 v[8:11], v14 offset:176
	ds_read2_b64 v[27:30], v25 offset0:192 offset1:224
	s_waitcnt lgkmcnt(0)
	v_fma_f64 v[8:9], v[8:9], v[27:28], v[31:32]
	global_load_dwordx2 v[31:32], v[2:3], off
	v_fma_f64 v[33:34], v[10:11], v[29:30], v[8:9]
	ds_read2_b64 v[8:11], v26 offset1:32
	ds_read_b128 v[27:30], v14 offset:192
	s_waitcnt lgkmcnt(0)
	v_fma_f64 v[8:9], v[27:28], v[8:9], v[33:34]
	v_fma_f64 v[33:34], v[29:30], v[10:11], v[8:9]
	ds_read_b128 v[8:11], v14 offset:208
	ds_read2_b64 v[27:30], v26 offset0:64 offset1:96
	s_waitcnt lgkmcnt(0)
	v_fma_f64 v[8:9], v[8:9], v[27:28], v[33:34]
	v_fma_f64 v[33:34], v[10:11], v[29:30], v[8:9]
	ds_read2_b64 v[8:11], v26 offset0:128 offset1:160
	ds_read_b128 v[27:30], v14 offset:224
	s_waitcnt lgkmcnt(0)
	v_fma_f64 v[8:9], v[27:28], v[8:9], v[33:34]
	v_fma_f64 v[33:34], v[29:30], v[10:11], v[8:9]
	ds_read_b128 v[8:11], v14 offset:240
	ds_read2_b64 v[27:30], v26 offset0:192 offset1:224
	s_waitcnt lgkmcnt(0)
	v_fma_f64 v[8:9], v[8:9], v[27:28], v[33:34]
	v_fma_f64 v[8:9], v[10:11], v[29:30], v[8:9]
	s_waitcnt vmcnt(0)
	v_fma_f64 v[8:9], s[12:13], v[8:9], v[31:32]
	global_store_dwordx2 v[2:3], v[8:9], off
.LBB1901_11:                            ;   in Loop: Header=BB1901_5 Depth=1
	s_or_b64 exec, exec, s[2:3]
	v_mov_b32_e32 v8, 0
	v_mov_b32_e32 v10, 0
	;; [unrolled: 1-line block ×4, first 2 shown]
	s_waitcnt vmcnt(0)
	s_barrier
	s_and_saveexec_b64 s[10:11], s[6:7]
	s_cbranch_execz .LBB1901_13
; %bb.12:                               ;   in Loop: Header=BB1901_5 Depth=1
	v_lshlrev_b64 v[4:5], 3, v[4:5]
	v_add_co_u32_e64 v4, s[2:3], v20, v4
	v_addc_co_u32_e64 v5, s[2:3], v21, v5, s[2:3]
	global_load_dwordx2 v[10:11], v[4:5], off
.LBB1901_13:                            ;   in Loop: Header=BB1901_5 Depth=1
	s_or_b64 exec, exec, s[10:11]
	s_waitcnt vmcnt(0)
	ds_write_b64 v15, v[10:11]
	s_and_saveexec_b64 s[6:7], s[8:9]
	s_cbranch_execz .LBB1901_15
; %bb.14:                               ;   in Loop: Header=BB1901_5 Depth=1
	v_lshlrev_b64 v[4:5], 3, v[6:7]
	v_add_co_u32_e64 v4, s[2:3], v22, v4
	v_addc_co_u32_e64 v5, s[2:3], v23, v5, s[2:3]
	global_load_dwordx2 v[8:9], v[4:5], off
.LBB1901_15:                            ;   in Loop: Header=BB1901_5 Depth=1
	s_or_b64 exec, exec, s[6:7]
	s_waitcnt vmcnt(0)
	ds_write_b64 v19, v[8:9]
	s_waitcnt lgkmcnt(0)
	s_barrier
	s_and_saveexec_b64 s[2:3], s[4:5]
	s_cbranch_execz .LBB1901_4
; %bb.16:                               ;   in Loop: Header=BB1901_5 Depth=1
	ds_read2_b64 v[4:7], v18 offset1:32
	ds_read_b128 v[8:11], v14
	ds_read_b128 v[27:30], v14 offset:16
	s_waitcnt lgkmcnt(1)
	v_fma_f64 v[4:5], v[8:9], v[4:5], 0
	v_fma_f64 v[8:9], v[10:11], v[6:7], v[4:5]
	ds_read2_b64 v[4:7], v18 offset0:64 offset1:96
	s_waitcnt lgkmcnt(0)
	v_fma_f64 v[4:5], v[27:28], v[4:5], v[8:9]
	v_fma_f64 v[31:32], v[29:30], v[6:7], v[4:5]
	ds_read2_b64 v[4:7], v18 offset0:128 offset1:160
	ds_read_b128 v[8:11], v14 offset:32
	ds_read_b128 v[27:30], v14 offset:48
	s_waitcnt lgkmcnt(1)
	v_fma_f64 v[4:5], v[8:9], v[4:5], v[31:32]
	v_fma_f64 v[8:9], v[10:11], v[6:7], v[4:5]
	ds_read2_b64 v[4:7], v18 offset0:192 offset1:224
	s_waitcnt lgkmcnt(0)
	v_fma_f64 v[4:5], v[27:28], v[4:5], v[8:9]
	v_fma_f64 v[31:32], v[29:30], v[6:7], v[4:5]
	ds_read2_b64 v[4:7], v24 offset1:32
	ds_read_b128 v[8:11], v14 offset:64
	ds_read_b128 v[27:30], v14 offset:80
	s_waitcnt lgkmcnt(1)
	v_fma_f64 v[4:5], v[8:9], v[4:5], v[31:32]
	v_fma_f64 v[8:9], v[10:11], v[6:7], v[4:5]
	ds_read2_b64 v[4:7], v24 offset0:64 offset1:96
	s_waitcnt lgkmcnt(0)
	v_fma_f64 v[4:5], v[27:28], v[4:5], v[8:9]
	v_fma_f64 v[31:32], v[29:30], v[6:7], v[4:5]
	ds_read2_b64 v[4:7], v24 offset0:128 offset1:160
	ds_read_b128 v[8:11], v14 offset:96
	ds_read_b128 v[27:30], v14 offset:112
	s_waitcnt lgkmcnt(1)
	v_fma_f64 v[4:5], v[8:9], v[4:5], v[31:32]
	v_fma_f64 v[8:9], v[10:11], v[6:7], v[4:5]
	ds_read2_b64 v[4:7], v24 offset0:192 offset1:224
	s_waitcnt lgkmcnt(0)
	v_fma_f64 v[4:5], v[27:28], v[4:5], v[8:9]
	v_fma_f64 v[31:32], v[29:30], v[6:7], v[4:5]
	ds_read2_b64 v[4:7], v25 offset1:32
	ds_read_b128 v[8:11], v14 offset:128
	ds_read_b128 v[27:30], v14 offset:144
	s_waitcnt lgkmcnt(1)
	v_fma_f64 v[4:5], v[8:9], v[4:5], v[31:32]
	v_fma_f64 v[8:9], v[10:11], v[6:7], v[4:5]
	ds_read2_b64 v[4:7], v25 offset0:64 offset1:96
	s_waitcnt lgkmcnt(0)
	v_fma_f64 v[4:5], v[27:28], v[4:5], v[8:9]
	v_fma_f64 v[31:32], v[29:30], v[6:7], v[4:5]
	ds_read2_b64 v[4:7], v25 offset0:128 offset1:160
	ds_read_b128 v[8:11], v14 offset:160
	ds_read_b128 v[27:30], v14 offset:176
	s_waitcnt lgkmcnt(1)
	v_fma_f64 v[4:5], v[8:9], v[4:5], v[31:32]
	global_load_dwordx2 v[31:32], v[2:3], off
	v_fma_f64 v[8:9], v[10:11], v[6:7], v[4:5]
	ds_read2_b64 v[4:7], v25 offset0:192 offset1:224
	s_waitcnt lgkmcnt(0)
	v_fma_f64 v[4:5], v[27:28], v[4:5], v[8:9]
	v_fma_f64 v[33:34], v[29:30], v[6:7], v[4:5]
	ds_read2_b64 v[4:7], v26 offset1:32
	ds_read_b128 v[8:11], v14 offset:192
	ds_read_b128 v[27:30], v14 offset:208
	s_waitcnt lgkmcnt(1)
	v_fma_f64 v[4:5], v[8:9], v[4:5], v[33:34]
	v_fma_f64 v[8:9], v[10:11], v[6:7], v[4:5]
	ds_read2_b64 v[4:7], v26 offset0:64 offset1:96
	s_waitcnt lgkmcnt(0)
	v_fma_f64 v[4:5], v[27:28], v[4:5], v[8:9]
	v_fma_f64 v[33:34], v[29:30], v[6:7], v[4:5]
	ds_read2_b64 v[4:7], v26 offset0:128 offset1:160
	ds_read_b128 v[8:11], v14 offset:224
	ds_read_b128 v[27:30], v14 offset:240
	s_waitcnt lgkmcnt(1)
	v_fma_f64 v[4:5], v[8:9], v[4:5], v[33:34]
	v_fma_f64 v[8:9], v[10:11], v[6:7], v[4:5]
	ds_read2_b64 v[4:7], v26 offset0:192 offset1:224
	s_waitcnt lgkmcnt(0)
	v_fma_f64 v[4:5], v[27:28], v[4:5], v[8:9]
	v_fma_f64 v[4:5], v[29:30], v[6:7], v[4:5]
	s_waitcnt vmcnt(0)
	v_fma_f64 v[4:5], s[12:13], v[4:5], v[31:32]
	global_store_dwordx2 v[2:3], v[4:5], off
	s_branch .LBB1901_4
.LBB1901_17:
	s_endpgm
	.section	.rodata,"a",@progbits
	.p2align	6, 0x0
	.amdhsa_kernel _ZL26rocblas_syr2k_her2k_kernelIiLb1ELb0ELb1ELi32EdPKdPdEvbiT_T4_T5_S3_lS5_S3_lT6_S3_li
		.amdhsa_group_segment_fixed_size 16384
		.amdhsa_private_segment_fixed_size 0
		.amdhsa_kernarg_size 100
		.amdhsa_user_sgpr_count 6
		.amdhsa_user_sgpr_private_segment_buffer 1
		.amdhsa_user_sgpr_dispatch_ptr 0
		.amdhsa_user_sgpr_queue_ptr 0
		.amdhsa_user_sgpr_kernarg_segment_ptr 1
		.amdhsa_user_sgpr_dispatch_id 0
		.amdhsa_user_sgpr_flat_scratch_init 0
		.amdhsa_user_sgpr_private_segment_size 0
		.amdhsa_uses_dynamic_stack 0
		.amdhsa_system_sgpr_private_segment_wavefront_offset 0
		.amdhsa_system_sgpr_workgroup_id_x 1
		.amdhsa_system_sgpr_workgroup_id_y 1
		.amdhsa_system_sgpr_workgroup_id_z 1
		.amdhsa_system_sgpr_workgroup_info 0
		.amdhsa_system_vgpr_workitem_id 1
		.amdhsa_next_free_vgpr 35
		.amdhsa_next_free_sgpr 61
		.amdhsa_reserve_vcc 1
		.amdhsa_reserve_flat_scratch 0
		.amdhsa_float_round_mode_32 0
		.amdhsa_float_round_mode_16_64 0
		.amdhsa_float_denorm_mode_32 3
		.amdhsa_float_denorm_mode_16_64 3
		.amdhsa_dx10_clamp 1
		.amdhsa_ieee_mode 1
		.amdhsa_fp16_overflow 0
		.amdhsa_exception_fp_ieee_invalid_op 0
		.amdhsa_exception_fp_denorm_src 0
		.amdhsa_exception_fp_ieee_div_zero 0
		.amdhsa_exception_fp_ieee_overflow 0
		.amdhsa_exception_fp_ieee_underflow 0
		.amdhsa_exception_fp_ieee_inexact 0
		.amdhsa_exception_int_div_zero 0
	.end_amdhsa_kernel
	.section	.text._ZL26rocblas_syr2k_her2k_kernelIiLb1ELb0ELb1ELi32EdPKdPdEvbiT_T4_T5_S3_lS5_S3_lT6_S3_li,"axG",@progbits,_ZL26rocblas_syr2k_her2k_kernelIiLb1ELb0ELb1ELi32EdPKdPdEvbiT_T4_T5_S3_lS5_S3_lT6_S3_li,comdat
.Lfunc_end1901:
	.size	_ZL26rocblas_syr2k_her2k_kernelIiLb1ELb0ELb1ELi32EdPKdPdEvbiT_T4_T5_S3_lS5_S3_lT6_S3_li, .Lfunc_end1901-_ZL26rocblas_syr2k_her2k_kernelIiLb1ELb0ELb1ELi32EdPKdPdEvbiT_T4_T5_S3_lS5_S3_lT6_S3_li
                                        ; -- End function
	.set _ZL26rocblas_syr2k_her2k_kernelIiLb1ELb0ELb1ELi32EdPKdPdEvbiT_T4_T5_S3_lS5_S3_lT6_S3_li.num_vgpr, 35
	.set _ZL26rocblas_syr2k_her2k_kernelIiLb1ELb0ELb1ELi32EdPKdPdEvbiT_T4_T5_S3_lS5_S3_lT6_S3_li.num_agpr, 0
	.set _ZL26rocblas_syr2k_her2k_kernelIiLb1ELb0ELb1ELi32EdPKdPdEvbiT_T4_T5_S3_lS5_S3_lT6_S3_li.numbered_sgpr, 28
	.set _ZL26rocblas_syr2k_her2k_kernelIiLb1ELb0ELb1ELi32EdPKdPdEvbiT_T4_T5_S3_lS5_S3_lT6_S3_li.num_named_barrier, 0
	.set _ZL26rocblas_syr2k_her2k_kernelIiLb1ELb0ELb1ELi32EdPKdPdEvbiT_T4_T5_S3_lS5_S3_lT6_S3_li.private_seg_size, 0
	.set _ZL26rocblas_syr2k_her2k_kernelIiLb1ELb0ELb1ELi32EdPKdPdEvbiT_T4_T5_S3_lS5_S3_lT6_S3_li.uses_vcc, 1
	.set _ZL26rocblas_syr2k_her2k_kernelIiLb1ELb0ELb1ELi32EdPKdPdEvbiT_T4_T5_S3_lS5_S3_lT6_S3_li.uses_flat_scratch, 0
	.set _ZL26rocblas_syr2k_her2k_kernelIiLb1ELb0ELb1ELi32EdPKdPdEvbiT_T4_T5_S3_lS5_S3_lT6_S3_li.has_dyn_sized_stack, 0
	.set _ZL26rocblas_syr2k_her2k_kernelIiLb1ELb0ELb1ELi32EdPKdPdEvbiT_T4_T5_S3_lS5_S3_lT6_S3_li.has_recursion, 0
	.set _ZL26rocblas_syr2k_her2k_kernelIiLb1ELb0ELb1ELi32EdPKdPdEvbiT_T4_T5_S3_lS5_S3_lT6_S3_li.has_indirect_call, 0
	.section	.AMDGPU.csdata,"",@progbits
; Kernel info:
; codeLenInByte = 2112
; TotalNumSgprs: 32
; NumVgprs: 35
; ScratchSize: 0
; MemoryBound: 0
; FloatMode: 240
; IeeeMode: 1
; LDSByteSize: 16384 bytes/workgroup (compile time only)
; SGPRBlocks: 8
; VGPRBlocks: 8
; NumSGPRsForWavesPerEU: 65
; NumVGPRsForWavesPerEU: 35
; Occupancy: 7
; WaveLimiterHint : 0
; COMPUTE_PGM_RSRC2:SCRATCH_EN: 0
; COMPUTE_PGM_RSRC2:USER_SGPR: 6
; COMPUTE_PGM_RSRC2:TRAP_HANDLER: 0
; COMPUTE_PGM_RSRC2:TGID_X_EN: 1
; COMPUTE_PGM_RSRC2:TGID_Y_EN: 1
; COMPUTE_PGM_RSRC2:TGID_Z_EN: 1
; COMPUTE_PGM_RSRC2:TIDIG_COMP_CNT: 1
	.section	.text._ZL26rocblas_syr2k_her2k_kernelIiLb1ELb0ELb0ELi32EPKdS1_PdEvbiT_T4_T5_S3_lS5_S3_lT6_S3_li,"axG",@progbits,_ZL26rocblas_syr2k_her2k_kernelIiLb1ELb0ELb0ELi32EPKdS1_PdEvbiT_T4_T5_S3_lS5_S3_lT6_S3_li,comdat
	.globl	_ZL26rocblas_syr2k_her2k_kernelIiLb1ELb0ELb0ELi32EPKdS1_PdEvbiT_T4_T5_S3_lS5_S3_lT6_S3_li ; -- Begin function _ZL26rocblas_syr2k_her2k_kernelIiLb1ELb0ELb0ELi32EPKdS1_PdEvbiT_T4_T5_S3_lS5_S3_lT6_S3_li
	.p2align	8
	.type	_ZL26rocblas_syr2k_her2k_kernelIiLb1ELb0ELb0ELi32EPKdS1_PdEvbiT_T4_T5_S3_lS5_S3_lT6_S3_li,@function
_ZL26rocblas_syr2k_her2k_kernelIiLb1ELb0ELb0ELi32EPKdS1_PdEvbiT_T4_T5_S3_lS5_S3_lT6_S3_li: ; @_ZL26rocblas_syr2k_her2k_kernelIiLb1ELb0ELb0ELi32EPKdS1_PdEvbiT_T4_T5_S3_lS5_S3_lT6_S3_li
; %bb.0:
	s_load_dwordx4 s[0:3], s[4:5], 0x10
	s_waitcnt lgkmcnt(0)
	s_load_dwordx2 s[10:11], s[0:1], 0x0
	s_waitcnt lgkmcnt(0)
	v_cmp_eq_f64_e64 s[0:1], s[10:11], 0
	s_and_b64 vcc, exec, s[0:1]
	s_cbranch_vccnz .LBB1902_17
; %bb.1:
	s_load_dwordx4 s[12:15], s[4:5], 0x0
	s_lshl_b32 s0, s7, 5
	s_lshl_b32 s1, s6, 5
	s_waitcnt lgkmcnt(0)
	s_and_b32 s6, 1, s12
	s_cmp_eq_u32 s6, 1
	s_cselect_b64 vcc, -1, 0
	s_and_b64 s[6:7], vcc, exec
	s_cselect_b32 s6, s1, s0
	s_cselect_b32 s7, s0, s1
	s_cmp_gt_i32 s6, s7
	s_cbranch_scc1 .LBB1902_17
; %bb.2:
	s_cmp_lt_i32 s14, 1
	s_cbranch_scc1 .LBB1902_17
; %bb.3:
	s_load_dword s15, s[4:5], 0x20
	s_load_dwordx4 s[20:23], s[4:5], 0x28
	s_load_dword s16, s[4:5], 0x38
	s_load_dwordx4 s[24:27], s[4:5], 0x40
	s_load_dword s9, s[4:5], 0x50
	s_load_dwordx2 s[6:7], s[4:5], 0x58
	s_waitcnt lgkmcnt(0)
	s_mul_i32 s4, s21, s8
	s_mul_hi_u32 s5, s20, s8
	s_add_i32 s5, s5, s4
	s_mul_i32 s4, s20, s8
	s_lshl_b64 s[4:5], s[4:5], 3
	s_add_u32 s12, s2, s4
	s_addc_u32 s17, s3, s5
	s_mul_i32 s2, s25, s8
	s_mul_hi_u32 s3, s24, s8
	v_add_u32_e32 v3, s1, v0
	s_add_i32 s3, s3, s2
	s_mul_i32 s2, s24, s8
	v_ashrrev_i32_e32 v4, 31, v3
	s_lshl_b64 s[2:3], s[2:3], 3
	v_lshlrev_b64 v[4:5], 3, v[3:4]
	s_add_u32 s18, s22, s2
	v_add_u32_e32 v2, s0, v1
	s_addc_u32 s19, s23, s3
	s_mul_i32 s2, s7, s8
	s_mul_hi_u32 s3, s6, s8
	v_cndmask_b32_e32 v16, v3, v2, vcc
	v_cndmask_b32_e32 v17, v2, v3, vcc
	v_cmp_gt_i32_e32 vcc, s13, v3
	v_mov_b32_e32 v3, s17
	v_add_co_u32_e64 v8, s[0:1], s12, v4
	s_add_i32 s3, s3, s2
	s_mul_i32 s2, s6, s8
	v_addc_co_u32_e64 v9, s[0:1], v3, v5, s[0:1]
	v_ashrrev_i32_e32 v3, 31, v2
	s_lshl_b64 s[2:3], s[2:3], 3
	v_lshlrev_b64 v[6:7], 3, v[2:3]
	s_add_u32 s6, s26, s2
	s_addc_u32 s7, s27, s3
	v_mov_b32_e32 v3, s19
	v_add_co_u32_e64 v12, s[2:3], s18, v6
	v_cmp_gt_i32_e64 s[0:1], s13, v2
	v_addc_co_u32_e64 v13, s[2:3], v3, v7, s[2:3]
	v_mad_i64_i32 v[2:3], s[2:3], s9, v2, 0
	v_cmp_le_i32_e64 s[2:3], v17, v16
	s_and_b64 s[4:5], s[0:1], vcc
	v_lshlrev_b64 v[2:3], 3, v[2:3]
	s_and_b64 s[4:5], s[4:5], s[2:3]
	v_mov_b32_e32 v16, s7
	v_add_co_u32_e64 v2, s[2:3], s6, v2
	v_addc_co_u32_e64 v3, s[2:3], v16, v3, s[2:3]
	v_add_co_u32_e64 v2, s[2:3], v2, v4
	v_addc_co_u32_e64 v3, s[2:3], v3, v5, s[2:3]
	v_mov_b32_e32 v17, s19
	v_add_co_u32_e64 v16, s[2:3], s18, v4
	v_lshlrev_b32_e32 v10, 8, v0
	v_lshlrev_b32_e32 v14, 3, v1
	v_addc_co_u32_e64 v17, s[2:3], v17, v5, s[2:3]
	v_add_u32_e32 v11, v10, v14
	v_or_b32_e32 v14, 0x2000, v14
	v_mov_b32_e32 v4, s17
	v_add_co_u32_e64 v18, s[2:3], s12, v6
	v_add_u32_e32 v15, v14, v10
	v_addc_co_u32_e64 v19, s[2:3], v4, v7, s[2:3]
	s_mov_b32 s17, 0
	v_add_u32_e32 v20, 0x800, v14
	v_add_u32_e32 v21, 0x1000, v14
	;; [unrolled: 1-line block ×3, first 2 shown]
	s_branch .LBB1902_5
.LBB1902_4:                             ;   in Loop: Header=BB1902_5 Depth=1
	s_or_b64 exec, exec, s[2:3]
	s_add_i32 s17, s17, 32
	s_cmp_lt_i32 s17, s14
	s_waitcnt vmcnt(0)
	s_barrier
	s_cbranch_scc0 .LBB1902_17
.LBB1902_5:                             ; =>This Inner Loop Header: Depth=1
	v_add_u32_e32 v23, s17, v1
	v_cmp_gt_i32_e64 s[2:3], s14, v23
	v_mov_b32_e32 v4, 0
	v_mov_b32_e32 v6, 0
	;; [unrolled: 1-line block ×4, first 2 shown]
	s_and_b64 s[6:7], vcc, s[2:3]
	s_and_saveexec_b64 s[8:9], s[6:7]
	s_cbranch_execz .LBB1902_7
; %bb.6:                                ;   in Loop: Header=BB1902_5 Depth=1
	v_mad_i64_i32 v[6:7], s[2:3], v23, s15, 0
	v_lshlrev_b64 v[6:7], 3, v[6:7]
	v_add_co_u32_e64 v6, s[2:3], v8, v6
	v_addc_co_u32_e64 v7, s[2:3], v9, v7, s[2:3]
	global_load_dwordx2 v[6:7], v[6:7], off
.LBB1902_7:                             ;   in Loop: Header=BB1902_5 Depth=1
	s_or_b64 exec, exec, s[8:9]
	v_add_u32_e32 v24, s17, v0
	v_cmp_gt_i32_e64 s[2:3], s14, v24
	s_and_b64 s[8:9], s[0:1], s[2:3]
	s_waitcnt vmcnt(0)
	ds_write_b64 v11, v[6:7]
	s_and_saveexec_b64 s[12:13], s[8:9]
	s_cbranch_execz .LBB1902_9
; %bb.8:                                ;   in Loop: Header=BB1902_5 Depth=1
	v_mad_i64_i32 v[4:5], s[2:3], v24, s16, 0
	v_lshlrev_b64 v[4:5], 3, v[4:5]
	v_add_co_u32_e64 v4, s[2:3], v12, v4
	v_addc_co_u32_e64 v5, s[2:3], v13, v5, s[2:3]
	global_load_dwordx2 v[4:5], v[4:5], off
.LBB1902_9:                             ;   in Loop: Header=BB1902_5 Depth=1
	s_or_b64 exec, exec, s[12:13]
	s_waitcnt vmcnt(0)
	ds_write_b64 v15, v[4:5]
	s_waitcnt lgkmcnt(0)
	s_barrier
	s_and_saveexec_b64 s[2:3], s[4:5]
	s_cbranch_execz .LBB1902_11
; %bb.10:                               ;   in Loop: Header=BB1902_5 Depth=1
	ds_read2_b64 v[4:7], v14 offset1:32
	ds_read_b128 v[25:28], v10
	s_waitcnt lgkmcnt(0)
	v_fma_f64 v[4:5], v[25:26], v[4:5], 0
	v_fma_f64 v[29:30], v[27:28], v[6:7], v[4:5]
	ds_read_b128 v[4:7], v10 offset:16
	ds_read2_b64 v[25:28], v14 offset0:64 offset1:96
	s_waitcnt lgkmcnt(0)
	v_fma_f64 v[4:5], v[4:5], v[25:26], v[29:30]
	v_fma_f64 v[29:30], v[6:7], v[27:28], v[4:5]
	ds_read2_b64 v[4:7], v14 offset0:128 offset1:160
	ds_read_b128 v[25:28], v10 offset:32
	s_waitcnt lgkmcnt(0)
	v_fma_f64 v[4:5], v[25:26], v[4:5], v[29:30]
	v_fma_f64 v[29:30], v[27:28], v[6:7], v[4:5]
	ds_read_b128 v[4:7], v10 offset:48
	ds_read2_b64 v[25:28], v14 offset0:192 offset1:224
	s_waitcnt lgkmcnt(0)
	v_fma_f64 v[4:5], v[4:5], v[25:26], v[29:30]
	v_fma_f64 v[29:30], v[6:7], v[27:28], v[4:5]
	ds_read2_b64 v[4:7], v20 offset1:32
	ds_read_b128 v[25:28], v10 offset:64
	s_waitcnt lgkmcnt(0)
	v_fma_f64 v[4:5], v[25:26], v[4:5], v[29:30]
	v_fma_f64 v[29:30], v[27:28], v[6:7], v[4:5]
	ds_read_b128 v[4:7], v10 offset:80
	ds_read2_b64 v[25:28], v20 offset0:64 offset1:96
	s_waitcnt lgkmcnt(0)
	v_fma_f64 v[4:5], v[4:5], v[25:26], v[29:30]
	v_fma_f64 v[29:30], v[6:7], v[27:28], v[4:5]
	ds_read2_b64 v[4:7], v20 offset0:128 offset1:160
	ds_read_b128 v[25:28], v10 offset:96
	s_waitcnt lgkmcnt(0)
	v_fma_f64 v[4:5], v[25:26], v[4:5], v[29:30]
	v_fma_f64 v[29:30], v[27:28], v[6:7], v[4:5]
	ds_read_b128 v[4:7], v10 offset:112
	ds_read2_b64 v[25:28], v20 offset0:192 offset1:224
	s_waitcnt lgkmcnt(0)
	v_fma_f64 v[4:5], v[4:5], v[25:26], v[29:30]
	v_fma_f64 v[29:30], v[6:7], v[27:28], v[4:5]
	ds_read2_b64 v[4:7], v21 offset1:32
	ds_read_b128 v[25:28], v10 offset:128
	s_waitcnt lgkmcnt(0)
	v_fma_f64 v[4:5], v[25:26], v[4:5], v[29:30]
	v_fma_f64 v[29:30], v[27:28], v[6:7], v[4:5]
	ds_read_b128 v[4:7], v10 offset:144
	ds_read2_b64 v[25:28], v21 offset0:64 offset1:96
	s_waitcnt lgkmcnt(0)
	v_fma_f64 v[4:5], v[4:5], v[25:26], v[29:30]
	v_fma_f64 v[29:30], v[6:7], v[27:28], v[4:5]
	ds_read2_b64 v[4:7], v21 offset0:128 offset1:160
	ds_read_b128 v[25:28], v10 offset:160
	s_waitcnt lgkmcnt(0)
	v_fma_f64 v[4:5], v[25:26], v[4:5], v[29:30]
	v_fma_f64 v[29:30], v[27:28], v[6:7], v[4:5]
	ds_read_b128 v[4:7], v10 offset:176
	ds_read2_b64 v[25:28], v21 offset0:192 offset1:224
	s_waitcnt lgkmcnt(0)
	v_fma_f64 v[4:5], v[4:5], v[25:26], v[29:30]
	global_load_dwordx2 v[29:30], v[2:3], off
	v_fma_f64 v[31:32], v[6:7], v[27:28], v[4:5]
	ds_read2_b64 v[4:7], v22 offset1:32
	ds_read_b128 v[25:28], v10 offset:192
	s_waitcnt lgkmcnt(0)
	v_fma_f64 v[4:5], v[25:26], v[4:5], v[31:32]
	v_fma_f64 v[31:32], v[27:28], v[6:7], v[4:5]
	ds_read_b128 v[4:7], v10 offset:208
	ds_read2_b64 v[25:28], v22 offset0:64 offset1:96
	s_waitcnt lgkmcnt(0)
	v_fma_f64 v[4:5], v[4:5], v[25:26], v[31:32]
	v_fma_f64 v[31:32], v[6:7], v[27:28], v[4:5]
	ds_read2_b64 v[4:7], v22 offset0:128 offset1:160
	ds_read_b128 v[25:28], v10 offset:224
	s_waitcnt lgkmcnt(0)
	v_fma_f64 v[4:5], v[25:26], v[4:5], v[31:32]
	v_fma_f64 v[31:32], v[27:28], v[6:7], v[4:5]
	ds_read_b128 v[4:7], v10 offset:240
	ds_read2_b64 v[25:28], v22 offset0:192 offset1:224
	s_waitcnt lgkmcnt(0)
	v_fma_f64 v[4:5], v[4:5], v[25:26], v[31:32]
	v_fma_f64 v[4:5], v[6:7], v[27:28], v[4:5]
	s_waitcnt vmcnt(0)
	v_fma_f64 v[4:5], s[10:11], v[4:5], v[29:30]
	global_store_dwordx2 v[2:3], v[4:5], off
.LBB1902_11:                            ;   in Loop: Header=BB1902_5 Depth=1
	s_or_b64 exec, exec, s[2:3]
	v_mov_b32_e32 v4, 0
	v_mov_b32_e32 v6, 0
	;; [unrolled: 1-line block ×4, first 2 shown]
	s_waitcnt vmcnt(0)
	s_barrier
	s_and_saveexec_b64 s[12:13], s[6:7]
	s_cbranch_execz .LBB1902_13
; %bb.12:                               ;   in Loop: Header=BB1902_5 Depth=1
	v_mad_i64_i32 v[6:7], s[2:3], v23, s16, 0
	v_lshlrev_b64 v[6:7], 3, v[6:7]
	v_add_co_u32_e64 v6, s[2:3], v16, v6
	v_addc_co_u32_e64 v7, s[2:3], v17, v7, s[2:3]
	global_load_dwordx2 v[6:7], v[6:7], off
.LBB1902_13:                            ;   in Loop: Header=BB1902_5 Depth=1
	s_or_b64 exec, exec, s[12:13]
	s_waitcnt vmcnt(0)
	ds_write_b64 v11, v[6:7]
	s_and_saveexec_b64 s[6:7], s[8:9]
	s_cbranch_execz .LBB1902_15
; %bb.14:                               ;   in Loop: Header=BB1902_5 Depth=1
	v_mad_i64_i32 v[4:5], s[2:3], v24, s15, 0
	v_lshlrev_b64 v[4:5], 3, v[4:5]
	v_add_co_u32_e64 v4, s[2:3], v18, v4
	v_addc_co_u32_e64 v5, s[2:3], v19, v5, s[2:3]
	global_load_dwordx2 v[4:5], v[4:5], off
.LBB1902_15:                            ;   in Loop: Header=BB1902_5 Depth=1
	s_or_b64 exec, exec, s[6:7]
	s_waitcnt vmcnt(0)
	ds_write_b64 v15, v[4:5]
	s_waitcnt lgkmcnt(0)
	s_barrier
	s_and_saveexec_b64 s[2:3], s[4:5]
	s_cbranch_execz .LBB1902_4
; %bb.16:                               ;   in Loop: Header=BB1902_5 Depth=1
	ds_read2_b64 v[4:7], v14 offset1:32
	ds_read_b128 v[23:26], v10
	s_waitcnt lgkmcnt(0)
	v_fma_f64 v[4:5], v[23:24], v[4:5], 0
	v_fma_f64 v[27:28], v[25:26], v[6:7], v[4:5]
	ds_read_b128 v[4:7], v10 offset:16
	ds_read2_b64 v[23:26], v14 offset0:64 offset1:96
	s_waitcnt lgkmcnt(0)
	v_fma_f64 v[4:5], v[4:5], v[23:24], v[27:28]
	v_fma_f64 v[27:28], v[6:7], v[25:26], v[4:5]
	ds_read2_b64 v[4:7], v14 offset0:128 offset1:160
	ds_read_b128 v[23:26], v10 offset:32
	s_waitcnt lgkmcnt(0)
	v_fma_f64 v[4:5], v[23:24], v[4:5], v[27:28]
	v_fma_f64 v[27:28], v[25:26], v[6:7], v[4:5]
	ds_read_b128 v[4:7], v10 offset:48
	ds_read2_b64 v[23:26], v14 offset0:192 offset1:224
	s_waitcnt lgkmcnt(0)
	v_fma_f64 v[4:5], v[4:5], v[23:24], v[27:28]
	v_fma_f64 v[27:28], v[6:7], v[25:26], v[4:5]
	ds_read2_b64 v[4:7], v20 offset1:32
	ds_read_b128 v[23:26], v10 offset:64
	s_waitcnt lgkmcnt(0)
	v_fma_f64 v[4:5], v[23:24], v[4:5], v[27:28]
	v_fma_f64 v[27:28], v[25:26], v[6:7], v[4:5]
	ds_read_b128 v[4:7], v10 offset:80
	ds_read2_b64 v[23:26], v20 offset0:64 offset1:96
	s_waitcnt lgkmcnt(0)
	v_fma_f64 v[4:5], v[4:5], v[23:24], v[27:28]
	v_fma_f64 v[27:28], v[6:7], v[25:26], v[4:5]
	ds_read2_b64 v[4:7], v20 offset0:128 offset1:160
	ds_read_b128 v[23:26], v10 offset:96
	s_waitcnt lgkmcnt(0)
	v_fma_f64 v[4:5], v[23:24], v[4:5], v[27:28]
	v_fma_f64 v[27:28], v[25:26], v[6:7], v[4:5]
	ds_read_b128 v[4:7], v10 offset:112
	ds_read2_b64 v[23:26], v20 offset0:192 offset1:224
	s_waitcnt lgkmcnt(0)
	v_fma_f64 v[4:5], v[4:5], v[23:24], v[27:28]
	v_fma_f64 v[27:28], v[6:7], v[25:26], v[4:5]
	ds_read2_b64 v[4:7], v21 offset1:32
	ds_read_b128 v[23:26], v10 offset:128
	s_waitcnt lgkmcnt(0)
	v_fma_f64 v[4:5], v[23:24], v[4:5], v[27:28]
	v_fma_f64 v[27:28], v[25:26], v[6:7], v[4:5]
	ds_read_b128 v[4:7], v10 offset:144
	ds_read2_b64 v[23:26], v21 offset0:64 offset1:96
	s_waitcnt lgkmcnt(0)
	v_fma_f64 v[4:5], v[4:5], v[23:24], v[27:28]
	v_fma_f64 v[27:28], v[6:7], v[25:26], v[4:5]
	ds_read2_b64 v[4:7], v21 offset0:128 offset1:160
	ds_read_b128 v[23:26], v10 offset:160
	s_waitcnt lgkmcnt(0)
	v_fma_f64 v[4:5], v[23:24], v[4:5], v[27:28]
	v_fma_f64 v[27:28], v[25:26], v[6:7], v[4:5]
	ds_read_b128 v[4:7], v10 offset:176
	ds_read2_b64 v[23:26], v21 offset0:192 offset1:224
	s_waitcnt lgkmcnt(0)
	v_fma_f64 v[4:5], v[4:5], v[23:24], v[27:28]
	global_load_dwordx2 v[27:28], v[2:3], off
	v_fma_f64 v[29:30], v[6:7], v[25:26], v[4:5]
	ds_read2_b64 v[4:7], v22 offset1:32
	ds_read_b128 v[23:26], v10 offset:192
	s_waitcnt lgkmcnt(0)
	v_fma_f64 v[4:5], v[23:24], v[4:5], v[29:30]
	v_fma_f64 v[29:30], v[25:26], v[6:7], v[4:5]
	ds_read_b128 v[4:7], v10 offset:208
	ds_read2_b64 v[23:26], v22 offset0:64 offset1:96
	s_waitcnt lgkmcnt(0)
	v_fma_f64 v[4:5], v[4:5], v[23:24], v[29:30]
	v_fma_f64 v[29:30], v[6:7], v[25:26], v[4:5]
	ds_read2_b64 v[4:7], v22 offset0:128 offset1:160
	ds_read_b128 v[23:26], v10 offset:224
	s_waitcnt lgkmcnt(0)
	v_fma_f64 v[4:5], v[23:24], v[4:5], v[29:30]
	v_fma_f64 v[29:30], v[25:26], v[6:7], v[4:5]
	ds_read_b128 v[4:7], v10 offset:240
	ds_read2_b64 v[23:26], v22 offset0:192 offset1:224
	s_waitcnt lgkmcnt(0)
	v_fma_f64 v[4:5], v[4:5], v[23:24], v[29:30]
	v_fma_f64 v[4:5], v[6:7], v[25:26], v[4:5]
	s_waitcnt vmcnt(0)
	v_fma_f64 v[4:5], s[10:11], v[4:5], v[27:28]
	global_store_dwordx2 v[2:3], v[4:5], off
	s_branch .LBB1902_4
.LBB1902_17:
	s_endpgm
	.section	.rodata,"a",@progbits
	.p2align	6, 0x0
	.amdhsa_kernel _ZL26rocblas_syr2k_her2k_kernelIiLb1ELb0ELb0ELi32EPKdS1_PdEvbiT_T4_T5_S3_lS5_S3_lT6_S3_li
		.amdhsa_group_segment_fixed_size 16384
		.amdhsa_private_segment_fixed_size 0
		.amdhsa_kernarg_size 100
		.amdhsa_user_sgpr_count 6
		.amdhsa_user_sgpr_private_segment_buffer 1
		.amdhsa_user_sgpr_dispatch_ptr 0
		.amdhsa_user_sgpr_queue_ptr 0
		.amdhsa_user_sgpr_kernarg_segment_ptr 1
		.amdhsa_user_sgpr_dispatch_id 0
		.amdhsa_user_sgpr_flat_scratch_init 0
		.amdhsa_user_sgpr_private_segment_size 0
		.amdhsa_uses_dynamic_stack 0
		.amdhsa_system_sgpr_private_segment_wavefront_offset 0
		.amdhsa_system_sgpr_workgroup_id_x 1
		.amdhsa_system_sgpr_workgroup_id_y 1
		.amdhsa_system_sgpr_workgroup_id_z 1
		.amdhsa_system_sgpr_workgroup_info 0
		.amdhsa_system_vgpr_workitem_id 1
		.amdhsa_next_free_vgpr 33
		.amdhsa_next_free_sgpr 61
		.amdhsa_reserve_vcc 1
		.amdhsa_reserve_flat_scratch 0
		.amdhsa_float_round_mode_32 0
		.amdhsa_float_round_mode_16_64 0
		.amdhsa_float_denorm_mode_32 3
		.amdhsa_float_denorm_mode_16_64 3
		.amdhsa_dx10_clamp 1
		.amdhsa_ieee_mode 1
		.amdhsa_fp16_overflow 0
		.amdhsa_exception_fp_ieee_invalid_op 0
		.amdhsa_exception_fp_denorm_src 0
		.amdhsa_exception_fp_ieee_div_zero 0
		.amdhsa_exception_fp_ieee_overflow 0
		.amdhsa_exception_fp_ieee_underflow 0
		.amdhsa_exception_fp_ieee_inexact 0
		.amdhsa_exception_int_div_zero 0
	.end_amdhsa_kernel
	.section	.text._ZL26rocblas_syr2k_her2k_kernelIiLb1ELb0ELb0ELi32EPKdS1_PdEvbiT_T4_T5_S3_lS5_S3_lT6_S3_li,"axG",@progbits,_ZL26rocblas_syr2k_her2k_kernelIiLb1ELb0ELb0ELi32EPKdS1_PdEvbiT_T4_T5_S3_lS5_S3_lT6_S3_li,comdat
.Lfunc_end1902:
	.size	_ZL26rocblas_syr2k_her2k_kernelIiLb1ELb0ELb0ELi32EPKdS1_PdEvbiT_T4_T5_S3_lS5_S3_lT6_S3_li, .Lfunc_end1902-_ZL26rocblas_syr2k_her2k_kernelIiLb1ELb0ELb0ELi32EPKdS1_PdEvbiT_T4_T5_S3_lS5_S3_lT6_S3_li
                                        ; -- End function
	.set _ZL26rocblas_syr2k_her2k_kernelIiLb1ELb0ELb0ELi32EPKdS1_PdEvbiT_T4_T5_S3_lS5_S3_lT6_S3_li.num_vgpr, 33
	.set _ZL26rocblas_syr2k_her2k_kernelIiLb1ELb0ELb0ELi32EPKdS1_PdEvbiT_T4_T5_S3_lS5_S3_lT6_S3_li.num_agpr, 0
	.set _ZL26rocblas_syr2k_her2k_kernelIiLb1ELb0ELb0ELi32EPKdS1_PdEvbiT_T4_T5_S3_lS5_S3_lT6_S3_li.numbered_sgpr, 28
	.set _ZL26rocblas_syr2k_her2k_kernelIiLb1ELb0ELb0ELi32EPKdS1_PdEvbiT_T4_T5_S3_lS5_S3_lT6_S3_li.num_named_barrier, 0
	.set _ZL26rocblas_syr2k_her2k_kernelIiLb1ELb0ELb0ELi32EPKdS1_PdEvbiT_T4_T5_S3_lS5_S3_lT6_S3_li.private_seg_size, 0
	.set _ZL26rocblas_syr2k_her2k_kernelIiLb1ELb0ELb0ELi32EPKdS1_PdEvbiT_T4_T5_S3_lS5_S3_lT6_S3_li.uses_vcc, 1
	.set _ZL26rocblas_syr2k_her2k_kernelIiLb1ELb0ELb0ELi32EPKdS1_PdEvbiT_T4_T5_S3_lS5_S3_lT6_S3_li.uses_flat_scratch, 0
	.set _ZL26rocblas_syr2k_her2k_kernelIiLb1ELb0ELb0ELi32EPKdS1_PdEvbiT_T4_T5_S3_lS5_S3_lT6_S3_li.has_dyn_sized_stack, 0
	.set _ZL26rocblas_syr2k_her2k_kernelIiLb1ELb0ELb0ELi32EPKdS1_PdEvbiT_T4_T5_S3_lS5_S3_lT6_S3_li.has_recursion, 0
	.set _ZL26rocblas_syr2k_her2k_kernelIiLb1ELb0ELb0ELi32EPKdS1_PdEvbiT_T4_T5_S3_lS5_S3_lT6_S3_li.has_indirect_call, 0
	.section	.AMDGPU.csdata,"",@progbits
; Kernel info:
; codeLenInByte = 2096
; TotalNumSgprs: 32
; NumVgprs: 33
; ScratchSize: 0
; MemoryBound: 0
; FloatMode: 240
; IeeeMode: 1
; LDSByteSize: 16384 bytes/workgroup (compile time only)
; SGPRBlocks: 8
; VGPRBlocks: 8
; NumSGPRsForWavesPerEU: 65
; NumVGPRsForWavesPerEU: 33
; Occupancy: 7
; WaveLimiterHint : 0
; COMPUTE_PGM_RSRC2:SCRATCH_EN: 0
; COMPUTE_PGM_RSRC2:USER_SGPR: 6
; COMPUTE_PGM_RSRC2:TRAP_HANDLER: 0
; COMPUTE_PGM_RSRC2:TGID_X_EN: 1
; COMPUTE_PGM_RSRC2:TGID_Y_EN: 1
; COMPUTE_PGM_RSRC2:TGID_Z_EN: 1
; COMPUTE_PGM_RSRC2:TIDIG_COMP_CNT: 1
	.section	.text._ZL26rocblas_syr2k_her2k_kernelIiLb1ELb0ELb1ELi32EPKdS1_PdEvbiT_T4_T5_S3_lS5_S3_lT6_S3_li,"axG",@progbits,_ZL26rocblas_syr2k_her2k_kernelIiLb1ELb0ELb1ELi32EPKdS1_PdEvbiT_T4_T5_S3_lS5_S3_lT6_S3_li,comdat
	.globl	_ZL26rocblas_syr2k_her2k_kernelIiLb1ELb0ELb1ELi32EPKdS1_PdEvbiT_T4_T5_S3_lS5_S3_lT6_S3_li ; -- Begin function _ZL26rocblas_syr2k_her2k_kernelIiLb1ELb0ELb1ELi32EPKdS1_PdEvbiT_T4_T5_S3_lS5_S3_lT6_S3_li
	.p2align	8
	.type	_ZL26rocblas_syr2k_her2k_kernelIiLb1ELb0ELb1ELi32EPKdS1_PdEvbiT_T4_T5_S3_lS5_S3_lT6_S3_li,@function
_ZL26rocblas_syr2k_her2k_kernelIiLb1ELb0ELb1ELi32EPKdS1_PdEvbiT_T4_T5_S3_lS5_S3_lT6_S3_li: ; @_ZL26rocblas_syr2k_her2k_kernelIiLb1ELb0ELb1ELi32EPKdS1_PdEvbiT_T4_T5_S3_lS5_S3_lT6_S3_li
; %bb.0:
	s_load_dwordx4 s[0:3], s[4:5], 0x10
	s_waitcnt lgkmcnt(0)
	s_load_dwordx2 s[10:11], s[0:1], 0x0
	s_waitcnt lgkmcnt(0)
	v_cmp_eq_f64_e64 s[0:1], s[10:11], 0
	s_and_b64 vcc, exec, s[0:1]
	s_cbranch_vccnz .LBB1903_17
; %bb.1:
	s_load_dwordx4 s[12:15], s[4:5], 0x0
	s_lshl_b32 s0, s7, 5
	s_lshl_b32 s1, s6, 5
	s_waitcnt lgkmcnt(0)
	s_and_b32 s6, 1, s12
	s_cmp_eq_u32 s6, 1
	s_cselect_b64 vcc, -1, 0
	s_and_b64 s[6:7], vcc, exec
	s_cselect_b32 s6, s1, s0
	s_cselect_b32 s7, s0, s1
	s_cmp_gt_i32 s6, s7
	s_cbranch_scc1 .LBB1903_17
; %bb.2:
	s_cmp_lt_i32 s14, 1
	s_cbranch_scc1 .LBB1903_17
; %bb.3:
	v_add_u32_e32 v2, s1, v0
	s_load_dword s9, s[4:5], 0x20
	s_load_dwordx4 s[16:19], s[4:5], 0x28
	s_load_dword s12, s[4:5], 0x38
	s_load_dwordx4 s[20:23], s[4:5], 0x40
	s_load_dword s15, s[4:5], 0x50
	s_load_dwordx2 s[6:7], s[4:5], 0x58
	v_add_u32_e32 v7, s0, v1
	s_waitcnt lgkmcnt(0)
	v_mad_i64_i32 v[4:5], s[0:1], s9, v2, 0
	s_mul_i32 s4, s17, s8
	s_mul_hi_u32 s5, s16, s8
	s_add_i32 s5, s5, s4
	s_mul_i32 s4, s16, s8
	s_lshl_b64 s[4:5], s[4:5], 3
	s_add_u32 s16, s2, s4
	v_lshlrev_b64 v[4:5], 3, v[4:5]
	s_addc_u32 s17, s3, s5
	s_mul_i32 s2, s21, s8
	s_mul_hi_u32 s3, s20, s8
	s_add_i32 s3, s3, s2
	s_mul_i32 s2, s20, s8
	v_mov_b32_e32 v9, s17
	v_add_co_u32_e64 v12, s[0:1], s16, v4
	s_lshl_b64 s[2:3], s[2:3], 3
	v_addc_co_u32_e64 v13, s[0:1], v9, v5, s[0:1]
	v_mad_i64_i32 v[4:5], s[0:1], s12, v7, 0
	s_add_u32 s18, s18, s2
	s_addc_u32 s19, s19, s3
	s_mul_i32 s2, s7, s8
	s_mul_hi_u32 s3, s6, s8
	s_add_i32 s3, s3, s2
	s_mul_i32 s2, s6, s8
	s_lshl_b64 s[2:3], s[2:3], 3
	v_lshlrev_b64 v[4:5], 3, v[4:5]
	s_add_u32 s6, s22, s2
	s_addc_u32 s7, s23, s3
	v_mov_b32_e32 v10, s19
	v_add_co_u32_e64 v16, s[2:3], s18, v4
	v_addc_co_u32_e64 v17, s[2:3], v10, v5, s[2:3]
	v_mad_i64_i32 v[4:5], s[2:3], s15, v7, 0
	v_cndmask_b32_e32 v6, v2, v7, vcc
	v_cndmask_b32_e32 v8, v7, v2, vcc
	v_cmp_gt_i32_e32 vcc, s13, v2
	v_cmp_gt_i32_e64 s[0:1], s13, v7
	v_lshlrev_b64 v[4:5], 3, v[4:5]
	v_cmp_le_i32_e64 s[2:3], v8, v6
	s_and_b64 s[4:5], s[0:1], vcc
	v_lshlrev_b32_e32 v14, 8, v0
	v_lshlrev_b32_e32 v9, 3, v1
	s_and_b64 s[4:5], s[4:5], s[2:3]
	v_mov_b32_e32 v6, s7
	v_add_co_u32_e64 v8, s[2:3], s6, v4
	v_ashrrev_i32_e32 v3, 31, v2
	v_add_u32_e32 v15, v14, v9
	v_or_b32_e32 v18, 0x2000, v9
	v_addc_co_u32_e64 v9, s[2:3], v6, v5, s[2:3]
	v_mad_i64_i32 v[5:6], s[2:3], s12, v2, 0
	v_lshlrev_b64 v[3:4], 3, v[2:3]
	v_add_u32_e32 v19, v18, v14
	v_add_co_u32_e64 v2, s[2:3], v8, v3
	v_addc_co_u32_e64 v3, s[2:3], v9, v4, s[2:3]
	v_lshlrev_b64 v[4:5], 3, v[5:6]
	v_mad_i64_i32 v[6:7], s[2:3], s9, v7, 0
	v_mov_b32_e32 v8, s19
	v_add_co_u32_e64 v20, s[2:3], s18, v4
	v_addc_co_u32_e64 v21, s[2:3], v8, v5, s[2:3]
	v_lshlrev_b64 v[4:5], 3, v[6:7]
	v_mov_b32_e32 v6, s17
	v_add_co_u32_e64 v22, s[2:3], s16, v4
	v_addc_co_u32_e64 v23, s[2:3], v6, v5, s[2:3]
	s_mov_b32 s15, 0
	v_add_u32_e32 v24, 0x800, v18
	v_add_u32_e32 v25, 0x1000, v18
	;; [unrolled: 1-line block ×3, first 2 shown]
	s_branch .LBB1903_5
.LBB1903_4:                             ;   in Loop: Header=BB1903_5 Depth=1
	s_or_b64 exec, exec, s[2:3]
	s_add_i32 s15, s15, 32
	s_cmp_lt_i32 s15, s14
	s_waitcnt vmcnt(0)
	s_barrier
	s_cbranch_scc0 .LBB1903_17
.LBB1903_5:                             ; =>This Inner Loop Header: Depth=1
	v_add_u32_e32 v4, s15, v1
	v_cmp_gt_i32_e64 s[2:3], s14, v4
	v_mov_b32_e32 v8, 0
	v_mov_b32_e32 v6, 0
	s_and_b64 s[6:7], vcc, s[2:3]
	v_mov_b32_e32 v9, 0
	v_mov_b32_e32 v7, 0
	v_ashrrev_i32_e32 v5, 31, v4
	s_and_saveexec_b64 s[8:9], s[6:7]
	s_cbranch_execz .LBB1903_7
; %bb.6:                                ;   in Loop: Header=BB1903_5 Depth=1
	v_lshlrev_b64 v[6:7], 3, v[4:5]
	v_add_co_u32_e64 v6, s[2:3], v12, v6
	v_addc_co_u32_e64 v7, s[2:3], v13, v7, s[2:3]
	global_load_dwordx2 v[6:7], v[6:7], off
.LBB1903_7:                             ;   in Loop: Header=BB1903_5 Depth=1
	s_or_b64 exec, exec, s[8:9]
	s_waitcnt vmcnt(0)
	ds_write_b64 v15, v[6:7]
	v_add_u32_e32 v6, s15, v0
	v_cmp_gt_i32_e64 s[2:3], s14, v6
	s_and_b64 s[8:9], s[0:1], s[2:3]
	v_ashrrev_i32_e32 v7, 31, v6
	s_and_saveexec_b64 s[12:13], s[8:9]
	s_cbranch_execz .LBB1903_9
; %bb.8:                                ;   in Loop: Header=BB1903_5 Depth=1
	v_lshlrev_b64 v[8:9], 3, v[6:7]
	v_add_co_u32_e64 v8, s[2:3], v16, v8
	v_addc_co_u32_e64 v9, s[2:3], v17, v9, s[2:3]
	global_load_dwordx2 v[8:9], v[8:9], off
.LBB1903_9:                             ;   in Loop: Header=BB1903_5 Depth=1
	s_or_b64 exec, exec, s[12:13]
	s_waitcnt vmcnt(0)
	ds_write_b64 v19, v[8:9]
	s_waitcnt lgkmcnt(0)
	s_barrier
	s_and_saveexec_b64 s[2:3], s[4:5]
	s_cbranch_execz .LBB1903_11
; %bb.10:                               ;   in Loop: Header=BB1903_5 Depth=1
	ds_read2_b64 v[8:11], v18 offset1:32
	ds_read_b128 v[27:30], v14
	s_waitcnt lgkmcnt(0)
	v_fma_f64 v[8:9], v[27:28], v[8:9], 0
	v_fma_f64 v[31:32], v[29:30], v[10:11], v[8:9]
	ds_read_b128 v[8:11], v14 offset:16
	ds_read2_b64 v[27:30], v18 offset0:64 offset1:96
	s_waitcnt lgkmcnt(0)
	v_fma_f64 v[8:9], v[8:9], v[27:28], v[31:32]
	v_fma_f64 v[31:32], v[10:11], v[29:30], v[8:9]
	ds_read2_b64 v[8:11], v18 offset0:128 offset1:160
	ds_read_b128 v[27:30], v14 offset:32
	s_waitcnt lgkmcnt(0)
	v_fma_f64 v[8:9], v[27:28], v[8:9], v[31:32]
	v_fma_f64 v[31:32], v[29:30], v[10:11], v[8:9]
	ds_read_b128 v[8:11], v14 offset:48
	ds_read2_b64 v[27:30], v18 offset0:192 offset1:224
	s_waitcnt lgkmcnt(0)
	v_fma_f64 v[8:9], v[8:9], v[27:28], v[31:32]
	v_fma_f64 v[31:32], v[10:11], v[29:30], v[8:9]
	ds_read2_b64 v[8:11], v24 offset1:32
	ds_read_b128 v[27:30], v14 offset:64
	s_waitcnt lgkmcnt(0)
	v_fma_f64 v[8:9], v[27:28], v[8:9], v[31:32]
	v_fma_f64 v[31:32], v[29:30], v[10:11], v[8:9]
	ds_read_b128 v[8:11], v14 offset:80
	ds_read2_b64 v[27:30], v24 offset0:64 offset1:96
	s_waitcnt lgkmcnt(0)
	v_fma_f64 v[8:9], v[8:9], v[27:28], v[31:32]
	v_fma_f64 v[31:32], v[10:11], v[29:30], v[8:9]
	ds_read2_b64 v[8:11], v24 offset0:128 offset1:160
	ds_read_b128 v[27:30], v14 offset:96
	s_waitcnt lgkmcnt(0)
	v_fma_f64 v[8:9], v[27:28], v[8:9], v[31:32]
	v_fma_f64 v[31:32], v[29:30], v[10:11], v[8:9]
	ds_read_b128 v[8:11], v14 offset:112
	ds_read2_b64 v[27:30], v24 offset0:192 offset1:224
	s_waitcnt lgkmcnt(0)
	v_fma_f64 v[8:9], v[8:9], v[27:28], v[31:32]
	v_fma_f64 v[31:32], v[10:11], v[29:30], v[8:9]
	ds_read2_b64 v[8:11], v25 offset1:32
	ds_read_b128 v[27:30], v14 offset:128
	s_waitcnt lgkmcnt(0)
	v_fma_f64 v[8:9], v[27:28], v[8:9], v[31:32]
	v_fma_f64 v[31:32], v[29:30], v[10:11], v[8:9]
	ds_read_b128 v[8:11], v14 offset:144
	ds_read2_b64 v[27:30], v25 offset0:64 offset1:96
	s_waitcnt lgkmcnt(0)
	v_fma_f64 v[8:9], v[8:9], v[27:28], v[31:32]
	v_fma_f64 v[31:32], v[10:11], v[29:30], v[8:9]
	ds_read2_b64 v[8:11], v25 offset0:128 offset1:160
	ds_read_b128 v[27:30], v14 offset:160
	s_waitcnt lgkmcnt(0)
	v_fma_f64 v[8:9], v[27:28], v[8:9], v[31:32]
	v_fma_f64 v[31:32], v[29:30], v[10:11], v[8:9]
	ds_read_b128 v[8:11], v14 offset:176
	ds_read2_b64 v[27:30], v25 offset0:192 offset1:224
	s_waitcnt lgkmcnt(0)
	v_fma_f64 v[8:9], v[8:9], v[27:28], v[31:32]
	global_load_dwordx2 v[31:32], v[2:3], off
	v_fma_f64 v[33:34], v[10:11], v[29:30], v[8:9]
	ds_read2_b64 v[8:11], v26 offset1:32
	ds_read_b128 v[27:30], v14 offset:192
	s_waitcnt lgkmcnt(0)
	v_fma_f64 v[8:9], v[27:28], v[8:9], v[33:34]
	v_fma_f64 v[33:34], v[29:30], v[10:11], v[8:9]
	ds_read_b128 v[8:11], v14 offset:208
	ds_read2_b64 v[27:30], v26 offset0:64 offset1:96
	s_waitcnt lgkmcnt(0)
	v_fma_f64 v[8:9], v[8:9], v[27:28], v[33:34]
	v_fma_f64 v[33:34], v[10:11], v[29:30], v[8:9]
	ds_read2_b64 v[8:11], v26 offset0:128 offset1:160
	ds_read_b128 v[27:30], v14 offset:224
	s_waitcnt lgkmcnt(0)
	v_fma_f64 v[8:9], v[27:28], v[8:9], v[33:34]
	v_fma_f64 v[33:34], v[29:30], v[10:11], v[8:9]
	ds_read_b128 v[8:11], v14 offset:240
	ds_read2_b64 v[27:30], v26 offset0:192 offset1:224
	s_waitcnt lgkmcnt(0)
	v_fma_f64 v[8:9], v[8:9], v[27:28], v[33:34]
	v_fma_f64 v[8:9], v[10:11], v[29:30], v[8:9]
	s_waitcnt vmcnt(0)
	v_fma_f64 v[8:9], s[10:11], v[8:9], v[31:32]
	global_store_dwordx2 v[2:3], v[8:9], off
.LBB1903_11:                            ;   in Loop: Header=BB1903_5 Depth=1
	s_or_b64 exec, exec, s[2:3]
	v_mov_b32_e32 v8, 0
	v_mov_b32_e32 v10, 0
	;; [unrolled: 1-line block ×4, first 2 shown]
	s_waitcnt vmcnt(0)
	s_barrier
	s_and_saveexec_b64 s[12:13], s[6:7]
	s_cbranch_execz .LBB1903_13
; %bb.12:                               ;   in Loop: Header=BB1903_5 Depth=1
	v_lshlrev_b64 v[4:5], 3, v[4:5]
	v_add_co_u32_e64 v4, s[2:3], v20, v4
	v_addc_co_u32_e64 v5, s[2:3], v21, v5, s[2:3]
	global_load_dwordx2 v[10:11], v[4:5], off
.LBB1903_13:                            ;   in Loop: Header=BB1903_5 Depth=1
	s_or_b64 exec, exec, s[12:13]
	s_waitcnt vmcnt(0)
	ds_write_b64 v15, v[10:11]
	s_and_saveexec_b64 s[6:7], s[8:9]
	s_cbranch_execz .LBB1903_15
; %bb.14:                               ;   in Loop: Header=BB1903_5 Depth=1
	v_lshlrev_b64 v[4:5], 3, v[6:7]
	v_add_co_u32_e64 v4, s[2:3], v22, v4
	v_addc_co_u32_e64 v5, s[2:3], v23, v5, s[2:3]
	global_load_dwordx2 v[8:9], v[4:5], off
.LBB1903_15:                            ;   in Loop: Header=BB1903_5 Depth=1
	s_or_b64 exec, exec, s[6:7]
	s_waitcnt vmcnt(0)
	ds_write_b64 v19, v[8:9]
	s_waitcnt lgkmcnt(0)
	s_barrier
	s_and_saveexec_b64 s[2:3], s[4:5]
	s_cbranch_execz .LBB1903_4
; %bb.16:                               ;   in Loop: Header=BB1903_5 Depth=1
	ds_read2_b64 v[4:7], v18 offset1:32
	ds_read_b128 v[8:11], v14
	ds_read_b128 v[27:30], v14 offset:16
	s_waitcnt lgkmcnt(1)
	v_fma_f64 v[4:5], v[8:9], v[4:5], 0
	v_fma_f64 v[8:9], v[10:11], v[6:7], v[4:5]
	ds_read2_b64 v[4:7], v18 offset0:64 offset1:96
	s_waitcnt lgkmcnt(0)
	v_fma_f64 v[4:5], v[27:28], v[4:5], v[8:9]
	v_fma_f64 v[31:32], v[29:30], v[6:7], v[4:5]
	ds_read2_b64 v[4:7], v18 offset0:128 offset1:160
	ds_read_b128 v[8:11], v14 offset:32
	ds_read_b128 v[27:30], v14 offset:48
	s_waitcnt lgkmcnt(1)
	v_fma_f64 v[4:5], v[8:9], v[4:5], v[31:32]
	v_fma_f64 v[8:9], v[10:11], v[6:7], v[4:5]
	ds_read2_b64 v[4:7], v18 offset0:192 offset1:224
	s_waitcnt lgkmcnt(0)
	v_fma_f64 v[4:5], v[27:28], v[4:5], v[8:9]
	v_fma_f64 v[31:32], v[29:30], v[6:7], v[4:5]
	ds_read2_b64 v[4:7], v24 offset1:32
	ds_read_b128 v[8:11], v14 offset:64
	ds_read_b128 v[27:30], v14 offset:80
	s_waitcnt lgkmcnt(1)
	v_fma_f64 v[4:5], v[8:9], v[4:5], v[31:32]
	v_fma_f64 v[8:9], v[10:11], v[6:7], v[4:5]
	ds_read2_b64 v[4:7], v24 offset0:64 offset1:96
	s_waitcnt lgkmcnt(0)
	v_fma_f64 v[4:5], v[27:28], v[4:5], v[8:9]
	v_fma_f64 v[31:32], v[29:30], v[6:7], v[4:5]
	ds_read2_b64 v[4:7], v24 offset0:128 offset1:160
	ds_read_b128 v[8:11], v14 offset:96
	ds_read_b128 v[27:30], v14 offset:112
	s_waitcnt lgkmcnt(1)
	v_fma_f64 v[4:5], v[8:9], v[4:5], v[31:32]
	v_fma_f64 v[8:9], v[10:11], v[6:7], v[4:5]
	ds_read2_b64 v[4:7], v24 offset0:192 offset1:224
	s_waitcnt lgkmcnt(0)
	v_fma_f64 v[4:5], v[27:28], v[4:5], v[8:9]
	v_fma_f64 v[31:32], v[29:30], v[6:7], v[4:5]
	ds_read2_b64 v[4:7], v25 offset1:32
	ds_read_b128 v[8:11], v14 offset:128
	ds_read_b128 v[27:30], v14 offset:144
	s_waitcnt lgkmcnt(1)
	v_fma_f64 v[4:5], v[8:9], v[4:5], v[31:32]
	v_fma_f64 v[8:9], v[10:11], v[6:7], v[4:5]
	ds_read2_b64 v[4:7], v25 offset0:64 offset1:96
	s_waitcnt lgkmcnt(0)
	v_fma_f64 v[4:5], v[27:28], v[4:5], v[8:9]
	v_fma_f64 v[31:32], v[29:30], v[6:7], v[4:5]
	ds_read2_b64 v[4:7], v25 offset0:128 offset1:160
	ds_read_b128 v[8:11], v14 offset:160
	ds_read_b128 v[27:30], v14 offset:176
	s_waitcnt lgkmcnt(1)
	v_fma_f64 v[4:5], v[8:9], v[4:5], v[31:32]
	global_load_dwordx2 v[31:32], v[2:3], off
	v_fma_f64 v[8:9], v[10:11], v[6:7], v[4:5]
	ds_read2_b64 v[4:7], v25 offset0:192 offset1:224
	s_waitcnt lgkmcnt(0)
	v_fma_f64 v[4:5], v[27:28], v[4:5], v[8:9]
	v_fma_f64 v[33:34], v[29:30], v[6:7], v[4:5]
	ds_read2_b64 v[4:7], v26 offset1:32
	ds_read_b128 v[8:11], v14 offset:192
	ds_read_b128 v[27:30], v14 offset:208
	s_waitcnt lgkmcnt(1)
	v_fma_f64 v[4:5], v[8:9], v[4:5], v[33:34]
	v_fma_f64 v[8:9], v[10:11], v[6:7], v[4:5]
	ds_read2_b64 v[4:7], v26 offset0:64 offset1:96
	s_waitcnt lgkmcnt(0)
	v_fma_f64 v[4:5], v[27:28], v[4:5], v[8:9]
	v_fma_f64 v[33:34], v[29:30], v[6:7], v[4:5]
	ds_read2_b64 v[4:7], v26 offset0:128 offset1:160
	ds_read_b128 v[8:11], v14 offset:224
	ds_read_b128 v[27:30], v14 offset:240
	s_waitcnt lgkmcnt(1)
	v_fma_f64 v[4:5], v[8:9], v[4:5], v[33:34]
	v_fma_f64 v[8:9], v[10:11], v[6:7], v[4:5]
	ds_read2_b64 v[4:7], v26 offset0:192 offset1:224
	s_waitcnt lgkmcnt(0)
	v_fma_f64 v[4:5], v[27:28], v[4:5], v[8:9]
	v_fma_f64 v[4:5], v[29:30], v[6:7], v[4:5]
	s_waitcnt vmcnt(0)
	v_fma_f64 v[4:5], s[10:11], v[4:5], v[31:32]
	global_store_dwordx2 v[2:3], v[4:5], off
	s_branch .LBB1903_4
.LBB1903_17:
	s_endpgm
	.section	.rodata,"a",@progbits
	.p2align	6, 0x0
	.amdhsa_kernel _ZL26rocblas_syr2k_her2k_kernelIiLb1ELb0ELb1ELi32EPKdS1_PdEvbiT_T4_T5_S3_lS5_S3_lT6_S3_li
		.amdhsa_group_segment_fixed_size 16384
		.amdhsa_private_segment_fixed_size 0
		.amdhsa_kernarg_size 100
		.amdhsa_user_sgpr_count 6
		.amdhsa_user_sgpr_private_segment_buffer 1
		.amdhsa_user_sgpr_dispatch_ptr 0
		.amdhsa_user_sgpr_queue_ptr 0
		.amdhsa_user_sgpr_kernarg_segment_ptr 1
		.amdhsa_user_sgpr_dispatch_id 0
		.amdhsa_user_sgpr_flat_scratch_init 0
		.amdhsa_user_sgpr_private_segment_size 0
		.amdhsa_uses_dynamic_stack 0
		.amdhsa_system_sgpr_private_segment_wavefront_offset 0
		.amdhsa_system_sgpr_workgroup_id_x 1
		.amdhsa_system_sgpr_workgroup_id_y 1
		.amdhsa_system_sgpr_workgroup_id_z 1
		.amdhsa_system_sgpr_workgroup_info 0
		.amdhsa_system_vgpr_workitem_id 1
		.amdhsa_next_free_vgpr 35
		.amdhsa_next_free_sgpr 61
		.amdhsa_reserve_vcc 1
		.amdhsa_reserve_flat_scratch 0
		.amdhsa_float_round_mode_32 0
		.amdhsa_float_round_mode_16_64 0
		.amdhsa_float_denorm_mode_32 3
		.amdhsa_float_denorm_mode_16_64 3
		.amdhsa_dx10_clamp 1
		.amdhsa_ieee_mode 1
		.amdhsa_fp16_overflow 0
		.amdhsa_exception_fp_ieee_invalid_op 0
		.amdhsa_exception_fp_denorm_src 0
		.amdhsa_exception_fp_ieee_div_zero 0
		.amdhsa_exception_fp_ieee_overflow 0
		.amdhsa_exception_fp_ieee_underflow 0
		.amdhsa_exception_fp_ieee_inexact 0
		.amdhsa_exception_int_div_zero 0
	.end_amdhsa_kernel
	.section	.text._ZL26rocblas_syr2k_her2k_kernelIiLb1ELb0ELb1ELi32EPKdS1_PdEvbiT_T4_T5_S3_lS5_S3_lT6_S3_li,"axG",@progbits,_ZL26rocblas_syr2k_her2k_kernelIiLb1ELb0ELb1ELi32EPKdS1_PdEvbiT_T4_T5_S3_lS5_S3_lT6_S3_li,comdat
.Lfunc_end1903:
	.size	_ZL26rocblas_syr2k_her2k_kernelIiLb1ELb0ELb1ELi32EPKdS1_PdEvbiT_T4_T5_S3_lS5_S3_lT6_S3_li, .Lfunc_end1903-_ZL26rocblas_syr2k_her2k_kernelIiLb1ELb0ELb1ELi32EPKdS1_PdEvbiT_T4_T5_S3_lS5_S3_lT6_S3_li
                                        ; -- End function
	.set _ZL26rocblas_syr2k_her2k_kernelIiLb1ELb0ELb1ELi32EPKdS1_PdEvbiT_T4_T5_S3_lS5_S3_lT6_S3_li.num_vgpr, 35
	.set _ZL26rocblas_syr2k_her2k_kernelIiLb1ELb0ELb1ELi32EPKdS1_PdEvbiT_T4_T5_S3_lS5_S3_lT6_S3_li.num_agpr, 0
	.set _ZL26rocblas_syr2k_her2k_kernelIiLb1ELb0ELb1ELi32EPKdS1_PdEvbiT_T4_T5_S3_lS5_S3_lT6_S3_li.numbered_sgpr, 24
	.set _ZL26rocblas_syr2k_her2k_kernelIiLb1ELb0ELb1ELi32EPKdS1_PdEvbiT_T4_T5_S3_lS5_S3_lT6_S3_li.num_named_barrier, 0
	.set _ZL26rocblas_syr2k_her2k_kernelIiLb1ELb0ELb1ELi32EPKdS1_PdEvbiT_T4_T5_S3_lS5_S3_lT6_S3_li.private_seg_size, 0
	.set _ZL26rocblas_syr2k_her2k_kernelIiLb1ELb0ELb1ELi32EPKdS1_PdEvbiT_T4_T5_S3_lS5_S3_lT6_S3_li.uses_vcc, 1
	.set _ZL26rocblas_syr2k_her2k_kernelIiLb1ELb0ELb1ELi32EPKdS1_PdEvbiT_T4_T5_S3_lS5_S3_lT6_S3_li.uses_flat_scratch, 0
	.set _ZL26rocblas_syr2k_her2k_kernelIiLb1ELb0ELb1ELi32EPKdS1_PdEvbiT_T4_T5_S3_lS5_S3_lT6_S3_li.has_dyn_sized_stack, 0
	.set _ZL26rocblas_syr2k_her2k_kernelIiLb1ELb0ELb1ELi32EPKdS1_PdEvbiT_T4_T5_S3_lS5_S3_lT6_S3_li.has_recursion, 0
	.set _ZL26rocblas_syr2k_her2k_kernelIiLb1ELb0ELb1ELi32EPKdS1_PdEvbiT_T4_T5_S3_lS5_S3_lT6_S3_li.has_indirect_call, 0
	.section	.AMDGPU.csdata,"",@progbits
; Kernel info:
; codeLenInByte = 2124
; TotalNumSgprs: 28
; NumVgprs: 35
; ScratchSize: 0
; MemoryBound: 0
; FloatMode: 240
; IeeeMode: 1
; LDSByteSize: 16384 bytes/workgroup (compile time only)
; SGPRBlocks: 8
; VGPRBlocks: 8
; NumSGPRsForWavesPerEU: 65
; NumVGPRsForWavesPerEU: 35
; Occupancy: 7
; WaveLimiterHint : 0
; COMPUTE_PGM_RSRC2:SCRATCH_EN: 0
; COMPUTE_PGM_RSRC2:USER_SGPR: 6
; COMPUTE_PGM_RSRC2:TRAP_HANDLER: 0
; COMPUTE_PGM_RSRC2:TGID_X_EN: 1
; COMPUTE_PGM_RSRC2:TGID_Y_EN: 1
; COMPUTE_PGM_RSRC2:TGID_Z_EN: 1
; COMPUTE_PGM_RSRC2:TIDIG_COMP_CNT: 1
	.section	.text._ZL26rocblas_syr2k_her2k_kernelIiLb1ELb0ELb0ELi32E19rocblas_complex_numIfEPKS1_PS1_EvbiT_T4_T5_S5_lS7_S5_lT6_S5_li,"axG",@progbits,_ZL26rocblas_syr2k_her2k_kernelIiLb1ELb0ELb0ELi32E19rocblas_complex_numIfEPKS1_PS1_EvbiT_T4_T5_S5_lS7_S5_lT6_S5_li,comdat
	.globl	_ZL26rocblas_syr2k_her2k_kernelIiLb1ELb0ELb0ELi32E19rocblas_complex_numIfEPKS1_PS1_EvbiT_T4_T5_S5_lS7_S5_lT6_S5_li ; -- Begin function _ZL26rocblas_syr2k_her2k_kernelIiLb1ELb0ELb0ELi32E19rocblas_complex_numIfEPKS1_PS1_EvbiT_T4_T5_S5_lS7_S5_lT6_S5_li
	.p2align	8
	.type	_ZL26rocblas_syr2k_her2k_kernelIiLb1ELb0ELb0ELi32E19rocblas_complex_numIfEPKS1_PS1_EvbiT_T4_T5_S5_lS7_S5_lT6_S5_li,@function
_ZL26rocblas_syr2k_her2k_kernelIiLb1ELb0ELb0ELi32E19rocblas_complex_numIfEPKS1_PS1_EvbiT_T4_T5_S5_lS7_S5_lT6_S5_li: ; @_ZL26rocblas_syr2k_her2k_kernelIiLb1ELb0ELb0ELi32E19rocblas_complex_numIfEPKS1_PS1_EvbiT_T4_T5_S5_lS7_S5_lT6_S5_li
; %bb.0:
	s_load_dwordx4 s[12:15], s[4:5], 0x0
	s_load_dword s16, s[4:5], 0x10
	s_waitcnt lgkmcnt(0)
	v_cmp_eq_f32_e64 s[0:1], s15, 0
	v_cmp_eq_f32_e64 s[2:3], s16, 0
	s_and_b64 s[0:1], s[0:1], s[2:3]
	s_and_b64 vcc, exec, s[0:1]
	s_cbranch_vccnz .LBB1904_17
; %bb.1:
	s_and_b32 s2, 1, s12
	s_lshl_b32 s0, s7, 5
	s_lshl_b32 s1, s6, 5
	s_cmp_eq_u32 s2, 1
	s_cselect_b64 vcc, -1, 0
	s_and_b64 s[2:3], vcc, exec
	s_cselect_b32 s2, s1, s0
	s_cselect_b32 s3, s0, s1
	s_cmp_gt_i32 s2, s3
	s_cbranch_scc1 .LBB1904_17
; %bb.2:
	s_cmp_lt_i32 s14, 1
	s_cbranch_scc1 .LBB1904_17
; %bb.3:
	s_load_dwordx2 s[2:3], s[4:5], 0x18
	s_load_dword s12, s[4:5], 0x20
	s_load_dwordx4 s[20:23], s[4:5], 0x28
	s_load_dword s17, s[4:5], 0x38
	s_load_dwordx4 s[24:27], s[4:5], 0x40
	s_load_dword s9, s[4:5], 0x50
	s_load_dwordx2 s[6:7], s[4:5], 0x58
	s_waitcnt lgkmcnt(0)
	s_mul_i32 s4, s21, s8
	s_mul_hi_u32 s5, s20, s8
	s_add_i32 s5, s5, s4
	s_mul_i32 s4, s20, s8
	s_lshl_b64 s[4:5], s[4:5], 3
	s_add_u32 s10, s2, s4
	s_addc_u32 s11, s3, s5
	s_mul_i32 s2, s25, s8
	s_mul_hi_u32 s3, s24, s8
	v_add_u32_e32 v3, s1, v0
	s_add_i32 s3, s3, s2
	s_mul_i32 s2, s24, s8
	v_ashrrev_i32_e32 v4, 31, v3
	s_lshl_b64 s[2:3], s[2:3], 3
	v_lshlrev_b64 v[4:5], 3, v[3:4]
	s_add_u32 s18, s22, s2
	v_add_u32_e32 v2, s0, v1
	s_addc_u32 s19, s23, s3
	s_mul_i32 s2, s7, s8
	s_mul_hi_u32 s3, s6, s8
	v_cndmask_b32_e32 v8, v3, v2, vcc
	v_cndmask_b32_e32 v9, v2, v3, vcc
	v_cmp_gt_i32_e32 vcc, s13, v3
	v_mov_b32_e32 v3, s11
	v_add_co_u32_e64 v12, s[0:1], s10, v4
	s_add_i32 s3, s3, s2
	s_mul_i32 s2, s6, s8
	v_addc_co_u32_e64 v13, s[0:1], v3, v5, s[0:1]
	v_ashrrev_i32_e32 v3, 31, v2
	s_lshl_b64 s[2:3], s[2:3], 3
	v_lshlrev_b64 v[6:7], 3, v[2:3]
	s_add_u32 s6, s26, s2
	s_addc_u32 s7, s27, s3
	v_mov_b32_e32 v3, s19
	v_add_co_u32_e64 v16, s[2:3], s18, v6
	v_cmp_gt_i32_e64 s[0:1], s13, v2
	v_addc_co_u32_e64 v17, s[2:3], v3, v7, s[2:3]
	v_mad_i64_i32 v[2:3], s[2:3], s9, v2, 0
	v_cmp_le_i32_e64 s[2:3], v9, v8
	s_and_b64 s[4:5], s[0:1], vcc
	v_lshlrev_b64 v[2:3], 3, v[2:3]
	s_and_b64 s[4:5], s[4:5], s[2:3]
	v_mov_b32_e32 v8, s7
	v_add_co_u32_e64 v2, s[2:3], s6, v2
	v_lshlrev_b32_e32 v14, 8, v0
	v_lshlrev_b32_e32 v10, 3, v1
	v_addc_co_u32_e64 v3, s[2:3], v8, v3, s[2:3]
	v_add_u32_e32 v15, v14, v10
	v_or_b32_e32 v18, 0x2000, v10
	v_add_co_u32_e64 v10, s[2:3], v2, v4
	v_addc_co_u32_e64 v11, s[2:3], v3, v5, s[2:3]
	v_mov_b32_e32 v2, s19
	v_add_co_u32_e64 v20, s[2:3], s18, v4
	v_addc_co_u32_e64 v21, s[2:3], v2, v5, s[2:3]
	v_mov_b32_e32 v2, s11
	v_add_co_u32_e64 v22, s[2:3], s10, v6
	v_add_u32_e32 v19, v18, v14
	v_addc_co_u32_e64 v23, s[2:3], v2, v7, s[2:3]
	s_mov_b32 s13, 0
	v_add_u32_e32 v24, 0x800, v18
	v_add_u32_e32 v25, 0x1000, v18
	;; [unrolled: 1-line block ×3, first 2 shown]
	s_branch .LBB1904_5
.LBB1904_4:                             ;   in Loop: Header=BB1904_5 Depth=1
	s_or_b64 exec, exec, s[2:3]
	s_add_i32 s13, s13, 32
	s_cmp_lt_i32 s13, s14
	s_waitcnt vmcnt(0)
	s_barrier
	s_cbranch_scc0 .LBB1904_17
.LBB1904_5:                             ; =>This Inner Loop Header: Depth=1
	v_add_u32_e32 v27, s13, v1
	v_cmp_gt_i32_e64 s[2:3], s14, v27
	s_and_b64 s[6:7], vcc, s[2:3]
	v_mov_b32_e32 v2, 0
	v_mov_b32_e32 v3, 0
	;; [unrolled: 1-line block ×3, first 2 shown]
	s_and_saveexec_b64 s[8:9], s[6:7]
	s_cbranch_execz .LBB1904_7
; %bb.6:                                ;   in Loop: Header=BB1904_5 Depth=1
	v_mad_i64_i32 v[3:4], s[2:3], v27, s12, 0
	v_lshlrev_b64 v[3:4], 3, v[3:4]
	v_add_co_u32_e64 v3, s[2:3], v12, v3
	v_addc_co_u32_e64 v4, s[2:3], v13, v4, s[2:3]
	global_load_dwordx2 v[3:4], v[3:4], off
.LBB1904_7:                             ;   in Loop: Header=BB1904_5 Depth=1
	s_or_b64 exec, exec, s[8:9]
	v_add_u32_e32 v28, s13, v0
	v_cmp_gt_i32_e64 s[2:3], s14, v28
	s_waitcnt vmcnt(0)
	ds_write_b64 v15, v[3:4]
	s_and_b64 s[8:9], s[0:1], s[2:3]
	v_mov_b32_e32 v3, 0
	s_and_saveexec_b64 s[10:11], s[8:9]
	s_cbranch_execz .LBB1904_9
; %bb.8:                                ;   in Loop: Header=BB1904_5 Depth=1
	v_mad_i64_i32 v[2:3], s[2:3], v28, s17, 0
	v_lshlrev_b64 v[2:3], 3, v[2:3]
	v_add_co_u32_e64 v2, s[2:3], v16, v2
	v_addc_co_u32_e64 v3, s[2:3], v17, v3, s[2:3]
	global_load_dwordx2 v[2:3], v[2:3], off
.LBB1904_9:                             ;   in Loop: Header=BB1904_5 Depth=1
	s_or_b64 exec, exec, s[10:11]
	s_waitcnt vmcnt(0)
	ds_write_b64 v19, v[2:3]
	s_waitcnt lgkmcnt(0)
	s_barrier
	s_and_saveexec_b64 s[2:3], s[4:5]
	s_cbranch_execz .LBB1904_11
; %bb.10:                               ;   in Loop: Header=BB1904_5 Depth=1
	ds_read2_b64 v[2:5], v18 offset1:32
	ds_read_b128 v[6:9], v14
	ds_read_b128 v[29:32], v14 offset:16
	s_waitcnt lgkmcnt(1)
	v_mul_f32_e32 v33, v3, v7
	v_fma_f32 v38, v2, v6, -v33
	ds_read2_b64 v[33:36], v18 offset0:64 offset1:96
	v_mul_f32_e32 v37, v2, v7
	v_mul_f32_e32 v2, v5, v9
	v_fma_f32 v39, v4, v8, -v2
	v_fmac_f32_e32 v37, v3, v6
	s_waitcnt lgkmcnt(0)
	v_mul_f32_e32 v2, v34, v30
	v_mul_f32_e32 v40, v4, v9
	v_fma_f32 v41, v33, v29, -v2
	v_mul_f32_e32 v33, v33, v30
	v_mul_f32_e32 v2, v36, v32
	v_fmac_f32_e32 v40, v5, v8
	v_fmac_f32_e32 v33, v34, v29
	v_fma_f32 v34, v35, v31, -v2
	v_mul_f32_e32 v35, v35, v32
	v_add_f32_e32 v29, 0, v38
	v_add_f32_e32 v30, 0, v37
	v_fmac_f32_e32 v35, v36, v31
	ds_read_b128 v[2:5], v14 offset:32
	ds_read_b128 v[6:9], v14 offset:48
	v_add_f32_e32 v36, v29, v39
	v_add_f32_e32 v37, v30, v40
	ds_read2_b64 v[29:32], v18 offset0:128 offset1:160
	v_add_f32_e32 v33, v37, v33
	v_add_f32_e32 v36, v36, v41
	v_add_f32_e32 v33, v33, v35
	v_add_f32_e32 v34, v36, v34
	s_waitcnt lgkmcnt(0)
	v_mul_f32_e32 v35, v30, v3
	v_mul_f32_e32 v3, v29, v3
	v_fma_f32 v35, v29, v2, -v35
	v_fmac_f32_e32 v3, v30, v2
	v_add_f32_e32 v2, v34, v35
	v_add_f32_e32 v3, v33, v3
	ds_read2_b64 v[33:36], v18 offset0:192 offset1:224
	v_mul_f32_e32 v29, v32, v5
	v_mul_f32_e32 v5, v31, v5
	v_fma_f32 v29, v31, v4, -v29
	v_fmac_f32_e32 v5, v32, v4
	s_waitcnt lgkmcnt(0)
	v_mul_f32_e32 v4, v34, v7
	v_add_f32_e32 v2, v2, v29
	v_add_f32_e32 v3, v3, v5
	v_fma_f32 v4, v33, v6, -v4
	v_mul_f32_e32 v5, v33, v7
	v_fmac_f32_e32 v5, v34, v6
	v_add_f32_e32 v6, v2, v4
	v_mul_f32_e32 v2, v36, v9
	v_add_f32_e32 v7, v3, v5
	v_fma_f32 v33, v35, v8, -v2
	ds_read_b128 v[2:5], v14 offset:64
	ds_read2_b64 v[29:32], v24 offset1:32
	v_mul_f32_e32 v9, v35, v9
	v_fmac_f32_e32 v9, v36, v8
	v_add_f32_e32 v33, v6, v33
	v_add_f32_e32 v34, v7, v9
	s_waitcnt lgkmcnt(0)
	v_mul_f32_e32 v35, v30, v3
	v_mul_f32_e32 v3, v29, v3
	v_fma_f32 v35, v29, v2, -v35
	v_fmac_f32_e32 v3, v30, v2
	ds_read_b128 v[6:9], v14 offset:80
	v_add_f32_e32 v2, v33, v35
	v_add_f32_e32 v3, v34, v3
	ds_read2_b64 v[33:36], v24 offset0:64 offset1:96
	v_mul_f32_e32 v29, v32, v5
	v_mul_f32_e32 v5, v31, v5
	v_fma_f32 v29, v31, v4, -v29
	v_fmac_f32_e32 v5, v32, v4
	s_waitcnt lgkmcnt(0)
	v_mul_f32_e32 v4, v34, v7
	v_add_f32_e32 v2, v2, v29
	v_add_f32_e32 v3, v3, v5
	v_fma_f32 v4, v33, v6, -v4
	v_mul_f32_e32 v5, v33, v7
	v_fmac_f32_e32 v5, v34, v6
	v_add_f32_e32 v6, v2, v4
	v_mul_f32_e32 v2, v36, v9
	v_add_f32_e32 v7, v3, v5
	v_fma_f32 v33, v35, v8, -v2
	ds_read_b128 v[2:5], v14 offset:96
	ds_read2_b64 v[29:32], v24 offset0:128 offset1:160
	v_mul_f32_e32 v9, v35, v9
	v_fmac_f32_e32 v9, v36, v8
	v_add_f32_e32 v33, v6, v33
	v_add_f32_e32 v34, v7, v9
	s_waitcnt lgkmcnt(0)
	v_mul_f32_e32 v35, v30, v3
	v_mul_f32_e32 v3, v29, v3
	v_fma_f32 v35, v29, v2, -v35
	v_fmac_f32_e32 v3, v30, v2
	ds_read_b128 v[6:9], v14 offset:112
	v_add_f32_e32 v2, v33, v35
	v_add_f32_e32 v3, v34, v3
	ds_read2_b64 v[33:36], v24 offset0:192 offset1:224
	v_mul_f32_e32 v29, v32, v5
	v_mul_f32_e32 v5, v31, v5
	v_fma_f32 v29, v31, v4, -v29
	v_fmac_f32_e32 v5, v32, v4
	s_waitcnt lgkmcnt(0)
	v_mul_f32_e32 v4, v34, v7
	v_add_f32_e32 v2, v2, v29
	v_add_f32_e32 v3, v3, v5
	v_fma_f32 v4, v33, v6, -v4
	v_mul_f32_e32 v5, v33, v7
	v_fmac_f32_e32 v5, v34, v6
	v_add_f32_e32 v6, v2, v4
	v_mul_f32_e32 v2, v36, v9
	v_add_f32_e32 v7, v3, v5
	v_fma_f32 v33, v35, v8, -v2
	ds_read_b128 v[2:5], v14 offset:128
	ds_read2_b64 v[29:32], v25 offset1:32
	v_mul_f32_e32 v9, v35, v9
	v_fmac_f32_e32 v9, v36, v8
	v_add_f32_e32 v6, v6, v33
	ds_read_b128 v[33:36], v14 offset:144
	ds_read2_b64 v[37:40], v25 offset0:64 offset1:96
	s_waitcnt lgkmcnt(2)
	v_mul_f32_e32 v8, v30, v3
	v_fma_f32 v8, v29, v2, -v8
	v_mul_f32_e32 v3, v29, v3
	v_add_f32_e32 v7, v7, v9
	v_fmac_f32_e32 v3, v30, v2
	v_add_f32_e32 v2, v6, v8
	v_mul_f32_e32 v6, v32, v5
	v_mul_f32_e32 v5, v31, v5
	v_add_f32_e32 v3, v7, v3
	v_fma_f32 v6, v31, v4, -v6
	v_fmac_f32_e32 v5, v32, v4
	s_waitcnt lgkmcnt(0)
	v_mul_f32_e32 v4, v38, v34
	v_add_f32_e32 v2, v2, v6
	v_add_f32_e32 v3, v3, v5
	v_fma_f32 v4, v37, v33, -v4
	v_mul_f32_e32 v5, v37, v34
	v_fmac_f32_e32 v5, v38, v33
	v_add_f32_e32 v29, v2, v4
	v_mul_f32_e32 v2, v40, v36
	v_add_f32_e32 v30, v3, v5
	v_fma_f32 v31, v39, v35, -v2
	ds_read_b128 v[2:5], v14 offset:160
	ds_read2_b64 v[6:9], v25 offset0:128 offset1:160
	v_mul_f32_e32 v32, v39, v36
	v_fmac_f32_e32 v32, v40, v35
	v_add_f32_e32 v35, v29, v31
	v_add_f32_e32 v36, v30, v32
	s_waitcnt lgkmcnt(0)
	v_mul_f32_e32 v33, v7, v3
	v_fma_f32 v37, v6, v2, -v33
	global_load_dwordx2 v[33:34], v[10:11], off
	v_mul_f32_e32 v6, v6, v3
	v_fmac_f32_e32 v6, v7, v2
	v_mul_f32_e32 v2, v9, v5
	v_fma_f32 v7, v8, v4, -v2
	v_mul_f32_e32 v8, v8, v5
	ds_read_b128 v[29:32], v14 offset:176
	v_fmac_f32_e32 v8, v9, v4
	ds_read2_b64 v[2:5], v25 offset0:192 offset1:224
	v_add_f32_e32 v6, v36, v6
	v_add_f32_e32 v9, v35, v37
	;; [unrolled: 1-line block ×4, first 2 shown]
	s_waitcnt lgkmcnt(0)
	v_mul_f32_e32 v6, v3, v30
	v_fma_f32 v6, v2, v29, -v6
	v_mul_f32_e32 v30, v2, v30
	v_mul_f32_e32 v2, v5, v32
	;; [unrolled: 1-line block ×3, first 2 shown]
	v_fmac_f32_e32 v30, v3, v29
	v_add_f32_e32 v29, v7, v6
	v_fma_f32 v36, v4, v31, -v2
	v_fmac_f32_e32 v32, v5, v31
	ds_read_b128 v[2:5], v14 offset:192
	ds_read2_b64 v[6:9], v26 offset1:32
	v_add_f32_e32 v30, v35, v30
	v_add_f32_e32 v35, v29, v36
	v_add_f32_e32 v36, v30, v32
	ds_read_b128 v[29:32], v14 offset:208
	s_waitcnt lgkmcnt(1)
	v_mul_f32_e32 v37, v7, v3
	v_fma_f32 v37, v6, v2, -v37
	v_mul_f32_e32 v6, v6, v3
	v_fmac_f32_e32 v6, v7, v2
	v_mul_f32_e32 v2, v9, v5
	v_fma_f32 v7, v8, v4, -v2
	v_mul_f32_e32 v8, v8, v5
	v_fmac_f32_e32 v8, v9, v4
	ds_read2_b64 v[2:5], v26 offset0:64 offset1:96
	v_add_f32_e32 v6, v36, v6
	v_add_f32_e32 v9, v35, v37
	v_add_f32_e32 v35, v6, v8
	v_add_f32_e32 v7, v9, v7
	s_waitcnt lgkmcnt(0)
	v_mul_f32_e32 v6, v3, v30
	v_fma_f32 v6, v2, v29, -v6
	v_mul_f32_e32 v30, v2, v30
	v_mul_f32_e32 v2, v5, v32
	v_mul_f32_e32 v32, v4, v32
	v_fmac_f32_e32 v30, v3, v29
	v_add_f32_e32 v29, v7, v6
	v_fma_f32 v36, v4, v31, -v2
	v_fmac_f32_e32 v32, v5, v31
	ds_read_b128 v[2:5], v14 offset:224
	ds_read2_b64 v[6:9], v26 offset0:128 offset1:160
	v_add_f32_e32 v30, v35, v30
	v_add_f32_e32 v35, v29, v36
	;; [unrolled: 1-line block ×3, first 2 shown]
	ds_read_b128 v[29:32], v14 offset:240
	s_waitcnt lgkmcnt(1)
	v_mul_f32_e32 v37, v7, v3
	v_fma_f32 v37, v6, v2, -v37
	v_mul_f32_e32 v6, v6, v3
	v_fmac_f32_e32 v6, v7, v2
	v_mul_f32_e32 v2, v9, v5
	v_fma_f32 v7, v8, v4, -v2
	v_mul_f32_e32 v8, v8, v5
	v_fmac_f32_e32 v8, v9, v4
	ds_read2_b64 v[2:5], v26 offset0:192 offset1:224
	v_add_f32_e32 v6, v36, v6
	v_add_f32_e32 v6, v6, v8
	;; [unrolled: 1-line block ×4, first 2 shown]
	s_waitcnt lgkmcnt(0)
	v_mul_f32_e32 v8, v3, v30
	v_fma_f32 v8, v2, v29, -v8
	v_mul_f32_e32 v2, v2, v30
	v_fmac_f32_e32 v2, v3, v29
	v_add_f32_e32 v2, v6, v2
	v_mul_f32_e32 v6, v5, v32
	v_fma_f32 v6, v4, v31, -v6
	v_mul_f32_e32 v4, v4, v32
	v_fmac_f32_e32 v4, v5, v31
	v_add_f32_e32 v3, v7, v8
	v_add_f32_e32 v2, v2, v4
	;; [unrolled: 1-line block ×3, first 2 shown]
	v_mul_f32_e32 v4, s16, v2
	v_mul_f32_e32 v5, s15, v2
	v_fma_f32 v4, s15, v3, -v4
	v_fmac_f32_e32 v5, s16, v3
	s_waitcnt vmcnt(0)
	v_add_f32_e32 v2, v33, v4
	v_add_f32_e32 v3, v34, v5
	global_store_dwordx2 v[10:11], v[2:3], off
.LBB1904_11:                            ;   in Loop: Header=BB1904_5 Depth=1
	s_or_b64 exec, exec, s[2:3]
	v_mov_b32_e32 v3, 0
	v_mov_b32_e32 v5, 0
	;; [unrolled: 1-line block ×3, first 2 shown]
	s_waitcnt vmcnt(0)
	s_barrier
	s_and_saveexec_b64 s[10:11], s[6:7]
	s_cbranch_execz .LBB1904_13
; %bb.12:                               ;   in Loop: Header=BB1904_5 Depth=1
	v_mad_i64_i32 v[4:5], s[2:3], v27, s17, 0
	v_lshlrev_b64 v[4:5], 3, v[4:5]
	v_add_co_u32_e64 v4, s[2:3], v20, v4
	v_addc_co_u32_e64 v5, s[2:3], v21, v5, s[2:3]
	global_load_dwordx2 v[4:5], v[4:5], off
.LBB1904_13:                            ;   in Loop: Header=BB1904_5 Depth=1
	s_or_b64 exec, exec, s[10:11]
	v_mov_b32_e32 v2, 0
	s_waitcnt vmcnt(0)
	ds_write_b64 v15, v[4:5]
	s_and_saveexec_b64 s[6:7], s[8:9]
	s_cbranch_execz .LBB1904_15
; %bb.14:                               ;   in Loop: Header=BB1904_5 Depth=1
	v_mad_i64_i32 v[2:3], s[2:3], v28, s12, 0
	v_lshlrev_b64 v[2:3], 3, v[2:3]
	v_add_co_u32_e64 v2, s[2:3], v22, v2
	v_addc_co_u32_e64 v3, s[2:3], v23, v3, s[2:3]
	global_load_dwordx2 v[2:3], v[2:3], off
.LBB1904_15:                            ;   in Loop: Header=BB1904_5 Depth=1
	s_or_b64 exec, exec, s[6:7]
	s_waitcnt vmcnt(0)
	ds_write_b64 v19, v[2:3]
	s_waitcnt lgkmcnt(0)
	s_barrier
	s_and_saveexec_b64 s[2:3], s[4:5]
	s_cbranch_execz .LBB1904_4
; %bb.16:                               ;   in Loop: Header=BB1904_5 Depth=1
	ds_read2_b64 v[2:5], v18 offset1:32
	ds_read_b128 v[6:9], v14
	ds_read_b128 v[27:30], v14 offset:16
	s_waitcnt lgkmcnt(1)
	v_mul_f32_e32 v31, v3, v7
	v_mul_f32_e32 v35, v2, v7
	v_fma_f32 v36, v2, v6, -v31
	v_mul_f32_e32 v2, v5, v9
	v_mul_f32_e32 v38, v4, v9
	v_fmac_f32_e32 v35, v3, v6
	v_fma_f32 v37, v4, v8, -v2
	v_fmac_f32_e32 v38, v5, v8
	ds_read_b128 v[2:5], v14 offset:32
	ds_read_b128 v[6:9], v14 offset:48
	ds_read2_b64 v[31:34], v18 offset0:64 offset1:96
	v_add_f32_e32 v36, 0, v36
	v_add_f32_e32 v36, v36, v37
	;; [unrolled: 1-line block ×4, first 2 shown]
	s_waitcnt lgkmcnt(0)
	v_mul_f32_e32 v37, v32, v28
	v_fma_f32 v37, v31, v27, -v37
	v_mul_f32_e32 v31, v31, v28
	v_fmac_f32_e32 v31, v32, v27
	v_mul_f32_e32 v27, v34, v30
	v_fma_f32 v32, v33, v29, -v27
	v_mul_f32_e32 v33, v33, v30
	v_fmac_f32_e32 v33, v34, v29
	ds_read2_b64 v[27:30], v18 offset0:128 offset1:160
	v_add_f32_e32 v31, v35, v31
	v_add_f32_e32 v34, v36, v37
	v_add_f32_e32 v31, v31, v33
	v_add_f32_e32 v32, v34, v32
	s_waitcnt lgkmcnt(0)
	v_mul_f32_e32 v33, v28, v3
	v_mul_f32_e32 v3, v27, v3
	v_fma_f32 v33, v27, v2, -v33
	v_fmac_f32_e32 v3, v28, v2
	v_add_f32_e32 v2, v32, v33
	v_add_f32_e32 v3, v31, v3
	ds_read2_b64 v[31:34], v18 offset0:192 offset1:224
	v_mul_f32_e32 v27, v30, v5
	v_mul_f32_e32 v5, v29, v5
	v_fma_f32 v27, v29, v4, -v27
	v_fmac_f32_e32 v5, v30, v4
	s_waitcnt lgkmcnt(0)
	v_mul_f32_e32 v4, v32, v7
	v_add_f32_e32 v2, v2, v27
	v_add_f32_e32 v3, v3, v5
	v_fma_f32 v4, v31, v6, -v4
	v_mul_f32_e32 v5, v31, v7
	v_fmac_f32_e32 v5, v32, v6
	v_add_f32_e32 v6, v2, v4
	v_mul_f32_e32 v2, v34, v9
	v_add_f32_e32 v7, v3, v5
	v_fma_f32 v31, v33, v8, -v2
	ds_read_b128 v[2:5], v14 offset:64
	ds_read2_b64 v[27:30], v24 offset1:32
	v_mul_f32_e32 v9, v33, v9
	v_fmac_f32_e32 v9, v34, v8
	v_add_f32_e32 v31, v6, v31
	v_add_f32_e32 v32, v7, v9
	s_waitcnt lgkmcnt(0)
	v_mul_f32_e32 v33, v28, v3
	v_mul_f32_e32 v3, v27, v3
	v_fma_f32 v33, v27, v2, -v33
	v_fmac_f32_e32 v3, v28, v2
	ds_read_b128 v[6:9], v14 offset:80
	v_add_f32_e32 v2, v31, v33
	v_add_f32_e32 v3, v32, v3
	ds_read2_b64 v[31:34], v24 offset0:64 offset1:96
	v_mul_f32_e32 v27, v30, v5
	v_mul_f32_e32 v5, v29, v5
	v_fma_f32 v27, v29, v4, -v27
	v_fmac_f32_e32 v5, v30, v4
	s_waitcnt lgkmcnt(0)
	v_mul_f32_e32 v4, v32, v7
	v_add_f32_e32 v2, v2, v27
	v_add_f32_e32 v3, v3, v5
	v_fma_f32 v4, v31, v6, -v4
	v_mul_f32_e32 v5, v31, v7
	v_fmac_f32_e32 v5, v32, v6
	v_add_f32_e32 v6, v2, v4
	v_mul_f32_e32 v2, v34, v9
	v_add_f32_e32 v7, v3, v5
	v_fma_f32 v31, v33, v8, -v2
	ds_read_b128 v[2:5], v14 offset:96
	ds_read2_b64 v[27:30], v24 offset0:128 offset1:160
	v_mul_f32_e32 v9, v33, v9
	v_fmac_f32_e32 v9, v34, v8
	v_add_f32_e32 v31, v6, v31
	v_add_f32_e32 v32, v7, v9
	s_waitcnt lgkmcnt(0)
	v_mul_f32_e32 v33, v28, v3
	v_mul_f32_e32 v3, v27, v3
	v_fma_f32 v33, v27, v2, -v33
	v_fmac_f32_e32 v3, v28, v2
	ds_read_b128 v[6:9], v14 offset:112
	v_add_f32_e32 v2, v31, v33
	v_add_f32_e32 v3, v32, v3
	ds_read2_b64 v[31:34], v24 offset0:192 offset1:224
	v_mul_f32_e32 v27, v30, v5
	v_mul_f32_e32 v5, v29, v5
	v_fma_f32 v27, v29, v4, -v27
	v_fmac_f32_e32 v5, v30, v4
	s_waitcnt lgkmcnt(0)
	v_mul_f32_e32 v4, v32, v7
	v_add_f32_e32 v2, v2, v27
	v_add_f32_e32 v3, v3, v5
	v_fma_f32 v4, v31, v6, -v4
	v_mul_f32_e32 v5, v31, v7
	v_fmac_f32_e32 v5, v32, v6
	v_add_f32_e32 v6, v2, v4
	v_mul_f32_e32 v2, v34, v9
	v_add_f32_e32 v7, v3, v5
	v_fma_f32 v31, v33, v8, -v2
	ds_read_b128 v[2:5], v14 offset:128
	ds_read2_b64 v[27:30], v25 offset1:32
	v_mul_f32_e32 v9, v33, v9
	v_fmac_f32_e32 v9, v34, v8
	v_add_f32_e32 v6, v6, v31
	ds_read_b128 v[31:34], v14 offset:144
	ds_read2_b64 v[35:38], v25 offset0:64 offset1:96
	s_waitcnt lgkmcnt(2)
	v_mul_f32_e32 v8, v28, v3
	v_fma_f32 v8, v27, v2, -v8
	v_mul_f32_e32 v3, v27, v3
	v_add_f32_e32 v7, v7, v9
	v_fmac_f32_e32 v3, v28, v2
	v_add_f32_e32 v2, v6, v8
	v_mul_f32_e32 v6, v30, v5
	v_mul_f32_e32 v5, v29, v5
	v_add_f32_e32 v3, v7, v3
	v_fma_f32 v6, v29, v4, -v6
	v_fmac_f32_e32 v5, v30, v4
	s_waitcnt lgkmcnt(0)
	v_mul_f32_e32 v4, v36, v32
	v_add_f32_e32 v2, v2, v6
	v_add_f32_e32 v3, v3, v5
	v_fma_f32 v4, v35, v31, -v4
	v_mul_f32_e32 v5, v35, v32
	v_fmac_f32_e32 v5, v36, v31
	v_add_f32_e32 v27, v2, v4
	v_mul_f32_e32 v2, v38, v34
	v_add_f32_e32 v28, v3, v5
	v_fma_f32 v29, v37, v33, -v2
	ds_read_b128 v[2:5], v14 offset:160
	ds_read2_b64 v[6:9], v25 offset0:128 offset1:160
	global_load_dwordx2 v[35:36], v[10:11], off
	v_mul_f32_e32 v30, v37, v34
	v_fmac_f32_e32 v30, v38, v33
	v_add_f32_e32 v31, v27, v29
	s_waitcnt lgkmcnt(0)
	v_mul_f32_e32 v33, v7, v3
	v_mul_f32_e32 v3, v6, v3
	v_add_f32_e32 v32, v28, v30
	v_fma_f32 v33, v6, v2, -v33
	v_fmac_f32_e32 v3, v7, v2
	ds_read_b128 v[27:30], v14 offset:176
	v_add_f32_e32 v2, v31, v33
	v_add_f32_e32 v3, v32, v3
	ds_read2_b64 v[31:34], v25 offset0:192 offset1:224
	v_mul_f32_e32 v6, v9, v5
	v_mul_f32_e32 v5, v8, v5
	v_fma_f32 v6, v8, v4, -v6
	v_fmac_f32_e32 v5, v9, v4
	s_waitcnt lgkmcnt(0)
	v_mul_f32_e32 v4, v32, v28
	v_add_f32_e32 v2, v2, v6
	v_add_f32_e32 v3, v3, v5
	v_fma_f32 v4, v31, v27, -v4
	v_mul_f32_e32 v5, v31, v28
	v_fmac_f32_e32 v5, v32, v27
	v_add_f32_e32 v27, v2, v4
	v_mul_f32_e32 v2, v34, v30
	v_add_f32_e32 v28, v3, v5
	v_fma_f32 v31, v33, v29, -v2
	ds_read_b128 v[2:5], v14 offset:192
	ds_read2_b64 v[6:9], v26 offset1:32
	v_mul_f32_e32 v30, v33, v30
	v_fmac_f32_e32 v30, v34, v29
	v_add_f32_e32 v31, v27, v31
	v_add_f32_e32 v32, v28, v30
	s_waitcnt lgkmcnt(0)
	v_mul_f32_e32 v33, v7, v3
	v_mul_f32_e32 v3, v6, v3
	v_fma_f32 v33, v6, v2, -v33
	v_fmac_f32_e32 v3, v7, v2
	ds_read_b128 v[27:30], v14 offset:208
	v_add_f32_e32 v2, v31, v33
	v_add_f32_e32 v3, v32, v3
	ds_read2_b64 v[31:34], v26 offset0:64 offset1:96
	v_mul_f32_e32 v6, v9, v5
	v_mul_f32_e32 v5, v8, v5
	v_fma_f32 v6, v8, v4, -v6
	v_fmac_f32_e32 v5, v9, v4
	s_waitcnt lgkmcnt(0)
	v_mul_f32_e32 v4, v32, v28
	v_add_f32_e32 v2, v2, v6
	v_add_f32_e32 v3, v3, v5
	v_fma_f32 v4, v31, v27, -v4
	v_mul_f32_e32 v5, v31, v28
	v_fmac_f32_e32 v5, v32, v27
	v_add_f32_e32 v27, v2, v4
	v_mul_f32_e32 v2, v34, v30
	v_add_f32_e32 v28, v3, v5
	v_fma_f32 v31, v33, v29, -v2
	ds_read_b128 v[2:5], v14 offset:224
	ds_read2_b64 v[6:9], v26 offset0:128 offset1:160
	v_mul_f32_e32 v30, v33, v30
	v_fmac_f32_e32 v30, v34, v29
	v_add_f32_e32 v31, v27, v31
	v_add_f32_e32 v32, v28, v30
	s_waitcnt lgkmcnt(0)
	v_mul_f32_e32 v33, v7, v3
	v_mul_f32_e32 v3, v6, v3
	v_fma_f32 v33, v6, v2, -v33
	v_fmac_f32_e32 v3, v7, v2
	ds_read_b128 v[27:30], v14 offset:240
	v_add_f32_e32 v2, v31, v33
	v_add_f32_e32 v3, v32, v3
	ds_read2_b64 v[31:34], v26 offset0:192 offset1:224
	v_mul_f32_e32 v6, v9, v5
	v_mul_f32_e32 v5, v8, v5
	v_fmac_f32_e32 v5, v9, v4
	v_fma_f32 v6, v8, v4, -v6
	v_add_f32_e32 v3, v3, v5
	s_waitcnt lgkmcnt(0)
	v_mul_f32_e32 v4, v32, v28
	v_mul_f32_e32 v5, v31, v28
	v_add_f32_e32 v2, v2, v6
	v_fma_f32 v4, v31, v27, -v4
	v_fmac_f32_e32 v5, v32, v27
	v_add_f32_e32 v2, v2, v4
	v_add_f32_e32 v3, v3, v5
	v_mul_f32_e32 v4, v34, v30
	v_mul_f32_e32 v5, v33, v30
	v_fma_f32 v4, v33, v29, -v4
	v_fmac_f32_e32 v5, v34, v29
	v_add_f32_e32 v2, v2, v4
	v_add_f32_e32 v3, v3, v5
	v_mul_f32_e32 v4, s16, v3
	v_mul_f32_e32 v5, s16, v2
	v_fma_f32 v4, s15, v2, -v4
	v_fmac_f32_e32 v5, s15, v3
	s_waitcnt vmcnt(0)
	v_add_f32_e32 v2, v35, v4
	v_add_f32_e32 v3, v36, v5
	global_store_dwordx2 v[10:11], v[2:3], off
	s_branch .LBB1904_4
.LBB1904_17:
	s_endpgm
	.section	.rodata,"a",@progbits
	.p2align	6, 0x0
	.amdhsa_kernel _ZL26rocblas_syr2k_her2k_kernelIiLb1ELb0ELb0ELi32E19rocblas_complex_numIfEPKS1_PS1_EvbiT_T4_T5_S5_lS7_S5_lT6_S5_li
		.amdhsa_group_segment_fixed_size 16384
		.amdhsa_private_segment_fixed_size 0
		.amdhsa_kernarg_size 100
		.amdhsa_user_sgpr_count 6
		.amdhsa_user_sgpr_private_segment_buffer 1
		.amdhsa_user_sgpr_dispatch_ptr 0
		.amdhsa_user_sgpr_queue_ptr 0
		.amdhsa_user_sgpr_kernarg_segment_ptr 1
		.amdhsa_user_sgpr_dispatch_id 0
		.amdhsa_user_sgpr_flat_scratch_init 0
		.amdhsa_user_sgpr_private_segment_size 0
		.amdhsa_uses_dynamic_stack 0
		.amdhsa_system_sgpr_private_segment_wavefront_offset 0
		.amdhsa_system_sgpr_workgroup_id_x 1
		.amdhsa_system_sgpr_workgroup_id_y 1
		.amdhsa_system_sgpr_workgroup_id_z 1
		.amdhsa_system_sgpr_workgroup_info 0
		.amdhsa_system_vgpr_workitem_id 1
		.amdhsa_next_free_vgpr 42
		.amdhsa_next_free_sgpr 61
		.amdhsa_reserve_vcc 1
		.amdhsa_reserve_flat_scratch 0
		.amdhsa_float_round_mode_32 0
		.amdhsa_float_round_mode_16_64 0
		.amdhsa_float_denorm_mode_32 3
		.amdhsa_float_denorm_mode_16_64 3
		.amdhsa_dx10_clamp 1
		.amdhsa_ieee_mode 1
		.amdhsa_fp16_overflow 0
		.amdhsa_exception_fp_ieee_invalid_op 0
		.amdhsa_exception_fp_denorm_src 0
		.amdhsa_exception_fp_ieee_div_zero 0
		.amdhsa_exception_fp_ieee_overflow 0
		.amdhsa_exception_fp_ieee_underflow 0
		.amdhsa_exception_fp_ieee_inexact 0
		.amdhsa_exception_int_div_zero 0
	.end_amdhsa_kernel
	.section	.text._ZL26rocblas_syr2k_her2k_kernelIiLb1ELb0ELb0ELi32E19rocblas_complex_numIfEPKS1_PS1_EvbiT_T4_T5_S5_lS7_S5_lT6_S5_li,"axG",@progbits,_ZL26rocblas_syr2k_her2k_kernelIiLb1ELb0ELb0ELi32E19rocblas_complex_numIfEPKS1_PS1_EvbiT_T4_T5_S5_lS7_S5_lT6_S5_li,comdat
.Lfunc_end1904:
	.size	_ZL26rocblas_syr2k_her2k_kernelIiLb1ELb0ELb0ELi32E19rocblas_complex_numIfEPKS1_PS1_EvbiT_T4_T5_S5_lS7_S5_lT6_S5_li, .Lfunc_end1904-_ZL26rocblas_syr2k_her2k_kernelIiLb1ELb0ELb0ELi32E19rocblas_complex_numIfEPKS1_PS1_EvbiT_T4_T5_S5_lS7_S5_lT6_S5_li
                                        ; -- End function
	.set _ZL26rocblas_syr2k_her2k_kernelIiLb1ELb0ELb0ELi32E19rocblas_complex_numIfEPKS1_PS1_EvbiT_T4_T5_S5_lS7_S5_lT6_S5_li.num_vgpr, 42
	.set _ZL26rocblas_syr2k_her2k_kernelIiLb1ELb0ELb0ELi32E19rocblas_complex_numIfEPKS1_PS1_EvbiT_T4_T5_S5_lS7_S5_lT6_S5_li.num_agpr, 0
	.set _ZL26rocblas_syr2k_her2k_kernelIiLb1ELb0ELb0ELi32E19rocblas_complex_numIfEPKS1_PS1_EvbiT_T4_T5_S5_lS7_S5_lT6_S5_li.numbered_sgpr, 28
	.set _ZL26rocblas_syr2k_her2k_kernelIiLb1ELb0ELb0ELi32E19rocblas_complex_numIfEPKS1_PS1_EvbiT_T4_T5_S5_lS7_S5_lT6_S5_li.num_named_barrier, 0
	.set _ZL26rocblas_syr2k_her2k_kernelIiLb1ELb0ELb0ELi32E19rocblas_complex_numIfEPKS1_PS1_EvbiT_T4_T5_S5_lS7_S5_lT6_S5_li.private_seg_size, 0
	.set _ZL26rocblas_syr2k_her2k_kernelIiLb1ELb0ELb0ELi32E19rocblas_complex_numIfEPKS1_PS1_EvbiT_T4_T5_S5_lS7_S5_lT6_S5_li.uses_vcc, 1
	.set _ZL26rocblas_syr2k_her2k_kernelIiLb1ELb0ELb0ELi32E19rocblas_complex_numIfEPKS1_PS1_EvbiT_T4_T5_S5_lS7_S5_lT6_S5_li.uses_flat_scratch, 0
	.set _ZL26rocblas_syr2k_her2k_kernelIiLb1ELb0ELb0ELi32E19rocblas_complex_numIfEPKS1_PS1_EvbiT_T4_T5_S5_lS7_S5_lT6_S5_li.has_dyn_sized_stack, 0
	.set _ZL26rocblas_syr2k_her2k_kernelIiLb1ELb0ELb0ELi32E19rocblas_complex_numIfEPKS1_PS1_EvbiT_T4_T5_S5_lS7_S5_lT6_S5_li.has_recursion, 0
	.set _ZL26rocblas_syr2k_her2k_kernelIiLb1ELb0ELb0ELi32E19rocblas_complex_numIfEPKS1_PS1_EvbiT_T4_T5_S5_lS7_S5_lT6_S5_li.has_indirect_call, 0
	.section	.AMDGPU.csdata,"",@progbits
; Kernel info:
; codeLenInByte = 3420
; TotalNumSgprs: 32
; NumVgprs: 42
; ScratchSize: 0
; MemoryBound: 0
; FloatMode: 240
; IeeeMode: 1
; LDSByteSize: 16384 bytes/workgroup (compile time only)
; SGPRBlocks: 8
; VGPRBlocks: 10
; NumSGPRsForWavesPerEU: 65
; NumVGPRsForWavesPerEU: 42
; Occupancy: 5
; WaveLimiterHint : 0
; COMPUTE_PGM_RSRC2:SCRATCH_EN: 0
; COMPUTE_PGM_RSRC2:USER_SGPR: 6
; COMPUTE_PGM_RSRC2:TRAP_HANDLER: 0
; COMPUTE_PGM_RSRC2:TGID_X_EN: 1
; COMPUTE_PGM_RSRC2:TGID_Y_EN: 1
; COMPUTE_PGM_RSRC2:TGID_Z_EN: 1
; COMPUTE_PGM_RSRC2:TIDIG_COMP_CNT: 1
	.section	.text._ZL26rocblas_syr2k_her2k_kernelIiLb1ELb0ELb1ELi32E19rocblas_complex_numIfEPKS1_PS1_EvbiT_T4_T5_S5_lS7_S5_lT6_S5_li,"axG",@progbits,_ZL26rocblas_syr2k_her2k_kernelIiLb1ELb0ELb1ELi32E19rocblas_complex_numIfEPKS1_PS1_EvbiT_T4_T5_S5_lS7_S5_lT6_S5_li,comdat
	.globl	_ZL26rocblas_syr2k_her2k_kernelIiLb1ELb0ELb1ELi32E19rocblas_complex_numIfEPKS1_PS1_EvbiT_T4_T5_S5_lS7_S5_lT6_S5_li ; -- Begin function _ZL26rocblas_syr2k_her2k_kernelIiLb1ELb0ELb1ELi32E19rocblas_complex_numIfEPKS1_PS1_EvbiT_T4_T5_S5_lS7_S5_lT6_S5_li
	.p2align	8
	.type	_ZL26rocblas_syr2k_her2k_kernelIiLb1ELb0ELb1ELi32E19rocblas_complex_numIfEPKS1_PS1_EvbiT_T4_T5_S5_lS7_S5_lT6_S5_li,@function
_ZL26rocblas_syr2k_her2k_kernelIiLb1ELb0ELb1ELi32E19rocblas_complex_numIfEPKS1_PS1_EvbiT_T4_T5_S5_lS7_S5_lT6_S5_li: ; @_ZL26rocblas_syr2k_her2k_kernelIiLb1ELb0ELb1ELi32E19rocblas_complex_numIfEPKS1_PS1_EvbiT_T4_T5_S5_lS7_S5_lT6_S5_li
; %bb.0:
	s_load_dwordx4 s[12:15], s[4:5], 0x0
	s_load_dword s16, s[4:5], 0x10
	s_waitcnt lgkmcnt(0)
	v_cmp_eq_f32_e64 s[0:1], s15, 0
	v_cmp_eq_f32_e64 s[2:3], s16, 0
	s_and_b64 s[0:1], s[0:1], s[2:3]
	s_and_b64 vcc, exec, s[0:1]
	s_cbranch_vccnz .LBB1905_17
; %bb.1:
	s_and_b32 s2, 1, s12
	s_lshl_b32 s0, s7, 5
	s_lshl_b32 s1, s6, 5
	s_cmp_eq_u32 s2, 1
	s_cselect_b64 vcc, -1, 0
	s_and_b64 s[2:3], vcc, exec
	s_cselect_b32 s2, s1, s0
	s_cselect_b32 s3, s0, s1
	s_cmp_gt_i32 s2, s3
	s_cbranch_scc1 .LBB1905_17
; %bb.2:
	s_cmp_lt_i32 s14, 1
	s_cbranch_scc1 .LBB1905_17
; %bb.3:
	v_add_u32_e32 v2, s1, v0
	s_load_dwordx2 s[2:3], s[4:5], 0x18
	s_load_dword s9, s[4:5], 0x20
	s_load_dwordx4 s[20:23], s[4:5], 0x28
	s_load_dword s10, s[4:5], 0x38
	s_load_dwordx4 s[24:27], s[4:5], 0x40
	s_load_dword s11, s[4:5], 0x50
	s_load_dwordx2 s[6:7], s[4:5], 0x58
	v_add_u32_e32 v7, s0, v1
	s_waitcnt lgkmcnt(0)
	v_mad_i64_i32 v[4:5], s[0:1], s9, v2, 0
	s_mul_i32 s4, s21, s8
	s_mul_hi_u32 s5, s20, s8
	s_add_i32 s5, s5, s4
	s_mul_i32 s4, s20, s8
	s_lshl_b64 s[4:5], s[4:5], 3
	s_add_u32 s12, s2, s4
	v_lshlrev_b64 v[4:5], 3, v[4:5]
	s_addc_u32 s17, s3, s5
	s_mul_i32 s2, s25, s8
	s_mul_hi_u32 s3, s24, s8
	s_add_i32 s3, s3, s2
	s_mul_i32 s2, s24, s8
	v_mov_b32_e32 v9, s17
	v_add_co_u32_e64 v16, s[0:1], s12, v4
	s_lshl_b64 s[2:3], s[2:3], 3
	v_addc_co_u32_e64 v17, s[0:1], v9, v5, s[0:1]
	v_mad_i64_i32 v[4:5], s[0:1], s10, v7, 0
	s_add_u32 s18, s22, s2
	s_addc_u32 s19, s23, s3
	s_mul_i32 s2, s7, s8
	s_mul_hi_u32 s3, s6, s8
	s_add_i32 s3, s3, s2
	s_mul_i32 s2, s6, s8
	s_lshl_b64 s[2:3], s[2:3], 3
	v_lshlrev_b64 v[4:5], 3, v[4:5]
	s_add_u32 s6, s26, s2
	s_addc_u32 s7, s27, s3
	v_mov_b32_e32 v10, s19
	v_add_co_u32_e64 v20, s[2:3], s18, v4
	v_addc_co_u32_e64 v21, s[2:3], v10, v5, s[2:3]
	v_mad_i64_i32 v[4:5], s[2:3], s11, v7, 0
	v_cndmask_b32_e32 v6, v2, v7, vcc
	v_cndmask_b32_e32 v8, v7, v2, vcc
	v_cmp_gt_i32_e32 vcc, s13, v2
	v_cmp_gt_i32_e64 s[0:1], s13, v7
	v_lshlrev_b64 v[4:5], 3, v[4:5]
	v_cmp_le_i32_e64 s[2:3], v8, v6
	s_and_b64 s[4:5], s[0:1], vcc
	v_lshlrev_b32_e32 v18, 8, v0
	v_lshlrev_b32_e32 v9, 3, v1
	s_and_b64 s[4:5], s[4:5], s[2:3]
	v_mov_b32_e32 v6, s7
	v_add_co_u32_e64 v8, s[2:3], s6, v4
	v_ashrrev_i32_e32 v3, 31, v2
	v_add_u32_e32 v19, v18, v9
	v_or_b32_e32 v22, 0x2000, v9
	v_addc_co_u32_e64 v9, s[2:3], v6, v5, s[2:3]
	v_mad_i64_i32 v[5:6], s[2:3], s10, v2, 0
	v_lshlrev_b64 v[3:4], 3, v[2:3]
	v_add_u32_e32 v23, v22, v18
	v_add_co_u32_e64 v10, s[2:3], v8, v3
	v_addc_co_u32_e64 v11, s[2:3], v9, v4, s[2:3]
	v_lshlrev_b64 v[2:3], 3, v[5:6]
	v_mad_i64_i32 v[4:5], s[2:3], s9, v7, 0
	v_mov_b32_e32 v6, s19
	v_add_co_u32_e64 v24, s[2:3], s18, v2
	v_addc_co_u32_e64 v25, s[2:3], v6, v3, s[2:3]
	v_lshlrev_b64 v[2:3], 3, v[4:5]
	v_mov_b32_e32 v4, s17
	v_add_co_u32_e64 v26, s[2:3], s12, v2
	v_addc_co_u32_e64 v27, s[2:3], v4, v3, s[2:3]
	s_mov_b32 s12, 0
	v_add_u32_e32 v28, 0x800, v22
	v_add_u32_e32 v29, 0x1000, v22
	;; [unrolled: 1-line block ×3, first 2 shown]
	s_branch .LBB1905_5
.LBB1905_4:                             ;   in Loop: Header=BB1905_5 Depth=1
	s_or_b64 exec, exec, s[2:3]
	s_add_i32 s12, s12, 32
	s_cmp_lt_i32 s12, s14
	s_waitcnt vmcnt(0)
	s_barrier
	s_cbranch_scc0 .LBB1905_17
.LBB1905_5:                             ; =>This Inner Loop Header: Depth=1
	v_add_u32_e32 v12, s12, v1
	v_cmp_gt_i32_e64 s[2:3], s14, v12
	s_and_b64 s[6:7], vcc, s[2:3]
	v_mov_b32_e32 v2, 0
	v_mov_b32_e32 v3, 0
	;; [unrolled: 1-line block ×3, first 2 shown]
	s_and_saveexec_b64 s[8:9], s[6:7]
	s_cbranch_execz .LBB1905_7
; %bb.6:                                ;   in Loop: Header=BB1905_5 Depth=1
	v_ashrrev_i32_e32 v13, 31, v12
	v_lshlrev_b64 v[3:4], 3, v[12:13]
	v_add_co_u32_e64 v3, s[2:3], v16, v3
	v_addc_co_u32_e64 v4, s[2:3], v17, v4, s[2:3]
	global_load_dwordx2 v[3:4], v[3:4], off
.LBB1905_7:                             ;   in Loop: Header=BB1905_5 Depth=1
	s_or_b64 exec, exec, s[8:9]
	v_add_u32_e32 v14, s12, v0
	v_cmp_gt_i32_e64 s[2:3], s14, v14
	s_waitcnt vmcnt(0)
	ds_write_b64 v19, v[3:4]
	s_and_b64 s[8:9], s[0:1], s[2:3]
	v_mov_b32_e32 v3, 0
	s_and_saveexec_b64 s[10:11], s[8:9]
	s_cbranch_execz .LBB1905_9
; %bb.8:                                ;   in Loop: Header=BB1905_5 Depth=1
	v_ashrrev_i32_e32 v15, 31, v14
	v_lshlrev_b64 v[2:3], 3, v[14:15]
	v_add_co_u32_e64 v2, s[2:3], v20, v2
	v_addc_co_u32_e64 v3, s[2:3], v21, v3, s[2:3]
	global_load_dwordx2 v[2:3], v[2:3], off
.LBB1905_9:                             ;   in Loop: Header=BB1905_5 Depth=1
	s_or_b64 exec, exec, s[10:11]
	s_waitcnt vmcnt(0)
	ds_write_b64 v23, v[2:3]
	s_waitcnt lgkmcnt(0)
	s_barrier
	s_and_saveexec_b64 s[2:3], s[4:5]
	s_cbranch_execz .LBB1905_11
; %bb.10:                               ;   in Loop: Header=BB1905_5 Depth=1
	ds_read2_b64 v[2:5], v22 offset1:32
	ds_read_b128 v[6:9], v18
	ds_read_b128 v[31:34], v18 offset:16
	ds_read2_b64 v[35:38], v22 offset0:64 offset1:96
	s_waitcnt lgkmcnt(2)
	v_mul_f32_e32 v13, v3, v7
	v_mul_f32_e32 v15, v2, v7
	v_fma_f32 v13, v2, v6, -v13
	v_mul_f32_e32 v2, v5, v9
	v_fma_f32 v39, v4, v8, -v2
	s_waitcnt lgkmcnt(0)
	v_mul_f32_e32 v2, v36, v32
	v_fma_f32 v41, v35, v31, -v2
	v_mul_f32_e32 v35, v35, v32
	v_mul_f32_e32 v2, v38, v34
	;; [unrolled: 1-line block ×3, first 2 shown]
	v_fmac_f32_e32 v35, v36, v31
	v_fma_f32 v36, v37, v33, -v2
	v_mul_f32_e32 v37, v37, v34
	v_fmac_f32_e32 v15, v3, v6
	v_fmac_f32_e32 v40, v5, v8
	;; [unrolled: 1-line block ×3, first 2 shown]
	ds_read_b128 v[2:5], v18 offset:32
	ds_read_b128 v[6:9], v18 offset:48
	ds_read2_b64 v[31:34], v22 offset0:128 offset1:160
	v_add_f32_e32 v13, 0, v13
	v_add_f32_e32 v15, 0, v15
	;; [unrolled: 1-line block ×6, first 2 shown]
	s_waitcnt lgkmcnt(0)
	v_mul_f32_e32 v35, v32, v3
	v_add_f32_e32 v13, v13, v36
	v_fma_f32 v35, v31, v2, -v35
	v_mul_f32_e32 v3, v31, v3
	v_add_f32_e32 v15, v15, v37
	v_fmac_f32_e32 v3, v32, v2
	v_add_f32_e32 v2, v13, v35
	ds_read2_b64 v[35:38], v22 offset0:192 offset1:224
	v_mul_f32_e32 v13, v34, v5
	v_mul_f32_e32 v5, v33, v5
	v_add_f32_e32 v3, v15, v3
	v_fma_f32 v13, v33, v4, -v13
	v_fmac_f32_e32 v5, v34, v4
	s_waitcnt lgkmcnt(0)
	v_mul_f32_e32 v4, v36, v7
	v_add_f32_e32 v2, v2, v13
	v_add_f32_e32 v3, v3, v5
	v_fma_f32 v4, v35, v6, -v4
	v_mul_f32_e32 v5, v35, v7
	v_fmac_f32_e32 v5, v36, v6
	v_add_f32_e32 v6, v2, v4
	v_mul_f32_e32 v2, v38, v9
	v_add_f32_e32 v7, v3, v5
	v_fma_f32 v13, v37, v8, -v2
	ds_read_b128 v[2:5], v18 offset:64
	ds_read2_b64 v[31:34], v28 offset1:32
	v_mul_f32_e32 v9, v37, v9
	v_fmac_f32_e32 v9, v38, v8
	v_add_f32_e32 v13, v6, v13
	v_add_f32_e32 v15, v7, v9
	s_waitcnt lgkmcnt(0)
	v_mul_f32_e32 v35, v32, v3
	v_fma_f32 v35, v31, v2, -v35
	v_mul_f32_e32 v3, v31, v3
	ds_read_b128 v[6:9], v18 offset:80
	v_fmac_f32_e32 v3, v32, v2
	v_add_f32_e32 v2, v13, v35
	ds_read2_b64 v[35:38], v28 offset0:64 offset1:96
	v_mul_f32_e32 v13, v34, v5
	v_mul_f32_e32 v5, v33, v5
	v_add_f32_e32 v3, v15, v3
	v_fma_f32 v13, v33, v4, -v13
	v_fmac_f32_e32 v5, v34, v4
	s_waitcnt lgkmcnt(0)
	v_mul_f32_e32 v4, v36, v7
	v_add_f32_e32 v2, v2, v13
	v_add_f32_e32 v3, v3, v5
	v_fma_f32 v4, v35, v6, -v4
	v_mul_f32_e32 v5, v35, v7
	v_fmac_f32_e32 v5, v36, v6
	v_add_f32_e32 v6, v2, v4
	v_mul_f32_e32 v2, v38, v9
	v_add_f32_e32 v7, v3, v5
	v_fma_f32 v13, v37, v8, -v2
	ds_read_b128 v[2:5], v18 offset:96
	ds_read2_b64 v[31:34], v28 offset0:128 offset1:160
	v_mul_f32_e32 v9, v37, v9
	v_fmac_f32_e32 v9, v38, v8
	v_add_f32_e32 v13, v6, v13
	v_add_f32_e32 v15, v7, v9
	s_waitcnt lgkmcnt(0)
	v_mul_f32_e32 v35, v32, v3
	v_fma_f32 v35, v31, v2, -v35
	v_mul_f32_e32 v3, v31, v3
	ds_read_b128 v[6:9], v18 offset:112
	v_fmac_f32_e32 v3, v32, v2
	v_add_f32_e32 v2, v13, v35
	ds_read2_b64 v[35:38], v28 offset0:192 offset1:224
	v_mul_f32_e32 v13, v34, v5
	v_mul_f32_e32 v5, v33, v5
	v_add_f32_e32 v3, v15, v3
	v_fma_f32 v13, v33, v4, -v13
	v_fmac_f32_e32 v5, v34, v4
	s_waitcnt lgkmcnt(0)
	v_mul_f32_e32 v4, v36, v7
	v_add_f32_e32 v2, v2, v13
	v_add_f32_e32 v3, v3, v5
	v_fma_f32 v4, v35, v6, -v4
	v_mul_f32_e32 v5, v35, v7
	v_fmac_f32_e32 v5, v36, v6
	v_add_f32_e32 v6, v2, v4
	v_mul_f32_e32 v2, v38, v9
	v_add_f32_e32 v7, v3, v5
	v_fma_f32 v13, v37, v8, -v2
	ds_read_b128 v[2:5], v18 offset:128
	ds_read2_b64 v[31:34], v29 offset1:32
	v_mul_f32_e32 v9, v37, v9
	v_fmac_f32_e32 v9, v38, v8
	ds_read_b128 v[35:38], v18 offset:144
	ds_read2_b64 v[39:42], v29 offset0:64 offset1:96
	s_waitcnt lgkmcnt(2)
	v_mul_f32_e32 v8, v32, v3
	v_add_f32_e32 v6, v6, v13
	v_fma_f32 v8, v31, v2, -v8
	v_mul_f32_e32 v3, v31, v3
	v_add_f32_e32 v7, v7, v9
	v_fmac_f32_e32 v3, v32, v2
	v_add_f32_e32 v2, v6, v8
	v_mul_f32_e32 v6, v34, v5
	v_mul_f32_e32 v5, v33, v5
	v_add_f32_e32 v3, v7, v3
	v_fma_f32 v6, v33, v4, -v6
	v_fmac_f32_e32 v5, v34, v4
	s_waitcnt lgkmcnt(0)
	v_mul_f32_e32 v4, v40, v36
	v_add_f32_e32 v2, v2, v6
	v_add_f32_e32 v3, v3, v5
	v_fma_f32 v4, v39, v35, -v4
	v_mul_f32_e32 v5, v39, v36
	v_fmac_f32_e32 v5, v40, v35
	v_add_f32_e32 v13, v2, v4
	v_mul_f32_e32 v2, v42, v38
	v_add_f32_e32 v15, v3, v5
	v_fma_f32 v31, v41, v37, -v2
	ds_read_b128 v[2:5], v18 offset:160
	ds_read2_b64 v[6:9], v29 offset0:128 offset1:160
	v_mul_f32_e32 v32, v41, v38
	v_fmac_f32_e32 v32, v42, v37
	v_add_f32_e32 v13, v13, v31
	v_add_f32_e32 v15, v15, v32
	s_waitcnt lgkmcnt(0)
	v_mul_f32_e32 v35, v7, v3
	v_fma_f32 v37, v6, v2, -v35
	global_load_dwordx2 v[35:36], v[10:11], off
	v_mul_f32_e32 v6, v6, v3
	v_fmac_f32_e32 v6, v7, v2
	v_mul_f32_e32 v2, v9, v5
	v_fma_f32 v7, v8, v4, -v2
	v_mul_f32_e32 v8, v8, v5
	ds_read_b128 v[31:34], v18 offset:176
	v_fmac_f32_e32 v8, v9, v4
	ds_read2_b64 v[2:5], v29 offset0:192 offset1:224
	v_add_f32_e32 v6, v15, v6
	v_add_f32_e32 v9, v13, v37
	;; [unrolled: 1-line block ×4, first 2 shown]
	s_waitcnt lgkmcnt(0)
	v_mul_f32_e32 v6, v3, v32
	v_fma_f32 v6, v2, v31, -v6
	v_mul_f32_e32 v15, v2, v32
	v_mul_f32_e32 v2, v5, v34
	;; [unrolled: 1-line block ×3, first 2 shown]
	v_fmac_f32_e32 v15, v3, v31
	v_add_f32_e32 v31, v7, v6
	v_fma_f32 v32, v4, v33, -v2
	v_fmac_f32_e32 v34, v5, v33
	ds_read_b128 v[2:5], v18 offset:192
	ds_read2_b64 v[6:9], v30 offset1:32
	v_add_f32_e32 v13, v13, v15
	v_add_f32_e32 v15, v31, v32
	;; [unrolled: 1-line block ×3, first 2 shown]
	ds_read_b128 v[31:34], v18 offset:208
	s_waitcnt lgkmcnt(1)
	v_mul_f32_e32 v37, v7, v3
	v_fma_f32 v37, v6, v2, -v37
	v_mul_f32_e32 v6, v6, v3
	v_fmac_f32_e32 v6, v7, v2
	v_mul_f32_e32 v2, v9, v5
	v_fma_f32 v7, v8, v4, -v2
	v_mul_f32_e32 v8, v8, v5
	v_fmac_f32_e32 v8, v9, v4
	ds_read2_b64 v[2:5], v30 offset0:64 offset1:96
	v_add_f32_e32 v6, v13, v6
	v_add_f32_e32 v9, v15, v37
	;; [unrolled: 1-line block ×4, first 2 shown]
	s_waitcnt lgkmcnt(0)
	v_mul_f32_e32 v6, v3, v32
	v_fma_f32 v6, v2, v31, -v6
	v_mul_f32_e32 v15, v2, v32
	v_mul_f32_e32 v2, v5, v34
	;; [unrolled: 1-line block ×3, first 2 shown]
	v_fmac_f32_e32 v15, v3, v31
	v_add_f32_e32 v31, v7, v6
	v_fma_f32 v32, v4, v33, -v2
	v_fmac_f32_e32 v34, v5, v33
	ds_read_b128 v[2:5], v18 offset:224
	ds_read2_b64 v[6:9], v30 offset0:128 offset1:160
	v_add_f32_e32 v13, v13, v15
	v_add_f32_e32 v15, v31, v32
	;; [unrolled: 1-line block ×3, first 2 shown]
	ds_read_b128 v[31:34], v18 offset:240
	s_waitcnt lgkmcnt(1)
	v_mul_f32_e32 v37, v7, v3
	v_fma_f32 v37, v6, v2, -v37
	v_mul_f32_e32 v6, v6, v3
	v_fmac_f32_e32 v6, v7, v2
	v_mul_f32_e32 v2, v9, v5
	v_fma_f32 v7, v8, v4, -v2
	v_mul_f32_e32 v8, v8, v5
	v_fmac_f32_e32 v8, v9, v4
	ds_read2_b64 v[2:5], v30 offset0:192 offset1:224
	v_add_f32_e32 v6, v13, v6
	v_add_f32_e32 v6, v6, v8
	;; [unrolled: 1-line block ×4, first 2 shown]
	s_waitcnt lgkmcnt(0)
	v_mul_f32_e32 v8, v3, v32
	v_fma_f32 v8, v2, v31, -v8
	v_mul_f32_e32 v2, v2, v32
	v_fmac_f32_e32 v2, v3, v31
	v_add_f32_e32 v2, v6, v2
	v_mul_f32_e32 v6, v5, v34
	v_fma_f32 v6, v4, v33, -v6
	v_mul_f32_e32 v4, v4, v34
	v_fmac_f32_e32 v4, v5, v33
	v_add_f32_e32 v3, v7, v8
	v_add_f32_e32 v2, v2, v4
	;; [unrolled: 1-line block ×3, first 2 shown]
	v_mul_f32_e32 v4, s16, v2
	v_mul_f32_e32 v5, s15, v2
	v_fma_f32 v4, s15, v3, -v4
	v_fmac_f32_e32 v5, s16, v3
	s_waitcnt vmcnt(0)
	v_add_f32_e32 v2, v35, v4
	v_add_f32_e32 v3, v36, v5
	global_store_dwordx2 v[10:11], v[2:3], off
.LBB1905_11:                            ;   in Loop: Header=BB1905_5 Depth=1
	s_or_b64 exec, exec, s[2:3]
	v_mov_b32_e32 v3, 0
	v_mov_b32_e32 v5, 0
	;; [unrolled: 1-line block ×3, first 2 shown]
	s_waitcnt vmcnt(0)
	s_barrier
	s_and_saveexec_b64 s[10:11], s[6:7]
	s_cbranch_execz .LBB1905_13
; %bb.12:                               ;   in Loop: Header=BB1905_5 Depth=1
	v_ashrrev_i32_e32 v13, 31, v12
	v_lshlrev_b64 v[4:5], 3, v[12:13]
	v_add_co_u32_e64 v4, s[2:3], v24, v4
	v_addc_co_u32_e64 v5, s[2:3], v25, v5, s[2:3]
	global_load_dwordx2 v[4:5], v[4:5], off
.LBB1905_13:                            ;   in Loop: Header=BB1905_5 Depth=1
	s_or_b64 exec, exec, s[10:11]
	v_mov_b32_e32 v2, 0
	s_waitcnt vmcnt(0)
	ds_write_b64 v19, v[4:5]
	s_and_saveexec_b64 s[6:7], s[8:9]
	s_cbranch_execz .LBB1905_15
; %bb.14:                               ;   in Loop: Header=BB1905_5 Depth=1
	v_ashrrev_i32_e32 v15, 31, v14
	v_lshlrev_b64 v[2:3], 3, v[14:15]
	v_add_co_u32_e64 v2, s[2:3], v26, v2
	v_addc_co_u32_e64 v3, s[2:3], v27, v3, s[2:3]
	global_load_dwordx2 v[2:3], v[2:3], off
.LBB1905_15:                            ;   in Loop: Header=BB1905_5 Depth=1
	s_or_b64 exec, exec, s[6:7]
	s_waitcnt vmcnt(0)
	ds_write_b64 v23, v[2:3]
	s_waitcnt lgkmcnt(0)
	s_barrier
	s_and_saveexec_b64 s[2:3], s[4:5]
	s_cbranch_execz .LBB1905_4
; %bb.16:                               ;   in Loop: Header=BB1905_5 Depth=1
	ds_read2_b64 v[2:5], v22 offset1:32
	ds_read_b128 v[6:9], v18
	ds_read_b128 v[12:15], v18 offset:16
	s_waitcnt lgkmcnt(1)
	v_mul_f32_e32 v31, v3, v7
	v_mul_f32_e32 v35, v2, v7
	v_fma_f32 v36, v2, v6, -v31
	v_mul_f32_e32 v2, v5, v9
	v_mul_f32_e32 v38, v4, v9
	v_fmac_f32_e32 v35, v3, v6
	v_fma_f32 v37, v4, v8, -v2
	v_fmac_f32_e32 v38, v5, v8
	ds_read_b128 v[2:5], v18 offset:32
	ds_read_b128 v[6:9], v18 offset:48
	ds_read2_b64 v[31:34], v22 offset0:64 offset1:96
	v_add_f32_e32 v36, 0, v36
	v_add_f32_e32 v36, v36, v37
	;; [unrolled: 1-line block ×4, first 2 shown]
	s_waitcnt lgkmcnt(0)
	v_mul_f32_e32 v37, v32, v13
	v_fma_f32 v37, v31, v12, -v37
	v_mul_f32_e32 v31, v31, v13
	v_fmac_f32_e32 v31, v32, v12
	v_mul_f32_e32 v12, v34, v15
	v_fma_f32 v32, v33, v14, -v12
	v_mul_f32_e32 v33, v33, v15
	v_fmac_f32_e32 v33, v34, v14
	ds_read2_b64 v[12:15], v22 offset0:128 offset1:160
	v_add_f32_e32 v31, v35, v31
	v_add_f32_e32 v34, v36, v37
	;; [unrolled: 1-line block ×4, first 2 shown]
	s_waitcnt lgkmcnt(0)
	v_mul_f32_e32 v33, v13, v3
	v_mul_f32_e32 v3, v12, v3
	v_fma_f32 v33, v12, v2, -v33
	v_fmac_f32_e32 v3, v13, v2
	v_add_f32_e32 v2, v32, v33
	v_add_f32_e32 v3, v31, v3
	ds_read2_b64 v[31:34], v22 offset0:192 offset1:224
	v_mul_f32_e32 v12, v15, v5
	v_mul_f32_e32 v5, v14, v5
	v_fma_f32 v12, v14, v4, -v12
	v_fmac_f32_e32 v5, v15, v4
	s_waitcnt lgkmcnt(0)
	v_mul_f32_e32 v4, v32, v7
	v_add_f32_e32 v2, v2, v12
	v_add_f32_e32 v3, v3, v5
	v_fma_f32 v4, v31, v6, -v4
	v_mul_f32_e32 v5, v31, v7
	v_fmac_f32_e32 v5, v32, v6
	v_add_f32_e32 v6, v2, v4
	v_mul_f32_e32 v2, v34, v9
	v_add_f32_e32 v7, v3, v5
	v_fma_f32 v31, v33, v8, -v2
	ds_read_b128 v[2:5], v18 offset:64
	ds_read2_b64 v[12:15], v28 offset1:32
	v_mul_f32_e32 v9, v33, v9
	v_fmac_f32_e32 v9, v34, v8
	v_add_f32_e32 v31, v6, v31
	v_add_f32_e32 v32, v7, v9
	s_waitcnt lgkmcnt(0)
	v_mul_f32_e32 v33, v13, v3
	v_mul_f32_e32 v3, v12, v3
	v_fma_f32 v33, v12, v2, -v33
	v_fmac_f32_e32 v3, v13, v2
	ds_read_b128 v[6:9], v18 offset:80
	v_add_f32_e32 v2, v31, v33
	v_add_f32_e32 v3, v32, v3
	ds_read2_b64 v[31:34], v28 offset0:64 offset1:96
	v_mul_f32_e32 v12, v15, v5
	v_mul_f32_e32 v5, v14, v5
	v_fma_f32 v12, v14, v4, -v12
	v_fmac_f32_e32 v5, v15, v4
	s_waitcnt lgkmcnt(0)
	v_mul_f32_e32 v4, v32, v7
	v_add_f32_e32 v2, v2, v12
	v_add_f32_e32 v3, v3, v5
	v_fma_f32 v4, v31, v6, -v4
	v_mul_f32_e32 v5, v31, v7
	v_fmac_f32_e32 v5, v32, v6
	v_add_f32_e32 v6, v2, v4
	v_mul_f32_e32 v2, v34, v9
	v_add_f32_e32 v7, v3, v5
	v_fma_f32 v31, v33, v8, -v2
	ds_read_b128 v[2:5], v18 offset:96
	ds_read2_b64 v[12:15], v28 offset0:128 offset1:160
	v_mul_f32_e32 v9, v33, v9
	v_fmac_f32_e32 v9, v34, v8
	v_add_f32_e32 v31, v6, v31
	v_add_f32_e32 v32, v7, v9
	s_waitcnt lgkmcnt(0)
	v_mul_f32_e32 v33, v13, v3
	v_mul_f32_e32 v3, v12, v3
	v_fma_f32 v33, v12, v2, -v33
	v_fmac_f32_e32 v3, v13, v2
	ds_read_b128 v[6:9], v18 offset:112
	v_add_f32_e32 v2, v31, v33
	v_add_f32_e32 v3, v32, v3
	ds_read2_b64 v[31:34], v28 offset0:192 offset1:224
	v_mul_f32_e32 v12, v15, v5
	v_mul_f32_e32 v5, v14, v5
	v_fma_f32 v12, v14, v4, -v12
	v_fmac_f32_e32 v5, v15, v4
	s_waitcnt lgkmcnt(0)
	v_mul_f32_e32 v4, v32, v7
	v_add_f32_e32 v2, v2, v12
	v_add_f32_e32 v3, v3, v5
	v_fma_f32 v4, v31, v6, -v4
	v_mul_f32_e32 v5, v31, v7
	v_fmac_f32_e32 v5, v32, v6
	v_add_f32_e32 v6, v2, v4
	v_mul_f32_e32 v2, v34, v9
	v_add_f32_e32 v7, v3, v5
	v_fma_f32 v31, v33, v8, -v2
	ds_read_b128 v[2:5], v18 offset:128
	ds_read2_b64 v[12:15], v29 offset1:32
	v_mul_f32_e32 v9, v33, v9
	v_fmac_f32_e32 v9, v34, v8
	v_add_f32_e32 v6, v6, v31
	ds_read_b128 v[31:34], v18 offset:144
	ds_read2_b64 v[35:38], v29 offset0:64 offset1:96
	s_waitcnt lgkmcnt(2)
	v_mul_f32_e32 v8, v13, v3
	v_fma_f32 v8, v12, v2, -v8
	v_mul_f32_e32 v3, v12, v3
	v_add_f32_e32 v7, v7, v9
	v_fmac_f32_e32 v3, v13, v2
	v_add_f32_e32 v2, v6, v8
	v_mul_f32_e32 v6, v15, v5
	v_mul_f32_e32 v5, v14, v5
	v_add_f32_e32 v3, v7, v3
	v_fma_f32 v6, v14, v4, -v6
	v_fmac_f32_e32 v5, v15, v4
	s_waitcnt lgkmcnt(0)
	v_mul_f32_e32 v4, v36, v32
	v_add_f32_e32 v2, v2, v6
	v_add_f32_e32 v3, v3, v5
	v_fma_f32 v4, v35, v31, -v4
	v_mul_f32_e32 v5, v35, v32
	v_fmac_f32_e32 v5, v36, v31
	v_add_f32_e32 v12, v2, v4
	v_mul_f32_e32 v2, v38, v34
	v_add_f32_e32 v13, v3, v5
	v_fma_f32 v14, v37, v33, -v2
	ds_read_b128 v[2:5], v18 offset:160
	ds_read2_b64 v[6:9], v29 offset0:128 offset1:160
	global_load_dwordx2 v[35:36], v[10:11], off
	v_mul_f32_e32 v15, v37, v34
	v_fmac_f32_e32 v15, v38, v33
	v_add_f32_e32 v31, v12, v14
	s_waitcnt lgkmcnt(0)
	v_mul_f32_e32 v33, v7, v3
	v_mul_f32_e32 v3, v6, v3
	v_add_f32_e32 v32, v13, v15
	v_fma_f32 v33, v6, v2, -v33
	v_fmac_f32_e32 v3, v7, v2
	ds_read_b128 v[12:15], v18 offset:176
	v_add_f32_e32 v2, v31, v33
	v_add_f32_e32 v3, v32, v3
	ds_read2_b64 v[31:34], v29 offset0:192 offset1:224
	v_mul_f32_e32 v6, v9, v5
	v_mul_f32_e32 v5, v8, v5
	v_fma_f32 v6, v8, v4, -v6
	v_fmac_f32_e32 v5, v9, v4
	s_waitcnt lgkmcnt(0)
	v_mul_f32_e32 v4, v32, v13
	v_add_f32_e32 v2, v2, v6
	v_add_f32_e32 v3, v3, v5
	v_fma_f32 v4, v31, v12, -v4
	v_mul_f32_e32 v5, v31, v13
	v_fmac_f32_e32 v5, v32, v12
	v_add_f32_e32 v12, v2, v4
	v_mul_f32_e32 v2, v34, v15
	v_add_f32_e32 v13, v3, v5
	v_fma_f32 v31, v33, v14, -v2
	ds_read_b128 v[2:5], v18 offset:192
	ds_read2_b64 v[6:9], v30 offset1:32
	v_mul_f32_e32 v15, v33, v15
	v_fmac_f32_e32 v15, v34, v14
	v_add_f32_e32 v31, v12, v31
	v_add_f32_e32 v32, v13, v15
	s_waitcnt lgkmcnt(0)
	v_mul_f32_e32 v33, v7, v3
	v_mul_f32_e32 v3, v6, v3
	v_fma_f32 v33, v6, v2, -v33
	v_fmac_f32_e32 v3, v7, v2
	ds_read_b128 v[12:15], v18 offset:208
	v_add_f32_e32 v2, v31, v33
	v_add_f32_e32 v3, v32, v3
	ds_read2_b64 v[31:34], v30 offset0:64 offset1:96
	v_mul_f32_e32 v6, v9, v5
	v_mul_f32_e32 v5, v8, v5
	v_fma_f32 v6, v8, v4, -v6
	v_fmac_f32_e32 v5, v9, v4
	s_waitcnt lgkmcnt(0)
	v_mul_f32_e32 v4, v32, v13
	v_add_f32_e32 v2, v2, v6
	v_add_f32_e32 v3, v3, v5
	v_fma_f32 v4, v31, v12, -v4
	v_mul_f32_e32 v5, v31, v13
	v_fmac_f32_e32 v5, v32, v12
	v_add_f32_e32 v12, v2, v4
	v_mul_f32_e32 v2, v34, v15
	v_add_f32_e32 v13, v3, v5
	v_fma_f32 v31, v33, v14, -v2
	ds_read_b128 v[2:5], v18 offset:224
	ds_read2_b64 v[6:9], v30 offset0:128 offset1:160
	v_mul_f32_e32 v15, v33, v15
	v_fmac_f32_e32 v15, v34, v14
	v_add_f32_e32 v31, v12, v31
	v_add_f32_e32 v32, v13, v15
	s_waitcnt lgkmcnt(0)
	v_mul_f32_e32 v33, v7, v3
	v_mul_f32_e32 v3, v6, v3
	v_fma_f32 v33, v6, v2, -v33
	v_fmac_f32_e32 v3, v7, v2
	ds_read_b128 v[12:15], v18 offset:240
	v_add_f32_e32 v2, v31, v33
	v_add_f32_e32 v3, v32, v3
	ds_read2_b64 v[31:34], v30 offset0:192 offset1:224
	v_mul_f32_e32 v6, v9, v5
	v_mul_f32_e32 v5, v8, v5
	v_fmac_f32_e32 v5, v9, v4
	v_fma_f32 v6, v8, v4, -v6
	v_add_f32_e32 v3, v3, v5
	s_waitcnt lgkmcnt(0)
	v_mul_f32_e32 v4, v32, v13
	v_mul_f32_e32 v5, v31, v13
	v_add_f32_e32 v2, v2, v6
	v_fma_f32 v4, v31, v12, -v4
	v_fmac_f32_e32 v5, v32, v12
	v_add_f32_e32 v2, v2, v4
	v_add_f32_e32 v3, v3, v5
	v_mul_f32_e32 v4, v34, v15
	v_mul_f32_e32 v5, v33, v15
	v_fma_f32 v4, v33, v14, -v4
	v_fmac_f32_e32 v5, v34, v14
	v_add_f32_e32 v2, v2, v4
	v_add_f32_e32 v3, v3, v5
	v_mul_f32_e32 v4, s16, v3
	v_mul_f32_e32 v5, s16, v2
	v_fma_f32 v4, s15, v2, -v4
	v_fmac_f32_e32 v5, s15, v3
	s_waitcnt vmcnt(0)
	v_add_f32_e32 v2, v35, v4
	v_add_f32_e32 v3, v36, v5
	global_store_dwordx2 v[10:11], v[2:3], off
	s_branch .LBB1905_4
.LBB1905_17:
	s_endpgm
	.section	.rodata,"a",@progbits
	.p2align	6, 0x0
	.amdhsa_kernel _ZL26rocblas_syr2k_her2k_kernelIiLb1ELb0ELb1ELi32E19rocblas_complex_numIfEPKS1_PS1_EvbiT_T4_T5_S5_lS7_S5_lT6_S5_li
		.amdhsa_group_segment_fixed_size 16384
		.amdhsa_private_segment_fixed_size 0
		.amdhsa_kernarg_size 100
		.amdhsa_user_sgpr_count 6
		.amdhsa_user_sgpr_private_segment_buffer 1
		.amdhsa_user_sgpr_dispatch_ptr 0
		.amdhsa_user_sgpr_queue_ptr 0
		.amdhsa_user_sgpr_kernarg_segment_ptr 1
		.amdhsa_user_sgpr_dispatch_id 0
		.amdhsa_user_sgpr_flat_scratch_init 0
		.amdhsa_user_sgpr_private_segment_size 0
		.amdhsa_uses_dynamic_stack 0
		.amdhsa_system_sgpr_private_segment_wavefront_offset 0
		.amdhsa_system_sgpr_workgroup_id_x 1
		.amdhsa_system_sgpr_workgroup_id_y 1
		.amdhsa_system_sgpr_workgroup_id_z 1
		.amdhsa_system_sgpr_workgroup_info 0
		.amdhsa_system_vgpr_workitem_id 1
		.amdhsa_next_free_vgpr 43
		.amdhsa_next_free_sgpr 61
		.amdhsa_reserve_vcc 1
		.amdhsa_reserve_flat_scratch 0
		.amdhsa_float_round_mode_32 0
		.amdhsa_float_round_mode_16_64 0
		.amdhsa_float_denorm_mode_32 3
		.amdhsa_float_denorm_mode_16_64 3
		.amdhsa_dx10_clamp 1
		.amdhsa_ieee_mode 1
		.amdhsa_fp16_overflow 0
		.amdhsa_exception_fp_ieee_invalid_op 0
		.amdhsa_exception_fp_denorm_src 0
		.amdhsa_exception_fp_ieee_div_zero 0
		.amdhsa_exception_fp_ieee_overflow 0
		.amdhsa_exception_fp_ieee_underflow 0
		.amdhsa_exception_fp_ieee_inexact 0
		.amdhsa_exception_int_div_zero 0
	.end_amdhsa_kernel
	.section	.text._ZL26rocblas_syr2k_her2k_kernelIiLb1ELb0ELb1ELi32E19rocblas_complex_numIfEPKS1_PS1_EvbiT_T4_T5_S5_lS7_S5_lT6_S5_li,"axG",@progbits,_ZL26rocblas_syr2k_her2k_kernelIiLb1ELb0ELb1ELi32E19rocblas_complex_numIfEPKS1_PS1_EvbiT_T4_T5_S5_lS7_S5_lT6_S5_li,comdat
.Lfunc_end1905:
	.size	_ZL26rocblas_syr2k_her2k_kernelIiLb1ELb0ELb1ELi32E19rocblas_complex_numIfEPKS1_PS1_EvbiT_T4_T5_S5_lS7_S5_lT6_S5_li, .Lfunc_end1905-_ZL26rocblas_syr2k_her2k_kernelIiLb1ELb0ELb1ELi32E19rocblas_complex_numIfEPKS1_PS1_EvbiT_T4_T5_S5_lS7_S5_lT6_S5_li
                                        ; -- End function
	.set _ZL26rocblas_syr2k_her2k_kernelIiLb1ELb0ELb1ELi32E19rocblas_complex_numIfEPKS1_PS1_EvbiT_T4_T5_S5_lS7_S5_lT6_S5_li.num_vgpr, 43
	.set _ZL26rocblas_syr2k_her2k_kernelIiLb1ELb0ELb1ELi32E19rocblas_complex_numIfEPKS1_PS1_EvbiT_T4_T5_S5_lS7_S5_lT6_S5_li.num_agpr, 0
	.set _ZL26rocblas_syr2k_her2k_kernelIiLb1ELb0ELb1ELi32E19rocblas_complex_numIfEPKS1_PS1_EvbiT_T4_T5_S5_lS7_S5_lT6_S5_li.numbered_sgpr, 28
	.set _ZL26rocblas_syr2k_her2k_kernelIiLb1ELb0ELb1ELi32E19rocblas_complex_numIfEPKS1_PS1_EvbiT_T4_T5_S5_lS7_S5_lT6_S5_li.num_named_barrier, 0
	.set _ZL26rocblas_syr2k_her2k_kernelIiLb1ELb0ELb1ELi32E19rocblas_complex_numIfEPKS1_PS1_EvbiT_T4_T5_S5_lS7_S5_lT6_S5_li.private_seg_size, 0
	.set _ZL26rocblas_syr2k_her2k_kernelIiLb1ELb0ELb1ELi32E19rocblas_complex_numIfEPKS1_PS1_EvbiT_T4_T5_S5_lS7_S5_lT6_S5_li.uses_vcc, 1
	.set _ZL26rocblas_syr2k_her2k_kernelIiLb1ELb0ELb1ELi32E19rocblas_complex_numIfEPKS1_PS1_EvbiT_T4_T5_S5_lS7_S5_lT6_S5_li.uses_flat_scratch, 0
	.set _ZL26rocblas_syr2k_her2k_kernelIiLb1ELb0ELb1ELi32E19rocblas_complex_numIfEPKS1_PS1_EvbiT_T4_T5_S5_lS7_S5_lT6_S5_li.has_dyn_sized_stack, 0
	.set _ZL26rocblas_syr2k_her2k_kernelIiLb1ELb0ELb1ELi32E19rocblas_complex_numIfEPKS1_PS1_EvbiT_T4_T5_S5_lS7_S5_lT6_S5_li.has_recursion, 0
	.set _ZL26rocblas_syr2k_her2k_kernelIiLb1ELb0ELb1ELi32E19rocblas_complex_numIfEPKS1_PS1_EvbiT_T4_T5_S5_lS7_S5_lT6_S5_li.has_indirect_call, 0
	.section	.AMDGPU.csdata,"",@progbits
; Kernel info:
; codeLenInByte = 3456
; TotalNumSgprs: 32
; NumVgprs: 43
; ScratchSize: 0
; MemoryBound: 0
; FloatMode: 240
; IeeeMode: 1
; LDSByteSize: 16384 bytes/workgroup (compile time only)
; SGPRBlocks: 8
; VGPRBlocks: 10
; NumSGPRsForWavesPerEU: 65
; NumVGPRsForWavesPerEU: 43
; Occupancy: 5
; WaveLimiterHint : 0
; COMPUTE_PGM_RSRC2:SCRATCH_EN: 0
; COMPUTE_PGM_RSRC2:USER_SGPR: 6
; COMPUTE_PGM_RSRC2:TRAP_HANDLER: 0
; COMPUTE_PGM_RSRC2:TGID_X_EN: 1
; COMPUTE_PGM_RSRC2:TGID_Y_EN: 1
; COMPUTE_PGM_RSRC2:TGID_Z_EN: 1
; COMPUTE_PGM_RSRC2:TIDIG_COMP_CNT: 1
	.section	.text._ZL26rocblas_syr2k_her2k_kernelIiLb1ELb0ELb0ELi32EPK19rocblas_complex_numIfES3_PS1_EvbiT_T4_T5_S5_lS7_S5_lT6_S5_li,"axG",@progbits,_ZL26rocblas_syr2k_her2k_kernelIiLb1ELb0ELb0ELi32EPK19rocblas_complex_numIfES3_PS1_EvbiT_T4_T5_S5_lS7_S5_lT6_S5_li,comdat
	.globl	_ZL26rocblas_syr2k_her2k_kernelIiLb1ELb0ELb0ELi32EPK19rocblas_complex_numIfES3_PS1_EvbiT_T4_T5_S5_lS7_S5_lT6_S5_li ; -- Begin function _ZL26rocblas_syr2k_her2k_kernelIiLb1ELb0ELb0ELi32EPK19rocblas_complex_numIfES3_PS1_EvbiT_T4_T5_S5_lS7_S5_lT6_S5_li
	.p2align	8
	.type	_ZL26rocblas_syr2k_her2k_kernelIiLb1ELb0ELb0ELi32EPK19rocblas_complex_numIfES3_PS1_EvbiT_T4_T5_S5_lS7_S5_lT6_S5_li,@function
_ZL26rocblas_syr2k_her2k_kernelIiLb1ELb0ELb0ELi32EPK19rocblas_complex_numIfES3_PS1_EvbiT_T4_T5_S5_lS7_S5_lT6_S5_li: ; @_ZL26rocblas_syr2k_her2k_kernelIiLb1ELb0ELb0ELi32EPK19rocblas_complex_numIfES3_PS1_EvbiT_T4_T5_S5_lS7_S5_lT6_S5_li
; %bb.0:
	s_load_dwordx4 s[0:3], s[4:5], 0x10
	s_waitcnt lgkmcnt(0)
	s_load_dwordx2 s[10:11], s[0:1], 0x0
	s_waitcnt lgkmcnt(0)
	v_cmp_eq_f32_e64 s[0:1], s10, 0
	v_cmp_eq_f32_e64 s[12:13], s11, 0
	s_and_b64 s[0:1], s[0:1], s[12:13]
	s_and_b64 vcc, exec, s[0:1]
	s_cbranch_vccnz .LBB1906_17
; %bb.1:
	s_load_dwordx4 s[12:15], s[4:5], 0x0
	s_lshl_b32 s0, s7, 5
	s_lshl_b32 s1, s6, 5
	s_waitcnt lgkmcnt(0)
	s_and_b32 s6, 1, s12
	s_cmp_eq_u32 s6, 1
	s_cselect_b64 vcc, -1, 0
	s_and_b64 s[6:7], vcc, exec
	s_cselect_b32 s6, s1, s0
	s_cselect_b32 s7, s0, s1
	s_cmp_gt_i32 s6, s7
	s_cbranch_scc1 .LBB1906_17
; %bb.2:
	s_cmp_lt_i32 s14, 1
	s_cbranch_scc1 .LBB1906_17
; %bb.3:
	s_load_dword s15, s[4:5], 0x20
	s_load_dwordx4 s[20:23], s[4:5], 0x28
	s_load_dword s16, s[4:5], 0x38
	s_load_dwordx4 s[24:27], s[4:5], 0x40
	s_load_dword s9, s[4:5], 0x50
	s_load_dwordx2 s[6:7], s[4:5], 0x58
	s_waitcnt lgkmcnt(0)
	s_mul_i32 s4, s21, s8
	s_mul_hi_u32 s5, s20, s8
	s_add_i32 s5, s5, s4
	s_mul_i32 s4, s20, s8
	s_lshl_b64 s[4:5], s[4:5], 3
	s_add_u32 s12, s2, s4
	s_addc_u32 s17, s3, s5
	s_mul_i32 s2, s25, s8
	s_mul_hi_u32 s3, s24, s8
	v_add_u32_e32 v3, s1, v0
	s_add_i32 s3, s3, s2
	s_mul_i32 s2, s24, s8
	v_ashrrev_i32_e32 v4, 31, v3
	s_lshl_b64 s[2:3], s[2:3], 3
	v_lshlrev_b64 v[4:5], 3, v[3:4]
	s_add_u32 s18, s22, s2
	v_add_u32_e32 v2, s0, v1
	s_addc_u32 s19, s23, s3
	s_mul_i32 s2, s7, s8
	s_mul_hi_u32 s3, s6, s8
	v_cndmask_b32_e32 v8, v3, v2, vcc
	v_cndmask_b32_e32 v9, v2, v3, vcc
	v_cmp_gt_i32_e32 vcc, s13, v3
	v_mov_b32_e32 v3, s17
	v_add_co_u32_e64 v12, s[0:1], s12, v4
	s_add_i32 s3, s3, s2
	s_mul_i32 s2, s6, s8
	v_addc_co_u32_e64 v13, s[0:1], v3, v5, s[0:1]
	v_ashrrev_i32_e32 v3, 31, v2
	s_lshl_b64 s[2:3], s[2:3], 3
	v_lshlrev_b64 v[6:7], 3, v[2:3]
	s_add_u32 s6, s26, s2
	s_addc_u32 s7, s27, s3
	v_mov_b32_e32 v3, s19
	v_add_co_u32_e64 v16, s[2:3], s18, v6
	v_cmp_gt_i32_e64 s[0:1], s13, v2
	v_addc_co_u32_e64 v17, s[2:3], v3, v7, s[2:3]
	v_mad_i64_i32 v[2:3], s[2:3], s9, v2, 0
	v_cmp_le_i32_e64 s[2:3], v9, v8
	s_and_b64 s[4:5], s[0:1], vcc
	v_lshlrev_b64 v[2:3], 3, v[2:3]
	s_and_b64 s[4:5], s[4:5], s[2:3]
	v_mov_b32_e32 v8, s7
	v_add_co_u32_e64 v2, s[2:3], s6, v2
	v_lshlrev_b32_e32 v14, 8, v0
	v_lshlrev_b32_e32 v10, 3, v1
	v_addc_co_u32_e64 v3, s[2:3], v8, v3, s[2:3]
	v_add_u32_e32 v15, v14, v10
	v_or_b32_e32 v18, 0x2000, v10
	v_add_co_u32_e64 v10, s[2:3], v2, v4
	v_addc_co_u32_e64 v11, s[2:3], v3, v5, s[2:3]
	v_mov_b32_e32 v2, s19
	v_add_co_u32_e64 v20, s[2:3], s18, v4
	v_addc_co_u32_e64 v21, s[2:3], v2, v5, s[2:3]
	v_mov_b32_e32 v2, s17
	v_add_co_u32_e64 v22, s[2:3], s12, v6
	v_add_u32_e32 v19, v18, v14
	v_addc_co_u32_e64 v23, s[2:3], v2, v7, s[2:3]
	s_mov_b32 s17, 0
	v_add_u32_e32 v24, 0x800, v18
	v_add_u32_e32 v25, 0x1000, v18
	;; [unrolled: 1-line block ×3, first 2 shown]
	s_branch .LBB1906_5
.LBB1906_4:                             ;   in Loop: Header=BB1906_5 Depth=1
	s_or_b64 exec, exec, s[2:3]
	s_add_i32 s17, s17, 32
	s_cmp_lt_i32 s17, s14
	s_waitcnt vmcnt(0)
	s_barrier
	s_cbranch_scc0 .LBB1906_17
.LBB1906_5:                             ; =>This Inner Loop Header: Depth=1
	v_add_u32_e32 v27, s17, v1
	v_cmp_gt_i32_e64 s[2:3], s14, v27
	s_and_b64 s[6:7], vcc, s[2:3]
	v_mov_b32_e32 v2, 0
	v_mov_b32_e32 v3, 0
	;; [unrolled: 1-line block ×3, first 2 shown]
	s_and_saveexec_b64 s[8:9], s[6:7]
	s_cbranch_execz .LBB1906_7
; %bb.6:                                ;   in Loop: Header=BB1906_5 Depth=1
	v_mad_i64_i32 v[3:4], s[2:3], v27, s15, 0
	v_lshlrev_b64 v[3:4], 3, v[3:4]
	v_add_co_u32_e64 v3, s[2:3], v12, v3
	v_addc_co_u32_e64 v4, s[2:3], v13, v4, s[2:3]
	global_load_dwordx2 v[3:4], v[3:4], off
.LBB1906_7:                             ;   in Loop: Header=BB1906_5 Depth=1
	s_or_b64 exec, exec, s[8:9]
	v_add_u32_e32 v28, s17, v0
	v_cmp_gt_i32_e64 s[2:3], s14, v28
	s_waitcnt vmcnt(0)
	ds_write_b64 v15, v[3:4]
	s_and_b64 s[8:9], s[0:1], s[2:3]
	v_mov_b32_e32 v3, 0
	s_and_saveexec_b64 s[12:13], s[8:9]
	s_cbranch_execz .LBB1906_9
; %bb.8:                                ;   in Loop: Header=BB1906_5 Depth=1
	v_mad_i64_i32 v[2:3], s[2:3], v28, s16, 0
	v_lshlrev_b64 v[2:3], 3, v[2:3]
	v_add_co_u32_e64 v2, s[2:3], v16, v2
	v_addc_co_u32_e64 v3, s[2:3], v17, v3, s[2:3]
	global_load_dwordx2 v[2:3], v[2:3], off
.LBB1906_9:                             ;   in Loop: Header=BB1906_5 Depth=1
	s_or_b64 exec, exec, s[12:13]
	s_waitcnt vmcnt(0)
	ds_write_b64 v19, v[2:3]
	s_waitcnt lgkmcnt(0)
	s_barrier
	s_and_saveexec_b64 s[2:3], s[4:5]
	s_cbranch_execz .LBB1906_11
; %bb.10:                               ;   in Loop: Header=BB1906_5 Depth=1
	ds_read2_b64 v[2:5], v18 offset1:32
	ds_read_b128 v[6:9], v14
	ds_read_b128 v[29:32], v14 offset:16
	s_waitcnt lgkmcnt(1)
	v_mul_f32_e32 v33, v3, v7
	v_fma_f32 v38, v2, v6, -v33
	ds_read2_b64 v[33:36], v18 offset0:64 offset1:96
	v_mul_f32_e32 v37, v2, v7
	v_mul_f32_e32 v2, v5, v9
	v_fma_f32 v39, v4, v8, -v2
	v_fmac_f32_e32 v37, v3, v6
	s_waitcnt lgkmcnt(0)
	v_mul_f32_e32 v2, v34, v30
	v_mul_f32_e32 v40, v4, v9
	v_fma_f32 v41, v33, v29, -v2
	v_mul_f32_e32 v33, v33, v30
	v_mul_f32_e32 v2, v36, v32
	v_fmac_f32_e32 v40, v5, v8
	v_fmac_f32_e32 v33, v34, v29
	v_fma_f32 v34, v35, v31, -v2
	v_mul_f32_e32 v35, v35, v32
	v_add_f32_e32 v29, 0, v38
	v_add_f32_e32 v30, 0, v37
	v_fmac_f32_e32 v35, v36, v31
	ds_read_b128 v[2:5], v14 offset:32
	ds_read_b128 v[6:9], v14 offset:48
	v_add_f32_e32 v36, v29, v39
	v_add_f32_e32 v37, v30, v40
	ds_read2_b64 v[29:32], v18 offset0:128 offset1:160
	v_add_f32_e32 v33, v37, v33
	v_add_f32_e32 v36, v36, v41
	;; [unrolled: 1-line block ×4, first 2 shown]
	s_waitcnt lgkmcnt(0)
	v_mul_f32_e32 v35, v30, v3
	v_mul_f32_e32 v3, v29, v3
	v_fma_f32 v35, v29, v2, -v35
	v_fmac_f32_e32 v3, v30, v2
	v_add_f32_e32 v2, v34, v35
	v_add_f32_e32 v3, v33, v3
	ds_read2_b64 v[33:36], v18 offset0:192 offset1:224
	v_mul_f32_e32 v29, v32, v5
	v_mul_f32_e32 v5, v31, v5
	v_fma_f32 v29, v31, v4, -v29
	v_fmac_f32_e32 v5, v32, v4
	s_waitcnt lgkmcnt(0)
	v_mul_f32_e32 v4, v34, v7
	v_add_f32_e32 v2, v2, v29
	v_add_f32_e32 v3, v3, v5
	v_fma_f32 v4, v33, v6, -v4
	v_mul_f32_e32 v5, v33, v7
	v_fmac_f32_e32 v5, v34, v6
	v_add_f32_e32 v6, v2, v4
	v_mul_f32_e32 v2, v36, v9
	v_add_f32_e32 v7, v3, v5
	v_fma_f32 v33, v35, v8, -v2
	ds_read_b128 v[2:5], v14 offset:64
	ds_read2_b64 v[29:32], v24 offset1:32
	v_mul_f32_e32 v9, v35, v9
	v_fmac_f32_e32 v9, v36, v8
	v_add_f32_e32 v33, v6, v33
	v_add_f32_e32 v34, v7, v9
	s_waitcnt lgkmcnt(0)
	v_mul_f32_e32 v35, v30, v3
	v_mul_f32_e32 v3, v29, v3
	v_fma_f32 v35, v29, v2, -v35
	v_fmac_f32_e32 v3, v30, v2
	ds_read_b128 v[6:9], v14 offset:80
	v_add_f32_e32 v2, v33, v35
	v_add_f32_e32 v3, v34, v3
	ds_read2_b64 v[33:36], v24 offset0:64 offset1:96
	v_mul_f32_e32 v29, v32, v5
	v_mul_f32_e32 v5, v31, v5
	v_fma_f32 v29, v31, v4, -v29
	v_fmac_f32_e32 v5, v32, v4
	s_waitcnt lgkmcnt(0)
	v_mul_f32_e32 v4, v34, v7
	v_add_f32_e32 v2, v2, v29
	v_add_f32_e32 v3, v3, v5
	v_fma_f32 v4, v33, v6, -v4
	v_mul_f32_e32 v5, v33, v7
	v_fmac_f32_e32 v5, v34, v6
	v_add_f32_e32 v6, v2, v4
	v_mul_f32_e32 v2, v36, v9
	v_add_f32_e32 v7, v3, v5
	v_fma_f32 v33, v35, v8, -v2
	ds_read_b128 v[2:5], v14 offset:96
	ds_read2_b64 v[29:32], v24 offset0:128 offset1:160
	v_mul_f32_e32 v9, v35, v9
	v_fmac_f32_e32 v9, v36, v8
	v_add_f32_e32 v33, v6, v33
	v_add_f32_e32 v34, v7, v9
	s_waitcnt lgkmcnt(0)
	v_mul_f32_e32 v35, v30, v3
	v_mul_f32_e32 v3, v29, v3
	v_fma_f32 v35, v29, v2, -v35
	v_fmac_f32_e32 v3, v30, v2
	ds_read_b128 v[6:9], v14 offset:112
	v_add_f32_e32 v2, v33, v35
	v_add_f32_e32 v3, v34, v3
	ds_read2_b64 v[33:36], v24 offset0:192 offset1:224
	v_mul_f32_e32 v29, v32, v5
	v_mul_f32_e32 v5, v31, v5
	v_fma_f32 v29, v31, v4, -v29
	v_fmac_f32_e32 v5, v32, v4
	s_waitcnt lgkmcnt(0)
	v_mul_f32_e32 v4, v34, v7
	v_add_f32_e32 v2, v2, v29
	v_add_f32_e32 v3, v3, v5
	v_fma_f32 v4, v33, v6, -v4
	v_mul_f32_e32 v5, v33, v7
	v_fmac_f32_e32 v5, v34, v6
	v_add_f32_e32 v6, v2, v4
	v_mul_f32_e32 v2, v36, v9
	v_add_f32_e32 v7, v3, v5
	v_fma_f32 v33, v35, v8, -v2
	ds_read_b128 v[2:5], v14 offset:128
	ds_read2_b64 v[29:32], v25 offset1:32
	v_mul_f32_e32 v9, v35, v9
	v_fmac_f32_e32 v9, v36, v8
	v_add_f32_e32 v6, v6, v33
	ds_read_b128 v[33:36], v14 offset:144
	ds_read2_b64 v[37:40], v25 offset0:64 offset1:96
	s_waitcnt lgkmcnt(2)
	v_mul_f32_e32 v8, v30, v3
	v_fma_f32 v8, v29, v2, -v8
	v_mul_f32_e32 v3, v29, v3
	v_add_f32_e32 v7, v7, v9
	v_fmac_f32_e32 v3, v30, v2
	v_add_f32_e32 v2, v6, v8
	v_mul_f32_e32 v6, v32, v5
	v_mul_f32_e32 v5, v31, v5
	v_add_f32_e32 v3, v7, v3
	v_fma_f32 v6, v31, v4, -v6
	v_fmac_f32_e32 v5, v32, v4
	s_waitcnt lgkmcnt(0)
	v_mul_f32_e32 v4, v38, v34
	v_add_f32_e32 v2, v2, v6
	v_add_f32_e32 v3, v3, v5
	v_fma_f32 v4, v37, v33, -v4
	v_mul_f32_e32 v5, v37, v34
	v_fmac_f32_e32 v5, v38, v33
	v_add_f32_e32 v29, v2, v4
	v_mul_f32_e32 v2, v40, v36
	v_add_f32_e32 v30, v3, v5
	v_fma_f32 v31, v39, v35, -v2
	ds_read_b128 v[2:5], v14 offset:160
	ds_read2_b64 v[6:9], v25 offset0:128 offset1:160
	v_mul_f32_e32 v32, v39, v36
	v_fmac_f32_e32 v32, v40, v35
	v_add_f32_e32 v35, v29, v31
	v_add_f32_e32 v36, v30, v32
	s_waitcnt lgkmcnt(0)
	v_mul_f32_e32 v33, v7, v3
	v_fma_f32 v37, v6, v2, -v33
	global_load_dwordx2 v[33:34], v[10:11], off
	v_mul_f32_e32 v6, v6, v3
	v_fmac_f32_e32 v6, v7, v2
	v_mul_f32_e32 v2, v9, v5
	v_fma_f32 v7, v8, v4, -v2
	v_mul_f32_e32 v8, v8, v5
	ds_read_b128 v[29:32], v14 offset:176
	v_fmac_f32_e32 v8, v9, v4
	ds_read2_b64 v[2:5], v25 offset0:192 offset1:224
	v_add_f32_e32 v6, v36, v6
	v_add_f32_e32 v9, v35, v37
	;; [unrolled: 1-line block ×4, first 2 shown]
	s_waitcnt lgkmcnt(0)
	v_mul_f32_e32 v6, v3, v30
	v_fma_f32 v6, v2, v29, -v6
	v_mul_f32_e32 v30, v2, v30
	v_mul_f32_e32 v2, v5, v32
	;; [unrolled: 1-line block ×3, first 2 shown]
	v_fmac_f32_e32 v30, v3, v29
	v_add_f32_e32 v29, v7, v6
	v_fma_f32 v36, v4, v31, -v2
	v_fmac_f32_e32 v32, v5, v31
	ds_read_b128 v[2:5], v14 offset:192
	ds_read2_b64 v[6:9], v26 offset1:32
	v_add_f32_e32 v30, v35, v30
	v_add_f32_e32 v35, v29, v36
	;; [unrolled: 1-line block ×3, first 2 shown]
	ds_read_b128 v[29:32], v14 offset:208
	s_waitcnt lgkmcnt(1)
	v_mul_f32_e32 v37, v7, v3
	v_fma_f32 v37, v6, v2, -v37
	v_mul_f32_e32 v6, v6, v3
	v_fmac_f32_e32 v6, v7, v2
	v_mul_f32_e32 v2, v9, v5
	v_fma_f32 v7, v8, v4, -v2
	v_mul_f32_e32 v8, v8, v5
	v_fmac_f32_e32 v8, v9, v4
	ds_read2_b64 v[2:5], v26 offset0:64 offset1:96
	v_add_f32_e32 v6, v36, v6
	v_add_f32_e32 v9, v35, v37
	;; [unrolled: 1-line block ×4, first 2 shown]
	s_waitcnt lgkmcnt(0)
	v_mul_f32_e32 v6, v3, v30
	v_fma_f32 v6, v2, v29, -v6
	v_mul_f32_e32 v30, v2, v30
	v_mul_f32_e32 v2, v5, v32
	;; [unrolled: 1-line block ×3, first 2 shown]
	v_fmac_f32_e32 v30, v3, v29
	v_add_f32_e32 v29, v7, v6
	v_fma_f32 v36, v4, v31, -v2
	v_fmac_f32_e32 v32, v5, v31
	ds_read_b128 v[2:5], v14 offset:224
	ds_read2_b64 v[6:9], v26 offset0:128 offset1:160
	v_add_f32_e32 v30, v35, v30
	v_add_f32_e32 v35, v29, v36
	;; [unrolled: 1-line block ×3, first 2 shown]
	ds_read_b128 v[29:32], v14 offset:240
	s_waitcnt lgkmcnt(1)
	v_mul_f32_e32 v37, v7, v3
	v_fma_f32 v37, v6, v2, -v37
	v_mul_f32_e32 v6, v6, v3
	v_fmac_f32_e32 v6, v7, v2
	v_mul_f32_e32 v2, v9, v5
	v_fma_f32 v7, v8, v4, -v2
	v_mul_f32_e32 v8, v8, v5
	v_fmac_f32_e32 v8, v9, v4
	ds_read2_b64 v[2:5], v26 offset0:192 offset1:224
	v_add_f32_e32 v6, v36, v6
	v_add_f32_e32 v6, v6, v8
	;; [unrolled: 1-line block ×4, first 2 shown]
	s_waitcnt lgkmcnt(0)
	v_mul_f32_e32 v8, v3, v30
	v_fma_f32 v8, v2, v29, -v8
	v_mul_f32_e32 v2, v2, v30
	v_fmac_f32_e32 v2, v3, v29
	v_add_f32_e32 v2, v6, v2
	v_mul_f32_e32 v6, v5, v32
	v_fma_f32 v6, v4, v31, -v6
	v_mul_f32_e32 v4, v4, v32
	v_fmac_f32_e32 v4, v5, v31
	v_add_f32_e32 v3, v7, v8
	v_add_f32_e32 v2, v2, v4
	;; [unrolled: 1-line block ×3, first 2 shown]
	v_mul_f32_e32 v4, s11, v2
	v_mul_f32_e32 v5, s10, v2
	v_fma_f32 v4, s10, v3, -v4
	v_fmac_f32_e32 v5, s11, v3
	s_waitcnt vmcnt(0)
	v_add_f32_e32 v2, v33, v4
	v_add_f32_e32 v3, v34, v5
	global_store_dwordx2 v[10:11], v[2:3], off
.LBB1906_11:                            ;   in Loop: Header=BB1906_5 Depth=1
	s_or_b64 exec, exec, s[2:3]
	v_mov_b32_e32 v3, 0
	v_mov_b32_e32 v5, 0
	;; [unrolled: 1-line block ×3, first 2 shown]
	s_waitcnt vmcnt(0)
	s_barrier
	s_and_saveexec_b64 s[12:13], s[6:7]
	s_cbranch_execz .LBB1906_13
; %bb.12:                               ;   in Loop: Header=BB1906_5 Depth=1
	v_mad_i64_i32 v[4:5], s[2:3], v27, s16, 0
	v_lshlrev_b64 v[4:5], 3, v[4:5]
	v_add_co_u32_e64 v4, s[2:3], v20, v4
	v_addc_co_u32_e64 v5, s[2:3], v21, v5, s[2:3]
	global_load_dwordx2 v[4:5], v[4:5], off
.LBB1906_13:                            ;   in Loop: Header=BB1906_5 Depth=1
	s_or_b64 exec, exec, s[12:13]
	v_mov_b32_e32 v2, 0
	s_waitcnt vmcnt(0)
	ds_write_b64 v15, v[4:5]
	s_and_saveexec_b64 s[6:7], s[8:9]
	s_cbranch_execz .LBB1906_15
; %bb.14:                               ;   in Loop: Header=BB1906_5 Depth=1
	v_mad_i64_i32 v[2:3], s[2:3], v28, s15, 0
	v_lshlrev_b64 v[2:3], 3, v[2:3]
	v_add_co_u32_e64 v2, s[2:3], v22, v2
	v_addc_co_u32_e64 v3, s[2:3], v23, v3, s[2:3]
	global_load_dwordx2 v[2:3], v[2:3], off
.LBB1906_15:                            ;   in Loop: Header=BB1906_5 Depth=1
	s_or_b64 exec, exec, s[6:7]
	s_waitcnt vmcnt(0)
	ds_write_b64 v19, v[2:3]
	s_waitcnt lgkmcnt(0)
	s_barrier
	s_and_saveexec_b64 s[2:3], s[4:5]
	s_cbranch_execz .LBB1906_4
; %bb.16:                               ;   in Loop: Header=BB1906_5 Depth=1
	ds_read2_b64 v[2:5], v18 offset1:32
	ds_read_b128 v[6:9], v14
	ds_read_b128 v[27:30], v14 offset:16
	s_waitcnt lgkmcnt(1)
	v_mul_f32_e32 v31, v3, v7
	v_mul_f32_e32 v35, v2, v7
	v_fma_f32 v36, v2, v6, -v31
	v_mul_f32_e32 v2, v5, v9
	v_mul_f32_e32 v38, v4, v9
	v_fmac_f32_e32 v35, v3, v6
	v_fma_f32 v37, v4, v8, -v2
	v_fmac_f32_e32 v38, v5, v8
	ds_read_b128 v[2:5], v14 offset:32
	ds_read_b128 v[6:9], v14 offset:48
	ds_read2_b64 v[31:34], v18 offset0:64 offset1:96
	v_add_f32_e32 v36, 0, v36
	v_add_f32_e32 v36, v36, v37
	;; [unrolled: 1-line block ×4, first 2 shown]
	s_waitcnt lgkmcnt(0)
	v_mul_f32_e32 v37, v32, v28
	v_fma_f32 v37, v31, v27, -v37
	v_mul_f32_e32 v31, v31, v28
	v_fmac_f32_e32 v31, v32, v27
	v_mul_f32_e32 v27, v34, v30
	v_fma_f32 v32, v33, v29, -v27
	v_mul_f32_e32 v33, v33, v30
	v_fmac_f32_e32 v33, v34, v29
	ds_read2_b64 v[27:30], v18 offset0:128 offset1:160
	v_add_f32_e32 v31, v35, v31
	v_add_f32_e32 v34, v36, v37
	;; [unrolled: 1-line block ×4, first 2 shown]
	s_waitcnt lgkmcnt(0)
	v_mul_f32_e32 v33, v28, v3
	v_mul_f32_e32 v3, v27, v3
	v_fma_f32 v33, v27, v2, -v33
	v_fmac_f32_e32 v3, v28, v2
	v_add_f32_e32 v2, v32, v33
	v_add_f32_e32 v3, v31, v3
	ds_read2_b64 v[31:34], v18 offset0:192 offset1:224
	v_mul_f32_e32 v27, v30, v5
	v_mul_f32_e32 v5, v29, v5
	v_fma_f32 v27, v29, v4, -v27
	v_fmac_f32_e32 v5, v30, v4
	s_waitcnt lgkmcnt(0)
	v_mul_f32_e32 v4, v32, v7
	v_add_f32_e32 v2, v2, v27
	v_add_f32_e32 v3, v3, v5
	v_fma_f32 v4, v31, v6, -v4
	v_mul_f32_e32 v5, v31, v7
	v_fmac_f32_e32 v5, v32, v6
	v_add_f32_e32 v6, v2, v4
	v_mul_f32_e32 v2, v34, v9
	v_add_f32_e32 v7, v3, v5
	v_fma_f32 v31, v33, v8, -v2
	ds_read_b128 v[2:5], v14 offset:64
	ds_read2_b64 v[27:30], v24 offset1:32
	v_mul_f32_e32 v9, v33, v9
	v_fmac_f32_e32 v9, v34, v8
	v_add_f32_e32 v31, v6, v31
	v_add_f32_e32 v32, v7, v9
	s_waitcnt lgkmcnt(0)
	v_mul_f32_e32 v33, v28, v3
	v_mul_f32_e32 v3, v27, v3
	v_fma_f32 v33, v27, v2, -v33
	v_fmac_f32_e32 v3, v28, v2
	ds_read_b128 v[6:9], v14 offset:80
	v_add_f32_e32 v2, v31, v33
	v_add_f32_e32 v3, v32, v3
	ds_read2_b64 v[31:34], v24 offset0:64 offset1:96
	v_mul_f32_e32 v27, v30, v5
	v_mul_f32_e32 v5, v29, v5
	v_fma_f32 v27, v29, v4, -v27
	v_fmac_f32_e32 v5, v30, v4
	s_waitcnt lgkmcnt(0)
	v_mul_f32_e32 v4, v32, v7
	v_add_f32_e32 v2, v2, v27
	v_add_f32_e32 v3, v3, v5
	v_fma_f32 v4, v31, v6, -v4
	v_mul_f32_e32 v5, v31, v7
	v_fmac_f32_e32 v5, v32, v6
	v_add_f32_e32 v6, v2, v4
	v_mul_f32_e32 v2, v34, v9
	v_add_f32_e32 v7, v3, v5
	v_fma_f32 v31, v33, v8, -v2
	ds_read_b128 v[2:5], v14 offset:96
	ds_read2_b64 v[27:30], v24 offset0:128 offset1:160
	v_mul_f32_e32 v9, v33, v9
	v_fmac_f32_e32 v9, v34, v8
	v_add_f32_e32 v31, v6, v31
	v_add_f32_e32 v32, v7, v9
	s_waitcnt lgkmcnt(0)
	v_mul_f32_e32 v33, v28, v3
	v_mul_f32_e32 v3, v27, v3
	v_fma_f32 v33, v27, v2, -v33
	v_fmac_f32_e32 v3, v28, v2
	ds_read_b128 v[6:9], v14 offset:112
	v_add_f32_e32 v2, v31, v33
	v_add_f32_e32 v3, v32, v3
	ds_read2_b64 v[31:34], v24 offset0:192 offset1:224
	v_mul_f32_e32 v27, v30, v5
	v_mul_f32_e32 v5, v29, v5
	v_fma_f32 v27, v29, v4, -v27
	v_fmac_f32_e32 v5, v30, v4
	s_waitcnt lgkmcnt(0)
	v_mul_f32_e32 v4, v32, v7
	v_add_f32_e32 v2, v2, v27
	v_add_f32_e32 v3, v3, v5
	v_fma_f32 v4, v31, v6, -v4
	v_mul_f32_e32 v5, v31, v7
	v_fmac_f32_e32 v5, v32, v6
	v_add_f32_e32 v6, v2, v4
	v_mul_f32_e32 v2, v34, v9
	v_add_f32_e32 v7, v3, v5
	v_fma_f32 v31, v33, v8, -v2
	ds_read_b128 v[2:5], v14 offset:128
	ds_read2_b64 v[27:30], v25 offset1:32
	v_mul_f32_e32 v9, v33, v9
	v_fmac_f32_e32 v9, v34, v8
	v_add_f32_e32 v6, v6, v31
	ds_read_b128 v[31:34], v14 offset:144
	ds_read2_b64 v[35:38], v25 offset0:64 offset1:96
	s_waitcnt lgkmcnt(2)
	v_mul_f32_e32 v8, v28, v3
	v_fma_f32 v8, v27, v2, -v8
	v_mul_f32_e32 v3, v27, v3
	v_add_f32_e32 v7, v7, v9
	v_fmac_f32_e32 v3, v28, v2
	v_add_f32_e32 v2, v6, v8
	v_mul_f32_e32 v6, v30, v5
	v_mul_f32_e32 v5, v29, v5
	v_add_f32_e32 v3, v7, v3
	v_fma_f32 v6, v29, v4, -v6
	v_fmac_f32_e32 v5, v30, v4
	s_waitcnt lgkmcnt(0)
	v_mul_f32_e32 v4, v36, v32
	v_add_f32_e32 v2, v2, v6
	v_add_f32_e32 v3, v3, v5
	v_fma_f32 v4, v35, v31, -v4
	v_mul_f32_e32 v5, v35, v32
	v_fmac_f32_e32 v5, v36, v31
	v_add_f32_e32 v27, v2, v4
	v_mul_f32_e32 v2, v38, v34
	v_add_f32_e32 v28, v3, v5
	v_fma_f32 v29, v37, v33, -v2
	ds_read_b128 v[2:5], v14 offset:160
	ds_read2_b64 v[6:9], v25 offset0:128 offset1:160
	global_load_dwordx2 v[35:36], v[10:11], off
	v_mul_f32_e32 v30, v37, v34
	v_fmac_f32_e32 v30, v38, v33
	v_add_f32_e32 v31, v27, v29
	s_waitcnt lgkmcnt(0)
	v_mul_f32_e32 v33, v7, v3
	v_mul_f32_e32 v3, v6, v3
	v_add_f32_e32 v32, v28, v30
	v_fma_f32 v33, v6, v2, -v33
	v_fmac_f32_e32 v3, v7, v2
	ds_read_b128 v[27:30], v14 offset:176
	v_add_f32_e32 v2, v31, v33
	v_add_f32_e32 v3, v32, v3
	ds_read2_b64 v[31:34], v25 offset0:192 offset1:224
	v_mul_f32_e32 v6, v9, v5
	v_mul_f32_e32 v5, v8, v5
	v_fma_f32 v6, v8, v4, -v6
	v_fmac_f32_e32 v5, v9, v4
	s_waitcnt lgkmcnt(0)
	v_mul_f32_e32 v4, v32, v28
	v_add_f32_e32 v2, v2, v6
	v_add_f32_e32 v3, v3, v5
	v_fma_f32 v4, v31, v27, -v4
	v_mul_f32_e32 v5, v31, v28
	v_fmac_f32_e32 v5, v32, v27
	v_add_f32_e32 v27, v2, v4
	v_mul_f32_e32 v2, v34, v30
	v_add_f32_e32 v28, v3, v5
	v_fma_f32 v31, v33, v29, -v2
	ds_read_b128 v[2:5], v14 offset:192
	ds_read2_b64 v[6:9], v26 offset1:32
	v_mul_f32_e32 v30, v33, v30
	v_fmac_f32_e32 v30, v34, v29
	v_add_f32_e32 v31, v27, v31
	v_add_f32_e32 v32, v28, v30
	s_waitcnt lgkmcnt(0)
	v_mul_f32_e32 v33, v7, v3
	v_mul_f32_e32 v3, v6, v3
	v_fma_f32 v33, v6, v2, -v33
	v_fmac_f32_e32 v3, v7, v2
	ds_read_b128 v[27:30], v14 offset:208
	v_add_f32_e32 v2, v31, v33
	v_add_f32_e32 v3, v32, v3
	ds_read2_b64 v[31:34], v26 offset0:64 offset1:96
	v_mul_f32_e32 v6, v9, v5
	v_mul_f32_e32 v5, v8, v5
	v_fma_f32 v6, v8, v4, -v6
	v_fmac_f32_e32 v5, v9, v4
	s_waitcnt lgkmcnt(0)
	v_mul_f32_e32 v4, v32, v28
	v_add_f32_e32 v2, v2, v6
	v_add_f32_e32 v3, v3, v5
	v_fma_f32 v4, v31, v27, -v4
	v_mul_f32_e32 v5, v31, v28
	v_fmac_f32_e32 v5, v32, v27
	v_add_f32_e32 v27, v2, v4
	v_mul_f32_e32 v2, v34, v30
	v_add_f32_e32 v28, v3, v5
	v_fma_f32 v31, v33, v29, -v2
	ds_read_b128 v[2:5], v14 offset:224
	ds_read2_b64 v[6:9], v26 offset0:128 offset1:160
	v_mul_f32_e32 v30, v33, v30
	v_fmac_f32_e32 v30, v34, v29
	v_add_f32_e32 v31, v27, v31
	v_add_f32_e32 v32, v28, v30
	s_waitcnt lgkmcnt(0)
	v_mul_f32_e32 v33, v7, v3
	v_mul_f32_e32 v3, v6, v3
	v_fma_f32 v33, v6, v2, -v33
	v_fmac_f32_e32 v3, v7, v2
	ds_read_b128 v[27:30], v14 offset:240
	v_add_f32_e32 v2, v31, v33
	v_add_f32_e32 v3, v32, v3
	ds_read2_b64 v[31:34], v26 offset0:192 offset1:224
	v_mul_f32_e32 v6, v9, v5
	v_mul_f32_e32 v5, v8, v5
	v_fmac_f32_e32 v5, v9, v4
	v_fma_f32 v6, v8, v4, -v6
	v_add_f32_e32 v3, v3, v5
	s_waitcnt lgkmcnt(0)
	v_mul_f32_e32 v4, v32, v28
	v_mul_f32_e32 v5, v31, v28
	v_add_f32_e32 v2, v2, v6
	v_fma_f32 v4, v31, v27, -v4
	v_fmac_f32_e32 v5, v32, v27
	v_add_f32_e32 v2, v2, v4
	v_add_f32_e32 v3, v3, v5
	v_mul_f32_e32 v4, v34, v30
	v_mul_f32_e32 v5, v33, v30
	v_fma_f32 v4, v33, v29, -v4
	v_fmac_f32_e32 v5, v34, v29
	v_add_f32_e32 v2, v2, v4
	v_add_f32_e32 v3, v3, v5
	v_mul_f32_e32 v4, s11, v3
	v_mul_f32_e32 v5, s11, v2
	v_fma_f32 v4, s10, v2, -v4
	v_fmac_f32_e32 v5, s10, v3
	s_waitcnt vmcnt(0)
	v_add_f32_e32 v2, v35, v4
	v_add_f32_e32 v3, v36, v5
	global_store_dwordx2 v[10:11], v[2:3], off
	s_branch .LBB1906_4
.LBB1906_17:
	s_endpgm
	.section	.rodata,"a",@progbits
	.p2align	6, 0x0
	.amdhsa_kernel _ZL26rocblas_syr2k_her2k_kernelIiLb1ELb0ELb0ELi32EPK19rocblas_complex_numIfES3_PS1_EvbiT_T4_T5_S5_lS7_S5_lT6_S5_li
		.amdhsa_group_segment_fixed_size 16384
		.amdhsa_private_segment_fixed_size 0
		.amdhsa_kernarg_size 100
		.amdhsa_user_sgpr_count 6
		.amdhsa_user_sgpr_private_segment_buffer 1
		.amdhsa_user_sgpr_dispatch_ptr 0
		.amdhsa_user_sgpr_queue_ptr 0
		.amdhsa_user_sgpr_kernarg_segment_ptr 1
		.amdhsa_user_sgpr_dispatch_id 0
		.amdhsa_user_sgpr_flat_scratch_init 0
		.amdhsa_user_sgpr_private_segment_size 0
		.amdhsa_uses_dynamic_stack 0
		.amdhsa_system_sgpr_private_segment_wavefront_offset 0
		.amdhsa_system_sgpr_workgroup_id_x 1
		.amdhsa_system_sgpr_workgroup_id_y 1
		.amdhsa_system_sgpr_workgroup_id_z 1
		.amdhsa_system_sgpr_workgroup_info 0
		.amdhsa_system_vgpr_workitem_id 1
		.amdhsa_next_free_vgpr 42
		.amdhsa_next_free_sgpr 61
		.amdhsa_reserve_vcc 1
		.amdhsa_reserve_flat_scratch 0
		.amdhsa_float_round_mode_32 0
		.amdhsa_float_round_mode_16_64 0
		.amdhsa_float_denorm_mode_32 3
		.amdhsa_float_denorm_mode_16_64 3
		.amdhsa_dx10_clamp 1
		.amdhsa_ieee_mode 1
		.amdhsa_fp16_overflow 0
		.amdhsa_exception_fp_ieee_invalid_op 0
		.amdhsa_exception_fp_denorm_src 0
		.amdhsa_exception_fp_ieee_div_zero 0
		.amdhsa_exception_fp_ieee_overflow 0
		.amdhsa_exception_fp_ieee_underflow 0
		.amdhsa_exception_fp_ieee_inexact 0
		.amdhsa_exception_int_div_zero 0
	.end_amdhsa_kernel
	.section	.text._ZL26rocblas_syr2k_her2k_kernelIiLb1ELb0ELb0ELi32EPK19rocblas_complex_numIfES3_PS1_EvbiT_T4_T5_S5_lS7_S5_lT6_S5_li,"axG",@progbits,_ZL26rocblas_syr2k_her2k_kernelIiLb1ELb0ELb0ELi32EPK19rocblas_complex_numIfES3_PS1_EvbiT_T4_T5_S5_lS7_S5_lT6_S5_li,comdat
.Lfunc_end1906:
	.size	_ZL26rocblas_syr2k_her2k_kernelIiLb1ELb0ELb0ELi32EPK19rocblas_complex_numIfES3_PS1_EvbiT_T4_T5_S5_lS7_S5_lT6_S5_li, .Lfunc_end1906-_ZL26rocblas_syr2k_her2k_kernelIiLb1ELb0ELb0ELi32EPK19rocblas_complex_numIfES3_PS1_EvbiT_T4_T5_S5_lS7_S5_lT6_S5_li
                                        ; -- End function
	.set _ZL26rocblas_syr2k_her2k_kernelIiLb1ELb0ELb0ELi32EPK19rocblas_complex_numIfES3_PS1_EvbiT_T4_T5_S5_lS7_S5_lT6_S5_li.num_vgpr, 42
	.set _ZL26rocblas_syr2k_her2k_kernelIiLb1ELb0ELb0ELi32EPK19rocblas_complex_numIfES3_PS1_EvbiT_T4_T5_S5_lS7_S5_lT6_S5_li.num_agpr, 0
	.set _ZL26rocblas_syr2k_her2k_kernelIiLb1ELb0ELb0ELi32EPK19rocblas_complex_numIfES3_PS1_EvbiT_T4_T5_S5_lS7_S5_lT6_S5_li.numbered_sgpr, 28
	.set _ZL26rocblas_syr2k_her2k_kernelIiLb1ELb0ELb0ELi32EPK19rocblas_complex_numIfES3_PS1_EvbiT_T4_T5_S5_lS7_S5_lT6_S5_li.num_named_barrier, 0
	.set _ZL26rocblas_syr2k_her2k_kernelIiLb1ELb0ELb0ELi32EPK19rocblas_complex_numIfES3_PS1_EvbiT_T4_T5_S5_lS7_S5_lT6_S5_li.private_seg_size, 0
	.set _ZL26rocblas_syr2k_her2k_kernelIiLb1ELb0ELb0ELi32EPK19rocblas_complex_numIfES3_PS1_EvbiT_T4_T5_S5_lS7_S5_lT6_S5_li.uses_vcc, 1
	.set _ZL26rocblas_syr2k_her2k_kernelIiLb1ELb0ELb0ELi32EPK19rocblas_complex_numIfES3_PS1_EvbiT_T4_T5_S5_lS7_S5_lT6_S5_li.uses_flat_scratch, 0
	.set _ZL26rocblas_syr2k_her2k_kernelIiLb1ELb0ELb0ELi32EPK19rocblas_complex_numIfES3_PS1_EvbiT_T4_T5_S5_lS7_S5_lT6_S5_li.has_dyn_sized_stack, 0
	.set _ZL26rocblas_syr2k_her2k_kernelIiLb1ELb0ELb0ELi32EPK19rocblas_complex_numIfES3_PS1_EvbiT_T4_T5_S5_lS7_S5_lT6_S5_li.has_recursion, 0
	.set _ZL26rocblas_syr2k_her2k_kernelIiLb1ELb0ELb0ELi32EPK19rocblas_complex_numIfES3_PS1_EvbiT_T4_T5_S5_lS7_S5_lT6_S5_li.has_indirect_call, 0
	.section	.AMDGPU.csdata,"",@progbits
; Kernel info:
; codeLenInByte = 3428
; TotalNumSgprs: 32
; NumVgprs: 42
; ScratchSize: 0
; MemoryBound: 0
; FloatMode: 240
; IeeeMode: 1
; LDSByteSize: 16384 bytes/workgroup (compile time only)
; SGPRBlocks: 8
; VGPRBlocks: 10
; NumSGPRsForWavesPerEU: 65
; NumVGPRsForWavesPerEU: 42
; Occupancy: 5
; WaveLimiterHint : 0
; COMPUTE_PGM_RSRC2:SCRATCH_EN: 0
; COMPUTE_PGM_RSRC2:USER_SGPR: 6
; COMPUTE_PGM_RSRC2:TRAP_HANDLER: 0
; COMPUTE_PGM_RSRC2:TGID_X_EN: 1
; COMPUTE_PGM_RSRC2:TGID_Y_EN: 1
; COMPUTE_PGM_RSRC2:TGID_Z_EN: 1
; COMPUTE_PGM_RSRC2:TIDIG_COMP_CNT: 1
	.section	.text._ZL26rocblas_syr2k_her2k_kernelIiLb1ELb0ELb1ELi32EPK19rocblas_complex_numIfES3_PS1_EvbiT_T4_T5_S5_lS7_S5_lT6_S5_li,"axG",@progbits,_ZL26rocblas_syr2k_her2k_kernelIiLb1ELb0ELb1ELi32EPK19rocblas_complex_numIfES3_PS1_EvbiT_T4_T5_S5_lS7_S5_lT6_S5_li,comdat
	.globl	_ZL26rocblas_syr2k_her2k_kernelIiLb1ELb0ELb1ELi32EPK19rocblas_complex_numIfES3_PS1_EvbiT_T4_T5_S5_lS7_S5_lT6_S5_li ; -- Begin function _ZL26rocblas_syr2k_her2k_kernelIiLb1ELb0ELb1ELi32EPK19rocblas_complex_numIfES3_PS1_EvbiT_T4_T5_S5_lS7_S5_lT6_S5_li
	.p2align	8
	.type	_ZL26rocblas_syr2k_her2k_kernelIiLb1ELb0ELb1ELi32EPK19rocblas_complex_numIfES3_PS1_EvbiT_T4_T5_S5_lS7_S5_lT6_S5_li,@function
_ZL26rocblas_syr2k_her2k_kernelIiLb1ELb0ELb1ELi32EPK19rocblas_complex_numIfES3_PS1_EvbiT_T4_T5_S5_lS7_S5_lT6_S5_li: ; @_ZL26rocblas_syr2k_her2k_kernelIiLb1ELb0ELb1ELi32EPK19rocblas_complex_numIfES3_PS1_EvbiT_T4_T5_S5_lS7_S5_lT6_S5_li
; %bb.0:
	s_load_dwordx4 s[0:3], s[4:5], 0x10
	s_waitcnt lgkmcnt(0)
	s_load_dwordx2 s[10:11], s[0:1], 0x0
	s_waitcnt lgkmcnt(0)
	v_cmp_eq_f32_e64 s[0:1], s10, 0
	v_cmp_eq_f32_e64 s[12:13], s11, 0
	s_and_b64 s[0:1], s[0:1], s[12:13]
	s_and_b64 vcc, exec, s[0:1]
	s_cbranch_vccnz .LBB1907_17
; %bb.1:
	s_load_dwordx4 s[12:15], s[4:5], 0x0
	s_lshl_b32 s0, s7, 5
	s_lshl_b32 s1, s6, 5
	s_waitcnt lgkmcnt(0)
	s_and_b32 s6, 1, s12
	s_cmp_eq_u32 s6, 1
	s_cselect_b64 vcc, -1, 0
	s_and_b64 s[6:7], vcc, exec
	s_cselect_b32 s6, s1, s0
	s_cselect_b32 s7, s0, s1
	s_cmp_gt_i32 s6, s7
	s_cbranch_scc1 .LBB1907_17
; %bb.2:
	s_cmp_lt_i32 s14, 1
	s_cbranch_scc1 .LBB1907_17
; %bb.3:
	v_add_u32_e32 v2, s1, v0
	s_load_dword s9, s[4:5], 0x20
	s_load_dwordx4 s[16:19], s[4:5], 0x28
	s_load_dword s12, s[4:5], 0x38
	s_load_dwordx4 s[20:23], s[4:5], 0x40
	s_load_dword s15, s[4:5], 0x50
	s_load_dwordx2 s[6:7], s[4:5], 0x58
	v_add_u32_e32 v7, s0, v1
	s_waitcnt lgkmcnt(0)
	v_mad_i64_i32 v[4:5], s[0:1], s9, v2, 0
	s_mul_i32 s4, s17, s8
	s_mul_hi_u32 s5, s16, s8
	s_add_i32 s5, s5, s4
	s_mul_i32 s4, s16, s8
	s_lshl_b64 s[4:5], s[4:5], 3
	s_add_u32 s16, s2, s4
	v_lshlrev_b64 v[4:5], 3, v[4:5]
	s_addc_u32 s17, s3, s5
	s_mul_i32 s2, s21, s8
	s_mul_hi_u32 s3, s20, s8
	s_add_i32 s3, s3, s2
	s_mul_i32 s2, s20, s8
	v_mov_b32_e32 v9, s17
	v_add_co_u32_e64 v16, s[0:1], s16, v4
	s_lshl_b64 s[2:3], s[2:3], 3
	v_addc_co_u32_e64 v17, s[0:1], v9, v5, s[0:1]
	v_mad_i64_i32 v[4:5], s[0:1], s12, v7, 0
	s_add_u32 s18, s18, s2
	s_addc_u32 s19, s19, s3
	s_mul_i32 s2, s7, s8
	s_mul_hi_u32 s3, s6, s8
	s_add_i32 s3, s3, s2
	s_mul_i32 s2, s6, s8
	s_lshl_b64 s[2:3], s[2:3], 3
	v_lshlrev_b64 v[4:5], 3, v[4:5]
	s_add_u32 s6, s22, s2
	s_addc_u32 s7, s23, s3
	v_mov_b32_e32 v10, s19
	v_add_co_u32_e64 v20, s[2:3], s18, v4
	v_addc_co_u32_e64 v21, s[2:3], v10, v5, s[2:3]
	v_mad_i64_i32 v[4:5], s[2:3], s15, v7, 0
	v_cndmask_b32_e32 v6, v2, v7, vcc
	v_cndmask_b32_e32 v8, v7, v2, vcc
	v_cmp_gt_i32_e32 vcc, s13, v2
	v_cmp_gt_i32_e64 s[0:1], s13, v7
	v_lshlrev_b64 v[4:5], 3, v[4:5]
	v_cmp_le_i32_e64 s[2:3], v8, v6
	s_and_b64 s[4:5], s[0:1], vcc
	v_lshlrev_b32_e32 v18, 8, v0
	v_lshlrev_b32_e32 v9, 3, v1
	s_and_b64 s[4:5], s[4:5], s[2:3]
	v_mov_b32_e32 v6, s7
	v_add_co_u32_e64 v8, s[2:3], s6, v4
	v_ashrrev_i32_e32 v3, 31, v2
	v_add_u32_e32 v19, v18, v9
	v_or_b32_e32 v22, 0x2000, v9
	v_addc_co_u32_e64 v9, s[2:3], v6, v5, s[2:3]
	v_mad_i64_i32 v[5:6], s[2:3], s12, v2, 0
	v_lshlrev_b64 v[3:4], 3, v[2:3]
	v_add_u32_e32 v23, v22, v18
	v_add_co_u32_e64 v10, s[2:3], v8, v3
	v_addc_co_u32_e64 v11, s[2:3], v9, v4, s[2:3]
	v_lshlrev_b64 v[2:3], 3, v[5:6]
	v_mad_i64_i32 v[4:5], s[2:3], s9, v7, 0
	v_mov_b32_e32 v6, s19
	v_add_co_u32_e64 v24, s[2:3], s18, v2
	v_addc_co_u32_e64 v25, s[2:3], v6, v3, s[2:3]
	v_lshlrev_b64 v[2:3], 3, v[4:5]
	v_mov_b32_e32 v4, s17
	v_add_co_u32_e64 v26, s[2:3], s16, v2
	v_addc_co_u32_e64 v27, s[2:3], v4, v3, s[2:3]
	s_mov_b32 s15, 0
	v_add_u32_e32 v28, 0x800, v22
	v_add_u32_e32 v29, 0x1000, v22
	;; [unrolled: 1-line block ×3, first 2 shown]
	s_branch .LBB1907_5
.LBB1907_4:                             ;   in Loop: Header=BB1907_5 Depth=1
	s_or_b64 exec, exec, s[2:3]
	s_add_i32 s15, s15, 32
	s_cmp_lt_i32 s15, s14
	s_waitcnt vmcnt(0)
	s_barrier
	s_cbranch_scc0 .LBB1907_17
.LBB1907_5:                             ; =>This Inner Loop Header: Depth=1
	v_add_u32_e32 v12, s15, v1
	v_cmp_gt_i32_e64 s[2:3], s14, v12
	s_and_b64 s[6:7], vcc, s[2:3]
	v_mov_b32_e32 v2, 0
	v_mov_b32_e32 v3, 0
	;; [unrolled: 1-line block ×3, first 2 shown]
	s_and_saveexec_b64 s[8:9], s[6:7]
	s_cbranch_execz .LBB1907_7
; %bb.6:                                ;   in Loop: Header=BB1907_5 Depth=1
	v_ashrrev_i32_e32 v13, 31, v12
	v_lshlrev_b64 v[3:4], 3, v[12:13]
	v_add_co_u32_e64 v3, s[2:3], v16, v3
	v_addc_co_u32_e64 v4, s[2:3], v17, v4, s[2:3]
	global_load_dwordx2 v[3:4], v[3:4], off
.LBB1907_7:                             ;   in Loop: Header=BB1907_5 Depth=1
	s_or_b64 exec, exec, s[8:9]
	v_add_u32_e32 v14, s15, v0
	v_cmp_gt_i32_e64 s[2:3], s14, v14
	s_waitcnt vmcnt(0)
	ds_write_b64 v19, v[3:4]
	s_and_b64 s[8:9], s[0:1], s[2:3]
	v_mov_b32_e32 v3, 0
	s_and_saveexec_b64 s[12:13], s[8:9]
	s_cbranch_execz .LBB1907_9
; %bb.8:                                ;   in Loop: Header=BB1907_5 Depth=1
	v_ashrrev_i32_e32 v15, 31, v14
	v_lshlrev_b64 v[2:3], 3, v[14:15]
	v_add_co_u32_e64 v2, s[2:3], v20, v2
	v_addc_co_u32_e64 v3, s[2:3], v21, v3, s[2:3]
	global_load_dwordx2 v[2:3], v[2:3], off
.LBB1907_9:                             ;   in Loop: Header=BB1907_5 Depth=1
	s_or_b64 exec, exec, s[12:13]
	s_waitcnt vmcnt(0)
	ds_write_b64 v23, v[2:3]
	s_waitcnt lgkmcnt(0)
	s_barrier
	s_and_saveexec_b64 s[2:3], s[4:5]
	s_cbranch_execz .LBB1907_11
; %bb.10:                               ;   in Loop: Header=BB1907_5 Depth=1
	ds_read2_b64 v[2:5], v22 offset1:32
	ds_read_b128 v[6:9], v18
	ds_read_b128 v[31:34], v18 offset:16
	ds_read2_b64 v[35:38], v22 offset0:64 offset1:96
	s_waitcnt lgkmcnt(2)
	v_mul_f32_e32 v13, v3, v7
	v_mul_f32_e32 v15, v2, v7
	v_fma_f32 v13, v2, v6, -v13
	v_mul_f32_e32 v2, v5, v9
	v_fma_f32 v39, v4, v8, -v2
	s_waitcnt lgkmcnt(0)
	v_mul_f32_e32 v2, v36, v32
	v_fma_f32 v41, v35, v31, -v2
	v_mul_f32_e32 v35, v35, v32
	v_mul_f32_e32 v2, v38, v34
	;; [unrolled: 1-line block ×3, first 2 shown]
	v_fmac_f32_e32 v35, v36, v31
	v_fma_f32 v36, v37, v33, -v2
	v_mul_f32_e32 v37, v37, v34
	v_fmac_f32_e32 v15, v3, v6
	v_fmac_f32_e32 v40, v5, v8
	;; [unrolled: 1-line block ×3, first 2 shown]
	ds_read_b128 v[2:5], v18 offset:32
	ds_read_b128 v[6:9], v18 offset:48
	ds_read2_b64 v[31:34], v22 offset0:128 offset1:160
	v_add_f32_e32 v13, 0, v13
	v_add_f32_e32 v15, 0, v15
	v_add_f32_e32 v13, v13, v39
	v_add_f32_e32 v15, v15, v40
	v_add_f32_e32 v13, v13, v41
	v_add_f32_e32 v15, v15, v35
	s_waitcnt lgkmcnt(0)
	v_mul_f32_e32 v35, v32, v3
	v_add_f32_e32 v13, v13, v36
	v_fma_f32 v35, v31, v2, -v35
	v_mul_f32_e32 v3, v31, v3
	v_add_f32_e32 v15, v15, v37
	v_fmac_f32_e32 v3, v32, v2
	v_add_f32_e32 v2, v13, v35
	ds_read2_b64 v[35:38], v22 offset0:192 offset1:224
	v_mul_f32_e32 v13, v34, v5
	v_mul_f32_e32 v5, v33, v5
	v_add_f32_e32 v3, v15, v3
	v_fma_f32 v13, v33, v4, -v13
	v_fmac_f32_e32 v5, v34, v4
	s_waitcnt lgkmcnt(0)
	v_mul_f32_e32 v4, v36, v7
	v_add_f32_e32 v2, v2, v13
	v_add_f32_e32 v3, v3, v5
	v_fma_f32 v4, v35, v6, -v4
	v_mul_f32_e32 v5, v35, v7
	v_fmac_f32_e32 v5, v36, v6
	v_add_f32_e32 v6, v2, v4
	v_mul_f32_e32 v2, v38, v9
	v_add_f32_e32 v7, v3, v5
	v_fma_f32 v13, v37, v8, -v2
	ds_read_b128 v[2:5], v18 offset:64
	ds_read2_b64 v[31:34], v28 offset1:32
	v_mul_f32_e32 v9, v37, v9
	v_fmac_f32_e32 v9, v38, v8
	v_add_f32_e32 v13, v6, v13
	v_add_f32_e32 v15, v7, v9
	s_waitcnt lgkmcnt(0)
	v_mul_f32_e32 v35, v32, v3
	v_fma_f32 v35, v31, v2, -v35
	v_mul_f32_e32 v3, v31, v3
	ds_read_b128 v[6:9], v18 offset:80
	v_fmac_f32_e32 v3, v32, v2
	v_add_f32_e32 v2, v13, v35
	ds_read2_b64 v[35:38], v28 offset0:64 offset1:96
	v_mul_f32_e32 v13, v34, v5
	v_mul_f32_e32 v5, v33, v5
	v_add_f32_e32 v3, v15, v3
	v_fma_f32 v13, v33, v4, -v13
	v_fmac_f32_e32 v5, v34, v4
	s_waitcnt lgkmcnt(0)
	v_mul_f32_e32 v4, v36, v7
	v_add_f32_e32 v2, v2, v13
	v_add_f32_e32 v3, v3, v5
	v_fma_f32 v4, v35, v6, -v4
	v_mul_f32_e32 v5, v35, v7
	v_fmac_f32_e32 v5, v36, v6
	v_add_f32_e32 v6, v2, v4
	v_mul_f32_e32 v2, v38, v9
	v_add_f32_e32 v7, v3, v5
	v_fma_f32 v13, v37, v8, -v2
	ds_read_b128 v[2:5], v18 offset:96
	ds_read2_b64 v[31:34], v28 offset0:128 offset1:160
	v_mul_f32_e32 v9, v37, v9
	v_fmac_f32_e32 v9, v38, v8
	v_add_f32_e32 v13, v6, v13
	v_add_f32_e32 v15, v7, v9
	s_waitcnt lgkmcnt(0)
	v_mul_f32_e32 v35, v32, v3
	v_fma_f32 v35, v31, v2, -v35
	v_mul_f32_e32 v3, v31, v3
	ds_read_b128 v[6:9], v18 offset:112
	v_fmac_f32_e32 v3, v32, v2
	v_add_f32_e32 v2, v13, v35
	ds_read2_b64 v[35:38], v28 offset0:192 offset1:224
	v_mul_f32_e32 v13, v34, v5
	v_mul_f32_e32 v5, v33, v5
	v_add_f32_e32 v3, v15, v3
	v_fma_f32 v13, v33, v4, -v13
	v_fmac_f32_e32 v5, v34, v4
	s_waitcnt lgkmcnt(0)
	v_mul_f32_e32 v4, v36, v7
	v_add_f32_e32 v2, v2, v13
	v_add_f32_e32 v3, v3, v5
	v_fma_f32 v4, v35, v6, -v4
	v_mul_f32_e32 v5, v35, v7
	v_fmac_f32_e32 v5, v36, v6
	v_add_f32_e32 v6, v2, v4
	v_mul_f32_e32 v2, v38, v9
	v_add_f32_e32 v7, v3, v5
	v_fma_f32 v13, v37, v8, -v2
	ds_read_b128 v[2:5], v18 offset:128
	ds_read2_b64 v[31:34], v29 offset1:32
	v_mul_f32_e32 v9, v37, v9
	v_fmac_f32_e32 v9, v38, v8
	ds_read_b128 v[35:38], v18 offset:144
	ds_read2_b64 v[39:42], v29 offset0:64 offset1:96
	s_waitcnt lgkmcnt(2)
	v_mul_f32_e32 v8, v32, v3
	v_add_f32_e32 v6, v6, v13
	v_fma_f32 v8, v31, v2, -v8
	v_mul_f32_e32 v3, v31, v3
	v_add_f32_e32 v7, v7, v9
	v_fmac_f32_e32 v3, v32, v2
	v_add_f32_e32 v2, v6, v8
	v_mul_f32_e32 v6, v34, v5
	v_mul_f32_e32 v5, v33, v5
	v_add_f32_e32 v3, v7, v3
	v_fma_f32 v6, v33, v4, -v6
	v_fmac_f32_e32 v5, v34, v4
	s_waitcnt lgkmcnt(0)
	v_mul_f32_e32 v4, v40, v36
	v_add_f32_e32 v2, v2, v6
	v_add_f32_e32 v3, v3, v5
	v_fma_f32 v4, v39, v35, -v4
	v_mul_f32_e32 v5, v39, v36
	v_fmac_f32_e32 v5, v40, v35
	v_add_f32_e32 v13, v2, v4
	v_mul_f32_e32 v2, v42, v38
	v_add_f32_e32 v15, v3, v5
	v_fma_f32 v31, v41, v37, -v2
	ds_read_b128 v[2:5], v18 offset:160
	ds_read2_b64 v[6:9], v29 offset0:128 offset1:160
	v_mul_f32_e32 v32, v41, v38
	v_fmac_f32_e32 v32, v42, v37
	v_add_f32_e32 v13, v13, v31
	v_add_f32_e32 v15, v15, v32
	s_waitcnt lgkmcnt(0)
	v_mul_f32_e32 v35, v7, v3
	v_fma_f32 v37, v6, v2, -v35
	global_load_dwordx2 v[35:36], v[10:11], off
	v_mul_f32_e32 v6, v6, v3
	v_fmac_f32_e32 v6, v7, v2
	v_mul_f32_e32 v2, v9, v5
	v_fma_f32 v7, v8, v4, -v2
	v_mul_f32_e32 v8, v8, v5
	ds_read_b128 v[31:34], v18 offset:176
	v_fmac_f32_e32 v8, v9, v4
	ds_read2_b64 v[2:5], v29 offset0:192 offset1:224
	v_add_f32_e32 v6, v15, v6
	v_add_f32_e32 v9, v13, v37
	;; [unrolled: 1-line block ×4, first 2 shown]
	s_waitcnt lgkmcnt(0)
	v_mul_f32_e32 v6, v3, v32
	v_fma_f32 v6, v2, v31, -v6
	v_mul_f32_e32 v15, v2, v32
	v_mul_f32_e32 v2, v5, v34
	;; [unrolled: 1-line block ×3, first 2 shown]
	v_fmac_f32_e32 v15, v3, v31
	v_add_f32_e32 v31, v7, v6
	v_fma_f32 v32, v4, v33, -v2
	v_fmac_f32_e32 v34, v5, v33
	ds_read_b128 v[2:5], v18 offset:192
	ds_read2_b64 v[6:9], v30 offset1:32
	v_add_f32_e32 v13, v13, v15
	v_add_f32_e32 v15, v31, v32
	v_add_f32_e32 v13, v13, v34
	ds_read_b128 v[31:34], v18 offset:208
	s_waitcnt lgkmcnt(1)
	v_mul_f32_e32 v37, v7, v3
	v_fma_f32 v37, v6, v2, -v37
	v_mul_f32_e32 v6, v6, v3
	v_fmac_f32_e32 v6, v7, v2
	v_mul_f32_e32 v2, v9, v5
	v_fma_f32 v7, v8, v4, -v2
	v_mul_f32_e32 v8, v8, v5
	v_fmac_f32_e32 v8, v9, v4
	ds_read2_b64 v[2:5], v30 offset0:64 offset1:96
	v_add_f32_e32 v6, v13, v6
	v_add_f32_e32 v9, v15, v37
	v_add_f32_e32 v13, v6, v8
	v_add_f32_e32 v7, v9, v7
	s_waitcnt lgkmcnt(0)
	v_mul_f32_e32 v6, v3, v32
	v_fma_f32 v6, v2, v31, -v6
	v_mul_f32_e32 v15, v2, v32
	v_mul_f32_e32 v2, v5, v34
	;; [unrolled: 1-line block ×3, first 2 shown]
	v_fmac_f32_e32 v15, v3, v31
	v_add_f32_e32 v31, v7, v6
	v_fma_f32 v32, v4, v33, -v2
	v_fmac_f32_e32 v34, v5, v33
	ds_read_b128 v[2:5], v18 offset:224
	ds_read2_b64 v[6:9], v30 offset0:128 offset1:160
	v_add_f32_e32 v13, v13, v15
	v_add_f32_e32 v15, v31, v32
	v_add_f32_e32 v13, v13, v34
	ds_read_b128 v[31:34], v18 offset:240
	s_waitcnt lgkmcnt(1)
	v_mul_f32_e32 v37, v7, v3
	v_fma_f32 v37, v6, v2, -v37
	v_mul_f32_e32 v6, v6, v3
	v_fmac_f32_e32 v6, v7, v2
	v_mul_f32_e32 v2, v9, v5
	v_fma_f32 v7, v8, v4, -v2
	v_mul_f32_e32 v8, v8, v5
	v_fmac_f32_e32 v8, v9, v4
	ds_read2_b64 v[2:5], v30 offset0:192 offset1:224
	v_add_f32_e32 v6, v13, v6
	v_add_f32_e32 v6, v6, v8
	;; [unrolled: 1-line block ×4, first 2 shown]
	s_waitcnt lgkmcnt(0)
	v_mul_f32_e32 v8, v3, v32
	v_fma_f32 v8, v2, v31, -v8
	v_mul_f32_e32 v2, v2, v32
	v_fmac_f32_e32 v2, v3, v31
	v_add_f32_e32 v2, v6, v2
	v_mul_f32_e32 v6, v5, v34
	v_fma_f32 v6, v4, v33, -v6
	v_mul_f32_e32 v4, v4, v34
	v_fmac_f32_e32 v4, v5, v33
	v_add_f32_e32 v3, v7, v8
	v_add_f32_e32 v2, v2, v4
	;; [unrolled: 1-line block ×3, first 2 shown]
	v_mul_f32_e32 v4, s11, v2
	v_mul_f32_e32 v5, s10, v2
	v_fma_f32 v4, s10, v3, -v4
	v_fmac_f32_e32 v5, s11, v3
	s_waitcnt vmcnt(0)
	v_add_f32_e32 v2, v35, v4
	v_add_f32_e32 v3, v36, v5
	global_store_dwordx2 v[10:11], v[2:3], off
.LBB1907_11:                            ;   in Loop: Header=BB1907_5 Depth=1
	s_or_b64 exec, exec, s[2:3]
	v_mov_b32_e32 v3, 0
	v_mov_b32_e32 v5, 0
	;; [unrolled: 1-line block ×3, first 2 shown]
	s_waitcnt vmcnt(0)
	s_barrier
	s_and_saveexec_b64 s[12:13], s[6:7]
	s_cbranch_execz .LBB1907_13
; %bb.12:                               ;   in Loop: Header=BB1907_5 Depth=1
	v_ashrrev_i32_e32 v13, 31, v12
	v_lshlrev_b64 v[4:5], 3, v[12:13]
	v_add_co_u32_e64 v4, s[2:3], v24, v4
	v_addc_co_u32_e64 v5, s[2:3], v25, v5, s[2:3]
	global_load_dwordx2 v[4:5], v[4:5], off
.LBB1907_13:                            ;   in Loop: Header=BB1907_5 Depth=1
	s_or_b64 exec, exec, s[12:13]
	v_mov_b32_e32 v2, 0
	s_waitcnt vmcnt(0)
	ds_write_b64 v19, v[4:5]
	s_and_saveexec_b64 s[6:7], s[8:9]
	s_cbranch_execz .LBB1907_15
; %bb.14:                               ;   in Loop: Header=BB1907_5 Depth=1
	v_ashrrev_i32_e32 v15, 31, v14
	v_lshlrev_b64 v[2:3], 3, v[14:15]
	v_add_co_u32_e64 v2, s[2:3], v26, v2
	v_addc_co_u32_e64 v3, s[2:3], v27, v3, s[2:3]
	global_load_dwordx2 v[2:3], v[2:3], off
.LBB1907_15:                            ;   in Loop: Header=BB1907_5 Depth=1
	s_or_b64 exec, exec, s[6:7]
	s_waitcnt vmcnt(0)
	ds_write_b64 v23, v[2:3]
	s_waitcnt lgkmcnt(0)
	s_barrier
	s_and_saveexec_b64 s[2:3], s[4:5]
	s_cbranch_execz .LBB1907_4
; %bb.16:                               ;   in Loop: Header=BB1907_5 Depth=1
	ds_read2_b64 v[2:5], v22 offset1:32
	ds_read_b128 v[6:9], v18
	ds_read_b128 v[12:15], v18 offset:16
	s_waitcnt lgkmcnt(1)
	v_mul_f32_e32 v31, v3, v7
	v_mul_f32_e32 v35, v2, v7
	v_fma_f32 v36, v2, v6, -v31
	v_mul_f32_e32 v2, v5, v9
	v_mul_f32_e32 v38, v4, v9
	v_fmac_f32_e32 v35, v3, v6
	v_fma_f32 v37, v4, v8, -v2
	v_fmac_f32_e32 v38, v5, v8
	ds_read_b128 v[2:5], v18 offset:32
	ds_read_b128 v[6:9], v18 offset:48
	ds_read2_b64 v[31:34], v22 offset0:64 offset1:96
	v_add_f32_e32 v36, 0, v36
	v_add_f32_e32 v36, v36, v37
	;; [unrolled: 1-line block ×4, first 2 shown]
	s_waitcnt lgkmcnt(0)
	v_mul_f32_e32 v37, v32, v13
	v_fma_f32 v37, v31, v12, -v37
	v_mul_f32_e32 v31, v31, v13
	v_fmac_f32_e32 v31, v32, v12
	v_mul_f32_e32 v12, v34, v15
	v_fma_f32 v32, v33, v14, -v12
	v_mul_f32_e32 v33, v33, v15
	v_fmac_f32_e32 v33, v34, v14
	ds_read2_b64 v[12:15], v22 offset0:128 offset1:160
	v_add_f32_e32 v31, v35, v31
	v_add_f32_e32 v34, v36, v37
	;; [unrolled: 1-line block ×4, first 2 shown]
	s_waitcnt lgkmcnt(0)
	v_mul_f32_e32 v33, v13, v3
	v_mul_f32_e32 v3, v12, v3
	v_fma_f32 v33, v12, v2, -v33
	v_fmac_f32_e32 v3, v13, v2
	v_add_f32_e32 v2, v32, v33
	v_add_f32_e32 v3, v31, v3
	ds_read2_b64 v[31:34], v22 offset0:192 offset1:224
	v_mul_f32_e32 v12, v15, v5
	v_mul_f32_e32 v5, v14, v5
	v_fma_f32 v12, v14, v4, -v12
	v_fmac_f32_e32 v5, v15, v4
	s_waitcnt lgkmcnt(0)
	v_mul_f32_e32 v4, v32, v7
	v_add_f32_e32 v2, v2, v12
	v_add_f32_e32 v3, v3, v5
	v_fma_f32 v4, v31, v6, -v4
	v_mul_f32_e32 v5, v31, v7
	v_fmac_f32_e32 v5, v32, v6
	v_add_f32_e32 v6, v2, v4
	v_mul_f32_e32 v2, v34, v9
	v_add_f32_e32 v7, v3, v5
	v_fma_f32 v31, v33, v8, -v2
	ds_read_b128 v[2:5], v18 offset:64
	ds_read2_b64 v[12:15], v28 offset1:32
	v_mul_f32_e32 v9, v33, v9
	v_fmac_f32_e32 v9, v34, v8
	v_add_f32_e32 v31, v6, v31
	v_add_f32_e32 v32, v7, v9
	s_waitcnt lgkmcnt(0)
	v_mul_f32_e32 v33, v13, v3
	v_mul_f32_e32 v3, v12, v3
	v_fma_f32 v33, v12, v2, -v33
	v_fmac_f32_e32 v3, v13, v2
	ds_read_b128 v[6:9], v18 offset:80
	v_add_f32_e32 v2, v31, v33
	v_add_f32_e32 v3, v32, v3
	ds_read2_b64 v[31:34], v28 offset0:64 offset1:96
	v_mul_f32_e32 v12, v15, v5
	v_mul_f32_e32 v5, v14, v5
	v_fma_f32 v12, v14, v4, -v12
	v_fmac_f32_e32 v5, v15, v4
	s_waitcnt lgkmcnt(0)
	v_mul_f32_e32 v4, v32, v7
	v_add_f32_e32 v2, v2, v12
	v_add_f32_e32 v3, v3, v5
	v_fma_f32 v4, v31, v6, -v4
	v_mul_f32_e32 v5, v31, v7
	v_fmac_f32_e32 v5, v32, v6
	v_add_f32_e32 v6, v2, v4
	v_mul_f32_e32 v2, v34, v9
	v_add_f32_e32 v7, v3, v5
	v_fma_f32 v31, v33, v8, -v2
	ds_read_b128 v[2:5], v18 offset:96
	ds_read2_b64 v[12:15], v28 offset0:128 offset1:160
	v_mul_f32_e32 v9, v33, v9
	v_fmac_f32_e32 v9, v34, v8
	v_add_f32_e32 v31, v6, v31
	v_add_f32_e32 v32, v7, v9
	s_waitcnt lgkmcnt(0)
	v_mul_f32_e32 v33, v13, v3
	v_mul_f32_e32 v3, v12, v3
	v_fma_f32 v33, v12, v2, -v33
	v_fmac_f32_e32 v3, v13, v2
	ds_read_b128 v[6:9], v18 offset:112
	v_add_f32_e32 v2, v31, v33
	v_add_f32_e32 v3, v32, v3
	ds_read2_b64 v[31:34], v28 offset0:192 offset1:224
	v_mul_f32_e32 v12, v15, v5
	v_mul_f32_e32 v5, v14, v5
	v_fma_f32 v12, v14, v4, -v12
	v_fmac_f32_e32 v5, v15, v4
	s_waitcnt lgkmcnt(0)
	v_mul_f32_e32 v4, v32, v7
	v_add_f32_e32 v2, v2, v12
	v_add_f32_e32 v3, v3, v5
	v_fma_f32 v4, v31, v6, -v4
	v_mul_f32_e32 v5, v31, v7
	v_fmac_f32_e32 v5, v32, v6
	v_add_f32_e32 v6, v2, v4
	v_mul_f32_e32 v2, v34, v9
	v_add_f32_e32 v7, v3, v5
	v_fma_f32 v31, v33, v8, -v2
	ds_read_b128 v[2:5], v18 offset:128
	ds_read2_b64 v[12:15], v29 offset1:32
	v_mul_f32_e32 v9, v33, v9
	v_fmac_f32_e32 v9, v34, v8
	v_add_f32_e32 v6, v6, v31
	ds_read_b128 v[31:34], v18 offset:144
	ds_read2_b64 v[35:38], v29 offset0:64 offset1:96
	s_waitcnt lgkmcnt(2)
	v_mul_f32_e32 v8, v13, v3
	v_fma_f32 v8, v12, v2, -v8
	v_mul_f32_e32 v3, v12, v3
	v_add_f32_e32 v7, v7, v9
	v_fmac_f32_e32 v3, v13, v2
	v_add_f32_e32 v2, v6, v8
	v_mul_f32_e32 v6, v15, v5
	v_mul_f32_e32 v5, v14, v5
	v_add_f32_e32 v3, v7, v3
	v_fma_f32 v6, v14, v4, -v6
	v_fmac_f32_e32 v5, v15, v4
	s_waitcnt lgkmcnt(0)
	v_mul_f32_e32 v4, v36, v32
	v_add_f32_e32 v2, v2, v6
	v_add_f32_e32 v3, v3, v5
	v_fma_f32 v4, v35, v31, -v4
	v_mul_f32_e32 v5, v35, v32
	v_fmac_f32_e32 v5, v36, v31
	v_add_f32_e32 v12, v2, v4
	v_mul_f32_e32 v2, v38, v34
	v_add_f32_e32 v13, v3, v5
	v_fma_f32 v14, v37, v33, -v2
	ds_read_b128 v[2:5], v18 offset:160
	ds_read2_b64 v[6:9], v29 offset0:128 offset1:160
	global_load_dwordx2 v[35:36], v[10:11], off
	v_mul_f32_e32 v15, v37, v34
	v_fmac_f32_e32 v15, v38, v33
	v_add_f32_e32 v31, v12, v14
	s_waitcnt lgkmcnt(0)
	v_mul_f32_e32 v33, v7, v3
	v_mul_f32_e32 v3, v6, v3
	v_add_f32_e32 v32, v13, v15
	v_fma_f32 v33, v6, v2, -v33
	v_fmac_f32_e32 v3, v7, v2
	ds_read_b128 v[12:15], v18 offset:176
	v_add_f32_e32 v2, v31, v33
	v_add_f32_e32 v3, v32, v3
	ds_read2_b64 v[31:34], v29 offset0:192 offset1:224
	v_mul_f32_e32 v6, v9, v5
	v_mul_f32_e32 v5, v8, v5
	v_fma_f32 v6, v8, v4, -v6
	v_fmac_f32_e32 v5, v9, v4
	s_waitcnt lgkmcnt(0)
	v_mul_f32_e32 v4, v32, v13
	v_add_f32_e32 v2, v2, v6
	v_add_f32_e32 v3, v3, v5
	v_fma_f32 v4, v31, v12, -v4
	v_mul_f32_e32 v5, v31, v13
	v_fmac_f32_e32 v5, v32, v12
	v_add_f32_e32 v12, v2, v4
	v_mul_f32_e32 v2, v34, v15
	v_add_f32_e32 v13, v3, v5
	v_fma_f32 v31, v33, v14, -v2
	ds_read_b128 v[2:5], v18 offset:192
	ds_read2_b64 v[6:9], v30 offset1:32
	v_mul_f32_e32 v15, v33, v15
	v_fmac_f32_e32 v15, v34, v14
	v_add_f32_e32 v31, v12, v31
	v_add_f32_e32 v32, v13, v15
	s_waitcnt lgkmcnt(0)
	v_mul_f32_e32 v33, v7, v3
	v_mul_f32_e32 v3, v6, v3
	v_fma_f32 v33, v6, v2, -v33
	v_fmac_f32_e32 v3, v7, v2
	ds_read_b128 v[12:15], v18 offset:208
	v_add_f32_e32 v2, v31, v33
	v_add_f32_e32 v3, v32, v3
	ds_read2_b64 v[31:34], v30 offset0:64 offset1:96
	v_mul_f32_e32 v6, v9, v5
	v_mul_f32_e32 v5, v8, v5
	v_fma_f32 v6, v8, v4, -v6
	v_fmac_f32_e32 v5, v9, v4
	s_waitcnt lgkmcnt(0)
	v_mul_f32_e32 v4, v32, v13
	v_add_f32_e32 v2, v2, v6
	v_add_f32_e32 v3, v3, v5
	v_fma_f32 v4, v31, v12, -v4
	v_mul_f32_e32 v5, v31, v13
	v_fmac_f32_e32 v5, v32, v12
	v_add_f32_e32 v12, v2, v4
	v_mul_f32_e32 v2, v34, v15
	v_add_f32_e32 v13, v3, v5
	v_fma_f32 v31, v33, v14, -v2
	ds_read_b128 v[2:5], v18 offset:224
	ds_read2_b64 v[6:9], v30 offset0:128 offset1:160
	v_mul_f32_e32 v15, v33, v15
	v_fmac_f32_e32 v15, v34, v14
	v_add_f32_e32 v31, v12, v31
	v_add_f32_e32 v32, v13, v15
	s_waitcnt lgkmcnt(0)
	v_mul_f32_e32 v33, v7, v3
	v_mul_f32_e32 v3, v6, v3
	v_fma_f32 v33, v6, v2, -v33
	v_fmac_f32_e32 v3, v7, v2
	ds_read_b128 v[12:15], v18 offset:240
	v_add_f32_e32 v2, v31, v33
	v_add_f32_e32 v3, v32, v3
	ds_read2_b64 v[31:34], v30 offset0:192 offset1:224
	v_mul_f32_e32 v6, v9, v5
	v_mul_f32_e32 v5, v8, v5
	v_fmac_f32_e32 v5, v9, v4
	v_fma_f32 v6, v8, v4, -v6
	v_add_f32_e32 v3, v3, v5
	s_waitcnt lgkmcnt(0)
	v_mul_f32_e32 v4, v32, v13
	v_mul_f32_e32 v5, v31, v13
	v_add_f32_e32 v2, v2, v6
	v_fma_f32 v4, v31, v12, -v4
	v_fmac_f32_e32 v5, v32, v12
	v_add_f32_e32 v2, v2, v4
	v_add_f32_e32 v3, v3, v5
	v_mul_f32_e32 v4, v34, v15
	v_mul_f32_e32 v5, v33, v15
	v_fma_f32 v4, v33, v14, -v4
	v_fmac_f32_e32 v5, v34, v14
	v_add_f32_e32 v2, v2, v4
	v_add_f32_e32 v3, v3, v5
	v_mul_f32_e32 v4, s11, v3
	v_mul_f32_e32 v5, s11, v2
	v_fma_f32 v4, s10, v2, -v4
	v_fmac_f32_e32 v5, s10, v3
	s_waitcnt vmcnt(0)
	v_add_f32_e32 v2, v35, v4
	v_add_f32_e32 v3, v36, v5
	global_store_dwordx2 v[10:11], v[2:3], off
	s_branch .LBB1907_4
.LBB1907_17:
	s_endpgm
	.section	.rodata,"a",@progbits
	.p2align	6, 0x0
	.amdhsa_kernel _ZL26rocblas_syr2k_her2k_kernelIiLb1ELb0ELb1ELi32EPK19rocblas_complex_numIfES3_PS1_EvbiT_T4_T5_S5_lS7_S5_lT6_S5_li
		.amdhsa_group_segment_fixed_size 16384
		.amdhsa_private_segment_fixed_size 0
		.amdhsa_kernarg_size 100
		.amdhsa_user_sgpr_count 6
		.amdhsa_user_sgpr_private_segment_buffer 1
		.amdhsa_user_sgpr_dispatch_ptr 0
		.amdhsa_user_sgpr_queue_ptr 0
		.amdhsa_user_sgpr_kernarg_segment_ptr 1
		.amdhsa_user_sgpr_dispatch_id 0
		.amdhsa_user_sgpr_flat_scratch_init 0
		.amdhsa_user_sgpr_private_segment_size 0
		.amdhsa_uses_dynamic_stack 0
		.amdhsa_system_sgpr_private_segment_wavefront_offset 0
		.amdhsa_system_sgpr_workgroup_id_x 1
		.amdhsa_system_sgpr_workgroup_id_y 1
		.amdhsa_system_sgpr_workgroup_id_z 1
		.amdhsa_system_sgpr_workgroup_info 0
		.amdhsa_system_vgpr_workitem_id 1
		.amdhsa_next_free_vgpr 43
		.amdhsa_next_free_sgpr 61
		.amdhsa_reserve_vcc 1
		.amdhsa_reserve_flat_scratch 0
		.amdhsa_float_round_mode_32 0
		.amdhsa_float_round_mode_16_64 0
		.amdhsa_float_denorm_mode_32 3
		.amdhsa_float_denorm_mode_16_64 3
		.amdhsa_dx10_clamp 1
		.amdhsa_ieee_mode 1
		.amdhsa_fp16_overflow 0
		.amdhsa_exception_fp_ieee_invalid_op 0
		.amdhsa_exception_fp_denorm_src 0
		.amdhsa_exception_fp_ieee_div_zero 0
		.amdhsa_exception_fp_ieee_overflow 0
		.amdhsa_exception_fp_ieee_underflow 0
		.amdhsa_exception_fp_ieee_inexact 0
		.amdhsa_exception_int_div_zero 0
	.end_amdhsa_kernel
	.section	.text._ZL26rocblas_syr2k_her2k_kernelIiLb1ELb0ELb1ELi32EPK19rocblas_complex_numIfES3_PS1_EvbiT_T4_T5_S5_lS7_S5_lT6_S5_li,"axG",@progbits,_ZL26rocblas_syr2k_her2k_kernelIiLb1ELb0ELb1ELi32EPK19rocblas_complex_numIfES3_PS1_EvbiT_T4_T5_S5_lS7_S5_lT6_S5_li,comdat
.Lfunc_end1907:
	.size	_ZL26rocblas_syr2k_her2k_kernelIiLb1ELb0ELb1ELi32EPK19rocblas_complex_numIfES3_PS1_EvbiT_T4_T5_S5_lS7_S5_lT6_S5_li, .Lfunc_end1907-_ZL26rocblas_syr2k_her2k_kernelIiLb1ELb0ELb1ELi32EPK19rocblas_complex_numIfES3_PS1_EvbiT_T4_T5_S5_lS7_S5_lT6_S5_li
                                        ; -- End function
	.set _ZL26rocblas_syr2k_her2k_kernelIiLb1ELb0ELb1ELi32EPK19rocblas_complex_numIfES3_PS1_EvbiT_T4_T5_S5_lS7_S5_lT6_S5_li.num_vgpr, 43
	.set _ZL26rocblas_syr2k_her2k_kernelIiLb1ELb0ELb1ELi32EPK19rocblas_complex_numIfES3_PS1_EvbiT_T4_T5_S5_lS7_S5_lT6_S5_li.num_agpr, 0
	.set _ZL26rocblas_syr2k_her2k_kernelIiLb1ELb0ELb1ELi32EPK19rocblas_complex_numIfES3_PS1_EvbiT_T4_T5_S5_lS7_S5_lT6_S5_li.numbered_sgpr, 24
	.set _ZL26rocblas_syr2k_her2k_kernelIiLb1ELb0ELb1ELi32EPK19rocblas_complex_numIfES3_PS1_EvbiT_T4_T5_S5_lS7_S5_lT6_S5_li.num_named_barrier, 0
	.set _ZL26rocblas_syr2k_her2k_kernelIiLb1ELb0ELb1ELi32EPK19rocblas_complex_numIfES3_PS1_EvbiT_T4_T5_S5_lS7_S5_lT6_S5_li.private_seg_size, 0
	.set _ZL26rocblas_syr2k_her2k_kernelIiLb1ELb0ELb1ELi32EPK19rocblas_complex_numIfES3_PS1_EvbiT_T4_T5_S5_lS7_S5_lT6_S5_li.uses_vcc, 1
	.set _ZL26rocblas_syr2k_her2k_kernelIiLb1ELb0ELb1ELi32EPK19rocblas_complex_numIfES3_PS1_EvbiT_T4_T5_S5_lS7_S5_lT6_S5_li.uses_flat_scratch, 0
	.set _ZL26rocblas_syr2k_her2k_kernelIiLb1ELb0ELb1ELi32EPK19rocblas_complex_numIfES3_PS1_EvbiT_T4_T5_S5_lS7_S5_lT6_S5_li.has_dyn_sized_stack, 0
	.set _ZL26rocblas_syr2k_her2k_kernelIiLb1ELb0ELb1ELi32EPK19rocblas_complex_numIfES3_PS1_EvbiT_T4_T5_S5_lS7_S5_lT6_S5_li.has_recursion, 0
	.set _ZL26rocblas_syr2k_her2k_kernelIiLb1ELb0ELb1ELi32EPK19rocblas_complex_numIfES3_PS1_EvbiT_T4_T5_S5_lS7_S5_lT6_S5_li.has_indirect_call, 0
	.section	.AMDGPU.csdata,"",@progbits
; Kernel info:
; codeLenInByte = 3464
; TotalNumSgprs: 28
; NumVgprs: 43
; ScratchSize: 0
; MemoryBound: 0
; FloatMode: 240
; IeeeMode: 1
; LDSByteSize: 16384 bytes/workgroup (compile time only)
; SGPRBlocks: 8
; VGPRBlocks: 10
; NumSGPRsForWavesPerEU: 65
; NumVGPRsForWavesPerEU: 43
; Occupancy: 5
; WaveLimiterHint : 0
; COMPUTE_PGM_RSRC2:SCRATCH_EN: 0
; COMPUTE_PGM_RSRC2:USER_SGPR: 6
; COMPUTE_PGM_RSRC2:TRAP_HANDLER: 0
; COMPUTE_PGM_RSRC2:TGID_X_EN: 1
; COMPUTE_PGM_RSRC2:TGID_Y_EN: 1
; COMPUTE_PGM_RSRC2:TGID_Z_EN: 1
; COMPUTE_PGM_RSRC2:TIDIG_COMP_CNT: 1
	.section	.text._ZL26rocblas_syr2k_her2k_kernelIiLb1ELb0ELb0ELi32E19rocblas_complex_numIdEPKS1_PS1_EvbiT_T4_T5_S5_lS7_S5_lT6_S5_li,"axG",@progbits,_ZL26rocblas_syr2k_her2k_kernelIiLb1ELb0ELb0ELi32E19rocblas_complex_numIdEPKS1_PS1_EvbiT_T4_T5_S5_lS7_S5_lT6_S5_li,comdat
	.globl	_ZL26rocblas_syr2k_her2k_kernelIiLb1ELb0ELb0ELi32E19rocblas_complex_numIdEPKS1_PS1_EvbiT_T4_T5_S5_lS7_S5_lT6_S5_li ; -- Begin function _ZL26rocblas_syr2k_her2k_kernelIiLb1ELb0ELb0ELi32E19rocblas_complex_numIdEPKS1_PS1_EvbiT_T4_T5_S5_lS7_S5_lT6_S5_li
	.p2align	8
	.type	_ZL26rocblas_syr2k_her2k_kernelIiLb1ELb0ELb0ELi32E19rocblas_complex_numIdEPKS1_PS1_EvbiT_T4_T5_S5_lS7_S5_lT6_S5_li,@function
_ZL26rocblas_syr2k_her2k_kernelIiLb1ELb0ELb0ELi32E19rocblas_complex_numIdEPKS1_PS1_EvbiT_T4_T5_S5_lS7_S5_lT6_S5_li: ; @_ZL26rocblas_syr2k_her2k_kernelIiLb1ELb0ELb0ELi32E19rocblas_complex_numIdEPKS1_PS1_EvbiT_T4_T5_S5_lS7_S5_lT6_S5_li
; %bb.0:
	s_load_dwordx4 s[12:15], s[4:5], 0x10
	s_waitcnt lgkmcnt(0)
	v_cmp_eq_f64_e64 s[0:1], s[12:13], 0
	v_cmp_eq_f64_e64 s[2:3], s[14:15], 0
	s_and_b64 s[0:1], s[0:1], s[2:3]
	s_and_b64 vcc, exec, s[0:1]
	s_cbranch_vccnz .LBB1908_17
; %bb.1:
	s_load_dwordx4 s[16:19], s[4:5], 0x0
	s_lshl_b32 s0, s7, 5
	s_lshl_b32 s1, s6, 5
	s_waitcnt lgkmcnt(0)
	s_and_b32 s2, 1, s16
	s_cmp_eq_u32 s2, 1
	s_cselect_b64 vcc, -1, 0
	s_and_b64 s[2:3], vcc, exec
	s_cselect_b32 s2, s1, s0
	s_cselect_b32 s3, s0, s1
	s_cmp_gt_i32 s2, s3
	s_cbranch_scc1 .LBB1908_17
; %bb.2:
	s_cmp_lt_i32 s18, 1
	s_cbranch_scc1 .LBB1908_17
; %bb.3:
	s_load_dwordx2 s[2:3], s[4:5], 0x20
	s_load_dword s16, s[4:5], 0x28
	s_load_dwordx4 s[20:23], s[4:5], 0x30
	s_load_dword s19, s[4:5], 0x40
	s_load_dwordx4 s[24:27], s[4:5], 0x48
	s_load_dword s9, s[4:5], 0x58
	s_load_dwordx2 s[6:7], s[4:5], 0x60
	s_waitcnt lgkmcnt(0)
	s_mul_i32 s4, s21, s8
	s_mul_hi_u32 s5, s20, s8
	s_add_i32 s5, s5, s4
	s_mul_i32 s4, s20, s8
	s_lshl_b64 s[4:5], s[4:5], 4
	s_add_u32 s10, s2, s4
	s_addc_u32 s11, s3, s5
	s_mul_i32 s2, s25, s8
	s_mul_hi_u32 s3, s24, s8
	v_add_u32_e32 v3, s1, v0
	s_add_i32 s3, s3, s2
	s_mul_i32 s2, s24, s8
	v_ashrrev_i32_e32 v4, 31, v3
	s_lshl_b64 s[2:3], s[2:3], 4
	v_lshlrev_b64 v[4:5], 4, v[3:4]
	s_add_u32 s20, s22, s2
	v_add_u32_e32 v2, s0, v1
	s_addc_u32 s21, s23, s3
	s_mul_i32 s2, s7, s8
	s_mul_hi_u32 s3, s6, s8
	v_cndmask_b32_e32 v8, v3, v2, vcc
	v_cndmask_b32_e32 v9, v2, v3, vcc
	v_cmp_gt_i32_e32 vcc, s17, v3
	v_mov_b32_e32 v3, s11
	v_add_co_u32_e64 v24, s[0:1], s10, v4
	s_add_i32 s3, s3, s2
	s_mul_i32 s2, s6, s8
	v_addc_co_u32_e64 v25, s[0:1], v3, v5, s[0:1]
	v_ashrrev_i32_e32 v3, 31, v2
	s_lshl_b64 s[2:3], s[2:3], 4
	v_lshlrev_b64 v[6:7], 4, v[2:3]
	s_add_u32 s6, s26, s2
	s_addc_u32 s7, s27, s3
	v_mov_b32_e32 v3, s21
	v_add_co_u32_e64 v28, s[2:3], s20, v6
	v_cmp_gt_i32_e64 s[0:1], s17, v2
	v_addc_co_u32_e64 v29, s[2:3], v3, v7, s[2:3]
	v_mad_i64_i32 v[2:3], s[2:3], s9, v2, 0
	v_cmp_le_i32_e64 s[2:3], v9, v8
	s_and_b64 s[4:5], s[0:1], vcc
	v_lshlrev_b64 v[2:3], 4, v[2:3]
	s_and_b64 s[4:5], s[4:5], s[2:3]
	v_mov_b32_e32 v8, s7
	v_add_co_u32_e64 v2, s[2:3], s6, v2
	v_addc_co_u32_e64 v3, s[2:3], v8, v3, s[2:3]
	v_add_co_u32_e64 v22, s[2:3], v2, v4
	v_addc_co_u32_e64 v23, s[2:3], v3, v5, s[2:3]
	v_mov_b32_e32 v2, s21
	v_add_co_u32_e64 v32, s[2:3], s20, v4
	v_lshlrev_b32_e32 v10, 4, v1
	v_addc_co_u32_e64 v33, s[2:3], v2, v5, s[2:3]
	v_lshlrev_b32_e32 v26, 9, v0
	v_or_b32_e32 v30, 0x4000, v10
	v_mov_b32_e32 v2, s11
	v_add_co_u32_e64 v34, s[2:3], s10, v6
	v_add_u32_e32 v27, v26, v10
	v_add_u32_e32 v31, v30, v26
	v_addc_co_u32_e64 v35, s[2:3], v2, v7, s[2:3]
	s_mov_b32 s17, 0
	s_branch .LBB1908_5
.LBB1908_4:                             ;   in Loop: Header=BB1908_5 Depth=1
	s_or_b64 exec, exec, s[2:3]
	s_add_i32 s17, s17, 32
	s_cmp_lt_i32 s17, s18
	s_waitcnt vmcnt(0)
	s_barrier
	s_cbranch_scc0 .LBB1908_17
.LBB1908_5:                             ; =>This Inner Loop Header: Depth=1
	v_add_u32_e32 v10, s17, v1
	v_cmp_gt_i32_e64 s[2:3], s18, v10
	v_mov_b32_e32 v2, 0
	v_mov_b32_e32 v4, 0
	;; [unrolled: 1-line block ×6, first 2 shown]
	s_and_b64 s[6:7], vcc, s[2:3]
	s_and_saveexec_b64 s[8:9], s[6:7]
	s_cbranch_execz .LBB1908_7
; %bb.6:                                ;   in Loop: Header=BB1908_5 Depth=1
	v_mad_i64_i32 v[4:5], s[2:3], v10, s16, 0
	v_lshlrev_b64 v[4:5], 4, v[4:5]
	v_add_co_u32_e64 v4, s[2:3], v24, v4
	v_addc_co_u32_e64 v5, s[2:3], v25, v5, s[2:3]
	global_load_dwordx4 v[4:7], v[4:5], off
.LBB1908_7:                             ;   in Loop: Header=BB1908_5 Depth=1
	s_or_b64 exec, exec, s[8:9]
	v_add_u32_e32 v11, s17, v0
	s_waitcnt vmcnt(0)
	ds_write_b128 v27, v[4:7]
	v_cmp_gt_i32_e64 s[2:3], s18, v11
	v_mov_b32_e32 v4, 0
	v_mov_b32_e32 v5, 0
	s_and_b64 s[8:9], s[0:1], s[2:3]
	s_and_saveexec_b64 s[10:11], s[8:9]
	s_cbranch_execz .LBB1908_9
; %bb.8:                                ;   in Loop: Header=BB1908_5 Depth=1
	v_mad_i64_i32 v[2:3], s[2:3], v11, s19, 0
	v_lshlrev_b64 v[2:3], 4, v[2:3]
	v_add_co_u32_e64 v2, s[2:3], v28, v2
	v_addc_co_u32_e64 v3, s[2:3], v29, v3, s[2:3]
	global_load_dwordx4 v[2:5], v[2:3], off
.LBB1908_9:                             ;   in Loop: Header=BB1908_5 Depth=1
	s_or_b64 exec, exec, s[10:11]
	s_waitcnt vmcnt(0)
	ds_write_b128 v31, v[2:5]
	s_waitcnt lgkmcnt(0)
	s_barrier
	s_and_saveexec_b64 s[2:3], s[4:5]
	s_cbranch_execz .LBB1908_11
; %bb.10:                               ;   in Loop: Header=BB1908_5 Depth=1
	ds_read_b128 v[6:9], v30
	ds_read_b128 v[12:15], v26
	ds_read_b128 v[16:19], v26 offset:16
	ds_read_b128 v[36:39], v26 offset:32
	;; [unrolled: 1-line block ×3, first 2 shown]
	s_waitcnt lgkmcnt(3)
	v_mul_f64 v[20:21], v[8:9], v[14:15]
	v_fma_f64 v[20:21], v[6:7], v[12:13], -v[20:21]
	v_mul_f64 v[6:7], v[6:7], v[14:15]
	v_fma_f64 v[6:7], v[8:9], v[12:13], v[6:7]
	v_add_f64 v[12:13], v[20:21], 0
	v_add_f64 v[14:15], v[6:7], 0
	ds_read_b128 v[6:9], v30 offset:512
	s_waitcnt lgkmcnt(0)
	v_mul_f64 v[20:21], v[8:9], v[18:19]
	v_fma_f64 v[20:21], v[6:7], v[16:17], -v[20:21]
	v_mul_f64 v[6:7], v[6:7], v[18:19]
	v_add_f64 v[12:13], v[12:13], v[20:21]
	v_fma_f64 v[6:7], v[8:9], v[16:17], v[6:7]
	v_add_f64 v[14:15], v[14:15], v[6:7]
	ds_read_b128 v[6:9], v30 offset:1024
	s_waitcnt lgkmcnt(0)
	v_mul_f64 v[16:17], v[8:9], v[38:39]
	v_fma_f64 v[16:17], v[6:7], v[36:37], -v[16:17]
	v_mul_f64 v[6:7], v[6:7], v[38:39]
	v_add_f64 v[12:13], v[12:13], v[16:17]
	v_fma_f64 v[6:7], v[8:9], v[36:37], v[6:7]
	v_add_f64 v[14:15], v[14:15], v[6:7]
	ds_read_b128 v[6:9], v30 offset:1536
	s_waitcnt lgkmcnt(0)
	v_mul_f64 v[16:17], v[8:9], v[4:5]
	v_mul_f64 v[4:5], v[6:7], v[4:5]
	v_fma_f64 v[16:17], v[6:7], v[2:3], -v[16:17]
	v_fma_f64 v[2:3], v[8:9], v[2:3], v[4:5]
	v_add_f64 v[12:13], v[12:13], v[16:17]
	v_add_f64 v[14:15], v[14:15], v[2:3]
	ds_read_b128 v[2:5], v30 offset:2048
	ds_read_b128 v[6:9], v26 offset:64
	s_waitcnt lgkmcnt(0)
	v_mul_f64 v[16:17], v[4:5], v[8:9]
	v_fma_f64 v[16:17], v[2:3], v[6:7], -v[16:17]
	v_mul_f64 v[2:3], v[2:3], v[8:9]
	v_add_f64 v[12:13], v[12:13], v[16:17]
	v_fma_f64 v[2:3], v[4:5], v[6:7], v[2:3]
	v_add_f64 v[14:15], v[14:15], v[2:3]
	ds_read_b128 v[2:5], v30 offset:2560
	ds_read_b128 v[6:9], v26 offset:80
	s_waitcnt lgkmcnt(0)
	v_mul_f64 v[16:17], v[4:5], v[8:9]
	v_fma_f64 v[16:17], v[2:3], v[6:7], -v[16:17]
	v_mul_f64 v[2:3], v[2:3], v[8:9]
	v_add_f64 v[12:13], v[12:13], v[16:17]
	v_fma_f64 v[2:3], v[4:5], v[6:7], v[2:3]
	;; [unrolled: 9-line block ×27, first 2 shown]
	v_add_f64 v[14:15], v[14:15], v[2:3]
	ds_read_b128 v[2:5], v30 offset:15872
	ds_read_b128 v[6:9], v26 offset:496
	s_waitcnt lgkmcnt(0)
	v_mul_f64 v[16:17], v[4:5], v[8:9]
	v_fma_f64 v[16:17], v[2:3], v[6:7], -v[16:17]
	v_mul_f64 v[2:3], v[2:3], v[8:9]
	v_fma_f64 v[2:3], v[4:5], v[6:7], v[2:3]
	v_add_f64 v[4:5], v[12:13], v[16:17]
	v_add_f64 v[2:3], v[14:15], v[2:3]
	v_mul_f64 v[6:7], s[14:15], v[2:3]
	v_mul_f64 v[2:3], s[12:13], v[2:3]
	v_fma_f64 v[6:7], s[12:13], v[4:5], -v[6:7]
	v_fma_f64 v[8:9], s[14:15], v[4:5], v[2:3]
	global_load_dwordx4 v[2:5], v[22:23], off
	s_waitcnt vmcnt(0)
	v_add_f64 v[2:3], v[2:3], v[6:7]
	v_add_f64 v[4:5], v[4:5], v[8:9]
	global_store_dwordx4 v[22:23], v[2:5], off
.LBB1908_11:                            ;   in Loop: Header=BB1908_5 Depth=1
	s_or_b64 exec, exec, s[2:3]
	v_mov_b32_e32 v4, 0
	v_mov_b32_e32 v8, 0
	;; [unrolled: 1-line block ×6, first 2 shown]
	s_waitcnt vmcnt(0)
	s_barrier
	s_and_saveexec_b64 s[10:11], s[6:7]
	s_cbranch_execz .LBB1908_13
; %bb.12:                               ;   in Loop: Header=BB1908_5 Depth=1
	v_mad_i64_i32 v[2:3], s[2:3], v10, s19, 0
	v_lshlrev_b64 v[2:3], 4, v[2:3]
	v_add_co_u32_e64 v2, s[2:3], v32, v2
	v_addc_co_u32_e64 v3, s[2:3], v33, v3, s[2:3]
	global_load_dwordx4 v[6:9], v[2:3], off
.LBB1908_13:                            ;   in Loop: Header=BB1908_5 Depth=1
	s_or_b64 exec, exec, s[10:11]
	v_mov_b32_e32 v2, 0
	v_mov_b32_e32 v3, 0
	s_waitcnt vmcnt(0)
	ds_write_b128 v27, v[6:9]
	s_and_saveexec_b64 s[6:7], s[8:9]
	s_cbranch_execz .LBB1908_15
; %bb.14:                               ;   in Loop: Header=BB1908_5 Depth=1
	v_mad_i64_i32 v[2:3], s[2:3], v11, s16, 0
	v_lshlrev_b64 v[2:3], 4, v[2:3]
	v_add_co_u32_e64 v2, s[2:3], v34, v2
	v_addc_co_u32_e64 v3, s[2:3], v35, v3, s[2:3]
	global_load_dwordx4 v[2:5], v[2:3], off
.LBB1908_15:                            ;   in Loop: Header=BB1908_5 Depth=1
	s_or_b64 exec, exec, s[6:7]
	s_waitcnt vmcnt(0)
	ds_write_b128 v31, v[2:5]
	s_waitcnt lgkmcnt(0)
	s_barrier
	s_and_saveexec_b64 s[2:3], s[4:5]
	s_cbranch_execz .LBB1908_4
; %bb.16:                               ;   in Loop: Header=BB1908_5 Depth=1
	ds_read_b128 v[2:5], v30
	ds_read_b128 v[6:9], v26
	ds_read_b128 v[10:13], v26 offset:16
	ds_read_b128 v[14:17], v30 offset:512
	;; [unrolled: 1-line block ×5, first 2 shown]
	s_waitcnt lgkmcnt(5)
	v_mul_f64 v[44:45], v[2:3], v[8:9]
	v_mul_f64 v[8:9], v[4:5], v[8:9]
	s_waitcnt lgkmcnt(3)
	v_mul_f64 v[46:47], v[16:17], v[12:13]
	v_mul_f64 v[12:13], v[14:15], v[12:13]
	;; [unrolled: 3-line block ×3, first 2 shown]
	v_fma_f64 v[44:45], v[4:5], v[6:7], v[44:45]
	v_fma_f64 v[48:49], v[2:3], v[6:7], -v[8:9]
	v_fma_f64 v[46:47], v[14:15], v[10:11], -v[46:47]
	v_fma_f64 v[52:53], v[16:17], v[10:11], v[12:13]
	ds_read_b128 v[2:5], v30 offset:1536
	ds_read_b128 v[6:9], v26 offset:64
	v_fma_f64 v[50:51], v[18:19], v[36:37], -v[50:51]
	v_fma_f64 v[56:57], v[20:21], v[36:37], v[38:39]
	ds_read_b128 v[10:13], v30 offset:2048
	ds_read_b128 v[14:17], v30 offset:2560
	v_add_f64 v[44:45], v[44:45], 0
	v_add_f64 v[48:49], v[48:49], 0
	s_waitcnt lgkmcnt(3)
	v_mul_f64 v[54:55], v[4:5], v[42:43]
	v_mul_f64 v[42:43], v[2:3], v[42:43]
	ds_read_b128 v[18:21], v26 offset:80
	ds_read_b128 v[36:39], v26 offset:96
	v_add_f64 v[44:45], v[44:45], v[52:53]
	v_add_f64 v[46:47], v[48:49], v[46:47]
	s_waitcnt lgkmcnt(3)
	v_mul_f64 v[48:49], v[12:13], v[8:9]
	v_mul_f64 v[8:9], v[10:11], v[8:9]
	v_fma_f64 v[52:53], v[2:3], v[40:41], -v[54:55]
	v_fma_f64 v[54:55], v[4:5], v[40:41], v[42:43]
	ds_read_b128 v[2:5], v30 offset:3072
	ds_read_b128 v[40:43], v30 offset:3584
	v_add_f64 v[44:45], v[44:45], v[56:57]
	v_add_f64 v[46:47], v[46:47], v[50:51]
	s_waitcnt lgkmcnt(3)
	v_mul_f64 v[50:51], v[16:17], v[20:21]
	v_mul_f64 v[20:21], v[14:15], v[20:21]
	v_fma_f64 v[48:49], v[10:11], v[6:7], -v[48:49]
	v_fma_f64 v[56:57], v[12:13], v[6:7], v[8:9]
	;; [unrolled: 9-line block ×15, first 2 shown]
	s_waitcnt lgkmcnt(1)
	v_mul_f64 v[54:55], v[42:43], v[8:9]
	v_mul_f64 v[56:57], v[40:41], v[8:9]
	v_add_f64 v[20:21], v[44:45], v[16:17]
	v_add_f64 v[48:49], v[46:47], v[48:49]
	v_fma_f64 v[52:53], v[2:3], v[36:37], -v[52:53]
	v_fma_f64 v[36:37], v[4:5], v[36:37], v[38:39]
	ds_read_b128 v[16:19], v30 offset:10240
	ds_read_b128 v[44:47], v30 offset:10752
	v_add_f64 v[20:21], v[20:21], v[10:11]
	v_add_f64 v[38:39], v[48:49], v[50:51]
	s_waitcnt lgkmcnt(1)
	v_mul_f64 v[48:49], v[18:19], v[14:15]
	v_mul_f64 v[14:15], v[16:17], v[14:15]
	v_fma_f64 v[50:51], v[40:41], v[6:7], -v[54:55]
	v_fma_f64 v[6:7], v[42:43], v[6:7], v[56:57]
	ds_read_b128 v[2:5], v26 offset:336
	ds_read_b128 v[8:11], v26 offset:352
	v_add_f64 v[20:21], v[20:21], v[36:37]
	v_add_f64 v[52:53], v[38:39], v[52:53]
	s_waitcnt lgkmcnt(1)
	v_mul_f64 v[54:55], v[46:47], v[4:5]
	v_mul_f64 v[4:5], v[44:45], v[4:5]
	;; [unrolled: 9-line block ×3, first 2 shown]
	v_fma_f64 v[52:53], v[44:45], v[2:3], -v[54:55]
	v_fma_f64 v[54:55], v[46:47], v[2:3], v[4:5]
	ds_read_b128 v[14:17], v26 offset:368
	ds_read_b128 v[48:51], v26 offset:384
	;; [unrolled: 1-line block ×4, first 2 shown]
	v_add_f64 v[6:7], v[6:7], v[12:13]
	v_add_f64 v[12:13], v[18:19], v[56:57]
	s_waitcnt lgkmcnt(3)
	v_mul_f64 v[18:19], v[42:43], v[16:17]
	v_mul_f64 v[16:17], v[40:41], v[16:17]
	v_fma_f64 v[20:21], v[36:37], v[8:9], -v[20:21]
	v_fma_f64 v[36:37], v[38:39], v[8:9], v[10:11]
	v_add_f64 v[38:39], v[6:7], v[54:55]
	v_add_f64 v[52:53], v[12:13], v[52:53]
	s_waitcnt lgkmcnt(1)
	v_mul_f64 v[54:55], v[46:47], v[50:51]
	v_mul_f64 v[50:51], v[44:45], v[50:51]
	v_fma_f64 v[40:41], v[40:41], v[14:15], -v[18:19]
	v_fma_f64 v[42:43], v[42:43], v[14:15], v[16:17]
	ds_read_b128 v[6:9], v26 offset:400
	ds_read_b128 v[10:13], v26 offset:416
	v_add_f64 v[36:37], v[38:39], v[36:37]
	v_add_f64 v[38:39], v[52:53], v[20:21]
	s_waitcnt lgkmcnt(1)
	v_mul_f64 v[52:53], v[4:5], v[8:9]
	v_mul_f64 v[8:9], v[2:3], v[8:9]
	v_fma_f64 v[44:45], v[44:45], v[48:49], -v[54:55]
	v_fma_f64 v[46:47], v[46:47], v[48:49], v[50:51]
	ds_read_b128 v[14:17], v30 offset:13312
	ds_read_b128 v[18:21], v30 offset:13824
	v_add_f64 v[48:49], v[36:37], v[42:43]
	v_add_f64 v[50:51], v[38:39], v[40:41]
	global_load_dwordx4 v[40:43], v[22:23], off
	s_waitcnt lgkmcnt(1)
	v_mul_f64 v[54:55], v[16:17], v[12:13]
	v_mul_f64 v[12:13], v[14:15], v[12:13]
	v_fma_f64 v[52:53], v[2:3], v[6:7], -v[52:53]
	v_fma_f64 v[56:57], v[4:5], v[6:7], v[8:9]
	ds_read_b128 v[36:39], v26 offset:432
	v_add_f64 v[46:47], v[48:49], v[46:47]
	v_add_f64 v[44:45], v[50:51], v[44:45]
	ds_read_b128 v[2:5], v26 offset:448
	ds_read_b128 v[6:9], v30 offset:14336
	v_fma_f64 v[50:51], v[14:15], v[10:11], -v[54:55]
	s_waitcnt lgkmcnt(2)
	v_mul_f64 v[48:49], v[20:21], v[38:39]
	v_mul_f64 v[38:39], v[18:19], v[38:39]
	v_fma_f64 v[54:55], v[16:17], v[10:11], v[12:13]
	ds_read_b128 v[10:13], v30 offset:14848
	ds_read_b128 v[14:17], v26 offset:464
	v_add_f64 v[46:47], v[46:47], v[56:57]
	v_add_f64 v[44:45], v[44:45], v[52:53]
	s_waitcnt lgkmcnt(2)
	v_mul_f64 v[52:53], v[8:9], v[4:5]
	v_mul_f64 v[4:5], v[6:7], v[4:5]
	v_fma_f64 v[48:49], v[18:19], v[36:37], -v[48:49]
	v_fma_f64 v[56:57], v[20:21], v[36:37], v[38:39]
	ds_read_b128 v[18:21], v26 offset:480
	ds_read_b128 v[36:39], v30 offset:15360
	v_add_f64 v[46:47], v[46:47], v[54:55]
	v_add_f64 v[44:45], v[44:45], v[50:51]
	s_waitcnt lgkmcnt(2)
	v_mul_f64 v[50:51], v[12:13], v[16:17]
	v_mul_f64 v[16:17], v[10:11], v[16:17]
	v_fma_f64 v[52:53], v[6:7], v[2:3], -v[52:53]
	;; [unrolled: 9-line block ×3, first 2 shown]
	v_fma_f64 v[12:13], v[12:13], v[14:15], v[16:17]
	v_add_f64 v[14:15], v[46:47], v[54:55]
	v_add_f64 v[16:17], v[44:45], v[52:53]
	s_waitcnt lgkmcnt(0)
	v_mul_f64 v[44:45], v[4:5], v[8:9]
	v_mul_f64 v[8:9], v[2:3], v[8:9]
	v_fma_f64 v[36:37], v[36:37], v[18:19], -v[48:49]
	v_fma_f64 v[18:19], v[38:39], v[18:19], v[20:21]
	v_add_f64 v[12:13], v[14:15], v[12:13]
	v_add_f64 v[10:11], v[16:17], v[10:11]
	v_fma_f64 v[2:3], v[2:3], v[6:7], -v[44:45]
	v_fma_f64 v[4:5], v[4:5], v[6:7], v[8:9]
	v_add_f64 v[6:7], v[12:13], v[18:19]
	v_add_f64 v[8:9], v[10:11], v[36:37]
	;; [unrolled: 1-line block ×4, first 2 shown]
	v_mul_f64 v[6:7], s[14:15], v[4:5]
	v_mul_f64 v[8:9], s[14:15], v[2:3]
	v_fma_f64 v[2:3], s[12:13], v[2:3], -v[6:7]
	v_fma_f64 v[4:5], s[12:13], v[4:5], v[8:9]
	s_waitcnt vmcnt(0)
	v_add_f64 v[2:3], v[40:41], v[2:3]
	v_add_f64 v[4:5], v[42:43], v[4:5]
	global_store_dwordx4 v[22:23], v[2:5], off
	s_branch .LBB1908_4
.LBB1908_17:
	s_endpgm
	.section	.rodata,"a",@progbits
	.p2align	6, 0x0
	.amdhsa_kernel _ZL26rocblas_syr2k_her2k_kernelIiLb1ELb0ELb0ELi32E19rocblas_complex_numIdEPKS1_PS1_EvbiT_T4_T5_S5_lS7_S5_lT6_S5_li
		.amdhsa_group_segment_fixed_size 32768
		.amdhsa_private_segment_fixed_size 0
		.amdhsa_kernarg_size 108
		.amdhsa_user_sgpr_count 6
		.amdhsa_user_sgpr_private_segment_buffer 1
		.amdhsa_user_sgpr_dispatch_ptr 0
		.amdhsa_user_sgpr_queue_ptr 0
		.amdhsa_user_sgpr_kernarg_segment_ptr 1
		.amdhsa_user_sgpr_dispatch_id 0
		.amdhsa_user_sgpr_flat_scratch_init 0
		.amdhsa_user_sgpr_private_segment_size 0
		.amdhsa_uses_dynamic_stack 0
		.amdhsa_system_sgpr_private_segment_wavefront_offset 0
		.amdhsa_system_sgpr_workgroup_id_x 1
		.amdhsa_system_sgpr_workgroup_id_y 1
		.amdhsa_system_sgpr_workgroup_id_z 1
		.amdhsa_system_sgpr_workgroup_info 0
		.amdhsa_system_vgpr_workitem_id 1
		.amdhsa_next_free_vgpr 58
		.amdhsa_next_free_sgpr 61
		.amdhsa_reserve_vcc 1
		.amdhsa_reserve_flat_scratch 0
		.amdhsa_float_round_mode_32 0
		.amdhsa_float_round_mode_16_64 0
		.amdhsa_float_denorm_mode_32 3
		.amdhsa_float_denorm_mode_16_64 3
		.amdhsa_dx10_clamp 1
		.amdhsa_ieee_mode 1
		.amdhsa_fp16_overflow 0
		.amdhsa_exception_fp_ieee_invalid_op 0
		.amdhsa_exception_fp_denorm_src 0
		.amdhsa_exception_fp_ieee_div_zero 0
		.amdhsa_exception_fp_ieee_overflow 0
		.amdhsa_exception_fp_ieee_underflow 0
		.amdhsa_exception_fp_ieee_inexact 0
		.amdhsa_exception_int_div_zero 0
	.end_amdhsa_kernel
	.section	.text._ZL26rocblas_syr2k_her2k_kernelIiLb1ELb0ELb0ELi32E19rocblas_complex_numIdEPKS1_PS1_EvbiT_T4_T5_S5_lS7_S5_lT6_S5_li,"axG",@progbits,_ZL26rocblas_syr2k_her2k_kernelIiLb1ELb0ELb0ELi32E19rocblas_complex_numIdEPKS1_PS1_EvbiT_T4_T5_S5_lS7_S5_lT6_S5_li,comdat
.Lfunc_end1908:
	.size	_ZL26rocblas_syr2k_her2k_kernelIiLb1ELb0ELb0ELi32E19rocblas_complex_numIdEPKS1_PS1_EvbiT_T4_T5_S5_lS7_S5_lT6_S5_li, .Lfunc_end1908-_ZL26rocblas_syr2k_her2k_kernelIiLb1ELb0ELb0ELi32E19rocblas_complex_numIdEPKS1_PS1_EvbiT_T4_T5_S5_lS7_S5_lT6_S5_li
                                        ; -- End function
	.set _ZL26rocblas_syr2k_her2k_kernelIiLb1ELb0ELb0ELi32E19rocblas_complex_numIdEPKS1_PS1_EvbiT_T4_T5_S5_lS7_S5_lT6_S5_li.num_vgpr, 58
	.set _ZL26rocblas_syr2k_her2k_kernelIiLb1ELb0ELb0ELi32E19rocblas_complex_numIdEPKS1_PS1_EvbiT_T4_T5_S5_lS7_S5_lT6_S5_li.num_agpr, 0
	.set _ZL26rocblas_syr2k_her2k_kernelIiLb1ELb0ELb0ELi32E19rocblas_complex_numIdEPKS1_PS1_EvbiT_T4_T5_S5_lS7_S5_lT6_S5_li.numbered_sgpr, 28
	.set _ZL26rocblas_syr2k_her2k_kernelIiLb1ELb0ELb0ELi32E19rocblas_complex_numIdEPKS1_PS1_EvbiT_T4_T5_S5_lS7_S5_lT6_S5_li.num_named_barrier, 0
	.set _ZL26rocblas_syr2k_her2k_kernelIiLb1ELb0ELb0ELi32E19rocblas_complex_numIdEPKS1_PS1_EvbiT_T4_T5_S5_lS7_S5_lT6_S5_li.private_seg_size, 0
	.set _ZL26rocblas_syr2k_her2k_kernelIiLb1ELb0ELb0ELi32E19rocblas_complex_numIdEPKS1_PS1_EvbiT_T4_T5_S5_lS7_S5_lT6_S5_li.uses_vcc, 1
	.set _ZL26rocblas_syr2k_her2k_kernelIiLb1ELb0ELb0ELi32E19rocblas_complex_numIdEPKS1_PS1_EvbiT_T4_T5_S5_lS7_S5_lT6_S5_li.uses_flat_scratch, 0
	.set _ZL26rocblas_syr2k_her2k_kernelIiLb1ELb0ELb0ELi32E19rocblas_complex_numIdEPKS1_PS1_EvbiT_T4_T5_S5_lS7_S5_lT6_S5_li.has_dyn_sized_stack, 0
	.set _ZL26rocblas_syr2k_her2k_kernelIiLb1ELb0ELb0ELi32E19rocblas_complex_numIdEPKS1_PS1_EvbiT_T4_T5_S5_lS7_S5_lT6_S5_li.has_recursion, 0
	.set _ZL26rocblas_syr2k_her2k_kernelIiLb1ELb0ELb0ELi32E19rocblas_complex_numIdEPKS1_PS1_EvbiT_T4_T5_S5_lS7_S5_lT6_S5_li.has_indirect_call, 0
	.section	.AMDGPU.csdata,"",@progbits
; Kernel info:
; codeLenInByte = 5392
; TotalNumSgprs: 32
; NumVgprs: 58
; ScratchSize: 0
; MemoryBound: 1
; FloatMode: 240
; IeeeMode: 1
; LDSByteSize: 32768 bytes/workgroup (compile time only)
; SGPRBlocks: 8
; VGPRBlocks: 14
; NumSGPRsForWavesPerEU: 65
; NumVGPRsForWavesPerEU: 58
; Occupancy: 4
; WaveLimiterHint : 0
; COMPUTE_PGM_RSRC2:SCRATCH_EN: 0
; COMPUTE_PGM_RSRC2:USER_SGPR: 6
; COMPUTE_PGM_RSRC2:TRAP_HANDLER: 0
; COMPUTE_PGM_RSRC2:TGID_X_EN: 1
; COMPUTE_PGM_RSRC2:TGID_Y_EN: 1
; COMPUTE_PGM_RSRC2:TGID_Z_EN: 1
; COMPUTE_PGM_RSRC2:TIDIG_COMP_CNT: 1
	.section	.text._ZL26rocblas_syr2k_her2k_kernelIiLb1ELb0ELb1ELi32E19rocblas_complex_numIdEPKS1_PS1_EvbiT_T4_T5_S5_lS7_S5_lT6_S5_li,"axG",@progbits,_ZL26rocblas_syr2k_her2k_kernelIiLb1ELb0ELb1ELi32E19rocblas_complex_numIdEPKS1_PS1_EvbiT_T4_T5_S5_lS7_S5_lT6_S5_li,comdat
	.globl	_ZL26rocblas_syr2k_her2k_kernelIiLb1ELb0ELb1ELi32E19rocblas_complex_numIdEPKS1_PS1_EvbiT_T4_T5_S5_lS7_S5_lT6_S5_li ; -- Begin function _ZL26rocblas_syr2k_her2k_kernelIiLb1ELb0ELb1ELi32E19rocblas_complex_numIdEPKS1_PS1_EvbiT_T4_T5_S5_lS7_S5_lT6_S5_li
	.p2align	8
	.type	_ZL26rocblas_syr2k_her2k_kernelIiLb1ELb0ELb1ELi32E19rocblas_complex_numIdEPKS1_PS1_EvbiT_T4_T5_S5_lS7_S5_lT6_S5_li,@function
_ZL26rocblas_syr2k_her2k_kernelIiLb1ELb0ELb1ELi32E19rocblas_complex_numIdEPKS1_PS1_EvbiT_T4_T5_S5_lS7_S5_lT6_S5_li: ; @_ZL26rocblas_syr2k_her2k_kernelIiLb1ELb0ELb1ELi32E19rocblas_complex_numIdEPKS1_PS1_EvbiT_T4_T5_S5_lS7_S5_lT6_S5_li
; %bb.0:
	s_load_dwordx4 s[12:15], s[4:5], 0x10
	s_waitcnt lgkmcnt(0)
	v_cmp_eq_f64_e64 s[0:1], s[12:13], 0
	v_cmp_eq_f64_e64 s[2:3], s[14:15], 0
	s_and_b64 s[0:1], s[0:1], s[2:3]
	s_and_b64 vcc, exec, s[0:1]
	s_cbranch_vccnz .LBB1909_17
; %bb.1:
	s_load_dwordx4 s[16:19], s[4:5], 0x0
	s_lshl_b32 s0, s7, 5
	s_lshl_b32 s1, s6, 5
	s_waitcnt lgkmcnt(0)
	s_and_b32 s2, 1, s16
	s_cmp_eq_u32 s2, 1
	s_cselect_b64 vcc, -1, 0
	s_and_b64 s[2:3], vcc, exec
	s_cselect_b32 s2, s1, s0
	s_cselect_b32 s3, s0, s1
	s_cmp_gt_i32 s2, s3
	s_cbranch_scc1 .LBB1909_17
; %bb.2:
	s_cmp_lt_i32 s18, 1
	s_cbranch_scc1 .LBB1909_17
; %bb.3:
	v_add_u32_e32 v2, s1, v0
	s_load_dwordx2 s[2:3], s[4:5], 0x20
	s_load_dword s9, s[4:5], 0x28
	s_load_dwordx4 s[20:23], s[4:5], 0x30
	s_load_dword s10, s[4:5], 0x40
	s_load_dwordx4 s[24:27], s[4:5], 0x48
	s_load_dword s11, s[4:5], 0x58
	s_load_dwordx2 s[6:7], s[4:5], 0x60
	v_add_u32_e32 v7, s0, v1
	s_waitcnt lgkmcnt(0)
	v_mad_i64_i32 v[4:5], s[0:1], s9, v2, 0
	s_mul_i32 s4, s21, s8
	s_mul_hi_u32 s5, s20, s8
	s_add_i32 s5, s5, s4
	s_mul_i32 s4, s20, s8
	s_lshl_b64 s[4:5], s[4:5], 4
	s_add_u32 s16, s2, s4
	v_lshlrev_b64 v[4:5], 4, v[4:5]
	s_addc_u32 s19, s3, s5
	s_mul_i32 s2, s25, s8
	s_mul_hi_u32 s3, s24, s8
	s_add_i32 s3, s3, s2
	s_mul_i32 s2, s24, s8
	v_mov_b32_e32 v9, s19
	v_add_co_u32_e64 v24, s[0:1], s16, v4
	s_lshl_b64 s[2:3], s[2:3], 4
	v_addc_co_u32_e64 v25, s[0:1], v9, v5, s[0:1]
	v_mad_i64_i32 v[4:5], s[0:1], s10, v7, 0
	s_add_u32 s20, s22, s2
	s_addc_u32 s21, s23, s3
	s_mul_i32 s2, s7, s8
	s_mul_hi_u32 s3, s6, s8
	s_add_i32 s3, s3, s2
	s_mul_i32 s2, s6, s8
	s_lshl_b64 s[2:3], s[2:3], 4
	v_lshlrev_b64 v[4:5], 4, v[4:5]
	s_add_u32 s6, s26, s2
	s_addc_u32 s7, s27, s3
	v_mov_b32_e32 v10, s21
	v_add_co_u32_e64 v28, s[2:3], s20, v4
	v_addc_co_u32_e64 v29, s[2:3], v10, v5, s[2:3]
	v_mad_i64_i32 v[4:5], s[2:3], s11, v7, 0
	v_cndmask_b32_e32 v6, v2, v7, vcc
	v_cndmask_b32_e32 v8, v7, v2, vcc
	v_cmp_gt_i32_e32 vcc, s17, v2
	v_cmp_gt_i32_e64 s[0:1], s17, v7
	v_lshlrev_b64 v[4:5], 4, v[4:5]
	v_cmp_le_i32_e64 s[2:3], v8, v6
	s_and_b64 s[4:5], s[0:1], vcc
	v_lshlrev_b32_e32 v26, 9, v0
	v_lshlrev_b32_e32 v9, 4, v1
	s_and_b64 s[4:5], s[4:5], s[2:3]
	v_mov_b32_e32 v6, s7
	v_add_co_u32_e64 v8, s[2:3], s6, v4
	v_ashrrev_i32_e32 v3, 31, v2
	v_add_u32_e32 v27, v26, v9
	v_or_b32_e32 v30, 0x4000, v9
	v_addc_co_u32_e64 v9, s[2:3], v6, v5, s[2:3]
	v_mad_i64_i32 v[5:6], s[2:3], s10, v2, 0
	v_lshlrev_b64 v[3:4], 4, v[2:3]
	v_add_u32_e32 v31, v30, v26
	v_add_co_u32_e64 v22, s[2:3], v8, v3
	v_addc_co_u32_e64 v23, s[2:3], v9, v4, s[2:3]
	v_lshlrev_b64 v[2:3], 4, v[5:6]
	v_mad_i64_i32 v[4:5], s[2:3], s9, v7, 0
	v_mov_b32_e32 v6, s21
	v_add_co_u32_e64 v32, s[2:3], s20, v2
	v_addc_co_u32_e64 v33, s[2:3], v6, v3, s[2:3]
	v_lshlrev_b64 v[2:3], 4, v[4:5]
	v_mov_b32_e32 v4, s19
	v_add_co_u32_e64 v34, s[2:3], s16, v2
	v_addc_co_u32_e64 v35, s[2:3], v4, v3, s[2:3]
	s_mov_b32 s16, 0
	s_branch .LBB1909_5
.LBB1909_4:                             ;   in Loop: Header=BB1909_5 Depth=1
	s_or_b64 exec, exec, s[2:3]
	s_add_i32 s16, s16, 32
	s_cmp_lt_i32 s16, s18
	s_waitcnt vmcnt(0)
	s_barrier
	s_cbranch_scc0 .LBB1909_17
.LBB1909_5:                             ; =>This Inner Loop Header: Depth=1
	v_add_u32_e32 v10, s16, v1
	v_cmp_gt_i32_e64 s[2:3], s18, v10
	v_mov_b32_e32 v2, 0
	v_mov_b32_e32 v4, 0
	;; [unrolled: 1-line block ×6, first 2 shown]
	s_and_b64 s[6:7], vcc, s[2:3]
	s_and_saveexec_b64 s[8:9], s[6:7]
	s_cbranch_execz .LBB1909_7
; %bb.6:                                ;   in Loop: Header=BB1909_5 Depth=1
	v_ashrrev_i32_e32 v11, 31, v10
	v_lshlrev_b64 v[4:5], 4, v[10:11]
	v_add_co_u32_e64 v4, s[2:3], v24, v4
	v_addc_co_u32_e64 v5, s[2:3], v25, v5, s[2:3]
	global_load_dwordx4 v[4:7], v[4:5], off
.LBB1909_7:                             ;   in Loop: Header=BB1909_5 Depth=1
	s_or_b64 exec, exec, s[8:9]
	v_add_u32_e32 v12, s16, v0
	s_waitcnt vmcnt(0)
	ds_write_b128 v27, v[4:7]
	v_cmp_gt_i32_e64 s[2:3], s18, v12
	v_mov_b32_e32 v4, 0
	v_mov_b32_e32 v5, 0
	s_and_b64 s[8:9], s[0:1], s[2:3]
	s_and_saveexec_b64 s[10:11], s[8:9]
	s_cbranch_execz .LBB1909_9
; %bb.8:                                ;   in Loop: Header=BB1909_5 Depth=1
	v_ashrrev_i32_e32 v13, 31, v12
	v_lshlrev_b64 v[2:3], 4, v[12:13]
	v_add_co_u32_e64 v2, s[2:3], v28, v2
	v_addc_co_u32_e64 v3, s[2:3], v29, v3, s[2:3]
	global_load_dwordx4 v[2:5], v[2:3], off
.LBB1909_9:                             ;   in Loop: Header=BB1909_5 Depth=1
	s_or_b64 exec, exec, s[10:11]
	s_waitcnt vmcnt(0)
	ds_write_b128 v31, v[2:5]
	s_waitcnt lgkmcnt(0)
	s_barrier
	s_and_saveexec_b64 s[2:3], s[4:5]
	s_cbranch_execz .LBB1909_11
; %bb.10:                               ;   in Loop: Header=BB1909_5 Depth=1
	ds_read_b128 v[6:9], v30
	ds_read_b128 v[13:16], v26
	ds_read_b128 v[17:20], v26 offset:16
	ds_read_b128 v[36:39], v26 offset:32
	;; [unrolled: 1-line block ×3, first 2 shown]
	s_waitcnt lgkmcnt(3)
	v_mul_f64 v[40:41], v[8:9], v[15:16]
	v_fma_f64 v[40:41], v[6:7], v[13:14], -v[40:41]
	v_mul_f64 v[6:7], v[6:7], v[15:16]
	v_fma_f64 v[6:7], v[8:9], v[13:14], v[6:7]
	v_add_f64 v[13:14], v[40:41], 0
	v_add_f64 v[15:16], v[6:7], 0
	ds_read_b128 v[6:9], v30 offset:512
	s_waitcnt lgkmcnt(0)
	v_mul_f64 v[40:41], v[8:9], v[19:20]
	v_fma_f64 v[40:41], v[6:7], v[17:18], -v[40:41]
	v_mul_f64 v[6:7], v[6:7], v[19:20]
	v_add_f64 v[13:14], v[13:14], v[40:41]
	v_fma_f64 v[6:7], v[8:9], v[17:18], v[6:7]
	v_add_f64 v[15:16], v[15:16], v[6:7]
	ds_read_b128 v[6:9], v30 offset:1024
	s_waitcnt lgkmcnt(0)
	v_mul_f64 v[17:18], v[8:9], v[38:39]
	v_fma_f64 v[17:18], v[6:7], v[36:37], -v[17:18]
	v_mul_f64 v[6:7], v[6:7], v[38:39]
	v_add_f64 v[13:14], v[13:14], v[17:18]
	v_fma_f64 v[6:7], v[8:9], v[36:37], v[6:7]
	v_add_f64 v[15:16], v[15:16], v[6:7]
	ds_read_b128 v[6:9], v30 offset:1536
	s_waitcnt lgkmcnt(0)
	v_mul_f64 v[17:18], v[8:9], v[4:5]
	v_mul_f64 v[4:5], v[6:7], v[4:5]
	v_fma_f64 v[17:18], v[6:7], v[2:3], -v[17:18]
	v_fma_f64 v[2:3], v[8:9], v[2:3], v[4:5]
	v_add_f64 v[13:14], v[13:14], v[17:18]
	v_add_f64 v[15:16], v[15:16], v[2:3]
	ds_read_b128 v[2:5], v30 offset:2048
	ds_read_b128 v[6:9], v26 offset:64
	s_waitcnt lgkmcnt(0)
	v_mul_f64 v[17:18], v[4:5], v[8:9]
	v_fma_f64 v[17:18], v[2:3], v[6:7], -v[17:18]
	v_mul_f64 v[2:3], v[2:3], v[8:9]
	v_add_f64 v[13:14], v[13:14], v[17:18]
	v_fma_f64 v[2:3], v[4:5], v[6:7], v[2:3]
	v_add_f64 v[15:16], v[15:16], v[2:3]
	ds_read_b128 v[2:5], v30 offset:2560
	ds_read_b128 v[6:9], v26 offset:80
	s_waitcnt lgkmcnt(0)
	v_mul_f64 v[17:18], v[4:5], v[8:9]
	v_fma_f64 v[17:18], v[2:3], v[6:7], -v[17:18]
	v_mul_f64 v[2:3], v[2:3], v[8:9]
	v_add_f64 v[13:14], v[13:14], v[17:18]
	v_fma_f64 v[2:3], v[4:5], v[6:7], v[2:3]
	;; [unrolled: 9-line block ×27, first 2 shown]
	v_add_f64 v[15:16], v[15:16], v[2:3]
	ds_read_b128 v[2:5], v30 offset:15872
	ds_read_b128 v[6:9], v26 offset:496
	s_waitcnt lgkmcnt(0)
	v_mul_f64 v[17:18], v[4:5], v[8:9]
	v_fma_f64 v[17:18], v[2:3], v[6:7], -v[17:18]
	v_mul_f64 v[2:3], v[2:3], v[8:9]
	v_fma_f64 v[2:3], v[4:5], v[6:7], v[2:3]
	v_add_f64 v[4:5], v[13:14], v[17:18]
	v_add_f64 v[2:3], v[15:16], v[2:3]
	v_mul_f64 v[6:7], s[14:15], v[2:3]
	v_mul_f64 v[2:3], s[12:13], v[2:3]
	v_fma_f64 v[6:7], s[12:13], v[4:5], -v[6:7]
	v_fma_f64 v[8:9], s[14:15], v[4:5], v[2:3]
	global_load_dwordx4 v[2:5], v[22:23], off
	s_waitcnt vmcnt(0)
	v_add_f64 v[2:3], v[2:3], v[6:7]
	v_add_f64 v[4:5], v[4:5], v[8:9]
	global_store_dwordx4 v[22:23], v[2:5], off
.LBB1909_11:                            ;   in Loop: Header=BB1909_5 Depth=1
	s_or_b64 exec, exec, s[2:3]
	v_mov_b32_e32 v4, 0
	v_mov_b32_e32 v8, 0
	;; [unrolled: 1-line block ×6, first 2 shown]
	s_waitcnt vmcnt(0)
	s_barrier
	s_and_saveexec_b64 s[10:11], s[6:7]
	s_cbranch_execz .LBB1909_13
; %bb.12:                               ;   in Loop: Header=BB1909_5 Depth=1
	v_ashrrev_i32_e32 v11, 31, v10
	v_lshlrev_b64 v[2:3], 4, v[10:11]
	v_add_co_u32_e64 v2, s[2:3], v32, v2
	v_addc_co_u32_e64 v3, s[2:3], v33, v3, s[2:3]
	global_load_dwordx4 v[6:9], v[2:3], off
.LBB1909_13:                            ;   in Loop: Header=BB1909_5 Depth=1
	s_or_b64 exec, exec, s[10:11]
	v_mov_b32_e32 v2, 0
	v_mov_b32_e32 v3, 0
	s_waitcnt vmcnt(0)
	ds_write_b128 v27, v[6:9]
	s_and_saveexec_b64 s[6:7], s[8:9]
	s_cbranch_execz .LBB1909_15
; %bb.14:                               ;   in Loop: Header=BB1909_5 Depth=1
	v_ashrrev_i32_e32 v13, 31, v12
	v_lshlrev_b64 v[2:3], 4, v[12:13]
	v_add_co_u32_e64 v2, s[2:3], v34, v2
	v_addc_co_u32_e64 v3, s[2:3], v35, v3, s[2:3]
	global_load_dwordx4 v[2:5], v[2:3], off
.LBB1909_15:                            ;   in Loop: Header=BB1909_5 Depth=1
	s_or_b64 exec, exec, s[6:7]
	s_waitcnt vmcnt(0)
	ds_write_b128 v31, v[2:5]
	s_waitcnt lgkmcnt(0)
	s_barrier
	s_and_saveexec_b64 s[2:3], s[4:5]
	s_cbranch_execz .LBB1909_4
; %bb.16:                               ;   in Loop: Header=BB1909_5 Depth=1
	ds_read_b128 v[2:5], v30
	ds_read_b128 v[6:9], v26
	ds_read_b128 v[10:13], v26 offset:16
	ds_read_b128 v[14:17], v30 offset:512
	;; [unrolled: 1-line block ×5, first 2 shown]
	s_waitcnt lgkmcnt(5)
	v_mul_f64 v[44:45], v[2:3], v[8:9]
	v_mul_f64 v[8:9], v[4:5], v[8:9]
	s_waitcnt lgkmcnt(3)
	v_mul_f64 v[46:47], v[16:17], v[12:13]
	v_mul_f64 v[12:13], v[14:15], v[12:13]
	;; [unrolled: 3-line block ×3, first 2 shown]
	v_fma_f64 v[44:45], v[4:5], v[6:7], v[44:45]
	v_fma_f64 v[48:49], v[2:3], v[6:7], -v[8:9]
	v_fma_f64 v[46:47], v[14:15], v[10:11], -v[46:47]
	v_fma_f64 v[52:53], v[16:17], v[10:11], v[12:13]
	ds_read_b128 v[2:5], v30 offset:1536
	ds_read_b128 v[6:9], v26 offset:64
	v_fma_f64 v[50:51], v[18:19], v[36:37], -v[50:51]
	v_fma_f64 v[56:57], v[20:21], v[36:37], v[38:39]
	ds_read_b128 v[10:13], v30 offset:2048
	ds_read_b128 v[14:17], v30 offset:2560
	v_add_f64 v[44:45], v[44:45], 0
	v_add_f64 v[48:49], v[48:49], 0
	s_waitcnt lgkmcnt(3)
	v_mul_f64 v[54:55], v[4:5], v[42:43]
	v_mul_f64 v[42:43], v[2:3], v[42:43]
	ds_read_b128 v[18:21], v26 offset:80
	ds_read_b128 v[36:39], v26 offset:96
	v_add_f64 v[44:45], v[44:45], v[52:53]
	v_add_f64 v[46:47], v[48:49], v[46:47]
	s_waitcnt lgkmcnt(3)
	v_mul_f64 v[48:49], v[12:13], v[8:9]
	v_mul_f64 v[8:9], v[10:11], v[8:9]
	v_fma_f64 v[52:53], v[2:3], v[40:41], -v[54:55]
	v_fma_f64 v[54:55], v[4:5], v[40:41], v[42:43]
	ds_read_b128 v[2:5], v30 offset:3072
	ds_read_b128 v[40:43], v30 offset:3584
	v_add_f64 v[44:45], v[44:45], v[56:57]
	v_add_f64 v[46:47], v[46:47], v[50:51]
	s_waitcnt lgkmcnt(3)
	v_mul_f64 v[50:51], v[16:17], v[20:21]
	v_mul_f64 v[20:21], v[14:15], v[20:21]
	v_fma_f64 v[48:49], v[10:11], v[6:7], -v[48:49]
	v_fma_f64 v[56:57], v[12:13], v[6:7], v[8:9]
	;; [unrolled: 9-line block ×15, first 2 shown]
	s_waitcnt lgkmcnt(1)
	v_mul_f64 v[54:55], v[42:43], v[8:9]
	v_mul_f64 v[56:57], v[40:41], v[8:9]
	v_add_f64 v[20:21], v[44:45], v[16:17]
	v_add_f64 v[48:49], v[46:47], v[48:49]
	v_fma_f64 v[52:53], v[2:3], v[36:37], -v[52:53]
	v_fma_f64 v[36:37], v[4:5], v[36:37], v[38:39]
	ds_read_b128 v[16:19], v30 offset:10240
	ds_read_b128 v[44:47], v30 offset:10752
	v_add_f64 v[20:21], v[20:21], v[10:11]
	v_add_f64 v[38:39], v[48:49], v[50:51]
	s_waitcnt lgkmcnt(1)
	v_mul_f64 v[48:49], v[18:19], v[14:15]
	v_mul_f64 v[14:15], v[16:17], v[14:15]
	v_fma_f64 v[50:51], v[40:41], v[6:7], -v[54:55]
	v_fma_f64 v[6:7], v[42:43], v[6:7], v[56:57]
	ds_read_b128 v[2:5], v26 offset:336
	ds_read_b128 v[8:11], v26 offset:352
	v_add_f64 v[20:21], v[20:21], v[36:37]
	v_add_f64 v[52:53], v[38:39], v[52:53]
	s_waitcnt lgkmcnt(1)
	v_mul_f64 v[54:55], v[46:47], v[4:5]
	v_mul_f64 v[4:5], v[44:45], v[4:5]
	;; [unrolled: 9-line block ×3, first 2 shown]
	v_fma_f64 v[52:53], v[44:45], v[2:3], -v[54:55]
	v_fma_f64 v[54:55], v[46:47], v[2:3], v[4:5]
	ds_read_b128 v[14:17], v26 offset:368
	ds_read_b128 v[48:51], v26 offset:384
	ds_read_b128 v[44:47], v30 offset:12288
	ds_read_b128 v[2:5], v30 offset:12800
	v_add_f64 v[6:7], v[6:7], v[12:13]
	v_add_f64 v[12:13], v[18:19], v[56:57]
	s_waitcnt lgkmcnt(3)
	v_mul_f64 v[18:19], v[42:43], v[16:17]
	v_mul_f64 v[16:17], v[40:41], v[16:17]
	v_fma_f64 v[20:21], v[36:37], v[8:9], -v[20:21]
	v_fma_f64 v[36:37], v[38:39], v[8:9], v[10:11]
	v_add_f64 v[38:39], v[6:7], v[54:55]
	v_add_f64 v[52:53], v[12:13], v[52:53]
	s_waitcnt lgkmcnt(1)
	v_mul_f64 v[54:55], v[46:47], v[50:51]
	v_mul_f64 v[50:51], v[44:45], v[50:51]
	v_fma_f64 v[40:41], v[40:41], v[14:15], -v[18:19]
	v_fma_f64 v[42:43], v[42:43], v[14:15], v[16:17]
	ds_read_b128 v[6:9], v26 offset:400
	ds_read_b128 v[10:13], v26 offset:416
	v_add_f64 v[36:37], v[38:39], v[36:37]
	v_add_f64 v[38:39], v[52:53], v[20:21]
	s_waitcnt lgkmcnt(1)
	v_mul_f64 v[52:53], v[4:5], v[8:9]
	v_mul_f64 v[8:9], v[2:3], v[8:9]
	v_fma_f64 v[44:45], v[44:45], v[48:49], -v[54:55]
	v_fma_f64 v[46:47], v[46:47], v[48:49], v[50:51]
	ds_read_b128 v[14:17], v30 offset:13312
	ds_read_b128 v[18:21], v30 offset:13824
	v_add_f64 v[48:49], v[36:37], v[42:43]
	v_add_f64 v[50:51], v[38:39], v[40:41]
	global_load_dwordx4 v[40:43], v[22:23], off
	s_waitcnt lgkmcnt(1)
	v_mul_f64 v[54:55], v[16:17], v[12:13]
	v_mul_f64 v[12:13], v[14:15], v[12:13]
	v_fma_f64 v[52:53], v[2:3], v[6:7], -v[52:53]
	v_fma_f64 v[56:57], v[4:5], v[6:7], v[8:9]
	ds_read_b128 v[36:39], v26 offset:432
	v_add_f64 v[46:47], v[48:49], v[46:47]
	v_add_f64 v[44:45], v[50:51], v[44:45]
	ds_read_b128 v[2:5], v26 offset:448
	ds_read_b128 v[6:9], v30 offset:14336
	v_fma_f64 v[50:51], v[14:15], v[10:11], -v[54:55]
	s_waitcnt lgkmcnt(2)
	v_mul_f64 v[48:49], v[20:21], v[38:39]
	v_mul_f64 v[38:39], v[18:19], v[38:39]
	v_fma_f64 v[54:55], v[16:17], v[10:11], v[12:13]
	ds_read_b128 v[10:13], v30 offset:14848
	ds_read_b128 v[14:17], v26 offset:464
	v_add_f64 v[46:47], v[46:47], v[56:57]
	v_add_f64 v[44:45], v[44:45], v[52:53]
	s_waitcnt lgkmcnt(2)
	v_mul_f64 v[52:53], v[8:9], v[4:5]
	v_mul_f64 v[4:5], v[6:7], v[4:5]
	v_fma_f64 v[48:49], v[18:19], v[36:37], -v[48:49]
	v_fma_f64 v[56:57], v[20:21], v[36:37], v[38:39]
	ds_read_b128 v[18:21], v26 offset:480
	ds_read_b128 v[36:39], v30 offset:15360
	v_add_f64 v[46:47], v[46:47], v[54:55]
	v_add_f64 v[44:45], v[44:45], v[50:51]
	s_waitcnt lgkmcnt(2)
	v_mul_f64 v[50:51], v[12:13], v[16:17]
	v_mul_f64 v[16:17], v[10:11], v[16:17]
	v_fma_f64 v[52:53], v[6:7], v[2:3], -v[52:53]
	;; [unrolled: 9-line block ×3, first 2 shown]
	v_fma_f64 v[12:13], v[12:13], v[14:15], v[16:17]
	v_add_f64 v[14:15], v[46:47], v[54:55]
	v_add_f64 v[16:17], v[44:45], v[52:53]
	s_waitcnt lgkmcnt(0)
	v_mul_f64 v[44:45], v[4:5], v[8:9]
	v_mul_f64 v[8:9], v[2:3], v[8:9]
	v_fma_f64 v[36:37], v[36:37], v[18:19], -v[48:49]
	v_fma_f64 v[18:19], v[38:39], v[18:19], v[20:21]
	v_add_f64 v[12:13], v[14:15], v[12:13]
	v_add_f64 v[10:11], v[16:17], v[10:11]
	v_fma_f64 v[2:3], v[2:3], v[6:7], -v[44:45]
	v_fma_f64 v[4:5], v[4:5], v[6:7], v[8:9]
	v_add_f64 v[6:7], v[12:13], v[18:19]
	v_add_f64 v[8:9], v[10:11], v[36:37]
	;; [unrolled: 1-line block ×4, first 2 shown]
	v_mul_f64 v[6:7], s[14:15], v[4:5]
	v_mul_f64 v[8:9], s[14:15], v[2:3]
	v_fma_f64 v[2:3], s[12:13], v[2:3], -v[6:7]
	v_fma_f64 v[4:5], s[12:13], v[4:5], v[8:9]
	s_waitcnt vmcnt(0)
	v_add_f64 v[2:3], v[40:41], v[2:3]
	v_add_f64 v[4:5], v[42:43], v[4:5]
	global_store_dwordx4 v[22:23], v[2:5], off
	s_branch .LBB1909_4
.LBB1909_17:
	s_endpgm
	.section	.rodata,"a",@progbits
	.p2align	6, 0x0
	.amdhsa_kernel _ZL26rocblas_syr2k_her2k_kernelIiLb1ELb0ELb1ELi32E19rocblas_complex_numIdEPKS1_PS1_EvbiT_T4_T5_S5_lS7_S5_lT6_S5_li
		.amdhsa_group_segment_fixed_size 32768
		.amdhsa_private_segment_fixed_size 0
		.amdhsa_kernarg_size 108
		.amdhsa_user_sgpr_count 6
		.amdhsa_user_sgpr_private_segment_buffer 1
		.amdhsa_user_sgpr_dispatch_ptr 0
		.amdhsa_user_sgpr_queue_ptr 0
		.amdhsa_user_sgpr_kernarg_segment_ptr 1
		.amdhsa_user_sgpr_dispatch_id 0
		.amdhsa_user_sgpr_flat_scratch_init 0
		.amdhsa_user_sgpr_private_segment_size 0
		.amdhsa_uses_dynamic_stack 0
		.amdhsa_system_sgpr_private_segment_wavefront_offset 0
		.amdhsa_system_sgpr_workgroup_id_x 1
		.amdhsa_system_sgpr_workgroup_id_y 1
		.amdhsa_system_sgpr_workgroup_id_z 1
		.amdhsa_system_sgpr_workgroup_info 0
		.amdhsa_system_vgpr_workitem_id 1
		.amdhsa_next_free_vgpr 58
		.amdhsa_next_free_sgpr 61
		.amdhsa_reserve_vcc 1
		.amdhsa_reserve_flat_scratch 0
		.amdhsa_float_round_mode_32 0
		.amdhsa_float_round_mode_16_64 0
		.amdhsa_float_denorm_mode_32 3
		.amdhsa_float_denorm_mode_16_64 3
		.amdhsa_dx10_clamp 1
		.amdhsa_ieee_mode 1
		.amdhsa_fp16_overflow 0
		.amdhsa_exception_fp_ieee_invalid_op 0
		.amdhsa_exception_fp_denorm_src 0
		.amdhsa_exception_fp_ieee_div_zero 0
		.amdhsa_exception_fp_ieee_overflow 0
		.amdhsa_exception_fp_ieee_underflow 0
		.amdhsa_exception_fp_ieee_inexact 0
		.amdhsa_exception_int_div_zero 0
	.end_amdhsa_kernel
	.section	.text._ZL26rocblas_syr2k_her2k_kernelIiLb1ELb0ELb1ELi32E19rocblas_complex_numIdEPKS1_PS1_EvbiT_T4_T5_S5_lS7_S5_lT6_S5_li,"axG",@progbits,_ZL26rocblas_syr2k_her2k_kernelIiLb1ELb0ELb1ELi32E19rocblas_complex_numIdEPKS1_PS1_EvbiT_T4_T5_S5_lS7_S5_lT6_S5_li,comdat
.Lfunc_end1909:
	.size	_ZL26rocblas_syr2k_her2k_kernelIiLb1ELb0ELb1ELi32E19rocblas_complex_numIdEPKS1_PS1_EvbiT_T4_T5_S5_lS7_S5_lT6_S5_li, .Lfunc_end1909-_ZL26rocblas_syr2k_her2k_kernelIiLb1ELb0ELb1ELi32E19rocblas_complex_numIdEPKS1_PS1_EvbiT_T4_T5_S5_lS7_S5_lT6_S5_li
                                        ; -- End function
	.set _ZL26rocblas_syr2k_her2k_kernelIiLb1ELb0ELb1ELi32E19rocblas_complex_numIdEPKS1_PS1_EvbiT_T4_T5_S5_lS7_S5_lT6_S5_li.num_vgpr, 58
	.set _ZL26rocblas_syr2k_her2k_kernelIiLb1ELb0ELb1ELi32E19rocblas_complex_numIdEPKS1_PS1_EvbiT_T4_T5_S5_lS7_S5_lT6_S5_li.num_agpr, 0
	.set _ZL26rocblas_syr2k_her2k_kernelIiLb1ELb0ELb1ELi32E19rocblas_complex_numIdEPKS1_PS1_EvbiT_T4_T5_S5_lS7_S5_lT6_S5_li.numbered_sgpr, 28
	.set _ZL26rocblas_syr2k_her2k_kernelIiLb1ELb0ELb1ELi32E19rocblas_complex_numIdEPKS1_PS1_EvbiT_T4_T5_S5_lS7_S5_lT6_S5_li.num_named_barrier, 0
	.set _ZL26rocblas_syr2k_her2k_kernelIiLb1ELb0ELb1ELi32E19rocblas_complex_numIdEPKS1_PS1_EvbiT_T4_T5_S5_lS7_S5_lT6_S5_li.private_seg_size, 0
	.set _ZL26rocblas_syr2k_her2k_kernelIiLb1ELb0ELb1ELi32E19rocblas_complex_numIdEPKS1_PS1_EvbiT_T4_T5_S5_lS7_S5_lT6_S5_li.uses_vcc, 1
	.set _ZL26rocblas_syr2k_her2k_kernelIiLb1ELb0ELb1ELi32E19rocblas_complex_numIdEPKS1_PS1_EvbiT_T4_T5_S5_lS7_S5_lT6_S5_li.uses_flat_scratch, 0
	.set _ZL26rocblas_syr2k_her2k_kernelIiLb1ELb0ELb1ELi32E19rocblas_complex_numIdEPKS1_PS1_EvbiT_T4_T5_S5_lS7_S5_lT6_S5_li.has_dyn_sized_stack, 0
	.set _ZL26rocblas_syr2k_her2k_kernelIiLb1ELb0ELb1ELi32E19rocblas_complex_numIdEPKS1_PS1_EvbiT_T4_T5_S5_lS7_S5_lT6_S5_li.has_recursion, 0
	.set _ZL26rocblas_syr2k_her2k_kernelIiLb1ELb0ELb1ELi32E19rocblas_complex_numIdEPKS1_PS1_EvbiT_T4_T5_S5_lS7_S5_lT6_S5_li.has_indirect_call, 0
	.section	.AMDGPU.csdata,"",@progbits
; Kernel info:
; codeLenInByte = 5428
; TotalNumSgprs: 32
; NumVgprs: 58
; ScratchSize: 0
; MemoryBound: 1
; FloatMode: 240
; IeeeMode: 1
; LDSByteSize: 32768 bytes/workgroup (compile time only)
; SGPRBlocks: 8
; VGPRBlocks: 14
; NumSGPRsForWavesPerEU: 65
; NumVGPRsForWavesPerEU: 58
; Occupancy: 4
; WaveLimiterHint : 0
; COMPUTE_PGM_RSRC2:SCRATCH_EN: 0
; COMPUTE_PGM_RSRC2:USER_SGPR: 6
; COMPUTE_PGM_RSRC2:TRAP_HANDLER: 0
; COMPUTE_PGM_RSRC2:TGID_X_EN: 1
; COMPUTE_PGM_RSRC2:TGID_Y_EN: 1
; COMPUTE_PGM_RSRC2:TGID_Z_EN: 1
; COMPUTE_PGM_RSRC2:TIDIG_COMP_CNT: 1
	.section	.text._ZL26rocblas_syr2k_her2k_kernelIiLb1ELb0ELb0ELi32EPK19rocblas_complex_numIdES3_PS1_EvbiT_T4_T5_S5_lS7_S5_lT6_S5_li,"axG",@progbits,_ZL26rocblas_syr2k_her2k_kernelIiLb1ELb0ELb0ELi32EPK19rocblas_complex_numIdES3_PS1_EvbiT_T4_T5_S5_lS7_S5_lT6_S5_li,comdat
	.globl	_ZL26rocblas_syr2k_her2k_kernelIiLb1ELb0ELb0ELi32EPK19rocblas_complex_numIdES3_PS1_EvbiT_T4_T5_S5_lS7_S5_lT6_S5_li ; -- Begin function _ZL26rocblas_syr2k_her2k_kernelIiLb1ELb0ELb0ELi32EPK19rocblas_complex_numIdES3_PS1_EvbiT_T4_T5_S5_lS7_S5_lT6_S5_li
	.p2align	8
	.type	_ZL26rocblas_syr2k_her2k_kernelIiLb1ELb0ELb0ELi32EPK19rocblas_complex_numIdES3_PS1_EvbiT_T4_T5_S5_lS7_S5_lT6_S5_li,@function
_ZL26rocblas_syr2k_her2k_kernelIiLb1ELb0ELb0ELi32EPK19rocblas_complex_numIdES3_PS1_EvbiT_T4_T5_S5_lS7_S5_lT6_S5_li: ; @_ZL26rocblas_syr2k_her2k_kernelIiLb1ELb0ELb0ELi32EPK19rocblas_complex_numIdES3_PS1_EvbiT_T4_T5_S5_lS7_S5_lT6_S5_li
; %bb.0:
	s_load_dwordx4 s[0:3], s[4:5], 0x10
	s_waitcnt lgkmcnt(0)
	s_load_dwordx4 s[12:15], s[0:1], 0x0
	s_waitcnt lgkmcnt(0)
	v_cmp_eq_f64_e64 s[0:1], s[12:13], 0
	v_cmp_eq_f64_e64 s[10:11], s[14:15], 0
	s_and_b64 s[0:1], s[0:1], s[10:11]
	s_and_b64 vcc, exec, s[0:1]
	s_cbranch_vccnz .LBB1910_17
; %bb.1:
	s_load_dwordx4 s[16:19], s[4:5], 0x0
	s_lshl_b32 s0, s7, 5
	s_lshl_b32 s1, s6, 5
	s_waitcnt lgkmcnt(0)
	s_and_b32 s6, 1, s16
	s_cmp_eq_u32 s6, 1
	s_cselect_b64 vcc, -1, 0
	s_and_b64 s[6:7], vcc, exec
	s_cselect_b32 s6, s1, s0
	s_cselect_b32 s7, s0, s1
	s_cmp_gt_i32 s6, s7
	s_cbranch_scc1 .LBB1910_17
; %bb.2:
	s_cmp_lt_i32 s18, 1
	s_cbranch_scc1 .LBB1910_17
; %bb.3:
	s_load_dword s16, s[4:5], 0x20
	s_load_dwordx4 s[20:23], s[4:5], 0x28
	s_load_dword s19, s[4:5], 0x38
	s_load_dwordx4 s[24:27], s[4:5], 0x40
	s_load_dword s9, s[4:5], 0x50
	s_load_dwordx2 s[6:7], s[4:5], 0x58
	s_waitcnt lgkmcnt(0)
	s_mul_i32 s4, s21, s8
	s_mul_hi_u32 s5, s20, s8
	s_add_i32 s5, s5, s4
	s_mul_i32 s4, s20, s8
	s_lshl_b64 s[4:5], s[4:5], 4
	s_add_u32 s10, s2, s4
	s_addc_u32 s11, s3, s5
	s_mul_i32 s2, s25, s8
	s_mul_hi_u32 s3, s24, s8
	v_add_u32_e32 v3, s1, v0
	s_add_i32 s3, s3, s2
	s_mul_i32 s2, s24, s8
	v_ashrrev_i32_e32 v4, 31, v3
	s_lshl_b64 s[2:3], s[2:3], 4
	v_lshlrev_b64 v[4:5], 4, v[3:4]
	s_add_u32 s20, s22, s2
	v_add_u32_e32 v2, s0, v1
	s_addc_u32 s21, s23, s3
	s_mul_i32 s2, s7, s8
	s_mul_hi_u32 s3, s6, s8
	v_cndmask_b32_e32 v8, v3, v2, vcc
	v_cndmask_b32_e32 v9, v2, v3, vcc
	v_cmp_gt_i32_e32 vcc, s17, v3
	v_mov_b32_e32 v3, s11
	v_add_co_u32_e64 v24, s[0:1], s10, v4
	s_add_i32 s3, s3, s2
	s_mul_i32 s2, s6, s8
	v_addc_co_u32_e64 v25, s[0:1], v3, v5, s[0:1]
	v_ashrrev_i32_e32 v3, 31, v2
	s_lshl_b64 s[2:3], s[2:3], 4
	v_lshlrev_b64 v[6:7], 4, v[2:3]
	s_add_u32 s6, s26, s2
	s_addc_u32 s7, s27, s3
	v_mov_b32_e32 v3, s21
	v_add_co_u32_e64 v28, s[2:3], s20, v6
	v_cmp_gt_i32_e64 s[0:1], s17, v2
	v_addc_co_u32_e64 v29, s[2:3], v3, v7, s[2:3]
	v_mad_i64_i32 v[2:3], s[2:3], s9, v2, 0
	v_cmp_le_i32_e64 s[2:3], v9, v8
	s_and_b64 s[4:5], s[0:1], vcc
	v_lshlrev_b64 v[2:3], 4, v[2:3]
	s_and_b64 s[4:5], s[4:5], s[2:3]
	v_mov_b32_e32 v8, s7
	v_add_co_u32_e64 v2, s[2:3], s6, v2
	v_addc_co_u32_e64 v3, s[2:3], v8, v3, s[2:3]
	v_add_co_u32_e64 v22, s[2:3], v2, v4
	v_addc_co_u32_e64 v23, s[2:3], v3, v5, s[2:3]
	v_mov_b32_e32 v2, s21
	v_add_co_u32_e64 v32, s[2:3], s20, v4
	v_lshlrev_b32_e32 v10, 4, v1
	v_addc_co_u32_e64 v33, s[2:3], v2, v5, s[2:3]
	v_lshlrev_b32_e32 v26, 9, v0
	v_or_b32_e32 v30, 0x4000, v10
	v_mov_b32_e32 v2, s11
	v_add_co_u32_e64 v34, s[2:3], s10, v6
	v_add_u32_e32 v27, v26, v10
	v_add_u32_e32 v31, v30, v26
	v_addc_co_u32_e64 v35, s[2:3], v2, v7, s[2:3]
	s_mov_b32 s17, 0
	s_branch .LBB1910_5
.LBB1910_4:                             ;   in Loop: Header=BB1910_5 Depth=1
	s_or_b64 exec, exec, s[2:3]
	s_add_i32 s17, s17, 32
	s_cmp_lt_i32 s17, s18
	s_waitcnt vmcnt(0)
	s_barrier
	s_cbranch_scc0 .LBB1910_17
.LBB1910_5:                             ; =>This Inner Loop Header: Depth=1
	v_add_u32_e32 v10, s17, v1
	v_cmp_gt_i32_e64 s[2:3], s18, v10
	v_mov_b32_e32 v2, 0
	v_mov_b32_e32 v4, 0
	;; [unrolled: 1-line block ×6, first 2 shown]
	s_and_b64 s[6:7], vcc, s[2:3]
	s_and_saveexec_b64 s[8:9], s[6:7]
	s_cbranch_execz .LBB1910_7
; %bb.6:                                ;   in Loop: Header=BB1910_5 Depth=1
	v_mad_i64_i32 v[4:5], s[2:3], v10, s16, 0
	v_lshlrev_b64 v[4:5], 4, v[4:5]
	v_add_co_u32_e64 v4, s[2:3], v24, v4
	v_addc_co_u32_e64 v5, s[2:3], v25, v5, s[2:3]
	global_load_dwordx4 v[4:7], v[4:5], off
.LBB1910_7:                             ;   in Loop: Header=BB1910_5 Depth=1
	s_or_b64 exec, exec, s[8:9]
	v_add_u32_e32 v11, s17, v0
	s_waitcnt vmcnt(0)
	ds_write_b128 v27, v[4:7]
	v_cmp_gt_i32_e64 s[2:3], s18, v11
	v_mov_b32_e32 v4, 0
	v_mov_b32_e32 v5, 0
	s_and_b64 s[8:9], s[0:1], s[2:3]
	s_and_saveexec_b64 s[10:11], s[8:9]
	s_cbranch_execz .LBB1910_9
; %bb.8:                                ;   in Loop: Header=BB1910_5 Depth=1
	v_mad_i64_i32 v[2:3], s[2:3], v11, s19, 0
	v_lshlrev_b64 v[2:3], 4, v[2:3]
	v_add_co_u32_e64 v2, s[2:3], v28, v2
	v_addc_co_u32_e64 v3, s[2:3], v29, v3, s[2:3]
	global_load_dwordx4 v[2:5], v[2:3], off
.LBB1910_9:                             ;   in Loop: Header=BB1910_5 Depth=1
	s_or_b64 exec, exec, s[10:11]
	s_waitcnt vmcnt(0)
	ds_write_b128 v31, v[2:5]
	s_waitcnt lgkmcnt(0)
	s_barrier
	s_and_saveexec_b64 s[2:3], s[4:5]
	s_cbranch_execz .LBB1910_11
; %bb.10:                               ;   in Loop: Header=BB1910_5 Depth=1
	ds_read_b128 v[6:9], v30
	ds_read_b128 v[12:15], v26
	ds_read_b128 v[16:19], v26 offset:16
	ds_read_b128 v[36:39], v26 offset:32
	;; [unrolled: 1-line block ×3, first 2 shown]
	s_waitcnt lgkmcnt(3)
	v_mul_f64 v[20:21], v[8:9], v[14:15]
	v_fma_f64 v[20:21], v[6:7], v[12:13], -v[20:21]
	v_mul_f64 v[6:7], v[6:7], v[14:15]
	v_fma_f64 v[6:7], v[8:9], v[12:13], v[6:7]
	v_add_f64 v[12:13], v[20:21], 0
	v_add_f64 v[14:15], v[6:7], 0
	ds_read_b128 v[6:9], v30 offset:512
	s_waitcnt lgkmcnt(0)
	v_mul_f64 v[20:21], v[8:9], v[18:19]
	v_fma_f64 v[20:21], v[6:7], v[16:17], -v[20:21]
	v_mul_f64 v[6:7], v[6:7], v[18:19]
	v_add_f64 v[12:13], v[12:13], v[20:21]
	v_fma_f64 v[6:7], v[8:9], v[16:17], v[6:7]
	v_add_f64 v[14:15], v[14:15], v[6:7]
	ds_read_b128 v[6:9], v30 offset:1024
	s_waitcnt lgkmcnt(0)
	v_mul_f64 v[16:17], v[8:9], v[38:39]
	v_fma_f64 v[16:17], v[6:7], v[36:37], -v[16:17]
	v_mul_f64 v[6:7], v[6:7], v[38:39]
	v_add_f64 v[12:13], v[12:13], v[16:17]
	v_fma_f64 v[6:7], v[8:9], v[36:37], v[6:7]
	v_add_f64 v[14:15], v[14:15], v[6:7]
	ds_read_b128 v[6:9], v30 offset:1536
	s_waitcnt lgkmcnt(0)
	v_mul_f64 v[16:17], v[8:9], v[4:5]
	v_mul_f64 v[4:5], v[6:7], v[4:5]
	v_fma_f64 v[16:17], v[6:7], v[2:3], -v[16:17]
	v_fma_f64 v[2:3], v[8:9], v[2:3], v[4:5]
	v_add_f64 v[12:13], v[12:13], v[16:17]
	v_add_f64 v[14:15], v[14:15], v[2:3]
	ds_read_b128 v[2:5], v30 offset:2048
	ds_read_b128 v[6:9], v26 offset:64
	s_waitcnt lgkmcnt(0)
	v_mul_f64 v[16:17], v[4:5], v[8:9]
	v_fma_f64 v[16:17], v[2:3], v[6:7], -v[16:17]
	v_mul_f64 v[2:3], v[2:3], v[8:9]
	v_add_f64 v[12:13], v[12:13], v[16:17]
	v_fma_f64 v[2:3], v[4:5], v[6:7], v[2:3]
	v_add_f64 v[14:15], v[14:15], v[2:3]
	ds_read_b128 v[2:5], v30 offset:2560
	ds_read_b128 v[6:9], v26 offset:80
	s_waitcnt lgkmcnt(0)
	v_mul_f64 v[16:17], v[4:5], v[8:9]
	v_fma_f64 v[16:17], v[2:3], v[6:7], -v[16:17]
	v_mul_f64 v[2:3], v[2:3], v[8:9]
	v_add_f64 v[12:13], v[12:13], v[16:17]
	v_fma_f64 v[2:3], v[4:5], v[6:7], v[2:3]
	;; [unrolled: 9-line block ×27, first 2 shown]
	v_add_f64 v[14:15], v[14:15], v[2:3]
	ds_read_b128 v[2:5], v30 offset:15872
	ds_read_b128 v[6:9], v26 offset:496
	s_waitcnt lgkmcnt(0)
	v_mul_f64 v[16:17], v[4:5], v[8:9]
	v_fma_f64 v[16:17], v[2:3], v[6:7], -v[16:17]
	v_mul_f64 v[2:3], v[2:3], v[8:9]
	v_fma_f64 v[2:3], v[4:5], v[6:7], v[2:3]
	v_add_f64 v[4:5], v[12:13], v[16:17]
	v_add_f64 v[2:3], v[14:15], v[2:3]
	v_mul_f64 v[6:7], s[14:15], v[2:3]
	v_mul_f64 v[2:3], s[12:13], v[2:3]
	v_fma_f64 v[6:7], s[12:13], v[4:5], -v[6:7]
	v_fma_f64 v[8:9], s[14:15], v[4:5], v[2:3]
	global_load_dwordx4 v[2:5], v[22:23], off
	s_waitcnt vmcnt(0)
	v_add_f64 v[2:3], v[2:3], v[6:7]
	v_add_f64 v[4:5], v[4:5], v[8:9]
	global_store_dwordx4 v[22:23], v[2:5], off
.LBB1910_11:                            ;   in Loop: Header=BB1910_5 Depth=1
	s_or_b64 exec, exec, s[2:3]
	v_mov_b32_e32 v4, 0
	v_mov_b32_e32 v8, 0
	;; [unrolled: 1-line block ×6, first 2 shown]
	s_waitcnt vmcnt(0)
	s_barrier
	s_and_saveexec_b64 s[10:11], s[6:7]
	s_cbranch_execz .LBB1910_13
; %bb.12:                               ;   in Loop: Header=BB1910_5 Depth=1
	v_mad_i64_i32 v[2:3], s[2:3], v10, s19, 0
	v_lshlrev_b64 v[2:3], 4, v[2:3]
	v_add_co_u32_e64 v2, s[2:3], v32, v2
	v_addc_co_u32_e64 v3, s[2:3], v33, v3, s[2:3]
	global_load_dwordx4 v[6:9], v[2:3], off
.LBB1910_13:                            ;   in Loop: Header=BB1910_5 Depth=1
	s_or_b64 exec, exec, s[10:11]
	v_mov_b32_e32 v2, 0
	v_mov_b32_e32 v3, 0
	s_waitcnt vmcnt(0)
	ds_write_b128 v27, v[6:9]
	s_and_saveexec_b64 s[6:7], s[8:9]
	s_cbranch_execz .LBB1910_15
; %bb.14:                               ;   in Loop: Header=BB1910_5 Depth=1
	v_mad_i64_i32 v[2:3], s[2:3], v11, s16, 0
	v_lshlrev_b64 v[2:3], 4, v[2:3]
	v_add_co_u32_e64 v2, s[2:3], v34, v2
	v_addc_co_u32_e64 v3, s[2:3], v35, v3, s[2:3]
	global_load_dwordx4 v[2:5], v[2:3], off
.LBB1910_15:                            ;   in Loop: Header=BB1910_5 Depth=1
	s_or_b64 exec, exec, s[6:7]
	s_waitcnt vmcnt(0)
	ds_write_b128 v31, v[2:5]
	s_waitcnt lgkmcnt(0)
	s_barrier
	s_and_saveexec_b64 s[2:3], s[4:5]
	s_cbranch_execz .LBB1910_4
; %bb.16:                               ;   in Loop: Header=BB1910_5 Depth=1
	ds_read_b128 v[2:5], v30
	ds_read_b128 v[6:9], v26
	ds_read_b128 v[10:13], v26 offset:16
	ds_read_b128 v[14:17], v30 offset:512
	;; [unrolled: 1-line block ×5, first 2 shown]
	s_waitcnt lgkmcnt(5)
	v_mul_f64 v[44:45], v[2:3], v[8:9]
	v_mul_f64 v[8:9], v[4:5], v[8:9]
	s_waitcnt lgkmcnt(3)
	v_mul_f64 v[46:47], v[16:17], v[12:13]
	v_mul_f64 v[12:13], v[14:15], v[12:13]
	;; [unrolled: 3-line block ×3, first 2 shown]
	v_fma_f64 v[44:45], v[4:5], v[6:7], v[44:45]
	v_fma_f64 v[48:49], v[2:3], v[6:7], -v[8:9]
	v_fma_f64 v[46:47], v[14:15], v[10:11], -v[46:47]
	v_fma_f64 v[52:53], v[16:17], v[10:11], v[12:13]
	ds_read_b128 v[2:5], v30 offset:1536
	ds_read_b128 v[6:9], v26 offset:64
	v_fma_f64 v[50:51], v[18:19], v[36:37], -v[50:51]
	v_fma_f64 v[56:57], v[20:21], v[36:37], v[38:39]
	ds_read_b128 v[10:13], v30 offset:2048
	ds_read_b128 v[14:17], v30 offset:2560
	v_add_f64 v[44:45], v[44:45], 0
	v_add_f64 v[48:49], v[48:49], 0
	s_waitcnt lgkmcnt(3)
	v_mul_f64 v[54:55], v[4:5], v[42:43]
	v_mul_f64 v[42:43], v[2:3], v[42:43]
	ds_read_b128 v[18:21], v26 offset:80
	ds_read_b128 v[36:39], v26 offset:96
	v_add_f64 v[44:45], v[44:45], v[52:53]
	v_add_f64 v[46:47], v[48:49], v[46:47]
	s_waitcnt lgkmcnt(3)
	v_mul_f64 v[48:49], v[12:13], v[8:9]
	v_mul_f64 v[8:9], v[10:11], v[8:9]
	v_fma_f64 v[52:53], v[2:3], v[40:41], -v[54:55]
	v_fma_f64 v[54:55], v[4:5], v[40:41], v[42:43]
	ds_read_b128 v[2:5], v30 offset:3072
	ds_read_b128 v[40:43], v30 offset:3584
	v_add_f64 v[44:45], v[44:45], v[56:57]
	v_add_f64 v[46:47], v[46:47], v[50:51]
	s_waitcnt lgkmcnt(3)
	v_mul_f64 v[50:51], v[16:17], v[20:21]
	v_mul_f64 v[20:21], v[14:15], v[20:21]
	v_fma_f64 v[48:49], v[10:11], v[6:7], -v[48:49]
	v_fma_f64 v[56:57], v[12:13], v[6:7], v[8:9]
	;; [unrolled: 9-line block ×15, first 2 shown]
	s_waitcnt lgkmcnt(1)
	v_mul_f64 v[54:55], v[42:43], v[8:9]
	v_mul_f64 v[56:57], v[40:41], v[8:9]
	v_add_f64 v[20:21], v[44:45], v[16:17]
	v_add_f64 v[48:49], v[46:47], v[48:49]
	v_fma_f64 v[52:53], v[2:3], v[36:37], -v[52:53]
	v_fma_f64 v[36:37], v[4:5], v[36:37], v[38:39]
	ds_read_b128 v[16:19], v30 offset:10240
	ds_read_b128 v[44:47], v30 offset:10752
	v_add_f64 v[20:21], v[20:21], v[10:11]
	v_add_f64 v[38:39], v[48:49], v[50:51]
	s_waitcnt lgkmcnt(1)
	v_mul_f64 v[48:49], v[18:19], v[14:15]
	v_mul_f64 v[14:15], v[16:17], v[14:15]
	v_fma_f64 v[50:51], v[40:41], v[6:7], -v[54:55]
	v_fma_f64 v[6:7], v[42:43], v[6:7], v[56:57]
	ds_read_b128 v[2:5], v26 offset:336
	ds_read_b128 v[8:11], v26 offset:352
	v_add_f64 v[20:21], v[20:21], v[36:37]
	v_add_f64 v[52:53], v[38:39], v[52:53]
	s_waitcnt lgkmcnt(1)
	v_mul_f64 v[54:55], v[46:47], v[4:5]
	v_mul_f64 v[4:5], v[44:45], v[4:5]
	;; [unrolled: 9-line block ×3, first 2 shown]
	v_fma_f64 v[52:53], v[44:45], v[2:3], -v[54:55]
	v_fma_f64 v[54:55], v[46:47], v[2:3], v[4:5]
	ds_read_b128 v[14:17], v26 offset:368
	ds_read_b128 v[48:51], v26 offset:384
	ds_read_b128 v[44:47], v30 offset:12288
	ds_read_b128 v[2:5], v30 offset:12800
	v_add_f64 v[6:7], v[6:7], v[12:13]
	v_add_f64 v[12:13], v[18:19], v[56:57]
	s_waitcnt lgkmcnt(3)
	v_mul_f64 v[18:19], v[42:43], v[16:17]
	v_mul_f64 v[16:17], v[40:41], v[16:17]
	v_fma_f64 v[20:21], v[36:37], v[8:9], -v[20:21]
	v_fma_f64 v[36:37], v[38:39], v[8:9], v[10:11]
	v_add_f64 v[38:39], v[6:7], v[54:55]
	v_add_f64 v[52:53], v[12:13], v[52:53]
	s_waitcnt lgkmcnt(1)
	v_mul_f64 v[54:55], v[46:47], v[50:51]
	v_mul_f64 v[50:51], v[44:45], v[50:51]
	v_fma_f64 v[40:41], v[40:41], v[14:15], -v[18:19]
	v_fma_f64 v[42:43], v[42:43], v[14:15], v[16:17]
	ds_read_b128 v[6:9], v26 offset:400
	ds_read_b128 v[10:13], v26 offset:416
	v_add_f64 v[36:37], v[38:39], v[36:37]
	v_add_f64 v[38:39], v[52:53], v[20:21]
	s_waitcnt lgkmcnt(1)
	v_mul_f64 v[52:53], v[4:5], v[8:9]
	v_mul_f64 v[8:9], v[2:3], v[8:9]
	v_fma_f64 v[44:45], v[44:45], v[48:49], -v[54:55]
	v_fma_f64 v[46:47], v[46:47], v[48:49], v[50:51]
	ds_read_b128 v[14:17], v30 offset:13312
	ds_read_b128 v[18:21], v30 offset:13824
	v_add_f64 v[48:49], v[36:37], v[42:43]
	v_add_f64 v[50:51], v[38:39], v[40:41]
	global_load_dwordx4 v[40:43], v[22:23], off
	s_waitcnt lgkmcnt(1)
	v_mul_f64 v[54:55], v[16:17], v[12:13]
	v_mul_f64 v[12:13], v[14:15], v[12:13]
	v_fma_f64 v[52:53], v[2:3], v[6:7], -v[52:53]
	v_fma_f64 v[56:57], v[4:5], v[6:7], v[8:9]
	ds_read_b128 v[36:39], v26 offset:432
	v_add_f64 v[46:47], v[48:49], v[46:47]
	v_add_f64 v[44:45], v[50:51], v[44:45]
	ds_read_b128 v[2:5], v26 offset:448
	ds_read_b128 v[6:9], v30 offset:14336
	v_fma_f64 v[50:51], v[14:15], v[10:11], -v[54:55]
	s_waitcnt lgkmcnt(2)
	v_mul_f64 v[48:49], v[20:21], v[38:39]
	v_mul_f64 v[38:39], v[18:19], v[38:39]
	v_fma_f64 v[54:55], v[16:17], v[10:11], v[12:13]
	ds_read_b128 v[10:13], v30 offset:14848
	ds_read_b128 v[14:17], v26 offset:464
	v_add_f64 v[46:47], v[46:47], v[56:57]
	v_add_f64 v[44:45], v[44:45], v[52:53]
	s_waitcnt lgkmcnt(2)
	v_mul_f64 v[52:53], v[8:9], v[4:5]
	v_mul_f64 v[4:5], v[6:7], v[4:5]
	v_fma_f64 v[48:49], v[18:19], v[36:37], -v[48:49]
	v_fma_f64 v[56:57], v[20:21], v[36:37], v[38:39]
	ds_read_b128 v[18:21], v26 offset:480
	ds_read_b128 v[36:39], v30 offset:15360
	v_add_f64 v[46:47], v[46:47], v[54:55]
	v_add_f64 v[44:45], v[44:45], v[50:51]
	s_waitcnt lgkmcnt(2)
	v_mul_f64 v[50:51], v[12:13], v[16:17]
	v_mul_f64 v[16:17], v[10:11], v[16:17]
	v_fma_f64 v[52:53], v[6:7], v[2:3], -v[52:53]
	;; [unrolled: 9-line block ×3, first 2 shown]
	v_fma_f64 v[12:13], v[12:13], v[14:15], v[16:17]
	v_add_f64 v[14:15], v[46:47], v[54:55]
	v_add_f64 v[16:17], v[44:45], v[52:53]
	s_waitcnt lgkmcnt(0)
	v_mul_f64 v[44:45], v[4:5], v[8:9]
	v_mul_f64 v[8:9], v[2:3], v[8:9]
	v_fma_f64 v[36:37], v[36:37], v[18:19], -v[48:49]
	v_fma_f64 v[18:19], v[38:39], v[18:19], v[20:21]
	v_add_f64 v[12:13], v[14:15], v[12:13]
	v_add_f64 v[10:11], v[16:17], v[10:11]
	v_fma_f64 v[2:3], v[2:3], v[6:7], -v[44:45]
	v_fma_f64 v[4:5], v[4:5], v[6:7], v[8:9]
	v_add_f64 v[6:7], v[12:13], v[18:19]
	v_add_f64 v[8:9], v[10:11], v[36:37]
	;; [unrolled: 1-line block ×4, first 2 shown]
	v_mul_f64 v[6:7], s[14:15], v[4:5]
	v_mul_f64 v[8:9], s[14:15], v[2:3]
	v_fma_f64 v[2:3], s[12:13], v[2:3], -v[6:7]
	v_fma_f64 v[4:5], s[12:13], v[4:5], v[8:9]
	s_waitcnt vmcnt(0)
	v_add_f64 v[2:3], v[40:41], v[2:3]
	v_add_f64 v[4:5], v[42:43], v[4:5]
	global_store_dwordx4 v[22:23], v[2:5], off
	s_branch .LBB1910_4
.LBB1910_17:
	s_endpgm
	.section	.rodata,"a",@progbits
	.p2align	6, 0x0
	.amdhsa_kernel _ZL26rocblas_syr2k_her2k_kernelIiLb1ELb0ELb0ELi32EPK19rocblas_complex_numIdES3_PS1_EvbiT_T4_T5_S5_lS7_S5_lT6_S5_li
		.amdhsa_group_segment_fixed_size 32768
		.amdhsa_private_segment_fixed_size 0
		.amdhsa_kernarg_size 100
		.amdhsa_user_sgpr_count 6
		.amdhsa_user_sgpr_private_segment_buffer 1
		.amdhsa_user_sgpr_dispatch_ptr 0
		.amdhsa_user_sgpr_queue_ptr 0
		.amdhsa_user_sgpr_kernarg_segment_ptr 1
		.amdhsa_user_sgpr_dispatch_id 0
		.amdhsa_user_sgpr_flat_scratch_init 0
		.amdhsa_user_sgpr_private_segment_size 0
		.amdhsa_uses_dynamic_stack 0
		.amdhsa_system_sgpr_private_segment_wavefront_offset 0
		.amdhsa_system_sgpr_workgroup_id_x 1
		.amdhsa_system_sgpr_workgroup_id_y 1
		.amdhsa_system_sgpr_workgroup_id_z 1
		.amdhsa_system_sgpr_workgroup_info 0
		.amdhsa_system_vgpr_workitem_id 1
		.amdhsa_next_free_vgpr 58
		.amdhsa_next_free_sgpr 61
		.amdhsa_reserve_vcc 1
		.amdhsa_reserve_flat_scratch 0
		.amdhsa_float_round_mode_32 0
		.amdhsa_float_round_mode_16_64 0
		.amdhsa_float_denorm_mode_32 3
		.amdhsa_float_denorm_mode_16_64 3
		.amdhsa_dx10_clamp 1
		.amdhsa_ieee_mode 1
		.amdhsa_fp16_overflow 0
		.amdhsa_exception_fp_ieee_invalid_op 0
		.amdhsa_exception_fp_denorm_src 0
		.amdhsa_exception_fp_ieee_div_zero 0
		.amdhsa_exception_fp_ieee_overflow 0
		.amdhsa_exception_fp_ieee_underflow 0
		.amdhsa_exception_fp_ieee_inexact 0
		.amdhsa_exception_int_div_zero 0
	.end_amdhsa_kernel
	.section	.text._ZL26rocblas_syr2k_her2k_kernelIiLb1ELb0ELb0ELi32EPK19rocblas_complex_numIdES3_PS1_EvbiT_T4_T5_S5_lS7_S5_lT6_S5_li,"axG",@progbits,_ZL26rocblas_syr2k_her2k_kernelIiLb1ELb0ELb0ELi32EPK19rocblas_complex_numIdES3_PS1_EvbiT_T4_T5_S5_lS7_S5_lT6_S5_li,comdat
.Lfunc_end1910:
	.size	_ZL26rocblas_syr2k_her2k_kernelIiLb1ELb0ELb0ELi32EPK19rocblas_complex_numIdES3_PS1_EvbiT_T4_T5_S5_lS7_S5_lT6_S5_li, .Lfunc_end1910-_ZL26rocblas_syr2k_her2k_kernelIiLb1ELb0ELb0ELi32EPK19rocblas_complex_numIdES3_PS1_EvbiT_T4_T5_S5_lS7_S5_lT6_S5_li
                                        ; -- End function
	.set _ZL26rocblas_syr2k_her2k_kernelIiLb1ELb0ELb0ELi32EPK19rocblas_complex_numIdES3_PS1_EvbiT_T4_T5_S5_lS7_S5_lT6_S5_li.num_vgpr, 58
	.set _ZL26rocblas_syr2k_her2k_kernelIiLb1ELb0ELb0ELi32EPK19rocblas_complex_numIdES3_PS1_EvbiT_T4_T5_S5_lS7_S5_lT6_S5_li.num_agpr, 0
	.set _ZL26rocblas_syr2k_her2k_kernelIiLb1ELb0ELb0ELi32EPK19rocblas_complex_numIdES3_PS1_EvbiT_T4_T5_S5_lS7_S5_lT6_S5_li.numbered_sgpr, 28
	.set _ZL26rocblas_syr2k_her2k_kernelIiLb1ELb0ELb0ELi32EPK19rocblas_complex_numIdES3_PS1_EvbiT_T4_T5_S5_lS7_S5_lT6_S5_li.num_named_barrier, 0
	.set _ZL26rocblas_syr2k_her2k_kernelIiLb1ELb0ELb0ELi32EPK19rocblas_complex_numIdES3_PS1_EvbiT_T4_T5_S5_lS7_S5_lT6_S5_li.private_seg_size, 0
	.set _ZL26rocblas_syr2k_her2k_kernelIiLb1ELb0ELb0ELi32EPK19rocblas_complex_numIdES3_PS1_EvbiT_T4_T5_S5_lS7_S5_lT6_S5_li.uses_vcc, 1
	.set _ZL26rocblas_syr2k_her2k_kernelIiLb1ELb0ELb0ELi32EPK19rocblas_complex_numIdES3_PS1_EvbiT_T4_T5_S5_lS7_S5_lT6_S5_li.uses_flat_scratch, 0
	.set _ZL26rocblas_syr2k_her2k_kernelIiLb1ELb0ELb0ELi32EPK19rocblas_complex_numIdES3_PS1_EvbiT_T4_T5_S5_lS7_S5_lT6_S5_li.has_dyn_sized_stack, 0
	.set _ZL26rocblas_syr2k_her2k_kernelIiLb1ELb0ELb0ELi32EPK19rocblas_complex_numIdES3_PS1_EvbiT_T4_T5_S5_lS7_S5_lT6_S5_li.has_recursion, 0
	.set _ZL26rocblas_syr2k_her2k_kernelIiLb1ELb0ELb0ELi32EPK19rocblas_complex_numIdES3_PS1_EvbiT_T4_T5_S5_lS7_S5_lT6_S5_li.has_indirect_call, 0
	.section	.AMDGPU.csdata,"",@progbits
; Kernel info:
; codeLenInByte = 5396
; TotalNumSgprs: 32
; NumVgprs: 58
; ScratchSize: 0
; MemoryBound: 1
; FloatMode: 240
; IeeeMode: 1
; LDSByteSize: 32768 bytes/workgroup (compile time only)
; SGPRBlocks: 8
; VGPRBlocks: 14
; NumSGPRsForWavesPerEU: 65
; NumVGPRsForWavesPerEU: 58
; Occupancy: 4
; WaveLimiterHint : 0
; COMPUTE_PGM_RSRC2:SCRATCH_EN: 0
; COMPUTE_PGM_RSRC2:USER_SGPR: 6
; COMPUTE_PGM_RSRC2:TRAP_HANDLER: 0
; COMPUTE_PGM_RSRC2:TGID_X_EN: 1
; COMPUTE_PGM_RSRC2:TGID_Y_EN: 1
; COMPUTE_PGM_RSRC2:TGID_Z_EN: 1
; COMPUTE_PGM_RSRC2:TIDIG_COMP_CNT: 1
	.section	.text._ZL26rocblas_syr2k_her2k_kernelIiLb1ELb0ELb1ELi32EPK19rocblas_complex_numIdES3_PS1_EvbiT_T4_T5_S5_lS7_S5_lT6_S5_li,"axG",@progbits,_ZL26rocblas_syr2k_her2k_kernelIiLb1ELb0ELb1ELi32EPK19rocblas_complex_numIdES3_PS1_EvbiT_T4_T5_S5_lS7_S5_lT6_S5_li,comdat
	.globl	_ZL26rocblas_syr2k_her2k_kernelIiLb1ELb0ELb1ELi32EPK19rocblas_complex_numIdES3_PS1_EvbiT_T4_T5_S5_lS7_S5_lT6_S5_li ; -- Begin function _ZL26rocblas_syr2k_her2k_kernelIiLb1ELb0ELb1ELi32EPK19rocblas_complex_numIdES3_PS1_EvbiT_T4_T5_S5_lS7_S5_lT6_S5_li
	.p2align	8
	.type	_ZL26rocblas_syr2k_her2k_kernelIiLb1ELb0ELb1ELi32EPK19rocblas_complex_numIdES3_PS1_EvbiT_T4_T5_S5_lS7_S5_lT6_S5_li,@function
_ZL26rocblas_syr2k_her2k_kernelIiLb1ELb0ELb1ELi32EPK19rocblas_complex_numIdES3_PS1_EvbiT_T4_T5_S5_lS7_S5_lT6_S5_li: ; @_ZL26rocblas_syr2k_her2k_kernelIiLb1ELb0ELb1ELi32EPK19rocblas_complex_numIdES3_PS1_EvbiT_T4_T5_S5_lS7_S5_lT6_S5_li
; %bb.0:
	s_load_dwordx4 s[0:3], s[4:5], 0x10
	s_waitcnt lgkmcnt(0)
	s_load_dwordx4 s[12:15], s[0:1], 0x0
	s_waitcnt lgkmcnt(0)
	v_cmp_eq_f64_e64 s[0:1], s[12:13], 0
	v_cmp_eq_f64_e64 s[10:11], s[14:15], 0
	s_and_b64 s[0:1], s[0:1], s[10:11]
	s_and_b64 vcc, exec, s[0:1]
	s_cbranch_vccnz .LBB1911_17
; %bb.1:
	s_load_dwordx4 s[16:19], s[4:5], 0x0
	s_lshl_b32 s0, s7, 5
	s_lshl_b32 s1, s6, 5
	s_waitcnt lgkmcnt(0)
	s_and_b32 s6, 1, s16
	s_cmp_eq_u32 s6, 1
	s_cselect_b64 vcc, -1, 0
	s_and_b64 s[6:7], vcc, exec
	s_cselect_b32 s6, s1, s0
	s_cselect_b32 s7, s0, s1
	s_cmp_gt_i32 s6, s7
	s_cbranch_scc1 .LBB1911_17
; %bb.2:
	s_cmp_lt_i32 s18, 1
	s_cbranch_scc1 .LBB1911_17
; %bb.3:
	v_add_u32_e32 v2, s1, v0
	s_load_dword s9, s[4:5], 0x20
	s_load_dwordx4 s[20:23], s[4:5], 0x28
	s_load_dword s10, s[4:5], 0x38
	s_load_dwordx4 s[24:27], s[4:5], 0x40
	s_load_dword s11, s[4:5], 0x50
	s_load_dwordx2 s[6:7], s[4:5], 0x58
	v_add_u32_e32 v7, s0, v1
	s_waitcnt lgkmcnt(0)
	v_mad_i64_i32 v[4:5], s[0:1], s9, v2, 0
	s_mul_i32 s4, s21, s8
	s_mul_hi_u32 s5, s20, s8
	s_add_i32 s5, s5, s4
	s_mul_i32 s4, s20, s8
	s_lshl_b64 s[4:5], s[4:5], 4
	s_add_u32 s16, s2, s4
	v_lshlrev_b64 v[4:5], 4, v[4:5]
	s_addc_u32 s19, s3, s5
	s_mul_i32 s2, s25, s8
	s_mul_hi_u32 s3, s24, s8
	s_add_i32 s3, s3, s2
	s_mul_i32 s2, s24, s8
	v_mov_b32_e32 v9, s19
	v_add_co_u32_e64 v24, s[0:1], s16, v4
	s_lshl_b64 s[2:3], s[2:3], 4
	v_addc_co_u32_e64 v25, s[0:1], v9, v5, s[0:1]
	v_mad_i64_i32 v[4:5], s[0:1], s10, v7, 0
	s_add_u32 s20, s22, s2
	s_addc_u32 s21, s23, s3
	s_mul_i32 s2, s7, s8
	s_mul_hi_u32 s3, s6, s8
	s_add_i32 s3, s3, s2
	s_mul_i32 s2, s6, s8
	s_lshl_b64 s[2:3], s[2:3], 4
	v_lshlrev_b64 v[4:5], 4, v[4:5]
	s_add_u32 s6, s26, s2
	s_addc_u32 s7, s27, s3
	v_mov_b32_e32 v10, s21
	v_add_co_u32_e64 v28, s[2:3], s20, v4
	v_addc_co_u32_e64 v29, s[2:3], v10, v5, s[2:3]
	v_mad_i64_i32 v[4:5], s[2:3], s11, v7, 0
	v_cndmask_b32_e32 v6, v2, v7, vcc
	v_cndmask_b32_e32 v8, v7, v2, vcc
	v_cmp_gt_i32_e32 vcc, s17, v2
	v_cmp_gt_i32_e64 s[0:1], s17, v7
	v_lshlrev_b64 v[4:5], 4, v[4:5]
	v_cmp_le_i32_e64 s[2:3], v8, v6
	s_and_b64 s[4:5], s[0:1], vcc
	v_lshlrev_b32_e32 v26, 9, v0
	v_lshlrev_b32_e32 v9, 4, v1
	s_and_b64 s[4:5], s[4:5], s[2:3]
	v_mov_b32_e32 v6, s7
	v_add_co_u32_e64 v8, s[2:3], s6, v4
	v_ashrrev_i32_e32 v3, 31, v2
	v_add_u32_e32 v27, v26, v9
	v_or_b32_e32 v30, 0x4000, v9
	v_addc_co_u32_e64 v9, s[2:3], v6, v5, s[2:3]
	v_mad_i64_i32 v[5:6], s[2:3], s10, v2, 0
	v_lshlrev_b64 v[3:4], 4, v[2:3]
	v_add_u32_e32 v31, v30, v26
	v_add_co_u32_e64 v22, s[2:3], v8, v3
	v_addc_co_u32_e64 v23, s[2:3], v9, v4, s[2:3]
	v_lshlrev_b64 v[2:3], 4, v[5:6]
	v_mad_i64_i32 v[4:5], s[2:3], s9, v7, 0
	v_mov_b32_e32 v6, s21
	v_add_co_u32_e64 v32, s[2:3], s20, v2
	v_addc_co_u32_e64 v33, s[2:3], v6, v3, s[2:3]
	v_lshlrev_b64 v[2:3], 4, v[4:5]
	v_mov_b32_e32 v4, s19
	v_add_co_u32_e64 v34, s[2:3], s16, v2
	v_addc_co_u32_e64 v35, s[2:3], v4, v3, s[2:3]
	s_mov_b32 s16, 0
	s_branch .LBB1911_5
.LBB1911_4:                             ;   in Loop: Header=BB1911_5 Depth=1
	s_or_b64 exec, exec, s[2:3]
	s_add_i32 s16, s16, 32
	s_cmp_lt_i32 s16, s18
	s_waitcnt vmcnt(0)
	s_barrier
	s_cbranch_scc0 .LBB1911_17
.LBB1911_5:                             ; =>This Inner Loop Header: Depth=1
	v_add_u32_e32 v10, s16, v1
	v_cmp_gt_i32_e64 s[2:3], s18, v10
	v_mov_b32_e32 v2, 0
	v_mov_b32_e32 v4, 0
	;; [unrolled: 1-line block ×6, first 2 shown]
	s_and_b64 s[6:7], vcc, s[2:3]
	s_and_saveexec_b64 s[8:9], s[6:7]
	s_cbranch_execz .LBB1911_7
; %bb.6:                                ;   in Loop: Header=BB1911_5 Depth=1
	v_ashrrev_i32_e32 v11, 31, v10
	v_lshlrev_b64 v[4:5], 4, v[10:11]
	v_add_co_u32_e64 v4, s[2:3], v24, v4
	v_addc_co_u32_e64 v5, s[2:3], v25, v5, s[2:3]
	global_load_dwordx4 v[4:7], v[4:5], off
.LBB1911_7:                             ;   in Loop: Header=BB1911_5 Depth=1
	s_or_b64 exec, exec, s[8:9]
	v_add_u32_e32 v12, s16, v0
	s_waitcnt vmcnt(0)
	ds_write_b128 v27, v[4:7]
	v_cmp_gt_i32_e64 s[2:3], s18, v12
	v_mov_b32_e32 v4, 0
	v_mov_b32_e32 v5, 0
	s_and_b64 s[8:9], s[0:1], s[2:3]
	s_and_saveexec_b64 s[10:11], s[8:9]
	s_cbranch_execz .LBB1911_9
; %bb.8:                                ;   in Loop: Header=BB1911_5 Depth=1
	v_ashrrev_i32_e32 v13, 31, v12
	v_lshlrev_b64 v[2:3], 4, v[12:13]
	v_add_co_u32_e64 v2, s[2:3], v28, v2
	v_addc_co_u32_e64 v3, s[2:3], v29, v3, s[2:3]
	global_load_dwordx4 v[2:5], v[2:3], off
.LBB1911_9:                             ;   in Loop: Header=BB1911_5 Depth=1
	s_or_b64 exec, exec, s[10:11]
	s_waitcnt vmcnt(0)
	ds_write_b128 v31, v[2:5]
	s_waitcnt lgkmcnt(0)
	s_barrier
	s_and_saveexec_b64 s[2:3], s[4:5]
	s_cbranch_execz .LBB1911_11
; %bb.10:                               ;   in Loop: Header=BB1911_5 Depth=1
	ds_read_b128 v[6:9], v30
	ds_read_b128 v[13:16], v26
	ds_read_b128 v[17:20], v26 offset:16
	ds_read_b128 v[36:39], v26 offset:32
	;; [unrolled: 1-line block ×3, first 2 shown]
	s_waitcnt lgkmcnt(3)
	v_mul_f64 v[40:41], v[8:9], v[15:16]
	v_fma_f64 v[40:41], v[6:7], v[13:14], -v[40:41]
	v_mul_f64 v[6:7], v[6:7], v[15:16]
	v_fma_f64 v[6:7], v[8:9], v[13:14], v[6:7]
	v_add_f64 v[13:14], v[40:41], 0
	v_add_f64 v[15:16], v[6:7], 0
	ds_read_b128 v[6:9], v30 offset:512
	s_waitcnt lgkmcnt(0)
	v_mul_f64 v[40:41], v[8:9], v[19:20]
	v_fma_f64 v[40:41], v[6:7], v[17:18], -v[40:41]
	v_mul_f64 v[6:7], v[6:7], v[19:20]
	v_add_f64 v[13:14], v[13:14], v[40:41]
	v_fma_f64 v[6:7], v[8:9], v[17:18], v[6:7]
	v_add_f64 v[15:16], v[15:16], v[6:7]
	ds_read_b128 v[6:9], v30 offset:1024
	s_waitcnt lgkmcnt(0)
	v_mul_f64 v[17:18], v[8:9], v[38:39]
	v_fma_f64 v[17:18], v[6:7], v[36:37], -v[17:18]
	v_mul_f64 v[6:7], v[6:7], v[38:39]
	v_add_f64 v[13:14], v[13:14], v[17:18]
	v_fma_f64 v[6:7], v[8:9], v[36:37], v[6:7]
	v_add_f64 v[15:16], v[15:16], v[6:7]
	ds_read_b128 v[6:9], v30 offset:1536
	s_waitcnt lgkmcnt(0)
	v_mul_f64 v[17:18], v[8:9], v[4:5]
	v_mul_f64 v[4:5], v[6:7], v[4:5]
	v_fma_f64 v[17:18], v[6:7], v[2:3], -v[17:18]
	v_fma_f64 v[2:3], v[8:9], v[2:3], v[4:5]
	v_add_f64 v[13:14], v[13:14], v[17:18]
	v_add_f64 v[15:16], v[15:16], v[2:3]
	ds_read_b128 v[2:5], v30 offset:2048
	ds_read_b128 v[6:9], v26 offset:64
	s_waitcnt lgkmcnt(0)
	v_mul_f64 v[17:18], v[4:5], v[8:9]
	v_fma_f64 v[17:18], v[2:3], v[6:7], -v[17:18]
	v_mul_f64 v[2:3], v[2:3], v[8:9]
	v_add_f64 v[13:14], v[13:14], v[17:18]
	v_fma_f64 v[2:3], v[4:5], v[6:7], v[2:3]
	v_add_f64 v[15:16], v[15:16], v[2:3]
	ds_read_b128 v[2:5], v30 offset:2560
	ds_read_b128 v[6:9], v26 offset:80
	s_waitcnt lgkmcnt(0)
	v_mul_f64 v[17:18], v[4:5], v[8:9]
	v_fma_f64 v[17:18], v[2:3], v[6:7], -v[17:18]
	v_mul_f64 v[2:3], v[2:3], v[8:9]
	v_add_f64 v[13:14], v[13:14], v[17:18]
	v_fma_f64 v[2:3], v[4:5], v[6:7], v[2:3]
	v_add_f64 v[15:16], v[15:16], v[2:3]
	ds_read_b128 v[2:5], v30 offset:3072
	ds_read_b128 v[6:9], v26 offset:96
	s_waitcnt lgkmcnt(0)
	v_mul_f64 v[17:18], v[4:5], v[8:9]
	v_fma_f64 v[17:18], v[2:3], v[6:7], -v[17:18]
	v_mul_f64 v[2:3], v[2:3], v[8:9]
	v_add_f64 v[13:14], v[13:14], v[17:18]
	v_fma_f64 v[2:3], v[4:5], v[6:7], v[2:3]
	v_add_f64 v[15:16], v[15:16], v[2:3]
	ds_read_b128 v[2:5], v30 offset:3584
	ds_read_b128 v[6:9], v26 offset:112
	s_waitcnt lgkmcnt(0)
	v_mul_f64 v[17:18], v[4:5], v[8:9]
	v_fma_f64 v[17:18], v[2:3], v[6:7], -v[17:18]
	v_mul_f64 v[2:3], v[2:3], v[8:9]
	v_add_f64 v[13:14], v[13:14], v[17:18]
	v_fma_f64 v[2:3], v[4:5], v[6:7], v[2:3]
	v_add_f64 v[15:16], v[15:16], v[2:3]
	ds_read_b128 v[2:5], v30 offset:4096
	ds_read_b128 v[6:9], v26 offset:128
	s_waitcnt lgkmcnt(0)
	v_mul_f64 v[17:18], v[4:5], v[8:9]
	v_fma_f64 v[17:18], v[2:3], v[6:7], -v[17:18]
	v_mul_f64 v[2:3], v[2:3], v[8:9]
	v_add_f64 v[13:14], v[13:14], v[17:18]
	v_fma_f64 v[2:3], v[4:5], v[6:7], v[2:3]
	v_add_f64 v[15:16], v[15:16], v[2:3]
	ds_read_b128 v[2:5], v30 offset:4608
	ds_read_b128 v[6:9], v26 offset:144
	s_waitcnt lgkmcnt(0)
	v_mul_f64 v[17:18], v[4:5], v[8:9]
	v_fma_f64 v[17:18], v[2:3], v[6:7], -v[17:18]
	v_mul_f64 v[2:3], v[2:3], v[8:9]
	v_add_f64 v[13:14], v[13:14], v[17:18]
	v_fma_f64 v[2:3], v[4:5], v[6:7], v[2:3]
	v_add_f64 v[15:16], v[15:16], v[2:3]
	ds_read_b128 v[2:5], v30 offset:5120
	ds_read_b128 v[6:9], v26 offset:160
	s_waitcnt lgkmcnt(0)
	v_mul_f64 v[17:18], v[4:5], v[8:9]
	v_fma_f64 v[17:18], v[2:3], v[6:7], -v[17:18]
	v_mul_f64 v[2:3], v[2:3], v[8:9]
	v_add_f64 v[13:14], v[13:14], v[17:18]
	v_fma_f64 v[2:3], v[4:5], v[6:7], v[2:3]
	v_add_f64 v[15:16], v[15:16], v[2:3]
	ds_read_b128 v[2:5], v30 offset:5632
	ds_read_b128 v[6:9], v26 offset:176
	s_waitcnt lgkmcnt(0)
	v_mul_f64 v[17:18], v[4:5], v[8:9]
	v_fma_f64 v[17:18], v[2:3], v[6:7], -v[17:18]
	v_mul_f64 v[2:3], v[2:3], v[8:9]
	v_add_f64 v[13:14], v[13:14], v[17:18]
	v_fma_f64 v[2:3], v[4:5], v[6:7], v[2:3]
	v_add_f64 v[15:16], v[15:16], v[2:3]
	ds_read_b128 v[2:5], v30 offset:6144
	ds_read_b128 v[6:9], v26 offset:192
	s_waitcnt lgkmcnt(0)
	v_mul_f64 v[17:18], v[4:5], v[8:9]
	v_fma_f64 v[17:18], v[2:3], v[6:7], -v[17:18]
	v_mul_f64 v[2:3], v[2:3], v[8:9]
	v_add_f64 v[13:14], v[13:14], v[17:18]
	v_fma_f64 v[2:3], v[4:5], v[6:7], v[2:3]
	v_add_f64 v[15:16], v[15:16], v[2:3]
	ds_read_b128 v[2:5], v30 offset:6656
	ds_read_b128 v[6:9], v26 offset:208
	s_waitcnt lgkmcnt(0)
	v_mul_f64 v[17:18], v[4:5], v[8:9]
	v_fma_f64 v[17:18], v[2:3], v[6:7], -v[17:18]
	v_mul_f64 v[2:3], v[2:3], v[8:9]
	v_add_f64 v[13:14], v[13:14], v[17:18]
	v_fma_f64 v[2:3], v[4:5], v[6:7], v[2:3]
	v_add_f64 v[15:16], v[15:16], v[2:3]
	ds_read_b128 v[2:5], v30 offset:7168
	ds_read_b128 v[6:9], v26 offset:224
	s_waitcnt lgkmcnt(0)
	v_mul_f64 v[17:18], v[4:5], v[8:9]
	v_fma_f64 v[17:18], v[2:3], v[6:7], -v[17:18]
	v_mul_f64 v[2:3], v[2:3], v[8:9]
	v_add_f64 v[13:14], v[13:14], v[17:18]
	v_fma_f64 v[2:3], v[4:5], v[6:7], v[2:3]
	v_add_f64 v[15:16], v[15:16], v[2:3]
	ds_read_b128 v[2:5], v30 offset:7680
	ds_read_b128 v[6:9], v26 offset:240
	s_waitcnt lgkmcnt(0)
	v_mul_f64 v[17:18], v[4:5], v[8:9]
	v_fma_f64 v[17:18], v[2:3], v[6:7], -v[17:18]
	v_mul_f64 v[2:3], v[2:3], v[8:9]
	v_add_f64 v[13:14], v[13:14], v[17:18]
	v_fma_f64 v[2:3], v[4:5], v[6:7], v[2:3]
	v_add_f64 v[15:16], v[15:16], v[2:3]
	ds_read_b128 v[2:5], v30 offset:8192
	ds_read_b128 v[6:9], v26 offset:256
	s_waitcnt lgkmcnt(0)
	v_mul_f64 v[17:18], v[4:5], v[8:9]
	v_fma_f64 v[17:18], v[2:3], v[6:7], -v[17:18]
	v_mul_f64 v[2:3], v[2:3], v[8:9]
	v_add_f64 v[13:14], v[13:14], v[17:18]
	v_fma_f64 v[2:3], v[4:5], v[6:7], v[2:3]
	v_add_f64 v[15:16], v[15:16], v[2:3]
	ds_read_b128 v[2:5], v30 offset:8704
	ds_read_b128 v[6:9], v26 offset:272
	s_waitcnt lgkmcnt(0)
	v_mul_f64 v[17:18], v[4:5], v[8:9]
	v_fma_f64 v[17:18], v[2:3], v[6:7], -v[17:18]
	v_mul_f64 v[2:3], v[2:3], v[8:9]
	v_add_f64 v[13:14], v[13:14], v[17:18]
	v_fma_f64 v[2:3], v[4:5], v[6:7], v[2:3]
	v_add_f64 v[15:16], v[15:16], v[2:3]
	ds_read_b128 v[2:5], v30 offset:9216
	ds_read_b128 v[6:9], v26 offset:288
	s_waitcnt lgkmcnt(0)
	v_mul_f64 v[17:18], v[4:5], v[8:9]
	v_fma_f64 v[17:18], v[2:3], v[6:7], -v[17:18]
	v_mul_f64 v[2:3], v[2:3], v[8:9]
	v_add_f64 v[13:14], v[13:14], v[17:18]
	v_fma_f64 v[2:3], v[4:5], v[6:7], v[2:3]
	v_add_f64 v[15:16], v[15:16], v[2:3]
	ds_read_b128 v[2:5], v30 offset:9728
	ds_read_b128 v[6:9], v26 offset:304
	s_waitcnt lgkmcnt(0)
	v_mul_f64 v[17:18], v[4:5], v[8:9]
	v_fma_f64 v[17:18], v[2:3], v[6:7], -v[17:18]
	v_mul_f64 v[2:3], v[2:3], v[8:9]
	v_add_f64 v[13:14], v[13:14], v[17:18]
	v_fma_f64 v[2:3], v[4:5], v[6:7], v[2:3]
	v_add_f64 v[15:16], v[15:16], v[2:3]
	ds_read_b128 v[2:5], v30 offset:10240
	ds_read_b128 v[6:9], v26 offset:320
	s_waitcnt lgkmcnt(0)
	v_mul_f64 v[17:18], v[4:5], v[8:9]
	v_fma_f64 v[17:18], v[2:3], v[6:7], -v[17:18]
	v_mul_f64 v[2:3], v[2:3], v[8:9]
	v_add_f64 v[13:14], v[13:14], v[17:18]
	v_fma_f64 v[2:3], v[4:5], v[6:7], v[2:3]
	v_add_f64 v[15:16], v[15:16], v[2:3]
	ds_read_b128 v[2:5], v30 offset:10752
	ds_read_b128 v[6:9], v26 offset:336
	s_waitcnt lgkmcnt(0)
	v_mul_f64 v[17:18], v[4:5], v[8:9]
	v_fma_f64 v[17:18], v[2:3], v[6:7], -v[17:18]
	v_mul_f64 v[2:3], v[2:3], v[8:9]
	v_add_f64 v[13:14], v[13:14], v[17:18]
	v_fma_f64 v[2:3], v[4:5], v[6:7], v[2:3]
	v_add_f64 v[15:16], v[15:16], v[2:3]
	ds_read_b128 v[2:5], v30 offset:11264
	ds_read_b128 v[6:9], v26 offset:352
	s_waitcnt lgkmcnt(0)
	v_mul_f64 v[17:18], v[4:5], v[8:9]
	v_fma_f64 v[17:18], v[2:3], v[6:7], -v[17:18]
	v_mul_f64 v[2:3], v[2:3], v[8:9]
	v_add_f64 v[13:14], v[13:14], v[17:18]
	v_fma_f64 v[2:3], v[4:5], v[6:7], v[2:3]
	v_add_f64 v[15:16], v[15:16], v[2:3]
	ds_read_b128 v[2:5], v30 offset:11776
	ds_read_b128 v[6:9], v26 offset:368
	s_waitcnt lgkmcnt(0)
	v_mul_f64 v[17:18], v[4:5], v[8:9]
	v_fma_f64 v[17:18], v[2:3], v[6:7], -v[17:18]
	v_mul_f64 v[2:3], v[2:3], v[8:9]
	v_add_f64 v[13:14], v[13:14], v[17:18]
	v_fma_f64 v[2:3], v[4:5], v[6:7], v[2:3]
	v_add_f64 v[15:16], v[15:16], v[2:3]
	ds_read_b128 v[2:5], v30 offset:12288
	ds_read_b128 v[6:9], v26 offset:384
	s_waitcnt lgkmcnt(0)
	v_mul_f64 v[17:18], v[4:5], v[8:9]
	v_fma_f64 v[17:18], v[2:3], v[6:7], -v[17:18]
	v_mul_f64 v[2:3], v[2:3], v[8:9]
	v_add_f64 v[13:14], v[13:14], v[17:18]
	v_fma_f64 v[2:3], v[4:5], v[6:7], v[2:3]
	v_add_f64 v[15:16], v[15:16], v[2:3]
	ds_read_b128 v[2:5], v30 offset:12800
	ds_read_b128 v[6:9], v26 offset:400
	s_waitcnt lgkmcnt(0)
	v_mul_f64 v[17:18], v[4:5], v[8:9]
	v_fma_f64 v[17:18], v[2:3], v[6:7], -v[17:18]
	v_mul_f64 v[2:3], v[2:3], v[8:9]
	v_add_f64 v[13:14], v[13:14], v[17:18]
	v_fma_f64 v[2:3], v[4:5], v[6:7], v[2:3]
	v_add_f64 v[15:16], v[15:16], v[2:3]
	ds_read_b128 v[2:5], v30 offset:13312
	ds_read_b128 v[6:9], v26 offset:416
	s_waitcnt lgkmcnt(0)
	v_mul_f64 v[17:18], v[4:5], v[8:9]
	v_fma_f64 v[17:18], v[2:3], v[6:7], -v[17:18]
	v_mul_f64 v[2:3], v[2:3], v[8:9]
	v_add_f64 v[13:14], v[13:14], v[17:18]
	v_fma_f64 v[2:3], v[4:5], v[6:7], v[2:3]
	v_add_f64 v[15:16], v[15:16], v[2:3]
	ds_read_b128 v[2:5], v30 offset:13824
	ds_read_b128 v[6:9], v26 offset:432
	s_waitcnt lgkmcnt(0)
	v_mul_f64 v[17:18], v[4:5], v[8:9]
	v_fma_f64 v[17:18], v[2:3], v[6:7], -v[17:18]
	v_mul_f64 v[2:3], v[2:3], v[8:9]
	v_add_f64 v[13:14], v[13:14], v[17:18]
	v_fma_f64 v[2:3], v[4:5], v[6:7], v[2:3]
	v_add_f64 v[15:16], v[15:16], v[2:3]
	ds_read_b128 v[2:5], v30 offset:14336
	ds_read_b128 v[6:9], v26 offset:448
	s_waitcnt lgkmcnt(0)
	v_mul_f64 v[17:18], v[4:5], v[8:9]
	v_fma_f64 v[17:18], v[2:3], v[6:7], -v[17:18]
	v_mul_f64 v[2:3], v[2:3], v[8:9]
	v_add_f64 v[13:14], v[13:14], v[17:18]
	v_fma_f64 v[2:3], v[4:5], v[6:7], v[2:3]
	v_add_f64 v[15:16], v[15:16], v[2:3]
	ds_read_b128 v[2:5], v30 offset:14848
	ds_read_b128 v[6:9], v26 offset:464
	s_waitcnt lgkmcnt(0)
	v_mul_f64 v[17:18], v[4:5], v[8:9]
	v_fma_f64 v[17:18], v[2:3], v[6:7], -v[17:18]
	v_mul_f64 v[2:3], v[2:3], v[8:9]
	v_add_f64 v[13:14], v[13:14], v[17:18]
	v_fma_f64 v[2:3], v[4:5], v[6:7], v[2:3]
	v_add_f64 v[15:16], v[15:16], v[2:3]
	ds_read_b128 v[2:5], v30 offset:15360
	ds_read_b128 v[6:9], v26 offset:480
	s_waitcnt lgkmcnt(0)
	v_mul_f64 v[17:18], v[4:5], v[8:9]
	v_fma_f64 v[17:18], v[2:3], v[6:7], -v[17:18]
	v_mul_f64 v[2:3], v[2:3], v[8:9]
	v_add_f64 v[13:14], v[13:14], v[17:18]
	v_fma_f64 v[2:3], v[4:5], v[6:7], v[2:3]
	v_add_f64 v[15:16], v[15:16], v[2:3]
	ds_read_b128 v[2:5], v30 offset:15872
	ds_read_b128 v[6:9], v26 offset:496
	s_waitcnt lgkmcnt(0)
	v_mul_f64 v[17:18], v[4:5], v[8:9]
	v_fma_f64 v[17:18], v[2:3], v[6:7], -v[17:18]
	v_mul_f64 v[2:3], v[2:3], v[8:9]
	v_fma_f64 v[2:3], v[4:5], v[6:7], v[2:3]
	v_add_f64 v[4:5], v[13:14], v[17:18]
	v_add_f64 v[2:3], v[15:16], v[2:3]
	v_mul_f64 v[6:7], s[14:15], v[2:3]
	v_mul_f64 v[2:3], s[12:13], v[2:3]
	v_fma_f64 v[6:7], s[12:13], v[4:5], -v[6:7]
	v_fma_f64 v[8:9], s[14:15], v[4:5], v[2:3]
	global_load_dwordx4 v[2:5], v[22:23], off
	s_waitcnt vmcnt(0)
	v_add_f64 v[2:3], v[2:3], v[6:7]
	v_add_f64 v[4:5], v[4:5], v[8:9]
	global_store_dwordx4 v[22:23], v[2:5], off
.LBB1911_11:                            ;   in Loop: Header=BB1911_5 Depth=1
	s_or_b64 exec, exec, s[2:3]
	v_mov_b32_e32 v4, 0
	v_mov_b32_e32 v8, 0
	;; [unrolled: 1-line block ×6, first 2 shown]
	s_waitcnt vmcnt(0)
	s_barrier
	s_and_saveexec_b64 s[10:11], s[6:7]
	s_cbranch_execz .LBB1911_13
; %bb.12:                               ;   in Loop: Header=BB1911_5 Depth=1
	v_ashrrev_i32_e32 v11, 31, v10
	v_lshlrev_b64 v[2:3], 4, v[10:11]
	v_add_co_u32_e64 v2, s[2:3], v32, v2
	v_addc_co_u32_e64 v3, s[2:3], v33, v3, s[2:3]
	global_load_dwordx4 v[6:9], v[2:3], off
.LBB1911_13:                            ;   in Loop: Header=BB1911_5 Depth=1
	s_or_b64 exec, exec, s[10:11]
	v_mov_b32_e32 v2, 0
	v_mov_b32_e32 v3, 0
	s_waitcnt vmcnt(0)
	ds_write_b128 v27, v[6:9]
	s_and_saveexec_b64 s[6:7], s[8:9]
	s_cbranch_execz .LBB1911_15
; %bb.14:                               ;   in Loop: Header=BB1911_5 Depth=1
	v_ashrrev_i32_e32 v13, 31, v12
	v_lshlrev_b64 v[2:3], 4, v[12:13]
	v_add_co_u32_e64 v2, s[2:3], v34, v2
	v_addc_co_u32_e64 v3, s[2:3], v35, v3, s[2:3]
	global_load_dwordx4 v[2:5], v[2:3], off
.LBB1911_15:                            ;   in Loop: Header=BB1911_5 Depth=1
	s_or_b64 exec, exec, s[6:7]
	s_waitcnt vmcnt(0)
	ds_write_b128 v31, v[2:5]
	s_waitcnt lgkmcnt(0)
	s_barrier
	s_and_saveexec_b64 s[2:3], s[4:5]
	s_cbranch_execz .LBB1911_4
; %bb.16:                               ;   in Loop: Header=BB1911_5 Depth=1
	ds_read_b128 v[2:5], v30
	ds_read_b128 v[6:9], v26
	ds_read_b128 v[10:13], v26 offset:16
	ds_read_b128 v[14:17], v30 offset:512
	;; [unrolled: 1-line block ×5, first 2 shown]
	s_waitcnt lgkmcnt(5)
	v_mul_f64 v[44:45], v[2:3], v[8:9]
	v_mul_f64 v[8:9], v[4:5], v[8:9]
	s_waitcnt lgkmcnt(3)
	v_mul_f64 v[46:47], v[16:17], v[12:13]
	v_mul_f64 v[12:13], v[14:15], v[12:13]
	;; [unrolled: 3-line block ×3, first 2 shown]
	v_fma_f64 v[44:45], v[4:5], v[6:7], v[44:45]
	v_fma_f64 v[48:49], v[2:3], v[6:7], -v[8:9]
	v_fma_f64 v[46:47], v[14:15], v[10:11], -v[46:47]
	v_fma_f64 v[52:53], v[16:17], v[10:11], v[12:13]
	ds_read_b128 v[2:5], v30 offset:1536
	ds_read_b128 v[6:9], v26 offset:64
	v_fma_f64 v[50:51], v[18:19], v[36:37], -v[50:51]
	v_fma_f64 v[56:57], v[20:21], v[36:37], v[38:39]
	ds_read_b128 v[10:13], v30 offset:2048
	ds_read_b128 v[14:17], v30 offset:2560
	v_add_f64 v[44:45], v[44:45], 0
	v_add_f64 v[48:49], v[48:49], 0
	s_waitcnt lgkmcnt(3)
	v_mul_f64 v[54:55], v[4:5], v[42:43]
	v_mul_f64 v[42:43], v[2:3], v[42:43]
	ds_read_b128 v[18:21], v26 offset:80
	ds_read_b128 v[36:39], v26 offset:96
	v_add_f64 v[44:45], v[44:45], v[52:53]
	v_add_f64 v[46:47], v[48:49], v[46:47]
	s_waitcnt lgkmcnt(3)
	v_mul_f64 v[48:49], v[12:13], v[8:9]
	v_mul_f64 v[8:9], v[10:11], v[8:9]
	v_fma_f64 v[52:53], v[2:3], v[40:41], -v[54:55]
	v_fma_f64 v[54:55], v[4:5], v[40:41], v[42:43]
	ds_read_b128 v[2:5], v30 offset:3072
	ds_read_b128 v[40:43], v30 offset:3584
	v_add_f64 v[44:45], v[44:45], v[56:57]
	v_add_f64 v[46:47], v[46:47], v[50:51]
	s_waitcnt lgkmcnt(3)
	v_mul_f64 v[50:51], v[16:17], v[20:21]
	v_mul_f64 v[20:21], v[14:15], v[20:21]
	v_fma_f64 v[48:49], v[10:11], v[6:7], -v[48:49]
	v_fma_f64 v[56:57], v[12:13], v[6:7], v[8:9]
	;; [unrolled: 9-line block ×15, first 2 shown]
	s_waitcnt lgkmcnt(1)
	v_mul_f64 v[54:55], v[42:43], v[8:9]
	v_mul_f64 v[56:57], v[40:41], v[8:9]
	v_add_f64 v[20:21], v[44:45], v[16:17]
	v_add_f64 v[48:49], v[46:47], v[48:49]
	v_fma_f64 v[52:53], v[2:3], v[36:37], -v[52:53]
	v_fma_f64 v[36:37], v[4:5], v[36:37], v[38:39]
	ds_read_b128 v[16:19], v30 offset:10240
	ds_read_b128 v[44:47], v30 offset:10752
	v_add_f64 v[20:21], v[20:21], v[10:11]
	v_add_f64 v[38:39], v[48:49], v[50:51]
	s_waitcnt lgkmcnt(1)
	v_mul_f64 v[48:49], v[18:19], v[14:15]
	v_mul_f64 v[14:15], v[16:17], v[14:15]
	v_fma_f64 v[50:51], v[40:41], v[6:7], -v[54:55]
	v_fma_f64 v[6:7], v[42:43], v[6:7], v[56:57]
	ds_read_b128 v[2:5], v26 offset:336
	ds_read_b128 v[8:11], v26 offset:352
	v_add_f64 v[20:21], v[20:21], v[36:37]
	v_add_f64 v[52:53], v[38:39], v[52:53]
	s_waitcnt lgkmcnt(1)
	v_mul_f64 v[54:55], v[46:47], v[4:5]
	v_mul_f64 v[4:5], v[44:45], v[4:5]
	;; [unrolled: 9-line block ×3, first 2 shown]
	v_fma_f64 v[52:53], v[44:45], v[2:3], -v[54:55]
	v_fma_f64 v[54:55], v[46:47], v[2:3], v[4:5]
	ds_read_b128 v[14:17], v26 offset:368
	ds_read_b128 v[48:51], v26 offset:384
	;; [unrolled: 1-line block ×4, first 2 shown]
	v_add_f64 v[6:7], v[6:7], v[12:13]
	v_add_f64 v[12:13], v[18:19], v[56:57]
	s_waitcnt lgkmcnt(3)
	v_mul_f64 v[18:19], v[42:43], v[16:17]
	v_mul_f64 v[16:17], v[40:41], v[16:17]
	v_fma_f64 v[20:21], v[36:37], v[8:9], -v[20:21]
	v_fma_f64 v[36:37], v[38:39], v[8:9], v[10:11]
	v_add_f64 v[38:39], v[6:7], v[54:55]
	v_add_f64 v[52:53], v[12:13], v[52:53]
	s_waitcnt lgkmcnt(1)
	v_mul_f64 v[54:55], v[46:47], v[50:51]
	v_mul_f64 v[50:51], v[44:45], v[50:51]
	v_fma_f64 v[40:41], v[40:41], v[14:15], -v[18:19]
	v_fma_f64 v[42:43], v[42:43], v[14:15], v[16:17]
	ds_read_b128 v[6:9], v26 offset:400
	ds_read_b128 v[10:13], v26 offset:416
	v_add_f64 v[36:37], v[38:39], v[36:37]
	v_add_f64 v[38:39], v[52:53], v[20:21]
	s_waitcnt lgkmcnt(1)
	v_mul_f64 v[52:53], v[4:5], v[8:9]
	v_mul_f64 v[8:9], v[2:3], v[8:9]
	v_fma_f64 v[44:45], v[44:45], v[48:49], -v[54:55]
	v_fma_f64 v[46:47], v[46:47], v[48:49], v[50:51]
	ds_read_b128 v[14:17], v30 offset:13312
	ds_read_b128 v[18:21], v30 offset:13824
	v_add_f64 v[48:49], v[36:37], v[42:43]
	v_add_f64 v[50:51], v[38:39], v[40:41]
	global_load_dwordx4 v[40:43], v[22:23], off
	s_waitcnt lgkmcnt(1)
	v_mul_f64 v[54:55], v[16:17], v[12:13]
	v_mul_f64 v[12:13], v[14:15], v[12:13]
	v_fma_f64 v[52:53], v[2:3], v[6:7], -v[52:53]
	v_fma_f64 v[56:57], v[4:5], v[6:7], v[8:9]
	ds_read_b128 v[36:39], v26 offset:432
	v_add_f64 v[46:47], v[48:49], v[46:47]
	v_add_f64 v[44:45], v[50:51], v[44:45]
	ds_read_b128 v[2:5], v26 offset:448
	ds_read_b128 v[6:9], v30 offset:14336
	v_fma_f64 v[50:51], v[14:15], v[10:11], -v[54:55]
	s_waitcnt lgkmcnt(2)
	v_mul_f64 v[48:49], v[20:21], v[38:39]
	v_mul_f64 v[38:39], v[18:19], v[38:39]
	v_fma_f64 v[54:55], v[16:17], v[10:11], v[12:13]
	ds_read_b128 v[10:13], v30 offset:14848
	ds_read_b128 v[14:17], v26 offset:464
	v_add_f64 v[46:47], v[46:47], v[56:57]
	v_add_f64 v[44:45], v[44:45], v[52:53]
	s_waitcnt lgkmcnt(2)
	v_mul_f64 v[52:53], v[8:9], v[4:5]
	v_mul_f64 v[4:5], v[6:7], v[4:5]
	v_fma_f64 v[48:49], v[18:19], v[36:37], -v[48:49]
	v_fma_f64 v[56:57], v[20:21], v[36:37], v[38:39]
	ds_read_b128 v[18:21], v26 offset:480
	ds_read_b128 v[36:39], v30 offset:15360
	v_add_f64 v[46:47], v[46:47], v[54:55]
	v_add_f64 v[44:45], v[44:45], v[50:51]
	s_waitcnt lgkmcnt(2)
	v_mul_f64 v[50:51], v[12:13], v[16:17]
	v_mul_f64 v[16:17], v[10:11], v[16:17]
	v_fma_f64 v[52:53], v[6:7], v[2:3], -v[52:53]
	;; [unrolled: 9-line block ×3, first 2 shown]
	v_fma_f64 v[12:13], v[12:13], v[14:15], v[16:17]
	v_add_f64 v[14:15], v[46:47], v[54:55]
	v_add_f64 v[16:17], v[44:45], v[52:53]
	s_waitcnt lgkmcnt(0)
	v_mul_f64 v[44:45], v[4:5], v[8:9]
	v_mul_f64 v[8:9], v[2:3], v[8:9]
	v_fma_f64 v[36:37], v[36:37], v[18:19], -v[48:49]
	v_fma_f64 v[18:19], v[38:39], v[18:19], v[20:21]
	v_add_f64 v[12:13], v[14:15], v[12:13]
	v_add_f64 v[10:11], v[16:17], v[10:11]
	v_fma_f64 v[2:3], v[2:3], v[6:7], -v[44:45]
	v_fma_f64 v[4:5], v[4:5], v[6:7], v[8:9]
	v_add_f64 v[6:7], v[12:13], v[18:19]
	v_add_f64 v[8:9], v[10:11], v[36:37]
	;; [unrolled: 1-line block ×4, first 2 shown]
	v_mul_f64 v[6:7], s[14:15], v[4:5]
	v_mul_f64 v[8:9], s[14:15], v[2:3]
	v_fma_f64 v[2:3], s[12:13], v[2:3], -v[6:7]
	v_fma_f64 v[4:5], s[12:13], v[4:5], v[8:9]
	s_waitcnt vmcnt(0)
	v_add_f64 v[2:3], v[40:41], v[2:3]
	v_add_f64 v[4:5], v[42:43], v[4:5]
	global_store_dwordx4 v[22:23], v[2:5], off
	s_branch .LBB1911_4
.LBB1911_17:
	s_endpgm
	.section	.rodata,"a",@progbits
	.p2align	6, 0x0
	.amdhsa_kernel _ZL26rocblas_syr2k_her2k_kernelIiLb1ELb0ELb1ELi32EPK19rocblas_complex_numIdES3_PS1_EvbiT_T4_T5_S5_lS7_S5_lT6_S5_li
		.amdhsa_group_segment_fixed_size 32768
		.amdhsa_private_segment_fixed_size 0
		.amdhsa_kernarg_size 100
		.amdhsa_user_sgpr_count 6
		.amdhsa_user_sgpr_private_segment_buffer 1
		.amdhsa_user_sgpr_dispatch_ptr 0
		.amdhsa_user_sgpr_queue_ptr 0
		.amdhsa_user_sgpr_kernarg_segment_ptr 1
		.amdhsa_user_sgpr_dispatch_id 0
		.amdhsa_user_sgpr_flat_scratch_init 0
		.amdhsa_user_sgpr_private_segment_size 0
		.amdhsa_uses_dynamic_stack 0
		.amdhsa_system_sgpr_private_segment_wavefront_offset 0
		.amdhsa_system_sgpr_workgroup_id_x 1
		.amdhsa_system_sgpr_workgroup_id_y 1
		.amdhsa_system_sgpr_workgroup_id_z 1
		.amdhsa_system_sgpr_workgroup_info 0
		.amdhsa_system_vgpr_workitem_id 1
		.amdhsa_next_free_vgpr 58
		.amdhsa_next_free_sgpr 61
		.amdhsa_reserve_vcc 1
		.amdhsa_reserve_flat_scratch 0
		.amdhsa_float_round_mode_32 0
		.amdhsa_float_round_mode_16_64 0
		.amdhsa_float_denorm_mode_32 3
		.amdhsa_float_denorm_mode_16_64 3
		.amdhsa_dx10_clamp 1
		.amdhsa_ieee_mode 1
		.amdhsa_fp16_overflow 0
		.amdhsa_exception_fp_ieee_invalid_op 0
		.amdhsa_exception_fp_denorm_src 0
		.amdhsa_exception_fp_ieee_div_zero 0
		.amdhsa_exception_fp_ieee_overflow 0
		.amdhsa_exception_fp_ieee_underflow 0
		.amdhsa_exception_fp_ieee_inexact 0
		.amdhsa_exception_int_div_zero 0
	.end_amdhsa_kernel
	.section	.text._ZL26rocblas_syr2k_her2k_kernelIiLb1ELb0ELb1ELi32EPK19rocblas_complex_numIdES3_PS1_EvbiT_T4_T5_S5_lS7_S5_lT6_S5_li,"axG",@progbits,_ZL26rocblas_syr2k_her2k_kernelIiLb1ELb0ELb1ELi32EPK19rocblas_complex_numIdES3_PS1_EvbiT_T4_T5_S5_lS7_S5_lT6_S5_li,comdat
.Lfunc_end1911:
	.size	_ZL26rocblas_syr2k_her2k_kernelIiLb1ELb0ELb1ELi32EPK19rocblas_complex_numIdES3_PS1_EvbiT_T4_T5_S5_lS7_S5_lT6_S5_li, .Lfunc_end1911-_ZL26rocblas_syr2k_her2k_kernelIiLb1ELb0ELb1ELi32EPK19rocblas_complex_numIdES3_PS1_EvbiT_T4_T5_S5_lS7_S5_lT6_S5_li
                                        ; -- End function
	.set _ZL26rocblas_syr2k_her2k_kernelIiLb1ELb0ELb1ELi32EPK19rocblas_complex_numIdES3_PS1_EvbiT_T4_T5_S5_lS7_S5_lT6_S5_li.num_vgpr, 58
	.set _ZL26rocblas_syr2k_her2k_kernelIiLb1ELb0ELb1ELi32EPK19rocblas_complex_numIdES3_PS1_EvbiT_T4_T5_S5_lS7_S5_lT6_S5_li.num_agpr, 0
	.set _ZL26rocblas_syr2k_her2k_kernelIiLb1ELb0ELb1ELi32EPK19rocblas_complex_numIdES3_PS1_EvbiT_T4_T5_S5_lS7_S5_lT6_S5_li.numbered_sgpr, 28
	.set _ZL26rocblas_syr2k_her2k_kernelIiLb1ELb0ELb1ELi32EPK19rocblas_complex_numIdES3_PS1_EvbiT_T4_T5_S5_lS7_S5_lT6_S5_li.num_named_barrier, 0
	.set _ZL26rocblas_syr2k_her2k_kernelIiLb1ELb0ELb1ELi32EPK19rocblas_complex_numIdES3_PS1_EvbiT_T4_T5_S5_lS7_S5_lT6_S5_li.private_seg_size, 0
	.set _ZL26rocblas_syr2k_her2k_kernelIiLb1ELb0ELb1ELi32EPK19rocblas_complex_numIdES3_PS1_EvbiT_T4_T5_S5_lS7_S5_lT6_S5_li.uses_vcc, 1
	.set _ZL26rocblas_syr2k_her2k_kernelIiLb1ELb0ELb1ELi32EPK19rocblas_complex_numIdES3_PS1_EvbiT_T4_T5_S5_lS7_S5_lT6_S5_li.uses_flat_scratch, 0
	.set _ZL26rocblas_syr2k_her2k_kernelIiLb1ELb0ELb1ELi32EPK19rocblas_complex_numIdES3_PS1_EvbiT_T4_T5_S5_lS7_S5_lT6_S5_li.has_dyn_sized_stack, 0
	.set _ZL26rocblas_syr2k_her2k_kernelIiLb1ELb0ELb1ELi32EPK19rocblas_complex_numIdES3_PS1_EvbiT_T4_T5_S5_lS7_S5_lT6_S5_li.has_recursion, 0
	.set _ZL26rocblas_syr2k_her2k_kernelIiLb1ELb0ELb1ELi32EPK19rocblas_complex_numIdES3_PS1_EvbiT_T4_T5_S5_lS7_S5_lT6_S5_li.has_indirect_call, 0
	.section	.AMDGPU.csdata,"",@progbits
; Kernel info:
; codeLenInByte = 5432
; TotalNumSgprs: 32
; NumVgprs: 58
; ScratchSize: 0
; MemoryBound: 1
; FloatMode: 240
; IeeeMode: 1
; LDSByteSize: 32768 bytes/workgroup (compile time only)
; SGPRBlocks: 8
; VGPRBlocks: 14
; NumSGPRsForWavesPerEU: 65
; NumVGPRsForWavesPerEU: 58
; Occupancy: 4
; WaveLimiterHint : 0
; COMPUTE_PGM_RSRC2:SCRATCH_EN: 0
; COMPUTE_PGM_RSRC2:USER_SGPR: 6
; COMPUTE_PGM_RSRC2:TRAP_HANDLER: 0
; COMPUTE_PGM_RSRC2:TGID_X_EN: 1
; COMPUTE_PGM_RSRC2:TGID_Y_EN: 1
; COMPUTE_PGM_RSRC2:TGID_Z_EN: 1
; COMPUTE_PGM_RSRC2:TIDIG_COMP_CNT: 1
	.section	.text._ZL26rocblas_syr2k_her2k_kernelIiLb1ELb0ELb0ELi32EfPKPKfPKPfEvbiT_T4_T5_S7_lS9_S7_lT6_S7_li,"axG",@progbits,_ZL26rocblas_syr2k_her2k_kernelIiLb1ELb0ELb0ELi32EfPKPKfPKPfEvbiT_T4_T5_S7_lS9_S7_lT6_S7_li,comdat
	.globl	_ZL26rocblas_syr2k_her2k_kernelIiLb1ELb0ELb0ELi32EfPKPKfPKPfEvbiT_T4_T5_S7_lS9_S7_lT6_S7_li ; -- Begin function _ZL26rocblas_syr2k_her2k_kernelIiLb1ELb0ELb0ELi32EfPKPKfPKPfEvbiT_T4_T5_S7_lS9_S7_lT6_S7_li
	.p2align	8
	.type	_ZL26rocblas_syr2k_her2k_kernelIiLb1ELb0ELb0ELi32EfPKPKfPKPfEvbiT_T4_T5_S7_lS9_S7_lT6_S7_li,@function
_ZL26rocblas_syr2k_her2k_kernelIiLb1ELb0ELb0ELi32EfPKPKfPKPfEvbiT_T4_T5_S7_lS9_S7_lT6_S7_li: ; @_ZL26rocblas_syr2k_her2k_kernelIiLb1ELb0ELb0ELi32EfPKPKfPKPfEvbiT_T4_T5_S7_lS9_S7_lT6_S7_li
; %bb.0:
	s_load_dwordx4 s[12:15], s[4:5], 0x0
	s_waitcnt lgkmcnt(0)
	v_cmp_eq_f32_e64 s[0:1], s15, 0
	s_and_b64 vcc, exec, s[0:1]
	s_cbranch_vccnz .LBB1912_17
; %bb.1:
	s_and_b32 s2, 1, s12
	s_lshl_b32 s0, s7, 5
	s_lshl_b32 s1, s6, 5
	s_cmp_eq_u32 s2, 1
	s_cselect_b64 vcc, -1, 0
	s_and_b64 s[2:3], vcc, exec
	s_cselect_b32 s2, s1, s0
	s_cselect_b32 s3, s0, s1
	s_cmp_gt_i32 s2, s3
	s_cbranch_scc1 .LBB1912_17
; %bb.2:
	s_cmp_lt_i32 s14, 1
	s_cbranch_scc1 .LBB1912_17
; %bb.3:
	s_mov_b32 s9, 0
	s_load_dwordx2 s[2:3], s[4:5], 0x10
	s_load_dword s16, s[4:5], 0x18
	s_load_dwordx4 s[20:23], s[4:5], 0x20
	s_load_dword s17, s[4:5], 0x30
	s_load_dwordx4 s[24:27], s[4:5], 0x38
	s_load_dword s12, s[4:5], 0x48
	s_lshl_b64 s[6:7], s[8:9], 3
	s_waitcnt lgkmcnt(0)
	s_add_u32 s2, s2, s6
	s_addc_u32 s3, s3, s7
	s_load_dwordx2 s[2:3], s[2:3], 0x0
	s_add_u32 s10, s22, s6
	s_addc_u32 s11, s23, s7
	s_add_u32 s6, s26, s6
	s_load_dwordx2 s[10:11], s[10:11], 0x0
	s_addc_u32 s7, s27, s7
	v_add_u32_e32 v3, s1, v0
	s_load_dwordx2 s[18:19], s[6:7], 0x0
	s_load_dwordx2 s[22:23], s[4:5], 0x50
	s_lshl_b64 s[4:5], s[20:21], 2
	v_ashrrev_i32_e32 v4, 31, v3
	s_waitcnt lgkmcnt(0)
	s_add_u32 s6, s2, s4
	v_lshlrev_b64 v[12:13], 2, v[3:4]
	s_addc_u32 s7, s3, s5
	v_add_u32_e32 v2, s0, v1
	s_lshl_b64 s[2:3], s[24:25], 2
	v_cndmask_b32_e32 v16, v3, v2, vcc
	v_cndmask_b32_e32 v17, v2, v3, vcc
	v_cmp_gt_i32_e32 vcc, s13, v3
	v_mov_b32_e32 v3, s7
	v_add_co_u32_e64 v4, s[0:1], s6, v12
	s_add_u32 s8, s10, s2
	v_addc_co_u32_e64 v5, s[0:1], v3, v13, s[0:1]
	v_ashrrev_i32_e32 v3, 31, v2
	s_addc_u32 s10, s11, s3
	s_lshl_b64 s[2:3], s[22:23], 2
	v_lshlrev_b64 v[14:15], 2, v[2:3]
	s_add_u32 s11, s18, s2
	s_addc_u32 s18, s19, s3
	v_mov_b32_e32 v3, s10
	v_add_co_u32_e64 v8, s[2:3], s8, v14
	v_cmp_gt_i32_e64 s[0:1], s13, v2
	v_addc_co_u32_e64 v9, s[2:3], v3, v15, s[2:3]
	v_mad_i64_i32 v[2:3], s[2:3], s12, v2, 0
	v_cmp_le_i32_e64 s[2:3], v17, v16
	s_and_b64 s[4:5], s[0:1], vcc
	v_lshlrev_b64 v[2:3], 2, v[2:3]
	s_and_b64 s[4:5], s[4:5], s[2:3]
	v_mov_b32_e32 v16, s18
	v_add_co_u32_e64 v2, s[2:3], s11, v2
	v_addc_co_u32_e64 v3, s[2:3], v16, v3, s[2:3]
	v_add_co_u32_e64 v2, s[2:3], v2, v12
	v_addc_co_u32_e64 v3, s[2:3], v3, v13, s[2:3]
	v_mov_b32_e32 v16, s10
	v_add_co_u32_e64 v12, s[2:3], s8, v12
	v_lshlrev_b32_e32 v6, 7, v0
	v_lshlrev_b32_e32 v10, 2, v1
	v_addc_co_u32_e64 v13, s[2:3], v16, v13, s[2:3]
	v_add_u32_e32 v7, v6, v10
	v_or_b32_e32 v10, 0x1000, v10
	v_mov_b32_e32 v16, s7
	v_add_co_u32_e64 v14, s[2:3], s6, v14
	v_add_u32_e32 v11, v10, v6
	v_addc_co_u32_e64 v15, s[2:3], v16, v15, s[2:3]
	v_add_u32_e32 v16, 0x400, v10
	v_add_u32_e32 v17, 0x800, v10
	v_add_u32_e32 v18, 0xc00, v10
	s_branch .LBB1912_5
.LBB1912_4:                             ;   in Loop: Header=BB1912_5 Depth=1
	s_or_b64 exec, exec, s[2:3]
	s_add_i32 s9, s9, 32
	s_cmp_lt_i32 s9, s14
	s_waitcnt vmcnt(0) lgkmcnt(0)
	s_barrier
	s_cbranch_scc0 .LBB1912_17
.LBB1912_5:                             ; =>This Inner Loop Header: Depth=1
	v_add_u32_e32 v19, s9, v1
	v_cmp_gt_i32_e64 s[2:3], s14, v19
	s_and_b64 s[6:7], vcc, s[2:3]
	v_mov_b32_e32 v20, 0
	s_and_saveexec_b64 s[10:11], s[6:7]
	s_cbranch_execz .LBB1912_7
; %bb.6:                                ;   in Loop: Header=BB1912_5 Depth=1
	v_mad_i64_i32 v[20:21], s[2:3], v19, s16, 0
	v_lshlrev_b64 v[20:21], 2, v[20:21]
	v_add_co_u32_e64 v20, s[2:3], v4, v20
	v_addc_co_u32_e64 v21, s[2:3], v5, v21, s[2:3]
	flat_load_dword v20, v[20:21]
.LBB1912_7:                             ;   in Loop: Header=BB1912_5 Depth=1
	s_or_b64 exec, exec, s[10:11]
	s_waitcnt vmcnt(0) lgkmcnt(0)
	ds_write_b32 v7, v20
	v_add_u32_e32 v20, s9, v0
	v_cmp_gt_i32_e64 s[2:3], s14, v20
	s_and_b64 s[10:11], s[0:1], s[2:3]
	v_mov_b32_e32 v21, 0
	s_and_saveexec_b64 s[12:13], s[10:11]
	s_cbranch_execz .LBB1912_9
; %bb.8:                                ;   in Loop: Header=BB1912_5 Depth=1
	v_mad_i64_i32 v[21:22], s[2:3], v20, s17, 0
	v_lshlrev_b64 v[21:22], 2, v[21:22]
	v_add_co_u32_e64 v21, s[2:3], v8, v21
	v_addc_co_u32_e64 v22, s[2:3], v9, v22, s[2:3]
	flat_load_dword v21, v[21:22]
.LBB1912_9:                             ;   in Loop: Header=BB1912_5 Depth=1
	s_or_b64 exec, exec, s[12:13]
	s_waitcnt vmcnt(0) lgkmcnt(0)
	ds_write_b32 v11, v21
	s_waitcnt lgkmcnt(0)
	s_barrier
	s_and_saveexec_b64 s[2:3], s[4:5]
	s_cbranch_execz .LBB1912_11
; %bb.10:                               ;   in Loop: Header=BB1912_5 Depth=1
	flat_load_dword v39, v[2:3]
	ds_read_b128 v[21:24], v6
	ds_read2_b32 v[29:30], v10 offset1:32
	ds_read2_b32 v[31:32], v10 offset0:64 offset1:96
	ds_read_b128 v[25:28], v6 offset:16
	ds_read2_b32 v[33:34], v10 offset0:128 offset1:160
	s_waitcnt lgkmcnt(0)
	v_fma_f32 v40, v21, v29, 0
	v_fmac_f32_e32 v40, v22, v30
	v_fmac_f32_e32 v40, v23, v31
	;; [unrolled: 1-line block ×3, first 2 shown]
	ds_read2_b32 v[35:36], v10 offset0:192 offset1:224
	ds_read_b128 v[21:24], v6 offset:32
	ds_read_b128 v[29:32], v6 offset:48
	ds_read2_b32 v[37:38], v16 offset1:32
	v_fmac_f32_e32 v40, v25, v33
	v_fmac_f32_e32 v40, v26, v34
	ds_read2_b32 v[25:26], v16 offset0:64 offset1:96
	s_waitcnt lgkmcnt(0)
	v_fmac_f32_e32 v40, v27, v35
	v_fmac_f32_e32 v40, v28, v36
	v_fmac_f32_e32 v40, v21, v37
	ds_read2_b32 v[27:28], v16 offset0:128 offset1:160
	v_fmac_f32_e32 v40, v22, v38
	v_fmac_f32_e32 v40, v23, v25
	;; [unrolled: 1-line block ×3, first 2 shown]
	ds_read2_b32 v[25:26], v16 offset0:192 offset1:224
	s_waitcnt lgkmcnt(0)
	v_fmac_f32_e32 v40, v29, v27
	v_fmac_f32_e32 v40, v30, v28
	ds_read_b128 v[21:24], v6 offset:64
	ds_read2_b32 v[29:30], v17 offset1:32
	v_fmac_f32_e32 v40, v31, v25
	v_fmac_f32_e32 v40, v32, v26
	ds_read2_b32 v[31:32], v17 offset0:64 offset1:96
	ds_read_b128 v[25:28], v6 offset:80
	ds_read2_b32 v[33:34], v17 offset0:128 offset1:160
	s_waitcnt lgkmcnt(0)
	v_fmac_f32_e32 v40, v21, v29
	v_fmac_f32_e32 v40, v22, v30
	ds_read2_b32 v[29:30], v17 offset0:192 offset1:224
	v_fmac_f32_e32 v40, v23, v31
	v_fmac_f32_e32 v40, v24, v32
	;; [unrolled: 1-line block ×3, first 2 shown]
	ds_read_b128 v[21:24], v6 offset:96
	ds_read2_b32 v[31:32], v18 offset1:32
	v_fmac_f32_e32 v40, v26, v34
	s_waitcnt lgkmcnt(0)
	v_fmac_f32_e32 v40, v27, v29
	v_fmac_f32_e32 v40, v28, v30
	ds_read2_b32 v[29:30], v18 offset0:64 offset1:96
	ds_read_b128 v[25:28], v6 offset:112
	ds_read2_b32 v[33:34], v18 offset0:128 offset1:160
	v_fmac_f32_e32 v40, v21, v31
	v_fmac_f32_e32 v40, v22, v32
	ds_read2_b32 v[21:22], v18 offset0:192 offset1:224
	s_waitcnt lgkmcnt(0)
	v_fmac_f32_e32 v40, v23, v29
	v_fmac_f32_e32 v40, v24, v30
	;; [unrolled: 1-line block ×6, first 2 shown]
	s_waitcnt vmcnt(0)
	v_fmac_f32_e32 v39, s15, v40
	flat_store_dword v[2:3], v39
.LBB1912_11:                            ;   in Loop: Header=BB1912_5 Depth=1
	s_or_b64 exec, exec, s[2:3]
	v_mov_b32_e32 v21, 0
	v_mov_b32_e32 v22, 0
	s_waitcnt vmcnt(0) lgkmcnt(0)
	s_barrier
	s_and_saveexec_b64 s[12:13], s[6:7]
	s_cbranch_execz .LBB1912_13
; %bb.12:                               ;   in Loop: Header=BB1912_5 Depth=1
	v_mad_i64_i32 v[22:23], s[2:3], v19, s17, 0
	v_lshlrev_b64 v[22:23], 2, v[22:23]
	v_add_co_u32_e64 v22, s[2:3], v12, v22
	v_addc_co_u32_e64 v23, s[2:3], v13, v23, s[2:3]
	flat_load_dword v22, v[22:23]
.LBB1912_13:                            ;   in Loop: Header=BB1912_5 Depth=1
	s_or_b64 exec, exec, s[12:13]
	s_waitcnt vmcnt(0) lgkmcnt(0)
	ds_write_b32 v7, v22
	s_and_saveexec_b64 s[6:7], s[10:11]
	s_cbranch_execz .LBB1912_15
; %bb.14:                               ;   in Loop: Header=BB1912_5 Depth=1
	v_mad_i64_i32 v[19:20], s[2:3], v20, s16, 0
	v_lshlrev_b64 v[19:20], 2, v[19:20]
	v_add_co_u32_e64 v19, s[2:3], v14, v19
	v_addc_co_u32_e64 v20, s[2:3], v15, v20, s[2:3]
	flat_load_dword v21, v[19:20]
.LBB1912_15:                            ;   in Loop: Header=BB1912_5 Depth=1
	s_or_b64 exec, exec, s[6:7]
	s_waitcnt vmcnt(0) lgkmcnt(0)
	ds_write_b32 v11, v21
	s_waitcnt lgkmcnt(0)
	s_barrier
	s_and_saveexec_b64 s[2:3], s[4:5]
	s_cbranch_execz .LBB1912_4
; %bb.16:                               ;   in Loop: Header=BB1912_5 Depth=1
	flat_load_dword v37, v[2:3]
	ds_read2_b32 v[27:28], v10 offset1:32
	ds_read_b128 v[19:22], v6
	ds_read2_b32 v[29:30], v10 offset0:64 offset1:96
	ds_read_b128 v[23:26], v6 offset:16
	ds_read2_b32 v[31:32], v10 offset0:128 offset1:160
	ds_read2_b32 v[33:34], v10 offset0:192 offset1:224
	s_waitcnt lgkmcnt(0)
	v_fma_f32 v38, v19, v27, 0
	v_fmac_f32_e32 v38, v20, v28
	v_fmac_f32_e32 v38, v21, v29
	v_fmac_f32_e32 v38, v22, v30
	ds_read_b128 v[19:22], v6 offset:32
	ds_read_b128 v[27:30], v6 offset:48
	ds_read2_b32 v[35:36], v16 offset1:32
	v_fmac_f32_e32 v38, v23, v31
	v_fmac_f32_e32 v38, v24, v32
	ds_read2_b32 v[23:24], v16 offset0:64 offset1:96
	v_fmac_f32_e32 v38, v25, v33
	v_fmac_f32_e32 v38, v26, v34
	s_waitcnt lgkmcnt(0)
	v_fmac_f32_e32 v38, v19, v35
	ds_read2_b32 v[25:26], v16 offset0:128 offset1:160
	v_fmac_f32_e32 v38, v20, v36
	v_fmac_f32_e32 v38, v21, v23
	;; [unrolled: 1-line block ×3, first 2 shown]
	ds_read2_b32 v[23:24], v16 offset0:192 offset1:224
	s_waitcnt lgkmcnt(0)
	v_fmac_f32_e32 v38, v27, v25
	v_fmac_f32_e32 v38, v28, v26
	ds_read_b128 v[19:22], v6 offset:64
	ds_read2_b32 v[27:28], v17 offset1:32
	v_fmac_f32_e32 v38, v29, v23
	v_fmac_f32_e32 v38, v30, v24
	ds_read2_b32 v[29:30], v17 offset0:64 offset1:96
	ds_read_b128 v[23:26], v6 offset:80
	ds_read2_b32 v[31:32], v17 offset0:128 offset1:160
	s_waitcnt lgkmcnt(0)
	v_fmac_f32_e32 v38, v19, v27
	v_fmac_f32_e32 v38, v20, v28
	ds_read2_b32 v[27:28], v17 offset0:192 offset1:224
	v_fmac_f32_e32 v38, v21, v29
	v_fmac_f32_e32 v38, v22, v30
	;; [unrolled: 1-line block ×3, first 2 shown]
	ds_read_b128 v[19:22], v6 offset:96
	ds_read2_b32 v[29:30], v18 offset1:32
	v_fmac_f32_e32 v38, v24, v32
	s_waitcnt lgkmcnt(0)
	v_fmac_f32_e32 v38, v25, v27
	v_fmac_f32_e32 v38, v26, v28
	ds_read2_b32 v[27:28], v18 offset0:64 offset1:96
	ds_read_b128 v[23:26], v6 offset:112
	ds_read2_b32 v[31:32], v18 offset0:128 offset1:160
	v_fmac_f32_e32 v38, v19, v29
	v_fmac_f32_e32 v38, v20, v30
	ds_read2_b32 v[19:20], v18 offset0:192 offset1:224
	s_waitcnt lgkmcnt(0)
	v_fmac_f32_e32 v38, v21, v27
	v_fmac_f32_e32 v38, v22, v28
	v_fmac_f32_e32 v38, v23, v31
	v_fmac_f32_e32 v38, v24, v32
	v_fmac_f32_e32 v38, v25, v19
	v_fmac_f32_e32 v38, v26, v20
	s_waitcnt vmcnt(0)
	v_fmac_f32_e32 v37, s15, v38
	flat_store_dword v[2:3], v37
	s_branch .LBB1912_4
.LBB1912_17:
	s_endpgm
	.section	.rodata,"a",@progbits
	.p2align	6, 0x0
	.amdhsa_kernel _ZL26rocblas_syr2k_her2k_kernelIiLb1ELb0ELb0ELi32EfPKPKfPKPfEvbiT_T4_T5_S7_lS9_S7_lT6_S7_li
		.amdhsa_group_segment_fixed_size 8192
		.amdhsa_private_segment_fixed_size 0
		.amdhsa_kernarg_size 92
		.amdhsa_user_sgpr_count 6
		.amdhsa_user_sgpr_private_segment_buffer 1
		.amdhsa_user_sgpr_dispatch_ptr 0
		.amdhsa_user_sgpr_queue_ptr 0
		.amdhsa_user_sgpr_kernarg_segment_ptr 1
		.amdhsa_user_sgpr_dispatch_id 0
		.amdhsa_user_sgpr_flat_scratch_init 0
		.amdhsa_user_sgpr_private_segment_size 0
		.amdhsa_uses_dynamic_stack 0
		.amdhsa_system_sgpr_private_segment_wavefront_offset 0
		.amdhsa_system_sgpr_workgroup_id_x 1
		.amdhsa_system_sgpr_workgroup_id_y 1
		.amdhsa_system_sgpr_workgroup_id_z 1
		.amdhsa_system_sgpr_workgroup_info 0
		.amdhsa_system_vgpr_workitem_id 1
		.amdhsa_next_free_vgpr 41
		.amdhsa_next_free_sgpr 61
		.amdhsa_reserve_vcc 1
		.amdhsa_reserve_flat_scratch 0
		.amdhsa_float_round_mode_32 0
		.amdhsa_float_round_mode_16_64 0
		.amdhsa_float_denorm_mode_32 3
		.amdhsa_float_denorm_mode_16_64 3
		.amdhsa_dx10_clamp 1
		.amdhsa_ieee_mode 1
		.amdhsa_fp16_overflow 0
		.amdhsa_exception_fp_ieee_invalid_op 0
		.amdhsa_exception_fp_denorm_src 0
		.amdhsa_exception_fp_ieee_div_zero 0
		.amdhsa_exception_fp_ieee_overflow 0
		.amdhsa_exception_fp_ieee_underflow 0
		.amdhsa_exception_fp_ieee_inexact 0
		.amdhsa_exception_int_div_zero 0
	.end_amdhsa_kernel
	.section	.text._ZL26rocblas_syr2k_her2k_kernelIiLb1ELb0ELb0ELi32EfPKPKfPKPfEvbiT_T4_T5_S7_lS9_S7_lT6_S7_li,"axG",@progbits,_ZL26rocblas_syr2k_her2k_kernelIiLb1ELb0ELb0ELi32EfPKPKfPKPfEvbiT_T4_T5_S7_lS9_S7_lT6_S7_li,comdat
.Lfunc_end1912:
	.size	_ZL26rocblas_syr2k_her2k_kernelIiLb1ELb0ELb0ELi32EfPKPKfPKPfEvbiT_T4_T5_S7_lS9_S7_lT6_S7_li, .Lfunc_end1912-_ZL26rocblas_syr2k_her2k_kernelIiLb1ELb0ELb0ELi32EfPKPKfPKPfEvbiT_T4_T5_S7_lS9_S7_lT6_S7_li
                                        ; -- End function
	.set _ZL26rocblas_syr2k_her2k_kernelIiLb1ELb0ELb0ELi32EfPKPKfPKPfEvbiT_T4_T5_S7_lS9_S7_lT6_S7_li.num_vgpr, 41
	.set _ZL26rocblas_syr2k_her2k_kernelIiLb1ELb0ELb0ELi32EfPKPKfPKPfEvbiT_T4_T5_S7_lS9_S7_lT6_S7_li.num_agpr, 0
	.set _ZL26rocblas_syr2k_her2k_kernelIiLb1ELb0ELb0ELi32EfPKPKfPKPfEvbiT_T4_T5_S7_lS9_S7_lT6_S7_li.numbered_sgpr, 28
	.set _ZL26rocblas_syr2k_her2k_kernelIiLb1ELb0ELb0ELi32EfPKPKfPKPfEvbiT_T4_T5_S7_lS9_S7_lT6_S7_li.num_named_barrier, 0
	.set _ZL26rocblas_syr2k_her2k_kernelIiLb1ELb0ELb0ELi32EfPKPKfPKPfEvbiT_T4_T5_S7_lS9_S7_lT6_S7_li.private_seg_size, 0
	.set _ZL26rocblas_syr2k_her2k_kernelIiLb1ELb0ELb0ELi32EfPKPKfPKPfEvbiT_T4_T5_S7_lS9_S7_lT6_S7_li.uses_vcc, 1
	.set _ZL26rocblas_syr2k_her2k_kernelIiLb1ELb0ELb0ELi32EfPKPKfPKPfEvbiT_T4_T5_S7_lS9_S7_lT6_S7_li.uses_flat_scratch, 0
	.set _ZL26rocblas_syr2k_her2k_kernelIiLb1ELb0ELb0ELi32EfPKPKfPKPfEvbiT_T4_T5_S7_lS9_S7_lT6_S7_li.has_dyn_sized_stack, 0
	.set _ZL26rocblas_syr2k_her2k_kernelIiLb1ELb0ELb0ELi32EfPKPKfPKPfEvbiT_T4_T5_S7_lS9_S7_lT6_S7_li.has_recursion, 0
	.set _ZL26rocblas_syr2k_her2k_kernelIiLb1ELb0ELb0ELi32EfPKPKfPKPfEvbiT_T4_T5_S7_lS9_S7_lT6_S7_li.has_indirect_call, 0
	.section	.AMDGPU.csdata,"",@progbits
; Kernel info:
; codeLenInByte = 1608
; TotalNumSgprs: 32
; NumVgprs: 41
; ScratchSize: 0
; MemoryBound: 0
; FloatMode: 240
; IeeeMode: 1
; LDSByteSize: 8192 bytes/workgroup (compile time only)
; SGPRBlocks: 8
; VGPRBlocks: 10
; NumSGPRsForWavesPerEU: 65
; NumVGPRsForWavesPerEU: 41
; Occupancy: 5
; WaveLimiterHint : 1
; COMPUTE_PGM_RSRC2:SCRATCH_EN: 0
; COMPUTE_PGM_RSRC2:USER_SGPR: 6
; COMPUTE_PGM_RSRC2:TRAP_HANDLER: 0
; COMPUTE_PGM_RSRC2:TGID_X_EN: 1
; COMPUTE_PGM_RSRC2:TGID_Y_EN: 1
; COMPUTE_PGM_RSRC2:TGID_Z_EN: 1
; COMPUTE_PGM_RSRC2:TIDIG_COMP_CNT: 1
	.section	.text._ZL26rocblas_syr2k_her2k_kernelIiLb1ELb0ELb1ELi32EfPKPKfPKPfEvbiT_T4_T5_S7_lS9_S7_lT6_S7_li,"axG",@progbits,_ZL26rocblas_syr2k_her2k_kernelIiLb1ELb0ELb1ELi32EfPKPKfPKPfEvbiT_T4_T5_S7_lS9_S7_lT6_S7_li,comdat
	.globl	_ZL26rocblas_syr2k_her2k_kernelIiLb1ELb0ELb1ELi32EfPKPKfPKPfEvbiT_T4_T5_S7_lS9_S7_lT6_S7_li ; -- Begin function _ZL26rocblas_syr2k_her2k_kernelIiLb1ELb0ELb1ELi32EfPKPKfPKPfEvbiT_T4_T5_S7_lS9_S7_lT6_S7_li
	.p2align	8
	.type	_ZL26rocblas_syr2k_her2k_kernelIiLb1ELb0ELb1ELi32EfPKPKfPKPfEvbiT_T4_T5_S7_lS9_S7_lT6_S7_li,@function
_ZL26rocblas_syr2k_her2k_kernelIiLb1ELb0ELb1ELi32EfPKPKfPKPfEvbiT_T4_T5_S7_lS9_S7_lT6_S7_li: ; @_ZL26rocblas_syr2k_her2k_kernelIiLb1ELb0ELb1ELi32EfPKPKfPKPfEvbiT_T4_T5_S7_lS9_S7_lT6_S7_li
; %bb.0:
	s_load_dwordx4 s[12:15], s[4:5], 0x0
	s_waitcnt lgkmcnt(0)
	v_cmp_eq_f32_e64 s[0:1], s15, 0
	s_and_b64 vcc, exec, s[0:1]
	s_cbranch_vccnz .LBB1913_17
; %bb.1:
	s_and_b32 s2, 1, s12
	s_lshl_b32 s0, s7, 5
	s_lshl_b32 s1, s6, 5
	s_cmp_eq_u32 s2, 1
	s_cselect_b64 vcc, -1, 0
	s_and_b64 s[2:3], vcc, exec
	s_cselect_b32 s2, s1, s0
	s_cselect_b32 s3, s0, s1
	s_cmp_gt_i32 s2, s3
	s_cbranch_scc1 .LBB1913_17
; %bb.2:
	s_cmp_lt_i32 s14, 1
	s_cbranch_scc1 .LBB1913_17
; %bb.3:
	s_mov_b32 s9, 0
	s_load_dwordx2 s[2:3], s[4:5], 0x10
	s_load_dword s12, s[4:5], 0x18
	s_load_dwordx4 s[16:19], s[4:5], 0x20
	s_load_dword s24, s[4:5], 0x30
	s_load_dwordx4 s[20:23], s[4:5], 0x38
	s_load_dword s25, s[4:5], 0x48
	s_lshl_b64 s[6:7], s[8:9], 3
	s_waitcnt lgkmcnt(0)
	s_add_u32 s2, s2, s6
	s_addc_u32 s3, s3, s7
	s_load_dwordx2 s[2:3], s[2:3], 0x0
	s_add_u32 s10, s18, s6
	v_add_u32_e32 v2, s1, v0
	s_addc_u32 s11, s19, s7
	v_add_u32_e32 v7, s0, v1
	v_mad_i64_i32 v[4:5], s[0:1], s12, v2, 0
	s_add_u32 s6, s22, s6
	s_addc_u32 s7, s23, s7
	s_load_dwordx2 s[10:11], s[10:11], 0x0
	s_nop 0
	s_load_dwordx2 s[18:19], s[6:7], 0x0
	s_load_dwordx2 s[22:23], s[4:5], 0x50
	s_lshl_b64 s[4:5], s[16:17], 2
	s_waitcnt lgkmcnt(0)
	s_add_u32 s6, s2, s4
	v_lshlrev_b64 v[4:5], 2, v[4:5]
	s_addc_u32 s7, s3, s5
	v_mov_b32_e32 v9, s7
	v_add_co_u32_e64 v8, s[0:1], s6, v4
	v_addc_co_u32_e64 v9, s[0:1], v9, v5, s[0:1]
	v_mad_i64_i32 v[4:5], s[0:1], s24, v7, 0
	s_lshl_b64 s[2:3], s[20:21], 2
	s_add_u32 s8, s10, s2
	s_addc_u32 s10, s11, s3
	s_lshl_b64 s[2:3], s[22:23], 2
	v_lshlrev_b64 v[4:5], 2, v[4:5]
	s_add_u32 s11, s18, s2
	s_addc_u32 s16, s19, s3
	v_mov_b32_e32 v13, s10
	v_add_co_u32_e64 v12, s[2:3], s8, v4
	v_addc_co_u32_e64 v13, s[2:3], v13, v5, s[2:3]
	v_mad_i64_i32 v[4:5], s[2:3], s25, v7, 0
	v_cndmask_b32_e32 v6, v2, v7, vcc
	v_cndmask_b32_e32 v16, v7, v2, vcc
	v_cmp_gt_i32_e32 vcc, s13, v2
	v_cmp_gt_i32_e64 s[0:1], s13, v7
	v_lshlrev_b64 v[4:5], 2, v[4:5]
	v_cmp_le_i32_e64 s[2:3], v16, v6
	s_and_b64 s[4:5], s[0:1], vcc
	s_and_b64 s[4:5], s[4:5], s[2:3]
	v_mov_b32_e32 v6, s16
	v_add_co_u32_e64 v16, s[2:3], s11, v4
	v_ashrrev_i32_e32 v3, 31, v2
	v_addc_co_u32_e64 v17, s[2:3], v6, v5, s[2:3]
	v_mad_i64_i32 v[5:6], s[2:3], s24, v2, 0
	v_lshlrev_b64 v[3:4], 2, v[2:3]
	v_lshlrev_b32_e32 v10, 7, v0
	v_add_co_u32_e64 v2, s[2:3], v16, v3
	v_addc_co_u32_e64 v3, s[2:3], v17, v4, s[2:3]
	v_lshlrev_b64 v[4:5], 2, v[5:6]
	v_mad_i64_i32 v[6:7], s[2:3], s12, v7, 0
	v_mov_b32_e32 v17, s10
	v_add_co_u32_e64 v16, s[2:3], s8, v4
	v_addc_co_u32_e64 v17, s[2:3], v17, v5, s[2:3]
	v_lshlrev_b64 v[4:5], 2, v[6:7]
	v_lshlrev_b32_e32 v14, 2, v1
	v_add_u32_e32 v11, v10, v14
	v_or_b32_e32 v14, 0x1000, v14
	v_mov_b32_e32 v6, s7
	v_add_co_u32_e64 v18, s[2:3], s6, v4
	v_add_u32_e32 v15, v14, v10
	v_addc_co_u32_e64 v19, s[2:3], v6, v5, s[2:3]
	v_add_u32_e32 v20, 0x400, v14
	v_add_u32_e32 v21, 0x800, v14
	;; [unrolled: 1-line block ×3, first 2 shown]
	s_branch .LBB1913_5
.LBB1913_4:                             ;   in Loop: Header=BB1913_5 Depth=1
	s_or_b64 exec, exec, s[2:3]
	s_add_i32 s9, s9, 32
	s_cmp_lt_i32 s9, s14
	s_waitcnt vmcnt(0) lgkmcnt(0)
	s_barrier
	s_cbranch_scc0 .LBB1913_17
.LBB1913_5:                             ; =>This Inner Loop Header: Depth=1
	v_add_u32_e32 v4, s9, v1
	v_cmp_gt_i32_e64 s[2:3], s14, v4
	s_and_b64 s[6:7], vcc, s[2:3]
	v_ashrrev_i32_e32 v5, 31, v4
	v_mov_b32_e32 v6, 0
	s_and_saveexec_b64 s[10:11], s[6:7]
	s_cbranch_execz .LBB1913_7
; %bb.6:                                ;   in Loop: Header=BB1913_5 Depth=1
	v_lshlrev_b64 v[6:7], 2, v[4:5]
	v_add_co_u32_e64 v6, s[2:3], v8, v6
	v_addc_co_u32_e64 v7, s[2:3], v9, v7, s[2:3]
	flat_load_dword v6, v[6:7]
.LBB1913_7:                             ;   in Loop: Header=BB1913_5 Depth=1
	s_or_b64 exec, exec, s[10:11]
	s_waitcnt vmcnt(0) lgkmcnt(0)
	ds_write_b32 v11, v6
	v_add_u32_e32 v6, s9, v0
	v_cmp_gt_i32_e64 s[2:3], s14, v6
	s_and_b64 s[10:11], s[0:1], s[2:3]
	v_mov_b32_e32 v23, 0
	v_ashrrev_i32_e32 v7, 31, v6
	s_and_saveexec_b64 s[12:13], s[10:11]
	s_cbranch_execz .LBB1913_9
; %bb.8:                                ;   in Loop: Header=BB1913_5 Depth=1
	v_lshlrev_b64 v[23:24], 2, v[6:7]
	v_add_co_u32_e64 v23, s[2:3], v12, v23
	v_addc_co_u32_e64 v24, s[2:3], v13, v24, s[2:3]
	flat_load_dword v23, v[23:24]
.LBB1913_9:                             ;   in Loop: Header=BB1913_5 Depth=1
	s_or_b64 exec, exec, s[12:13]
	s_waitcnt vmcnt(0) lgkmcnt(0)
	ds_write_b32 v15, v23
	s_waitcnt lgkmcnt(0)
	s_barrier
	s_and_saveexec_b64 s[2:3], s[4:5]
	s_cbranch_execz .LBB1913_11
; %bb.10:                               ;   in Loop: Header=BB1913_5 Depth=1
	flat_load_dword v41, v[2:3]
	ds_read_b128 v[23:26], v10
	ds_read2_b32 v[31:32], v14 offset1:32
	ds_read2_b32 v[33:34], v14 offset0:64 offset1:96
	ds_read_b128 v[27:30], v10 offset:16
	ds_read2_b32 v[35:36], v14 offset0:128 offset1:160
	s_waitcnt lgkmcnt(0)
	v_fma_f32 v42, v23, v31, 0
	v_fmac_f32_e32 v42, v24, v32
	v_fmac_f32_e32 v42, v25, v33
	;; [unrolled: 1-line block ×3, first 2 shown]
	ds_read2_b32 v[37:38], v14 offset0:192 offset1:224
	ds_read_b128 v[23:26], v10 offset:32
	ds_read_b128 v[31:34], v10 offset:48
	ds_read2_b32 v[39:40], v20 offset1:32
	v_fmac_f32_e32 v42, v27, v35
	v_fmac_f32_e32 v42, v28, v36
	ds_read2_b32 v[27:28], v20 offset0:64 offset1:96
	s_waitcnt lgkmcnt(0)
	v_fmac_f32_e32 v42, v29, v37
	v_fmac_f32_e32 v42, v30, v38
	;; [unrolled: 1-line block ×3, first 2 shown]
	ds_read2_b32 v[29:30], v20 offset0:128 offset1:160
	v_fmac_f32_e32 v42, v24, v40
	v_fmac_f32_e32 v42, v25, v27
	;; [unrolled: 1-line block ×3, first 2 shown]
	ds_read2_b32 v[27:28], v20 offset0:192 offset1:224
	s_waitcnt lgkmcnt(0)
	v_fmac_f32_e32 v42, v31, v29
	v_fmac_f32_e32 v42, v32, v30
	ds_read_b128 v[23:26], v10 offset:64
	ds_read2_b32 v[31:32], v21 offset1:32
	v_fmac_f32_e32 v42, v33, v27
	v_fmac_f32_e32 v42, v34, v28
	ds_read2_b32 v[33:34], v21 offset0:64 offset1:96
	ds_read_b128 v[27:30], v10 offset:80
	ds_read2_b32 v[35:36], v21 offset0:128 offset1:160
	s_waitcnt lgkmcnt(0)
	v_fmac_f32_e32 v42, v23, v31
	v_fmac_f32_e32 v42, v24, v32
	ds_read2_b32 v[31:32], v21 offset0:192 offset1:224
	v_fmac_f32_e32 v42, v25, v33
	v_fmac_f32_e32 v42, v26, v34
	;; [unrolled: 1-line block ×3, first 2 shown]
	ds_read_b128 v[23:26], v10 offset:96
	ds_read2_b32 v[33:34], v22 offset1:32
	v_fmac_f32_e32 v42, v28, v36
	s_waitcnt lgkmcnt(0)
	v_fmac_f32_e32 v42, v29, v31
	v_fmac_f32_e32 v42, v30, v32
	ds_read2_b32 v[31:32], v22 offset0:64 offset1:96
	ds_read_b128 v[27:30], v10 offset:112
	ds_read2_b32 v[35:36], v22 offset0:128 offset1:160
	v_fmac_f32_e32 v42, v23, v33
	v_fmac_f32_e32 v42, v24, v34
	ds_read2_b32 v[23:24], v22 offset0:192 offset1:224
	s_waitcnt lgkmcnt(0)
	v_fmac_f32_e32 v42, v25, v31
	v_fmac_f32_e32 v42, v26, v32
	;; [unrolled: 1-line block ×6, first 2 shown]
	s_waitcnt vmcnt(0)
	v_fmac_f32_e32 v41, s15, v42
	flat_store_dword v[2:3], v41
.LBB1913_11:                            ;   in Loop: Header=BB1913_5 Depth=1
	s_or_b64 exec, exec, s[2:3]
	v_mov_b32_e32 v23, 0
	v_mov_b32_e32 v24, 0
	s_waitcnt vmcnt(0) lgkmcnt(0)
	s_barrier
	s_and_saveexec_b64 s[12:13], s[6:7]
	s_cbranch_execz .LBB1913_13
; %bb.12:                               ;   in Loop: Header=BB1913_5 Depth=1
	v_lshlrev_b64 v[4:5], 2, v[4:5]
	v_add_co_u32_e64 v4, s[2:3], v16, v4
	v_addc_co_u32_e64 v5, s[2:3], v17, v5, s[2:3]
	flat_load_dword v24, v[4:5]
.LBB1913_13:                            ;   in Loop: Header=BB1913_5 Depth=1
	s_or_b64 exec, exec, s[12:13]
	s_waitcnt vmcnt(0) lgkmcnt(0)
	ds_write_b32 v11, v24
	s_and_saveexec_b64 s[6:7], s[10:11]
	s_cbranch_execz .LBB1913_15
; %bb.14:                               ;   in Loop: Header=BB1913_5 Depth=1
	v_lshlrev_b64 v[4:5], 2, v[6:7]
	v_add_co_u32_e64 v4, s[2:3], v18, v4
	v_addc_co_u32_e64 v5, s[2:3], v19, v5, s[2:3]
	flat_load_dword v23, v[4:5]
.LBB1913_15:                            ;   in Loop: Header=BB1913_5 Depth=1
	s_or_b64 exec, exec, s[6:7]
	s_waitcnt vmcnt(0) lgkmcnt(0)
	ds_write_b32 v15, v23
	s_waitcnt lgkmcnt(0)
	s_barrier
	s_and_saveexec_b64 s[2:3], s[4:5]
	s_cbranch_execz .LBB1913_4
; %bb.16:                               ;   in Loop: Header=BB1913_5 Depth=1
	flat_load_dword v41, v[2:3]
	ds_read2_b32 v[35:36], v14 offset1:32
	ds_read_b128 v[4:7], v10
	ds_read_b128 v[23:26], v10 offset:16
	ds_read2_b32 v[37:38], v14 offset0:64 offset1:96
	ds_read_b128 v[27:30], v10 offset:32
	ds_read_b128 v[31:34], v10 offset:48
	ds_read2_b32 v[39:40], v14 offset0:128 offset1:160
	s_waitcnt lgkmcnt(0)
	v_fma_f32 v35, v4, v35, 0
	v_fmac_f32_e32 v35, v5, v36
	ds_read2_b32 v[4:5], v14 offset0:192 offset1:224
	v_fmac_f32_e32 v35, v6, v37
	v_fmac_f32_e32 v35, v7, v38
	ds_read2_b32 v[6:7], v20 offset1:32
	v_fmac_f32_e32 v35, v23, v39
	v_fmac_f32_e32 v35, v24, v40
	ds_read2_b32 v[23:24], v20 offset0:64 offset1:96
	s_waitcnt lgkmcnt(0)
	v_fmac_f32_e32 v35, v25, v4
	v_fmac_f32_e32 v35, v26, v5
	;; [unrolled: 1-line block ×3, first 2 shown]
	ds_read2_b32 v[4:5], v20 offset0:128 offset1:160
	v_fmac_f32_e32 v35, v28, v7
	v_fmac_f32_e32 v35, v29, v23
	;; [unrolled: 1-line block ×3, first 2 shown]
	ds_read2_b32 v[23:24], v20 offset0:192 offset1:224
	s_waitcnt lgkmcnt(0)
	v_fmac_f32_e32 v35, v31, v4
	v_fmac_f32_e32 v35, v32, v5
	ds_read_b128 v[4:7], v10 offset:64
	ds_read2_b32 v[27:28], v21 offset1:32
	v_fmac_f32_e32 v35, v33, v23
	v_fmac_f32_e32 v35, v34, v24
	ds_read2_b32 v[29:30], v21 offset0:64 offset1:96
	ds_read_b128 v[23:26], v10 offset:80
	ds_read2_b32 v[31:32], v21 offset0:128 offset1:160
	s_waitcnt lgkmcnt(0)
	v_fmac_f32_e32 v35, v4, v27
	v_fmac_f32_e32 v35, v5, v28
	ds_read2_b32 v[27:28], v21 offset0:192 offset1:224
	v_fmac_f32_e32 v35, v6, v29
	v_fmac_f32_e32 v35, v7, v30
	;; [unrolled: 1-line block ×3, first 2 shown]
	ds_read_b128 v[4:7], v10 offset:96
	ds_read2_b32 v[29:30], v22 offset1:32
	v_fmac_f32_e32 v35, v24, v32
	s_waitcnt lgkmcnt(0)
	v_fmac_f32_e32 v35, v25, v27
	v_fmac_f32_e32 v35, v26, v28
	ds_read2_b32 v[27:28], v22 offset0:64 offset1:96
	ds_read_b128 v[23:26], v10 offset:112
	ds_read2_b32 v[31:32], v22 offset0:128 offset1:160
	v_fmac_f32_e32 v35, v4, v29
	v_fmac_f32_e32 v35, v5, v30
	ds_read2_b32 v[4:5], v22 offset0:192 offset1:224
	s_waitcnt lgkmcnt(0)
	v_fmac_f32_e32 v35, v6, v27
	v_fmac_f32_e32 v35, v7, v28
	;; [unrolled: 1-line block ×6, first 2 shown]
	s_waitcnt vmcnt(0)
	v_fmac_f32_e32 v41, s15, v35
	flat_store_dword v[2:3], v41
	s_branch .LBB1913_4
.LBB1913_17:
	s_endpgm
	.section	.rodata,"a",@progbits
	.p2align	6, 0x0
	.amdhsa_kernel _ZL26rocblas_syr2k_her2k_kernelIiLb1ELb0ELb1ELi32EfPKPKfPKPfEvbiT_T4_T5_S7_lS9_S7_lT6_S7_li
		.amdhsa_group_segment_fixed_size 8192
		.amdhsa_private_segment_fixed_size 0
		.amdhsa_kernarg_size 92
		.amdhsa_user_sgpr_count 6
		.amdhsa_user_sgpr_private_segment_buffer 1
		.amdhsa_user_sgpr_dispatch_ptr 0
		.amdhsa_user_sgpr_queue_ptr 0
		.amdhsa_user_sgpr_kernarg_segment_ptr 1
		.amdhsa_user_sgpr_dispatch_id 0
		.amdhsa_user_sgpr_flat_scratch_init 0
		.amdhsa_user_sgpr_private_segment_size 0
		.amdhsa_uses_dynamic_stack 0
		.amdhsa_system_sgpr_private_segment_wavefront_offset 0
		.amdhsa_system_sgpr_workgroup_id_x 1
		.amdhsa_system_sgpr_workgroup_id_y 1
		.amdhsa_system_sgpr_workgroup_id_z 1
		.amdhsa_system_sgpr_workgroup_info 0
		.amdhsa_system_vgpr_workitem_id 1
		.amdhsa_next_free_vgpr 43
		.amdhsa_next_free_sgpr 61
		.amdhsa_reserve_vcc 1
		.amdhsa_reserve_flat_scratch 0
		.amdhsa_float_round_mode_32 0
		.amdhsa_float_round_mode_16_64 0
		.amdhsa_float_denorm_mode_32 3
		.amdhsa_float_denorm_mode_16_64 3
		.amdhsa_dx10_clamp 1
		.amdhsa_ieee_mode 1
		.amdhsa_fp16_overflow 0
		.amdhsa_exception_fp_ieee_invalid_op 0
		.amdhsa_exception_fp_denorm_src 0
		.amdhsa_exception_fp_ieee_div_zero 0
		.amdhsa_exception_fp_ieee_overflow 0
		.amdhsa_exception_fp_ieee_underflow 0
		.amdhsa_exception_fp_ieee_inexact 0
		.amdhsa_exception_int_div_zero 0
	.end_amdhsa_kernel
	.section	.text._ZL26rocblas_syr2k_her2k_kernelIiLb1ELb0ELb1ELi32EfPKPKfPKPfEvbiT_T4_T5_S7_lS9_S7_lT6_S7_li,"axG",@progbits,_ZL26rocblas_syr2k_her2k_kernelIiLb1ELb0ELb1ELi32EfPKPKfPKPfEvbiT_T4_T5_S7_lS9_S7_lT6_S7_li,comdat
.Lfunc_end1913:
	.size	_ZL26rocblas_syr2k_her2k_kernelIiLb1ELb0ELb1ELi32EfPKPKfPKPfEvbiT_T4_T5_S7_lS9_S7_lT6_S7_li, .Lfunc_end1913-_ZL26rocblas_syr2k_her2k_kernelIiLb1ELb0ELb1ELi32EfPKPKfPKPfEvbiT_T4_T5_S7_lS9_S7_lT6_S7_li
                                        ; -- End function
	.set _ZL26rocblas_syr2k_her2k_kernelIiLb1ELb0ELb1ELi32EfPKPKfPKPfEvbiT_T4_T5_S7_lS9_S7_lT6_S7_li.num_vgpr, 43
	.set _ZL26rocblas_syr2k_her2k_kernelIiLb1ELb0ELb1ELi32EfPKPKfPKPfEvbiT_T4_T5_S7_lS9_S7_lT6_S7_li.num_agpr, 0
	.set _ZL26rocblas_syr2k_her2k_kernelIiLb1ELb0ELb1ELi32EfPKPKfPKPfEvbiT_T4_T5_S7_lS9_S7_lT6_S7_li.numbered_sgpr, 26
	.set _ZL26rocblas_syr2k_her2k_kernelIiLb1ELb0ELb1ELi32EfPKPKfPKPfEvbiT_T4_T5_S7_lS9_S7_lT6_S7_li.num_named_barrier, 0
	.set _ZL26rocblas_syr2k_her2k_kernelIiLb1ELb0ELb1ELi32EfPKPKfPKPfEvbiT_T4_T5_S7_lS9_S7_lT6_S7_li.private_seg_size, 0
	.set _ZL26rocblas_syr2k_her2k_kernelIiLb1ELb0ELb1ELi32EfPKPKfPKPfEvbiT_T4_T5_S7_lS9_S7_lT6_S7_li.uses_vcc, 1
	.set _ZL26rocblas_syr2k_her2k_kernelIiLb1ELb0ELb1ELi32EfPKPKfPKPfEvbiT_T4_T5_S7_lS9_S7_lT6_S7_li.uses_flat_scratch, 0
	.set _ZL26rocblas_syr2k_her2k_kernelIiLb1ELb0ELb1ELi32EfPKPKfPKPfEvbiT_T4_T5_S7_lS9_S7_lT6_S7_li.has_dyn_sized_stack, 0
	.set _ZL26rocblas_syr2k_her2k_kernelIiLb1ELb0ELb1ELi32EfPKPKfPKPfEvbiT_T4_T5_S7_lS9_S7_lT6_S7_li.has_recursion, 0
	.set _ZL26rocblas_syr2k_her2k_kernelIiLb1ELb0ELb1ELi32EfPKPKfPKPfEvbiT_T4_T5_S7_lS9_S7_lT6_S7_li.has_indirect_call, 0
	.section	.AMDGPU.csdata,"",@progbits
; Kernel info:
; codeLenInByte = 1640
; TotalNumSgprs: 30
; NumVgprs: 43
; ScratchSize: 0
; MemoryBound: 0
; FloatMode: 240
; IeeeMode: 1
; LDSByteSize: 8192 bytes/workgroup (compile time only)
; SGPRBlocks: 8
; VGPRBlocks: 10
; NumSGPRsForWavesPerEU: 65
; NumVGPRsForWavesPerEU: 43
; Occupancy: 5
; WaveLimiterHint : 1
; COMPUTE_PGM_RSRC2:SCRATCH_EN: 0
; COMPUTE_PGM_RSRC2:USER_SGPR: 6
; COMPUTE_PGM_RSRC2:TRAP_HANDLER: 0
; COMPUTE_PGM_RSRC2:TGID_X_EN: 1
; COMPUTE_PGM_RSRC2:TGID_Y_EN: 1
; COMPUTE_PGM_RSRC2:TGID_Z_EN: 1
; COMPUTE_PGM_RSRC2:TIDIG_COMP_CNT: 1
	.section	.text._ZL26rocblas_syr2k_her2k_kernelIiLb1ELb0ELb0ELi32EPKfPKS1_PKPfEvbiT_T4_T5_S7_lS9_S7_lT6_S7_li,"axG",@progbits,_ZL26rocblas_syr2k_her2k_kernelIiLb1ELb0ELb0ELi32EPKfPKS1_PKPfEvbiT_T4_T5_S7_lS9_S7_lT6_S7_li,comdat
	.globl	_ZL26rocblas_syr2k_her2k_kernelIiLb1ELb0ELb0ELi32EPKfPKS1_PKPfEvbiT_T4_T5_S7_lS9_S7_lT6_S7_li ; -- Begin function _ZL26rocblas_syr2k_her2k_kernelIiLb1ELb0ELb0ELi32EPKfPKS1_PKPfEvbiT_T4_T5_S7_lS9_S7_lT6_S7_li
	.p2align	8
	.type	_ZL26rocblas_syr2k_her2k_kernelIiLb1ELb0ELb0ELi32EPKfPKS1_PKPfEvbiT_T4_T5_S7_lS9_S7_lT6_S7_li,@function
_ZL26rocblas_syr2k_her2k_kernelIiLb1ELb0ELb0ELi32EPKfPKS1_PKPfEvbiT_T4_T5_S7_lS9_S7_lT6_S7_li: ; @_ZL26rocblas_syr2k_her2k_kernelIiLb1ELb0ELb0ELi32EPKfPKS1_PKPfEvbiT_T4_T5_S7_lS9_S7_lT6_S7_li
; %bb.0:
	s_load_dwordx4 s[0:3], s[4:5], 0x10
	s_waitcnt lgkmcnt(0)
	s_load_dword s16, s[0:1], 0x0
	s_waitcnt lgkmcnt(0)
	v_cmp_eq_f32_e64 s[0:1], s16, 0
	s_and_b64 vcc, exec, s[0:1]
	s_cbranch_vccnz .LBB1914_17
; %bb.1:
	s_load_dwordx4 s[12:15], s[4:5], 0x0
	s_lshl_b32 s0, s7, 5
	s_lshl_b32 s1, s6, 5
	s_waitcnt lgkmcnt(0)
	s_and_b32 s6, 1, s12
	s_cmp_eq_u32 s6, 1
	s_cselect_b64 vcc, -1, 0
	s_and_b64 s[6:7], vcc, exec
	s_cselect_b32 s6, s1, s0
	s_cselect_b32 s7, s0, s1
	s_cmp_gt_i32 s6, s7
	s_cbranch_scc1 .LBB1914_17
; %bb.2:
	s_cmp_lt_i32 s14, 1
	s_cbranch_scc1 .LBB1914_17
; %bb.3:
	s_mov_b32 s9, 0
	s_load_dword s15, s[4:5], 0x20
	s_load_dwordx4 s[20:23], s[4:5], 0x28
	s_load_dword s17, s[4:5], 0x38
	s_load_dwordx4 s[24:27], s[4:5], 0x40
	s_load_dword s12, s[4:5], 0x50
	s_load_dwordx2 s[6:7], s[4:5], 0x58
	s_lshl_b64 s[4:5], s[8:9], 3
	s_add_u32 s2, s2, s4
	s_addc_u32 s3, s3, s5
	s_load_dwordx2 s[2:3], s[2:3], 0x0
	s_waitcnt lgkmcnt(0)
	s_add_u32 s10, s22, s4
	s_addc_u32 s11, s23, s5
	s_load_dwordx2 s[10:11], s[10:11], 0x0
	s_add_u32 s4, s26, s4
	v_add_u32_e32 v3, s1, v0
	s_addc_u32 s5, s27, s5
	s_lshl_b64 s[18:19], s[20:21], 2
	v_ashrrev_i32_e32 v4, 31, v3
	s_load_dwordx2 s[4:5], s[4:5], 0x0
	s_add_u32 s8, s2, s18
	v_lshlrev_b64 v[12:13], 2, v[3:4]
	s_addc_u32 s18, s3, s19
	v_add_u32_e32 v2, s0, v1
	s_lshl_b64 s[2:3], s[24:25], 2
	v_cndmask_b32_e32 v16, v3, v2, vcc
	v_cndmask_b32_e32 v17, v2, v3, vcc
	v_cmp_gt_i32_e32 vcc, s13, v3
	v_mov_b32_e32 v3, s18
	v_add_co_u32_e64 v4, s[0:1], s8, v12
	s_waitcnt lgkmcnt(0)
	s_add_u32 s10, s10, s2
	v_addc_co_u32_e64 v5, s[0:1], v3, v13, s[0:1]
	v_ashrrev_i32_e32 v3, 31, v2
	s_addc_u32 s11, s11, s3
	s_lshl_b64 s[2:3], s[6:7], 2
	v_lshlrev_b64 v[14:15], 2, v[2:3]
	s_add_u32 s6, s4, s2
	s_addc_u32 s7, s5, s3
	v_mov_b32_e32 v3, s11
	v_add_co_u32_e64 v8, s[2:3], s10, v14
	v_cmp_gt_i32_e64 s[0:1], s13, v2
	v_addc_co_u32_e64 v9, s[2:3], v3, v15, s[2:3]
	v_mad_i64_i32 v[2:3], s[2:3], s12, v2, 0
	v_cmp_le_i32_e64 s[2:3], v17, v16
	s_and_b64 s[4:5], s[0:1], vcc
	v_lshlrev_b64 v[2:3], 2, v[2:3]
	s_and_b64 s[4:5], s[4:5], s[2:3]
	v_mov_b32_e32 v16, s7
	v_add_co_u32_e64 v2, s[2:3], s6, v2
	v_addc_co_u32_e64 v3, s[2:3], v16, v3, s[2:3]
	v_add_co_u32_e64 v2, s[2:3], v2, v12
	v_addc_co_u32_e64 v3, s[2:3], v3, v13, s[2:3]
	v_mov_b32_e32 v16, s11
	v_add_co_u32_e64 v12, s[2:3], s10, v12
	v_lshlrev_b32_e32 v6, 7, v0
	v_lshlrev_b32_e32 v10, 2, v1
	v_addc_co_u32_e64 v13, s[2:3], v16, v13, s[2:3]
	v_add_u32_e32 v7, v6, v10
	v_or_b32_e32 v10, 0x1000, v10
	v_mov_b32_e32 v16, s18
	v_add_co_u32_e64 v14, s[2:3], s8, v14
	v_add_u32_e32 v11, v10, v6
	v_addc_co_u32_e64 v15, s[2:3], v16, v15, s[2:3]
	v_add_u32_e32 v16, 0x400, v10
	v_add_u32_e32 v17, 0x800, v10
	;; [unrolled: 1-line block ×3, first 2 shown]
	s_branch .LBB1914_5
.LBB1914_4:                             ;   in Loop: Header=BB1914_5 Depth=1
	s_or_b64 exec, exec, s[2:3]
	s_add_i32 s9, s9, 32
	s_cmp_lt_i32 s9, s14
	s_waitcnt vmcnt(0) lgkmcnt(0)
	s_barrier
	s_cbranch_scc0 .LBB1914_17
.LBB1914_5:                             ; =>This Inner Loop Header: Depth=1
	v_add_u32_e32 v19, s9, v1
	v_cmp_gt_i32_e64 s[2:3], s14, v19
	s_and_b64 s[6:7], vcc, s[2:3]
	v_mov_b32_e32 v20, 0
	s_and_saveexec_b64 s[10:11], s[6:7]
	s_cbranch_execz .LBB1914_7
; %bb.6:                                ;   in Loop: Header=BB1914_5 Depth=1
	v_mad_i64_i32 v[20:21], s[2:3], v19, s15, 0
	v_lshlrev_b64 v[20:21], 2, v[20:21]
	v_add_co_u32_e64 v20, s[2:3], v4, v20
	v_addc_co_u32_e64 v21, s[2:3], v5, v21, s[2:3]
	flat_load_dword v20, v[20:21]
.LBB1914_7:                             ;   in Loop: Header=BB1914_5 Depth=1
	s_or_b64 exec, exec, s[10:11]
	s_waitcnt vmcnt(0) lgkmcnt(0)
	ds_write_b32 v7, v20
	v_add_u32_e32 v20, s9, v0
	v_cmp_gt_i32_e64 s[2:3], s14, v20
	s_and_b64 s[10:11], s[0:1], s[2:3]
	v_mov_b32_e32 v21, 0
	s_and_saveexec_b64 s[12:13], s[10:11]
	s_cbranch_execz .LBB1914_9
; %bb.8:                                ;   in Loop: Header=BB1914_5 Depth=1
	v_mad_i64_i32 v[21:22], s[2:3], v20, s17, 0
	v_lshlrev_b64 v[21:22], 2, v[21:22]
	v_add_co_u32_e64 v21, s[2:3], v8, v21
	v_addc_co_u32_e64 v22, s[2:3], v9, v22, s[2:3]
	flat_load_dword v21, v[21:22]
.LBB1914_9:                             ;   in Loop: Header=BB1914_5 Depth=1
	s_or_b64 exec, exec, s[12:13]
	s_waitcnt vmcnt(0) lgkmcnt(0)
	ds_write_b32 v11, v21
	s_waitcnt lgkmcnt(0)
	s_barrier
	s_and_saveexec_b64 s[2:3], s[4:5]
	s_cbranch_execz .LBB1914_11
; %bb.10:                               ;   in Loop: Header=BB1914_5 Depth=1
	flat_load_dword v39, v[2:3]
	ds_read_b128 v[21:24], v6
	ds_read2_b32 v[29:30], v10 offset1:32
	ds_read2_b32 v[31:32], v10 offset0:64 offset1:96
	ds_read_b128 v[25:28], v6 offset:16
	ds_read2_b32 v[33:34], v10 offset0:128 offset1:160
	s_waitcnt lgkmcnt(0)
	v_fma_f32 v40, v21, v29, 0
	v_fmac_f32_e32 v40, v22, v30
	v_fmac_f32_e32 v40, v23, v31
	;; [unrolled: 1-line block ×3, first 2 shown]
	ds_read2_b32 v[35:36], v10 offset0:192 offset1:224
	ds_read_b128 v[21:24], v6 offset:32
	ds_read_b128 v[29:32], v6 offset:48
	ds_read2_b32 v[37:38], v16 offset1:32
	v_fmac_f32_e32 v40, v25, v33
	v_fmac_f32_e32 v40, v26, v34
	ds_read2_b32 v[25:26], v16 offset0:64 offset1:96
	s_waitcnt lgkmcnt(0)
	v_fmac_f32_e32 v40, v27, v35
	v_fmac_f32_e32 v40, v28, v36
	;; [unrolled: 1-line block ×3, first 2 shown]
	ds_read2_b32 v[27:28], v16 offset0:128 offset1:160
	v_fmac_f32_e32 v40, v22, v38
	v_fmac_f32_e32 v40, v23, v25
	v_fmac_f32_e32 v40, v24, v26
	ds_read2_b32 v[25:26], v16 offset0:192 offset1:224
	s_waitcnt lgkmcnt(0)
	v_fmac_f32_e32 v40, v29, v27
	v_fmac_f32_e32 v40, v30, v28
	ds_read_b128 v[21:24], v6 offset:64
	ds_read2_b32 v[29:30], v17 offset1:32
	v_fmac_f32_e32 v40, v31, v25
	v_fmac_f32_e32 v40, v32, v26
	ds_read2_b32 v[31:32], v17 offset0:64 offset1:96
	ds_read_b128 v[25:28], v6 offset:80
	ds_read2_b32 v[33:34], v17 offset0:128 offset1:160
	s_waitcnt lgkmcnt(0)
	v_fmac_f32_e32 v40, v21, v29
	v_fmac_f32_e32 v40, v22, v30
	ds_read2_b32 v[29:30], v17 offset0:192 offset1:224
	v_fmac_f32_e32 v40, v23, v31
	v_fmac_f32_e32 v40, v24, v32
	;; [unrolled: 1-line block ×3, first 2 shown]
	ds_read_b128 v[21:24], v6 offset:96
	ds_read2_b32 v[31:32], v18 offset1:32
	v_fmac_f32_e32 v40, v26, v34
	s_waitcnt lgkmcnt(0)
	v_fmac_f32_e32 v40, v27, v29
	v_fmac_f32_e32 v40, v28, v30
	ds_read2_b32 v[29:30], v18 offset0:64 offset1:96
	ds_read_b128 v[25:28], v6 offset:112
	ds_read2_b32 v[33:34], v18 offset0:128 offset1:160
	v_fmac_f32_e32 v40, v21, v31
	v_fmac_f32_e32 v40, v22, v32
	ds_read2_b32 v[21:22], v18 offset0:192 offset1:224
	s_waitcnt lgkmcnt(0)
	v_fmac_f32_e32 v40, v23, v29
	v_fmac_f32_e32 v40, v24, v30
	;; [unrolled: 1-line block ×6, first 2 shown]
	s_waitcnt vmcnt(0)
	v_fmac_f32_e32 v39, s16, v40
	flat_store_dword v[2:3], v39
.LBB1914_11:                            ;   in Loop: Header=BB1914_5 Depth=1
	s_or_b64 exec, exec, s[2:3]
	v_mov_b32_e32 v21, 0
	v_mov_b32_e32 v22, 0
	s_waitcnt vmcnt(0) lgkmcnt(0)
	s_barrier
	s_and_saveexec_b64 s[12:13], s[6:7]
	s_cbranch_execz .LBB1914_13
; %bb.12:                               ;   in Loop: Header=BB1914_5 Depth=1
	v_mad_i64_i32 v[22:23], s[2:3], v19, s17, 0
	v_lshlrev_b64 v[22:23], 2, v[22:23]
	v_add_co_u32_e64 v22, s[2:3], v12, v22
	v_addc_co_u32_e64 v23, s[2:3], v13, v23, s[2:3]
	flat_load_dword v22, v[22:23]
.LBB1914_13:                            ;   in Loop: Header=BB1914_5 Depth=1
	s_or_b64 exec, exec, s[12:13]
	s_waitcnt vmcnt(0) lgkmcnt(0)
	ds_write_b32 v7, v22
	s_and_saveexec_b64 s[6:7], s[10:11]
	s_cbranch_execz .LBB1914_15
; %bb.14:                               ;   in Loop: Header=BB1914_5 Depth=1
	v_mad_i64_i32 v[19:20], s[2:3], v20, s15, 0
	v_lshlrev_b64 v[19:20], 2, v[19:20]
	v_add_co_u32_e64 v19, s[2:3], v14, v19
	v_addc_co_u32_e64 v20, s[2:3], v15, v20, s[2:3]
	flat_load_dword v21, v[19:20]
.LBB1914_15:                            ;   in Loop: Header=BB1914_5 Depth=1
	s_or_b64 exec, exec, s[6:7]
	s_waitcnt vmcnt(0) lgkmcnt(0)
	ds_write_b32 v11, v21
	s_waitcnt lgkmcnt(0)
	s_barrier
	s_and_saveexec_b64 s[2:3], s[4:5]
	s_cbranch_execz .LBB1914_4
; %bb.16:                               ;   in Loop: Header=BB1914_5 Depth=1
	flat_load_dword v37, v[2:3]
	ds_read2_b32 v[27:28], v10 offset1:32
	ds_read_b128 v[19:22], v6
	ds_read2_b32 v[29:30], v10 offset0:64 offset1:96
	ds_read_b128 v[23:26], v6 offset:16
	ds_read2_b32 v[31:32], v10 offset0:128 offset1:160
	ds_read2_b32 v[33:34], v10 offset0:192 offset1:224
	s_waitcnt lgkmcnt(0)
	v_fma_f32 v38, v19, v27, 0
	v_fmac_f32_e32 v38, v20, v28
	v_fmac_f32_e32 v38, v21, v29
	;; [unrolled: 1-line block ×3, first 2 shown]
	ds_read_b128 v[19:22], v6 offset:32
	ds_read_b128 v[27:30], v6 offset:48
	ds_read2_b32 v[35:36], v16 offset1:32
	v_fmac_f32_e32 v38, v23, v31
	v_fmac_f32_e32 v38, v24, v32
	ds_read2_b32 v[23:24], v16 offset0:64 offset1:96
	v_fmac_f32_e32 v38, v25, v33
	v_fmac_f32_e32 v38, v26, v34
	s_waitcnt lgkmcnt(0)
	v_fmac_f32_e32 v38, v19, v35
	ds_read2_b32 v[25:26], v16 offset0:128 offset1:160
	v_fmac_f32_e32 v38, v20, v36
	v_fmac_f32_e32 v38, v21, v23
	;; [unrolled: 1-line block ×3, first 2 shown]
	ds_read2_b32 v[23:24], v16 offset0:192 offset1:224
	s_waitcnt lgkmcnt(0)
	v_fmac_f32_e32 v38, v27, v25
	v_fmac_f32_e32 v38, v28, v26
	ds_read_b128 v[19:22], v6 offset:64
	ds_read2_b32 v[27:28], v17 offset1:32
	v_fmac_f32_e32 v38, v29, v23
	v_fmac_f32_e32 v38, v30, v24
	ds_read2_b32 v[29:30], v17 offset0:64 offset1:96
	ds_read_b128 v[23:26], v6 offset:80
	ds_read2_b32 v[31:32], v17 offset0:128 offset1:160
	s_waitcnt lgkmcnt(0)
	v_fmac_f32_e32 v38, v19, v27
	v_fmac_f32_e32 v38, v20, v28
	ds_read2_b32 v[27:28], v17 offset0:192 offset1:224
	v_fmac_f32_e32 v38, v21, v29
	v_fmac_f32_e32 v38, v22, v30
	;; [unrolled: 1-line block ×3, first 2 shown]
	ds_read_b128 v[19:22], v6 offset:96
	ds_read2_b32 v[29:30], v18 offset1:32
	v_fmac_f32_e32 v38, v24, v32
	s_waitcnt lgkmcnt(0)
	v_fmac_f32_e32 v38, v25, v27
	v_fmac_f32_e32 v38, v26, v28
	ds_read2_b32 v[27:28], v18 offset0:64 offset1:96
	ds_read_b128 v[23:26], v6 offset:112
	ds_read2_b32 v[31:32], v18 offset0:128 offset1:160
	v_fmac_f32_e32 v38, v19, v29
	v_fmac_f32_e32 v38, v20, v30
	ds_read2_b32 v[19:20], v18 offset0:192 offset1:224
	s_waitcnt lgkmcnt(0)
	v_fmac_f32_e32 v38, v21, v27
	v_fmac_f32_e32 v38, v22, v28
	v_fmac_f32_e32 v38, v23, v31
	v_fmac_f32_e32 v38, v24, v32
	v_fmac_f32_e32 v38, v25, v19
	v_fmac_f32_e32 v38, v26, v20
	s_waitcnt vmcnt(0)
	v_fmac_f32_e32 v37, s16, v38
	flat_store_dword v[2:3], v37
	s_branch .LBB1914_4
.LBB1914_17:
	s_endpgm
	.section	.rodata,"a",@progbits
	.p2align	6, 0x0
	.amdhsa_kernel _ZL26rocblas_syr2k_her2k_kernelIiLb1ELb0ELb0ELi32EPKfPKS1_PKPfEvbiT_T4_T5_S7_lS9_S7_lT6_S7_li
		.amdhsa_group_segment_fixed_size 8192
		.amdhsa_private_segment_fixed_size 0
		.amdhsa_kernarg_size 100
		.amdhsa_user_sgpr_count 6
		.amdhsa_user_sgpr_private_segment_buffer 1
		.amdhsa_user_sgpr_dispatch_ptr 0
		.amdhsa_user_sgpr_queue_ptr 0
		.amdhsa_user_sgpr_kernarg_segment_ptr 1
		.amdhsa_user_sgpr_dispatch_id 0
		.amdhsa_user_sgpr_flat_scratch_init 0
		.amdhsa_user_sgpr_private_segment_size 0
		.amdhsa_uses_dynamic_stack 0
		.amdhsa_system_sgpr_private_segment_wavefront_offset 0
		.amdhsa_system_sgpr_workgroup_id_x 1
		.amdhsa_system_sgpr_workgroup_id_y 1
		.amdhsa_system_sgpr_workgroup_id_z 1
		.amdhsa_system_sgpr_workgroup_info 0
		.amdhsa_system_vgpr_workitem_id 1
		.amdhsa_next_free_vgpr 41
		.amdhsa_next_free_sgpr 61
		.amdhsa_reserve_vcc 1
		.amdhsa_reserve_flat_scratch 0
		.amdhsa_float_round_mode_32 0
		.amdhsa_float_round_mode_16_64 0
		.amdhsa_float_denorm_mode_32 3
		.amdhsa_float_denorm_mode_16_64 3
		.amdhsa_dx10_clamp 1
		.amdhsa_ieee_mode 1
		.amdhsa_fp16_overflow 0
		.amdhsa_exception_fp_ieee_invalid_op 0
		.amdhsa_exception_fp_denorm_src 0
		.amdhsa_exception_fp_ieee_div_zero 0
		.amdhsa_exception_fp_ieee_overflow 0
		.amdhsa_exception_fp_ieee_underflow 0
		.amdhsa_exception_fp_ieee_inexact 0
		.amdhsa_exception_int_div_zero 0
	.end_amdhsa_kernel
	.section	.text._ZL26rocblas_syr2k_her2k_kernelIiLb1ELb0ELb0ELi32EPKfPKS1_PKPfEvbiT_T4_T5_S7_lS9_S7_lT6_S7_li,"axG",@progbits,_ZL26rocblas_syr2k_her2k_kernelIiLb1ELb0ELb0ELi32EPKfPKS1_PKPfEvbiT_T4_T5_S7_lS9_S7_lT6_S7_li,comdat
.Lfunc_end1914:
	.size	_ZL26rocblas_syr2k_her2k_kernelIiLb1ELb0ELb0ELi32EPKfPKS1_PKPfEvbiT_T4_T5_S7_lS9_S7_lT6_S7_li, .Lfunc_end1914-_ZL26rocblas_syr2k_her2k_kernelIiLb1ELb0ELb0ELi32EPKfPKS1_PKPfEvbiT_T4_T5_S7_lS9_S7_lT6_S7_li
                                        ; -- End function
	.set _ZL26rocblas_syr2k_her2k_kernelIiLb1ELb0ELb0ELi32EPKfPKS1_PKPfEvbiT_T4_T5_S7_lS9_S7_lT6_S7_li.num_vgpr, 41
	.set _ZL26rocblas_syr2k_her2k_kernelIiLb1ELb0ELb0ELi32EPKfPKS1_PKPfEvbiT_T4_T5_S7_lS9_S7_lT6_S7_li.num_agpr, 0
	.set _ZL26rocblas_syr2k_her2k_kernelIiLb1ELb0ELb0ELi32EPKfPKS1_PKPfEvbiT_T4_T5_S7_lS9_S7_lT6_S7_li.numbered_sgpr, 28
	.set _ZL26rocblas_syr2k_her2k_kernelIiLb1ELb0ELb0ELi32EPKfPKS1_PKPfEvbiT_T4_T5_S7_lS9_S7_lT6_S7_li.num_named_barrier, 0
	.set _ZL26rocblas_syr2k_her2k_kernelIiLb1ELb0ELb0ELi32EPKfPKS1_PKPfEvbiT_T4_T5_S7_lS9_S7_lT6_S7_li.private_seg_size, 0
	.set _ZL26rocblas_syr2k_her2k_kernelIiLb1ELb0ELb0ELi32EPKfPKS1_PKPfEvbiT_T4_T5_S7_lS9_S7_lT6_S7_li.uses_vcc, 1
	.set _ZL26rocblas_syr2k_her2k_kernelIiLb1ELb0ELb0ELi32EPKfPKS1_PKPfEvbiT_T4_T5_S7_lS9_S7_lT6_S7_li.uses_flat_scratch, 0
	.set _ZL26rocblas_syr2k_her2k_kernelIiLb1ELb0ELb0ELi32EPKfPKS1_PKPfEvbiT_T4_T5_S7_lS9_S7_lT6_S7_li.has_dyn_sized_stack, 0
	.set _ZL26rocblas_syr2k_her2k_kernelIiLb1ELb0ELb0ELi32EPKfPKS1_PKPfEvbiT_T4_T5_S7_lS9_S7_lT6_S7_li.has_recursion, 0
	.set _ZL26rocblas_syr2k_her2k_kernelIiLb1ELb0ELb0ELi32EPKfPKS1_PKPfEvbiT_T4_T5_S7_lS9_S7_lT6_S7_li.has_indirect_call, 0
	.section	.AMDGPU.csdata,"",@progbits
; Kernel info:
; codeLenInByte = 1624
; TotalNumSgprs: 32
; NumVgprs: 41
; ScratchSize: 0
; MemoryBound: 0
; FloatMode: 240
; IeeeMode: 1
; LDSByteSize: 8192 bytes/workgroup (compile time only)
; SGPRBlocks: 8
; VGPRBlocks: 10
; NumSGPRsForWavesPerEU: 65
; NumVGPRsForWavesPerEU: 41
; Occupancy: 5
; WaveLimiterHint : 1
; COMPUTE_PGM_RSRC2:SCRATCH_EN: 0
; COMPUTE_PGM_RSRC2:USER_SGPR: 6
; COMPUTE_PGM_RSRC2:TRAP_HANDLER: 0
; COMPUTE_PGM_RSRC2:TGID_X_EN: 1
; COMPUTE_PGM_RSRC2:TGID_Y_EN: 1
; COMPUTE_PGM_RSRC2:TGID_Z_EN: 1
; COMPUTE_PGM_RSRC2:TIDIG_COMP_CNT: 1
	.section	.text._ZL26rocblas_syr2k_her2k_kernelIiLb1ELb0ELb1ELi32EPKfPKS1_PKPfEvbiT_T4_T5_S7_lS9_S7_lT6_S7_li,"axG",@progbits,_ZL26rocblas_syr2k_her2k_kernelIiLb1ELb0ELb1ELi32EPKfPKS1_PKPfEvbiT_T4_T5_S7_lS9_S7_lT6_S7_li,comdat
	.globl	_ZL26rocblas_syr2k_her2k_kernelIiLb1ELb0ELb1ELi32EPKfPKS1_PKPfEvbiT_T4_T5_S7_lS9_S7_lT6_S7_li ; -- Begin function _ZL26rocblas_syr2k_her2k_kernelIiLb1ELb0ELb1ELi32EPKfPKS1_PKPfEvbiT_T4_T5_S7_lS9_S7_lT6_S7_li
	.p2align	8
	.type	_ZL26rocblas_syr2k_her2k_kernelIiLb1ELb0ELb1ELi32EPKfPKS1_PKPfEvbiT_T4_T5_S7_lS9_S7_lT6_S7_li,@function
_ZL26rocblas_syr2k_her2k_kernelIiLb1ELb0ELb1ELi32EPKfPKS1_PKPfEvbiT_T4_T5_S7_lS9_S7_lT6_S7_li: ; @_ZL26rocblas_syr2k_her2k_kernelIiLb1ELb0ELb1ELi32EPKfPKS1_PKPfEvbiT_T4_T5_S7_lS9_S7_lT6_S7_li
; %bb.0:
	s_load_dwordx4 s[0:3], s[4:5], 0x10
	s_waitcnt lgkmcnt(0)
	s_load_dword s16, s[0:1], 0x0
	s_waitcnt lgkmcnt(0)
	v_cmp_eq_f32_e64 s[0:1], s16, 0
	s_and_b64 vcc, exec, s[0:1]
	s_cbranch_vccnz .LBB1915_17
; %bb.1:
	s_load_dwordx4 s[12:15], s[4:5], 0x0
	s_lshl_b32 s0, s7, 5
	s_lshl_b32 s1, s6, 5
	s_waitcnt lgkmcnt(0)
	s_and_b32 s6, 1, s12
	s_cmp_eq_u32 s6, 1
	s_cselect_b64 vcc, -1, 0
	s_and_b64 s[6:7], vcc, exec
	s_cselect_b32 s6, s1, s0
	s_cselect_b32 s7, s0, s1
	s_cmp_gt_i32 s6, s7
	s_cbranch_scc1 .LBB1915_17
; %bb.2:
	s_cmp_lt_i32 s14, 1
	s_cbranch_scc1 .LBB1915_17
; %bb.3:
	s_mov_b32 s9, 0
	s_load_dword s12, s[4:5], 0x20
	s_load_dwordx4 s[20:23], s[4:5], 0x28
	s_load_dword s15, s[4:5], 0x38
	s_load_dwordx4 s[24:27], s[4:5], 0x40
	s_load_dword s17, s[4:5], 0x50
	s_load_dwordx2 s[6:7], s[4:5], 0x58
	s_lshl_b64 s[4:5], s[8:9], 3
	s_add_u32 s2, s2, s4
	s_addc_u32 s3, s3, s5
	s_load_dwordx2 s[2:3], s[2:3], 0x0
	v_add_u32_e32 v2, s1, v0
	s_waitcnt lgkmcnt(0)
	s_add_u32 s10, s22, s4
	v_add_u32_e32 v7, s0, v1
	v_mad_i64_i32 v[4:5], s[0:1], s12, v2, 0
	s_addc_u32 s11, s23, s5
	s_add_u32 s4, s26, s4
	s_addc_u32 s5, s27, s5
	s_lshl_b64 s[18:19], s[20:21], 2
	s_add_u32 s8, s2, s18
	v_lshlrev_b64 v[4:5], 2, v[4:5]
	s_load_dwordx2 s[10:11], s[10:11], 0x0
	s_addc_u32 s18, s3, s19
	v_mov_b32_e32 v9, s18
	v_add_co_u32_e64 v8, s[0:1], s8, v4
	s_load_dwordx2 s[4:5], s[4:5], 0x0
	v_addc_co_u32_e64 v9, s[0:1], v9, v5, s[0:1]
	v_mad_i64_i32 v[4:5], s[0:1], s15, v7, 0
	s_lshl_b64 s[2:3], s[24:25], 2
	s_waitcnt lgkmcnt(0)
	s_add_u32 s10, s10, s2
	s_addc_u32 s11, s11, s3
	s_lshl_b64 s[2:3], s[6:7], 2
	v_lshlrev_b64 v[4:5], 2, v[4:5]
	s_add_u32 s6, s4, s2
	s_addc_u32 s7, s5, s3
	v_mov_b32_e32 v13, s11
	v_add_co_u32_e64 v12, s[2:3], s10, v4
	v_addc_co_u32_e64 v13, s[2:3], v13, v5, s[2:3]
	v_mad_i64_i32 v[4:5], s[2:3], s17, v7, 0
	v_cndmask_b32_e32 v6, v2, v7, vcc
	v_cndmask_b32_e32 v16, v7, v2, vcc
	v_cmp_gt_i32_e32 vcc, s13, v2
	v_cmp_gt_i32_e64 s[0:1], s13, v7
	v_lshlrev_b64 v[4:5], 2, v[4:5]
	v_cmp_le_i32_e64 s[2:3], v16, v6
	s_and_b64 s[4:5], s[0:1], vcc
	s_and_b64 s[4:5], s[4:5], s[2:3]
	v_mov_b32_e32 v6, s7
	v_add_co_u32_e64 v16, s[2:3], s6, v4
	v_ashrrev_i32_e32 v3, 31, v2
	v_addc_co_u32_e64 v17, s[2:3], v6, v5, s[2:3]
	v_mad_i64_i32 v[5:6], s[2:3], s15, v2, 0
	v_lshlrev_b64 v[3:4], 2, v[2:3]
	v_lshlrev_b32_e32 v10, 7, v0
	v_add_co_u32_e64 v2, s[2:3], v16, v3
	v_addc_co_u32_e64 v3, s[2:3], v17, v4, s[2:3]
	v_lshlrev_b64 v[4:5], 2, v[5:6]
	v_mad_i64_i32 v[6:7], s[2:3], s12, v7, 0
	v_mov_b32_e32 v17, s11
	v_add_co_u32_e64 v16, s[2:3], s10, v4
	v_addc_co_u32_e64 v17, s[2:3], v17, v5, s[2:3]
	v_lshlrev_b64 v[4:5], 2, v[6:7]
	v_lshlrev_b32_e32 v14, 2, v1
	v_add_u32_e32 v11, v10, v14
	v_or_b32_e32 v14, 0x1000, v14
	v_mov_b32_e32 v6, s18
	v_add_co_u32_e64 v18, s[2:3], s8, v4
	v_add_u32_e32 v15, v14, v10
	v_addc_co_u32_e64 v19, s[2:3], v6, v5, s[2:3]
	v_add_u32_e32 v20, 0x400, v14
	v_add_u32_e32 v21, 0x800, v14
	;; [unrolled: 1-line block ×3, first 2 shown]
	s_branch .LBB1915_5
.LBB1915_4:                             ;   in Loop: Header=BB1915_5 Depth=1
	s_or_b64 exec, exec, s[2:3]
	s_add_i32 s9, s9, 32
	s_cmp_lt_i32 s9, s14
	s_waitcnt vmcnt(0) lgkmcnt(0)
	s_barrier
	s_cbranch_scc0 .LBB1915_17
.LBB1915_5:                             ; =>This Inner Loop Header: Depth=1
	v_add_u32_e32 v4, s9, v1
	v_cmp_gt_i32_e64 s[2:3], s14, v4
	s_and_b64 s[6:7], vcc, s[2:3]
	v_ashrrev_i32_e32 v5, 31, v4
	v_mov_b32_e32 v6, 0
	s_and_saveexec_b64 s[10:11], s[6:7]
	s_cbranch_execz .LBB1915_7
; %bb.6:                                ;   in Loop: Header=BB1915_5 Depth=1
	v_lshlrev_b64 v[6:7], 2, v[4:5]
	v_add_co_u32_e64 v6, s[2:3], v8, v6
	v_addc_co_u32_e64 v7, s[2:3], v9, v7, s[2:3]
	flat_load_dword v6, v[6:7]
.LBB1915_7:                             ;   in Loop: Header=BB1915_5 Depth=1
	s_or_b64 exec, exec, s[10:11]
	s_waitcnt vmcnt(0) lgkmcnt(0)
	ds_write_b32 v11, v6
	v_add_u32_e32 v6, s9, v0
	v_cmp_gt_i32_e64 s[2:3], s14, v6
	s_and_b64 s[10:11], s[0:1], s[2:3]
	v_mov_b32_e32 v23, 0
	v_ashrrev_i32_e32 v7, 31, v6
	s_and_saveexec_b64 s[12:13], s[10:11]
	s_cbranch_execz .LBB1915_9
; %bb.8:                                ;   in Loop: Header=BB1915_5 Depth=1
	v_lshlrev_b64 v[23:24], 2, v[6:7]
	v_add_co_u32_e64 v23, s[2:3], v12, v23
	v_addc_co_u32_e64 v24, s[2:3], v13, v24, s[2:3]
	flat_load_dword v23, v[23:24]
.LBB1915_9:                             ;   in Loop: Header=BB1915_5 Depth=1
	s_or_b64 exec, exec, s[12:13]
	s_waitcnt vmcnt(0) lgkmcnt(0)
	ds_write_b32 v15, v23
	s_waitcnt lgkmcnt(0)
	s_barrier
	s_and_saveexec_b64 s[2:3], s[4:5]
	s_cbranch_execz .LBB1915_11
; %bb.10:                               ;   in Loop: Header=BB1915_5 Depth=1
	flat_load_dword v41, v[2:3]
	ds_read_b128 v[23:26], v10
	ds_read2_b32 v[31:32], v14 offset1:32
	ds_read2_b32 v[33:34], v14 offset0:64 offset1:96
	ds_read_b128 v[27:30], v10 offset:16
	ds_read2_b32 v[35:36], v14 offset0:128 offset1:160
	s_waitcnt lgkmcnt(0)
	v_fma_f32 v42, v23, v31, 0
	v_fmac_f32_e32 v42, v24, v32
	v_fmac_f32_e32 v42, v25, v33
	v_fmac_f32_e32 v42, v26, v34
	ds_read2_b32 v[37:38], v14 offset0:192 offset1:224
	ds_read_b128 v[23:26], v10 offset:32
	ds_read_b128 v[31:34], v10 offset:48
	ds_read2_b32 v[39:40], v20 offset1:32
	v_fmac_f32_e32 v42, v27, v35
	v_fmac_f32_e32 v42, v28, v36
	ds_read2_b32 v[27:28], v20 offset0:64 offset1:96
	s_waitcnt lgkmcnt(0)
	v_fmac_f32_e32 v42, v29, v37
	v_fmac_f32_e32 v42, v30, v38
	;; [unrolled: 1-line block ×3, first 2 shown]
	ds_read2_b32 v[29:30], v20 offset0:128 offset1:160
	v_fmac_f32_e32 v42, v24, v40
	v_fmac_f32_e32 v42, v25, v27
	;; [unrolled: 1-line block ×3, first 2 shown]
	ds_read2_b32 v[27:28], v20 offset0:192 offset1:224
	s_waitcnt lgkmcnt(0)
	v_fmac_f32_e32 v42, v31, v29
	v_fmac_f32_e32 v42, v32, v30
	ds_read_b128 v[23:26], v10 offset:64
	ds_read2_b32 v[31:32], v21 offset1:32
	v_fmac_f32_e32 v42, v33, v27
	v_fmac_f32_e32 v42, v34, v28
	ds_read2_b32 v[33:34], v21 offset0:64 offset1:96
	ds_read_b128 v[27:30], v10 offset:80
	ds_read2_b32 v[35:36], v21 offset0:128 offset1:160
	s_waitcnt lgkmcnt(0)
	v_fmac_f32_e32 v42, v23, v31
	v_fmac_f32_e32 v42, v24, v32
	ds_read2_b32 v[31:32], v21 offset0:192 offset1:224
	v_fmac_f32_e32 v42, v25, v33
	v_fmac_f32_e32 v42, v26, v34
	;; [unrolled: 1-line block ×3, first 2 shown]
	ds_read_b128 v[23:26], v10 offset:96
	ds_read2_b32 v[33:34], v22 offset1:32
	v_fmac_f32_e32 v42, v28, v36
	s_waitcnt lgkmcnt(0)
	v_fmac_f32_e32 v42, v29, v31
	v_fmac_f32_e32 v42, v30, v32
	ds_read2_b32 v[31:32], v22 offset0:64 offset1:96
	ds_read_b128 v[27:30], v10 offset:112
	ds_read2_b32 v[35:36], v22 offset0:128 offset1:160
	v_fmac_f32_e32 v42, v23, v33
	v_fmac_f32_e32 v42, v24, v34
	ds_read2_b32 v[23:24], v22 offset0:192 offset1:224
	s_waitcnt lgkmcnt(0)
	v_fmac_f32_e32 v42, v25, v31
	v_fmac_f32_e32 v42, v26, v32
	;; [unrolled: 1-line block ×6, first 2 shown]
	s_waitcnt vmcnt(0)
	v_fmac_f32_e32 v41, s16, v42
	flat_store_dword v[2:3], v41
.LBB1915_11:                            ;   in Loop: Header=BB1915_5 Depth=1
	s_or_b64 exec, exec, s[2:3]
	v_mov_b32_e32 v23, 0
	v_mov_b32_e32 v24, 0
	s_waitcnt vmcnt(0) lgkmcnt(0)
	s_barrier
	s_and_saveexec_b64 s[12:13], s[6:7]
	s_cbranch_execz .LBB1915_13
; %bb.12:                               ;   in Loop: Header=BB1915_5 Depth=1
	v_lshlrev_b64 v[4:5], 2, v[4:5]
	v_add_co_u32_e64 v4, s[2:3], v16, v4
	v_addc_co_u32_e64 v5, s[2:3], v17, v5, s[2:3]
	flat_load_dword v24, v[4:5]
.LBB1915_13:                            ;   in Loop: Header=BB1915_5 Depth=1
	s_or_b64 exec, exec, s[12:13]
	s_waitcnt vmcnt(0) lgkmcnt(0)
	ds_write_b32 v11, v24
	s_and_saveexec_b64 s[6:7], s[10:11]
	s_cbranch_execz .LBB1915_15
; %bb.14:                               ;   in Loop: Header=BB1915_5 Depth=1
	v_lshlrev_b64 v[4:5], 2, v[6:7]
	v_add_co_u32_e64 v4, s[2:3], v18, v4
	v_addc_co_u32_e64 v5, s[2:3], v19, v5, s[2:3]
	flat_load_dword v23, v[4:5]
.LBB1915_15:                            ;   in Loop: Header=BB1915_5 Depth=1
	s_or_b64 exec, exec, s[6:7]
	s_waitcnt vmcnt(0) lgkmcnt(0)
	ds_write_b32 v15, v23
	s_waitcnt lgkmcnt(0)
	s_barrier
	s_and_saveexec_b64 s[2:3], s[4:5]
	s_cbranch_execz .LBB1915_4
; %bb.16:                               ;   in Loop: Header=BB1915_5 Depth=1
	flat_load_dword v41, v[2:3]
	ds_read2_b32 v[35:36], v14 offset1:32
	ds_read_b128 v[4:7], v10
	ds_read_b128 v[23:26], v10 offset:16
	ds_read2_b32 v[37:38], v14 offset0:64 offset1:96
	ds_read_b128 v[27:30], v10 offset:32
	ds_read_b128 v[31:34], v10 offset:48
	ds_read2_b32 v[39:40], v14 offset0:128 offset1:160
	s_waitcnt lgkmcnt(0)
	v_fma_f32 v35, v4, v35, 0
	v_fmac_f32_e32 v35, v5, v36
	ds_read2_b32 v[4:5], v14 offset0:192 offset1:224
	v_fmac_f32_e32 v35, v6, v37
	v_fmac_f32_e32 v35, v7, v38
	ds_read2_b32 v[6:7], v20 offset1:32
	v_fmac_f32_e32 v35, v23, v39
	v_fmac_f32_e32 v35, v24, v40
	ds_read2_b32 v[23:24], v20 offset0:64 offset1:96
	s_waitcnt lgkmcnt(0)
	v_fmac_f32_e32 v35, v25, v4
	v_fmac_f32_e32 v35, v26, v5
	;; [unrolled: 1-line block ×3, first 2 shown]
	ds_read2_b32 v[4:5], v20 offset0:128 offset1:160
	v_fmac_f32_e32 v35, v28, v7
	v_fmac_f32_e32 v35, v29, v23
	;; [unrolled: 1-line block ×3, first 2 shown]
	ds_read2_b32 v[23:24], v20 offset0:192 offset1:224
	s_waitcnt lgkmcnt(0)
	v_fmac_f32_e32 v35, v31, v4
	v_fmac_f32_e32 v35, v32, v5
	ds_read_b128 v[4:7], v10 offset:64
	ds_read2_b32 v[27:28], v21 offset1:32
	v_fmac_f32_e32 v35, v33, v23
	v_fmac_f32_e32 v35, v34, v24
	ds_read2_b32 v[29:30], v21 offset0:64 offset1:96
	ds_read_b128 v[23:26], v10 offset:80
	ds_read2_b32 v[31:32], v21 offset0:128 offset1:160
	s_waitcnt lgkmcnt(0)
	v_fmac_f32_e32 v35, v4, v27
	v_fmac_f32_e32 v35, v5, v28
	ds_read2_b32 v[27:28], v21 offset0:192 offset1:224
	v_fmac_f32_e32 v35, v6, v29
	v_fmac_f32_e32 v35, v7, v30
	;; [unrolled: 1-line block ×3, first 2 shown]
	ds_read_b128 v[4:7], v10 offset:96
	ds_read2_b32 v[29:30], v22 offset1:32
	v_fmac_f32_e32 v35, v24, v32
	s_waitcnt lgkmcnt(0)
	v_fmac_f32_e32 v35, v25, v27
	v_fmac_f32_e32 v35, v26, v28
	ds_read2_b32 v[27:28], v22 offset0:64 offset1:96
	ds_read_b128 v[23:26], v10 offset:112
	ds_read2_b32 v[31:32], v22 offset0:128 offset1:160
	v_fmac_f32_e32 v35, v4, v29
	v_fmac_f32_e32 v35, v5, v30
	ds_read2_b32 v[4:5], v22 offset0:192 offset1:224
	s_waitcnt lgkmcnt(0)
	v_fmac_f32_e32 v35, v6, v27
	v_fmac_f32_e32 v35, v7, v28
	;; [unrolled: 1-line block ×6, first 2 shown]
	s_waitcnt vmcnt(0)
	v_fmac_f32_e32 v41, s16, v35
	flat_store_dword v[2:3], v41
	s_branch .LBB1915_4
.LBB1915_17:
	s_endpgm
	.section	.rodata,"a",@progbits
	.p2align	6, 0x0
	.amdhsa_kernel _ZL26rocblas_syr2k_her2k_kernelIiLb1ELb0ELb1ELi32EPKfPKS1_PKPfEvbiT_T4_T5_S7_lS9_S7_lT6_S7_li
		.amdhsa_group_segment_fixed_size 8192
		.amdhsa_private_segment_fixed_size 0
		.amdhsa_kernarg_size 100
		.amdhsa_user_sgpr_count 6
		.amdhsa_user_sgpr_private_segment_buffer 1
		.amdhsa_user_sgpr_dispatch_ptr 0
		.amdhsa_user_sgpr_queue_ptr 0
		.amdhsa_user_sgpr_kernarg_segment_ptr 1
		.amdhsa_user_sgpr_dispatch_id 0
		.amdhsa_user_sgpr_flat_scratch_init 0
		.amdhsa_user_sgpr_private_segment_size 0
		.amdhsa_uses_dynamic_stack 0
		.amdhsa_system_sgpr_private_segment_wavefront_offset 0
		.amdhsa_system_sgpr_workgroup_id_x 1
		.amdhsa_system_sgpr_workgroup_id_y 1
		.amdhsa_system_sgpr_workgroup_id_z 1
		.amdhsa_system_sgpr_workgroup_info 0
		.amdhsa_system_vgpr_workitem_id 1
		.amdhsa_next_free_vgpr 43
		.amdhsa_next_free_sgpr 61
		.amdhsa_reserve_vcc 1
		.amdhsa_reserve_flat_scratch 0
		.amdhsa_float_round_mode_32 0
		.amdhsa_float_round_mode_16_64 0
		.amdhsa_float_denorm_mode_32 3
		.amdhsa_float_denorm_mode_16_64 3
		.amdhsa_dx10_clamp 1
		.amdhsa_ieee_mode 1
		.amdhsa_fp16_overflow 0
		.amdhsa_exception_fp_ieee_invalid_op 0
		.amdhsa_exception_fp_denorm_src 0
		.amdhsa_exception_fp_ieee_div_zero 0
		.amdhsa_exception_fp_ieee_overflow 0
		.amdhsa_exception_fp_ieee_underflow 0
		.amdhsa_exception_fp_ieee_inexact 0
		.amdhsa_exception_int_div_zero 0
	.end_amdhsa_kernel
	.section	.text._ZL26rocblas_syr2k_her2k_kernelIiLb1ELb0ELb1ELi32EPKfPKS1_PKPfEvbiT_T4_T5_S7_lS9_S7_lT6_S7_li,"axG",@progbits,_ZL26rocblas_syr2k_her2k_kernelIiLb1ELb0ELb1ELi32EPKfPKS1_PKPfEvbiT_T4_T5_S7_lS9_S7_lT6_S7_li,comdat
.Lfunc_end1915:
	.size	_ZL26rocblas_syr2k_her2k_kernelIiLb1ELb0ELb1ELi32EPKfPKS1_PKPfEvbiT_T4_T5_S7_lS9_S7_lT6_S7_li, .Lfunc_end1915-_ZL26rocblas_syr2k_her2k_kernelIiLb1ELb0ELb1ELi32EPKfPKS1_PKPfEvbiT_T4_T5_S7_lS9_S7_lT6_S7_li
                                        ; -- End function
	.set _ZL26rocblas_syr2k_her2k_kernelIiLb1ELb0ELb1ELi32EPKfPKS1_PKPfEvbiT_T4_T5_S7_lS9_S7_lT6_S7_li.num_vgpr, 43
	.set _ZL26rocblas_syr2k_her2k_kernelIiLb1ELb0ELb1ELi32EPKfPKS1_PKPfEvbiT_T4_T5_S7_lS9_S7_lT6_S7_li.num_agpr, 0
	.set _ZL26rocblas_syr2k_her2k_kernelIiLb1ELb0ELb1ELi32EPKfPKS1_PKPfEvbiT_T4_T5_S7_lS9_S7_lT6_S7_li.numbered_sgpr, 28
	.set _ZL26rocblas_syr2k_her2k_kernelIiLb1ELb0ELb1ELi32EPKfPKS1_PKPfEvbiT_T4_T5_S7_lS9_S7_lT6_S7_li.num_named_barrier, 0
	.set _ZL26rocblas_syr2k_her2k_kernelIiLb1ELb0ELb1ELi32EPKfPKS1_PKPfEvbiT_T4_T5_S7_lS9_S7_lT6_S7_li.private_seg_size, 0
	.set _ZL26rocblas_syr2k_her2k_kernelIiLb1ELb0ELb1ELi32EPKfPKS1_PKPfEvbiT_T4_T5_S7_lS9_S7_lT6_S7_li.uses_vcc, 1
	.set _ZL26rocblas_syr2k_her2k_kernelIiLb1ELb0ELb1ELi32EPKfPKS1_PKPfEvbiT_T4_T5_S7_lS9_S7_lT6_S7_li.uses_flat_scratch, 0
	.set _ZL26rocblas_syr2k_her2k_kernelIiLb1ELb0ELb1ELi32EPKfPKS1_PKPfEvbiT_T4_T5_S7_lS9_S7_lT6_S7_li.has_dyn_sized_stack, 0
	.set _ZL26rocblas_syr2k_her2k_kernelIiLb1ELb0ELb1ELi32EPKfPKS1_PKPfEvbiT_T4_T5_S7_lS9_S7_lT6_S7_li.has_recursion, 0
	.set _ZL26rocblas_syr2k_her2k_kernelIiLb1ELb0ELb1ELi32EPKfPKS1_PKPfEvbiT_T4_T5_S7_lS9_S7_lT6_S7_li.has_indirect_call, 0
	.section	.AMDGPU.csdata,"",@progbits
; Kernel info:
; codeLenInByte = 1652
; TotalNumSgprs: 32
; NumVgprs: 43
; ScratchSize: 0
; MemoryBound: 0
; FloatMode: 240
; IeeeMode: 1
; LDSByteSize: 8192 bytes/workgroup (compile time only)
; SGPRBlocks: 8
; VGPRBlocks: 10
; NumSGPRsForWavesPerEU: 65
; NumVGPRsForWavesPerEU: 43
; Occupancy: 5
; WaveLimiterHint : 1
; COMPUTE_PGM_RSRC2:SCRATCH_EN: 0
; COMPUTE_PGM_RSRC2:USER_SGPR: 6
; COMPUTE_PGM_RSRC2:TRAP_HANDLER: 0
; COMPUTE_PGM_RSRC2:TGID_X_EN: 1
; COMPUTE_PGM_RSRC2:TGID_Y_EN: 1
; COMPUTE_PGM_RSRC2:TGID_Z_EN: 1
; COMPUTE_PGM_RSRC2:TIDIG_COMP_CNT: 1
	.section	.text._ZL26rocblas_syr2k_her2k_kernelIiLb1ELb0ELb0ELi32EdPKPKdPKPdEvbiT_T4_T5_S7_lS9_S7_lT6_S7_li,"axG",@progbits,_ZL26rocblas_syr2k_her2k_kernelIiLb1ELb0ELb0ELi32EdPKPKdPKPdEvbiT_T4_T5_S7_lS9_S7_lT6_S7_li,comdat
	.globl	_ZL26rocblas_syr2k_her2k_kernelIiLb1ELb0ELb0ELi32EdPKPKdPKPdEvbiT_T4_T5_S7_lS9_S7_lT6_S7_li ; -- Begin function _ZL26rocblas_syr2k_her2k_kernelIiLb1ELb0ELb0ELi32EdPKPKdPKPdEvbiT_T4_T5_S7_lS9_S7_lT6_S7_li
	.p2align	8
	.type	_ZL26rocblas_syr2k_her2k_kernelIiLb1ELb0ELb0ELi32EdPKPKdPKPdEvbiT_T4_T5_S7_lS9_S7_lT6_S7_li,@function
_ZL26rocblas_syr2k_her2k_kernelIiLb1ELb0ELb0ELi32EdPKPKdPKPdEvbiT_T4_T5_S7_lS9_S7_lT6_S7_li: ; @_ZL26rocblas_syr2k_her2k_kernelIiLb1ELb0ELb0ELi32EdPKPKdPKPdEvbiT_T4_T5_S7_lS9_S7_lT6_S7_li
; %bb.0:
	s_load_dwordx4 s[12:15], s[4:5], 0x10
	s_waitcnt lgkmcnt(0)
	v_cmp_eq_f64_e64 s[0:1], s[12:13], 0
	s_and_b64 vcc, exec, s[0:1]
	s_cbranch_vccnz .LBB1916_17
; %bb.1:
	s_load_dwordx4 s[16:19], s[4:5], 0x0
	s_lshl_b32 s0, s7, 5
	s_lshl_b32 s1, s6, 5
	s_waitcnt lgkmcnt(0)
	s_and_b32 s2, 1, s16
	s_cmp_eq_u32 s2, 1
	s_cselect_b64 vcc, -1, 0
	s_and_b64 s[2:3], vcc, exec
	s_cselect_b32 s2, s1, s0
	s_cselect_b32 s3, s0, s1
	s_cmp_gt_i32 s2, s3
	s_cbranch_scc1 .LBB1916_17
; %bb.2:
	s_cmp_lt_i32 s18, 1
	s_cbranch_scc1 .LBB1916_17
; %bb.3:
	s_mov_b32 s9, 0
	s_load_dword s16, s[4:5], 0x20
	s_load_dwordx4 s[20:23], s[4:5], 0x28
	s_load_dword s19, s[4:5], 0x38
	s_load_dwordx4 s[24:27], s[4:5], 0x40
	s_load_dword s28, s[4:5], 0x50
	s_load_dwordx2 s[2:3], s[4:5], 0x58
	s_lshl_b64 s[4:5], s[8:9], 3
	s_add_u32 s6, s14, s4
	s_addc_u32 s7, s15, s5
	s_load_dwordx2 s[6:7], s[6:7], 0x0
	s_waitcnt lgkmcnt(0)
	s_add_u32 s10, s22, s4
	s_addc_u32 s11, s23, s5
	s_load_dwordx2 s[10:11], s[10:11], 0x0
	s_add_u32 s4, s26, s4
	v_add_u32_e32 v3, s1, v0
	s_addc_u32 s5, s27, s5
	s_lshl_b64 s[14:15], s[20:21], 3
	v_ashrrev_i32_e32 v4, 31, v3
	s_load_dwordx2 s[4:5], s[4:5], 0x0
	s_add_u32 s8, s6, s14
	v_lshlrev_b64 v[4:5], 3, v[3:4]
	s_addc_u32 s14, s7, s15
	v_add_u32_e32 v2, s0, v1
	s_lshl_b64 s[6:7], s[24:25], 3
	v_cndmask_b32_e32 v16, v3, v2, vcc
	v_cndmask_b32_e32 v17, v2, v3, vcc
	v_cmp_gt_i32_e32 vcc, s17, v3
	v_mov_b32_e32 v3, s14
	v_add_co_u32_e64 v8, s[0:1], s8, v4
	s_waitcnt lgkmcnt(0)
	s_add_u32 s6, s10, s6
	v_addc_co_u32_e64 v9, s[0:1], v3, v5, s[0:1]
	v_ashrrev_i32_e32 v3, 31, v2
	s_addc_u32 s7, s11, s7
	s_lshl_b64 s[2:3], s[2:3], 3
	v_lshlrev_b64 v[6:7], 3, v[2:3]
	s_add_u32 s10, s4, s2
	s_addc_u32 s11, s5, s3
	v_mov_b32_e32 v3, s7
	v_add_co_u32_e64 v12, s[2:3], s6, v6
	v_cmp_gt_i32_e64 s[0:1], s17, v2
	v_addc_co_u32_e64 v13, s[2:3], v3, v7, s[2:3]
	v_mad_i64_i32 v[2:3], s[2:3], s28, v2, 0
	v_cmp_le_i32_e64 s[2:3], v17, v16
	s_and_b64 s[4:5], s[0:1], vcc
	v_lshlrev_b64 v[2:3], 3, v[2:3]
	s_and_b64 s[4:5], s[4:5], s[2:3]
	v_mov_b32_e32 v16, s11
	v_add_co_u32_e64 v2, s[2:3], s10, v2
	v_addc_co_u32_e64 v3, s[2:3], v16, v3, s[2:3]
	v_add_co_u32_e64 v2, s[2:3], v2, v4
	v_addc_co_u32_e64 v3, s[2:3], v3, v5, s[2:3]
	v_mov_b32_e32 v17, s7
	v_add_co_u32_e64 v16, s[2:3], s6, v4
	v_lshlrev_b32_e32 v10, 8, v0
	v_lshlrev_b32_e32 v14, 3, v1
	v_addc_co_u32_e64 v17, s[2:3], v17, v5, s[2:3]
	v_add_u32_e32 v11, v10, v14
	v_or_b32_e32 v14, 0x2000, v14
	v_mov_b32_e32 v4, s14
	v_add_co_u32_e64 v18, s[2:3], s8, v6
	v_add_u32_e32 v15, v14, v10
	v_addc_co_u32_e64 v19, s[2:3], v4, v7, s[2:3]
	v_add_u32_e32 v20, 0x800, v14
	v_add_u32_e32 v21, 0x1000, v14
	;; [unrolled: 1-line block ×3, first 2 shown]
	s_branch .LBB1916_5
.LBB1916_4:                             ;   in Loop: Header=BB1916_5 Depth=1
	s_or_b64 exec, exec, s[2:3]
	s_add_i32 s9, s9, 32
	s_cmp_lt_i32 s9, s18
	s_waitcnt vmcnt(0) lgkmcnt(0)
	s_barrier
	s_cbranch_scc0 .LBB1916_17
.LBB1916_5:                             ; =>This Inner Loop Header: Depth=1
	v_add_u32_e32 v23, s9, v1
	v_cmp_gt_i32_e64 s[2:3], s18, v23
	v_mov_b32_e32 v4, 0
	v_mov_b32_e32 v6, 0
	;; [unrolled: 1-line block ×4, first 2 shown]
	s_and_b64 s[6:7], vcc, s[2:3]
	s_and_saveexec_b64 s[10:11], s[6:7]
	s_cbranch_execz .LBB1916_7
; %bb.6:                                ;   in Loop: Header=BB1916_5 Depth=1
	v_mad_i64_i32 v[6:7], s[2:3], v23, s16, 0
	v_lshlrev_b64 v[6:7], 3, v[6:7]
	v_add_co_u32_e64 v6, s[2:3], v8, v6
	v_addc_co_u32_e64 v7, s[2:3], v9, v7, s[2:3]
	flat_load_dwordx2 v[6:7], v[6:7]
.LBB1916_7:                             ;   in Loop: Header=BB1916_5 Depth=1
	s_or_b64 exec, exec, s[10:11]
	v_add_u32_e32 v24, s9, v0
	v_cmp_gt_i32_e64 s[2:3], s18, v24
	s_and_b64 s[10:11], s[0:1], s[2:3]
	s_waitcnt vmcnt(0) lgkmcnt(0)
	ds_write_b64 v11, v[6:7]
	s_and_saveexec_b64 s[14:15], s[10:11]
	s_cbranch_execz .LBB1916_9
; %bb.8:                                ;   in Loop: Header=BB1916_5 Depth=1
	v_mad_i64_i32 v[4:5], s[2:3], v24, s19, 0
	v_lshlrev_b64 v[4:5], 3, v[4:5]
	v_add_co_u32_e64 v4, s[2:3], v12, v4
	v_addc_co_u32_e64 v5, s[2:3], v13, v5, s[2:3]
	flat_load_dwordx2 v[4:5], v[4:5]
.LBB1916_9:                             ;   in Loop: Header=BB1916_5 Depth=1
	s_or_b64 exec, exec, s[14:15]
	s_waitcnt vmcnt(0) lgkmcnt(0)
	ds_write_b64 v15, v[4:5]
	s_waitcnt lgkmcnt(0)
	s_barrier
	s_and_saveexec_b64 s[2:3], s[4:5]
	s_cbranch_execz .LBB1916_11
; %bb.10:                               ;   in Loop: Header=BB1916_5 Depth=1
	ds_read2_b64 v[4:7], v14 offset1:32
	ds_read_b128 v[25:28], v10
	ds_read_b128 v[29:32], v10 offset:16
	s_waitcnt lgkmcnt(1)
	v_fma_f64 v[4:5], v[25:26], v[4:5], 0
	v_fma_f64 v[25:26], v[27:28], v[6:7], v[4:5]
	ds_read2_b64 v[4:7], v14 offset0:64 offset1:96
	s_waitcnt lgkmcnt(0)
	v_fma_f64 v[4:5], v[29:30], v[4:5], v[25:26]
	v_fma_f64 v[33:34], v[31:32], v[6:7], v[4:5]
	ds_read2_b64 v[4:7], v14 offset0:128 offset1:160
	ds_read_b128 v[25:28], v10 offset:32
	ds_read_b128 v[29:32], v10 offset:48
	s_waitcnt lgkmcnt(1)
	v_fma_f64 v[4:5], v[25:26], v[4:5], v[33:34]
	v_fma_f64 v[25:26], v[27:28], v[6:7], v[4:5]
	ds_read2_b64 v[4:7], v14 offset0:192 offset1:224
	s_waitcnt lgkmcnt(0)
	v_fma_f64 v[4:5], v[29:30], v[4:5], v[25:26]
	v_fma_f64 v[33:34], v[31:32], v[6:7], v[4:5]
	ds_read2_b64 v[4:7], v20 offset1:32
	ds_read_b128 v[25:28], v10 offset:64
	ds_read_b128 v[29:32], v10 offset:80
	s_waitcnt lgkmcnt(1)
	v_fma_f64 v[4:5], v[25:26], v[4:5], v[33:34]
	v_fma_f64 v[25:26], v[27:28], v[6:7], v[4:5]
	ds_read2_b64 v[4:7], v20 offset0:64 offset1:96
	s_waitcnt lgkmcnt(0)
	v_fma_f64 v[4:5], v[29:30], v[4:5], v[25:26]
	v_fma_f64 v[33:34], v[31:32], v[6:7], v[4:5]
	ds_read2_b64 v[4:7], v20 offset0:128 offset1:160
	ds_read_b128 v[25:28], v10 offset:96
	ds_read_b128 v[29:32], v10 offset:112
	s_waitcnt lgkmcnt(1)
	v_fma_f64 v[4:5], v[25:26], v[4:5], v[33:34]
	v_fma_f64 v[25:26], v[27:28], v[6:7], v[4:5]
	ds_read2_b64 v[4:7], v20 offset0:192 offset1:224
	s_waitcnt lgkmcnt(0)
	v_fma_f64 v[4:5], v[29:30], v[4:5], v[25:26]
	v_fma_f64 v[33:34], v[31:32], v[6:7], v[4:5]
	ds_read2_b64 v[4:7], v21 offset1:32
	ds_read_b128 v[25:28], v10 offset:128
	ds_read_b128 v[29:32], v10 offset:144
	s_waitcnt lgkmcnt(1)
	v_fma_f64 v[4:5], v[25:26], v[4:5], v[33:34]
	v_fma_f64 v[25:26], v[27:28], v[6:7], v[4:5]
	ds_read2_b64 v[4:7], v21 offset0:64 offset1:96
	s_waitcnt lgkmcnt(0)
	v_fma_f64 v[4:5], v[29:30], v[4:5], v[25:26]
	v_fma_f64 v[33:34], v[31:32], v[6:7], v[4:5]
	ds_read2_b64 v[4:7], v21 offset0:128 offset1:160
	ds_read_b128 v[25:28], v10 offset:160
	ds_read_b128 v[29:32], v10 offset:176
	s_waitcnt lgkmcnt(1)
	v_fma_f64 v[4:5], v[25:26], v[4:5], v[33:34]
	flat_load_dwordx2 v[33:34], v[2:3]
	v_fma_f64 v[25:26], v[27:28], v[6:7], v[4:5]
	ds_read2_b64 v[4:7], v21 offset0:192 offset1:224
	s_waitcnt lgkmcnt(0)
	v_fma_f64 v[4:5], v[29:30], v[4:5], v[25:26]
	v_fma_f64 v[35:36], v[31:32], v[6:7], v[4:5]
	ds_read2_b64 v[4:7], v22 offset1:32
	ds_read_b128 v[25:28], v10 offset:192
	ds_read_b128 v[29:32], v10 offset:208
	s_waitcnt lgkmcnt(0)
	v_fma_f64 v[4:5], v[25:26], v[4:5], v[35:36]
	v_fma_f64 v[25:26], v[27:28], v[6:7], v[4:5]
	ds_read2_b64 v[4:7], v22 offset0:64 offset1:96
	s_waitcnt lgkmcnt(0)
	v_fma_f64 v[4:5], v[29:30], v[4:5], v[25:26]
	v_fma_f64 v[35:36], v[31:32], v[6:7], v[4:5]
	ds_read2_b64 v[4:7], v22 offset0:128 offset1:160
	ds_read_b128 v[25:28], v10 offset:224
	ds_read_b128 v[29:32], v10 offset:240
	s_waitcnt lgkmcnt(0)
	v_fma_f64 v[4:5], v[25:26], v[4:5], v[35:36]
	v_fma_f64 v[25:26], v[27:28], v[6:7], v[4:5]
	ds_read2_b64 v[4:7], v22 offset0:192 offset1:224
	s_waitcnt lgkmcnt(0)
	v_fma_f64 v[4:5], v[29:30], v[4:5], v[25:26]
	v_fma_f64 v[4:5], v[31:32], v[6:7], v[4:5]
	s_waitcnt vmcnt(0)
	v_fma_f64 v[4:5], s[12:13], v[4:5], v[33:34]
	flat_store_dwordx2 v[2:3], v[4:5]
.LBB1916_11:                            ;   in Loop: Header=BB1916_5 Depth=1
	s_or_b64 exec, exec, s[2:3]
	v_mov_b32_e32 v4, 0
	v_mov_b32_e32 v6, 0
	;; [unrolled: 1-line block ×4, first 2 shown]
	s_waitcnt vmcnt(0) lgkmcnt(0)
	s_barrier
	s_and_saveexec_b64 s[14:15], s[6:7]
	s_cbranch_execz .LBB1916_13
; %bb.12:                               ;   in Loop: Header=BB1916_5 Depth=1
	v_mad_i64_i32 v[6:7], s[2:3], v23, s19, 0
	v_lshlrev_b64 v[6:7], 3, v[6:7]
	v_add_co_u32_e64 v6, s[2:3], v16, v6
	v_addc_co_u32_e64 v7, s[2:3], v17, v7, s[2:3]
	flat_load_dwordx2 v[6:7], v[6:7]
.LBB1916_13:                            ;   in Loop: Header=BB1916_5 Depth=1
	s_or_b64 exec, exec, s[14:15]
	s_waitcnt vmcnt(0) lgkmcnt(0)
	ds_write_b64 v11, v[6:7]
	s_and_saveexec_b64 s[6:7], s[10:11]
	s_cbranch_execz .LBB1916_15
; %bb.14:                               ;   in Loop: Header=BB1916_5 Depth=1
	v_mad_i64_i32 v[4:5], s[2:3], v24, s16, 0
	v_lshlrev_b64 v[4:5], 3, v[4:5]
	v_add_co_u32_e64 v4, s[2:3], v18, v4
	v_addc_co_u32_e64 v5, s[2:3], v19, v5, s[2:3]
	flat_load_dwordx2 v[4:5], v[4:5]
.LBB1916_15:                            ;   in Loop: Header=BB1916_5 Depth=1
	s_or_b64 exec, exec, s[6:7]
	s_waitcnt vmcnt(0) lgkmcnt(0)
	ds_write_b64 v15, v[4:5]
	s_waitcnt lgkmcnt(0)
	s_barrier
	s_and_saveexec_b64 s[2:3], s[4:5]
	s_cbranch_execz .LBB1916_4
; %bb.16:                               ;   in Loop: Header=BB1916_5 Depth=1
	ds_read2_b64 v[4:7], v14 offset1:32
	ds_read_b128 v[23:26], v10
	ds_read_b128 v[27:30], v10 offset:16
	s_waitcnt lgkmcnt(1)
	v_fma_f64 v[4:5], v[23:24], v[4:5], 0
	v_fma_f64 v[23:24], v[25:26], v[6:7], v[4:5]
	ds_read2_b64 v[4:7], v14 offset0:64 offset1:96
	s_waitcnt lgkmcnt(0)
	v_fma_f64 v[4:5], v[27:28], v[4:5], v[23:24]
	v_fma_f64 v[31:32], v[29:30], v[6:7], v[4:5]
	ds_read2_b64 v[4:7], v14 offset0:128 offset1:160
	ds_read_b128 v[23:26], v10 offset:32
	ds_read_b128 v[27:30], v10 offset:48
	s_waitcnt lgkmcnt(1)
	v_fma_f64 v[4:5], v[23:24], v[4:5], v[31:32]
	v_fma_f64 v[23:24], v[25:26], v[6:7], v[4:5]
	ds_read2_b64 v[4:7], v14 offset0:192 offset1:224
	s_waitcnt lgkmcnt(0)
	v_fma_f64 v[4:5], v[27:28], v[4:5], v[23:24]
	v_fma_f64 v[31:32], v[29:30], v[6:7], v[4:5]
	ds_read2_b64 v[4:7], v20 offset1:32
	ds_read_b128 v[23:26], v10 offset:64
	ds_read_b128 v[27:30], v10 offset:80
	s_waitcnt lgkmcnt(1)
	v_fma_f64 v[4:5], v[23:24], v[4:5], v[31:32]
	v_fma_f64 v[23:24], v[25:26], v[6:7], v[4:5]
	ds_read2_b64 v[4:7], v20 offset0:64 offset1:96
	s_waitcnt lgkmcnt(0)
	v_fma_f64 v[4:5], v[27:28], v[4:5], v[23:24]
	v_fma_f64 v[31:32], v[29:30], v[6:7], v[4:5]
	ds_read2_b64 v[4:7], v20 offset0:128 offset1:160
	ds_read_b128 v[23:26], v10 offset:96
	ds_read_b128 v[27:30], v10 offset:112
	s_waitcnt lgkmcnt(1)
	v_fma_f64 v[4:5], v[23:24], v[4:5], v[31:32]
	v_fma_f64 v[23:24], v[25:26], v[6:7], v[4:5]
	ds_read2_b64 v[4:7], v20 offset0:192 offset1:224
	s_waitcnt lgkmcnt(0)
	v_fma_f64 v[4:5], v[27:28], v[4:5], v[23:24]
	v_fma_f64 v[31:32], v[29:30], v[6:7], v[4:5]
	ds_read2_b64 v[4:7], v21 offset1:32
	ds_read_b128 v[23:26], v10 offset:128
	ds_read_b128 v[27:30], v10 offset:144
	s_waitcnt lgkmcnt(1)
	v_fma_f64 v[4:5], v[23:24], v[4:5], v[31:32]
	v_fma_f64 v[23:24], v[25:26], v[6:7], v[4:5]
	ds_read2_b64 v[4:7], v21 offset0:64 offset1:96
	s_waitcnt lgkmcnt(0)
	v_fma_f64 v[4:5], v[27:28], v[4:5], v[23:24]
	v_fma_f64 v[31:32], v[29:30], v[6:7], v[4:5]
	ds_read2_b64 v[4:7], v21 offset0:128 offset1:160
	ds_read_b128 v[23:26], v10 offset:160
	ds_read_b128 v[27:30], v10 offset:176
	s_waitcnt lgkmcnt(1)
	v_fma_f64 v[4:5], v[23:24], v[4:5], v[31:32]
	flat_load_dwordx2 v[31:32], v[2:3]
	v_fma_f64 v[23:24], v[25:26], v[6:7], v[4:5]
	ds_read2_b64 v[4:7], v21 offset0:192 offset1:224
	s_waitcnt lgkmcnt(0)
	v_fma_f64 v[4:5], v[27:28], v[4:5], v[23:24]
	v_fma_f64 v[33:34], v[29:30], v[6:7], v[4:5]
	ds_read2_b64 v[4:7], v22 offset1:32
	ds_read_b128 v[23:26], v10 offset:192
	ds_read_b128 v[27:30], v10 offset:208
	s_waitcnt lgkmcnt(0)
	v_fma_f64 v[4:5], v[23:24], v[4:5], v[33:34]
	v_fma_f64 v[23:24], v[25:26], v[6:7], v[4:5]
	ds_read2_b64 v[4:7], v22 offset0:64 offset1:96
	s_waitcnt lgkmcnt(0)
	v_fma_f64 v[4:5], v[27:28], v[4:5], v[23:24]
	v_fma_f64 v[33:34], v[29:30], v[6:7], v[4:5]
	ds_read2_b64 v[4:7], v22 offset0:128 offset1:160
	ds_read_b128 v[23:26], v10 offset:224
	ds_read_b128 v[27:30], v10 offset:240
	s_waitcnt lgkmcnt(0)
	v_fma_f64 v[4:5], v[23:24], v[4:5], v[33:34]
	v_fma_f64 v[23:24], v[25:26], v[6:7], v[4:5]
	ds_read2_b64 v[4:7], v22 offset0:192 offset1:224
	s_waitcnt lgkmcnt(0)
	v_fma_f64 v[4:5], v[27:28], v[4:5], v[23:24]
	v_fma_f64 v[4:5], v[29:30], v[6:7], v[4:5]
	s_waitcnt vmcnt(0)
	v_fma_f64 v[4:5], s[12:13], v[4:5], v[31:32]
	flat_store_dwordx2 v[2:3], v[4:5]
	s_branch .LBB1916_4
.LBB1916_17:
	s_endpgm
	.section	.rodata,"a",@progbits
	.p2align	6, 0x0
	.amdhsa_kernel _ZL26rocblas_syr2k_her2k_kernelIiLb1ELb0ELb0ELi32EdPKPKdPKPdEvbiT_T4_T5_S7_lS9_S7_lT6_S7_li
		.amdhsa_group_segment_fixed_size 16384
		.amdhsa_private_segment_fixed_size 0
		.amdhsa_kernarg_size 100
		.amdhsa_user_sgpr_count 6
		.amdhsa_user_sgpr_private_segment_buffer 1
		.amdhsa_user_sgpr_dispatch_ptr 0
		.amdhsa_user_sgpr_queue_ptr 0
		.amdhsa_user_sgpr_kernarg_segment_ptr 1
		.amdhsa_user_sgpr_dispatch_id 0
		.amdhsa_user_sgpr_flat_scratch_init 0
		.amdhsa_user_sgpr_private_segment_size 0
		.amdhsa_uses_dynamic_stack 0
		.amdhsa_system_sgpr_private_segment_wavefront_offset 0
		.amdhsa_system_sgpr_workgroup_id_x 1
		.amdhsa_system_sgpr_workgroup_id_y 1
		.amdhsa_system_sgpr_workgroup_id_z 1
		.amdhsa_system_sgpr_workgroup_info 0
		.amdhsa_system_vgpr_workitem_id 1
		.amdhsa_next_free_vgpr 37
		.amdhsa_next_free_sgpr 61
		.amdhsa_reserve_vcc 1
		.amdhsa_reserve_flat_scratch 0
		.amdhsa_float_round_mode_32 0
		.amdhsa_float_round_mode_16_64 0
		.amdhsa_float_denorm_mode_32 3
		.amdhsa_float_denorm_mode_16_64 3
		.amdhsa_dx10_clamp 1
		.amdhsa_ieee_mode 1
		.amdhsa_fp16_overflow 0
		.amdhsa_exception_fp_ieee_invalid_op 0
		.amdhsa_exception_fp_denorm_src 0
		.amdhsa_exception_fp_ieee_div_zero 0
		.amdhsa_exception_fp_ieee_overflow 0
		.amdhsa_exception_fp_ieee_underflow 0
		.amdhsa_exception_fp_ieee_inexact 0
		.amdhsa_exception_int_div_zero 0
	.end_amdhsa_kernel
	.section	.text._ZL26rocblas_syr2k_her2k_kernelIiLb1ELb0ELb0ELi32EdPKPKdPKPdEvbiT_T4_T5_S7_lS9_S7_lT6_S7_li,"axG",@progbits,_ZL26rocblas_syr2k_her2k_kernelIiLb1ELb0ELb0ELi32EdPKPKdPKPdEvbiT_T4_T5_S7_lS9_S7_lT6_S7_li,comdat
.Lfunc_end1916:
	.size	_ZL26rocblas_syr2k_her2k_kernelIiLb1ELb0ELb0ELi32EdPKPKdPKPdEvbiT_T4_T5_S7_lS9_S7_lT6_S7_li, .Lfunc_end1916-_ZL26rocblas_syr2k_her2k_kernelIiLb1ELb0ELb0ELi32EdPKPKdPKPdEvbiT_T4_T5_S7_lS9_S7_lT6_S7_li
                                        ; -- End function
	.set _ZL26rocblas_syr2k_her2k_kernelIiLb1ELb0ELb0ELi32EdPKPKdPKPdEvbiT_T4_T5_S7_lS9_S7_lT6_S7_li.num_vgpr, 37
	.set _ZL26rocblas_syr2k_her2k_kernelIiLb1ELb0ELb0ELi32EdPKPKdPKPdEvbiT_T4_T5_S7_lS9_S7_lT6_S7_li.num_agpr, 0
	.set _ZL26rocblas_syr2k_her2k_kernelIiLb1ELb0ELb0ELi32EdPKPKdPKPdEvbiT_T4_T5_S7_lS9_S7_lT6_S7_li.numbered_sgpr, 29
	.set _ZL26rocblas_syr2k_her2k_kernelIiLb1ELb0ELb0ELi32EdPKPKdPKPdEvbiT_T4_T5_S7_lS9_S7_lT6_S7_li.num_named_barrier, 0
	.set _ZL26rocblas_syr2k_her2k_kernelIiLb1ELb0ELb0ELi32EdPKPKdPKPdEvbiT_T4_T5_S7_lS9_S7_lT6_S7_li.private_seg_size, 0
	.set _ZL26rocblas_syr2k_her2k_kernelIiLb1ELb0ELb0ELi32EdPKPKdPKPdEvbiT_T4_T5_S7_lS9_S7_lT6_S7_li.uses_vcc, 1
	.set _ZL26rocblas_syr2k_her2k_kernelIiLb1ELb0ELb0ELi32EdPKPKdPKPdEvbiT_T4_T5_S7_lS9_S7_lT6_S7_li.uses_flat_scratch, 0
	.set _ZL26rocblas_syr2k_her2k_kernelIiLb1ELb0ELb0ELi32EdPKPKdPKPdEvbiT_T4_T5_S7_lS9_S7_lT6_S7_li.has_dyn_sized_stack, 0
	.set _ZL26rocblas_syr2k_her2k_kernelIiLb1ELb0ELb0ELi32EdPKPKdPKPdEvbiT_T4_T5_S7_lS9_S7_lT6_S7_li.has_recursion, 0
	.set _ZL26rocblas_syr2k_her2k_kernelIiLb1ELb0ELb0ELi32EdPKPKdPKPdEvbiT_T4_T5_S7_lS9_S7_lT6_S7_li.has_indirect_call, 0
	.section	.AMDGPU.csdata,"",@progbits
; Kernel info:
; codeLenInByte = 2092
; TotalNumSgprs: 33
; NumVgprs: 37
; ScratchSize: 0
; MemoryBound: 0
; FloatMode: 240
; IeeeMode: 1
; LDSByteSize: 16384 bytes/workgroup (compile time only)
; SGPRBlocks: 8
; VGPRBlocks: 9
; NumSGPRsForWavesPerEU: 65
; NumVGPRsForWavesPerEU: 37
; Occupancy: 6
; WaveLimiterHint : 1
; COMPUTE_PGM_RSRC2:SCRATCH_EN: 0
; COMPUTE_PGM_RSRC2:USER_SGPR: 6
; COMPUTE_PGM_RSRC2:TRAP_HANDLER: 0
; COMPUTE_PGM_RSRC2:TGID_X_EN: 1
; COMPUTE_PGM_RSRC2:TGID_Y_EN: 1
; COMPUTE_PGM_RSRC2:TGID_Z_EN: 1
; COMPUTE_PGM_RSRC2:TIDIG_COMP_CNT: 1
	.section	.text._ZL26rocblas_syr2k_her2k_kernelIiLb1ELb0ELb1ELi32EdPKPKdPKPdEvbiT_T4_T5_S7_lS9_S7_lT6_S7_li,"axG",@progbits,_ZL26rocblas_syr2k_her2k_kernelIiLb1ELb0ELb1ELi32EdPKPKdPKPdEvbiT_T4_T5_S7_lS9_S7_lT6_S7_li,comdat
	.globl	_ZL26rocblas_syr2k_her2k_kernelIiLb1ELb0ELb1ELi32EdPKPKdPKPdEvbiT_T4_T5_S7_lS9_S7_lT6_S7_li ; -- Begin function _ZL26rocblas_syr2k_her2k_kernelIiLb1ELb0ELb1ELi32EdPKPKdPKPdEvbiT_T4_T5_S7_lS9_S7_lT6_S7_li
	.p2align	8
	.type	_ZL26rocblas_syr2k_her2k_kernelIiLb1ELb0ELb1ELi32EdPKPKdPKPdEvbiT_T4_T5_S7_lS9_S7_lT6_S7_li,@function
_ZL26rocblas_syr2k_her2k_kernelIiLb1ELb0ELb1ELi32EdPKPKdPKPdEvbiT_T4_T5_S7_lS9_S7_lT6_S7_li: ; @_ZL26rocblas_syr2k_her2k_kernelIiLb1ELb0ELb1ELi32EdPKPKdPKPdEvbiT_T4_T5_S7_lS9_S7_lT6_S7_li
; %bb.0:
	s_load_dwordx4 s[12:15], s[4:5], 0x10
	s_waitcnt lgkmcnt(0)
	v_cmp_eq_f64_e64 s[0:1], s[12:13], 0
	s_and_b64 vcc, exec, s[0:1]
	s_cbranch_vccnz .LBB1917_17
; %bb.1:
	s_load_dwordx4 s[16:19], s[4:5], 0x0
	s_lshl_b32 s0, s7, 5
	s_lshl_b32 s1, s6, 5
	s_waitcnt lgkmcnt(0)
	s_and_b32 s2, 1, s16
	s_cmp_eq_u32 s2, 1
	s_cselect_b64 vcc, -1, 0
	s_and_b64 s[2:3], vcc, exec
	s_cselect_b32 s2, s1, s0
	s_cselect_b32 s3, s0, s1
	s_cmp_gt_i32 s2, s3
	s_cbranch_scc1 .LBB1917_17
; %bb.2:
	s_cmp_lt_i32 s18, 1
	s_cbranch_scc1 .LBB1917_17
; %bb.3:
	s_mov_b32 s9, 0
	s_load_dword s16, s[4:5], 0x20
	s_load_dwordx4 s[20:23], s[4:5], 0x28
	s_load_dword s19, s[4:5], 0x38
	s_load_dwordx4 s[24:27], s[4:5], 0x40
	s_load_dword s28, s[4:5], 0x50
	s_load_dwordx2 s[2:3], s[4:5], 0x58
	s_lshl_b64 s[4:5], s[8:9], 3
	s_add_u32 s6, s14, s4
	s_addc_u32 s7, s15, s5
	s_load_dwordx2 s[6:7], s[6:7], 0x0
	v_add_u32_e32 v2, s1, v0
	s_waitcnt lgkmcnt(0)
	s_add_u32 s10, s22, s4
	v_add_u32_e32 v7, s0, v1
	v_mad_i64_i32 v[4:5], s[0:1], s16, v2, 0
	s_addc_u32 s11, s23, s5
	s_add_u32 s4, s26, s4
	s_addc_u32 s5, s27, s5
	s_lshl_b64 s[14:15], s[20:21], 3
	s_add_u32 s8, s6, s14
	v_lshlrev_b64 v[4:5], 3, v[4:5]
	s_load_dwordx2 s[10:11], s[10:11], 0x0
	s_addc_u32 s14, s7, s15
	v_mov_b32_e32 v9, s14
	v_add_co_u32_e64 v12, s[0:1], s8, v4
	s_load_dwordx2 s[4:5], s[4:5], 0x0
	v_addc_co_u32_e64 v13, s[0:1], v9, v5, s[0:1]
	v_mad_i64_i32 v[4:5], s[0:1], s19, v7, 0
	s_lshl_b64 s[6:7], s[24:25], 3
	s_waitcnt lgkmcnt(0)
	s_add_u32 s6, s10, s6
	s_addc_u32 s7, s11, s7
	s_lshl_b64 s[2:3], s[2:3], 3
	v_lshlrev_b64 v[4:5], 3, v[4:5]
	s_add_u32 s10, s4, s2
	s_addc_u32 s11, s5, s3
	v_mov_b32_e32 v10, s7
	v_add_co_u32_e64 v16, s[2:3], s6, v4
	v_addc_co_u32_e64 v17, s[2:3], v10, v5, s[2:3]
	v_mad_i64_i32 v[4:5], s[2:3], s28, v7, 0
	v_cndmask_b32_e32 v6, v2, v7, vcc
	v_cndmask_b32_e32 v8, v7, v2, vcc
	v_cmp_gt_i32_e32 vcc, s17, v2
	v_cmp_gt_i32_e64 s[0:1], s17, v7
	v_lshlrev_b64 v[4:5], 3, v[4:5]
	v_cmp_le_i32_e64 s[2:3], v8, v6
	s_and_b64 s[4:5], s[0:1], vcc
	v_lshlrev_b32_e32 v14, 8, v0
	v_lshlrev_b32_e32 v9, 3, v1
	s_and_b64 s[4:5], s[4:5], s[2:3]
	v_mov_b32_e32 v6, s11
	v_add_co_u32_e64 v8, s[2:3], s10, v4
	v_ashrrev_i32_e32 v3, 31, v2
	v_add_u32_e32 v15, v14, v9
	v_or_b32_e32 v18, 0x2000, v9
	v_addc_co_u32_e64 v9, s[2:3], v6, v5, s[2:3]
	v_mad_i64_i32 v[5:6], s[2:3], s19, v2, 0
	v_lshlrev_b64 v[3:4], 3, v[2:3]
	v_add_u32_e32 v19, v18, v14
	v_add_co_u32_e64 v2, s[2:3], v8, v3
	v_addc_co_u32_e64 v3, s[2:3], v9, v4, s[2:3]
	v_lshlrev_b64 v[4:5], 3, v[5:6]
	v_mad_i64_i32 v[6:7], s[2:3], s16, v7, 0
	v_mov_b32_e32 v8, s7
	v_add_co_u32_e64 v20, s[2:3], s6, v4
	v_addc_co_u32_e64 v21, s[2:3], v8, v5, s[2:3]
	v_lshlrev_b64 v[4:5], 3, v[6:7]
	v_mov_b32_e32 v6, s14
	v_add_co_u32_e64 v22, s[2:3], s8, v4
	v_addc_co_u32_e64 v23, s[2:3], v6, v5, s[2:3]
	v_add_u32_e32 v24, 0x800, v18
	v_add_u32_e32 v25, 0x1000, v18
	;; [unrolled: 1-line block ×3, first 2 shown]
	s_branch .LBB1917_5
.LBB1917_4:                             ;   in Loop: Header=BB1917_5 Depth=1
	s_or_b64 exec, exec, s[2:3]
	s_add_i32 s9, s9, 32
	s_cmp_lt_i32 s9, s18
	s_waitcnt vmcnt(0) lgkmcnt(0)
	s_barrier
	s_cbranch_scc0 .LBB1917_17
.LBB1917_5:                             ; =>This Inner Loop Header: Depth=1
	v_add_u32_e32 v4, s9, v1
	v_cmp_gt_i32_e64 s[2:3], s18, v4
	v_mov_b32_e32 v8, 0
	v_mov_b32_e32 v6, 0
	s_and_b64 s[6:7], vcc, s[2:3]
	v_mov_b32_e32 v9, 0
	v_mov_b32_e32 v7, 0
	v_ashrrev_i32_e32 v5, 31, v4
	s_and_saveexec_b64 s[10:11], s[6:7]
	s_cbranch_execz .LBB1917_7
; %bb.6:                                ;   in Loop: Header=BB1917_5 Depth=1
	v_lshlrev_b64 v[6:7], 3, v[4:5]
	v_add_co_u32_e64 v6, s[2:3], v12, v6
	v_addc_co_u32_e64 v7, s[2:3], v13, v7, s[2:3]
	flat_load_dwordx2 v[6:7], v[6:7]
.LBB1917_7:                             ;   in Loop: Header=BB1917_5 Depth=1
	s_or_b64 exec, exec, s[10:11]
	s_waitcnt vmcnt(0) lgkmcnt(0)
	ds_write_b64 v15, v[6:7]
	v_add_u32_e32 v6, s9, v0
	v_cmp_gt_i32_e64 s[2:3], s18, v6
	s_and_b64 s[10:11], s[0:1], s[2:3]
	v_ashrrev_i32_e32 v7, 31, v6
	s_and_saveexec_b64 s[14:15], s[10:11]
	s_cbranch_execz .LBB1917_9
; %bb.8:                                ;   in Loop: Header=BB1917_5 Depth=1
	v_lshlrev_b64 v[8:9], 3, v[6:7]
	v_add_co_u32_e64 v8, s[2:3], v16, v8
	v_addc_co_u32_e64 v9, s[2:3], v17, v9, s[2:3]
	flat_load_dwordx2 v[8:9], v[8:9]
.LBB1917_9:                             ;   in Loop: Header=BB1917_5 Depth=1
	s_or_b64 exec, exec, s[14:15]
	s_waitcnt vmcnt(0) lgkmcnt(0)
	ds_write_b64 v19, v[8:9]
	s_waitcnt lgkmcnt(0)
	s_barrier
	s_and_saveexec_b64 s[2:3], s[4:5]
	s_cbranch_execz .LBB1917_11
; %bb.10:                               ;   in Loop: Header=BB1917_5 Depth=1
	ds_read2_b64 v[8:11], v18 offset1:32
	ds_read_b128 v[27:30], v14
	ds_read_b128 v[31:34], v14 offset:16
	s_waitcnt lgkmcnt(1)
	v_fma_f64 v[8:9], v[27:28], v[8:9], 0
	v_fma_f64 v[27:28], v[29:30], v[10:11], v[8:9]
	ds_read2_b64 v[8:11], v18 offset0:64 offset1:96
	s_waitcnt lgkmcnt(0)
	v_fma_f64 v[8:9], v[31:32], v[8:9], v[27:28]
	v_fma_f64 v[35:36], v[33:34], v[10:11], v[8:9]
	ds_read2_b64 v[8:11], v18 offset0:128 offset1:160
	ds_read_b128 v[27:30], v14 offset:32
	ds_read_b128 v[31:34], v14 offset:48
	s_waitcnt lgkmcnt(1)
	v_fma_f64 v[8:9], v[27:28], v[8:9], v[35:36]
	v_fma_f64 v[27:28], v[29:30], v[10:11], v[8:9]
	ds_read2_b64 v[8:11], v18 offset0:192 offset1:224
	s_waitcnt lgkmcnt(0)
	v_fma_f64 v[8:9], v[31:32], v[8:9], v[27:28]
	v_fma_f64 v[35:36], v[33:34], v[10:11], v[8:9]
	ds_read2_b64 v[8:11], v24 offset1:32
	ds_read_b128 v[27:30], v14 offset:64
	ds_read_b128 v[31:34], v14 offset:80
	s_waitcnt lgkmcnt(1)
	v_fma_f64 v[8:9], v[27:28], v[8:9], v[35:36]
	v_fma_f64 v[27:28], v[29:30], v[10:11], v[8:9]
	ds_read2_b64 v[8:11], v24 offset0:64 offset1:96
	s_waitcnt lgkmcnt(0)
	v_fma_f64 v[8:9], v[31:32], v[8:9], v[27:28]
	v_fma_f64 v[35:36], v[33:34], v[10:11], v[8:9]
	ds_read2_b64 v[8:11], v24 offset0:128 offset1:160
	ds_read_b128 v[27:30], v14 offset:96
	ds_read_b128 v[31:34], v14 offset:112
	s_waitcnt lgkmcnt(1)
	v_fma_f64 v[8:9], v[27:28], v[8:9], v[35:36]
	v_fma_f64 v[27:28], v[29:30], v[10:11], v[8:9]
	ds_read2_b64 v[8:11], v24 offset0:192 offset1:224
	s_waitcnt lgkmcnt(0)
	v_fma_f64 v[8:9], v[31:32], v[8:9], v[27:28]
	v_fma_f64 v[35:36], v[33:34], v[10:11], v[8:9]
	ds_read2_b64 v[8:11], v25 offset1:32
	ds_read_b128 v[27:30], v14 offset:128
	ds_read_b128 v[31:34], v14 offset:144
	s_waitcnt lgkmcnt(1)
	v_fma_f64 v[8:9], v[27:28], v[8:9], v[35:36]
	v_fma_f64 v[27:28], v[29:30], v[10:11], v[8:9]
	ds_read2_b64 v[8:11], v25 offset0:64 offset1:96
	s_waitcnt lgkmcnt(0)
	v_fma_f64 v[8:9], v[31:32], v[8:9], v[27:28]
	v_fma_f64 v[35:36], v[33:34], v[10:11], v[8:9]
	ds_read2_b64 v[8:11], v25 offset0:128 offset1:160
	ds_read_b128 v[27:30], v14 offset:160
	ds_read_b128 v[31:34], v14 offset:176
	s_waitcnt lgkmcnt(1)
	v_fma_f64 v[8:9], v[27:28], v[8:9], v[35:36]
	flat_load_dwordx2 v[35:36], v[2:3]
	v_fma_f64 v[27:28], v[29:30], v[10:11], v[8:9]
	ds_read2_b64 v[8:11], v25 offset0:192 offset1:224
	s_waitcnt lgkmcnt(0)
	v_fma_f64 v[8:9], v[31:32], v[8:9], v[27:28]
	v_fma_f64 v[37:38], v[33:34], v[10:11], v[8:9]
	ds_read2_b64 v[8:11], v26 offset1:32
	ds_read_b128 v[27:30], v14 offset:192
	ds_read_b128 v[31:34], v14 offset:208
	s_waitcnt lgkmcnt(0)
	v_fma_f64 v[8:9], v[27:28], v[8:9], v[37:38]
	v_fma_f64 v[27:28], v[29:30], v[10:11], v[8:9]
	ds_read2_b64 v[8:11], v26 offset0:64 offset1:96
	s_waitcnt lgkmcnt(0)
	v_fma_f64 v[8:9], v[31:32], v[8:9], v[27:28]
	v_fma_f64 v[37:38], v[33:34], v[10:11], v[8:9]
	ds_read2_b64 v[8:11], v26 offset0:128 offset1:160
	ds_read_b128 v[27:30], v14 offset:224
	ds_read_b128 v[31:34], v14 offset:240
	s_waitcnt lgkmcnt(0)
	v_fma_f64 v[8:9], v[27:28], v[8:9], v[37:38]
	v_fma_f64 v[27:28], v[29:30], v[10:11], v[8:9]
	ds_read2_b64 v[8:11], v26 offset0:192 offset1:224
	s_waitcnt lgkmcnt(0)
	v_fma_f64 v[8:9], v[31:32], v[8:9], v[27:28]
	v_fma_f64 v[8:9], v[33:34], v[10:11], v[8:9]
	s_waitcnt vmcnt(0)
	v_fma_f64 v[8:9], s[12:13], v[8:9], v[35:36]
	flat_store_dwordx2 v[2:3], v[8:9]
.LBB1917_11:                            ;   in Loop: Header=BB1917_5 Depth=1
	s_or_b64 exec, exec, s[2:3]
	v_mov_b32_e32 v8, 0
	v_mov_b32_e32 v10, 0
	;; [unrolled: 1-line block ×4, first 2 shown]
	s_waitcnt vmcnt(0) lgkmcnt(0)
	s_barrier
	s_and_saveexec_b64 s[14:15], s[6:7]
	s_cbranch_execz .LBB1917_13
; %bb.12:                               ;   in Loop: Header=BB1917_5 Depth=1
	v_lshlrev_b64 v[4:5], 3, v[4:5]
	v_add_co_u32_e64 v4, s[2:3], v20, v4
	v_addc_co_u32_e64 v5, s[2:3], v21, v5, s[2:3]
	flat_load_dwordx2 v[10:11], v[4:5]
.LBB1917_13:                            ;   in Loop: Header=BB1917_5 Depth=1
	s_or_b64 exec, exec, s[14:15]
	s_waitcnt vmcnt(0) lgkmcnt(0)
	ds_write_b64 v15, v[10:11]
	s_and_saveexec_b64 s[6:7], s[10:11]
	s_cbranch_execz .LBB1917_15
; %bb.14:                               ;   in Loop: Header=BB1917_5 Depth=1
	v_lshlrev_b64 v[4:5], 3, v[6:7]
	v_add_co_u32_e64 v4, s[2:3], v22, v4
	v_addc_co_u32_e64 v5, s[2:3], v23, v5, s[2:3]
	flat_load_dwordx2 v[8:9], v[4:5]
.LBB1917_15:                            ;   in Loop: Header=BB1917_5 Depth=1
	s_or_b64 exec, exec, s[6:7]
	s_waitcnt vmcnt(0) lgkmcnt(0)
	ds_write_b64 v19, v[8:9]
	s_waitcnt lgkmcnt(0)
	s_barrier
	s_and_saveexec_b64 s[2:3], s[4:5]
	s_cbranch_execz .LBB1917_4
; %bb.16:                               ;   in Loop: Header=BB1917_5 Depth=1
	ds_read2_b64 v[4:7], v18 offset1:32
	ds_read_b128 v[8:11], v14
	ds_read_b128 v[27:30], v14 offset:16
	s_waitcnt lgkmcnt(1)
	v_fma_f64 v[4:5], v[8:9], v[4:5], 0
	v_fma_f64 v[8:9], v[10:11], v[6:7], v[4:5]
	ds_read2_b64 v[4:7], v18 offset0:64 offset1:96
	s_waitcnt lgkmcnt(0)
	v_fma_f64 v[4:5], v[27:28], v[4:5], v[8:9]
	v_fma_f64 v[31:32], v[29:30], v[6:7], v[4:5]
	ds_read2_b64 v[4:7], v18 offset0:128 offset1:160
	ds_read_b128 v[8:11], v14 offset:32
	ds_read_b128 v[27:30], v14 offset:48
	s_waitcnt lgkmcnt(1)
	v_fma_f64 v[4:5], v[8:9], v[4:5], v[31:32]
	v_fma_f64 v[8:9], v[10:11], v[6:7], v[4:5]
	ds_read2_b64 v[4:7], v18 offset0:192 offset1:224
	s_waitcnt lgkmcnt(0)
	v_fma_f64 v[4:5], v[27:28], v[4:5], v[8:9]
	v_fma_f64 v[31:32], v[29:30], v[6:7], v[4:5]
	ds_read2_b64 v[4:7], v24 offset1:32
	ds_read_b128 v[8:11], v14 offset:64
	ds_read_b128 v[27:30], v14 offset:80
	s_waitcnt lgkmcnt(1)
	v_fma_f64 v[4:5], v[8:9], v[4:5], v[31:32]
	v_fma_f64 v[8:9], v[10:11], v[6:7], v[4:5]
	ds_read2_b64 v[4:7], v24 offset0:64 offset1:96
	s_waitcnt lgkmcnt(0)
	v_fma_f64 v[4:5], v[27:28], v[4:5], v[8:9]
	v_fma_f64 v[31:32], v[29:30], v[6:7], v[4:5]
	ds_read2_b64 v[4:7], v24 offset0:128 offset1:160
	ds_read_b128 v[8:11], v14 offset:96
	ds_read_b128 v[27:30], v14 offset:112
	s_waitcnt lgkmcnt(1)
	v_fma_f64 v[4:5], v[8:9], v[4:5], v[31:32]
	v_fma_f64 v[8:9], v[10:11], v[6:7], v[4:5]
	ds_read2_b64 v[4:7], v24 offset0:192 offset1:224
	s_waitcnt lgkmcnt(0)
	v_fma_f64 v[4:5], v[27:28], v[4:5], v[8:9]
	v_fma_f64 v[31:32], v[29:30], v[6:7], v[4:5]
	ds_read2_b64 v[4:7], v25 offset1:32
	ds_read_b128 v[8:11], v14 offset:128
	ds_read_b128 v[27:30], v14 offset:144
	s_waitcnt lgkmcnt(1)
	v_fma_f64 v[4:5], v[8:9], v[4:5], v[31:32]
	v_fma_f64 v[8:9], v[10:11], v[6:7], v[4:5]
	ds_read2_b64 v[4:7], v25 offset0:64 offset1:96
	s_waitcnt lgkmcnt(0)
	v_fma_f64 v[4:5], v[27:28], v[4:5], v[8:9]
	v_fma_f64 v[31:32], v[29:30], v[6:7], v[4:5]
	ds_read2_b64 v[4:7], v25 offset0:128 offset1:160
	ds_read_b128 v[8:11], v14 offset:160
	ds_read_b128 v[27:30], v14 offset:176
	s_waitcnt lgkmcnt(1)
	v_fma_f64 v[4:5], v[8:9], v[4:5], v[31:32]
	flat_load_dwordx2 v[31:32], v[2:3]
	v_fma_f64 v[8:9], v[10:11], v[6:7], v[4:5]
	ds_read2_b64 v[4:7], v25 offset0:192 offset1:224
	s_waitcnt lgkmcnt(0)
	v_fma_f64 v[4:5], v[27:28], v[4:5], v[8:9]
	v_fma_f64 v[33:34], v[29:30], v[6:7], v[4:5]
	ds_read2_b64 v[4:7], v26 offset1:32
	ds_read_b128 v[8:11], v14 offset:192
	ds_read_b128 v[27:30], v14 offset:208
	s_waitcnt lgkmcnt(0)
	v_fma_f64 v[4:5], v[8:9], v[4:5], v[33:34]
	v_fma_f64 v[8:9], v[10:11], v[6:7], v[4:5]
	ds_read2_b64 v[4:7], v26 offset0:64 offset1:96
	s_waitcnt lgkmcnt(0)
	v_fma_f64 v[4:5], v[27:28], v[4:5], v[8:9]
	v_fma_f64 v[33:34], v[29:30], v[6:7], v[4:5]
	ds_read2_b64 v[4:7], v26 offset0:128 offset1:160
	ds_read_b128 v[8:11], v14 offset:224
	ds_read_b128 v[27:30], v14 offset:240
	s_waitcnt lgkmcnt(0)
	v_fma_f64 v[4:5], v[8:9], v[4:5], v[33:34]
	v_fma_f64 v[8:9], v[10:11], v[6:7], v[4:5]
	ds_read2_b64 v[4:7], v26 offset0:192 offset1:224
	s_waitcnt lgkmcnt(0)
	v_fma_f64 v[4:5], v[27:28], v[4:5], v[8:9]
	v_fma_f64 v[4:5], v[29:30], v[6:7], v[4:5]
	s_waitcnt vmcnt(0)
	v_fma_f64 v[4:5], s[12:13], v[4:5], v[31:32]
	flat_store_dwordx2 v[2:3], v[4:5]
	s_branch .LBB1917_4
.LBB1917_17:
	s_endpgm
	.section	.rodata,"a",@progbits
	.p2align	6, 0x0
	.amdhsa_kernel _ZL26rocblas_syr2k_her2k_kernelIiLb1ELb0ELb1ELi32EdPKPKdPKPdEvbiT_T4_T5_S7_lS9_S7_lT6_S7_li
		.amdhsa_group_segment_fixed_size 16384
		.amdhsa_private_segment_fixed_size 0
		.amdhsa_kernarg_size 100
		.amdhsa_user_sgpr_count 6
		.amdhsa_user_sgpr_private_segment_buffer 1
		.amdhsa_user_sgpr_dispatch_ptr 0
		.amdhsa_user_sgpr_queue_ptr 0
		.amdhsa_user_sgpr_kernarg_segment_ptr 1
		.amdhsa_user_sgpr_dispatch_id 0
		.amdhsa_user_sgpr_flat_scratch_init 0
		.amdhsa_user_sgpr_private_segment_size 0
		.amdhsa_uses_dynamic_stack 0
		.amdhsa_system_sgpr_private_segment_wavefront_offset 0
		.amdhsa_system_sgpr_workgroup_id_x 1
		.amdhsa_system_sgpr_workgroup_id_y 1
		.amdhsa_system_sgpr_workgroup_id_z 1
		.amdhsa_system_sgpr_workgroup_info 0
		.amdhsa_system_vgpr_workitem_id 1
		.amdhsa_next_free_vgpr 39
		.amdhsa_next_free_sgpr 61
		.amdhsa_reserve_vcc 1
		.amdhsa_reserve_flat_scratch 0
		.amdhsa_float_round_mode_32 0
		.amdhsa_float_round_mode_16_64 0
		.amdhsa_float_denorm_mode_32 3
		.amdhsa_float_denorm_mode_16_64 3
		.amdhsa_dx10_clamp 1
		.amdhsa_ieee_mode 1
		.amdhsa_fp16_overflow 0
		.amdhsa_exception_fp_ieee_invalid_op 0
		.amdhsa_exception_fp_denorm_src 0
		.amdhsa_exception_fp_ieee_div_zero 0
		.amdhsa_exception_fp_ieee_overflow 0
		.amdhsa_exception_fp_ieee_underflow 0
		.amdhsa_exception_fp_ieee_inexact 0
		.amdhsa_exception_int_div_zero 0
	.end_amdhsa_kernel
	.section	.text._ZL26rocblas_syr2k_her2k_kernelIiLb1ELb0ELb1ELi32EdPKPKdPKPdEvbiT_T4_T5_S7_lS9_S7_lT6_S7_li,"axG",@progbits,_ZL26rocblas_syr2k_her2k_kernelIiLb1ELb0ELb1ELi32EdPKPKdPKPdEvbiT_T4_T5_S7_lS9_S7_lT6_S7_li,comdat
.Lfunc_end1917:
	.size	_ZL26rocblas_syr2k_her2k_kernelIiLb1ELb0ELb1ELi32EdPKPKdPKPdEvbiT_T4_T5_S7_lS9_S7_lT6_S7_li, .Lfunc_end1917-_ZL26rocblas_syr2k_her2k_kernelIiLb1ELb0ELb1ELi32EdPKPKdPKPdEvbiT_T4_T5_S7_lS9_S7_lT6_S7_li
                                        ; -- End function
	.set _ZL26rocblas_syr2k_her2k_kernelIiLb1ELb0ELb1ELi32EdPKPKdPKPdEvbiT_T4_T5_S7_lS9_S7_lT6_S7_li.num_vgpr, 39
	.set _ZL26rocblas_syr2k_her2k_kernelIiLb1ELb0ELb1ELi32EdPKPKdPKPdEvbiT_T4_T5_S7_lS9_S7_lT6_S7_li.num_agpr, 0
	.set _ZL26rocblas_syr2k_her2k_kernelIiLb1ELb0ELb1ELi32EdPKPKdPKPdEvbiT_T4_T5_S7_lS9_S7_lT6_S7_li.numbered_sgpr, 29
	.set _ZL26rocblas_syr2k_her2k_kernelIiLb1ELb0ELb1ELi32EdPKPKdPKPdEvbiT_T4_T5_S7_lS9_S7_lT6_S7_li.num_named_barrier, 0
	.set _ZL26rocblas_syr2k_her2k_kernelIiLb1ELb0ELb1ELi32EdPKPKdPKPdEvbiT_T4_T5_S7_lS9_S7_lT6_S7_li.private_seg_size, 0
	.set _ZL26rocblas_syr2k_her2k_kernelIiLb1ELb0ELb1ELi32EdPKPKdPKPdEvbiT_T4_T5_S7_lS9_S7_lT6_S7_li.uses_vcc, 1
	.set _ZL26rocblas_syr2k_her2k_kernelIiLb1ELb0ELb1ELi32EdPKPKdPKPdEvbiT_T4_T5_S7_lS9_S7_lT6_S7_li.uses_flat_scratch, 0
	.set _ZL26rocblas_syr2k_her2k_kernelIiLb1ELb0ELb1ELi32EdPKPKdPKPdEvbiT_T4_T5_S7_lS9_S7_lT6_S7_li.has_dyn_sized_stack, 0
	.set _ZL26rocblas_syr2k_her2k_kernelIiLb1ELb0ELb1ELi32EdPKPKdPKPdEvbiT_T4_T5_S7_lS9_S7_lT6_S7_li.has_recursion, 0
	.set _ZL26rocblas_syr2k_her2k_kernelIiLb1ELb0ELb1ELi32EdPKPKdPKPdEvbiT_T4_T5_S7_lS9_S7_lT6_S7_li.has_indirect_call, 0
	.section	.AMDGPU.csdata,"",@progbits
; Kernel info:
; codeLenInByte = 2120
; TotalNumSgprs: 33
; NumVgprs: 39
; ScratchSize: 0
; MemoryBound: 0
; FloatMode: 240
; IeeeMode: 1
; LDSByteSize: 16384 bytes/workgroup (compile time only)
; SGPRBlocks: 8
; VGPRBlocks: 9
; NumSGPRsForWavesPerEU: 65
; NumVGPRsForWavesPerEU: 39
; Occupancy: 6
; WaveLimiterHint : 1
; COMPUTE_PGM_RSRC2:SCRATCH_EN: 0
; COMPUTE_PGM_RSRC2:USER_SGPR: 6
; COMPUTE_PGM_RSRC2:TRAP_HANDLER: 0
; COMPUTE_PGM_RSRC2:TGID_X_EN: 1
; COMPUTE_PGM_RSRC2:TGID_Y_EN: 1
; COMPUTE_PGM_RSRC2:TGID_Z_EN: 1
; COMPUTE_PGM_RSRC2:TIDIG_COMP_CNT: 1
	.section	.text._ZL26rocblas_syr2k_her2k_kernelIiLb1ELb0ELb0ELi32EPKdPKS1_PKPdEvbiT_T4_T5_S7_lS9_S7_lT6_S7_li,"axG",@progbits,_ZL26rocblas_syr2k_her2k_kernelIiLb1ELb0ELb0ELi32EPKdPKS1_PKPdEvbiT_T4_T5_S7_lS9_S7_lT6_S7_li,comdat
	.globl	_ZL26rocblas_syr2k_her2k_kernelIiLb1ELb0ELb0ELi32EPKdPKS1_PKPdEvbiT_T4_T5_S7_lS9_S7_lT6_S7_li ; -- Begin function _ZL26rocblas_syr2k_her2k_kernelIiLb1ELb0ELb0ELi32EPKdPKS1_PKPdEvbiT_T4_T5_S7_lS9_S7_lT6_S7_li
	.p2align	8
	.type	_ZL26rocblas_syr2k_her2k_kernelIiLb1ELb0ELb0ELi32EPKdPKS1_PKPdEvbiT_T4_T5_S7_lS9_S7_lT6_S7_li,@function
_ZL26rocblas_syr2k_her2k_kernelIiLb1ELb0ELb0ELi32EPKdPKS1_PKPdEvbiT_T4_T5_S7_lS9_S7_lT6_S7_li: ; @_ZL26rocblas_syr2k_her2k_kernelIiLb1ELb0ELb0ELi32EPKdPKS1_PKPdEvbiT_T4_T5_S7_lS9_S7_lT6_S7_li
; %bb.0:
	s_load_dwordx4 s[0:3], s[4:5], 0x10
	s_waitcnt lgkmcnt(0)
	s_load_dwordx2 s[10:11], s[0:1], 0x0
	s_waitcnt lgkmcnt(0)
	v_cmp_eq_f64_e64 s[0:1], s[10:11], 0
	s_and_b64 vcc, exec, s[0:1]
	s_cbranch_vccnz .LBB1918_17
; %bb.1:
	s_load_dwordx4 s[12:15], s[4:5], 0x0
	s_lshl_b32 s0, s7, 5
	s_lshl_b32 s1, s6, 5
	s_waitcnt lgkmcnt(0)
	s_and_b32 s6, 1, s12
	s_cmp_eq_u32 s6, 1
	s_cselect_b64 vcc, -1, 0
	s_and_b64 s[6:7], vcc, exec
	s_cselect_b32 s6, s1, s0
	s_cselect_b32 s7, s0, s1
	s_cmp_gt_i32 s6, s7
	s_cbranch_scc1 .LBB1918_17
; %bb.2:
	s_cmp_lt_i32 s14, 1
	s_cbranch_scc1 .LBB1918_17
; %bb.3:
	s_mov_b32 s9, 0
	s_load_dword s15, s[4:5], 0x20
	s_load_dwordx4 s[20:23], s[4:5], 0x28
	s_load_dword s18, s[4:5], 0x38
	s_load_dwordx4 s[24:27], s[4:5], 0x40
	s_load_dword s12, s[4:5], 0x50
	s_load_dwordx2 s[6:7], s[4:5], 0x58
	s_lshl_b64 s[4:5], s[8:9], 3
	s_add_u32 s2, s2, s4
	s_addc_u32 s3, s3, s5
	s_load_dwordx2 s[2:3], s[2:3], 0x0
	s_waitcnt lgkmcnt(0)
	s_add_u32 s16, s22, s4
	s_addc_u32 s17, s23, s5
	s_load_dwordx2 s[16:17], s[16:17], 0x0
	s_add_u32 s4, s26, s4
	v_add_u32_e32 v3, s1, v0
	s_addc_u32 s5, s27, s5
	s_lshl_b64 s[20:21], s[20:21], 3
	v_ashrrev_i32_e32 v4, 31, v3
	s_load_dwordx2 s[4:5], s[4:5], 0x0
	s_add_u32 s8, s2, s20
	v_lshlrev_b64 v[4:5], 3, v[3:4]
	s_addc_u32 s19, s3, s21
	v_add_u32_e32 v2, s0, v1
	s_lshl_b64 s[2:3], s[24:25], 3
	v_cndmask_b32_e32 v16, v3, v2, vcc
	v_cndmask_b32_e32 v17, v2, v3, vcc
	v_cmp_gt_i32_e32 vcc, s13, v3
	v_mov_b32_e32 v3, s19
	v_add_co_u32_e64 v8, s[0:1], s8, v4
	s_waitcnt lgkmcnt(0)
	s_add_u32 s16, s16, s2
	v_addc_co_u32_e64 v9, s[0:1], v3, v5, s[0:1]
	v_ashrrev_i32_e32 v3, 31, v2
	s_addc_u32 s17, s17, s3
	s_lshl_b64 s[2:3], s[6:7], 3
	v_lshlrev_b64 v[6:7], 3, v[2:3]
	s_add_u32 s6, s4, s2
	s_addc_u32 s7, s5, s3
	v_mov_b32_e32 v3, s17
	v_add_co_u32_e64 v12, s[2:3], s16, v6
	v_cmp_gt_i32_e64 s[0:1], s13, v2
	v_addc_co_u32_e64 v13, s[2:3], v3, v7, s[2:3]
	v_mad_i64_i32 v[2:3], s[2:3], s12, v2, 0
	v_cmp_le_i32_e64 s[2:3], v17, v16
	s_and_b64 s[4:5], s[0:1], vcc
	v_lshlrev_b64 v[2:3], 3, v[2:3]
	s_and_b64 s[4:5], s[4:5], s[2:3]
	v_mov_b32_e32 v16, s7
	v_add_co_u32_e64 v2, s[2:3], s6, v2
	v_addc_co_u32_e64 v3, s[2:3], v16, v3, s[2:3]
	v_add_co_u32_e64 v2, s[2:3], v2, v4
	v_addc_co_u32_e64 v3, s[2:3], v3, v5, s[2:3]
	v_mov_b32_e32 v17, s17
	v_add_co_u32_e64 v16, s[2:3], s16, v4
	v_lshlrev_b32_e32 v10, 8, v0
	v_lshlrev_b32_e32 v14, 3, v1
	v_addc_co_u32_e64 v17, s[2:3], v17, v5, s[2:3]
	v_add_u32_e32 v11, v10, v14
	v_or_b32_e32 v14, 0x2000, v14
	v_mov_b32_e32 v4, s19
	v_add_co_u32_e64 v18, s[2:3], s8, v6
	v_add_u32_e32 v15, v14, v10
	v_addc_co_u32_e64 v19, s[2:3], v4, v7, s[2:3]
	v_add_u32_e32 v20, 0x800, v14
	v_add_u32_e32 v21, 0x1000, v14
	;; [unrolled: 1-line block ×3, first 2 shown]
	s_branch .LBB1918_5
.LBB1918_4:                             ;   in Loop: Header=BB1918_5 Depth=1
	s_or_b64 exec, exec, s[2:3]
	s_add_i32 s9, s9, 32
	s_cmp_lt_i32 s9, s14
	s_waitcnt vmcnt(0) lgkmcnt(0)
	s_barrier
	s_cbranch_scc0 .LBB1918_17
.LBB1918_5:                             ; =>This Inner Loop Header: Depth=1
	v_add_u32_e32 v23, s9, v1
	v_cmp_gt_i32_e64 s[2:3], s14, v23
	v_mov_b32_e32 v4, 0
	v_mov_b32_e32 v6, 0
	;; [unrolled: 1-line block ×4, first 2 shown]
	s_and_b64 s[6:7], vcc, s[2:3]
	s_and_saveexec_b64 s[12:13], s[6:7]
	s_cbranch_execz .LBB1918_7
; %bb.6:                                ;   in Loop: Header=BB1918_5 Depth=1
	v_mad_i64_i32 v[6:7], s[2:3], v23, s15, 0
	v_lshlrev_b64 v[6:7], 3, v[6:7]
	v_add_co_u32_e64 v6, s[2:3], v8, v6
	v_addc_co_u32_e64 v7, s[2:3], v9, v7, s[2:3]
	flat_load_dwordx2 v[6:7], v[6:7]
.LBB1918_7:                             ;   in Loop: Header=BB1918_5 Depth=1
	s_or_b64 exec, exec, s[12:13]
	v_add_u32_e32 v24, s9, v0
	v_cmp_gt_i32_e64 s[2:3], s14, v24
	s_and_b64 s[12:13], s[0:1], s[2:3]
	s_waitcnt vmcnt(0) lgkmcnt(0)
	ds_write_b64 v11, v[6:7]
	s_and_saveexec_b64 s[16:17], s[12:13]
	s_cbranch_execz .LBB1918_9
; %bb.8:                                ;   in Loop: Header=BB1918_5 Depth=1
	v_mad_i64_i32 v[4:5], s[2:3], v24, s18, 0
	v_lshlrev_b64 v[4:5], 3, v[4:5]
	v_add_co_u32_e64 v4, s[2:3], v12, v4
	v_addc_co_u32_e64 v5, s[2:3], v13, v5, s[2:3]
	flat_load_dwordx2 v[4:5], v[4:5]
.LBB1918_9:                             ;   in Loop: Header=BB1918_5 Depth=1
	s_or_b64 exec, exec, s[16:17]
	s_waitcnt vmcnt(0) lgkmcnt(0)
	ds_write_b64 v15, v[4:5]
	s_waitcnt lgkmcnt(0)
	s_barrier
	s_and_saveexec_b64 s[2:3], s[4:5]
	s_cbranch_execz .LBB1918_11
; %bb.10:                               ;   in Loop: Header=BB1918_5 Depth=1
	ds_read2_b64 v[4:7], v14 offset1:32
	ds_read_b128 v[25:28], v10
	ds_read_b128 v[29:32], v10 offset:16
	s_waitcnt lgkmcnt(1)
	v_fma_f64 v[4:5], v[25:26], v[4:5], 0
	v_fma_f64 v[25:26], v[27:28], v[6:7], v[4:5]
	ds_read2_b64 v[4:7], v14 offset0:64 offset1:96
	s_waitcnt lgkmcnt(0)
	v_fma_f64 v[4:5], v[29:30], v[4:5], v[25:26]
	v_fma_f64 v[33:34], v[31:32], v[6:7], v[4:5]
	ds_read2_b64 v[4:7], v14 offset0:128 offset1:160
	ds_read_b128 v[25:28], v10 offset:32
	ds_read_b128 v[29:32], v10 offset:48
	s_waitcnt lgkmcnt(1)
	v_fma_f64 v[4:5], v[25:26], v[4:5], v[33:34]
	v_fma_f64 v[25:26], v[27:28], v[6:7], v[4:5]
	ds_read2_b64 v[4:7], v14 offset0:192 offset1:224
	s_waitcnt lgkmcnt(0)
	v_fma_f64 v[4:5], v[29:30], v[4:5], v[25:26]
	v_fma_f64 v[33:34], v[31:32], v[6:7], v[4:5]
	ds_read2_b64 v[4:7], v20 offset1:32
	ds_read_b128 v[25:28], v10 offset:64
	ds_read_b128 v[29:32], v10 offset:80
	s_waitcnt lgkmcnt(1)
	v_fma_f64 v[4:5], v[25:26], v[4:5], v[33:34]
	v_fma_f64 v[25:26], v[27:28], v[6:7], v[4:5]
	ds_read2_b64 v[4:7], v20 offset0:64 offset1:96
	s_waitcnt lgkmcnt(0)
	v_fma_f64 v[4:5], v[29:30], v[4:5], v[25:26]
	v_fma_f64 v[33:34], v[31:32], v[6:7], v[4:5]
	ds_read2_b64 v[4:7], v20 offset0:128 offset1:160
	ds_read_b128 v[25:28], v10 offset:96
	ds_read_b128 v[29:32], v10 offset:112
	s_waitcnt lgkmcnt(1)
	v_fma_f64 v[4:5], v[25:26], v[4:5], v[33:34]
	v_fma_f64 v[25:26], v[27:28], v[6:7], v[4:5]
	ds_read2_b64 v[4:7], v20 offset0:192 offset1:224
	s_waitcnt lgkmcnt(0)
	v_fma_f64 v[4:5], v[29:30], v[4:5], v[25:26]
	v_fma_f64 v[33:34], v[31:32], v[6:7], v[4:5]
	ds_read2_b64 v[4:7], v21 offset1:32
	ds_read_b128 v[25:28], v10 offset:128
	ds_read_b128 v[29:32], v10 offset:144
	s_waitcnt lgkmcnt(1)
	v_fma_f64 v[4:5], v[25:26], v[4:5], v[33:34]
	v_fma_f64 v[25:26], v[27:28], v[6:7], v[4:5]
	ds_read2_b64 v[4:7], v21 offset0:64 offset1:96
	s_waitcnt lgkmcnt(0)
	v_fma_f64 v[4:5], v[29:30], v[4:5], v[25:26]
	v_fma_f64 v[33:34], v[31:32], v[6:7], v[4:5]
	ds_read2_b64 v[4:7], v21 offset0:128 offset1:160
	ds_read_b128 v[25:28], v10 offset:160
	ds_read_b128 v[29:32], v10 offset:176
	s_waitcnt lgkmcnt(1)
	v_fma_f64 v[4:5], v[25:26], v[4:5], v[33:34]
	flat_load_dwordx2 v[33:34], v[2:3]
	v_fma_f64 v[25:26], v[27:28], v[6:7], v[4:5]
	ds_read2_b64 v[4:7], v21 offset0:192 offset1:224
	s_waitcnt lgkmcnt(0)
	v_fma_f64 v[4:5], v[29:30], v[4:5], v[25:26]
	v_fma_f64 v[35:36], v[31:32], v[6:7], v[4:5]
	ds_read2_b64 v[4:7], v22 offset1:32
	ds_read_b128 v[25:28], v10 offset:192
	ds_read_b128 v[29:32], v10 offset:208
	s_waitcnt lgkmcnt(0)
	v_fma_f64 v[4:5], v[25:26], v[4:5], v[35:36]
	v_fma_f64 v[25:26], v[27:28], v[6:7], v[4:5]
	ds_read2_b64 v[4:7], v22 offset0:64 offset1:96
	s_waitcnt lgkmcnt(0)
	v_fma_f64 v[4:5], v[29:30], v[4:5], v[25:26]
	v_fma_f64 v[35:36], v[31:32], v[6:7], v[4:5]
	ds_read2_b64 v[4:7], v22 offset0:128 offset1:160
	ds_read_b128 v[25:28], v10 offset:224
	ds_read_b128 v[29:32], v10 offset:240
	s_waitcnt lgkmcnt(0)
	v_fma_f64 v[4:5], v[25:26], v[4:5], v[35:36]
	v_fma_f64 v[25:26], v[27:28], v[6:7], v[4:5]
	ds_read2_b64 v[4:7], v22 offset0:192 offset1:224
	s_waitcnt lgkmcnt(0)
	v_fma_f64 v[4:5], v[29:30], v[4:5], v[25:26]
	v_fma_f64 v[4:5], v[31:32], v[6:7], v[4:5]
	s_waitcnt vmcnt(0)
	v_fma_f64 v[4:5], s[10:11], v[4:5], v[33:34]
	flat_store_dwordx2 v[2:3], v[4:5]
.LBB1918_11:                            ;   in Loop: Header=BB1918_5 Depth=1
	s_or_b64 exec, exec, s[2:3]
	v_mov_b32_e32 v4, 0
	v_mov_b32_e32 v6, 0
	;; [unrolled: 1-line block ×4, first 2 shown]
	s_waitcnt vmcnt(0) lgkmcnt(0)
	s_barrier
	s_and_saveexec_b64 s[16:17], s[6:7]
	s_cbranch_execz .LBB1918_13
; %bb.12:                               ;   in Loop: Header=BB1918_5 Depth=1
	v_mad_i64_i32 v[6:7], s[2:3], v23, s18, 0
	v_lshlrev_b64 v[6:7], 3, v[6:7]
	v_add_co_u32_e64 v6, s[2:3], v16, v6
	v_addc_co_u32_e64 v7, s[2:3], v17, v7, s[2:3]
	flat_load_dwordx2 v[6:7], v[6:7]
.LBB1918_13:                            ;   in Loop: Header=BB1918_5 Depth=1
	s_or_b64 exec, exec, s[16:17]
	s_waitcnt vmcnt(0) lgkmcnt(0)
	ds_write_b64 v11, v[6:7]
	s_and_saveexec_b64 s[6:7], s[12:13]
	s_cbranch_execz .LBB1918_15
; %bb.14:                               ;   in Loop: Header=BB1918_5 Depth=1
	v_mad_i64_i32 v[4:5], s[2:3], v24, s15, 0
	v_lshlrev_b64 v[4:5], 3, v[4:5]
	v_add_co_u32_e64 v4, s[2:3], v18, v4
	v_addc_co_u32_e64 v5, s[2:3], v19, v5, s[2:3]
	flat_load_dwordx2 v[4:5], v[4:5]
.LBB1918_15:                            ;   in Loop: Header=BB1918_5 Depth=1
	s_or_b64 exec, exec, s[6:7]
	s_waitcnt vmcnt(0) lgkmcnt(0)
	ds_write_b64 v15, v[4:5]
	s_waitcnt lgkmcnt(0)
	s_barrier
	s_and_saveexec_b64 s[2:3], s[4:5]
	s_cbranch_execz .LBB1918_4
; %bb.16:                               ;   in Loop: Header=BB1918_5 Depth=1
	ds_read2_b64 v[4:7], v14 offset1:32
	ds_read_b128 v[23:26], v10
	ds_read_b128 v[27:30], v10 offset:16
	s_waitcnt lgkmcnt(1)
	v_fma_f64 v[4:5], v[23:24], v[4:5], 0
	v_fma_f64 v[23:24], v[25:26], v[6:7], v[4:5]
	ds_read2_b64 v[4:7], v14 offset0:64 offset1:96
	s_waitcnt lgkmcnt(0)
	v_fma_f64 v[4:5], v[27:28], v[4:5], v[23:24]
	v_fma_f64 v[31:32], v[29:30], v[6:7], v[4:5]
	ds_read2_b64 v[4:7], v14 offset0:128 offset1:160
	ds_read_b128 v[23:26], v10 offset:32
	ds_read_b128 v[27:30], v10 offset:48
	s_waitcnt lgkmcnt(1)
	v_fma_f64 v[4:5], v[23:24], v[4:5], v[31:32]
	v_fma_f64 v[23:24], v[25:26], v[6:7], v[4:5]
	ds_read2_b64 v[4:7], v14 offset0:192 offset1:224
	s_waitcnt lgkmcnt(0)
	v_fma_f64 v[4:5], v[27:28], v[4:5], v[23:24]
	v_fma_f64 v[31:32], v[29:30], v[6:7], v[4:5]
	ds_read2_b64 v[4:7], v20 offset1:32
	ds_read_b128 v[23:26], v10 offset:64
	ds_read_b128 v[27:30], v10 offset:80
	s_waitcnt lgkmcnt(1)
	v_fma_f64 v[4:5], v[23:24], v[4:5], v[31:32]
	v_fma_f64 v[23:24], v[25:26], v[6:7], v[4:5]
	ds_read2_b64 v[4:7], v20 offset0:64 offset1:96
	s_waitcnt lgkmcnt(0)
	v_fma_f64 v[4:5], v[27:28], v[4:5], v[23:24]
	v_fma_f64 v[31:32], v[29:30], v[6:7], v[4:5]
	ds_read2_b64 v[4:7], v20 offset0:128 offset1:160
	ds_read_b128 v[23:26], v10 offset:96
	ds_read_b128 v[27:30], v10 offset:112
	s_waitcnt lgkmcnt(1)
	v_fma_f64 v[4:5], v[23:24], v[4:5], v[31:32]
	v_fma_f64 v[23:24], v[25:26], v[6:7], v[4:5]
	ds_read2_b64 v[4:7], v20 offset0:192 offset1:224
	s_waitcnt lgkmcnt(0)
	v_fma_f64 v[4:5], v[27:28], v[4:5], v[23:24]
	v_fma_f64 v[31:32], v[29:30], v[6:7], v[4:5]
	ds_read2_b64 v[4:7], v21 offset1:32
	ds_read_b128 v[23:26], v10 offset:128
	ds_read_b128 v[27:30], v10 offset:144
	s_waitcnt lgkmcnt(1)
	v_fma_f64 v[4:5], v[23:24], v[4:5], v[31:32]
	v_fma_f64 v[23:24], v[25:26], v[6:7], v[4:5]
	ds_read2_b64 v[4:7], v21 offset0:64 offset1:96
	s_waitcnt lgkmcnt(0)
	v_fma_f64 v[4:5], v[27:28], v[4:5], v[23:24]
	v_fma_f64 v[31:32], v[29:30], v[6:7], v[4:5]
	ds_read2_b64 v[4:7], v21 offset0:128 offset1:160
	ds_read_b128 v[23:26], v10 offset:160
	ds_read_b128 v[27:30], v10 offset:176
	s_waitcnt lgkmcnt(1)
	v_fma_f64 v[4:5], v[23:24], v[4:5], v[31:32]
	flat_load_dwordx2 v[31:32], v[2:3]
	v_fma_f64 v[23:24], v[25:26], v[6:7], v[4:5]
	ds_read2_b64 v[4:7], v21 offset0:192 offset1:224
	s_waitcnt lgkmcnt(0)
	v_fma_f64 v[4:5], v[27:28], v[4:5], v[23:24]
	v_fma_f64 v[33:34], v[29:30], v[6:7], v[4:5]
	ds_read2_b64 v[4:7], v22 offset1:32
	ds_read_b128 v[23:26], v10 offset:192
	ds_read_b128 v[27:30], v10 offset:208
	s_waitcnt lgkmcnt(0)
	v_fma_f64 v[4:5], v[23:24], v[4:5], v[33:34]
	v_fma_f64 v[23:24], v[25:26], v[6:7], v[4:5]
	ds_read2_b64 v[4:7], v22 offset0:64 offset1:96
	s_waitcnt lgkmcnt(0)
	v_fma_f64 v[4:5], v[27:28], v[4:5], v[23:24]
	v_fma_f64 v[33:34], v[29:30], v[6:7], v[4:5]
	ds_read2_b64 v[4:7], v22 offset0:128 offset1:160
	ds_read_b128 v[23:26], v10 offset:224
	ds_read_b128 v[27:30], v10 offset:240
	s_waitcnt lgkmcnt(0)
	v_fma_f64 v[4:5], v[23:24], v[4:5], v[33:34]
	v_fma_f64 v[23:24], v[25:26], v[6:7], v[4:5]
	ds_read2_b64 v[4:7], v22 offset0:192 offset1:224
	s_waitcnt lgkmcnt(0)
	v_fma_f64 v[4:5], v[27:28], v[4:5], v[23:24]
	v_fma_f64 v[4:5], v[29:30], v[6:7], v[4:5]
	s_waitcnt vmcnt(0)
	v_fma_f64 v[4:5], s[10:11], v[4:5], v[31:32]
	flat_store_dwordx2 v[2:3], v[4:5]
	s_branch .LBB1918_4
.LBB1918_17:
	s_endpgm
	.section	.rodata,"a",@progbits
	.p2align	6, 0x0
	.amdhsa_kernel _ZL26rocblas_syr2k_her2k_kernelIiLb1ELb0ELb0ELi32EPKdPKS1_PKPdEvbiT_T4_T5_S7_lS9_S7_lT6_S7_li
		.amdhsa_group_segment_fixed_size 16384
		.amdhsa_private_segment_fixed_size 0
		.amdhsa_kernarg_size 100
		.amdhsa_user_sgpr_count 6
		.amdhsa_user_sgpr_private_segment_buffer 1
		.amdhsa_user_sgpr_dispatch_ptr 0
		.amdhsa_user_sgpr_queue_ptr 0
		.amdhsa_user_sgpr_kernarg_segment_ptr 1
		.amdhsa_user_sgpr_dispatch_id 0
		.amdhsa_user_sgpr_flat_scratch_init 0
		.amdhsa_user_sgpr_private_segment_size 0
		.amdhsa_uses_dynamic_stack 0
		.amdhsa_system_sgpr_private_segment_wavefront_offset 0
		.amdhsa_system_sgpr_workgroup_id_x 1
		.amdhsa_system_sgpr_workgroup_id_y 1
		.amdhsa_system_sgpr_workgroup_id_z 1
		.amdhsa_system_sgpr_workgroup_info 0
		.amdhsa_system_vgpr_workitem_id 1
		.amdhsa_next_free_vgpr 37
		.amdhsa_next_free_sgpr 61
		.amdhsa_reserve_vcc 1
		.amdhsa_reserve_flat_scratch 0
		.amdhsa_float_round_mode_32 0
		.amdhsa_float_round_mode_16_64 0
		.amdhsa_float_denorm_mode_32 3
		.amdhsa_float_denorm_mode_16_64 3
		.amdhsa_dx10_clamp 1
		.amdhsa_ieee_mode 1
		.amdhsa_fp16_overflow 0
		.amdhsa_exception_fp_ieee_invalid_op 0
		.amdhsa_exception_fp_denorm_src 0
		.amdhsa_exception_fp_ieee_div_zero 0
		.amdhsa_exception_fp_ieee_overflow 0
		.amdhsa_exception_fp_ieee_underflow 0
		.amdhsa_exception_fp_ieee_inexact 0
		.amdhsa_exception_int_div_zero 0
	.end_amdhsa_kernel
	.section	.text._ZL26rocblas_syr2k_her2k_kernelIiLb1ELb0ELb0ELi32EPKdPKS1_PKPdEvbiT_T4_T5_S7_lS9_S7_lT6_S7_li,"axG",@progbits,_ZL26rocblas_syr2k_her2k_kernelIiLb1ELb0ELb0ELi32EPKdPKS1_PKPdEvbiT_T4_T5_S7_lS9_S7_lT6_S7_li,comdat
.Lfunc_end1918:
	.size	_ZL26rocblas_syr2k_her2k_kernelIiLb1ELb0ELb0ELi32EPKdPKS1_PKPdEvbiT_T4_T5_S7_lS9_S7_lT6_S7_li, .Lfunc_end1918-_ZL26rocblas_syr2k_her2k_kernelIiLb1ELb0ELb0ELi32EPKdPKS1_PKPdEvbiT_T4_T5_S7_lS9_S7_lT6_S7_li
                                        ; -- End function
	.set _ZL26rocblas_syr2k_her2k_kernelIiLb1ELb0ELb0ELi32EPKdPKS1_PKPdEvbiT_T4_T5_S7_lS9_S7_lT6_S7_li.num_vgpr, 37
	.set _ZL26rocblas_syr2k_her2k_kernelIiLb1ELb0ELb0ELi32EPKdPKS1_PKPdEvbiT_T4_T5_S7_lS9_S7_lT6_S7_li.num_agpr, 0
	.set _ZL26rocblas_syr2k_her2k_kernelIiLb1ELb0ELb0ELi32EPKdPKS1_PKPdEvbiT_T4_T5_S7_lS9_S7_lT6_S7_li.numbered_sgpr, 28
	.set _ZL26rocblas_syr2k_her2k_kernelIiLb1ELb0ELb0ELi32EPKdPKS1_PKPdEvbiT_T4_T5_S7_lS9_S7_lT6_S7_li.num_named_barrier, 0
	.set _ZL26rocblas_syr2k_her2k_kernelIiLb1ELb0ELb0ELi32EPKdPKS1_PKPdEvbiT_T4_T5_S7_lS9_S7_lT6_S7_li.private_seg_size, 0
	.set _ZL26rocblas_syr2k_her2k_kernelIiLb1ELb0ELb0ELi32EPKdPKS1_PKPdEvbiT_T4_T5_S7_lS9_S7_lT6_S7_li.uses_vcc, 1
	.set _ZL26rocblas_syr2k_her2k_kernelIiLb1ELb0ELb0ELi32EPKdPKS1_PKPdEvbiT_T4_T5_S7_lS9_S7_lT6_S7_li.uses_flat_scratch, 0
	.set _ZL26rocblas_syr2k_her2k_kernelIiLb1ELb0ELb0ELi32EPKdPKS1_PKPdEvbiT_T4_T5_S7_lS9_S7_lT6_S7_li.has_dyn_sized_stack, 0
	.set _ZL26rocblas_syr2k_her2k_kernelIiLb1ELb0ELb0ELi32EPKdPKS1_PKPdEvbiT_T4_T5_S7_lS9_S7_lT6_S7_li.has_recursion, 0
	.set _ZL26rocblas_syr2k_her2k_kernelIiLb1ELb0ELb0ELi32EPKdPKS1_PKPdEvbiT_T4_T5_S7_lS9_S7_lT6_S7_li.has_indirect_call, 0
	.section	.AMDGPU.csdata,"",@progbits
; Kernel info:
; codeLenInByte = 2104
; TotalNumSgprs: 32
; NumVgprs: 37
; ScratchSize: 0
; MemoryBound: 0
; FloatMode: 240
; IeeeMode: 1
; LDSByteSize: 16384 bytes/workgroup (compile time only)
; SGPRBlocks: 8
; VGPRBlocks: 9
; NumSGPRsForWavesPerEU: 65
; NumVGPRsForWavesPerEU: 37
; Occupancy: 6
; WaveLimiterHint : 1
; COMPUTE_PGM_RSRC2:SCRATCH_EN: 0
; COMPUTE_PGM_RSRC2:USER_SGPR: 6
; COMPUTE_PGM_RSRC2:TRAP_HANDLER: 0
; COMPUTE_PGM_RSRC2:TGID_X_EN: 1
; COMPUTE_PGM_RSRC2:TGID_Y_EN: 1
; COMPUTE_PGM_RSRC2:TGID_Z_EN: 1
; COMPUTE_PGM_RSRC2:TIDIG_COMP_CNT: 1
	.section	.text._ZL26rocblas_syr2k_her2k_kernelIiLb1ELb0ELb1ELi32EPKdPKS1_PKPdEvbiT_T4_T5_S7_lS9_S7_lT6_S7_li,"axG",@progbits,_ZL26rocblas_syr2k_her2k_kernelIiLb1ELb0ELb1ELi32EPKdPKS1_PKPdEvbiT_T4_T5_S7_lS9_S7_lT6_S7_li,comdat
	.globl	_ZL26rocblas_syr2k_her2k_kernelIiLb1ELb0ELb1ELi32EPKdPKS1_PKPdEvbiT_T4_T5_S7_lS9_S7_lT6_S7_li ; -- Begin function _ZL26rocblas_syr2k_her2k_kernelIiLb1ELb0ELb1ELi32EPKdPKS1_PKPdEvbiT_T4_T5_S7_lS9_S7_lT6_S7_li
	.p2align	8
	.type	_ZL26rocblas_syr2k_her2k_kernelIiLb1ELb0ELb1ELi32EPKdPKS1_PKPdEvbiT_T4_T5_S7_lS9_S7_lT6_S7_li,@function
_ZL26rocblas_syr2k_her2k_kernelIiLb1ELb0ELb1ELi32EPKdPKS1_PKPdEvbiT_T4_T5_S7_lS9_S7_lT6_S7_li: ; @_ZL26rocblas_syr2k_her2k_kernelIiLb1ELb0ELb1ELi32EPKdPKS1_PKPdEvbiT_T4_T5_S7_lS9_S7_lT6_S7_li
; %bb.0:
	s_load_dwordx4 s[0:3], s[4:5], 0x10
	s_waitcnt lgkmcnt(0)
	s_load_dwordx2 s[10:11], s[0:1], 0x0
	s_waitcnt lgkmcnt(0)
	v_cmp_eq_f64_e64 s[0:1], s[10:11], 0
	s_and_b64 vcc, exec, s[0:1]
	s_cbranch_vccnz .LBB1919_17
; %bb.1:
	s_load_dwordx4 s[12:15], s[4:5], 0x0
	s_lshl_b32 s0, s7, 5
	s_lshl_b32 s1, s6, 5
	s_waitcnt lgkmcnt(0)
	s_and_b32 s6, 1, s12
	s_cmp_eq_u32 s6, 1
	s_cselect_b64 vcc, -1, 0
	s_and_b64 s[6:7], vcc, exec
	s_cselect_b32 s6, s1, s0
	s_cselect_b32 s7, s0, s1
	s_cmp_gt_i32 s6, s7
	s_cbranch_scc1 .LBB1919_17
; %bb.2:
	s_cmp_lt_i32 s14, 1
	s_cbranch_scc1 .LBB1919_17
; %bb.3:
	s_mov_b32 s9, 0
	s_load_dword s12, s[4:5], 0x20
	s_load_dwordx4 s[16:19], s[4:5], 0x28
	s_load_dword s15, s[4:5], 0x38
	s_load_dwordx4 s[20:23], s[4:5], 0x40
	s_load_dword s24, s[4:5], 0x50
	s_load_dwordx2 s[6:7], s[4:5], 0x58
	s_lshl_b64 s[4:5], s[8:9], 3
	s_add_u32 s2, s2, s4
	s_addc_u32 s3, s3, s5
	s_load_dwordx2 s[2:3], s[2:3], 0x0
	v_add_u32_e32 v2, s1, v0
	s_waitcnt lgkmcnt(0)
	s_add_u32 s18, s18, s4
	v_add_u32_e32 v7, s0, v1
	v_mad_i64_i32 v[4:5], s[0:1], s12, v2, 0
	s_addc_u32 s19, s19, s5
	s_add_u32 s4, s22, s4
	s_addc_u32 s5, s23, s5
	s_lshl_b64 s[16:17], s[16:17], 3
	s_add_u32 s8, s2, s16
	v_lshlrev_b64 v[4:5], 3, v[4:5]
	s_load_dwordx2 s[18:19], s[18:19], 0x0
	s_addc_u32 s16, s3, s17
	v_mov_b32_e32 v9, s16
	v_add_co_u32_e64 v12, s[0:1], s8, v4
	s_load_dwordx2 s[4:5], s[4:5], 0x0
	v_addc_co_u32_e64 v13, s[0:1], v9, v5, s[0:1]
	v_mad_i64_i32 v[4:5], s[0:1], s15, v7, 0
	s_lshl_b64 s[2:3], s[20:21], 3
	s_waitcnt lgkmcnt(0)
	s_add_u32 s17, s18, s2
	s_addc_u32 s18, s19, s3
	s_lshl_b64 s[2:3], s[6:7], 3
	v_lshlrev_b64 v[4:5], 3, v[4:5]
	s_add_u32 s6, s4, s2
	s_addc_u32 s7, s5, s3
	v_mov_b32_e32 v10, s18
	v_add_co_u32_e64 v16, s[2:3], s17, v4
	v_addc_co_u32_e64 v17, s[2:3], v10, v5, s[2:3]
	v_mad_i64_i32 v[4:5], s[2:3], s24, v7, 0
	v_cndmask_b32_e32 v6, v2, v7, vcc
	v_cndmask_b32_e32 v8, v7, v2, vcc
	v_cmp_gt_i32_e32 vcc, s13, v2
	v_cmp_gt_i32_e64 s[0:1], s13, v7
	v_lshlrev_b64 v[4:5], 3, v[4:5]
	v_cmp_le_i32_e64 s[2:3], v8, v6
	s_and_b64 s[4:5], s[0:1], vcc
	v_lshlrev_b32_e32 v14, 8, v0
	v_lshlrev_b32_e32 v9, 3, v1
	s_and_b64 s[4:5], s[4:5], s[2:3]
	v_mov_b32_e32 v6, s7
	v_add_co_u32_e64 v8, s[2:3], s6, v4
	v_ashrrev_i32_e32 v3, 31, v2
	v_add_u32_e32 v15, v14, v9
	v_or_b32_e32 v18, 0x2000, v9
	v_addc_co_u32_e64 v9, s[2:3], v6, v5, s[2:3]
	v_mad_i64_i32 v[5:6], s[2:3], s15, v2, 0
	v_lshlrev_b64 v[3:4], 3, v[2:3]
	v_add_u32_e32 v19, v18, v14
	v_add_co_u32_e64 v2, s[2:3], v8, v3
	v_addc_co_u32_e64 v3, s[2:3], v9, v4, s[2:3]
	v_lshlrev_b64 v[4:5], 3, v[5:6]
	v_mad_i64_i32 v[6:7], s[2:3], s12, v7, 0
	v_mov_b32_e32 v8, s18
	v_add_co_u32_e64 v20, s[2:3], s17, v4
	v_addc_co_u32_e64 v21, s[2:3], v8, v5, s[2:3]
	v_lshlrev_b64 v[4:5], 3, v[6:7]
	v_mov_b32_e32 v6, s16
	v_add_co_u32_e64 v22, s[2:3], s8, v4
	v_addc_co_u32_e64 v23, s[2:3], v6, v5, s[2:3]
	v_add_u32_e32 v24, 0x800, v18
	v_add_u32_e32 v25, 0x1000, v18
	;; [unrolled: 1-line block ×3, first 2 shown]
	s_branch .LBB1919_5
.LBB1919_4:                             ;   in Loop: Header=BB1919_5 Depth=1
	s_or_b64 exec, exec, s[2:3]
	s_add_i32 s9, s9, 32
	s_cmp_lt_i32 s9, s14
	s_waitcnt vmcnt(0) lgkmcnt(0)
	s_barrier
	s_cbranch_scc0 .LBB1919_17
.LBB1919_5:                             ; =>This Inner Loop Header: Depth=1
	v_add_u32_e32 v4, s9, v1
	v_cmp_gt_i32_e64 s[2:3], s14, v4
	v_mov_b32_e32 v8, 0
	v_mov_b32_e32 v6, 0
	s_and_b64 s[6:7], vcc, s[2:3]
	v_mov_b32_e32 v9, 0
	v_mov_b32_e32 v7, 0
	v_ashrrev_i32_e32 v5, 31, v4
	s_and_saveexec_b64 s[12:13], s[6:7]
	s_cbranch_execz .LBB1919_7
; %bb.6:                                ;   in Loop: Header=BB1919_5 Depth=1
	v_lshlrev_b64 v[6:7], 3, v[4:5]
	v_add_co_u32_e64 v6, s[2:3], v12, v6
	v_addc_co_u32_e64 v7, s[2:3], v13, v7, s[2:3]
	flat_load_dwordx2 v[6:7], v[6:7]
.LBB1919_7:                             ;   in Loop: Header=BB1919_5 Depth=1
	s_or_b64 exec, exec, s[12:13]
	s_waitcnt vmcnt(0) lgkmcnt(0)
	ds_write_b64 v15, v[6:7]
	v_add_u32_e32 v6, s9, v0
	v_cmp_gt_i32_e64 s[2:3], s14, v6
	s_and_b64 s[12:13], s[0:1], s[2:3]
	v_ashrrev_i32_e32 v7, 31, v6
	s_and_saveexec_b64 s[16:17], s[12:13]
	s_cbranch_execz .LBB1919_9
; %bb.8:                                ;   in Loop: Header=BB1919_5 Depth=1
	v_lshlrev_b64 v[8:9], 3, v[6:7]
	v_add_co_u32_e64 v8, s[2:3], v16, v8
	v_addc_co_u32_e64 v9, s[2:3], v17, v9, s[2:3]
	flat_load_dwordx2 v[8:9], v[8:9]
.LBB1919_9:                             ;   in Loop: Header=BB1919_5 Depth=1
	s_or_b64 exec, exec, s[16:17]
	s_waitcnt vmcnt(0) lgkmcnt(0)
	ds_write_b64 v19, v[8:9]
	s_waitcnt lgkmcnt(0)
	s_barrier
	s_and_saveexec_b64 s[2:3], s[4:5]
	s_cbranch_execz .LBB1919_11
; %bb.10:                               ;   in Loop: Header=BB1919_5 Depth=1
	ds_read2_b64 v[8:11], v18 offset1:32
	ds_read_b128 v[27:30], v14
	ds_read_b128 v[31:34], v14 offset:16
	s_waitcnt lgkmcnt(1)
	v_fma_f64 v[8:9], v[27:28], v[8:9], 0
	v_fma_f64 v[27:28], v[29:30], v[10:11], v[8:9]
	ds_read2_b64 v[8:11], v18 offset0:64 offset1:96
	s_waitcnt lgkmcnt(0)
	v_fma_f64 v[8:9], v[31:32], v[8:9], v[27:28]
	v_fma_f64 v[35:36], v[33:34], v[10:11], v[8:9]
	ds_read2_b64 v[8:11], v18 offset0:128 offset1:160
	ds_read_b128 v[27:30], v14 offset:32
	ds_read_b128 v[31:34], v14 offset:48
	s_waitcnt lgkmcnt(1)
	v_fma_f64 v[8:9], v[27:28], v[8:9], v[35:36]
	v_fma_f64 v[27:28], v[29:30], v[10:11], v[8:9]
	ds_read2_b64 v[8:11], v18 offset0:192 offset1:224
	s_waitcnt lgkmcnt(0)
	v_fma_f64 v[8:9], v[31:32], v[8:9], v[27:28]
	v_fma_f64 v[35:36], v[33:34], v[10:11], v[8:9]
	ds_read2_b64 v[8:11], v24 offset1:32
	ds_read_b128 v[27:30], v14 offset:64
	ds_read_b128 v[31:34], v14 offset:80
	s_waitcnt lgkmcnt(1)
	v_fma_f64 v[8:9], v[27:28], v[8:9], v[35:36]
	v_fma_f64 v[27:28], v[29:30], v[10:11], v[8:9]
	ds_read2_b64 v[8:11], v24 offset0:64 offset1:96
	s_waitcnt lgkmcnt(0)
	v_fma_f64 v[8:9], v[31:32], v[8:9], v[27:28]
	v_fma_f64 v[35:36], v[33:34], v[10:11], v[8:9]
	ds_read2_b64 v[8:11], v24 offset0:128 offset1:160
	ds_read_b128 v[27:30], v14 offset:96
	ds_read_b128 v[31:34], v14 offset:112
	s_waitcnt lgkmcnt(1)
	v_fma_f64 v[8:9], v[27:28], v[8:9], v[35:36]
	v_fma_f64 v[27:28], v[29:30], v[10:11], v[8:9]
	ds_read2_b64 v[8:11], v24 offset0:192 offset1:224
	s_waitcnt lgkmcnt(0)
	v_fma_f64 v[8:9], v[31:32], v[8:9], v[27:28]
	v_fma_f64 v[35:36], v[33:34], v[10:11], v[8:9]
	ds_read2_b64 v[8:11], v25 offset1:32
	ds_read_b128 v[27:30], v14 offset:128
	ds_read_b128 v[31:34], v14 offset:144
	s_waitcnt lgkmcnt(1)
	v_fma_f64 v[8:9], v[27:28], v[8:9], v[35:36]
	v_fma_f64 v[27:28], v[29:30], v[10:11], v[8:9]
	ds_read2_b64 v[8:11], v25 offset0:64 offset1:96
	s_waitcnt lgkmcnt(0)
	v_fma_f64 v[8:9], v[31:32], v[8:9], v[27:28]
	v_fma_f64 v[35:36], v[33:34], v[10:11], v[8:9]
	ds_read2_b64 v[8:11], v25 offset0:128 offset1:160
	ds_read_b128 v[27:30], v14 offset:160
	ds_read_b128 v[31:34], v14 offset:176
	s_waitcnt lgkmcnt(1)
	v_fma_f64 v[8:9], v[27:28], v[8:9], v[35:36]
	flat_load_dwordx2 v[35:36], v[2:3]
	v_fma_f64 v[27:28], v[29:30], v[10:11], v[8:9]
	ds_read2_b64 v[8:11], v25 offset0:192 offset1:224
	s_waitcnt lgkmcnt(0)
	v_fma_f64 v[8:9], v[31:32], v[8:9], v[27:28]
	v_fma_f64 v[37:38], v[33:34], v[10:11], v[8:9]
	ds_read2_b64 v[8:11], v26 offset1:32
	ds_read_b128 v[27:30], v14 offset:192
	ds_read_b128 v[31:34], v14 offset:208
	s_waitcnt lgkmcnt(0)
	v_fma_f64 v[8:9], v[27:28], v[8:9], v[37:38]
	v_fma_f64 v[27:28], v[29:30], v[10:11], v[8:9]
	ds_read2_b64 v[8:11], v26 offset0:64 offset1:96
	s_waitcnt lgkmcnt(0)
	v_fma_f64 v[8:9], v[31:32], v[8:9], v[27:28]
	v_fma_f64 v[37:38], v[33:34], v[10:11], v[8:9]
	ds_read2_b64 v[8:11], v26 offset0:128 offset1:160
	ds_read_b128 v[27:30], v14 offset:224
	ds_read_b128 v[31:34], v14 offset:240
	s_waitcnt lgkmcnt(0)
	v_fma_f64 v[8:9], v[27:28], v[8:9], v[37:38]
	v_fma_f64 v[27:28], v[29:30], v[10:11], v[8:9]
	ds_read2_b64 v[8:11], v26 offset0:192 offset1:224
	s_waitcnt lgkmcnt(0)
	v_fma_f64 v[8:9], v[31:32], v[8:9], v[27:28]
	v_fma_f64 v[8:9], v[33:34], v[10:11], v[8:9]
	s_waitcnt vmcnt(0)
	v_fma_f64 v[8:9], s[10:11], v[8:9], v[35:36]
	flat_store_dwordx2 v[2:3], v[8:9]
.LBB1919_11:                            ;   in Loop: Header=BB1919_5 Depth=1
	s_or_b64 exec, exec, s[2:3]
	v_mov_b32_e32 v8, 0
	v_mov_b32_e32 v10, 0
	;; [unrolled: 1-line block ×4, first 2 shown]
	s_waitcnt vmcnt(0) lgkmcnt(0)
	s_barrier
	s_and_saveexec_b64 s[16:17], s[6:7]
	s_cbranch_execz .LBB1919_13
; %bb.12:                               ;   in Loop: Header=BB1919_5 Depth=1
	v_lshlrev_b64 v[4:5], 3, v[4:5]
	v_add_co_u32_e64 v4, s[2:3], v20, v4
	v_addc_co_u32_e64 v5, s[2:3], v21, v5, s[2:3]
	flat_load_dwordx2 v[10:11], v[4:5]
.LBB1919_13:                            ;   in Loop: Header=BB1919_5 Depth=1
	s_or_b64 exec, exec, s[16:17]
	s_waitcnt vmcnt(0) lgkmcnt(0)
	ds_write_b64 v15, v[10:11]
	s_and_saveexec_b64 s[6:7], s[12:13]
	s_cbranch_execz .LBB1919_15
; %bb.14:                               ;   in Loop: Header=BB1919_5 Depth=1
	v_lshlrev_b64 v[4:5], 3, v[6:7]
	v_add_co_u32_e64 v4, s[2:3], v22, v4
	v_addc_co_u32_e64 v5, s[2:3], v23, v5, s[2:3]
	flat_load_dwordx2 v[8:9], v[4:5]
.LBB1919_15:                            ;   in Loop: Header=BB1919_5 Depth=1
	s_or_b64 exec, exec, s[6:7]
	s_waitcnt vmcnt(0) lgkmcnt(0)
	ds_write_b64 v19, v[8:9]
	s_waitcnt lgkmcnt(0)
	s_barrier
	s_and_saveexec_b64 s[2:3], s[4:5]
	s_cbranch_execz .LBB1919_4
; %bb.16:                               ;   in Loop: Header=BB1919_5 Depth=1
	ds_read2_b64 v[4:7], v18 offset1:32
	ds_read_b128 v[8:11], v14
	ds_read_b128 v[27:30], v14 offset:16
	s_waitcnt lgkmcnt(1)
	v_fma_f64 v[4:5], v[8:9], v[4:5], 0
	v_fma_f64 v[8:9], v[10:11], v[6:7], v[4:5]
	ds_read2_b64 v[4:7], v18 offset0:64 offset1:96
	s_waitcnt lgkmcnt(0)
	v_fma_f64 v[4:5], v[27:28], v[4:5], v[8:9]
	v_fma_f64 v[31:32], v[29:30], v[6:7], v[4:5]
	ds_read2_b64 v[4:7], v18 offset0:128 offset1:160
	ds_read_b128 v[8:11], v14 offset:32
	ds_read_b128 v[27:30], v14 offset:48
	s_waitcnt lgkmcnt(1)
	v_fma_f64 v[4:5], v[8:9], v[4:5], v[31:32]
	v_fma_f64 v[8:9], v[10:11], v[6:7], v[4:5]
	ds_read2_b64 v[4:7], v18 offset0:192 offset1:224
	s_waitcnt lgkmcnt(0)
	v_fma_f64 v[4:5], v[27:28], v[4:5], v[8:9]
	v_fma_f64 v[31:32], v[29:30], v[6:7], v[4:5]
	ds_read2_b64 v[4:7], v24 offset1:32
	ds_read_b128 v[8:11], v14 offset:64
	ds_read_b128 v[27:30], v14 offset:80
	s_waitcnt lgkmcnt(1)
	v_fma_f64 v[4:5], v[8:9], v[4:5], v[31:32]
	v_fma_f64 v[8:9], v[10:11], v[6:7], v[4:5]
	ds_read2_b64 v[4:7], v24 offset0:64 offset1:96
	s_waitcnt lgkmcnt(0)
	v_fma_f64 v[4:5], v[27:28], v[4:5], v[8:9]
	v_fma_f64 v[31:32], v[29:30], v[6:7], v[4:5]
	ds_read2_b64 v[4:7], v24 offset0:128 offset1:160
	ds_read_b128 v[8:11], v14 offset:96
	ds_read_b128 v[27:30], v14 offset:112
	s_waitcnt lgkmcnt(1)
	v_fma_f64 v[4:5], v[8:9], v[4:5], v[31:32]
	v_fma_f64 v[8:9], v[10:11], v[6:7], v[4:5]
	ds_read2_b64 v[4:7], v24 offset0:192 offset1:224
	s_waitcnt lgkmcnt(0)
	v_fma_f64 v[4:5], v[27:28], v[4:5], v[8:9]
	v_fma_f64 v[31:32], v[29:30], v[6:7], v[4:5]
	ds_read2_b64 v[4:7], v25 offset1:32
	ds_read_b128 v[8:11], v14 offset:128
	ds_read_b128 v[27:30], v14 offset:144
	s_waitcnt lgkmcnt(1)
	v_fma_f64 v[4:5], v[8:9], v[4:5], v[31:32]
	v_fma_f64 v[8:9], v[10:11], v[6:7], v[4:5]
	ds_read2_b64 v[4:7], v25 offset0:64 offset1:96
	s_waitcnt lgkmcnt(0)
	v_fma_f64 v[4:5], v[27:28], v[4:5], v[8:9]
	v_fma_f64 v[31:32], v[29:30], v[6:7], v[4:5]
	ds_read2_b64 v[4:7], v25 offset0:128 offset1:160
	ds_read_b128 v[8:11], v14 offset:160
	ds_read_b128 v[27:30], v14 offset:176
	s_waitcnt lgkmcnt(1)
	v_fma_f64 v[4:5], v[8:9], v[4:5], v[31:32]
	flat_load_dwordx2 v[31:32], v[2:3]
	v_fma_f64 v[8:9], v[10:11], v[6:7], v[4:5]
	ds_read2_b64 v[4:7], v25 offset0:192 offset1:224
	s_waitcnt lgkmcnt(0)
	v_fma_f64 v[4:5], v[27:28], v[4:5], v[8:9]
	v_fma_f64 v[33:34], v[29:30], v[6:7], v[4:5]
	ds_read2_b64 v[4:7], v26 offset1:32
	ds_read_b128 v[8:11], v14 offset:192
	ds_read_b128 v[27:30], v14 offset:208
	s_waitcnt lgkmcnt(0)
	v_fma_f64 v[4:5], v[8:9], v[4:5], v[33:34]
	v_fma_f64 v[8:9], v[10:11], v[6:7], v[4:5]
	ds_read2_b64 v[4:7], v26 offset0:64 offset1:96
	s_waitcnt lgkmcnt(0)
	v_fma_f64 v[4:5], v[27:28], v[4:5], v[8:9]
	v_fma_f64 v[33:34], v[29:30], v[6:7], v[4:5]
	ds_read2_b64 v[4:7], v26 offset0:128 offset1:160
	ds_read_b128 v[8:11], v14 offset:224
	ds_read_b128 v[27:30], v14 offset:240
	s_waitcnt lgkmcnt(0)
	v_fma_f64 v[4:5], v[8:9], v[4:5], v[33:34]
	v_fma_f64 v[8:9], v[10:11], v[6:7], v[4:5]
	ds_read2_b64 v[4:7], v26 offset0:192 offset1:224
	s_waitcnt lgkmcnt(0)
	v_fma_f64 v[4:5], v[27:28], v[4:5], v[8:9]
	v_fma_f64 v[4:5], v[29:30], v[6:7], v[4:5]
	s_waitcnt vmcnt(0)
	v_fma_f64 v[4:5], s[10:11], v[4:5], v[31:32]
	flat_store_dwordx2 v[2:3], v[4:5]
	s_branch .LBB1919_4
.LBB1919_17:
	s_endpgm
	.section	.rodata,"a",@progbits
	.p2align	6, 0x0
	.amdhsa_kernel _ZL26rocblas_syr2k_her2k_kernelIiLb1ELb0ELb1ELi32EPKdPKS1_PKPdEvbiT_T4_T5_S7_lS9_S7_lT6_S7_li
		.amdhsa_group_segment_fixed_size 16384
		.amdhsa_private_segment_fixed_size 0
		.amdhsa_kernarg_size 100
		.amdhsa_user_sgpr_count 6
		.amdhsa_user_sgpr_private_segment_buffer 1
		.amdhsa_user_sgpr_dispatch_ptr 0
		.amdhsa_user_sgpr_queue_ptr 0
		.amdhsa_user_sgpr_kernarg_segment_ptr 1
		.amdhsa_user_sgpr_dispatch_id 0
		.amdhsa_user_sgpr_flat_scratch_init 0
		.amdhsa_user_sgpr_private_segment_size 0
		.amdhsa_uses_dynamic_stack 0
		.amdhsa_system_sgpr_private_segment_wavefront_offset 0
		.amdhsa_system_sgpr_workgroup_id_x 1
		.amdhsa_system_sgpr_workgroup_id_y 1
		.amdhsa_system_sgpr_workgroup_id_z 1
		.amdhsa_system_sgpr_workgroup_info 0
		.amdhsa_system_vgpr_workitem_id 1
		.amdhsa_next_free_vgpr 39
		.amdhsa_next_free_sgpr 61
		.amdhsa_reserve_vcc 1
		.amdhsa_reserve_flat_scratch 0
		.amdhsa_float_round_mode_32 0
		.amdhsa_float_round_mode_16_64 0
		.amdhsa_float_denorm_mode_32 3
		.amdhsa_float_denorm_mode_16_64 3
		.amdhsa_dx10_clamp 1
		.amdhsa_ieee_mode 1
		.amdhsa_fp16_overflow 0
		.amdhsa_exception_fp_ieee_invalid_op 0
		.amdhsa_exception_fp_denorm_src 0
		.amdhsa_exception_fp_ieee_div_zero 0
		.amdhsa_exception_fp_ieee_overflow 0
		.amdhsa_exception_fp_ieee_underflow 0
		.amdhsa_exception_fp_ieee_inexact 0
		.amdhsa_exception_int_div_zero 0
	.end_amdhsa_kernel
	.section	.text._ZL26rocblas_syr2k_her2k_kernelIiLb1ELb0ELb1ELi32EPKdPKS1_PKPdEvbiT_T4_T5_S7_lS9_S7_lT6_S7_li,"axG",@progbits,_ZL26rocblas_syr2k_her2k_kernelIiLb1ELb0ELb1ELi32EPKdPKS1_PKPdEvbiT_T4_T5_S7_lS9_S7_lT6_S7_li,comdat
.Lfunc_end1919:
	.size	_ZL26rocblas_syr2k_her2k_kernelIiLb1ELb0ELb1ELi32EPKdPKS1_PKPdEvbiT_T4_T5_S7_lS9_S7_lT6_S7_li, .Lfunc_end1919-_ZL26rocblas_syr2k_her2k_kernelIiLb1ELb0ELb1ELi32EPKdPKS1_PKPdEvbiT_T4_T5_S7_lS9_S7_lT6_S7_li
                                        ; -- End function
	.set _ZL26rocblas_syr2k_her2k_kernelIiLb1ELb0ELb1ELi32EPKdPKS1_PKPdEvbiT_T4_T5_S7_lS9_S7_lT6_S7_li.num_vgpr, 39
	.set _ZL26rocblas_syr2k_her2k_kernelIiLb1ELb0ELb1ELi32EPKdPKS1_PKPdEvbiT_T4_T5_S7_lS9_S7_lT6_S7_li.num_agpr, 0
	.set _ZL26rocblas_syr2k_her2k_kernelIiLb1ELb0ELb1ELi32EPKdPKS1_PKPdEvbiT_T4_T5_S7_lS9_S7_lT6_S7_li.numbered_sgpr, 25
	.set _ZL26rocblas_syr2k_her2k_kernelIiLb1ELb0ELb1ELi32EPKdPKS1_PKPdEvbiT_T4_T5_S7_lS9_S7_lT6_S7_li.num_named_barrier, 0
	.set _ZL26rocblas_syr2k_her2k_kernelIiLb1ELb0ELb1ELi32EPKdPKS1_PKPdEvbiT_T4_T5_S7_lS9_S7_lT6_S7_li.private_seg_size, 0
	.set _ZL26rocblas_syr2k_her2k_kernelIiLb1ELb0ELb1ELi32EPKdPKS1_PKPdEvbiT_T4_T5_S7_lS9_S7_lT6_S7_li.uses_vcc, 1
	.set _ZL26rocblas_syr2k_her2k_kernelIiLb1ELb0ELb1ELi32EPKdPKS1_PKPdEvbiT_T4_T5_S7_lS9_S7_lT6_S7_li.uses_flat_scratch, 0
	.set _ZL26rocblas_syr2k_her2k_kernelIiLb1ELb0ELb1ELi32EPKdPKS1_PKPdEvbiT_T4_T5_S7_lS9_S7_lT6_S7_li.has_dyn_sized_stack, 0
	.set _ZL26rocblas_syr2k_her2k_kernelIiLb1ELb0ELb1ELi32EPKdPKS1_PKPdEvbiT_T4_T5_S7_lS9_S7_lT6_S7_li.has_recursion, 0
	.set _ZL26rocblas_syr2k_her2k_kernelIiLb1ELb0ELb1ELi32EPKdPKS1_PKPdEvbiT_T4_T5_S7_lS9_S7_lT6_S7_li.has_indirect_call, 0
	.section	.AMDGPU.csdata,"",@progbits
; Kernel info:
; codeLenInByte = 2132
; TotalNumSgprs: 29
; NumVgprs: 39
; ScratchSize: 0
; MemoryBound: 0
; FloatMode: 240
; IeeeMode: 1
; LDSByteSize: 16384 bytes/workgroup (compile time only)
; SGPRBlocks: 8
; VGPRBlocks: 9
; NumSGPRsForWavesPerEU: 65
; NumVGPRsForWavesPerEU: 39
; Occupancy: 6
; WaveLimiterHint : 1
; COMPUTE_PGM_RSRC2:SCRATCH_EN: 0
; COMPUTE_PGM_RSRC2:USER_SGPR: 6
; COMPUTE_PGM_RSRC2:TRAP_HANDLER: 0
; COMPUTE_PGM_RSRC2:TGID_X_EN: 1
; COMPUTE_PGM_RSRC2:TGID_Y_EN: 1
; COMPUTE_PGM_RSRC2:TGID_Z_EN: 1
; COMPUTE_PGM_RSRC2:TIDIG_COMP_CNT: 1
	.section	.text._ZL26rocblas_syr2k_her2k_kernelIiLb1ELb0ELb0ELi32E19rocblas_complex_numIfEPKPKS1_PKPS1_EvbiT_T4_T5_S9_lSB_S9_lT6_S9_li,"axG",@progbits,_ZL26rocblas_syr2k_her2k_kernelIiLb1ELb0ELb0ELi32E19rocblas_complex_numIfEPKPKS1_PKPS1_EvbiT_T4_T5_S9_lSB_S9_lT6_S9_li,comdat
	.globl	_ZL26rocblas_syr2k_her2k_kernelIiLb1ELb0ELb0ELi32E19rocblas_complex_numIfEPKPKS1_PKPS1_EvbiT_T4_T5_S9_lSB_S9_lT6_S9_li ; -- Begin function _ZL26rocblas_syr2k_her2k_kernelIiLb1ELb0ELb0ELi32E19rocblas_complex_numIfEPKPKS1_PKPS1_EvbiT_T4_T5_S9_lSB_S9_lT6_S9_li
	.p2align	8
	.type	_ZL26rocblas_syr2k_her2k_kernelIiLb1ELb0ELb0ELi32E19rocblas_complex_numIfEPKPKS1_PKPS1_EvbiT_T4_T5_S9_lSB_S9_lT6_S9_li,@function
_ZL26rocblas_syr2k_her2k_kernelIiLb1ELb0ELb0ELi32E19rocblas_complex_numIfEPKPKS1_PKPS1_EvbiT_T4_T5_S9_lSB_S9_lT6_S9_li: ; @_ZL26rocblas_syr2k_her2k_kernelIiLb1ELb0ELb0ELi32E19rocblas_complex_numIfEPKPKS1_PKPS1_EvbiT_T4_T5_S9_lSB_S9_lT6_S9_li
; %bb.0:
	s_load_dwordx4 s[12:15], s[4:5], 0x0
	s_load_dword s16, s[4:5], 0x10
	s_waitcnt lgkmcnt(0)
	v_cmp_eq_f32_e64 s[0:1], s15, 0
	v_cmp_eq_f32_e64 s[2:3], s16, 0
	s_and_b64 s[0:1], s[0:1], s[2:3]
	s_and_b64 vcc, exec, s[0:1]
	s_cbranch_vccnz .LBB1920_17
; %bb.1:
	s_and_b32 s2, 1, s12
	s_lshl_b32 s0, s7, 5
	s_lshl_b32 s1, s6, 5
	s_cmp_eq_u32 s2, 1
	s_cselect_b64 vcc, -1, 0
	s_and_b64 s[2:3], vcc, exec
	s_cselect_b32 s2, s1, s0
	s_cselect_b32 s3, s0, s1
	s_cmp_gt_i32 s2, s3
	s_cbranch_scc1 .LBB1920_17
; %bb.2:
	s_cmp_lt_i32 s14, 1
	s_cbranch_scc1 .LBB1920_17
; %bb.3:
	s_mov_b32 s9, 0
	s_load_dwordx2 s[2:3], s[4:5], 0x18
	s_load_dword s17, s[4:5], 0x20
	s_load_dwordx4 s[20:23], s[4:5], 0x28
	s_load_dword s18, s[4:5], 0x38
	s_load_dwordx4 s[24:27], s[4:5], 0x40
	s_load_dword s12, s[4:5], 0x50
	s_lshl_b64 s[6:7], s[8:9], 3
	s_waitcnt lgkmcnt(0)
	s_add_u32 s2, s2, s6
	s_addc_u32 s3, s3, s7
	s_load_dwordx2 s[2:3], s[2:3], 0x0
	s_add_u32 s10, s22, s6
	s_addc_u32 s11, s23, s7
	s_add_u32 s6, s26, s6
	s_load_dwordx2 s[10:11], s[10:11], 0x0
	s_addc_u32 s7, s27, s7
	v_add_u32_e32 v3, s1, v0
	s_load_dwordx2 s[22:23], s[6:7], 0x0
	s_load_dwordx2 s[26:27], s[4:5], 0x58
	s_lshl_b64 s[4:5], s[20:21], 3
	v_ashrrev_i32_e32 v4, 31, v3
	s_waitcnt lgkmcnt(0)
	s_add_u32 s6, s2, s4
	v_lshlrev_b64 v[4:5], 3, v[3:4]
	s_addc_u32 s7, s3, s5
	v_add_u32_e32 v2, s0, v1
	s_lshl_b64 s[2:3], s[24:25], 3
	v_cndmask_b32_e32 v8, v3, v2, vcc
	v_cndmask_b32_e32 v9, v2, v3, vcc
	v_cmp_gt_i32_e32 vcc, s13, v3
	v_mov_b32_e32 v3, s7
	v_add_co_u32_e64 v12, s[0:1], s6, v4
	s_add_u32 s8, s10, s2
	v_addc_co_u32_e64 v13, s[0:1], v3, v5, s[0:1]
	v_ashrrev_i32_e32 v3, 31, v2
	s_addc_u32 s10, s11, s3
	s_lshl_b64 s[2:3], s[26:27], 3
	v_lshlrev_b64 v[6:7], 3, v[2:3]
	s_add_u32 s11, s22, s2
	s_addc_u32 s19, s23, s3
	v_mov_b32_e32 v3, s10
	v_add_co_u32_e64 v16, s[2:3], s8, v6
	v_cmp_gt_i32_e64 s[0:1], s13, v2
	v_addc_co_u32_e64 v17, s[2:3], v3, v7, s[2:3]
	v_mad_i64_i32 v[2:3], s[2:3], s12, v2, 0
	v_cmp_le_i32_e64 s[2:3], v9, v8
	s_and_b64 s[4:5], s[0:1], vcc
	v_lshlrev_b64 v[2:3], 3, v[2:3]
	s_and_b64 s[4:5], s[4:5], s[2:3]
	v_mov_b32_e32 v8, s19
	v_add_co_u32_e64 v2, s[2:3], s11, v2
	v_lshlrev_b32_e32 v14, 8, v0
	v_lshlrev_b32_e32 v10, 3, v1
	v_addc_co_u32_e64 v3, s[2:3], v8, v3, s[2:3]
	v_add_u32_e32 v15, v14, v10
	v_or_b32_e32 v18, 0x2000, v10
	v_add_co_u32_e64 v10, s[2:3], v2, v4
	v_addc_co_u32_e64 v11, s[2:3], v3, v5, s[2:3]
	v_mov_b32_e32 v2, s10
	v_add_co_u32_e64 v20, s[2:3], s8, v4
	v_addc_co_u32_e64 v21, s[2:3], v2, v5, s[2:3]
	v_mov_b32_e32 v2, s7
	v_add_co_u32_e64 v22, s[2:3], s6, v6
	v_add_u32_e32 v19, v18, v14
	v_addc_co_u32_e64 v23, s[2:3], v2, v7, s[2:3]
	v_add_u32_e32 v24, 0x800, v18
	v_add_u32_e32 v25, 0x1000, v18
	;; [unrolled: 1-line block ×3, first 2 shown]
	s_branch .LBB1920_5
.LBB1920_4:                             ;   in Loop: Header=BB1920_5 Depth=1
	s_or_b64 exec, exec, s[2:3]
	s_add_i32 s9, s9, 32
	s_cmp_lt_i32 s9, s14
	s_waitcnt vmcnt(0) lgkmcnt(0)
	s_barrier
	s_cbranch_scc0 .LBB1920_17
.LBB1920_5:                             ; =>This Inner Loop Header: Depth=1
	v_add_u32_e32 v27, s9, v1
	v_cmp_gt_i32_e64 s[2:3], s14, v27
	s_and_b64 s[6:7], vcc, s[2:3]
	v_mov_b32_e32 v2, 0
	v_mov_b32_e32 v3, 0
	;; [unrolled: 1-line block ×3, first 2 shown]
	s_and_saveexec_b64 s[10:11], s[6:7]
	s_cbranch_execz .LBB1920_7
; %bb.6:                                ;   in Loop: Header=BB1920_5 Depth=1
	v_mad_i64_i32 v[3:4], s[2:3], v27, s17, 0
	v_lshlrev_b64 v[3:4], 3, v[3:4]
	v_add_co_u32_e64 v3, s[2:3], v12, v3
	v_addc_co_u32_e64 v4, s[2:3], v13, v4, s[2:3]
	flat_load_dwordx2 v[3:4], v[3:4]
.LBB1920_7:                             ;   in Loop: Header=BB1920_5 Depth=1
	s_or_b64 exec, exec, s[10:11]
	v_add_u32_e32 v28, s9, v0
	v_cmp_gt_i32_e64 s[2:3], s14, v28
	s_waitcnt vmcnt(0) lgkmcnt(0)
	ds_write_b64 v15, v[3:4]
	s_and_b64 s[10:11], s[0:1], s[2:3]
	v_mov_b32_e32 v3, 0
	s_and_saveexec_b64 s[12:13], s[10:11]
	s_cbranch_execz .LBB1920_9
; %bb.8:                                ;   in Loop: Header=BB1920_5 Depth=1
	v_mad_i64_i32 v[2:3], s[2:3], v28, s18, 0
	v_lshlrev_b64 v[2:3], 3, v[2:3]
	v_add_co_u32_e64 v2, s[2:3], v16, v2
	v_addc_co_u32_e64 v3, s[2:3], v17, v3, s[2:3]
	flat_load_dwordx2 v[2:3], v[2:3]
.LBB1920_9:                             ;   in Loop: Header=BB1920_5 Depth=1
	s_or_b64 exec, exec, s[12:13]
	s_waitcnt vmcnt(0) lgkmcnt(0)
	ds_write_b64 v19, v[2:3]
	s_waitcnt lgkmcnt(0)
	s_barrier
	s_and_saveexec_b64 s[2:3], s[4:5]
	s_cbranch_execz .LBB1920_11
; %bb.10:                               ;   in Loop: Header=BB1920_5 Depth=1
	ds_read2_b64 v[2:5], v18 offset1:32
	ds_read_b128 v[6:9], v14
	ds_read_b128 v[29:32], v14 offset:16
	s_waitcnt lgkmcnt(1)
	v_mul_f32_e32 v33, v3, v7
	v_fma_f32 v38, v2, v6, -v33
	ds_read2_b64 v[33:36], v18 offset0:64 offset1:96
	v_mul_f32_e32 v37, v2, v7
	v_mul_f32_e32 v2, v5, v9
	v_fma_f32 v39, v4, v8, -v2
	v_fmac_f32_e32 v37, v3, v6
	s_waitcnt lgkmcnt(0)
	v_mul_f32_e32 v2, v34, v30
	v_mul_f32_e32 v40, v4, v9
	v_fma_f32 v41, v33, v29, -v2
	v_mul_f32_e32 v33, v33, v30
	v_mul_f32_e32 v2, v36, v32
	v_fmac_f32_e32 v40, v5, v8
	v_fmac_f32_e32 v33, v34, v29
	v_fma_f32 v34, v35, v31, -v2
	v_mul_f32_e32 v35, v35, v32
	v_add_f32_e32 v29, 0, v38
	v_add_f32_e32 v30, 0, v37
	v_fmac_f32_e32 v35, v36, v31
	ds_read_b128 v[2:5], v14 offset:32
	ds_read_b128 v[6:9], v14 offset:48
	v_add_f32_e32 v36, v29, v39
	v_add_f32_e32 v37, v30, v40
	ds_read2_b64 v[29:32], v18 offset0:128 offset1:160
	v_add_f32_e32 v33, v37, v33
	v_add_f32_e32 v36, v36, v41
	;; [unrolled: 1-line block ×4, first 2 shown]
	s_waitcnt lgkmcnt(0)
	v_mul_f32_e32 v35, v30, v3
	v_mul_f32_e32 v3, v29, v3
	v_fma_f32 v35, v29, v2, -v35
	v_fmac_f32_e32 v3, v30, v2
	v_add_f32_e32 v2, v34, v35
	v_add_f32_e32 v3, v33, v3
	ds_read2_b64 v[33:36], v18 offset0:192 offset1:224
	v_mul_f32_e32 v29, v32, v5
	v_mul_f32_e32 v5, v31, v5
	v_fma_f32 v29, v31, v4, -v29
	v_fmac_f32_e32 v5, v32, v4
	s_waitcnt lgkmcnt(0)
	v_mul_f32_e32 v4, v34, v7
	v_add_f32_e32 v2, v2, v29
	v_add_f32_e32 v3, v3, v5
	v_fma_f32 v4, v33, v6, -v4
	v_mul_f32_e32 v5, v33, v7
	v_fmac_f32_e32 v5, v34, v6
	v_add_f32_e32 v6, v2, v4
	v_mul_f32_e32 v2, v36, v9
	v_add_f32_e32 v7, v3, v5
	v_fma_f32 v33, v35, v8, -v2
	ds_read_b128 v[2:5], v14 offset:64
	ds_read2_b64 v[29:32], v24 offset1:32
	v_mul_f32_e32 v9, v35, v9
	v_fmac_f32_e32 v9, v36, v8
	v_add_f32_e32 v33, v6, v33
	v_add_f32_e32 v34, v7, v9
	s_waitcnt lgkmcnt(0)
	v_mul_f32_e32 v35, v30, v3
	v_mul_f32_e32 v3, v29, v3
	v_fma_f32 v35, v29, v2, -v35
	v_fmac_f32_e32 v3, v30, v2
	ds_read_b128 v[6:9], v14 offset:80
	v_add_f32_e32 v2, v33, v35
	v_add_f32_e32 v3, v34, v3
	ds_read2_b64 v[33:36], v24 offset0:64 offset1:96
	v_mul_f32_e32 v29, v32, v5
	v_mul_f32_e32 v5, v31, v5
	v_fma_f32 v29, v31, v4, -v29
	v_fmac_f32_e32 v5, v32, v4
	s_waitcnt lgkmcnt(0)
	v_mul_f32_e32 v4, v34, v7
	v_add_f32_e32 v2, v2, v29
	v_add_f32_e32 v3, v3, v5
	v_fma_f32 v4, v33, v6, -v4
	v_mul_f32_e32 v5, v33, v7
	v_fmac_f32_e32 v5, v34, v6
	v_add_f32_e32 v6, v2, v4
	v_mul_f32_e32 v2, v36, v9
	v_add_f32_e32 v7, v3, v5
	v_fma_f32 v33, v35, v8, -v2
	ds_read_b128 v[2:5], v14 offset:96
	ds_read2_b64 v[29:32], v24 offset0:128 offset1:160
	v_mul_f32_e32 v9, v35, v9
	v_fmac_f32_e32 v9, v36, v8
	v_add_f32_e32 v33, v6, v33
	v_add_f32_e32 v34, v7, v9
	s_waitcnt lgkmcnt(0)
	v_mul_f32_e32 v35, v30, v3
	v_mul_f32_e32 v3, v29, v3
	v_fma_f32 v35, v29, v2, -v35
	v_fmac_f32_e32 v3, v30, v2
	ds_read_b128 v[6:9], v14 offset:112
	v_add_f32_e32 v2, v33, v35
	v_add_f32_e32 v3, v34, v3
	ds_read2_b64 v[33:36], v24 offset0:192 offset1:224
	v_mul_f32_e32 v29, v32, v5
	v_mul_f32_e32 v5, v31, v5
	v_fma_f32 v29, v31, v4, -v29
	v_fmac_f32_e32 v5, v32, v4
	s_waitcnt lgkmcnt(0)
	v_mul_f32_e32 v4, v34, v7
	v_add_f32_e32 v2, v2, v29
	v_add_f32_e32 v3, v3, v5
	v_fma_f32 v4, v33, v6, -v4
	v_mul_f32_e32 v5, v33, v7
	v_fmac_f32_e32 v5, v34, v6
	v_add_f32_e32 v6, v2, v4
	v_mul_f32_e32 v2, v36, v9
	v_add_f32_e32 v7, v3, v5
	v_fma_f32 v33, v35, v8, -v2
	ds_read_b128 v[2:5], v14 offset:128
	ds_read2_b64 v[29:32], v25 offset1:32
	v_mul_f32_e32 v9, v35, v9
	v_fmac_f32_e32 v9, v36, v8
	v_add_f32_e32 v6, v6, v33
	ds_read_b128 v[33:36], v14 offset:144
	ds_read2_b64 v[37:40], v25 offset0:64 offset1:96
	s_waitcnt lgkmcnt(2)
	v_mul_f32_e32 v8, v30, v3
	v_fma_f32 v8, v29, v2, -v8
	v_mul_f32_e32 v3, v29, v3
	v_add_f32_e32 v7, v7, v9
	v_fmac_f32_e32 v3, v30, v2
	v_add_f32_e32 v2, v6, v8
	v_mul_f32_e32 v6, v32, v5
	v_mul_f32_e32 v5, v31, v5
	v_add_f32_e32 v3, v7, v3
	v_fma_f32 v6, v31, v4, -v6
	v_fmac_f32_e32 v5, v32, v4
	s_waitcnt lgkmcnt(0)
	v_mul_f32_e32 v4, v38, v34
	v_add_f32_e32 v2, v2, v6
	v_add_f32_e32 v3, v3, v5
	v_fma_f32 v4, v37, v33, -v4
	v_mul_f32_e32 v5, v37, v34
	v_fmac_f32_e32 v5, v38, v33
	v_add_f32_e32 v29, v2, v4
	v_mul_f32_e32 v2, v40, v36
	v_add_f32_e32 v30, v3, v5
	v_fma_f32 v31, v39, v35, -v2
	ds_read_b128 v[2:5], v14 offset:160
	ds_read2_b64 v[6:9], v25 offset0:128 offset1:160
	v_mul_f32_e32 v32, v39, v36
	v_fmac_f32_e32 v32, v40, v35
	v_add_f32_e32 v35, v29, v31
	v_add_f32_e32 v36, v30, v32
	s_waitcnt lgkmcnt(0)
	v_mul_f32_e32 v33, v7, v3
	v_fma_f32 v37, v6, v2, -v33
	flat_load_dwordx2 v[33:34], v[10:11]
	v_mul_f32_e32 v6, v6, v3
	v_fmac_f32_e32 v6, v7, v2
	v_mul_f32_e32 v2, v9, v5
	v_fma_f32 v7, v8, v4, -v2
	v_mul_f32_e32 v8, v8, v5
	ds_read_b128 v[29:32], v14 offset:176
	v_fmac_f32_e32 v8, v9, v4
	ds_read2_b64 v[2:5], v25 offset0:192 offset1:224
	v_add_f32_e32 v6, v36, v6
	v_add_f32_e32 v9, v35, v37
	;; [unrolled: 1-line block ×4, first 2 shown]
	s_waitcnt lgkmcnt(0)
	v_mul_f32_e32 v6, v3, v30
	v_fma_f32 v6, v2, v29, -v6
	v_mul_f32_e32 v30, v2, v30
	v_mul_f32_e32 v2, v5, v32
	;; [unrolled: 1-line block ×3, first 2 shown]
	v_fmac_f32_e32 v30, v3, v29
	v_add_f32_e32 v29, v7, v6
	v_fma_f32 v36, v4, v31, -v2
	v_fmac_f32_e32 v32, v5, v31
	ds_read_b128 v[2:5], v14 offset:192
	ds_read2_b64 v[6:9], v26 offset1:32
	v_add_f32_e32 v30, v35, v30
	v_add_f32_e32 v35, v29, v36
	;; [unrolled: 1-line block ×3, first 2 shown]
	ds_read_b128 v[29:32], v14 offset:208
	s_waitcnt lgkmcnt(0)
	v_mul_f32_e32 v37, v7, v3
	v_fma_f32 v37, v6, v2, -v37
	v_mul_f32_e32 v6, v6, v3
	v_fmac_f32_e32 v6, v7, v2
	v_mul_f32_e32 v2, v9, v5
	v_fma_f32 v7, v8, v4, -v2
	v_mul_f32_e32 v8, v8, v5
	v_fmac_f32_e32 v8, v9, v4
	ds_read2_b64 v[2:5], v26 offset0:64 offset1:96
	v_add_f32_e32 v6, v36, v6
	v_add_f32_e32 v9, v35, v37
	;; [unrolled: 1-line block ×4, first 2 shown]
	s_waitcnt lgkmcnt(0)
	v_mul_f32_e32 v6, v3, v30
	v_fma_f32 v6, v2, v29, -v6
	v_mul_f32_e32 v30, v2, v30
	v_mul_f32_e32 v2, v5, v32
	;; [unrolled: 1-line block ×3, first 2 shown]
	v_fmac_f32_e32 v30, v3, v29
	v_add_f32_e32 v29, v7, v6
	v_fma_f32 v36, v4, v31, -v2
	v_fmac_f32_e32 v32, v5, v31
	ds_read_b128 v[2:5], v14 offset:224
	ds_read2_b64 v[6:9], v26 offset0:128 offset1:160
	v_add_f32_e32 v30, v35, v30
	v_add_f32_e32 v35, v29, v36
	;; [unrolled: 1-line block ×3, first 2 shown]
	ds_read_b128 v[29:32], v14 offset:240
	s_waitcnt lgkmcnt(0)
	v_mul_f32_e32 v37, v7, v3
	v_fma_f32 v37, v6, v2, -v37
	v_mul_f32_e32 v6, v6, v3
	v_fmac_f32_e32 v6, v7, v2
	v_mul_f32_e32 v2, v9, v5
	v_fma_f32 v7, v8, v4, -v2
	v_mul_f32_e32 v8, v8, v5
	v_fmac_f32_e32 v8, v9, v4
	ds_read2_b64 v[2:5], v26 offset0:192 offset1:224
	v_add_f32_e32 v6, v36, v6
	v_add_f32_e32 v6, v6, v8
	;; [unrolled: 1-line block ×4, first 2 shown]
	s_waitcnt lgkmcnt(0)
	v_mul_f32_e32 v8, v3, v30
	v_fma_f32 v8, v2, v29, -v8
	v_mul_f32_e32 v2, v2, v30
	v_fmac_f32_e32 v2, v3, v29
	v_add_f32_e32 v2, v6, v2
	v_mul_f32_e32 v6, v5, v32
	v_fma_f32 v6, v4, v31, -v6
	v_mul_f32_e32 v4, v4, v32
	v_fmac_f32_e32 v4, v5, v31
	v_add_f32_e32 v3, v7, v8
	v_add_f32_e32 v2, v2, v4
	;; [unrolled: 1-line block ×3, first 2 shown]
	v_mul_f32_e32 v4, s16, v2
	v_mul_f32_e32 v5, s15, v2
	v_fma_f32 v4, s15, v3, -v4
	v_fmac_f32_e32 v5, s16, v3
	s_waitcnt vmcnt(0)
	v_add_f32_e32 v2, v33, v4
	v_add_f32_e32 v3, v34, v5
	flat_store_dwordx2 v[10:11], v[2:3]
.LBB1920_11:                            ;   in Loop: Header=BB1920_5 Depth=1
	s_or_b64 exec, exec, s[2:3]
	v_mov_b32_e32 v3, 0
	v_mov_b32_e32 v5, 0
	;; [unrolled: 1-line block ×3, first 2 shown]
	s_waitcnt vmcnt(0) lgkmcnt(0)
	s_barrier
	s_and_saveexec_b64 s[12:13], s[6:7]
	s_cbranch_execz .LBB1920_13
; %bb.12:                               ;   in Loop: Header=BB1920_5 Depth=1
	v_mad_i64_i32 v[4:5], s[2:3], v27, s18, 0
	v_lshlrev_b64 v[4:5], 3, v[4:5]
	v_add_co_u32_e64 v4, s[2:3], v20, v4
	v_addc_co_u32_e64 v5, s[2:3], v21, v5, s[2:3]
	flat_load_dwordx2 v[4:5], v[4:5]
.LBB1920_13:                            ;   in Loop: Header=BB1920_5 Depth=1
	s_or_b64 exec, exec, s[12:13]
	v_mov_b32_e32 v2, 0
	s_waitcnt vmcnt(0) lgkmcnt(0)
	ds_write_b64 v15, v[4:5]
	s_and_saveexec_b64 s[6:7], s[10:11]
	s_cbranch_execz .LBB1920_15
; %bb.14:                               ;   in Loop: Header=BB1920_5 Depth=1
	v_mad_i64_i32 v[2:3], s[2:3], v28, s17, 0
	v_lshlrev_b64 v[2:3], 3, v[2:3]
	v_add_co_u32_e64 v2, s[2:3], v22, v2
	v_addc_co_u32_e64 v3, s[2:3], v23, v3, s[2:3]
	flat_load_dwordx2 v[2:3], v[2:3]
.LBB1920_15:                            ;   in Loop: Header=BB1920_5 Depth=1
	s_or_b64 exec, exec, s[6:7]
	s_waitcnt vmcnt(0) lgkmcnt(0)
	ds_write_b64 v19, v[2:3]
	s_waitcnt lgkmcnt(0)
	s_barrier
	s_and_saveexec_b64 s[2:3], s[4:5]
	s_cbranch_execz .LBB1920_4
; %bb.16:                               ;   in Loop: Header=BB1920_5 Depth=1
	ds_read2_b64 v[2:5], v18 offset1:32
	ds_read_b128 v[6:9], v14
	ds_read_b128 v[27:30], v14 offset:16
	s_waitcnt lgkmcnt(1)
	v_mul_f32_e32 v31, v3, v7
	v_mul_f32_e32 v35, v2, v7
	v_fma_f32 v36, v2, v6, -v31
	v_mul_f32_e32 v2, v5, v9
	v_mul_f32_e32 v38, v4, v9
	v_fmac_f32_e32 v35, v3, v6
	v_fma_f32 v37, v4, v8, -v2
	v_fmac_f32_e32 v38, v5, v8
	ds_read_b128 v[2:5], v14 offset:32
	ds_read_b128 v[6:9], v14 offset:48
	ds_read2_b64 v[31:34], v18 offset0:64 offset1:96
	v_add_f32_e32 v36, 0, v36
	v_add_f32_e32 v36, v36, v37
	v_add_f32_e32 v35, 0, v35
	v_add_f32_e32 v35, v35, v38
	s_waitcnt lgkmcnt(0)
	v_mul_f32_e32 v37, v32, v28
	v_fma_f32 v37, v31, v27, -v37
	v_mul_f32_e32 v31, v31, v28
	v_fmac_f32_e32 v31, v32, v27
	v_mul_f32_e32 v27, v34, v30
	v_fma_f32 v32, v33, v29, -v27
	v_mul_f32_e32 v33, v33, v30
	v_fmac_f32_e32 v33, v34, v29
	ds_read2_b64 v[27:30], v18 offset0:128 offset1:160
	v_add_f32_e32 v31, v35, v31
	v_add_f32_e32 v34, v36, v37
	;; [unrolled: 1-line block ×4, first 2 shown]
	s_waitcnt lgkmcnt(0)
	v_mul_f32_e32 v33, v28, v3
	v_mul_f32_e32 v3, v27, v3
	v_fma_f32 v33, v27, v2, -v33
	v_fmac_f32_e32 v3, v28, v2
	v_add_f32_e32 v2, v32, v33
	v_add_f32_e32 v3, v31, v3
	ds_read2_b64 v[31:34], v18 offset0:192 offset1:224
	v_mul_f32_e32 v27, v30, v5
	v_mul_f32_e32 v5, v29, v5
	v_fma_f32 v27, v29, v4, -v27
	v_fmac_f32_e32 v5, v30, v4
	s_waitcnt lgkmcnt(0)
	v_mul_f32_e32 v4, v32, v7
	v_add_f32_e32 v2, v2, v27
	v_add_f32_e32 v3, v3, v5
	v_fma_f32 v4, v31, v6, -v4
	v_mul_f32_e32 v5, v31, v7
	v_fmac_f32_e32 v5, v32, v6
	v_add_f32_e32 v6, v2, v4
	v_mul_f32_e32 v2, v34, v9
	v_add_f32_e32 v7, v3, v5
	v_fma_f32 v31, v33, v8, -v2
	ds_read_b128 v[2:5], v14 offset:64
	ds_read2_b64 v[27:30], v24 offset1:32
	v_mul_f32_e32 v9, v33, v9
	v_fmac_f32_e32 v9, v34, v8
	v_add_f32_e32 v31, v6, v31
	v_add_f32_e32 v32, v7, v9
	s_waitcnt lgkmcnt(0)
	v_mul_f32_e32 v33, v28, v3
	v_mul_f32_e32 v3, v27, v3
	v_fma_f32 v33, v27, v2, -v33
	v_fmac_f32_e32 v3, v28, v2
	ds_read_b128 v[6:9], v14 offset:80
	v_add_f32_e32 v2, v31, v33
	v_add_f32_e32 v3, v32, v3
	ds_read2_b64 v[31:34], v24 offset0:64 offset1:96
	v_mul_f32_e32 v27, v30, v5
	v_mul_f32_e32 v5, v29, v5
	v_fma_f32 v27, v29, v4, -v27
	v_fmac_f32_e32 v5, v30, v4
	s_waitcnt lgkmcnt(0)
	v_mul_f32_e32 v4, v32, v7
	v_add_f32_e32 v2, v2, v27
	v_add_f32_e32 v3, v3, v5
	v_fma_f32 v4, v31, v6, -v4
	v_mul_f32_e32 v5, v31, v7
	v_fmac_f32_e32 v5, v32, v6
	v_add_f32_e32 v6, v2, v4
	v_mul_f32_e32 v2, v34, v9
	v_add_f32_e32 v7, v3, v5
	v_fma_f32 v31, v33, v8, -v2
	ds_read_b128 v[2:5], v14 offset:96
	ds_read2_b64 v[27:30], v24 offset0:128 offset1:160
	v_mul_f32_e32 v9, v33, v9
	v_fmac_f32_e32 v9, v34, v8
	v_add_f32_e32 v31, v6, v31
	v_add_f32_e32 v32, v7, v9
	s_waitcnt lgkmcnt(0)
	v_mul_f32_e32 v33, v28, v3
	v_mul_f32_e32 v3, v27, v3
	v_fma_f32 v33, v27, v2, -v33
	v_fmac_f32_e32 v3, v28, v2
	ds_read_b128 v[6:9], v14 offset:112
	v_add_f32_e32 v2, v31, v33
	v_add_f32_e32 v3, v32, v3
	ds_read2_b64 v[31:34], v24 offset0:192 offset1:224
	v_mul_f32_e32 v27, v30, v5
	v_mul_f32_e32 v5, v29, v5
	v_fma_f32 v27, v29, v4, -v27
	v_fmac_f32_e32 v5, v30, v4
	s_waitcnt lgkmcnt(0)
	v_mul_f32_e32 v4, v32, v7
	v_add_f32_e32 v2, v2, v27
	v_add_f32_e32 v3, v3, v5
	v_fma_f32 v4, v31, v6, -v4
	v_mul_f32_e32 v5, v31, v7
	v_fmac_f32_e32 v5, v32, v6
	v_add_f32_e32 v6, v2, v4
	v_mul_f32_e32 v2, v34, v9
	v_add_f32_e32 v7, v3, v5
	v_fma_f32 v31, v33, v8, -v2
	ds_read_b128 v[2:5], v14 offset:128
	ds_read2_b64 v[27:30], v25 offset1:32
	v_mul_f32_e32 v9, v33, v9
	v_fmac_f32_e32 v9, v34, v8
	v_add_f32_e32 v6, v6, v31
	ds_read_b128 v[31:34], v14 offset:144
	ds_read2_b64 v[35:38], v25 offset0:64 offset1:96
	s_waitcnt lgkmcnt(2)
	v_mul_f32_e32 v8, v28, v3
	v_fma_f32 v8, v27, v2, -v8
	v_mul_f32_e32 v3, v27, v3
	v_add_f32_e32 v7, v7, v9
	v_fmac_f32_e32 v3, v28, v2
	v_add_f32_e32 v2, v6, v8
	v_mul_f32_e32 v6, v30, v5
	v_mul_f32_e32 v5, v29, v5
	v_add_f32_e32 v3, v7, v3
	v_fma_f32 v6, v29, v4, -v6
	v_fmac_f32_e32 v5, v30, v4
	s_waitcnt lgkmcnt(0)
	v_mul_f32_e32 v4, v36, v32
	v_add_f32_e32 v2, v2, v6
	v_add_f32_e32 v3, v3, v5
	v_fma_f32 v4, v35, v31, -v4
	v_mul_f32_e32 v5, v35, v32
	v_fmac_f32_e32 v5, v36, v31
	v_add_f32_e32 v27, v2, v4
	v_mul_f32_e32 v2, v38, v34
	v_add_f32_e32 v28, v3, v5
	v_fma_f32 v29, v37, v33, -v2
	ds_read_b128 v[2:5], v14 offset:160
	ds_read2_b64 v[6:9], v25 offset0:128 offset1:160
	flat_load_dwordx2 v[35:36], v[10:11]
	v_mul_f32_e32 v30, v37, v34
	v_fmac_f32_e32 v30, v38, v33
	v_add_f32_e32 v31, v27, v29
	s_waitcnt lgkmcnt(0)
	v_mul_f32_e32 v33, v7, v3
	v_mul_f32_e32 v3, v6, v3
	v_add_f32_e32 v32, v28, v30
	v_fma_f32 v33, v6, v2, -v33
	v_fmac_f32_e32 v3, v7, v2
	ds_read_b128 v[27:30], v14 offset:176
	v_add_f32_e32 v2, v31, v33
	v_add_f32_e32 v3, v32, v3
	ds_read2_b64 v[31:34], v25 offset0:192 offset1:224
	v_mul_f32_e32 v6, v9, v5
	v_mul_f32_e32 v5, v8, v5
	v_fma_f32 v6, v8, v4, -v6
	v_fmac_f32_e32 v5, v9, v4
	s_waitcnt lgkmcnt(0)
	v_mul_f32_e32 v4, v32, v28
	v_add_f32_e32 v2, v2, v6
	v_add_f32_e32 v3, v3, v5
	v_fma_f32 v4, v31, v27, -v4
	v_mul_f32_e32 v5, v31, v28
	v_fmac_f32_e32 v5, v32, v27
	v_add_f32_e32 v27, v2, v4
	v_mul_f32_e32 v2, v34, v30
	v_add_f32_e32 v28, v3, v5
	v_fma_f32 v31, v33, v29, -v2
	ds_read_b128 v[2:5], v14 offset:192
	ds_read2_b64 v[6:9], v26 offset1:32
	v_mul_f32_e32 v30, v33, v30
	v_fmac_f32_e32 v30, v34, v29
	v_add_f32_e32 v31, v27, v31
	v_add_f32_e32 v32, v28, v30
	s_waitcnt lgkmcnt(0)
	v_mul_f32_e32 v33, v7, v3
	v_mul_f32_e32 v3, v6, v3
	v_fma_f32 v33, v6, v2, -v33
	v_fmac_f32_e32 v3, v7, v2
	ds_read_b128 v[27:30], v14 offset:208
	v_add_f32_e32 v2, v31, v33
	v_add_f32_e32 v3, v32, v3
	ds_read2_b64 v[31:34], v26 offset0:64 offset1:96
	v_mul_f32_e32 v6, v9, v5
	v_mul_f32_e32 v5, v8, v5
	v_fma_f32 v6, v8, v4, -v6
	v_fmac_f32_e32 v5, v9, v4
	s_waitcnt lgkmcnt(0)
	v_mul_f32_e32 v4, v32, v28
	v_add_f32_e32 v2, v2, v6
	v_add_f32_e32 v3, v3, v5
	v_fma_f32 v4, v31, v27, -v4
	v_mul_f32_e32 v5, v31, v28
	v_fmac_f32_e32 v5, v32, v27
	v_add_f32_e32 v27, v2, v4
	v_mul_f32_e32 v2, v34, v30
	v_add_f32_e32 v28, v3, v5
	v_fma_f32 v31, v33, v29, -v2
	ds_read_b128 v[2:5], v14 offset:224
	ds_read2_b64 v[6:9], v26 offset0:128 offset1:160
	v_mul_f32_e32 v30, v33, v30
	v_fmac_f32_e32 v30, v34, v29
	v_add_f32_e32 v31, v27, v31
	v_add_f32_e32 v32, v28, v30
	s_waitcnt lgkmcnt(0)
	v_mul_f32_e32 v33, v7, v3
	v_mul_f32_e32 v3, v6, v3
	v_fma_f32 v33, v6, v2, -v33
	v_fmac_f32_e32 v3, v7, v2
	ds_read_b128 v[27:30], v14 offset:240
	v_add_f32_e32 v2, v31, v33
	v_add_f32_e32 v3, v32, v3
	ds_read2_b64 v[31:34], v26 offset0:192 offset1:224
	v_mul_f32_e32 v6, v9, v5
	v_mul_f32_e32 v5, v8, v5
	v_fmac_f32_e32 v5, v9, v4
	v_fma_f32 v6, v8, v4, -v6
	v_add_f32_e32 v3, v3, v5
	s_waitcnt lgkmcnt(0)
	v_mul_f32_e32 v4, v32, v28
	v_mul_f32_e32 v5, v31, v28
	v_add_f32_e32 v2, v2, v6
	v_fma_f32 v4, v31, v27, -v4
	v_fmac_f32_e32 v5, v32, v27
	v_add_f32_e32 v2, v2, v4
	v_add_f32_e32 v3, v3, v5
	v_mul_f32_e32 v4, v34, v30
	v_mul_f32_e32 v5, v33, v30
	v_fma_f32 v4, v33, v29, -v4
	v_fmac_f32_e32 v5, v34, v29
	v_add_f32_e32 v2, v2, v4
	v_add_f32_e32 v3, v3, v5
	v_mul_f32_e32 v4, s16, v3
	v_mul_f32_e32 v5, s16, v2
	v_fma_f32 v4, s15, v2, -v4
	v_fmac_f32_e32 v5, s15, v3
	s_waitcnt vmcnt(0)
	v_add_f32_e32 v2, v35, v4
	v_add_f32_e32 v3, v36, v5
	flat_store_dwordx2 v[10:11], v[2:3]
	s_branch .LBB1920_4
.LBB1920_17:
	s_endpgm
	.section	.rodata,"a",@progbits
	.p2align	6, 0x0
	.amdhsa_kernel _ZL26rocblas_syr2k_her2k_kernelIiLb1ELb0ELb0ELi32E19rocblas_complex_numIfEPKPKS1_PKPS1_EvbiT_T4_T5_S9_lSB_S9_lT6_S9_li
		.amdhsa_group_segment_fixed_size 16384
		.amdhsa_private_segment_fixed_size 0
		.amdhsa_kernarg_size 100
		.amdhsa_user_sgpr_count 6
		.amdhsa_user_sgpr_private_segment_buffer 1
		.amdhsa_user_sgpr_dispatch_ptr 0
		.amdhsa_user_sgpr_queue_ptr 0
		.amdhsa_user_sgpr_kernarg_segment_ptr 1
		.amdhsa_user_sgpr_dispatch_id 0
		.amdhsa_user_sgpr_flat_scratch_init 0
		.amdhsa_user_sgpr_private_segment_size 0
		.amdhsa_uses_dynamic_stack 0
		.amdhsa_system_sgpr_private_segment_wavefront_offset 0
		.amdhsa_system_sgpr_workgroup_id_x 1
		.amdhsa_system_sgpr_workgroup_id_y 1
		.amdhsa_system_sgpr_workgroup_id_z 1
		.amdhsa_system_sgpr_workgroup_info 0
		.amdhsa_system_vgpr_workitem_id 1
		.amdhsa_next_free_vgpr 42
		.amdhsa_next_free_sgpr 61
		.amdhsa_reserve_vcc 1
		.amdhsa_reserve_flat_scratch 0
		.amdhsa_float_round_mode_32 0
		.amdhsa_float_round_mode_16_64 0
		.amdhsa_float_denorm_mode_32 3
		.amdhsa_float_denorm_mode_16_64 3
		.amdhsa_dx10_clamp 1
		.amdhsa_ieee_mode 1
		.amdhsa_fp16_overflow 0
		.amdhsa_exception_fp_ieee_invalid_op 0
		.amdhsa_exception_fp_denorm_src 0
		.amdhsa_exception_fp_ieee_div_zero 0
		.amdhsa_exception_fp_ieee_overflow 0
		.amdhsa_exception_fp_ieee_underflow 0
		.amdhsa_exception_fp_ieee_inexact 0
		.amdhsa_exception_int_div_zero 0
	.end_amdhsa_kernel
	.section	.text._ZL26rocblas_syr2k_her2k_kernelIiLb1ELb0ELb0ELi32E19rocblas_complex_numIfEPKPKS1_PKPS1_EvbiT_T4_T5_S9_lSB_S9_lT6_S9_li,"axG",@progbits,_ZL26rocblas_syr2k_her2k_kernelIiLb1ELb0ELb0ELi32E19rocblas_complex_numIfEPKPKS1_PKPS1_EvbiT_T4_T5_S9_lSB_S9_lT6_S9_li,comdat
.Lfunc_end1920:
	.size	_ZL26rocblas_syr2k_her2k_kernelIiLb1ELb0ELb0ELi32E19rocblas_complex_numIfEPKPKS1_PKPS1_EvbiT_T4_T5_S9_lSB_S9_lT6_S9_li, .Lfunc_end1920-_ZL26rocblas_syr2k_her2k_kernelIiLb1ELb0ELb0ELi32E19rocblas_complex_numIfEPKPKS1_PKPS1_EvbiT_T4_T5_S9_lSB_S9_lT6_S9_li
                                        ; -- End function
	.set _ZL26rocblas_syr2k_her2k_kernelIiLb1ELb0ELb0ELi32E19rocblas_complex_numIfEPKPKS1_PKPS1_EvbiT_T4_T5_S9_lSB_S9_lT6_S9_li.num_vgpr, 42
	.set _ZL26rocblas_syr2k_her2k_kernelIiLb1ELb0ELb0ELi32E19rocblas_complex_numIfEPKPKS1_PKPS1_EvbiT_T4_T5_S9_lSB_S9_lT6_S9_li.num_agpr, 0
	.set _ZL26rocblas_syr2k_her2k_kernelIiLb1ELb0ELb0ELi32E19rocblas_complex_numIfEPKPKS1_PKPS1_EvbiT_T4_T5_S9_lSB_S9_lT6_S9_li.numbered_sgpr, 28
	.set _ZL26rocblas_syr2k_her2k_kernelIiLb1ELb0ELb0ELi32E19rocblas_complex_numIfEPKPKS1_PKPS1_EvbiT_T4_T5_S9_lSB_S9_lT6_S9_li.num_named_barrier, 0
	.set _ZL26rocblas_syr2k_her2k_kernelIiLb1ELb0ELb0ELi32E19rocblas_complex_numIfEPKPKS1_PKPS1_EvbiT_T4_T5_S9_lSB_S9_lT6_S9_li.private_seg_size, 0
	.set _ZL26rocblas_syr2k_her2k_kernelIiLb1ELb0ELb0ELi32E19rocblas_complex_numIfEPKPKS1_PKPS1_EvbiT_T4_T5_S9_lSB_S9_lT6_S9_li.uses_vcc, 1
	.set _ZL26rocblas_syr2k_her2k_kernelIiLb1ELb0ELb0ELi32E19rocblas_complex_numIfEPKPKS1_PKPS1_EvbiT_T4_T5_S9_lSB_S9_lT6_S9_li.uses_flat_scratch, 0
	.set _ZL26rocblas_syr2k_her2k_kernelIiLb1ELb0ELb0ELi32E19rocblas_complex_numIfEPKPKS1_PKPS1_EvbiT_T4_T5_S9_lSB_S9_lT6_S9_li.has_dyn_sized_stack, 0
	.set _ZL26rocblas_syr2k_her2k_kernelIiLb1ELb0ELb0ELi32E19rocblas_complex_numIfEPKPKS1_PKPS1_EvbiT_T4_T5_S9_lSB_S9_lT6_S9_li.has_recursion, 0
	.set _ZL26rocblas_syr2k_her2k_kernelIiLb1ELb0ELb0ELi32E19rocblas_complex_numIfEPKPKS1_PKPS1_EvbiT_T4_T5_S9_lSB_S9_lT6_S9_li.has_indirect_call, 0
	.section	.AMDGPU.csdata,"",@progbits
; Kernel info:
; codeLenInByte = 3428
; TotalNumSgprs: 32
; NumVgprs: 42
; ScratchSize: 0
; MemoryBound: 0
; FloatMode: 240
; IeeeMode: 1
; LDSByteSize: 16384 bytes/workgroup (compile time only)
; SGPRBlocks: 8
; VGPRBlocks: 10
; NumSGPRsForWavesPerEU: 65
; NumVGPRsForWavesPerEU: 42
; Occupancy: 5
; WaveLimiterHint : 1
; COMPUTE_PGM_RSRC2:SCRATCH_EN: 0
; COMPUTE_PGM_RSRC2:USER_SGPR: 6
; COMPUTE_PGM_RSRC2:TRAP_HANDLER: 0
; COMPUTE_PGM_RSRC2:TGID_X_EN: 1
; COMPUTE_PGM_RSRC2:TGID_Y_EN: 1
; COMPUTE_PGM_RSRC2:TGID_Z_EN: 1
; COMPUTE_PGM_RSRC2:TIDIG_COMP_CNT: 1
	.section	.text._ZL26rocblas_syr2k_her2k_kernelIiLb1ELb0ELb1ELi32E19rocblas_complex_numIfEPKPKS1_PKPS1_EvbiT_T4_T5_S9_lSB_S9_lT6_S9_li,"axG",@progbits,_ZL26rocblas_syr2k_her2k_kernelIiLb1ELb0ELb1ELi32E19rocblas_complex_numIfEPKPKS1_PKPS1_EvbiT_T4_T5_S9_lSB_S9_lT6_S9_li,comdat
	.globl	_ZL26rocblas_syr2k_her2k_kernelIiLb1ELb0ELb1ELi32E19rocblas_complex_numIfEPKPKS1_PKPS1_EvbiT_T4_T5_S9_lSB_S9_lT6_S9_li ; -- Begin function _ZL26rocblas_syr2k_her2k_kernelIiLb1ELb0ELb1ELi32E19rocblas_complex_numIfEPKPKS1_PKPS1_EvbiT_T4_T5_S9_lSB_S9_lT6_S9_li
	.p2align	8
	.type	_ZL26rocblas_syr2k_her2k_kernelIiLb1ELb0ELb1ELi32E19rocblas_complex_numIfEPKPKS1_PKPS1_EvbiT_T4_T5_S9_lSB_S9_lT6_S9_li,@function
_ZL26rocblas_syr2k_her2k_kernelIiLb1ELb0ELb1ELi32E19rocblas_complex_numIfEPKPKS1_PKPS1_EvbiT_T4_T5_S9_lSB_S9_lT6_S9_li: ; @_ZL26rocblas_syr2k_her2k_kernelIiLb1ELb0ELb1ELi32E19rocblas_complex_numIfEPKPKS1_PKPS1_EvbiT_T4_T5_S9_lSB_S9_lT6_S9_li
; %bb.0:
	s_load_dwordx4 s[12:15], s[4:5], 0x0
	s_load_dword s16, s[4:5], 0x10
	s_waitcnt lgkmcnt(0)
	v_cmp_eq_f32_e64 s[0:1], s15, 0
	v_cmp_eq_f32_e64 s[2:3], s16, 0
	s_and_b64 s[0:1], s[0:1], s[2:3]
	s_and_b64 vcc, exec, s[0:1]
	s_cbranch_vccnz .LBB1921_17
; %bb.1:
	s_and_b32 s2, 1, s12
	s_lshl_b32 s0, s7, 5
	s_lshl_b32 s1, s6, 5
	s_cmp_eq_u32 s2, 1
	s_cselect_b64 vcc, -1, 0
	s_and_b64 s[2:3], vcc, exec
	s_cselect_b32 s2, s1, s0
	s_cselect_b32 s3, s0, s1
	s_cmp_gt_i32 s2, s3
	s_cbranch_scc1 .LBB1921_17
; %bb.2:
	s_cmp_lt_i32 s14, 1
	s_cbranch_scc1 .LBB1921_17
; %bb.3:
	s_mov_b32 s9, 0
	s_load_dwordx2 s[2:3], s[4:5], 0x18
	s_load_dword s12, s[4:5], 0x20
	s_load_dwordx4 s[20:23], s[4:5], 0x28
	s_load_dword s17, s[4:5], 0x38
	s_load_dwordx4 s[24:27], s[4:5], 0x40
	s_load_dword s28, s[4:5], 0x50
	s_lshl_b64 s[6:7], s[8:9], 3
	s_waitcnt lgkmcnt(0)
	s_add_u32 s2, s2, s6
	s_addc_u32 s3, s3, s7
	s_load_dwordx2 s[2:3], s[2:3], 0x0
	s_add_u32 s10, s22, s6
	v_add_u32_e32 v2, s1, v0
	s_addc_u32 s11, s23, s7
	v_add_u32_e32 v7, s0, v1
	v_mad_i64_i32 v[4:5], s[0:1], s12, v2, 0
	s_add_u32 s6, s26, s6
	s_addc_u32 s7, s27, s7
	s_load_dwordx2 s[10:11], s[10:11], 0x0
	s_nop 0
	s_load_dwordx2 s[18:19], s[6:7], 0x0
	s_load_dwordx2 s[22:23], s[4:5], 0x58
	s_lshl_b64 s[4:5], s[20:21], 3
	s_waitcnt lgkmcnt(0)
	s_add_u32 s6, s2, s4
	v_lshlrev_b64 v[4:5], 3, v[4:5]
	s_addc_u32 s7, s3, s5
	v_mov_b32_e32 v9, s7
	v_add_co_u32_e64 v16, s[0:1], s6, v4
	v_addc_co_u32_e64 v17, s[0:1], v9, v5, s[0:1]
	v_mad_i64_i32 v[4:5], s[0:1], s17, v7, 0
	s_lshl_b64 s[2:3], s[24:25], 3
	s_add_u32 s8, s10, s2
	s_addc_u32 s10, s11, s3
	s_lshl_b64 s[2:3], s[22:23], 3
	v_lshlrev_b64 v[4:5], 3, v[4:5]
	s_add_u32 s11, s18, s2
	s_addc_u32 s18, s19, s3
	v_mov_b32_e32 v10, s10
	v_add_co_u32_e64 v20, s[2:3], s8, v4
	v_addc_co_u32_e64 v21, s[2:3], v10, v5, s[2:3]
	v_mad_i64_i32 v[4:5], s[2:3], s28, v7, 0
	v_cndmask_b32_e32 v6, v2, v7, vcc
	v_cndmask_b32_e32 v8, v7, v2, vcc
	v_cmp_gt_i32_e32 vcc, s13, v2
	v_cmp_gt_i32_e64 s[0:1], s13, v7
	v_lshlrev_b64 v[4:5], 3, v[4:5]
	v_cmp_le_i32_e64 s[2:3], v8, v6
	s_and_b64 s[4:5], s[0:1], vcc
	v_lshlrev_b32_e32 v18, 8, v0
	v_lshlrev_b32_e32 v9, 3, v1
	s_and_b64 s[4:5], s[4:5], s[2:3]
	v_mov_b32_e32 v6, s18
	v_add_co_u32_e64 v8, s[2:3], s11, v4
	v_ashrrev_i32_e32 v3, 31, v2
	v_add_u32_e32 v19, v18, v9
	v_or_b32_e32 v22, 0x2000, v9
	v_addc_co_u32_e64 v9, s[2:3], v6, v5, s[2:3]
	v_mad_i64_i32 v[5:6], s[2:3], s17, v2, 0
	v_lshlrev_b64 v[3:4], 3, v[2:3]
	v_add_u32_e32 v23, v22, v18
	v_add_co_u32_e64 v10, s[2:3], v8, v3
	v_addc_co_u32_e64 v11, s[2:3], v9, v4, s[2:3]
	v_lshlrev_b64 v[2:3], 3, v[5:6]
	v_mad_i64_i32 v[4:5], s[2:3], s12, v7, 0
	v_mov_b32_e32 v6, s10
	v_add_co_u32_e64 v24, s[2:3], s8, v2
	v_addc_co_u32_e64 v25, s[2:3], v6, v3, s[2:3]
	v_lshlrev_b64 v[2:3], 3, v[4:5]
	v_mov_b32_e32 v4, s7
	v_add_co_u32_e64 v26, s[2:3], s6, v2
	v_addc_co_u32_e64 v27, s[2:3], v4, v3, s[2:3]
	v_add_u32_e32 v28, 0x800, v22
	v_add_u32_e32 v29, 0x1000, v22
	;; [unrolled: 1-line block ×3, first 2 shown]
	s_branch .LBB1921_5
.LBB1921_4:                             ;   in Loop: Header=BB1921_5 Depth=1
	s_or_b64 exec, exec, s[2:3]
	s_add_i32 s9, s9, 32
	s_cmp_lt_i32 s9, s14
	s_waitcnt vmcnt(0) lgkmcnt(0)
	s_barrier
	s_cbranch_scc0 .LBB1921_17
.LBB1921_5:                             ; =>This Inner Loop Header: Depth=1
	v_add_u32_e32 v12, s9, v1
	v_cmp_gt_i32_e64 s[2:3], s14, v12
	s_and_b64 s[6:7], vcc, s[2:3]
	v_mov_b32_e32 v2, 0
	v_mov_b32_e32 v3, 0
	v_mov_b32_e32 v4, 0
	s_and_saveexec_b64 s[10:11], s[6:7]
	s_cbranch_execz .LBB1921_7
; %bb.6:                                ;   in Loop: Header=BB1921_5 Depth=1
	v_ashrrev_i32_e32 v13, 31, v12
	v_lshlrev_b64 v[3:4], 3, v[12:13]
	v_add_co_u32_e64 v3, s[2:3], v16, v3
	v_addc_co_u32_e64 v4, s[2:3], v17, v4, s[2:3]
	flat_load_dwordx2 v[3:4], v[3:4]
.LBB1921_7:                             ;   in Loop: Header=BB1921_5 Depth=1
	s_or_b64 exec, exec, s[10:11]
	v_add_u32_e32 v14, s9, v0
	v_cmp_gt_i32_e64 s[2:3], s14, v14
	s_waitcnt vmcnt(0) lgkmcnt(0)
	ds_write_b64 v19, v[3:4]
	s_and_b64 s[10:11], s[0:1], s[2:3]
	v_mov_b32_e32 v3, 0
	s_and_saveexec_b64 s[12:13], s[10:11]
	s_cbranch_execz .LBB1921_9
; %bb.8:                                ;   in Loop: Header=BB1921_5 Depth=1
	v_ashrrev_i32_e32 v15, 31, v14
	v_lshlrev_b64 v[2:3], 3, v[14:15]
	v_add_co_u32_e64 v2, s[2:3], v20, v2
	v_addc_co_u32_e64 v3, s[2:3], v21, v3, s[2:3]
	flat_load_dwordx2 v[2:3], v[2:3]
.LBB1921_9:                             ;   in Loop: Header=BB1921_5 Depth=1
	s_or_b64 exec, exec, s[12:13]
	s_waitcnt vmcnt(0) lgkmcnt(0)
	ds_write_b64 v23, v[2:3]
	s_waitcnt lgkmcnt(0)
	s_barrier
	s_and_saveexec_b64 s[2:3], s[4:5]
	s_cbranch_execz .LBB1921_11
; %bb.10:                               ;   in Loop: Header=BB1921_5 Depth=1
	ds_read2_b64 v[2:5], v22 offset1:32
	ds_read_b128 v[6:9], v18
	ds_read_b128 v[31:34], v18 offset:16
	ds_read2_b64 v[35:38], v22 offset0:64 offset1:96
	s_waitcnt lgkmcnt(2)
	v_mul_f32_e32 v13, v3, v7
	v_mul_f32_e32 v15, v2, v7
	v_fma_f32 v13, v2, v6, -v13
	v_mul_f32_e32 v2, v5, v9
	v_fma_f32 v39, v4, v8, -v2
	s_waitcnt lgkmcnt(0)
	v_mul_f32_e32 v2, v36, v32
	v_fma_f32 v41, v35, v31, -v2
	v_mul_f32_e32 v35, v35, v32
	v_mul_f32_e32 v2, v38, v34
	v_mul_f32_e32 v40, v4, v9
	v_fmac_f32_e32 v35, v36, v31
	v_fma_f32 v36, v37, v33, -v2
	v_mul_f32_e32 v37, v37, v34
	v_fmac_f32_e32 v15, v3, v6
	v_fmac_f32_e32 v40, v5, v8
	;; [unrolled: 1-line block ×3, first 2 shown]
	ds_read_b128 v[2:5], v18 offset:32
	ds_read_b128 v[6:9], v18 offset:48
	ds_read2_b64 v[31:34], v22 offset0:128 offset1:160
	v_add_f32_e32 v13, 0, v13
	v_add_f32_e32 v15, 0, v15
	;; [unrolled: 1-line block ×6, first 2 shown]
	s_waitcnt lgkmcnt(0)
	v_mul_f32_e32 v35, v32, v3
	v_add_f32_e32 v13, v13, v36
	v_fma_f32 v35, v31, v2, -v35
	v_mul_f32_e32 v3, v31, v3
	v_add_f32_e32 v15, v15, v37
	v_fmac_f32_e32 v3, v32, v2
	v_add_f32_e32 v2, v13, v35
	ds_read2_b64 v[35:38], v22 offset0:192 offset1:224
	v_mul_f32_e32 v13, v34, v5
	v_mul_f32_e32 v5, v33, v5
	v_add_f32_e32 v3, v15, v3
	v_fma_f32 v13, v33, v4, -v13
	v_fmac_f32_e32 v5, v34, v4
	s_waitcnt lgkmcnt(0)
	v_mul_f32_e32 v4, v36, v7
	v_add_f32_e32 v2, v2, v13
	v_add_f32_e32 v3, v3, v5
	v_fma_f32 v4, v35, v6, -v4
	v_mul_f32_e32 v5, v35, v7
	v_fmac_f32_e32 v5, v36, v6
	v_add_f32_e32 v6, v2, v4
	v_mul_f32_e32 v2, v38, v9
	v_add_f32_e32 v7, v3, v5
	v_fma_f32 v13, v37, v8, -v2
	ds_read_b128 v[2:5], v18 offset:64
	ds_read2_b64 v[31:34], v28 offset1:32
	v_mul_f32_e32 v9, v37, v9
	v_fmac_f32_e32 v9, v38, v8
	v_add_f32_e32 v13, v6, v13
	v_add_f32_e32 v15, v7, v9
	s_waitcnt lgkmcnt(0)
	v_mul_f32_e32 v35, v32, v3
	v_fma_f32 v35, v31, v2, -v35
	v_mul_f32_e32 v3, v31, v3
	ds_read_b128 v[6:9], v18 offset:80
	v_fmac_f32_e32 v3, v32, v2
	v_add_f32_e32 v2, v13, v35
	ds_read2_b64 v[35:38], v28 offset0:64 offset1:96
	v_mul_f32_e32 v13, v34, v5
	v_mul_f32_e32 v5, v33, v5
	v_add_f32_e32 v3, v15, v3
	v_fma_f32 v13, v33, v4, -v13
	v_fmac_f32_e32 v5, v34, v4
	s_waitcnt lgkmcnt(0)
	v_mul_f32_e32 v4, v36, v7
	v_add_f32_e32 v2, v2, v13
	v_add_f32_e32 v3, v3, v5
	v_fma_f32 v4, v35, v6, -v4
	v_mul_f32_e32 v5, v35, v7
	v_fmac_f32_e32 v5, v36, v6
	v_add_f32_e32 v6, v2, v4
	v_mul_f32_e32 v2, v38, v9
	v_add_f32_e32 v7, v3, v5
	v_fma_f32 v13, v37, v8, -v2
	ds_read_b128 v[2:5], v18 offset:96
	ds_read2_b64 v[31:34], v28 offset0:128 offset1:160
	v_mul_f32_e32 v9, v37, v9
	v_fmac_f32_e32 v9, v38, v8
	v_add_f32_e32 v13, v6, v13
	v_add_f32_e32 v15, v7, v9
	s_waitcnt lgkmcnt(0)
	v_mul_f32_e32 v35, v32, v3
	v_fma_f32 v35, v31, v2, -v35
	v_mul_f32_e32 v3, v31, v3
	ds_read_b128 v[6:9], v18 offset:112
	v_fmac_f32_e32 v3, v32, v2
	v_add_f32_e32 v2, v13, v35
	ds_read2_b64 v[35:38], v28 offset0:192 offset1:224
	v_mul_f32_e32 v13, v34, v5
	v_mul_f32_e32 v5, v33, v5
	v_add_f32_e32 v3, v15, v3
	v_fma_f32 v13, v33, v4, -v13
	v_fmac_f32_e32 v5, v34, v4
	s_waitcnt lgkmcnt(0)
	v_mul_f32_e32 v4, v36, v7
	v_add_f32_e32 v2, v2, v13
	v_add_f32_e32 v3, v3, v5
	v_fma_f32 v4, v35, v6, -v4
	v_mul_f32_e32 v5, v35, v7
	v_fmac_f32_e32 v5, v36, v6
	v_add_f32_e32 v6, v2, v4
	v_mul_f32_e32 v2, v38, v9
	v_add_f32_e32 v7, v3, v5
	v_fma_f32 v13, v37, v8, -v2
	ds_read_b128 v[2:5], v18 offset:128
	ds_read2_b64 v[31:34], v29 offset1:32
	v_mul_f32_e32 v9, v37, v9
	v_fmac_f32_e32 v9, v38, v8
	ds_read_b128 v[35:38], v18 offset:144
	ds_read2_b64 v[39:42], v29 offset0:64 offset1:96
	s_waitcnt lgkmcnt(2)
	v_mul_f32_e32 v8, v32, v3
	v_add_f32_e32 v6, v6, v13
	v_fma_f32 v8, v31, v2, -v8
	v_mul_f32_e32 v3, v31, v3
	v_add_f32_e32 v7, v7, v9
	v_fmac_f32_e32 v3, v32, v2
	v_add_f32_e32 v2, v6, v8
	v_mul_f32_e32 v6, v34, v5
	v_mul_f32_e32 v5, v33, v5
	v_add_f32_e32 v3, v7, v3
	v_fma_f32 v6, v33, v4, -v6
	v_fmac_f32_e32 v5, v34, v4
	s_waitcnt lgkmcnt(0)
	v_mul_f32_e32 v4, v40, v36
	v_add_f32_e32 v2, v2, v6
	v_add_f32_e32 v3, v3, v5
	v_fma_f32 v4, v39, v35, -v4
	v_mul_f32_e32 v5, v39, v36
	v_fmac_f32_e32 v5, v40, v35
	v_add_f32_e32 v13, v2, v4
	v_mul_f32_e32 v2, v42, v38
	v_add_f32_e32 v15, v3, v5
	v_fma_f32 v31, v41, v37, -v2
	ds_read_b128 v[2:5], v18 offset:160
	ds_read2_b64 v[6:9], v29 offset0:128 offset1:160
	v_mul_f32_e32 v32, v41, v38
	v_fmac_f32_e32 v32, v42, v37
	v_add_f32_e32 v13, v13, v31
	v_add_f32_e32 v15, v15, v32
	s_waitcnt lgkmcnt(0)
	v_mul_f32_e32 v35, v7, v3
	v_fma_f32 v37, v6, v2, -v35
	flat_load_dwordx2 v[35:36], v[10:11]
	v_mul_f32_e32 v6, v6, v3
	v_fmac_f32_e32 v6, v7, v2
	v_mul_f32_e32 v2, v9, v5
	v_fma_f32 v7, v8, v4, -v2
	v_mul_f32_e32 v8, v8, v5
	ds_read_b128 v[31:34], v18 offset:176
	v_fmac_f32_e32 v8, v9, v4
	ds_read2_b64 v[2:5], v29 offset0:192 offset1:224
	v_add_f32_e32 v6, v15, v6
	v_add_f32_e32 v9, v13, v37
	v_add_f32_e32 v13, v6, v8
	v_add_f32_e32 v7, v9, v7
	s_waitcnt lgkmcnt(0)
	v_mul_f32_e32 v6, v3, v32
	v_fma_f32 v6, v2, v31, -v6
	v_mul_f32_e32 v15, v2, v32
	v_mul_f32_e32 v2, v5, v34
	;; [unrolled: 1-line block ×3, first 2 shown]
	v_fmac_f32_e32 v15, v3, v31
	v_add_f32_e32 v31, v7, v6
	v_fma_f32 v32, v4, v33, -v2
	v_fmac_f32_e32 v34, v5, v33
	ds_read_b128 v[2:5], v18 offset:192
	ds_read2_b64 v[6:9], v30 offset1:32
	v_add_f32_e32 v13, v13, v15
	v_add_f32_e32 v15, v31, v32
	;; [unrolled: 1-line block ×3, first 2 shown]
	ds_read_b128 v[31:34], v18 offset:208
	s_waitcnt lgkmcnt(0)
	v_mul_f32_e32 v37, v7, v3
	v_fma_f32 v37, v6, v2, -v37
	v_mul_f32_e32 v6, v6, v3
	v_fmac_f32_e32 v6, v7, v2
	v_mul_f32_e32 v2, v9, v5
	v_fma_f32 v7, v8, v4, -v2
	v_mul_f32_e32 v8, v8, v5
	v_fmac_f32_e32 v8, v9, v4
	ds_read2_b64 v[2:5], v30 offset0:64 offset1:96
	v_add_f32_e32 v6, v13, v6
	v_add_f32_e32 v9, v15, v37
	v_add_f32_e32 v13, v6, v8
	v_add_f32_e32 v7, v9, v7
	s_waitcnt lgkmcnt(0)
	v_mul_f32_e32 v6, v3, v32
	v_fma_f32 v6, v2, v31, -v6
	v_mul_f32_e32 v15, v2, v32
	v_mul_f32_e32 v2, v5, v34
	;; [unrolled: 1-line block ×3, first 2 shown]
	v_fmac_f32_e32 v15, v3, v31
	v_add_f32_e32 v31, v7, v6
	v_fma_f32 v32, v4, v33, -v2
	v_fmac_f32_e32 v34, v5, v33
	ds_read_b128 v[2:5], v18 offset:224
	ds_read2_b64 v[6:9], v30 offset0:128 offset1:160
	v_add_f32_e32 v13, v13, v15
	v_add_f32_e32 v15, v31, v32
	;; [unrolled: 1-line block ×3, first 2 shown]
	ds_read_b128 v[31:34], v18 offset:240
	s_waitcnt lgkmcnt(0)
	v_mul_f32_e32 v37, v7, v3
	v_fma_f32 v37, v6, v2, -v37
	v_mul_f32_e32 v6, v6, v3
	v_fmac_f32_e32 v6, v7, v2
	v_mul_f32_e32 v2, v9, v5
	v_fma_f32 v7, v8, v4, -v2
	v_mul_f32_e32 v8, v8, v5
	v_fmac_f32_e32 v8, v9, v4
	ds_read2_b64 v[2:5], v30 offset0:192 offset1:224
	v_add_f32_e32 v6, v13, v6
	v_add_f32_e32 v6, v6, v8
	;; [unrolled: 1-line block ×4, first 2 shown]
	s_waitcnt lgkmcnt(0)
	v_mul_f32_e32 v8, v3, v32
	v_fma_f32 v8, v2, v31, -v8
	v_mul_f32_e32 v2, v2, v32
	v_fmac_f32_e32 v2, v3, v31
	v_add_f32_e32 v2, v6, v2
	v_mul_f32_e32 v6, v5, v34
	v_fma_f32 v6, v4, v33, -v6
	v_mul_f32_e32 v4, v4, v34
	v_fmac_f32_e32 v4, v5, v33
	v_add_f32_e32 v3, v7, v8
	v_add_f32_e32 v2, v2, v4
	;; [unrolled: 1-line block ×3, first 2 shown]
	v_mul_f32_e32 v4, s16, v2
	v_mul_f32_e32 v5, s15, v2
	v_fma_f32 v4, s15, v3, -v4
	v_fmac_f32_e32 v5, s16, v3
	s_waitcnt vmcnt(0)
	v_add_f32_e32 v2, v35, v4
	v_add_f32_e32 v3, v36, v5
	flat_store_dwordx2 v[10:11], v[2:3]
.LBB1921_11:                            ;   in Loop: Header=BB1921_5 Depth=1
	s_or_b64 exec, exec, s[2:3]
	v_mov_b32_e32 v3, 0
	v_mov_b32_e32 v5, 0
	v_mov_b32_e32 v4, 0
	s_waitcnt vmcnt(0) lgkmcnt(0)
	s_barrier
	s_and_saveexec_b64 s[12:13], s[6:7]
	s_cbranch_execz .LBB1921_13
; %bb.12:                               ;   in Loop: Header=BB1921_5 Depth=1
	v_ashrrev_i32_e32 v13, 31, v12
	v_lshlrev_b64 v[4:5], 3, v[12:13]
	v_add_co_u32_e64 v4, s[2:3], v24, v4
	v_addc_co_u32_e64 v5, s[2:3], v25, v5, s[2:3]
	flat_load_dwordx2 v[4:5], v[4:5]
.LBB1921_13:                            ;   in Loop: Header=BB1921_5 Depth=1
	s_or_b64 exec, exec, s[12:13]
	v_mov_b32_e32 v2, 0
	s_waitcnt vmcnt(0) lgkmcnt(0)
	ds_write_b64 v19, v[4:5]
	s_and_saveexec_b64 s[6:7], s[10:11]
	s_cbranch_execz .LBB1921_15
; %bb.14:                               ;   in Loop: Header=BB1921_5 Depth=1
	v_ashrrev_i32_e32 v15, 31, v14
	v_lshlrev_b64 v[2:3], 3, v[14:15]
	v_add_co_u32_e64 v2, s[2:3], v26, v2
	v_addc_co_u32_e64 v3, s[2:3], v27, v3, s[2:3]
	flat_load_dwordx2 v[2:3], v[2:3]
.LBB1921_15:                            ;   in Loop: Header=BB1921_5 Depth=1
	s_or_b64 exec, exec, s[6:7]
	s_waitcnt vmcnt(0) lgkmcnt(0)
	ds_write_b64 v23, v[2:3]
	s_waitcnt lgkmcnt(0)
	s_barrier
	s_and_saveexec_b64 s[2:3], s[4:5]
	s_cbranch_execz .LBB1921_4
; %bb.16:                               ;   in Loop: Header=BB1921_5 Depth=1
	ds_read2_b64 v[2:5], v22 offset1:32
	ds_read_b128 v[6:9], v18
	ds_read_b128 v[12:15], v18 offset:16
	s_waitcnt lgkmcnt(1)
	v_mul_f32_e32 v31, v3, v7
	v_mul_f32_e32 v35, v2, v7
	v_fma_f32 v36, v2, v6, -v31
	v_mul_f32_e32 v2, v5, v9
	v_mul_f32_e32 v38, v4, v9
	v_fmac_f32_e32 v35, v3, v6
	v_fma_f32 v37, v4, v8, -v2
	v_fmac_f32_e32 v38, v5, v8
	ds_read_b128 v[2:5], v18 offset:32
	ds_read_b128 v[6:9], v18 offset:48
	ds_read2_b64 v[31:34], v22 offset0:64 offset1:96
	v_add_f32_e32 v36, 0, v36
	v_add_f32_e32 v36, v36, v37
	;; [unrolled: 1-line block ×4, first 2 shown]
	s_waitcnt lgkmcnt(0)
	v_mul_f32_e32 v37, v32, v13
	v_fma_f32 v37, v31, v12, -v37
	v_mul_f32_e32 v31, v31, v13
	v_fmac_f32_e32 v31, v32, v12
	v_mul_f32_e32 v12, v34, v15
	v_fma_f32 v32, v33, v14, -v12
	v_mul_f32_e32 v33, v33, v15
	v_fmac_f32_e32 v33, v34, v14
	ds_read2_b64 v[12:15], v22 offset0:128 offset1:160
	v_add_f32_e32 v31, v35, v31
	v_add_f32_e32 v34, v36, v37
	;; [unrolled: 1-line block ×4, first 2 shown]
	s_waitcnt lgkmcnt(0)
	v_mul_f32_e32 v33, v13, v3
	v_mul_f32_e32 v3, v12, v3
	v_fma_f32 v33, v12, v2, -v33
	v_fmac_f32_e32 v3, v13, v2
	v_add_f32_e32 v2, v32, v33
	v_add_f32_e32 v3, v31, v3
	ds_read2_b64 v[31:34], v22 offset0:192 offset1:224
	v_mul_f32_e32 v12, v15, v5
	v_mul_f32_e32 v5, v14, v5
	v_fma_f32 v12, v14, v4, -v12
	v_fmac_f32_e32 v5, v15, v4
	s_waitcnt lgkmcnt(0)
	v_mul_f32_e32 v4, v32, v7
	v_add_f32_e32 v2, v2, v12
	v_add_f32_e32 v3, v3, v5
	v_fma_f32 v4, v31, v6, -v4
	v_mul_f32_e32 v5, v31, v7
	v_fmac_f32_e32 v5, v32, v6
	v_add_f32_e32 v6, v2, v4
	v_mul_f32_e32 v2, v34, v9
	v_add_f32_e32 v7, v3, v5
	v_fma_f32 v31, v33, v8, -v2
	ds_read_b128 v[2:5], v18 offset:64
	ds_read2_b64 v[12:15], v28 offset1:32
	v_mul_f32_e32 v9, v33, v9
	v_fmac_f32_e32 v9, v34, v8
	v_add_f32_e32 v31, v6, v31
	v_add_f32_e32 v32, v7, v9
	s_waitcnt lgkmcnt(0)
	v_mul_f32_e32 v33, v13, v3
	v_mul_f32_e32 v3, v12, v3
	v_fma_f32 v33, v12, v2, -v33
	v_fmac_f32_e32 v3, v13, v2
	ds_read_b128 v[6:9], v18 offset:80
	v_add_f32_e32 v2, v31, v33
	v_add_f32_e32 v3, v32, v3
	ds_read2_b64 v[31:34], v28 offset0:64 offset1:96
	v_mul_f32_e32 v12, v15, v5
	v_mul_f32_e32 v5, v14, v5
	v_fma_f32 v12, v14, v4, -v12
	v_fmac_f32_e32 v5, v15, v4
	s_waitcnt lgkmcnt(0)
	v_mul_f32_e32 v4, v32, v7
	v_add_f32_e32 v2, v2, v12
	v_add_f32_e32 v3, v3, v5
	v_fma_f32 v4, v31, v6, -v4
	v_mul_f32_e32 v5, v31, v7
	v_fmac_f32_e32 v5, v32, v6
	v_add_f32_e32 v6, v2, v4
	v_mul_f32_e32 v2, v34, v9
	v_add_f32_e32 v7, v3, v5
	v_fma_f32 v31, v33, v8, -v2
	ds_read_b128 v[2:5], v18 offset:96
	ds_read2_b64 v[12:15], v28 offset0:128 offset1:160
	v_mul_f32_e32 v9, v33, v9
	v_fmac_f32_e32 v9, v34, v8
	v_add_f32_e32 v31, v6, v31
	v_add_f32_e32 v32, v7, v9
	s_waitcnt lgkmcnt(0)
	v_mul_f32_e32 v33, v13, v3
	v_mul_f32_e32 v3, v12, v3
	v_fma_f32 v33, v12, v2, -v33
	v_fmac_f32_e32 v3, v13, v2
	ds_read_b128 v[6:9], v18 offset:112
	v_add_f32_e32 v2, v31, v33
	v_add_f32_e32 v3, v32, v3
	ds_read2_b64 v[31:34], v28 offset0:192 offset1:224
	v_mul_f32_e32 v12, v15, v5
	v_mul_f32_e32 v5, v14, v5
	v_fma_f32 v12, v14, v4, -v12
	v_fmac_f32_e32 v5, v15, v4
	s_waitcnt lgkmcnt(0)
	v_mul_f32_e32 v4, v32, v7
	v_add_f32_e32 v2, v2, v12
	v_add_f32_e32 v3, v3, v5
	v_fma_f32 v4, v31, v6, -v4
	v_mul_f32_e32 v5, v31, v7
	v_fmac_f32_e32 v5, v32, v6
	v_add_f32_e32 v6, v2, v4
	v_mul_f32_e32 v2, v34, v9
	v_add_f32_e32 v7, v3, v5
	v_fma_f32 v31, v33, v8, -v2
	ds_read_b128 v[2:5], v18 offset:128
	ds_read2_b64 v[12:15], v29 offset1:32
	v_mul_f32_e32 v9, v33, v9
	v_fmac_f32_e32 v9, v34, v8
	v_add_f32_e32 v6, v6, v31
	ds_read_b128 v[31:34], v18 offset:144
	ds_read2_b64 v[35:38], v29 offset0:64 offset1:96
	s_waitcnt lgkmcnt(2)
	v_mul_f32_e32 v8, v13, v3
	v_fma_f32 v8, v12, v2, -v8
	v_mul_f32_e32 v3, v12, v3
	v_add_f32_e32 v7, v7, v9
	v_fmac_f32_e32 v3, v13, v2
	v_add_f32_e32 v2, v6, v8
	v_mul_f32_e32 v6, v15, v5
	v_mul_f32_e32 v5, v14, v5
	v_add_f32_e32 v3, v7, v3
	v_fma_f32 v6, v14, v4, -v6
	v_fmac_f32_e32 v5, v15, v4
	s_waitcnt lgkmcnt(0)
	v_mul_f32_e32 v4, v36, v32
	v_add_f32_e32 v2, v2, v6
	v_add_f32_e32 v3, v3, v5
	v_fma_f32 v4, v35, v31, -v4
	v_mul_f32_e32 v5, v35, v32
	v_fmac_f32_e32 v5, v36, v31
	v_add_f32_e32 v12, v2, v4
	v_mul_f32_e32 v2, v38, v34
	v_add_f32_e32 v13, v3, v5
	v_fma_f32 v14, v37, v33, -v2
	ds_read_b128 v[2:5], v18 offset:160
	ds_read2_b64 v[6:9], v29 offset0:128 offset1:160
	flat_load_dwordx2 v[35:36], v[10:11]
	v_mul_f32_e32 v15, v37, v34
	v_fmac_f32_e32 v15, v38, v33
	v_add_f32_e32 v31, v12, v14
	s_waitcnt lgkmcnt(0)
	v_mul_f32_e32 v33, v7, v3
	v_mul_f32_e32 v3, v6, v3
	v_add_f32_e32 v32, v13, v15
	v_fma_f32 v33, v6, v2, -v33
	v_fmac_f32_e32 v3, v7, v2
	ds_read_b128 v[12:15], v18 offset:176
	v_add_f32_e32 v2, v31, v33
	v_add_f32_e32 v3, v32, v3
	ds_read2_b64 v[31:34], v29 offset0:192 offset1:224
	v_mul_f32_e32 v6, v9, v5
	v_mul_f32_e32 v5, v8, v5
	v_fma_f32 v6, v8, v4, -v6
	v_fmac_f32_e32 v5, v9, v4
	s_waitcnt lgkmcnt(0)
	v_mul_f32_e32 v4, v32, v13
	v_add_f32_e32 v2, v2, v6
	v_add_f32_e32 v3, v3, v5
	v_fma_f32 v4, v31, v12, -v4
	v_mul_f32_e32 v5, v31, v13
	v_fmac_f32_e32 v5, v32, v12
	v_add_f32_e32 v12, v2, v4
	v_mul_f32_e32 v2, v34, v15
	v_add_f32_e32 v13, v3, v5
	v_fma_f32 v31, v33, v14, -v2
	ds_read_b128 v[2:5], v18 offset:192
	ds_read2_b64 v[6:9], v30 offset1:32
	v_mul_f32_e32 v15, v33, v15
	v_fmac_f32_e32 v15, v34, v14
	v_add_f32_e32 v31, v12, v31
	v_add_f32_e32 v32, v13, v15
	s_waitcnt lgkmcnt(0)
	v_mul_f32_e32 v33, v7, v3
	v_mul_f32_e32 v3, v6, v3
	v_fma_f32 v33, v6, v2, -v33
	v_fmac_f32_e32 v3, v7, v2
	ds_read_b128 v[12:15], v18 offset:208
	v_add_f32_e32 v2, v31, v33
	v_add_f32_e32 v3, v32, v3
	ds_read2_b64 v[31:34], v30 offset0:64 offset1:96
	v_mul_f32_e32 v6, v9, v5
	v_mul_f32_e32 v5, v8, v5
	v_fma_f32 v6, v8, v4, -v6
	v_fmac_f32_e32 v5, v9, v4
	s_waitcnt lgkmcnt(0)
	v_mul_f32_e32 v4, v32, v13
	v_add_f32_e32 v2, v2, v6
	v_add_f32_e32 v3, v3, v5
	v_fma_f32 v4, v31, v12, -v4
	v_mul_f32_e32 v5, v31, v13
	v_fmac_f32_e32 v5, v32, v12
	v_add_f32_e32 v12, v2, v4
	v_mul_f32_e32 v2, v34, v15
	v_add_f32_e32 v13, v3, v5
	v_fma_f32 v31, v33, v14, -v2
	ds_read_b128 v[2:5], v18 offset:224
	ds_read2_b64 v[6:9], v30 offset0:128 offset1:160
	v_mul_f32_e32 v15, v33, v15
	v_fmac_f32_e32 v15, v34, v14
	v_add_f32_e32 v31, v12, v31
	v_add_f32_e32 v32, v13, v15
	s_waitcnt lgkmcnt(0)
	v_mul_f32_e32 v33, v7, v3
	v_mul_f32_e32 v3, v6, v3
	v_fma_f32 v33, v6, v2, -v33
	v_fmac_f32_e32 v3, v7, v2
	ds_read_b128 v[12:15], v18 offset:240
	v_add_f32_e32 v2, v31, v33
	v_add_f32_e32 v3, v32, v3
	ds_read2_b64 v[31:34], v30 offset0:192 offset1:224
	v_mul_f32_e32 v6, v9, v5
	v_mul_f32_e32 v5, v8, v5
	v_fmac_f32_e32 v5, v9, v4
	v_fma_f32 v6, v8, v4, -v6
	v_add_f32_e32 v3, v3, v5
	s_waitcnt lgkmcnt(0)
	v_mul_f32_e32 v4, v32, v13
	v_mul_f32_e32 v5, v31, v13
	v_add_f32_e32 v2, v2, v6
	v_fma_f32 v4, v31, v12, -v4
	v_fmac_f32_e32 v5, v32, v12
	v_add_f32_e32 v2, v2, v4
	v_add_f32_e32 v3, v3, v5
	v_mul_f32_e32 v4, v34, v15
	v_mul_f32_e32 v5, v33, v15
	v_fma_f32 v4, v33, v14, -v4
	v_fmac_f32_e32 v5, v34, v14
	v_add_f32_e32 v2, v2, v4
	v_add_f32_e32 v3, v3, v5
	v_mul_f32_e32 v4, s16, v3
	v_mul_f32_e32 v5, s16, v2
	v_fma_f32 v4, s15, v2, -v4
	v_fmac_f32_e32 v5, s15, v3
	s_waitcnt vmcnt(0)
	v_add_f32_e32 v2, v35, v4
	v_add_f32_e32 v3, v36, v5
	flat_store_dwordx2 v[10:11], v[2:3]
	s_branch .LBB1921_4
.LBB1921_17:
	s_endpgm
	.section	.rodata,"a",@progbits
	.p2align	6, 0x0
	.amdhsa_kernel _ZL26rocblas_syr2k_her2k_kernelIiLb1ELb0ELb1ELi32E19rocblas_complex_numIfEPKPKS1_PKPS1_EvbiT_T4_T5_S9_lSB_S9_lT6_S9_li
		.amdhsa_group_segment_fixed_size 16384
		.amdhsa_private_segment_fixed_size 0
		.amdhsa_kernarg_size 100
		.amdhsa_user_sgpr_count 6
		.amdhsa_user_sgpr_private_segment_buffer 1
		.amdhsa_user_sgpr_dispatch_ptr 0
		.amdhsa_user_sgpr_queue_ptr 0
		.amdhsa_user_sgpr_kernarg_segment_ptr 1
		.amdhsa_user_sgpr_dispatch_id 0
		.amdhsa_user_sgpr_flat_scratch_init 0
		.amdhsa_user_sgpr_private_segment_size 0
		.amdhsa_uses_dynamic_stack 0
		.amdhsa_system_sgpr_private_segment_wavefront_offset 0
		.amdhsa_system_sgpr_workgroup_id_x 1
		.amdhsa_system_sgpr_workgroup_id_y 1
		.amdhsa_system_sgpr_workgroup_id_z 1
		.amdhsa_system_sgpr_workgroup_info 0
		.amdhsa_system_vgpr_workitem_id 1
		.amdhsa_next_free_vgpr 43
		.amdhsa_next_free_sgpr 61
		.amdhsa_reserve_vcc 1
		.amdhsa_reserve_flat_scratch 0
		.amdhsa_float_round_mode_32 0
		.amdhsa_float_round_mode_16_64 0
		.amdhsa_float_denorm_mode_32 3
		.amdhsa_float_denorm_mode_16_64 3
		.amdhsa_dx10_clamp 1
		.amdhsa_ieee_mode 1
		.amdhsa_fp16_overflow 0
		.amdhsa_exception_fp_ieee_invalid_op 0
		.amdhsa_exception_fp_denorm_src 0
		.amdhsa_exception_fp_ieee_div_zero 0
		.amdhsa_exception_fp_ieee_overflow 0
		.amdhsa_exception_fp_ieee_underflow 0
		.amdhsa_exception_fp_ieee_inexact 0
		.amdhsa_exception_int_div_zero 0
	.end_amdhsa_kernel
	.section	.text._ZL26rocblas_syr2k_her2k_kernelIiLb1ELb0ELb1ELi32E19rocblas_complex_numIfEPKPKS1_PKPS1_EvbiT_T4_T5_S9_lSB_S9_lT6_S9_li,"axG",@progbits,_ZL26rocblas_syr2k_her2k_kernelIiLb1ELb0ELb1ELi32E19rocblas_complex_numIfEPKPKS1_PKPS1_EvbiT_T4_T5_S9_lSB_S9_lT6_S9_li,comdat
.Lfunc_end1921:
	.size	_ZL26rocblas_syr2k_her2k_kernelIiLb1ELb0ELb1ELi32E19rocblas_complex_numIfEPKPKS1_PKPS1_EvbiT_T4_T5_S9_lSB_S9_lT6_S9_li, .Lfunc_end1921-_ZL26rocblas_syr2k_her2k_kernelIiLb1ELb0ELb1ELi32E19rocblas_complex_numIfEPKPKS1_PKPS1_EvbiT_T4_T5_S9_lSB_S9_lT6_S9_li
                                        ; -- End function
	.set _ZL26rocblas_syr2k_her2k_kernelIiLb1ELb0ELb1ELi32E19rocblas_complex_numIfEPKPKS1_PKPS1_EvbiT_T4_T5_S9_lSB_S9_lT6_S9_li.num_vgpr, 43
	.set _ZL26rocblas_syr2k_her2k_kernelIiLb1ELb0ELb1ELi32E19rocblas_complex_numIfEPKPKS1_PKPS1_EvbiT_T4_T5_S9_lSB_S9_lT6_S9_li.num_agpr, 0
	.set _ZL26rocblas_syr2k_her2k_kernelIiLb1ELb0ELb1ELi32E19rocblas_complex_numIfEPKPKS1_PKPS1_EvbiT_T4_T5_S9_lSB_S9_lT6_S9_li.numbered_sgpr, 29
	.set _ZL26rocblas_syr2k_her2k_kernelIiLb1ELb0ELb1ELi32E19rocblas_complex_numIfEPKPKS1_PKPS1_EvbiT_T4_T5_S9_lSB_S9_lT6_S9_li.num_named_barrier, 0
	.set _ZL26rocblas_syr2k_her2k_kernelIiLb1ELb0ELb1ELi32E19rocblas_complex_numIfEPKPKS1_PKPS1_EvbiT_T4_T5_S9_lSB_S9_lT6_S9_li.private_seg_size, 0
	.set _ZL26rocblas_syr2k_her2k_kernelIiLb1ELb0ELb1ELi32E19rocblas_complex_numIfEPKPKS1_PKPS1_EvbiT_T4_T5_S9_lSB_S9_lT6_S9_li.uses_vcc, 1
	.set _ZL26rocblas_syr2k_her2k_kernelIiLb1ELb0ELb1ELi32E19rocblas_complex_numIfEPKPKS1_PKPS1_EvbiT_T4_T5_S9_lSB_S9_lT6_S9_li.uses_flat_scratch, 0
	.set _ZL26rocblas_syr2k_her2k_kernelIiLb1ELb0ELb1ELi32E19rocblas_complex_numIfEPKPKS1_PKPS1_EvbiT_T4_T5_S9_lSB_S9_lT6_S9_li.has_dyn_sized_stack, 0
	.set _ZL26rocblas_syr2k_her2k_kernelIiLb1ELb0ELb1ELi32E19rocblas_complex_numIfEPKPKS1_PKPS1_EvbiT_T4_T5_S9_lSB_S9_lT6_S9_li.has_recursion, 0
	.set _ZL26rocblas_syr2k_her2k_kernelIiLb1ELb0ELb1ELi32E19rocblas_complex_numIfEPKPKS1_PKPS1_EvbiT_T4_T5_S9_lSB_S9_lT6_S9_li.has_indirect_call, 0
	.section	.AMDGPU.csdata,"",@progbits
; Kernel info:
; codeLenInByte = 3468
; TotalNumSgprs: 33
; NumVgprs: 43
; ScratchSize: 0
; MemoryBound: 0
; FloatMode: 240
; IeeeMode: 1
; LDSByteSize: 16384 bytes/workgroup (compile time only)
; SGPRBlocks: 8
; VGPRBlocks: 10
; NumSGPRsForWavesPerEU: 65
; NumVGPRsForWavesPerEU: 43
; Occupancy: 5
; WaveLimiterHint : 1
; COMPUTE_PGM_RSRC2:SCRATCH_EN: 0
; COMPUTE_PGM_RSRC2:USER_SGPR: 6
; COMPUTE_PGM_RSRC2:TRAP_HANDLER: 0
; COMPUTE_PGM_RSRC2:TGID_X_EN: 1
; COMPUTE_PGM_RSRC2:TGID_Y_EN: 1
; COMPUTE_PGM_RSRC2:TGID_Z_EN: 1
; COMPUTE_PGM_RSRC2:TIDIG_COMP_CNT: 1
	.section	.text._ZL26rocblas_syr2k_her2k_kernelIiLb1ELb0ELb0ELi32EPK19rocblas_complex_numIfEPKS3_PKPS1_EvbiT_T4_T5_S9_lSB_S9_lT6_S9_li,"axG",@progbits,_ZL26rocblas_syr2k_her2k_kernelIiLb1ELb0ELb0ELi32EPK19rocblas_complex_numIfEPKS3_PKPS1_EvbiT_T4_T5_S9_lSB_S9_lT6_S9_li,comdat
	.globl	_ZL26rocblas_syr2k_her2k_kernelIiLb1ELb0ELb0ELi32EPK19rocblas_complex_numIfEPKS3_PKPS1_EvbiT_T4_T5_S9_lSB_S9_lT6_S9_li ; -- Begin function _ZL26rocblas_syr2k_her2k_kernelIiLb1ELb0ELb0ELi32EPK19rocblas_complex_numIfEPKS3_PKPS1_EvbiT_T4_T5_S9_lSB_S9_lT6_S9_li
	.p2align	8
	.type	_ZL26rocblas_syr2k_her2k_kernelIiLb1ELb0ELb0ELi32EPK19rocblas_complex_numIfEPKS3_PKPS1_EvbiT_T4_T5_S9_lSB_S9_lT6_S9_li,@function
_ZL26rocblas_syr2k_her2k_kernelIiLb1ELb0ELb0ELi32EPK19rocblas_complex_numIfEPKS3_PKPS1_EvbiT_T4_T5_S9_lSB_S9_lT6_S9_li: ; @_ZL26rocblas_syr2k_her2k_kernelIiLb1ELb0ELb0ELi32EPK19rocblas_complex_numIfEPKS3_PKPS1_EvbiT_T4_T5_S9_lSB_S9_lT6_S9_li
; %bb.0:
	s_load_dwordx4 s[0:3], s[4:5], 0x10
	s_waitcnt lgkmcnt(0)
	s_load_dwordx2 s[10:11], s[0:1], 0x0
	s_waitcnt lgkmcnt(0)
	v_cmp_eq_f32_e64 s[0:1], s10, 0
	v_cmp_eq_f32_e64 s[12:13], s11, 0
	s_and_b64 s[0:1], s[0:1], s[12:13]
	s_and_b64 vcc, exec, s[0:1]
	s_cbranch_vccnz .LBB1922_17
; %bb.1:
	s_load_dwordx4 s[12:15], s[4:5], 0x0
	s_lshl_b32 s0, s7, 5
	s_lshl_b32 s1, s6, 5
	s_waitcnt lgkmcnt(0)
	s_and_b32 s6, 1, s12
	s_cmp_eq_u32 s6, 1
	s_cselect_b64 vcc, -1, 0
	s_and_b64 s[6:7], vcc, exec
	s_cselect_b32 s6, s1, s0
	s_cselect_b32 s7, s0, s1
	s_cmp_gt_i32 s6, s7
	s_cbranch_scc1 .LBB1922_17
; %bb.2:
	s_cmp_lt_i32 s14, 1
	s_cbranch_scc1 .LBB1922_17
; %bb.3:
	s_mov_b32 s9, 0
	s_load_dword s15, s[4:5], 0x20
	s_load_dwordx4 s[20:23], s[4:5], 0x28
	s_load_dword s18, s[4:5], 0x38
	s_load_dwordx4 s[24:27], s[4:5], 0x40
	s_load_dword s12, s[4:5], 0x50
	s_load_dwordx2 s[6:7], s[4:5], 0x58
	s_lshl_b64 s[4:5], s[8:9], 3
	s_add_u32 s2, s2, s4
	s_addc_u32 s3, s3, s5
	s_load_dwordx2 s[2:3], s[2:3], 0x0
	s_waitcnt lgkmcnt(0)
	s_add_u32 s16, s22, s4
	s_addc_u32 s17, s23, s5
	s_load_dwordx2 s[16:17], s[16:17], 0x0
	s_add_u32 s4, s26, s4
	v_add_u32_e32 v3, s1, v0
	s_addc_u32 s5, s27, s5
	s_lshl_b64 s[20:21], s[20:21], 3
	v_ashrrev_i32_e32 v4, 31, v3
	s_load_dwordx2 s[4:5], s[4:5], 0x0
	s_add_u32 s8, s2, s20
	v_lshlrev_b64 v[4:5], 3, v[3:4]
	s_addc_u32 s19, s3, s21
	v_add_u32_e32 v2, s0, v1
	s_lshl_b64 s[2:3], s[24:25], 3
	v_cndmask_b32_e32 v8, v3, v2, vcc
	v_cndmask_b32_e32 v9, v2, v3, vcc
	v_cmp_gt_i32_e32 vcc, s13, v3
	v_mov_b32_e32 v3, s19
	v_add_co_u32_e64 v12, s[0:1], s8, v4
	s_waitcnt lgkmcnt(0)
	s_add_u32 s16, s16, s2
	v_addc_co_u32_e64 v13, s[0:1], v3, v5, s[0:1]
	v_ashrrev_i32_e32 v3, 31, v2
	s_addc_u32 s17, s17, s3
	s_lshl_b64 s[2:3], s[6:7], 3
	v_lshlrev_b64 v[6:7], 3, v[2:3]
	s_add_u32 s6, s4, s2
	s_addc_u32 s7, s5, s3
	v_mov_b32_e32 v3, s17
	v_add_co_u32_e64 v16, s[2:3], s16, v6
	v_cmp_gt_i32_e64 s[0:1], s13, v2
	v_addc_co_u32_e64 v17, s[2:3], v3, v7, s[2:3]
	v_mad_i64_i32 v[2:3], s[2:3], s12, v2, 0
	v_cmp_le_i32_e64 s[2:3], v9, v8
	s_and_b64 s[4:5], s[0:1], vcc
	v_lshlrev_b64 v[2:3], 3, v[2:3]
	s_and_b64 s[4:5], s[4:5], s[2:3]
	v_mov_b32_e32 v8, s7
	v_add_co_u32_e64 v2, s[2:3], s6, v2
	v_lshlrev_b32_e32 v14, 8, v0
	v_lshlrev_b32_e32 v10, 3, v1
	v_addc_co_u32_e64 v3, s[2:3], v8, v3, s[2:3]
	v_add_u32_e32 v15, v14, v10
	v_or_b32_e32 v18, 0x2000, v10
	v_add_co_u32_e64 v10, s[2:3], v2, v4
	v_addc_co_u32_e64 v11, s[2:3], v3, v5, s[2:3]
	v_mov_b32_e32 v2, s17
	v_add_co_u32_e64 v20, s[2:3], s16, v4
	v_addc_co_u32_e64 v21, s[2:3], v2, v5, s[2:3]
	v_mov_b32_e32 v2, s19
	v_add_co_u32_e64 v22, s[2:3], s8, v6
	v_add_u32_e32 v19, v18, v14
	v_addc_co_u32_e64 v23, s[2:3], v2, v7, s[2:3]
	v_add_u32_e32 v24, 0x800, v18
	v_add_u32_e32 v25, 0x1000, v18
	;; [unrolled: 1-line block ×3, first 2 shown]
	s_branch .LBB1922_5
.LBB1922_4:                             ;   in Loop: Header=BB1922_5 Depth=1
	s_or_b64 exec, exec, s[2:3]
	s_add_i32 s9, s9, 32
	s_cmp_lt_i32 s9, s14
	s_waitcnt vmcnt(0) lgkmcnt(0)
	s_barrier
	s_cbranch_scc0 .LBB1922_17
.LBB1922_5:                             ; =>This Inner Loop Header: Depth=1
	v_add_u32_e32 v27, s9, v1
	v_cmp_gt_i32_e64 s[2:3], s14, v27
	s_and_b64 s[6:7], vcc, s[2:3]
	v_mov_b32_e32 v2, 0
	v_mov_b32_e32 v3, 0
	;; [unrolled: 1-line block ×3, first 2 shown]
	s_and_saveexec_b64 s[12:13], s[6:7]
	s_cbranch_execz .LBB1922_7
; %bb.6:                                ;   in Loop: Header=BB1922_5 Depth=1
	v_mad_i64_i32 v[3:4], s[2:3], v27, s15, 0
	v_lshlrev_b64 v[3:4], 3, v[3:4]
	v_add_co_u32_e64 v3, s[2:3], v12, v3
	v_addc_co_u32_e64 v4, s[2:3], v13, v4, s[2:3]
	flat_load_dwordx2 v[3:4], v[3:4]
.LBB1922_7:                             ;   in Loop: Header=BB1922_5 Depth=1
	s_or_b64 exec, exec, s[12:13]
	v_add_u32_e32 v28, s9, v0
	v_cmp_gt_i32_e64 s[2:3], s14, v28
	s_waitcnt vmcnt(0) lgkmcnt(0)
	ds_write_b64 v15, v[3:4]
	s_and_b64 s[12:13], s[0:1], s[2:3]
	v_mov_b32_e32 v3, 0
	s_and_saveexec_b64 s[16:17], s[12:13]
	s_cbranch_execz .LBB1922_9
; %bb.8:                                ;   in Loop: Header=BB1922_5 Depth=1
	v_mad_i64_i32 v[2:3], s[2:3], v28, s18, 0
	v_lshlrev_b64 v[2:3], 3, v[2:3]
	v_add_co_u32_e64 v2, s[2:3], v16, v2
	v_addc_co_u32_e64 v3, s[2:3], v17, v3, s[2:3]
	flat_load_dwordx2 v[2:3], v[2:3]
.LBB1922_9:                             ;   in Loop: Header=BB1922_5 Depth=1
	s_or_b64 exec, exec, s[16:17]
	s_waitcnt vmcnt(0) lgkmcnt(0)
	ds_write_b64 v19, v[2:3]
	s_waitcnt lgkmcnt(0)
	s_barrier
	s_and_saveexec_b64 s[2:3], s[4:5]
	s_cbranch_execz .LBB1922_11
; %bb.10:                               ;   in Loop: Header=BB1922_5 Depth=1
	ds_read2_b64 v[2:5], v18 offset1:32
	ds_read_b128 v[6:9], v14
	ds_read_b128 v[29:32], v14 offset:16
	s_waitcnt lgkmcnt(1)
	v_mul_f32_e32 v33, v3, v7
	v_fma_f32 v38, v2, v6, -v33
	ds_read2_b64 v[33:36], v18 offset0:64 offset1:96
	v_mul_f32_e32 v37, v2, v7
	v_mul_f32_e32 v2, v5, v9
	v_fma_f32 v39, v4, v8, -v2
	v_fmac_f32_e32 v37, v3, v6
	s_waitcnt lgkmcnt(0)
	v_mul_f32_e32 v2, v34, v30
	v_mul_f32_e32 v40, v4, v9
	v_fma_f32 v41, v33, v29, -v2
	v_mul_f32_e32 v33, v33, v30
	v_mul_f32_e32 v2, v36, v32
	v_fmac_f32_e32 v40, v5, v8
	v_fmac_f32_e32 v33, v34, v29
	v_fma_f32 v34, v35, v31, -v2
	v_mul_f32_e32 v35, v35, v32
	v_add_f32_e32 v29, 0, v38
	v_add_f32_e32 v30, 0, v37
	v_fmac_f32_e32 v35, v36, v31
	ds_read_b128 v[2:5], v14 offset:32
	ds_read_b128 v[6:9], v14 offset:48
	v_add_f32_e32 v36, v29, v39
	v_add_f32_e32 v37, v30, v40
	ds_read2_b64 v[29:32], v18 offset0:128 offset1:160
	v_add_f32_e32 v33, v37, v33
	v_add_f32_e32 v36, v36, v41
	;; [unrolled: 1-line block ×4, first 2 shown]
	s_waitcnt lgkmcnt(0)
	v_mul_f32_e32 v35, v30, v3
	v_mul_f32_e32 v3, v29, v3
	v_fma_f32 v35, v29, v2, -v35
	v_fmac_f32_e32 v3, v30, v2
	v_add_f32_e32 v2, v34, v35
	v_add_f32_e32 v3, v33, v3
	ds_read2_b64 v[33:36], v18 offset0:192 offset1:224
	v_mul_f32_e32 v29, v32, v5
	v_mul_f32_e32 v5, v31, v5
	v_fma_f32 v29, v31, v4, -v29
	v_fmac_f32_e32 v5, v32, v4
	s_waitcnt lgkmcnt(0)
	v_mul_f32_e32 v4, v34, v7
	v_add_f32_e32 v2, v2, v29
	v_add_f32_e32 v3, v3, v5
	v_fma_f32 v4, v33, v6, -v4
	v_mul_f32_e32 v5, v33, v7
	v_fmac_f32_e32 v5, v34, v6
	v_add_f32_e32 v6, v2, v4
	v_mul_f32_e32 v2, v36, v9
	v_add_f32_e32 v7, v3, v5
	v_fma_f32 v33, v35, v8, -v2
	ds_read_b128 v[2:5], v14 offset:64
	ds_read2_b64 v[29:32], v24 offset1:32
	v_mul_f32_e32 v9, v35, v9
	v_fmac_f32_e32 v9, v36, v8
	v_add_f32_e32 v33, v6, v33
	v_add_f32_e32 v34, v7, v9
	s_waitcnt lgkmcnt(0)
	v_mul_f32_e32 v35, v30, v3
	v_mul_f32_e32 v3, v29, v3
	v_fma_f32 v35, v29, v2, -v35
	v_fmac_f32_e32 v3, v30, v2
	ds_read_b128 v[6:9], v14 offset:80
	v_add_f32_e32 v2, v33, v35
	v_add_f32_e32 v3, v34, v3
	ds_read2_b64 v[33:36], v24 offset0:64 offset1:96
	v_mul_f32_e32 v29, v32, v5
	v_mul_f32_e32 v5, v31, v5
	v_fma_f32 v29, v31, v4, -v29
	v_fmac_f32_e32 v5, v32, v4
	s_waitcnt lgkmcnt(0)
	v_mul_f32_e32 v4, v34, v7
	v_add_f32_e32 v2, v2, v29
	v_add_f32_e32 v3, v3, v5
	v_fma_f32 v4, v33, v6, -v4
	v_mul_f32_e32 v5, v33, v7
	v_fmac_f32_e32 v5, v34, v6
	v_add_f32_e32 v6, v2, v4
	v_mul_f32_e32 v2, v36, v9
	v_add_f32_e32 v7, v3, v5
	v_fma_f32 v33, v35, v8, -v2
	ds_read_b128 v[2:5], v14 offset:96
	ds_read2_b64 v[29:32], v24 offset0:128 offset1:160
	v_mul_f32_e32 v9, v35, v9
	v_fmac_f32_e32 v9, v36, v8
	v_add_f32_e32 v33, v6, v33
	v_add_f32_e32 v34, v7, v9
	s_waitcnt lgkmcnt(0)
	v_mul_f32_e32 v35, v30, v3
	v_mul_f32_e32 v3, v29, v3
	v_fma_f32 v35, v29, v2, -v35
	v_fmac_f32_e32 v3, v30, v2
	ds_read_b128 v[6:9], v14 offset:112
	v_add_f32_e32 v2, v33, v35
	v_add_f32_e32 v3, v34, v3
	ds_read2_b64 v[33:36], v24 offset0:192 offset1:224
	v_mul_f32_e32 v29, v32, v5
	v_mul_f32_e32 v5, v31, v5
	v_fma_f32 v29, v31, v4, -v29
	v_fmac_f32_e32 v5, v32, v4
	s_waitcnt lgkmcnt(0)
	v_mul_f32_e32 v4, v34, v7
	v_add_f32_e32 v2, v2, v29
	v_add_f32_e32 v3, v3, v5
	v_fma_f32 v4, v33, v6, -v4
	v_mul_f32_e32 v5, v33, v7
	v_fmac_f32_e32 v5, v34, v6
	v_add_f32_e32 v6, v2, v4
	v_mul_f32_e32 v2, v36, v9
	v_add_f32_e32 v7, v3, v5
	v_fma_f32 v33, v35, v8, -v2
	ds_read_b128 v[2:5], v14 offset:128
	ds_read2_b64 v[29:32], v25 offset1:32
	v_mul_f32_e32 v9, v35, v9
	v_fmac_f32_e32 v9, v36, v8
	v_add_f32_e32 v6, v6, v33
	ds_read_b128 v[33:36], v14 offset:144
	ds_read2_b64 v[37:40], v25 offset0:64 offset1:96
	s_waitcnt lgkmcnt(2)
	v_mul_f32_e32 v8, v30, v3
	v_fma_f32 v8, v29, v2, -v8
	v_mul_f32_e32 v3, v29, v3
	v_add_f32_e32 v7, v7, v9
	v_fmac_f32_e32 v3, v30, v2
	v_add_f32_e32 v2, v6, v8
	v_mul_f32_e32 v6, v32, v5
	v_mul_f32_e32 v5, v31, v5
	v_add_f32_e32 v3, v7, v3
	v_fma_f32 v6, v31, v4, -v6
	v_fmac_f32_e32 v5, v32, v4
	s_waitcnt lgkmcnt(0)
	v_mul_f32_e32 v4, v38, v34
	v_add_f32_e32 v2, v2, v6
	v_add_f32_e32 v3, v3, v5
	v_fma_f32 v4, v37, v33, -v4
	v_mul_f32_e32 v5, v37, v34
	v_fmac_f32_e32 v5, v38, v33
	v_add_f32_e32 v29, v2, v4
	v_mul_f32_e32 v2, v40, v36
	v_add_f32_e32 v30, v3, v5
	v_fma_f32 v31, v39, v35, -v2
	ds_read_b128 v[2:5], v14 offset:160
	ds_read2_b64 v[6:9], v25 offset0:128 offset1:160
	v_mul_f32_e32 v32, v39, v36
	v_fmac_f32_e32 v32, v40, v35
	v_add_f32_e32 v35, v29, v31
	v_add_f32_e32 v36, v30, v32
	s_waitcnt lgkmcnt(0)
	v_mul_f32_e32 v33, v7, v3
	v_fma_f32 v37, v6, v2, -v33
	flat_load_dwordx2 v[33:34], v[10:11]
	v_mul_f32_e32 v6, v6, v3
	v_fmac_f32_e32 v6, v7, v2
	v_mul_f32_e32 v2, v9, v5
	v_fma_f32 v7, v8, v4, -v2
	v_mul_f32_e32 v8, v8, v5
	ds_read_b128 v[29:32], v14 offset:176
	v_fmac_f32_e32 v8, v9, v4
	ds_read2_b64 v[2:5], v25 offset0:192 offset1:224
	v_add_f32_e32 v6, v36, v6
	v_add_f32_e32 v9, v35, v37
	;; [unrolled: 1-line block ×4, first 2 shown]
	s_waitcnt lgkmcnt(0)
	v_mul_f32_e32 v6, v3, v30
	v_fma_f32 v6, v2, v29, -v6
	v_mul_f32_e32 v30, v2, v30
	v_mul_f32_e32 v2, v5, v32
	;; [unrolled: 1-line block ×3, first 2 shown]
	v_fmac_f32_e32 v30, v3, v29
	v_add_f32_e32 v29, v7, v6
	v_fma_f32 v36, v4, v31, -v2
	v_fmac_f32_e32 v32, v5, v31
	ds_read_b128 v[2:5], v14 offset:192
	ds_read2_b64 v[6:9], v26 offset1:32
	v_add_f32_e32 v30, v35, v30
	v_add_f32_e32 v35, v29, v36
	;; [unrolled: 1-line block ×3, first 2 shown]
	ds_read_b128 v[29:32], v14 offset:208
	s_waitcnt lgkmcnt(0)
	v_mul_f32_e32 v37, v7, v3
	v_fma_f32 v37, v6, v2, -v37
	v_mul_f32_e32 v6, v6, v3
	v_fmac_f32_e32 v6, v7, v2
	v_mul_f32_e32 v2, v9, v5
	v_fma_f32 v7, v8, v4, -v2
	v_mul_f32_e32 v8, v8, v5
	v_fmac_f32_e32 v8, v9, v4
	ds_read2_b64 v[2:5], v26 offset0:64 offset1:96
	v_add_f32_e32 v6, v36, v6
	v_add_f32_e32 v9, v35, v37
	;; [unrolled: 1-line block ×4, first 2 shown]
	s_waitcnt lgkmcnt(0)
	v_mul_f32_e32 v6, v3, v30
	v_fma_f32 v6, v2, v29, -v6
	v_mul_f32_e32 v30, v2, v30
	v_mul_f32_e32 v2, v5, v32
	;; [unrolled: 1-line block ×3, first 2 shown]
	v_fmac_f32_e32 v30, v3, v29
	v_add_f32_e32 v29, v7, v6
	v_fma_f32 v36, v4, v31, -v2
	v_fmac_f32_e32 v32, v5, v31
	ds_read_b128 v[2:5], v14 offset:224
	ds_read2_b64 v[6:9], v26 offset0:128 offset1:160
	v_add_f32_e32 v30, v35, v30
	v_add_f32_e32 v35, v29, v36
	;; [unrolled: 1-line block ×3, first 2 shown]
	ds_read_b128 v[29:32], v14 offset:240
	s_waitcnt lgkmcnt(0)
	v_mul_f32_e32 v37, v7, v3
	v_fma_f32 v37, v6, v2, -v37
	v_mul_f32_e32 v6, v6, v3
	v_fmac_f32_e32 v6, v7, v2
	v_mul_f32_e32 v2, v9, v5
	v_fma_f32 v7, v8, v4, -v2
	v_mul_f32_e32 v8, v8, v5
	v_fmac_f32_e32 v8, v9, v4
	ds_read2_b64 v[2:5], v26 offset0:192 offset1:224
	v_add_f32_e32 v6, v36, v6
	v_add_f32_e32 v6, v6, v8
	;; [unrolled: 1-line block ×4, first 2 shown]
	s_waitcnt lgkmcnt(0)
	v_mul_f32_e32 v8, v3, v30
	v_fma_f32 v8, v2, v29, -v8
	v_mul_f32_e32 v2, v2, v30
	v_fmac_f32_e32 v2, v3, v29
	v_add_f32_e32 v2, v6, v2
	v_mul_f32_e32 v6, v5, v32
	v_fma_f32 v6, v4, v31, -v6
	v_mul_f32_e32 v4, v4, v32
	v_fmac_f32_e32 v4, v5, v31
	v_add_f32_e32 v3, v7, v8
	v_add_f32_e32 v2, v2, v4
	;; [unrolled: 1-line block ×3, first 2 shown]
	v_mul_f32_e32 v4, s11, v2
	v_mul_f32_e32 v5, s10, v2
	v_fma_f32 v4, s10, v3, -v4
	v_fmac_f32_e32 v5, s11, v3
	s_waitcnt vmcnt(0)
	v_add_f32_e32 v2, v33, v4
	v_add_f32_e32 v3, v34, v5
	flat_store_dwordx2 v[10:11], v[2:3]
.LBB1922_11:                            ;   in Loop: Header=BB1922_5 Depth=1
	s_or_b64 exec, exec, s[2:3]
	v_mov_b32_e32 v3, 0
	v_mov_b32_e32 v5, 0
	;; [unrolled: 1-line block ×3, first 2 shown]
	s_waitcnt vmcnt(0) lgkmcnt(0)
	s_barrier
	s_and_saveexec_b64 s[16:17], s[6:7]
	s_cbranch_execz .LBB1922_13
; %bb.12:                               ;   in Loop: Header=BB1922_5 Depth=1
	v_mad_i64_i32 v[4:5], s[2:3], v27, s18, 0
	v_lshlrev_b64 v[4:5], 3, v[4:5]
	v_add_co_u32_e64 v4, s[2:3], v20, v4
	v_addc_co_u32_e64 v5, s[2:3], v21, v5, s[2:3]
	flat_load_dwordx2 v[4:5], v[4:5]
.LBB1922_13:                            ;   in Loop: Header=BB1922_5 Depth=1
	s_or_b64 exec, exec, s[16:17]
	v_mov_b32_e32 v2, 0
	s_waitcnt vmcnt(0) lgkmcnt(0)
	ds_write_b64 v15, v[4:5]
	s_and_saveexec_b64 s[6:7], s[12:13]
	s_cbranch_execz .LBB1922_15
; %bb.14:                               ;   in Loop: Header=BB1922_5 Depth=1
	v_mad_i64_i32 v[2:3], s[2:3], v28, s15, 0
	v_lshlrev_b64 v[2:3], 3, v[2:3]
	v_add_co_u32_e64 v2, s[2:3], v22, v2
	v_addc_co_u32_e64 v3, s[2:3], v23, v3, s[2:3]
	flat_load_dwordx2 v[2:3], v[2:3]
.LBB1922_15:                            ;   in Loop: Header=BB1922_5 Depth=1
	s_or_b64 exec, exec, s[6:7]
	s_waitcnt vmcnt(0) lgkmcnt(0)
	ds_write_b64 v19, v[2:3]
	s_waitcnt lgkmcnt(0)
	s_barrier
	s_and_saveexec_b64 s[2:3], s[4:5]
	s_cbranch_execz .LBB1922_4
; %bb.16:                               ;   in Loop: Header=BB1922_5 Depth=1
	ds_read2_b64 v[2:5], v18 offset1:32
	ds_read_b128 v[6:9], v14
	ds_read_b128 v[27:30], v14 offset:16
	s_waitcnt lgkmcnt(1)
	v_mul_f32_e32 v31, v3, v7
	v_mul_f32_e32 v35, v2, v7
	v_fma_f32 v36, v2, v6, -v31
	v_mul_f32_e32 v2, v5, v9
	v_mul_f32_e32 v38, v4, v9
	v_fmac_f32_e32 v35, v3, v6
	v_fma_f32 v37, v4, v8, -v2
	v_fmac_f32_e32 v38, v5, v8
	ds_read_b128 v[2:5], v14 offset:32
	ds_read_b128 v[6:9], v14 offset:48
	ds_read2_b64 v[31:34], v18 offset0:64 offset1:96
	v_add_f32_e32 v36, 0, v36
	v_add_f32_e32 v36, v36, v37
	;; [unrolled: 1-line block ×4, first 2 shown]
	s_waitcnt lgkmcnt(0)
	v_mul_f32_e32 v37, v32, v28
	v_fma_f32 v37, v31, v27, -v37
	v_mul_f32_e32 v31, v31, v28
	v_fmac_f32_e32 v31, v32, v27
	v_mul_f32_e32 v27, v34, v30
	v_fma_f32 v32, v33, v29, -v27
	v_mul_f32_e32 v33, v33, v30
	v_fmac_f32_e32 v33, v34, v29
	ds_read2_b64 v[27:30], v18 offset0:128 offset1:160
	v_add_f32_e32 v31, v35, v31
	v_add_f32_e32 v34, v36, v37
	;; [unrolled: 1-line block ×4, first 2 shown]
	s_waitcnt lgkmcnt(0)
	v_mul_f32_e32 v33, v28, v3
	v_mul_f32_e32 v3, v27, v3
	v_fma_f32 v33, v27, v2, -v33
	v_fmac_f32_e32 v3, v28, v2
	v_add_f32_e32 v2, v32, v33
	v_add_f32_e32 v3, v31, v3
	ds_read2_b64 v[31:34], v18 offset0:192 offset1:224
	v_mul_f32_e32 v27, v30, v5
	v_mul_f32_e32 v5, v29, v5
	v_fma_f32 v27, v29, v4, -v27
	v_fmac_f32_e32 v5, v30, v4
	s_waitcnt lgkmcnt(0)
	v_mul_f32_e32 v4, v32, v7
	v_add_f32_e32 v2, v2, v27
	v_add_f32_e32 v3, v3, v5
	v_fma_f32 v4, v31, v6, -v4
	v_mul_f32_e32 v5, v31, v7
	v_fmac_f32_e32 v5, v32, v6
	v_add_f32_e32 v6, v2, v4
	v_mul_f32_e32 v2, v34, v9
	v_add_f32_e32 v7, v3, v5
	v_fma_f32 v31, v33, v8, -v2
	ds_read_b128 v[2:5], v14 offset:64
	ds_read2_b64 v[27:30], v24 offset1:32
	v_mul_f32_e32 v9, v33, v9
	v_fmac_f32_e32 v9, v34, v8
	v_add_f32_e32 v31, v6, v31
	v_add_f32_e32 v32, v7, v9
	s_waitcnt lgkmcnt(0)
	v_mul_f32_e32 v33, v28, v3
	v_mul_f32_e32 v3, v27, v3
	v_fma_f32 v33, v27, v2, -v33
	v_fmac_f32_e32 v3, v28, v2
	ds_read_b128 v[6:9], v14 offset:80
	v_add_f32_e32 v2, v31, v33
	v_add_f32_e32 v3, v32, v3
	ds_read2_b64 v[31:34], v24 offset0:64 offset1:96
	v_mul_f32_e32 v27, v30, v5
	v_mul_f32_e32 v5, v29, v5
	v_fma_f32 v27, v29, v4, -v27
	v_fmac_f32_e32 v5, v30, v4
	s_waitcnt lgkmcnt(0)
	v_mul_f32_e32 v4, v32, v7
	v_add_f32_e32 v2, v2, v27
	v_add_f32_e32 v3, v3, v5
	v_fma_f32 v4, v31, v6, -v4
	v_mul_f32_e32 v5, v31, v7
	v_fmac_f32_e32 v5, v32, v6
	v_add_f32_e32 v6, v2, v4
	v_mul_f32_e32 v2, v34, v9
	v_add_f32_e32 v7, v3, v5
	v_fma_f32 v31, v33, v8, -v2
	ds_read_b128 v[2:5], v14 offset:96
	ds_read2_b64 v[27:30], v24 offset0:128 offset1:160
	v_mul_f32_e32 v9, v33, v9
	v_fmac_f32_e32 v9, v34, v8
	v_add_f32_e32 v31, v6, v31
	v_add_f32_e32 v32, v7, v9
	s_waitcnt lgkmcnt(0)
	v_mul_f32_e32 v33, v28, v3
	v_mul_f32_e32 v3, v27, v3
	v_fma_f32 v33, v27, v2, -v33
	v_fmac_f32_e32 v3, v28, v2
	ds_read_b128 v[6:9], v14 offset:112
	v_add_f32_e32 v2, v31, v33
	v_add_f32_e32 v3, v32, v3
	ds_read2_b64 v[31:34], v24 offset0:192 offset1:224
	v_mul_f32_e32 v27, v30, v5
	v_mul_f32_e32 v5, v29, v5
	v_fma_f32 v27, v29, v4, -v27
	v_fmac_f32_e32 v5, v30, v4
	s_waitcnt lgkmcnt(0)
	v_mul_f32_e32 v4, v32, v7
	v_add_f32_e32 v2, v2, v27
	v_add_f32_e32 v3, v3, v5
	v_fma_f32 v4, v31, v6, -v4
	v_mul_f32_e32 v5, v31, v7
	v_fmac_f32_e32 v5, v32, v6
	v_add_f32_e32 v6, v2, v4
	v_mul_f32_e32 v2, v34, v9
	v_add_f32_e32 v7, v3, v5
	v_fma_f32 v31, v33, v8, -v2
	ds_read_b128 v[2:5], v14 offset:128
	ds_read2_b64 v[27:30], v25 offset1:32
	v_mul_f32_e32 v9, v33, v9
	v_fmac_f32_e32 v9, v34, v8
	v_add_f32_e32 v6, v6, v31
	ds_read_b128 v[31:34], v14 offset:144
	ds_read2_b64 v[35:38], v25 offset0:64 offset1:96
	s_waitcnt lgkmcnt(2)
	v_mul_f32_e32 v8, v28, v3
	v_fma_f32 v8, v27, v2, -v8
	v_mul_f32_e32 v3, v27, v3
	v_add_f32_e32 v7, v7, v9
	v_fmac_f32_e32 v3, v28, v2
	v_add_f32_e32 v2, v6, v8
	v_mul_f32_e32 v6, v30, v5
	v_mul_f32_e32 v5, v29, v5
	v_add_f32_e32 v3, v7, v3
	v_fma_f32 v6, v29, v4, -v6
	v_fmac_f32_e32 v5, v30, v4
	s_waitcnt lgkmcnt(0)
	v_mul_f32_e32 v4, v36, v32
	v_add_f32_e32 v2, v2, v6
	v_add_f32_e32 v3, v3, v5
	v_fma_f32 v4, v35, v31, -v4
	v_mul_f32_e32 v5, v35, v32
	v_fmac_f32_e32 v5, v36, v31
	v_add_f32_e32 v27, v2, v4
	v_mul_f32_e32 v2, v38, v34
	v_add_f32_e32 v28, v3, v5
	v_fma_f32 v29, v37, v33, -v2
	ds_read_b128 v[2:5], v14 offset:160
	ds_read2_b64 v[6:9], v25 offset0:128 offset1:160
	flat_load_dwordx2 v[35:36], v[10:11]
	v_mul_f32_e32 v30, v37, v34
	v_fmac_f32_e32 v30, v38, v33
	v_add_f32_e32 v31, v27, v29
	s_waitcnt lgkmcnt(0)
	v_mul_f32_e32 v33, v7, v3
	v_mul_f32_e32 v3, v6, v3
	v_add_f32_e32 v32, v28, v30
	v_fma_f32 v33, v6, v2, -v33
	v_fmac_f32_e32 v3, v7, v2
	ds_read_b128 v[27:30], v14 offset:176
	v_add_f32_e32 v2, v31, v33
	v_add_f32_e32 v3, v32, v3
	ds_read2_b64 v[31:34], v25 offset0:192 offset1:224
	v_mul_f32_e32 v6, v9, v5
	v_mul_f32_e32 v5, v8, v5
	v_fma_f32 v6, v8, v4, -v6
	v_fmac_f32_e32 v5, v9, v4
	s_waitcnt lgkmcnt(0)
	v_mul_f32_e32 v4, v32, v28
	v_add_f32_e32 v2, v2, v6
	v_add_f32_e32 v3, v3, v5
	v_fma_f32 v4, v31, v27, -v4
	v_mul_f32_e32 v5, v31, v28
	v_fmac_f32_e32 v5, v32, v27
	v_add_f32_e32 v27, v2, v4
	v_mul_f32_e32 v2, v34, v30
	v_add_f32_e32 v28, v3, v5
	v_fma_f32 v31, v33, v29, -v2
	ds_read_b128 v[2:5], v14 offset:192
	ds_read2_b64 v[6:9], v26 offset1:32
	v_mul_f32_e32 v30, v33, v30
	v_fmac_f32_e32 v30, v34, v29
	v_add_f32_e32 v31, v27, v31
	v_add_f32_e32 v32, v28, v30
	s_waitcnt lgkmcnt(0)
	v_mul_f32_e32 v33, v7, v3
	v_mul_f32_e32 v3, v6, v3
	v_fma_f32 v33, v6, v2, -v33
	v_fmac_f32_e32 v3, v7, v2
	ds_read_b128 v[27:30], v14 offset:208
	v_add_f32_e32 v2, v31, v33
	v_add_f32_e32 v3, v32, v3
	ds_read2_b64 v[31:34], v26 offset0:64 offset1:96
	v_mul_f32_e32 v6, v9, v5
	v_mul_f32_e32 v5, v8, v5
	v_fma_f32 v6, v8, v4, -v6
	v_fmac_f32_e32 v5, v9, v4
	s_waitcnt lgkmcnt(0)
	v_mul_f32_e32 v4, v32, v28
	v_add_f32_e32 v2, v2, v6
	v_add_f32_e32 v3, v3, v5
	v_fma_f32 v4, v31, v27, -v4
	v_mul_f32_e32 v5, v31, v28
	v_fmac_f32_e32 v5, v32, v27
	v_add_f32_e32 v27, v2, v4
	v_mul_f32_e32 v2, v34, v30
	v_add_f32_e32 v28, v3, v5
	v_fma_f32 v31, v33, v29, -v2
	ds_read_b128 v[2:5], v14 offset:224
	ds_read2_b64 v[6:9], v26 offset0:128 offset1:160
	v_mul_f32_e32 v30, v33, v30
	v_fmac_f32_e32 v30, v34, v29
	v_add_f32_e32 v31, v27, v31
	v_add_f32_e32 v32, v28, v30
	s_waitcnt lgkmcnt(0)
	v_mul_f32_e32 v33, v7, v3
	v_mul_f32_e32 v3, v6, v3
	v_fma_f32 v33, v6, v2, -v33
	v_fmac_f32_e32 v3, v7, v2
	ds_read_b128 v[27:30], v14 offset:240
	v_add_f32_e32 v2, v31, v33
	v_add_f32_e32 v3, v32, v3
	ds_read2_b64 v[31:34], v26 offset0:192 offset1:224
	v_mul_f32_e32 v6, v9, v5
	v_mul_f32_e32 v5, v8, v5
	v_fmac_f32_e32 v5, v9, v4
	v_fma_f32 v6, v8, v4, -v6
	v_add_f32_e32 v3, v3, v5
	s_waitcnt lgkmcnt(0)
	v_mul_f32_e32 v4, v32, v28
	v_mul_f32_e32 v5, v31, v28
	v_add_f32_e32 v2, v2, v6
	v_fma_f32 v4, v31, v27, -v4
	v_fmac_f32_e32 v5, v32, v27
	v_add_f32_e32 v2, v2, v4
	v_add_f32_e32 v3, v3, v5
	v_mul_f32_e32 v4, v34, v30
	v_mul_f32_e32 v5, v33, v30
	v_fma_f32 v4, v33, v29, -v4
	v_fmac_f32_e32 v5, v34, v29
	v_add_f32_e32 v2, v2, v4
	v_add_f32_e32 v3, v3, v5
	v_mul_f32_e32 v4, s11, v3
	v_mul_f32_e32 v5, s11, v2
	v_fma_f32 v4, s10, v2, -v4
	v_fmac_f32_e32 v5, s10, v3
	s_waitcnt vmcnt(0)
	v_add_f32_e32 v2, v35, v4
	v_add_f32_e32 v3, v36, v5
	flat_store_dwordx2 v[10:11], v[2:3]
	s_branch .LBB1922_4
.LBB1922_17:
	s_endpgm
	.section	.rodata,"a",@progbits
	.p2align	6, 0x0
	.amdhsa_kernel _ZL26rocblas_syr2k_her2k_kernelIiLb1ELb0ELb0ELi32EPK19rocblas_complex_numIfEPKS3_PKPS1_EvbiT_T4_T5_S9_lSB_S9_lT6_S9_li
		.amdhsa_group_segment_fixed_size 16384
		.amdhsa_private_segment_fixed_size 0
		.amdhsa_kernarg_size 100
		.amdhsa_user_sgpr_count 6
		.amdhsa_user_sgpr_private_segment_buffer 1
		.amdhsa_user_sgpr_dispatch_ptr 0
		.amdhsa_user_sgpr_queue_ptr 0
		.amdhsa_user_sgpr_kernarg_segment_ptr 1
		.amdhsa_user_sgpr_dispatch_id 0
		.amdhsa_user_sgpr_flat_scratch_init 0
		.amdhsa_user_sgpr_private_segment_size 0
		.amdhsa_uses_dynamic_stack 0
		.amdhsa_system_sgpr_private_segment_wavefront_offset 0
		.amdhsa_system_sgpr_workgroup_id_x 1
		.amdhsa_system_sgpr_workgroup_id_y 1
		.amdhsa_system_sgpr_workgroup_id_z 1
		.amdhsa_system_sgpr_workgroup_info 0
		.amdhsa_system_vgpr_workitem_id 1
		.amdhsa_next_free_vgpr 42
		.amdhsa_next_free_sgpr 61
		.amdhsa_reserve_vcc 1
		.amdhsa_reserve_flat_scratch 0
		.amdhsa_float_round_mode_32 0
		.amdhsa_float_round_mode_16_64 0
		.amdhsa_float_denorm_mode_32 3
		.amdhsa_float_denorm_mode_16_64 3
		.amdhsa_dx10_clamp 1
		.amdhsa_ieee_mode 1
		.amdhsa_fp16_overflow 0
		.amdhsa_exception_fp_ieee_invalid_op 0
		.amdhsa_exception_fp_denorm_src 0
		.amdhsa_exception_fp_ieee_div_zero 0
		.amdhsa_exception_fp_ieee_overflow 0
		.amdhsa_exception_fp_ieee_underflow 0
		.amdhsa_exception_fp_ieee_inexact 0
		.amdhsa_exception_int_div_zero 0
	.end_amdhsa_kernel
	.section	.text._ZL26rocblas_syr2k_her2k_kernelIiLb1ELb0ELb0ELi32EPK19rocblas_complex_numIfEPKS3_PKPS1_EvbiT_T4_T5_S9_lSB_S9_lT6_S9_li,"axG",@progbits,_ZL26rocblas_syr2k_her2k_kernelIiLb1ELb0ELb0ELi32EPK19rocblas_complex_numIfEPKS3_PKPS1_EvbiT_T4_T5_S9_lSB_S9_lT6_S9_li,comdat
.Lfunc_end1922:
	.size	_ZL26rocblas_syr2k_her2k_kernelIiLb1ELb0ELb0ELi32EPK19rocblas_complex_numIfEPKS3_PKPS1_EvbiT_T4_T5_S9_lSB_S9_lT6_S9_li, .Lfunc_end1922-_ZL26rocblas_syr2k_her2k_kernelIiLb1ELb0ELb0ELi32EPK19rocblas_complex_numIfEPKS3_PKPS1_EvbiT_T4_T5_S9_lSB_S9_lT6_S9_li
                                        ; -- End function
	.set _ZL26rocblas_syr2k_her2k_kernelIiLb1ELb0ELb0ELi32EPK19rocblas_complex_numIfEPKS3_PKPS1_EvbiT_T4_T5_S9_lSB_S9_lT6_S9_li.num_vgpr, 42
	.set _ZL26rocblas_syr2k_her2k_kernelIiLb1ELb0ELb0ELi32EPK19rocblas_complex_numIfEPKS3_PKPS1_EvbiT_T4_T5_S9_lSB_S9_lT6_S9_li.num_agpr, 0
	.set _ZL26rocblas_syr2k_her2k_kernelIiLb1ELb0ELb0ELi32EPK19rocblas_complex_numIfEPKS3_PKPS1_EvbiT_T4_T5_S9_lSB_S9_lT6_S9_li.numbered_sgpr, 28
	.set _ZL26rocblas_syr2k_her2k_kernelIiLb1ELb0ELb0ELi32EPK19rocblas_complex_numIfEPKS3_PKPS1_EvbiT_T4_T5_S9_lSB_S9_lT6_S9_li.num_named_barrier, 0
	.set _ZL26rocblas_syr2k_her2k_kernelIiLb1ELb0ELb0ELi32EPK19rocblas_complex_numIfEPKS3_PKPS1_EvbiT_T4_T5_S9_lSB_S9_lT6_S9_li.private_seg_size, 0
	.set _ZL26rocblas_syr2k_her2k_kernelIiLb1ELb0ELb0ELi32EPK19rocblas_complex_numIfEPKS3_PKPS1_EvbiT_T4_T5_S9_lSB_S9_lT6_S9_li.uses_vcc, 1
	.set _ZL26rocblas_syr2k_her2k_kernelIiLb1ELb0ELb0ELi32EPK19rocblas_complex_numIfEPKS3_PKPS1_EvbiT_T4_T5_S9_lSB_S9_lT6_S9_li.uses_flat_scratch, 0
	.set _ZL26rocblas_syr2k_her2k_kernelIiLb1ELb0ELb0ELi32EPK19rocblas_complex_numIfEPKS3_PKPS1_EvbiT_T4_T5_S9_lSB_S9_lT6_S9_li.has_dyn_sized_stack, 0
	.set _ZL26rocblas_syr2k_her2k_kernelIiLb1ELb0ELb0ELi32EPK19rocblas_complex_numIfEPKS3_PKPS1_EvbiT_T4_T5_S9_lSB_S9_lT6_S9_li.has_recursion, 0
	.set _ZL26rocblas_syr2k_her2k_kernelIiLb1ELb0ELb0ELi32EPK19rocblas_complex_numIfEPKS3_PKPS1_EvbiT_T4_T5_S9_lSB_S9_lT6_S9_li.has_indirect_call, 0
	.section	.AMDGPU.csdata,"",@progbits
; Kernel info:
; codeLenInByte = 3436
; TotalNumSgprs: 32
; NumVgprs: 42
; ScratchSize: 0
; MemoryBound: 0
; FloatMode: 240
; IeeeMode: 1
; LDSByteSize: 16384 bytes/workgroup (compile time only)
; SGPRBlocks: 8
; VGPRBlocks: 10
; NumSGPRsForWavesPerEU: 65
; NumVGPRsForWavesPerEU: 42
; Occupancy: 5
; WaveLimiterHint : 1
; COMPUTE_PGM_RSRC2:SCRATCH_EN: 0
; COMPUTE_PGM_RSRC2:USER_SGPR: 6
; COMPUTE_PGM_RSRC2:TRAP_HANDLER: 0
; COMPUTE_PGM_RSRC2:TGID_X_EN: 1
; COMPUTE_PGM_RSRC2:TGID_Y_EN: 1
; COMPUTE_PGM_RSRC2:TGID_Z_EN: 1
; COMPUTE_PGM_RSRC2:TIDIG_COMP_CNT: 1
	.section	.text._ZL26rocblas_syr2k_her2k_kernelIiLb1ELb0ELb1ELi32EPK19rocblas_complex_numIfEPKS3_PKPS1_EvbiT_T4_T5_S9_lSB_S9_lT6_S9_li,"axG",@progbits,_ZL26rocblas_syr2k_her2k_kernelIiLb1ELb0ELb1ELi32EPK19rocblas_complex_numIfEPKS3_PKPS1_EvbiT_T4_T5_S9_lSB_S9_lT6_S9_li,comdat
	.globl	_ZL26rocblas_syr2k_her2k_kernelIiLb1ELb0ELb1ELi32EPK19rocblas_complex_numIfEPKS3_PKPS1_EvbiT_T4_T5_S9_lSB_S9_lT6_S9_li ; -- Begin function _ZL26rocblas_syr2k_her2k_kernelIiLb1ELb0ELb1ELi32EPK19rocblas_complex_numIfEPKS3_PKPS1_EvbiT_T4_T5_S9_lSB_S9_lT6_S9_li
	.p2align	8
	.type	_ZL26rocblas_syr2k_her2k_kernelIiLb1ELb0ELb1ELi32EPK19rocblas_complex_numIfEPKS3_PKPS1_EvbiT_T4_T5_S9_lSB_S9_lT6_S9_li,@function
_ZL26rocblas_syr2k_her2k_kernelIiLb1ELb0ELb1ELi32EPK19rocblas_complex_numIfEPKS3_PKPS1_EvbiT_T4_T5_S9_lSB_S9_lT6_S9_li: ; @_ZL26rocblas_syr2k_her2k_kernelIiLb1ELb0ELb1ELi32EPK19rocblas_complex_numIfEPKS3_PKPS1_EvbiT_T4_T5_S9_lSB_S9_lT6_S9_li
; %bb.0:
	s_load_dwordx4 s[0:3], s[4:5], 0x10
	s_waitcnt lgkmcnt(0)
	s_load_dwordx2 s[10:11], s[0:1], 0x0
	s_waitcnt lgkmcnt(0)
	v_cmp_eq_f32_e64 s[0:1], s10, 0
	v_cmp_eq_f32_e64 s[12:13], s11, 0
	s_and_b64 s[0:1], s[0:1], s[12:13]
	s_and_b64 vcc, exec, s[0:1]
	s_cbranch_vccnz .LBB1923_17
; %bb.1:
	s_load_dwordx4 s[12:15], s[4:5], 0x0
	s_lshl_b32 s0, s7, 5
	s_lshl_b32 s1, s6, 5
	s_waitcnt lgkmcnt(0)
	s_and_b32 s6, 1, s12
	s_cmp_eq_u32 s6, 1
	s_cselect_b64 vcc, -1, 0
	s_and_b64 s[6:7], vcc, exec
	s_cselect_b32 s6, s1, s0
	s_cselect_b32 s7, s0, s1
	s_cmp_gt_i32 s6, s7
	s_cbranch_scc1 .LBB1923_17
; %bb.2:
	s_cmp_lt_i32 s14, 1
	s_cbranch_scc1 .LBB1923_17
; %bb.3:
	s_mov_b32 s9, 0
	s_load_dword s12, s[4:5], 0x20
	s_load_dwordx4 s[16:19], s[4:5], 0x28
	s_load_dword s15, s[4:5], 0x38
	s_load_dwordx4 s[20:23], s[4:5], 0x40
	s_load_dword s24, s[4:5], 0x50
	s_load_dwordx2 s[6:7], s[4:5], 0x58
	s_lshl_b64 s[4:5], s[8:9], 3
	s_add_u32 s2, s2, s4
	s_addc_u32 s3, s3, s5
	s_load_dwordx2 s[2:3], s[2:3], 0x0
	v_add_u32_e32 v2, s1, v0
	s_waitcnt lgkmcnt(0)
	s_add_u32 s18, s18, s4
	v_add_u32_e32 v7, s0, v1
	v_mad_i64_i32 v[4:5], s[0:1], s12, v2, 0
	s_addc_u32 s19, s19, s5
	s_add_u32 s4, s22, s4
	s_addc_u32 s5, s23, s5
	s_lshl_b64 s[16:17], s[16:17], 3
	s_add_u32 s8, s2, s16
	v_lshlrev_b64 v[4:5], 3, v[4:5]
	s_load_dwordx2 s[18:19], s[18:19], 0x0
	s_addc_u32 s16, s3, s17
	v_mov_b32_e32 v9, s16
	v_add_co_u32_e64 v16, s[0:1], s8, v4
	s_load_dwordx2 s[4:5], s[4:5], 0x0
	v_addc_co_u32_e64 v17, s[0:1], v9, v5, s[0:1]
	v_mad_i64_i32 v[4:5], s[0:1], s15, v7, 0
	s_lshl_b64 s[2:3], s[20:21], 3
	s_waitcnt lgkmcnt(0)
	s_add_u32 s17, s18, s2
	s_addc_u32 s18, s19, s3
	s_lshl_b64 s[2:3], s[6:7], 3
	v_lshlrev_b64 v[4:5], 3, v[4:5]
	s_add_u32 s6, s4, s2
	s_addc_u32 s7, s5, s3
	v_mov_b32_e32 v10, s18
	v_add_co_u32_e64 v20, s[2:3], s17, v4
	v_addc_co_u32_e64 v21, s[2:3], v10, v5, s[2:3]
	v_mad_i64_i32 v[4:5], s[2:3], s24, v7, 0
	v_cndmask_b32_e32 v6, v2, v7, vcc
	v_cndmask_b32_e32 v8, v7, v2, vcc
	v_cmp_gt_i32_e32 vcc, s13, v2
	v_cmp_gt_i32_e64 s[0:1], s13, v7
	v_lshlrev_b64 v[4:5], 3, v[4:5]
	v_cmp_le_i32_e64 s[2:3], v8, v6
	s_and_b64 s[4:5], s[0:1], vcc
	v_lshlrev_b32_e32 v18, 8, v0
	v_lshlrev_b32_e32 v9, 3, v1
	s_and_b64 s[4:5], s[4:5], s[2:3]
	v_mov_b32_e32 v6, s7
	v_add_co_u32_e64 v8, s[2:3], s6, v4
	v_ashrrev_i32_e32 v3, 31, v2
	v_add_u32_e32 v19, v18, v9
	v_or_b32_e32 v22, 0x2000, v9
	v_addc_co_u32_e64 v9, s[2:3], v6, v5, s[2:3]
	v_mad_i64_i32 v[5:6], s[2:3], s15, v2, 0
	v_lshlrev_b64 v[3:4], 3, v[2:3]
	v_add_u32_e32 v23, v22, v18
	v_add_co_u32_e64 v10, s[2:3], v8, v3
	v_addc_co_u32_e64 v11, s[2:3], v9, v4, s[2:3]
	v_lshlrev_b64 v[2:3], 3, v[5:6]
	v_mad_i64_i32 v[4:5], s[2:3], s12, v7, 0
	v_mov_b32_e32 v6, s18
	v_add_co_u32_e64 v24, s[2:3], s17, v2
	v_addc_co_u32_e64 v25, s[2:3], v6, v3, s[2:3]
	v_lshlrev_b64 v[2:3], 3, v[4:5]
	v_mov_b32_e32 v4, s16
	v_add_co_u32_e64 v26, s[2:3], s8, v2
	v_addc_co_u32_e64 v27, s[2:3], v4, v3, s[2:3]
	v_add_u32_e32 v28, 0x800, v22
	v_add_u32_e32 v29, 0x1000, v22
	;; [unrolled: 1-line block ×3, first 2 shown]
	s_branch .LBB1923_5
.LBB1923_4:                             ;   in Loop: Header=BB1923_5 Depth=1
	s_or_b64 exec, exec, s[2:3]
	s_add_i32 s9, s9, 32
	s_cmp_lt_i32 s9, s14
	s_waitcnt vmcnt(0) lgkmcnt(0)
	s_barrier
	s_cbranch_scc0 .LBB1923_17
.LBB1923_5:                             ; =>This Inner Loop Header: Depth=1
	v_add_u32_e32 v12, s9, v1
	v_cmp_gt_i32_e64 s[2:3], s14, v12
	s_and_b64 s[6:7], vcc, s[2:3]
	v_mov_b32_e32 v2, 0
	v_mov_b32_e32 v3, 0
	;; [unrolled: 1-line block ×3, first 2 shown]
	s_and_saveexec_b64 s[12:13], s[6:7]
	s_cbranch_execz .LBB1923_7
; %bb.6:                                ;   in Loop: Header=BB1923_5 Depth=1
	v_ashrrev_i32_e32 v13, 31, v12
	v_lshlrev_b64 v[3:4], 3, v[12:13]
	v_add_co_u32_e64 v3, s[2:3], v16, v3
	v_addc_co_u32_e64 v4, s[2:3], v17, v4, s[2:3]
	flat_load_dwordx2 v[3:4], v[3:4]
.LBB1923_7:                             ;   in Loop: Header=BB1923_5 Depth=1
	s_or_b64 exec, exec, s[12:13]
	v_add_u32_e32 v14, s9, v0
	v_cmp_gt_i32_e64 s[2:3], s14, v14
	s_waitcnt vmcnt(0) lgkmcnt(0)
	ds_write_b64 v19, v[3:4]
	s_and_b64 s[12:13], s[0:1], s[2:3]
	v_mov_b32_e32 v3, 0
	s_and_saveexec_b64 s[16:17], s[12:13]
	s_cbranch_execz .LBB1923_9
; %bb.8:                                ;   in Loop: Header=BB1923_5 Depth=1
	v_ashrrev_i32_e32 v15, 31, v14
	v_lshlrev_b64 v[2:3], 3, v[14:15]
	v_add_co_u32_e64 v2, s[2:3], v20, v2
	v_addc_co_u32_e64 v3, s[2:3], v21, v3, s[2:3]
	flat_load_dwordx2 v[2:3], v[2:3]
.LBB1923_9:                             ;   in Loop: Header=BB1923_5 Depth=1
	s_or_b64 exec, exec, s[16:17]
	s_waitcnt vmcnt(0) lgkmcnt(0)
	ds_write_b64 v23, v[2:3]
	s_waitcnt lgkmcnt(0)
	s_barrier
	s_and_saveexec_b64 s[2:3], s[4:5]
	s_cbranch_execz .LBB1923_11
; %bb.10:                               ;   in Loop: Header=BB1923_5 Depth=1
	ds_read2_b64 v[2:5], v22 offset1:32
	ds_read_b128 v[6:9], v18
	ds_read_b128 v[31:34], v18 offset:16
	ds_read2_b64 v[35:38], v22 offset0:64 offset1:96
	s_waitcnt lgkmcnt(2)
	v_mul_f32_e32 v13, v3, v7
	v_mul_f32_e32 v15, v2, v7
	v_fma_f32 v13, v2, v6, -v13
	v_mul_f32_e32 v2, v5, v9
	v_fma_f32 v39, v4, v8, -v2
	s_waitcnt lgkmcnt(0)
	v_mul_f32_e32 v2, v36, v32
	v_fma_f32 v41, v35, v31, -v2
	v_mul_f32_e32 v35, v35, v32
	v_mul_f32_e32 v2, v38, v34
	;; [unrolled: 1-line block ×3, first 2 shown]
	v_fmac_f32_e32 v35, v36, v31
	v_fma_f32 v36, v37, v33, -v2
	v_mul_f32_e32 v37, v37, v34
	v_fmac_f32_e32 v15, v3, v6
	v_fmac_f32_e32 v40, v5, v8
	;; [unrolled: 1-line block ×3, first 2 shown]
	ds_read_b128 v[2:5], v18 offset:32
	ds_read_b128 v[6:9], v18 offset:48
	ds_read2_b64 v[31:34], v22 offset0:128 offset1:160
	v_add_f32_e32 v13, 0, v13
	v_add_f32_e32 v15, 0, v15
	;; [unrolled: 1-line block ×6, first 2 shown]
	s_waitcnt lgkmcnt(0)
	v_mul_f32_e32 v35, v32, v3
	v_add_f32_e32 v13, v13, v36
	v_fma_f32 v35, v31, v2, -v35
	v_mul_f32_e32 v3, v31, v3
	v_add_f32_e32 v15, v15, v37
	v_fmac_f32_e32 v3, v32, v2
	v_add_f32_e32 v2, v13, v35
	ds_read2_b64 v[35:38], v22 offset0:192 offset1:224
	v_mul_f32_e32 v13, v34, v5
	v_mul_f32_e32 v5, v33, v5
	v_add_f32_e32 v3, v15, v3
	v_fma_f32 v13, v33, v4, -v13
	v_fmac_f32_e32 v5, v34, v4
	s_waitcnt lgkmcnt(0)
	v_mul_f32_e32 v4, v36, v7
	v_add_f32_e32 v2, v2, v13
	v_add_f32_e32 v3, v3, v5
	v_fma_f32 v4, v35, v6, -v4
	v_mul_f32_e32 v5, v35, v7
	v_fmac_f32_e32 v5, v36, v6
	v_add_f32_e32 v6, v2, v4
	v_mul_f32_e32 v2, v38, v9
	v_add_f32_e32 v7, v3, v5
	v_fma_f32 v13, v37, v8, -v2
	ds_read_b128 v[2:5], v18 offset:64
	ds_read2_b64 v[31:34], v28 offset1:32
	v_mul_f32_e32 v9, v37, v9
	v_fmac_f32_e32 v9, v38, v8
	v_add_f32_e32 v13, v6, v13
	v_add_f32_e32 v15, v7, v9
	s_waitcnt lgkmcnt(0)
	v_mul_f32_e32 v35, v32, v3
	v_fma_f32 v35, v31, v2, -v35
	v_mul_f32_e32 v3, v31, v3
	ds_read_b128 v[6:9], v18 offset:80
	v_fmac_f32_e32 v3, v32, v2
	v_add_f32_e32 v2, v13, v35
	ds_read2_b64 v[35:38], v28 offset0:64 offset1:96
	v_mul_f32_e32 v13, v34, v5
	v_mul_f32_e32 v5, v33, v5
	v_add_f32_e32 v3, v15, v3
	v_fma_f32 v13, v33, v4, -v13
	v_fmac_f32_e32 v5, v34, v4
	s_waitcnt lgkmcnt(0)
	v_mul_f32_e32 v4, v36, v7
	v_add_f32_e32 v2, v2, v13
	v_add_f32_e32 v3, v3, v5
	v_fma_f32 v4, v35, v6, -v4
	v_mul_f32_e32 v5, v35, v7
	v_fmac_f32_e32 v5, v36, v6
	v_add_f32_e32 v6, v2, v4
	v_mul_f32_e32 v2, v38, v9
	v_add_f32_e32 v7, v3, v5
	v_fma_f32 v13, v37, v8, -v2
	ds_read_b128 v[2:5], v18 offset:96
	ds_read2_b64 v[31:34], v28 offset0:128 offset1:160
	v_mul_f32_e32 v9, v37, v9
	v_fmac_f32_e32 v9, v38, v8
	v_add_f32_e32 v13, v6, v13
	v_add_f32_e32 v15, v7, v9
	s_waitcnt lgkmcnt(0)
	v_mul_f32_e32 v35, v32, v3
	v_fma_f32 v35, v31, v2, -v35
	v_mul_f32_e32 v3, v31, v3
	ds_read_b128 v[6:9], v18 offset:112
	v_fmac_f32_e32 v3, v32, v2
	v_add_f32_e32 v2, v13, v35
	ds_read2_b64 v[35:38], v28 offset0:192 offset1:224
	v_mul_f32_e32 v13, v34, v5
	v_mul_f32_e32 v5, v33, v5
	v_add_f32_e32 v3, v15, v3
	v_fma_f32 v13, v33, v4, -v13
	v_fmac_f32_e32 v5, v34, v4
	s_waitcnt lgkmcnt(0)
	v_mul_f32_e32 v4, v36, v7
	v_add_f32_e32 v2, v2, v13
	v_add_f32_e32 v3, v3, v5
	v_fma_f32 v4, v35, v6, -v4
	v_mul_f32_e32 v5, v35, v7
	v_fmac_f32_e32 v5, v36, v6
	v_add_f32_e32 v6, v2, v4
	v_mul_f32_e32 v2, v38, v9
	v_add_f32_e32 v7, v3, v5
	v_fma_f32 v13, v37, v8, -v2
	ds_read_b128 v[2:5], v18 offset:128
	ds_read2_b64 v[31:34], v29 offset1:32
	v_mul_f32_e32 v9, v37, v9
	v_fmac_f32_e32 v9, v38, v8
	ds_read_b128 v[35:38], v18 offset:144
	ds_read2_b64 v[39:42], v29 offset0:64 offset1:96
	s_waitcnt lgkmcnt(2)
	v_mul_f32_e32 v8, v32, v3
	v_add_f32_e32 v6, v6, v13
	v_fma_f32 v8, v31, v2, -v8
	v_mul_f32_e32 v3, v31, v3
	v_add_f32_e32 v7, v7, v9
	v_fmac_f32_e32 v3, v32, v2
	v_add_f32_e32 v2, v6, v8
	v_mul_f32_e32 v6, v34, v5
	v_mul_f32_e32 v5, v33, v5
	v_add_f32_e32 v3, v7, v3
	v_fma_f32 v6, v33, v4, -v6
	v_fmac_f32_e32 v5, v34, v4
	s_waitcnt lgkmcnt(0)
	v_mul_f32_e32 v4, v40, v36
	v_add_f32_e32 v2, v2, v6
	v_add_f32_e32 v3, v3, v5
	v_fma_f32 v4, v39, v35, -v4
	v_mul_f32_e32 v5, v39, v36
	v_fmac_f32_e32 v5, v40, v35
	v_add_f32_e32 v13, v2, v4
	v_mul_f32_e32 v2, v42, v38
	v_add_f32_e32 v15, v3, v5
	v_fma_f32 v31, v41, v37, -v2
	ds_read_b128 v[2:5], v18 offset:160
	ds_read2_b64 v[6:9], v29 offset0:128 offset1:160
	v_mul_f32_e32 v32, v41, v38
	v_fmac_f32_e32 v32, v42, v37
	v_add_f32_e32 v13, v13, v31
	v_add_f32_e32 v15, v15, v32
	s_waitcnt lgkmcnt(0)
	v_mul_f32_e32 v35, v7, v3
	v_fma_f32 v37, v6, v2, -v35
	flat_load_dwordx2 v[35:36], v[10:11]
	v_mul_f32_e32 v6, v6, v3
	v_fmac_f32_e32 v6, v7, v2
	v_mul_f32_e32 v2, v9, v5
	v_fma_f32 v7, v8, v4, -v2
	v_mul_f32_e32 v8, v8, v5
	ds_read_b128 v[31:34], v18 offset:176
	v_fmac_f32_e32 v8, v9, v4
	ds_read2_b64 v[2:5], v29 offset0:192 offset1:224
	v_add_f32_e32 v6, v15, v6
	v_add_f32_e32 v9, v13, v37
	v_add_f32_e32 v13, v6, v8
	v_add_f32_e32 v7, v9, v7
	s_waitcnt lgkmcnt(0)
	v_mul_f32_e32 v6, v3, v32
	v_fma_f32 v6, v2, v31, -v6
	v_mul_f32_e32 v15, v2, v32
	v_mul_f32_e32 v2, v5, v34
	;; [unrolled: 1-line block ×3, first 2 shown]
	v_fmac_f32_e32 v15, v3, v31
	v_add_f32_e32 v31, v7, v6
	v_fma_f32 v32, v4, v33, -v2
	v_fmac_f32_e32 v34, v5, v33
	ds_read_b128 v[2:5], v18 offset:192
	ds_read2_b64 v[6:9], v30 offset1:32
	v_add_f32_e32 v13, v13, v15
	v_add_f32_e32 v15, v31, v32
	v_add_f32_e32 v13, v13, v34
	ds_read_b128 v[31:34], v18 offset:208
	s_waitcnt lgkmcnt(0)
	v_mul_f32_e32 v37, v7, v3
	v_fma_f32 v37, v6, v2, -v37
	v_mul_f32_e32 v6, v6, v3
	v_fmac_f32_e32 v6, v7, v2
	v_mul_f32_e32 v2, v9, v5
	v_fma_f32 v7, v8, v4, -v2
	v_mul_f32_e32 v8, v8, v5
	v_fmac_f32_e32 v8, v9, v4
	ds_read2_b64 v[2:5], v30 offset0:64 offset1:96
	v_add_f32_e32 v6, v13, v6
	v_add_f32_e32 v9, v15, v37
	;; [unrolled: 1-line block ×4, first 2 shown]
	s_waitcnt lgkmcnt(0)
	v_mul_f32_e32 v6, v3, v32
	v_fma_f32 v6, v2, v31, -v6
	v_mul_f32_e32 v15, v2, v32
	v_mul_f32_e32 v2, v5, v34
	v_mul_f32_e32 v34, v4, v34
	v_fmac_f32_e32 v15, v3, v31
	v_add_f32_e32 v31, v7, v6
	v_fma_f32 v32, v4, v33, -v2
	v_fmac_f32_e32 v34, v5, v33
	ds_read_b128 v[2:5], v18 offset:224
	ds_read2_b64 v[6:9], v30 offset0:128 offset1:160
	v_add_f32_e32 v13, v13, v15
	v_add_f32_e32 v15, v31, v32
	v_add_f32_e32 v13, v13, v34
	ds_read_b128 v[31:34], v18 offset:240
	s_waitcnt lgkmcnt(0)
	v_mul_f32_e32 v37, v7, v3
	v_fma_f32 v37, v6, v2, -v37
	v_mul_f32_e32 v6, v6, v3
	v_fmac_f32_e32 v6, v7, v2
	v_mul_f32_e32 v2, v9, v5
	v_fma_f32 v7, v8, v4, -v2
	v_mul_f32_e32 v8, v8, v5
	v_fmac_f32_e32 v8, v9, v4
	ds_read2_b64 v[2:5], v30 offset0:192 offset1:224
	v_add_f32_e32 v6, v13, v6
	v_add_f32_e32 v6, v6, v8
	;; [unrolled: 1-line block ×4, first 2 shown]
	s_waitcnt lgkmcnt(0)
	v_mul_f32_e32 v8, v3, v32
	v_fma_f32 v8, v2, v31, -v8
	v_mul_f32_e32 v2, v2, v32
	v_fmac_f32_e32 v2, v3, v31
	v_add_f32_e32 v2, v6, v2
	v_mul_f32_e32 v6, v5, v34
	v_fma_f32 v6, v4, v33, -v6
	v_mul_f32_e32 v4, v4, v34
	v_fmac_f32_e32 v4, v5, v33
	v_add_f32_e32 v3, v7, v8
	v_add_f32_e32 v2, v2, v4
	;; [unrolled: 1-line block ×3, first 2 shown]
	v_mul_f32_e32 v4, s11, v2
	v_mul_f32_e32 v5, s10, v2
	v_fma_f32 v4, s10, v3, -v4
	v_fmac_f32_e32 v5, s11, v3
	s_waitcnt vmcnt(0)
	v_add_f32_e32 v2, v35, v4
	v_add_f32_e32 v3, v36, v5
	flat_store_dwordx2 v[10:11], v[2:3]
.LBB1923_11:                            ;   in Loop: Header=BB1923_5 Depth=1
	s_or_b64 exec, exec, s[2:3]
	v_mov_b32_e32 v3, 0
	v_mov_b32_e32 v5, 0
	;; [unrolled: 1-line block ×3, first 2 shown]
	s_waitcnt vmcnt(0) lgkmcnt(0)
	s_barrier
	s_and_saveexec_b64 s[16:17], s[6:7]
	s_cbranch_execz .LBB1923_13
; %bb.12:                               ;   in Loop: Header=BB1923_5 Depth=1
	v_ashrrev_i32_e32 v13, 31, v12
	v_lshlrev_b64 v[4:5], 3, v[12:13]
	v_add_co_u32_e64 v4, s[2:3], v24, v4
	v_addc_co_u32_e64 v5, s[2:3], v25, v5, s[2:3]
	flat_load_dwordx2 v[4:5], v[4:5]
.LBB1923_13:                            ;   in Loop: Header=BB1923_5 Depth=1
	s_or_b64 exec, exec, s[16:17]
	v_mov_b32_e32 v2, 0
	s_waitcnt vmcnt(0) lgkmcnt(0)
	ds_write_b64 v19, v[4:5]
	s_and_saveexec_b64 s[6:7], s[12:13]
	s_cbranch_execz .LBB1923_15
; %bb.14:                               ;   in Loop: Header=BB1923_5 Depth=1
	v_ashrrev_i32_e32 v15, 31, v14
	v_lshlrev_b64 v[2:3], 3, v[14:15]
	v_add_co_u32_e64 v2, s[2:3], v26, v2
	v_addc_co_u32_e64 v3, s[2:3], v27, v3, s[2:3]
	flat_load_dwordx2 v[2:3], v[2:3]
.LBB1923_15:                            ;   in Loop: Header=BB1923_5 Depth=1
	s_or_b64 exec, exec, s[6:7]
	s_waitcnt vmcnt(0) lgkmcnt(0)
	ds_write_b64 v23, v[2:3]
	s_waitcnt lgkmcnt(0)
	s_barrier
	s_and_saveexec_b64 s[2:3], s[4:5]
	s_cbranch_execz .LBB1923_4
; %bb.16:                               ;   in Loop: Header=BB1923_5 Depth=1
	ds_read2_b64 v[2:5], v22 offset1:32
	ds_read_b128 v[6:9], v18
	ds_read_b128 v[12:15], v18 offset:16
	s_waitcnt lgkmcnt(1)
	v_mul_f32_e32 v31, v3, v7
	v_mul_f32_e32 v35, v2, v7
	v_fma_f32 v36, v2, v6, -v31
	v_mul_f32_e32 v2, v5, v9
	v_mul_f32_e32 v38, v4, v9
	v_fmac_f32_e32 v35, v3, v6
	v_fma_f32 v37, v4, v8, -v2
	v_fmac_f32_e32 v38, v5, v8
	ds_read_b128 v[2:5], v18 offset:32
	ds_read_b128 v[6:9], v18 offset:48
	ds_read2_b64 v[31:34], v22 offset0:64 offset1:96
	v_add_f32_e32 v36, 0, v36
	v_add_f32_e32 v36, v36, v37
	;; [unrolled: 1-line block ×4, first 2 shown]
	s_waitcnt lgkmcnt(0)
	v_mul_f32_e32 v37, v32, v13
	v_fma_f32 v37, v31, v12, -v37
	v_mul_f32_e32 v31, v31, v13
	v_fmac_f32_e32 v31, v32, v12
	v_mul_f32_e32 v12, v34, v15
	v_fma_f32 v32, v33, v14, -v12
	v_mul_f32_e32 v33, v33, v15
	v_fmac_f32_e32 v33, v34, v14
	ds_read2_b64 v[12:15], v22 offset0:128 offset1:160
	v_add_f32_e32 v31, v35, v31
	v_add_f32_e32 v34, v36, v37
	;; [unrolled: 1-line block ×4, first 2 shown]
	s_waitcnt lgkmcnt(0)
	v_mul_f32_e32 v33, v13, v3
	v_mul_f32_e32 v3, v12, v3
	v_fma_f32 v33, v12, v2, -v33
	v_fmac_f32_e32 v3, v13, v2
	v_add_f32_e32 v2, v32, v33
	v_add_f32_e32 v3, v31, v3
	ds_read2_b64 v[31:34], v22 offset0:192 offset1:224
	v_mul_f32_e32 v12, v15, v5
	v_mul_f32_e32 v5, v14, v5
	v_fma_f32 v12, v14, v4, -v12
	v_fmac_f32_e32 v5, v15, v4
	s_waitcnt lgkmcnt(0)
	v_mul_f32_e32 v4, v32, v7
	v_add_f32_e32 v2, v2, v12
	v_add_f32_e32 v3, v3, v5
	v_fma_f32 v4, v31, v6, -v4
	v_mul_f32_e32 v5, v31, v7
	v_fmac_f32_e32 v5, v32, v6
	v_add_f32_e32 v6, v2, v4
	v_mul_f32_e32 v2, v34, v9
	v_add_f32_e32 v7, v3, v5
	v_fma_f32 v31, v33, v8, -v2
	ds_read_b128 v[2:5], v18 offset:64
	ds_read2_b64 v[12:15], v28 offset1:32
	v_mul_f32_e32 v9, v33, v9
	v_fmac_f32_e32 v9, v34, v8
	v_add_f32_e32 v31, v6, v31
	v_add_f32_e32 v32, v7, v9
	s_waitcnt lgkmcnt(0)
	v_mul_f32_e32 v33, v13, v3
	v_mul_f32_e32 v3, v12, v3
	v_fma_f32 v33, v12, v2, -v33
	v_fmac_f32_e32 v3, v13, v2
	ds_read_b128 v[6:9], v18 offset:80
	v_add_f32_e32 v2, v31, v33
	v_add_f32_e32 v3, v32, v3
	ds_read2_b64 v[31:34], v28 offset0:64 offset1:96
	v_mul_f32_e32 v12, v15, v5
	v_mul_f32_e32 v5, v14, v5
	v_fma_f32 v12, v14, v4, -v12
	v_fmac_f32_e32 v5, v15, v4
	s_waitcnt lgkmcnt(0)
	v_mul_f32_e32 v4, v32, v7
	v_add_f32_e32 v2, v2, v12
	v_add_f32_e32 v3, v3, v5
	v_fma_f32 v4, v31, v6, -v4
	v_mul_f32_e32 v5, v31, v7
	v_fmac_f32_e32 v5, v32, v6
	v_add_f32_e32 v6, v2, v4
	v_mul_f32_e32 v2, v34, v9
	v_add_f32_e32 v7, v3, v5
	v_fma_f32 v31, v33, v8, -v2
	ds_read_b128 v[2:5], v18 offset:96
	ds_read2_b64 v[12:15], v28 offset0:128 offset1:160
	v_mul_f32_e32 v9, v33, v9
	v_fmac_f32_e32 v9, v34, v8
	v_add_f32_e32 v31, v6, v31
	v_add_f32_e32 v32, v7, v9
	s_waitcnt lgkmcnt(0)
	v_mul_f32_e32 v33, v13, v3
	v_mul_f32_e32 v3, v12, v3
	v_fma_f32 v33, v12, v2, -v33
	v_fmac_f32_e32 v3, v13, v2
	ds_read_b128 v[6:9], v18 offset:112
	v_add_f32_e32 v2, v31, v33
	v_add_f32_e32 v3, v32, v3
	ds_read2_b64 v[31:34], v28 offset0:192 offset1:224
	v_mul_f32_e32 v12, v15, v5
	v_mul_f32_e32 v5, v14, v5
	v_fma_f32 v12, v14, v4, -v12
	v_fmac_f32_e32 v5, v15, v4
	s_waitcnt lgkmcnt(0)
	v_mul_f32_e32 v4, v32, v7
	v_add_f32_e32 v2, v2, v12
	v_add_f32_e32 v3, v3, v5
	v_fma_f32 v4, v31, v6, -v4
	v_mul_f32_e32 v5, v31, v7
	v_fmac_f32_e32 v5, v32, v6
	v_add_f32_e32 v6, v2, v4
	v_mul_f32_e32 v2, v34, v9
	v_add_f32_e32 v7, v3, v5
	v_fma_f32 v31, v33, v8, -v2
	ds_read_b128 v[2:5], v18 offset:128
	ds_read2_b64 v[12:15], v29 offset1:32
	v_mul_f32_e32 v9, v33, v9
	v_fmac_f32_e32 v9, v34, v8
	v_add_f32_e32 v6, v6, v31
	ds_read_b128 v[31:34], v18 offset:144
	ds_read2_b64 v[35:38], v29 offset0:64 offset1:96
	s_waitcnt lgkmcnt(2)
	v_mul_f32_e32 v8, v13, v3
	v_fma_f32 v8, v12, v2, -v8
	v_mul_f32_e32 v3, v12, v3
	v_add_f32_e32 v7, v7, v9
	v_fmac_f32_e32 v3, v13, v2
	v_add_f32_e32 v2, v6, v8
	v_mul_f32_e32 v6, v15, v5
	v_mul_f32_e32 v5, v14, v5
	v_add_f32_e32 v3, v7, v3
	v_fma_f32 v6, v14, v4, -v6
	v_fmac_f32_e32 v5, v15, v4
	s_waitcnt lgkmcnt(0)
	v_mul_f32_e32 v4, v36, v32
	v_add_f32_e32 v2, v2, v6
	v_add_f32_e32 v3, v3, v5
	v_fma_f32 v4, v35, v31, -v4
	v_mul_f32_e32 v5, v35, v32
	v_fmac_f32_e32 v5, v36, v31
	v_add_f32_e32 v12, v2, v4
	v_mul_f32_e32 v2, v38, v34
	v_add_f32_e32 v13, v3, v5
	v_fma_f32 v14, v37, v33, -v2
	ds_read_b128 v[2:5], v18 offset:160
	ds_read2_b64 v[6:9], v29 offset0:128 offset1:160
	flat_load_dwordx2 v[35:36], v[10:11]
	v_mul_f32_e32 v15, v37, v34
	v_fmac_f32_e32 v15, v38, v33
	v_add_f32_e32 v31, v12, v14
	s_waitcnt lgkmcnt(0)
	v_mul_f32_e32 v33, v7, v3
	v_mul_f32_e32 v3, v6, v3
	v_add_f32_e32 v32, v13, v15
	v_fma_f32 v33, v6, v2, -v33
	v_fmac_f32_e32 v3, v7, v2
	ds_read_b128 v[12:15], v18 offset:176
	v_add_f32_e32 v2, v31, v33
	v_add_f32_e32 v3, v32, v3
	ds_read2_b64 v[31:34], v29 offset0:192 offset1:224
	v_mul_f32_e32 v6, v9, v5
	v_mul_f32_e32 v5, v8, v5
	v_fma_f32 v6, v8, v4, -v6
	v_fmac_f32_e32 v5, v9, v4
	s_waitcnt lgkmcnt(0)
	v_mul_f32_e32 v4, v32, v13
	v_add_f32_e32 v2, v2, v6
	v_add_f32_e32 v3, v3, v5
	v_fma_f32 v4, v31, v12, -v4
	v_mul_f32_e32 v5, v31, v13
	v_fmac_f32_e32 v5, v32, v12
	v_add_f32_e32 v12, v2, v4
	v_mul_f32_e32 v2, v34, v15
	v_add_f32_e32 v13, v3, v5
	v_fma_f32 v31, v33, v14, -v2
	ds_read_b128 v[2:5], v18 offset:192
	ds_read2_b64 v[6:9], v30 offset1:32
	v_mul_f32_e32 v15, v33, v15
	v_fmac_f32_e32 v15, v34, v14
	v_add_f32_e32 v31, v12, v31
	v_add_f32_e32 v32, v13, v15
	s_waitcnt lgkmcnt(0)
	v_mul_f32_e32 v33, v7, v3
	v_mul_f32_e32 v3, v6, v3
	v_fma_f32 v33, v6, v2, -v33
	v_fmac_f32_e32 v3, v7, v2
	ds_read_b128 v[12:15], v18 offset:208
	v_add_f32_e32 v2, v31, v33
	v_add_f32_e32 v3, v32, v3
	ds_read2_b64 v[31:34], v30 offset0:64 offset1:96
	v_mul_f32_e32 v6, v9, v5
	v_mul_f32_e32 v5, v8, v5
	v_fma_f32 v6, v8, v4, -v6
	v_fmac_f32_e32 v5, v9, v4
	s_waitcnt lgkmcnt(0)
	v_mul_f32_e32 v4, v32, v13
	v_add_f32_e32 v2, v2, v6
	v_add_f32_e32 v3, v3, v5
	v_fma_f32 v4, v31, v12, -v4
	v_mul_f32_e32 v5, v31, v13
	v_fmac_f32_e32 v5, v32, v12
	v_add_f32_e32 v12, v2, v4
	v_mul_f32_e32 v2, v34, v15
	v_add_f32_e32 v13, v3, v5
	v_fma_f32 v31, v33, v14, -v2
	ds_read_b128 v[2:5], v18 offset:224
	ds_read2_b64 v[6:9], v30 offset0:128 offset1:160
	v_mul_f32_e32 v15, v33, v15
	v_fmac_f32_e32 v15, v34, v14
	v_add_f32_e32 v31, v12, v31
	v_add_f32_e32 v32, v13, v15
	s_waitcnt lgkmcnt(0)
	v_mul_f32_e32 v33, v7, v3
	v_mul_f32_e32 v3, v6, v3
	v_fma_f32 v33, v6, v2, -v33
	v_fmac_f32_e32 v3, v7, v2
	ds_read_b128 v[12:15], v18 offset:240
	v_add_f32_e32 v2, v31, v33
	v_add_f32_e32 v3, v32, v3
	ds_read2_b64 v[31:34], v30 offset0:192 offset1:224
	v_mul_f32_e32 v6, v9, v5
	v_mul_f32_e32 v5, v8, v5
	v_fmac_f32_e32 v5, v9, v4
	v_fma_f32 v6, v8, v4, -v6
	v_add_f32_e32 v3, v3, v5
	s_waitcnt lgkmcnt(0)
	v_mul_f32_e32 v4, v32, v13
	v_mul_f32_e32 v5, v31, v13
	v_add_f32_e32 v2, v2, v6
	v_fma_f32 v4, v31, v12, -v4
	v_fmac_f32_e32 v5, v32, v12
	v_add_f32_e32 v2, v2, v4
	v_add_f32_e32 v3, v3, v5
	v_mul_f32_e32 v4, v34, v15
	v_mul_f32_e32 v5, v33, v15
	v_fma_f32 v4, v33, v14, -v4
	v_fmac_f32_e32 v5, v34, v14
	v_add_f32_e32 v2, v2, v4
	v_add_f32_e32 v3, v3, v5
	v_mul_f32_e32 v4, s11, v3
	v_mul_f32_e32 v5, s11, v2
	v_fma_f32 v4, s10, v2, -v4
	v_fmac_f32_e32 v5, s10, v3
	s_waitcnt vmcnt(0)
	v_add_f32_e32 v2, v35, v4
	v_add_f32_e32 v3, v36, v5
	flat_store_dwordx2 v[10:11], v[2:3]
	s_branch .LBB1923_4
.LBB1923_17:
	s_endpgm
	.section	.rodata,"a",@progbits
	.p2align	6, 0x0
	.amdhsa_kernel _ZL26rocblas_syr2k_her2k_kernelIiLb1ELb0ELb1ELi32EPK19rocblas_complex_numIfEPKS3_PKPS1_EvbiT_T4_T5_S9_lSB_S9_lT6_S9_li
		.amdhsa_group_segment_fixed_size 16384
		.amdhsa_private_segment_fixed_size 0
		.amdhsa_kernarg_size 100
		.amdhsa_user_sgpr_count 6
		.amdhsa_user_sgpr_private_segment_buffer 1
		.amdhsa_user_sgpr_dispatch_ptr 0
		.amdhsa_user_sgpr_queue_ptr 0
		.amdhsa_user_sgpr_kernarg_segment_ptr 1
		.amdhsa_user_sgpr_dispatch_id 0
		.amdhsa_user_sgpr_flat_scratch_init 0
		.amdhsa_user_sgpr_private_segment_size 0
		.amdhsa_uses_dynamic_stack 0
		.amdhsa_system_sgpr_private_segment_wavefront_offset 0
		.amdhsa_system_sgpr_workgroup_id_x 1
		.amdhsa_system_sgpr_workgroup_id_y 1
		.amdhsa_system_sgpr_workgroup_id_z 1
		.amdhsa_system_sgpr_workgroup_info 0
		.amdhsa_system_vgpr_workitem_id 1
		.amdhsa_next_free_vgpr 43
		.amdhsa_next_free_sgpr 61
		.amdhsa_reserve_vcc 1
		.amdhsa_reserve_flat_scratch 0
		.amdhsa_float_round_mode_32 0
		.amdhsa_float_round_mode_16_64 0
		.amdhsa_float_denorm_mode_32 3
		.amdhsa_float_denorm_mode_16_64 3
		.amdhsa_dx10_clamp 1
		.amdhsa_ieee_mode 1
		.amdhsa_fp16_overflow 0
		.amdhsa_exception_fp_ieee_invalid_op 0
		.amdhsa_exception_fp_denorm_src 0
		.amdhsa_exception_fp_ieee_div_zero 0
		.amdhsa_exception_fp_ieee_overflow 0
		.amdhsa_exception_fp_ieee_underflow 0
		.amdhsa_exception_fp_ieee_inexact 0
		.amdhsa_exception_int_div_zero 0
	.end_amdhsa_kernel
	.section	.text._ZL26rocblas_syr2k_her2k_kernelIiLb1ELb0ELb1ELi32EPK19rocblas_complex_numIfEPKS3_PKPS1_EvbiT_T4_T5_S9_lSB_S9_lT6_S9_li,"axG",@progbits,_ZL26rocblas_syr2k_her2k_kernelIiLb1ELb0ELb1ELi32EPK19rocblas_complex_numIfEPKS3_PKPS1_EvbiT_T4_T5_S9_lSB_S9_lT6_S9_li,comdat
.Lfunc_end1923:
	.size	_ZL26rocblas_syr2k_her2k_kernelIiLb1ELb0ELb1ELi32EPK19rocblas_complex_numIfEPKS3_PKPS1_EvbiT_T4_T5_S9_lSB_S9_lT6_S9_li, .Lfunc_end1923-_ZL26rocblas_syr2k_her2k_kernelIiLb1ELb0ELb1ELi32EPK19rocblas_complex_numIfEPKS3_PKPS1_EvbiT_T4_T5_S9_lSB_S9_lT6_S9_li
                                        ; -- End function
	.set _ZL26rocblas_syr2k_her2k_kernelIiLb1ELb0ELb1ELi32EPK19rocblas_complex_numIfEPKS3_PKPS1_EvbiT_T4_T5_S9_lSB_S9_lT6_S9_li.num_vgpr, 43
	.set _ZL26rocblas_syr2k_her2k_kernelIiLb1ELb0ELb1ELi32EPK19rocblas_complex_numIfEPKS3_PKPS1_EvbiT_T4_T5_S9_lSB_S9_lT6_S9_li.num_agpr, 0
	.set _ZL26rocblas_syr2k_her2k_kernelIiLb1ELb0ELb1ELi32EPK19rocblas_complex_numIfEPKS3_PKPS1_EvbiT_T4_T5_S9_lSB_S9_lT6_S9_li.numbered_sgpr, 25
	.set _ZL26rocblas_syr2k_her2k_kernelIiLb1ELb0ELb1ELi32EPK19rocblas_complex_numIfEPKS3_PKPS1_EvbiT_T4_T5_S9_lSB_S9_lT6_S9_li.num_named_barrier, 0
	.set _ZL26rocblas_syr2k_her2k_kernelIiLb1ELb0ELb1ELi32EPK19rocblas_complex_numIfEPKS3_PKPS1_EvbiT_T4_T5_S9_lSB_S9_lT6_S9_li.private_seg_size, 0
	.set _ZL26rocblas_syr2k_her2k_kernelIiLb1ELb0ELb1ELi32EPK19rocblas_complex_numIfEPKS3_PKPS1_EvbiT_T4_T5_S9_lSB_S9_lT6_S9_li.uses_vcc, 1
	.set _ZL26rocblas_syr2k_her2k_kernelIiLb1ELb0ELb1ELi32EPK19rocblas_complex_numIfEPKS3_PKPS1_EvbiT_T4_T5_S9_lSB_S9_lT6_S9_li.uses_flat_scratch, 0
	.set _ZL26rocblas_syr2k_her2k_kernelIiLb1ELb0ELb1ELi32EPK19rocblas_complex_numIfEPKS3_PKPS1_EvbiT_T4_T5_S9_lSB_S9_lT6_S9_li.has_dyn_sized_stack, 0
	.set _ZL26rocblas_syr2k_her2k_kernelIiLb1ELb0ELb1ELi32EPK19rocblas_complex_numIfEPKS3_PKPS1_EvbiT_T4_T5_S9_lSB_S9_lT6_S9_li.has_recursion, 0
	.set _ZL26rocblas_syr2k_her2k_kernelIiLb1ELb0ELb1ELi32EPK19rocblas_complex_numIfEPKS3_PKPS1_EvbiT_T4_T5_S9_lSB_S9_lT6_S9_li.has_indirect_call, 0
	.section	.AMDGPU.csdata,"",@progbits
; Kernel info:
; codeLenInByte = 3472
; TotalNumSgprs: 29
; NumVgprs: 43
; ScratchSize: 0
; MemoryBound: 0
; FloatMode: 240
; IeeeMode: 1
; LDSByteSize: 16384 bytes/workgroup (compile time only)
; SGPRBlocks: 8
; VGPRBlocks: 10
; NumSGPRsForWavesPerEU: 65
; NumVGPRsForWavesPerEU: 43
; Occupancy: 5
; WaveLimiterHint : 1
; COMPUTE_PGM_RSRC2:SCRATCH_EN: 0
; COMPUTE_PGM_RSRC2:USER_SGPR: 6
; COMPUTE_PGM_RSRC2:TRAP_HANDLER: 0
; COMPUTE_PGM_RSRC2:TGID_X_EN: 1
; COMPUTE_PGM_RSRC2:TGID_Y_EN: 1
; COMPUTE_PGM_RSRC2:TGID_Z_EN: 1
; COMPUTE_PGM_RSRC2:TIDIG_COMP_CNT: 1
	.section	.text._ZL26rocblas_syr2k_her2k_kernelIiLb1ELb0ELb0ELi32E19rocblas_complex_numIdEPKPKS1_PKPS1_EvbiT_T4_T5_S9_lSB_S9_lT6_S9_li,"axG",@progbits,_ZL26rocblas_syr2k_her2k_kernelIiLb1ELb0ELb0ELi32E19rocblas_complex_numIdEPKPKS1_PKPS1_EvbiT_T4_T5_S9_lSB_S9_lT6_S9_li,comdat
	.globl	_ZL26rocblas_syr2k_her2k_kernelIiLb1ELb0ELb0ELi32E19rocblas_complex_numIdEPKPKS1_PKPS1_EvbiT_T4_T5_S9_lSB_S9_lT6_S9_li ; -- Begin function _ZL26rocblas_syr2k_her2k_kernelIiLb1ELb0ELb0ELi32E19rocblas_complex_numIdEPKPKS1_PKPS1_EvbiT_T4_T5_S9_lSB_S9_lT6_S9_li
	.p2align	8
	.type	_ZL26rocblas_syr2k_her2k_kernelIiLb1ELb0ELb0ELi32E19rocblas_complex_numIdEPKPKS1_PKPS1_EvbiT_T4_T5_S9_lSB_S9_lT6_S9_li,@function
_ZL26rocblas_syr2k_her2k_kernelIiLb1ELb0ELb0ELi32E19rocblas_complex_numIdEPKPKS1_PKPS1_EvbiT_T4_T5_S9_lSB_S9_lT6_S9_li: ; @_ZL26rocblas_syr2k_her2k_kernelIiLb1ELb0ELb0ELi32E19rocblas_complex_numIdEPKPKS1_PKPS1_EvbiT_T4_T5_S9_lSB_S9_lT6_S9_li
; %bb.0:
	s_load_dwordx4 s[12:15], s[4:5], 0x10
	s_waitcnt lgkmcnt(0)
	v_cmp_eq_f64_e64 s[0:1], s[12:13], 0
	v_cmp_eq_f64_e64 s[2:3], s[14:15], 0
	s_and_b64 s[0:1], s[0:1], s[2:3]
	s_and_b64 vcc, exec, s[0:1]
	s_cbranch_vccnz .LBB1924_17
; %bb.1:
	s_load_dwordx4 s[16:19], s[4:5], 0x0
	s_lshl_b32 s0, s7, 5
	s_lshl_b32 s1, s6, 5
	s_waitcnt lgkmcnt(0)
	s_and_b32 s2, 1, s16
	s_cmp_eq_u32 s2, 1
	s_cselect_b64 vcc, -1, 0
	s_and_b64 s[2:3], vcc, exec
	s_cselect_b32 s2, s1, s0
	s_cselect_b32 s3, s0, s1
	s_cmp_gt_i32 s2, s3
	s_cbranch_scc1 .LBB1924_17
; %bb.2:
	s_cmp_lt_i32 s18, 1
	s_cbranch_scc1 .LBB1924_17
; %bb.3:
	s_mov_b32 s9, 0
	s_load_dwordx2 s[2:3], s[4:5], 0x20
	s_load_dword s19, s[4:5], 0x28
	s_load_dwordx4 s[24:27], s[4:5], 0x30
	s_load_dword s20, s[4:5], 0x40
	s_load_dwordx4 s[28:31], s[4:5], 0x48
	s_load_dword s16, s[4:5], 0x58
	s_load_dwordx2 s[6:7], s[4:5], 0x60
	s_lshl_b64 s[4:5], s[8:9], 3
	s_waitcnt lgkmcnt(0)
	s_add_u32 s2, s2, s4
	s_addc_u32 s3, s3, s5
	s_load_dwordx2 s[2:3], s[2:3], 0x0
	s_add_u32 s10, s26, s4
	s_addc_u32 s11, s27, s5
	s_load_dwordx2 s[10:11], s[10:11], 0x0
	s_add_u32 s4, s30, s4
	v_add_u32_e32 v3, s1, v0
	s_addc_u32 s5, s31, s5
	s_lshl_b64 s[22:23], s[24:25], 4
	v_ashrrev_i32_e32 v4, 31, v3
	s_load_dwordx2 s[4:5], s[4:5], 0x0
	s_waitcnt lgkmcnt(0)
	s_add_u32 s8, s2, s22
	v_lshlrev_b64 v[4:5], 4, v[3:4]
	s_addc_u32 s21, s3, s23
	v_add_u32_e32 v2, s0, v1
	s_lshl_b64 s[2:3], s[28:29], 4
	v_cndmask_b32_e32 v8, v3, v2, vcc
	v_cndmask_b32_e32 v9, v2, v3, vcc
	v_cmp_gt_i32_e32 vcc, s17, v3
	v_mov_b32_e32 v3, s21
	v_add_co_u32_e64 v24, s[0:1], s8, v4
	s_add_u32 s10, s10, s2
	v_addc_co_u32_e64 v25, s[0:1], v3, v5, s[0:1]
	v_ashrrev_i32_e32 v3, 31, v2
	s_addc_u32 s11, s11, s3
	s_lshl_b64 s[2:3], s[6:7], 4
	v_lshlrev_b64 v[6:7], 4, v[2:3]
	s_add_u32 s6, s4, s2
	s_addc_u32 s7, s5, s3
	v_mov_b32_e32 v3, s11
	v_add_co_u32_e64 v28, s[2:3], s10, v6
	v_cmp_gt_i32_e64 s[0:1], s17, v2
	v_addc_co_u32_e64 v29, s[2:3], v3, v7, s[2:3]
	v_mad_i64_i32 v[2:3], s[2:3], s16, v2, 0
	v_cmp_le_i32_e64 s[2:3], v9, v8
	s_and_b64 s[4:5], s[0:1], vcc
	v_lshlrev_b64 v[2:3], 4, v[2:3]
	s_and_b64 s[4:5], s[4:5], s[2:3]
	v_mov_b32_e32 v8, s7
	v_add_co_u32_e64 v2, s[2:3], s6, v2
	v_addc_co_u32_e64 v3, s[2:3], v8, v3, s[2:3]
	v_add_co_u32_e64 v22, s[2:3], v2, v4
	v_addc_co_u32_e64 v23, s[2:3], v3, v5, s[2:3]
	v_mov_b32_e32 v2, s11
	v_add_co_u32_e64 v32, s[2:3], s10, v4
	v_lshlrev_b32_e32 v10, 4, v1
	v_addc_co_u32_e64 v33, s[2:3], v2, v5, s[2:3]
	v_lshlrev_b32_e32 v26, 9, v0
	v_or_b32_e32 v30, 0x4000, v10
	v_mov_b32_e32 v2, s21
	v_add_co_u32_e64 v34, s[2:3], s8, v6
	v_add_u32_e32 v27, v26, v10
	v_add_u32_e32 v31, v30, v26
	v_addc_co_u32_e64 v35, s[2:3], v2, v7, s[2:3]
	s_branch .LBB1924_5
.LBB1924_4:                             ;   in Loop: Header=BB1924_5 Depth=1
	s_or_b64 exec, exec, s[2:3]
	s_add_i32 s9, s9, 32
	s_cmp_lt_i32 s9, s18
	s_waitcnt vmcnt(0) lgkmcnt(0)
	s_barrier
	s_cbranch_scc0 .LBB1924_17
.LBB1924_5:                             ; =>This Inner Loop Header: Depth=1
	v_add_u32_e32 v10, s9, v1
	v_cmp_gt_i32_e64 s[2:3], s18, v10
	v_mov_b32_e32 v2, 0
	v_mov_b32_e32 v4, 0
	;; [unrolled: 1-line block ×6, first 2 shown]
	s_and_b64 s[6:7], vcc, s[2:3]
	s_and_saveexec_b64 s[10:11], s[6:7]
	s_cbranch_execz .LBB1924_7
; %bb.6:                                ;   in Loop: Header=BB1924_5 Depth=1
	v_mad_i64_i32 v[4:5], s[2:3], v10, s19, 0
	v_lshlrev_b64 v[4:5], 4, v[4:5]
	v_add_co_u32_e64 v4, s[2:3], v24, v4
	v_addc_co_u32_e64 v5, s[2:3], v25, v5, s[2:3]
	flat_load_dwordx4 v[4:7], v[4:5]
.LBB1924_7:                             ;   in Loop: Header=BB1924_5 Depth=1
	s_or_b64 exec, exec, s[10:11]
	v_add_u32_e32 v11, s9, v0
	s_waitcnt vmcnt(0) lgkmcnt(0)
	ds_write_b128 v27, v[4:7]
	v_cmp_gt_i32_e64 s[2:3], s18, v11
	v_mov_b32_e32 v4, 0
	v_mov_b32_e32 v5, 0
	s_and_b64 s[10:11], s[0:1], s[2:3]
	s_and_saveexec_b64 s[16:17], s[10:11]
	s_cbranch_execz .LBB1924_9
; %bb.8:                                ;   in Loop: Header=BB1924_5 Depth=1
	v_mad_i64_i32 v[2:3], s[2:3], v11, s20, 0
	v_lshlrev_b64 v[2:3], 4, v[2:3]
	v_add_co_u32_e64 v2, s[2:3], v28, v2
	v_addc_co_u32_e64 v3, s[2:3], v29, v3, s[2:3]
	flat_load_dwordx4 v[2:5], v[2:3]
.LBB1924_9:                             ;   in Loop: Header=BB1924_5 Depth=1
	s_or_b64 exec, exec, s[16:17]
	s_waitcnt vmcnt(0) lgkmcnt(0)
	ds_write_b128 v31, v[2:5]
	s_waitcnt lgkmcnt(0)
	s_barrier
	s_and_saveexec_b64 s[2:3], s[4:5]
	s_cbranch_execz .LBB1924_11
; %bb.10:                               ;   in Loop: Header=BB1924_5 Depth=1
	ds_read_b128 v[6:9], v30
	ds_read_b128 v[12:15], v26
	ds_read_b128 v[16:19], v26 offset:16
	ds_read_b128 v[36:39], v26 offset:32
	;; [unrolled: 1-line block ×3, first 2 shown]
	s_waitcnt lgkmcnt(3)
	v_mul_f64 v[20:21], v[8:9], v[14:15]
	v_fma_f64 v[20:21], v[6:7], v[12:13], -v[20:21]
	v_mul_f64 v[6:7], v[6:7], v[14:15]
	v_fma_f64 v[6:7], v[8:9], v[12:13], v[6:7]
	v_add_f64 v[12:13], v[20:21], 0
	v_add_f64 v[14:15], v[6:7], 0
	ds_read_b128 v[6:9], v30 offset:512
	s_waitcnt lgkmcnt(0)
	v_mul_f64 v[20:21], v[8:9], v[18:19]
	v_fma_f64 v[20:21], v[6:7], v[16:17], -v[20:21]
	v_mul_f64 v[6:7], v[6:7], v[18:19]
	v_add_f64 v[12:13], v[12:13], v[20:21]
	v_fma_f64 v[6:7], v[8:9], v[16:17], v[6:7]
	v_add_f64 v[14:15], v[14:15], v[6:7]
	ds_read_b128 v[6:9], v30 offset:1024
	s_waitcnt lgkmcnt(0)
	v_mul_f64 v[16:17], v[8:9], v[38:39]
	v_fma_f64 v[16:17], v[6:7], v[36:37], -v[16:17]
	v_mul_f64 v[6:7], v[6:7], v[38:39]
	v_add_f64 v[12:13], v[12:13], v[16:17]
	v_fma_f64 v[6:7], v[8:9], v[36:37], v[6:7]
	v_add_f64 v[14:15], v[14:15], v[6:7]
	ds_read_b128 v[6:9], v30 offset:1536
	s_waitcnt lgkmcnt(0)
	v_mul_f64 v[16:17], v[8:9], v[4:5]
	v_mul_f64 v[4:5], v[6:7], v[4:5]
	v_fma_f64 v[16:17], v[6:7], v[2:3], -v[16:17]
	v_fma_f64 v[2:3], v[8:9], v[2:3], v[4:5]
	v_add_f64 v[12:13], v[12:13], v[16:17]
	v_add_f64 v[14:15], v[14:15], v[2:3]
	ds_read_b128 v[2:5], v30 offset:2048
	ds_read_b128 v[6:9], v26 offset:64
	s_waitcnt lgkmcnt(0)
	v_mul_f64 v[16:17], v[4:5], v[8:9]
	v_fma_f64 v[16:17], v[2:3], v[6:7], -v[16:17]
	v_mul_f64 v[2:3], v[2:3], v[8:9]
	v_add_f64 v[12:13], v[12:13], v[16:17]
	v_fma_f64 v[2:3], v[4:5], v[6:7], v[2:3]
	v_add_f64 v[14:15], v[14:15], v[2:3]
	ds_read_b128 v[2:5], v30 offset:2560
	ds_read_b128 v[6:9], v26 offset:80
	s_waitcnt lgkmcnt(0)
	v_mul_f64 v[16:17], v[4:5], v[8:9]
	v_fma_f64 v[16:17], v[2:3], v[6:7], -v[16:17]
	v_mul_f64 v[2:3], v[2:3], v[8:9]
	v_add_f64 v[12:13], v[12:13], v[16:17]
	v_fma_f64 v[2:3], v[4:5], v[6:7], v[2:3]
	;; [unrolled: 9-line block ×27, first 2 shown]
	v_add_f64 v[14:15], v[14:15], v[2:3]
	ds_read_b128 v[2:5], v30 offset:15872
	ds_read_b128 v[6:9], v26 offset:496
	s_waitcnt lgkmcnt(0)
	v_mul_f64 v[16:17], v[4:5], v[8:9]
	v_fma_f64 v[16:17], v[2:3], v[6:7], -v[16:17]
	v_mul_f64 v[2:3], v[2:3], v[8:9]
	v_fma_f64 v[2:3], v[4:5], v[6:7], v[2:3]
	v_add_f64 v[4:5], v[12:13], v[16:17]
	v_add_f64 v[2:3], v[14:15], v[2:3]
	v_mul_f64 v[6:7], s[14:15], v[2:3]
	v_mul_f64 v[2:3], s[12:13], v[2:3]
	v_fma_f64 v[6:7], s[12:13], v[4:5], -v[6:7]
	v_fma_f64 v[8:9], s[14:15], v[4:5], v[2:3]
	flat_load_dwordx4 v[2:5], v[22:23]
	s_waitcnt vmcnt(0) lgkmcnt(0)
	v_add_f64 v[2:3], v[2:3], v[6:7]
	v_add_f64 v[4:5], v[4:5], v[8:9]
	flat_store_dwordx4 v[22:23], v[2:5]
.LBB1924_11:                            ;   in Loop: Header=BB1924_5 Depth=1
	s_or_b64 exec, exec, s[2:3]
	v_mov_b32_e32 v4, 0
	v_mov_b32_e32 v8, 0
	;; [unrolled: 1-line block ×6, first 2 shown]
	s_waitcnt vmcnt(0) lgkmcnt(0)
	s_barrier
	s_and_saveexec_b64 s[16:17], s[6:7]
	s_cbranch_execz .LBB1924_13
; %bb.12:                               ;   in Loop: Header=BB1924_5 Depth=1
	v_mad_i64_i32 v[2:3], s[2:3], v10, s20, 0
	v_lshlrev_b64 v[2:3], 4, v[2:3]
	v_add_co_u32_e64 v2, s[2:3], v32, v2
	v_addc_co_u32_e64 v3, s[2:3], v33, v3, s[2:3]
	flat_load_dwordx4 v[6:9], v[2:3]
.LBB1924_13:                            ;   in Loop: Header=BB1924_5 Depth=1
	s_or_b64 exec, exec, s[16:17]
	v_mov_b32_e32 v2, 0
	v_mov_b32_e32 v3, 0
	s_waitcnt vmcnt(0) lgkmcnt(0)
	ds_write_b128 v27, v[6:9]
	s_and_saveexec_b64 s[6:7], s[10:11]
	s_cbranch_execz .LBB1924_15
; %bb.14:                               ;   in Loop: Header=BB1924_5 Depth=1
	v_mad_i64_i32 v[2:3], s[2:3], v11, s19, 0
	v_lshlrev_b64 v[2:3], 4, v[2:3]
	v_add_co_u32_e64 v2, s[2:3], v34, v2
	v_addc_co_u32_e64 v3, s[2:3], v35, v3, s[2:3]
	flat_load_dwordx4 v[2:5], v[2:3]
.LBB1924_15:                            ;   in Loop: Header=BB1924_5 Depth=1
	s_or_b64 exec, exec, s[6:7]
	s_waitcnt vmcnt(0) lgkmcnt(0)
	ds_write_b128 v31, v[2:5]
	s_waitcnt lgkmcnt(0)
	s_barrier
	s_and_saveexec_b64 s[2:3], s[4:5]
	s_cbranch_execz .LBB1924_4
; %bb.16:                               ;   in Loop: Header=BB1924_5 Depth=1
	ds_read_b128 v[2:5], v30
	ds_read_b128 v[6:9], v26
	ds_read_b128 v[10:13], v26 offset:16
	ds_read_b128 v[14:17], v30 offset:512
	;; [unrolled: 1-line block ×5, first 2 shown]
	s_waitcnt lgkmcnt(5)
	v_mul_f64 v[44:45], v[2:3], v[8:9]
	v_mul_f64 v[8:9], v[4:5], v[8:9]
	s_waitcnt lgkmcnt(3)
	v_mul_f64 v[46:47], v[16:17], v[12:13]
	v_mul_f64 v[12:13], v[14:15], v[12:13]
	;; [unrolled: 3-line block ×3, first 2 shown]
	v_fma_f64 v[44:45], v[4:5], v[6:7], v[44:45]
	v_fma_f64 v[48:49], v[2:3], v[6:7], -v[8:9]
	v_fma_f64 v[46:47], v[14:15], v[10:11], -v[46:47]
	v_fma_f64 v[52:53], v[16:17], v[10:11], v[12:13]
	ds_read_b128 v[2:5], v30 offset:1536
	ds_read_b128 v[6:9], v26 offset:64
	v_fma_f64 v[50:51], v[18:19], v[36:37], -v[50:51]
	v_fma_f64 v[56:57], v[20:21], v[36:37], v[38:39]
	ds_read_b128 v[10:13], v30 offset:2048
	ds_read_b128 v[14:17], v30 offset:2560
	v_add_f64 v[44:45], v[44:45], 0
	v_add_f64 v[48:49], v[48:49], 0
	s_waitcnt lgkmcnt(3)
	v_mul_f64 v[54:55], v[4:5], v[42:43]
	v_mul_f64 v[42:43], v[2:3], v[42:43]
	ds_read_b128 v[18:21], v26 offset:80
	ds_read_b128 v[36:39], v26 offset:96
	v_add_f64 v[44:45], v[44:45], v[52:53]
	v_add_f64 v[46:47], v[48:49], v[46:47]
	s_waitcnt lgkmcnt(3)
	v_mul_f64 v[48:49], v[12:13], v[8:9]
	v_mul_f64 v[8:9], v[10:11], v[8:9]
	v_fma_f64 v[52:53], v[2:3], v[40:41], -v[54:55]
	v_fma_f64 v[54:55], v[4:5], v[40:41], v[42:43]
	ds_read_b128 v[2:5], v30 offset:3072
	ds_read_b128 v[40:43], v30 offset:3584
	v_add_f64 v[44:45], v[44:45], v[56:57]
	v_add_f64 v[46:47], v[46:47], v[50:51]
	s_waitcnt lgkmcnt(3)
	v_mul_f64 v[50:51], v[16:17], v[20:21]
	v_mul_f64 v[20:21], v[14:15], v[20:21]
	v_fma_f64 v[48:49], v[10:11], v[6:7], -v[48:49]
	v_fma_f64 v[56:57], v[12:13], v[6:7], v[8:9]
	;; [unrolled: 9-line block ×15, first 2 shown]
	s_waitcnt lgkmcnt(1)
	v_mul_f64 v[54:55], v[42:43], v[8:9]
	v_mul_f64 v[56:57], v[40:41], v[8:9]
	v_add_f64 v[20:21], v[44:45], v[16:17]
	v_add_f64 v[48:49], v[46:47], v[48:49]
	v_fma_f64 v[52:53], v[2:3], v[36:37], -v[52:53]
	v_fma_f64 v[36:37], v[4:5], v[36:37], v[38:39]
	ds_read_b128 v[16:19], v30 offset:10240
	ds_read_b128 v[44:47], v30 offset:10752
	v_add_f64 v[20:21], v[20:21], v[10:11]
	v_add_f64 v[38:39], v[48:49], v[50:51]
	s_waitcnt lgkmcnt(1)
	v_mul_f64 v[48:49], v[18:19], v[14:15]
	v_mul_f64 v[14:15], v[16:17], v[14:15]
	v_fma_f64 v[50:51], v[40:41], v[6:7], -v[54:55]
	v_fma_f64 v[6:7], v[42:43], v[6:7], v[56:57]
	ds_read_b128 v[2:5], v26 offset:336
	ds_read_b128 v[8:11], v26 offset:352
	v_add_f64 v[20:21], v[20:21], v[36:37]
	v_add_f64 v[52:53], v[38:39], v[52:53]
	s_waitcnt lgkmcnt(1)
	v_mul_f64 v[54:55], v[46:47], v[4:5]
	v_mul_f64 v[4:5], v[44:45], v[4:5]
	;; [unrolled: 9-line block ×3, first 2 shown]
	v_fma_f64 v[52:53], v[44:45], v[2:3], -v[54:55]
	v_fma_f64 v[54:55], v[46:47], v[2:3], v[4:5]
	ds_read_b128 v[14:17], v26 offset:368
	ds_read_b128 v[48:51], v26 offset:384
	;; [unrolled: 1-line block ×4, first 2 shown]
	v_add_f64 v[6:7], v[6:7], v[12:13]
	v_add_f64 v[12:13], v[18:19], v[56:57]
	s_waitcnt lgkmcnt(3)
	v_mul_f64 v[18:19], v[42:43], v[16:17]
	v_mul_f64 v[16:17], v[40:41], v[16:17]
	v_fma_f64 v[20:21], v[36:37], v[8:9], -v[20:21]
	v_fma_f64 v[36:37], v[38:39], v[8:9], v[10:11]
	v_add_f64 v[38:39], v[6:7], v[54:55]
	v_add_f64 v[52:53], v[12:13], v[52:53]
	s_waitcnt lgkmcnt(1)
	v_mul_f64 v[54:55], v[46:47], v[50:51]
	v_mul_f64 v[50:51], v[44:45], v[50:51]
	v_fma_f64 v[40:41], v[40:41], v[14:15], -v[18:19]
	v_fma_f64 v[42:43], v[42:43], v[14:15], v[16:17]
	ds_read_b128 v[6:9], v26 offset:400
	ds_read_b128 v[10:13], v26 offset:416
	v_add_f64 v[36:37], v[38:39], v[36:37]
	v_add_f64 v[38:39], v[52:53], v[20:21]
	s_waitcnt lgkmcnt(1)
	v_mul_f64 v[52:53], v[4:5], v[8:9]
	v_mul_f64 v[8:9], v[2:3], v[8:9]
	v_fma_f64 v[44:45], v[44:45], v[48:49], -v[54:55]
	v_fma_f64 v[46:47], v[46:47], v[48:49], v[50:51]
	ds_read_b128 v[14:17], v30 offset:13312
	ds_read_b128 v[18:21], v30 offset:13824
	v_add_f64 v[48:49], v[36:37], v[42:43]
	v_add_f64 v[50:51], v[38:39], v[40:41]
	flat_load_dwordx4 v[40:43], v[22:23]
	s_waitcnt lgkmcnt(0)
	v_mul_f64 v[54:55], v[16:17], v[12:13]
	v_mul_f64 v[12:13], v[14:15], v[12:13]
	v_fma_f64 v[52:53], v[2:3], v[6:7], -v[52:53]
	v_fma_f64 v[56:57], v[4:5], v[6:7], v[8:9]
	ds_read_b128 v[36:39], v26 offset:432
	v_add_f64 v[46:47], v[48:49], v[46:47]
	v_add_f64 v[44:45], v[50:51], v[44:45]
	ds_read_b128 v[2:5], v26 offset:448
	ds_read_b128 v[6:9], v30 offset:14336
	v_fma_f64 v[50:51], v[14:15], v[10:11], -v[54:55]
	s_waitcnt lgkmcnt(0)
	v_mul_f64 v[48:49], v[20:21], v[38:39]
	v_mul_f64 v[38:39], v[18:19], v[38:39]
	v_fma_f64 v[54:55], v[16:17], v[10:11], v[12:13]
	ds_read_b128 v[10:13], v30 offset:14848
	ds_read_b128 v[14:17], v26 offset:464
	v_add_f64 v[46:47], v[46:47], v[56:57]
	v_add_f64 v[44:45], v[44:45], v[52:53]
	v_mul_f64 v[52:53], v[8:9], v[4:5]
	v_mul_f64 v[4:5], v[6:7], v[4:5]
	v_fma_f64 v[48:49], v[18:19], v[36:37], -v[48:49]
	v_fma_f64 v[56:57], v[20:21], v[36:37], v[38:39]
	ds_read_b128 v[18:21], v26 offset:480
	ds_read_b128 v[36:39], v30 offset:15360
	v_add_f64 v[46:47], v[46:47], v[54:55]
	v_add_f64 v[44:45], v[44:45], v[50:51]
	s_waitcnt lgkmcnt(0)
	v_mul_f64 v[50:51], v[12:13], v[16:17]
	v_mul_f64 v[16:17], v[10:11], v[16:17]
	v_fma_f64 v[52:53], v[6:7], v[2:3], -v[52:53]
	v_fma_f64 v[54:55], v[8:9], v[2:3], v[4:5]
	ds_read_b128 v[2:5], v30 offset:15872
	ds_read_b128 v[6:9], v26 offset:496
	v_add_f64 v[46:47], v[46:47], v[56:57]
	v_add_f64 v[44:45], v[44:45], v[48:49]
	v_mul_f64 v[48:49], v[38:39], v[20:21]
	v_mul_f64 v[20:21], v[36:37], v[20:21]
	v_fma_f64 v[10:11], v[10:11], v[14:15], -v[50:51]
	v_fma_f64 v[12:13], v[12:13], v[14:15], v[16:17]
	v_add_f64 v[14:15], v[46:47], v[54:55]
	v_add_f64 v[16:17], v[44:45], v[52:53]
	s_waitcnt lgkmcnt(0)
	v_mul_f64 v[44:45], v[4:5], v[8:9]
	v_mul_f64 v[8:9], v[2:3], v[8:9]
	v_fma_f64 v[36:37], v[36:37], v[18:19], -v[48:49]
	v_fma_f64 v[18:19], v[38:39], v[18:19], v[20:21]
	v_add_f64 v[12:13], v[14:15], v[12:13]
	v_add_f64 v[10:11], v[16:17], v[10:11]
	v_fma_f64 v[2:3], v[2:3], v[6:7], -v[44:45]
	v_fma_f64 v[4:5], v[4:5], v[6:7], v[8:9]
	v_add_f64 v[6:7], v[12:13], v[18:19]
	v_add_f64 v[8:9], v[10:11], v[36:37]
	;; [unrolled: 1-line block ×4, first 2 shown]
	v_mul_f64 v[6:7], s[14:15], v[4:5]
	v_mul_f64 v[8:9], s[14:15], v[2:3]
	v_fma_f64 v[2:3], s[12:13], v[2:3], -v[6:7]
	v_fma_f64 v[4:5], s[12:13], v[4:5], v[8:9]
	s_waitcnt vmcnt(0)
	v_add_f64 v[2:3], v[40:41], v[2:3]
	v_add_f64 v[4:5], v[42:43], v[4:5]
	flat_store_dwordx4 v[22:23], v[2:5]
	s_branch .LBB1924_4
.LBB1924_17:
	s_endpgm
	.section	.rodata,"a",@progbits
	.p2align	6, 0x0
	.amdhsa_kernel _ZL26rocblas_syr2k_her2k_kernelIiLb1ELb0ELb0ELi32E19rocblas_complex_numIdEPKPKS1_PKPS1_EvbiT_T4_T5_S9_lSB_S9_lT6_S9_li
		.amdhsa_group_segment_fixed_size 32768
		.amdhsa_private_segment_fixed_size 0
		.amdhsa_kernarg_size 108
		.amdhsa_user_sgpr_count 6
		.amdhsa_user_sgpr_private_segment_buffer 1
		.amdhsa_user_sgpr_dispatch_ptr 0
		.amdhsa_user_sgpr_queue_ptr 0
		.amdhsa_user_sgpr_kernarg_segment_ptr 1
		.amdhsa_user_sgpr_dispatch_id 0
		.amdhsa_user_sgpr_flat_scratch_init 0
		.amdhsa_user_sgpr_private_segment_size 0
		.amdhsa_uses_dynamic_stack 0
		.amdhsa_system_sgpr_private_segment_wavefront_offset 0
		.amdhsa_system_sgpr_workgroup_id_x 1
		.amdhsa_system_sgpr_workgroup_id_y 1
		.amdhsa_system_sgpr_workgroup_id_z 1
		.amdhsa_system_sgpr_workgroup_info 0
		.amdhsa_system_vgpr_workitem_id 1
		.amdhsa_next_free_vgpr 58
		.amdhsa_next_free_sgpr 61
		.amdhsa_reserve_vcc 1
		.amdhsa_reserve_flat_scratch 0
		.amdhsa_float_round_mode_32 0
		.amdhsa_float_round_mode_16_64 0
		.amdhsa_float_denorm_mode_32 3
		.amdhsa_float_denorm_mode_16_64 3
		.amdhsa_dx10_clamp 1
		.amdhsa_ieee_mode 1
		.amdhsa_fp16_overflow 0
		.amdhsa_exception_fp_ieee_invalid_op 0
		.amdhsa_exception_fp_denorm_src 0
		.amdhsa_exception_fp_ieee_div_zero 0
		.amdhsa_exception_fp_ieee_overflow 0
		.amdhsa_exception_fp_ieee_underflow 0
		.amdhsa_exception_fp_ieee_inexact 0
		.amdhsa_exception_int_div_zero 0
	.end_amdhsa_kernel
	.section	.text._ZL26rocblas_syr2k_her2k_kernelIiLb1ELb0ELb0ELi32E19rocblas_complex_numIdEPKPKS1_PKPS1_EvbiT_T4_T5_S9_lSB_S9_lT6_S9_li,"axG",@progbits,_ZL26rocblas_syr2k_her2k_kernelIiLb1ELb0ELb0ELi32E19rocblas_complex_numIdEPKPKS1_PKPS1_EvbiT_T4_T5_S9_lSB_S9_lT6_S9_li,comdat
.Lfunc_end1924:
	.size	_ZL26rocblas_syr2k_her2k_kernelIiLb1ELb0ELb0ELi32E19rocblas_complex_numIdEPKPKS1_PKPS1_EvbiT_T4_T5_S9_lSB_S9_lT6_S9_li, .Lfunc_end1924-_ZL26rocblas_syr2k_her2k_kernelIiLb1ELb0ELb0ELi32E19rocblas_complex_numIdEPKPKS1_PKPS1_EvbiT_T4_T5_S9_lSB_S9_lT6_S9_li
                                        ; -- End function
	.set _ZL26rocblas_syr2k_her2k_kernelIiLb1ELb0ELb0ELi32E19rocblas_complex_numIdEPKPKS1_PKPS1_EvbiT_T4_T5_S9_lSB_S9_lT6_S9_li.num_vgpr, 58
	.set _ZL26rocblas_syr2k_her2k_kernelIiLb1ELb0ELb0ELi32E19rocblas_complex_numIdEPKPKS1_PKPS1_EvbiT_T4_T5_S9_lSB_S9_lT6_S9_li.num_agpr, 0
	.set _ZL26rocblas_syr2k_her2k_kernelIiLb1ELb0ELb0ELi32E19rocblas_complex_numIdEPKPKS1_PKPS1_EvbiT_T4_T5_S9_lSB_S9_lT6_S9_li.numbered_sgpr, 32
	.set _ZL26rocblas_syr2k_her2k_kernelIiLb1ELb0ELb0ELi32E19rocblas_complex_numIdEPKPKS1_PKPS1_EvbiT_T4_T5_S9_lSB_S9_lT6_S9_li.num_named_barrier, 0
	.set _ZL26rocblas_syr2k_her2k_kernelIiLb1ELb0ELb0ELi32E19rocblas_complex_numIdEPKPKS1_PKPS1_EvbiT_T4_T5_S9_lSB_S9_lT6_S9_li.private_seg_size, 0
	.set _ZL26rocblas_syr2k_her2k_kernelIiLb1ELb0ELb0ELi32E19rocblas_complex_numIdEPKPKS1_PKPS1_EvbiT_T4_T5_S9_lSB_S9_lT6_S9_li.uses_vcc, 1
	.set _ZL26rocblas_syr2k_her2k_kernelIiLb1ELb0ELb0ELi32E19rocblas_complex_numIdEPKPKS1_PKPS1_EvbiT_T4_T5_S9_lSB_S9_lT6_S9_li.uses_flat_scratch, 0
	.set _ZL26rocblas_syr2k_her2k_kernelIiLb1ELb0ELb0ELi32E19rocblas_complex_numIdEPKPKS1_PKPS1_EvbiT_T4_T5_S9_lSB_S9_lT6_S9_li.has_dyn_sized_stack, 0
	.set _ZL26rocblas_syr2k_her2k_kernelIiLb1ELb0ELb0ELi32E19rocblas_complex_numIdEPKPKS1_PKPS1_EvbiT_T4_T5_S9_lSB_S9_lT6_S9_li.has_recursion, 0
	.set _ZL26rocblas_syr2k_her2k_kernelIiLb1ELb0ELb0ELi32E19rocblas_complex_numIdEPKPKS1_PKPS1_EvbiT_T4_T5_S9_lSB_S9_lT6_S9_li.has_indirect_call, 0
	.section	.AMDGPU.csdata,"",@progbits
; Kernel info:
; codeLenInByte = 5392
; TotalNumSgprs: 36
; NumVgprs: 58
; ScratchSize: 0
; MemoryBound: 1
; FloatMode: 240
; IeeeMode: 1
; LDSByteSize: 32768 bytes/workgroup (compile time only)
; SGPRBlocks: 8
; VGPRBlocks: 14
; NumSGPRsForWavesPerEU: 65
; NumVGPRsForWavesPerEU: 58
; Occupancy: 4
; WaveLimiterHint : 1
; COMPUTE_PGM_RSRC2:SCRATCH_EN: 0
; COMPUTE_PGM_RSRC2:USER_SGPR: 6
; COMPUTE_PGM_RSRC2:TRAP_HANDLER: 0
; COMPUTE_PGM_RSRC2:TGID_X_EN: 1
; COMPUTE_PGM_RSRC2:TGID_Y_EN: 1
; COMPUTE_PGM_RSRC2:TGID_Z_EN: 1
; COMPUTE_PGM_RSRC2:TIDIG_COMP_CNT: 1
	.section	.text._ZL26rocblas_syr2k_her2k_kernelIiLb1ELb0ELb1ELi32E19rocblas_complex_numIdEPKPKS1_PKPS1_EvbiT_T4_T5_S9_lSB_S9_lT6_S9_li,"axG",@progbits,_ZL26rocblas_syr2k_her2k_kernelIiLb1ELb0ELb1ELi32E19rocblas_complex_numIdEPKPKS1_PKPS1_EvbiT_T4_T5_S9_lSB_S9_lT6_S9_li,comdat
	.globl	_ZL26rocblas_syr2k_her2k_kernelIiLb1ELb0ELb1ELi32E19rocblas_complex_numIdEPKPKS1_PKPS1_EvbiT_T4_T5_S9_lSB_S9_lT6_S9_li ; -- Begin function _ZL26rocblas_syr2k_her2k_kernelIiLb1ELb0ELb1ELi32E19rocblas_complex_numIdEPKPKS1_PKPS1_EvbiT_T4_T5_S9_lSB_S9_lT6_S9_li
	.p2align	8
	.type	_ZL26rocblas_syr2k_her2k_kernelIiLb1ELb0ELb1ELi32E19rocblas_complex_numIdEPKPKS1_PKPS1_EvbiT_T4_T5_S9_lSB_S9_lT6_S9_li,@function
_ZL26rocblas_syr2k_her2k_kernelIiLb1ELb0ELb1ELi32E19rocblas_complex_numIdEPKPKS1_PKPS1_EvbiT_T4_T5_S9_lSB_S9_lT6_S9_li: ; @_ZL26rocblas_syr2k_her2k_kernelIiLb1ELb0ELb1ELi32E19rocblas_complex_numIdEPKPKS1_PKPS1_EvbiT_T4_T5_S9_lSB_S9_lT6_S9_li
; %bb.0:
	s_load_dwordx4 s[12:15], s[4:5], 0x10
	s_waitcnt lgkmcnt(0)
	v_cmp_eq_f64_e64 s[0:1], s[12:13], 0
	v_cmp_eq_f64_e64 s[2:3], s[14:15], 0
	s_and_b64 s[0:1], s[0:1], s[2:3]
	s_and_b64 vcc, exec, s[0:1]
	s_cbranch_vccnz .LBB1925_17
; %bb.1:
	s_load_dwordx4 s[16:19], s[4:5], 0x0
	s_lshl_b32 s0, s7, 5
	s_lshl_b32 s1, s6, 5
	s_waitcnt lgkmcnt(0)
	s_and_b32 s2, 1, s16
	s_cmp_eq_u32 s2, 1
	s_cselect_b64 vcc, -1, 0
	s_and_b64 s[2:3], vcc, exec
	s_cselect_b32 s2, s1, s0
	s_cselect_b32 s3, s0, s1
	s_cmp_gt_i32 s2, s3
	s_cbranch_scc1 .LBB1925_17
; %bb.2:
	s_cmp_lt_i32 s18, 1
	s_cbranch_scc1 .LBB1925_17
; %bb.3:
	s_mov_b32 s9, 0
	s_load_dwordx2 s[2:3], s[4:5], 0x20
	s_load_dword s16, s[4:5], 0x28
	s_load_dwordx4 s[20:23], s[4:5], 0x30
	s_load_dword s19, s[4:5], 0x40
	s_load_dwordx4 s[24:27], s[4:5], 0x48
	s_load_dword s28, s[4:5], 0x58
	s_load_dwordx2 s[6:7], s[4:5], 0x60
	s_lshl_b64 s[4:5], s[8:9], 3
	s_waitcnt lgkmcnt(0)
	s_add_u32 s2, s2, s4
	s_addc_u32 s3, s3, s5
	s_load_dwordx2 s[2:3], s[2:3], 0x0
	v_add_u32_e32 v2, s1, v0
	s_add_u32 s10, s22, s4
	v_add_u32_e32 v7, s0, v1
	v_mad_i64_i32 v[4:5], s[0:1], s16, v2, 0
	s_addc_u32 s11, s23, s5
	s_add_u32 s4, s26, s4
	s_addc_u32 s5, s27, s5
	s_lshl_b64 s[20:21], s[20:21], 4
	s_waitcnt lgkmcnt(0)
	s_add_u32 s8, s2, s20
	v_lshlrev_b64 v[4:5], 4, v[4:5]
	s_load_dwordx2 s[10:11], s[10:11], 0x0
	s_addc_u32 s20, s3, s21
	v_mov_b32_e32 v9, s20
	v_add_co_u32_e64 v24, s[0:1], s8, v4
	s_load_dwordx2 s[4:5], s[4:5], 0x0
	v_addc_co_u32_e64 v25, s[0:1], v9, v5, s[0:1]
	v_mad_i64_i32 v[4:5], s[0:1], s19, v7, 0
	s_lshl_b64 s[2:3], s[24:25], 4
	s_waitcnt lgkmcnt(0)
	s_add_u32 s10, s10, s2
	s_addc_u32 s11, s11, s3
	s_lshl_b64 s[2:3], s[6:7], 4
	v_lshlrev_b64 v[4:5], 4, v[4:5]
	s_add_u32 s6, s4, s2
	s_addc_u32 s7, s5, s3
	v_mov_b32_e32 v10, s11
	v_add_co_u32_e64 v28, s[2:3], s10, v4
	v_addc_co_u32_e64 v29, s[2:3], v10, v5, s[2:3]
	v_mad_i64_i32 v[4:5], s[2:3], s28, v7, 0
	v_cndmask_b32_e32 v6, v2, v7, vcc
	v_cndmask_b32_e32 v8, v7, v2, vcc
	v_cmp_gt_i32_e32 vcc, s17, v2
	v_cmp_gt_i32_e64 s[0:1], s17, v7
	v_lshlrev_b64 v[4:5], 4, v[4:5]
	v_cmp_le_i32_e64 s[2:3], v8, v6
	s_and_b64 s[4:5], s[0:1], vcc
	v_lshlrev_b32_e32 v26, 9, v0
	v_lshlrev_b32_e32 v9, 4, v1
	s_and_b64 s[4:5], s[4:5], s[2:3]
	v_mov_b32_e32 v6, s7
	v_add_co_u32_e64 v8, s[2:3], s6, v4
	v_ashrrev_i32_e32 v3, 31, v2
	v_add_u32_e32 v27, v26, v9
	v_or_b32_e32 v30, 0x4000, v9
	v_addc_co_u32_e64 v9, s[2:3], v6, v5, s[2:3]
	v_mad_i64_i32 v[5:6], s[2:3], s19, v2, 0
	v_lshlrev_b64 v[3:4], 4, v[2:3]
	v_add_u32_e32 v31, v30, v26
	v_add_co_u32_e64 v22, s[2:3], v8, v3
	v_addc_co_u32_e64 v23, s[2:3], v9, v4, s[2:3]
	v_lshlrev_b64 v[2:3], 4, v[5:6]
	v_mad_i64_i32 v[4:5], s[2:3], s16, v7, 0
	v_mov_b32_e32 v6, s11
	v_add_co_u32_e64 v32, s[2:3], s10, v2
	v_addc_co_u32_e64 v33, s[2:3], v6, v3, s[2:3]
	v_lshlrev_b64 v[2:3], 4, v[4:5]
	v_mov_b32_e32 v4, s20
	v_add_co_u32_e64 v34, s[2:3], s8, v2
	v_addc_co_u32_e64 v35, s[2:3], v4, v3, s[2:3]
	s_branch .LBB1925_5
.LBB1925_4:                             ;   in Loop: Header=BB1925_5 Depth=1
	s_or_b64 exec, exec, s[2:3]
	s_add_i32 s9, s9, 32
	s_cmp_lt_i32 s9, s18
	s_waitcnt vmcnt(0) lgkmcnt(0)
	s_barrier
	s_cbranch_scc0 .LBB1925_17
.LBB1925_5:                             ; =>This Inner Loop Header: Depth=1
	v_add_u32_e32 v10, s9, v1
	v_cmp_gt_i32_e64 s[2:3], s18, v10
	v_mov_b32_e32 v2, 0
	v_mov_b32_e32 v4, 0
	;; [unrolled: 1-line block ×6, first 2 shown]
	s_and_b64 s[6:7], vcc, s[2:3]
	s_and_saveexec_b64 s[10:11], s[6:7]
	s_cbranch_execz .LBB1925_7
; %bb.6:                                ;   in Loop: Header=BB1925_5 Depth=1
	v_ashrrev_i32_e32 v11, 31, v10
	v_lshlrev_b64 v[4:5], 4, v[10:11]
	v_add_co_u32_e64 v4, s[2:3], v24, v4
	v_addc_co_u32_e64 v5, s[2:3], v25, v5, s[2:3]
	flat_load_dwordx4 v[4:7], v[4:5]
.LBB1925_7:                             ;   in Loop: Header=BB1925_5 Depth=1
	s_or_b64 exec, exec, s[10:11]
	v_add_u32_e32 v12, s9, v0
	s_waitcnt vmcnt(0) lgkmcnt(0)
	ds_write_b128 v27, v[4:7]
	v_cmp_gt_i32_e64 s[2:3], s18, v12
	v_mov_b32_e32 v4, 0
	v_mov_b32_e32 v5, 0
	s_and_b64 s[10:11], s[0:1], s[2:3]
	s_and_saveexec_b64 s[16:17], s[10:11]
	s_cbranch_execz .LBB1925_9
; %bb.8:                                ;   in Loop: Header=BB1925_5 Depth=1
	v_ashrrev_i32_e32 v13, 31, v12
	v_lshlrev_b64 v[2:3], 4, v[12:13]
	v_add_co_u32_e64 v2, s[2:3], v28, v2
	v_addc_co_u32_e64 v3, s[2:3], v29, v3, s[2:3]
	flat_load_dwordx4 v[2:5], v[2:3]
.LBB1925_9:                             ;   in Loop: Header=BB1925_5 Depth=1
	s_or_b64 exec, exec, s[16:17]
	s_waitcnt vmcnt(0) lgkmcnt(0)
	ds_write_b128 v31, v[2:5]
	s_waitcnt lgkmcnt(0)
	s_barrier
	s_and_saveexec_b64 s[2:3], s[4:5]
	s_cbranch_execz .LBB1925_11
; %bb.10:                               ;   in Loop: Header=BB1925_5 Depth=1
	ds_read_b128 v[6:9], v30
	ds_read_b128 v[13:16], v26
	ds_read_b128 v[17:20], v26 offset:16
	ds_read_b128 v[36:39], v26 offset:32
	;; [unrolled: 1-line block ×3, first 2 shown]
	s_waitcnt lgkmcnt(3)
	v_mul_f64 v[40:41], v[8:9], v[15:16]
	v_fma_f64 v[40:41], v[6:7], v[13:14], -v[40:41]
	v_mul_f64 v[6:7], v[6:7], v[15:16]
	v_fma_f64 v[6:7], v[8:9], v[13:14], v[6:7]
	v_add_f64 v[13:14], v[40:41], 0
	v_add_f64 v[15:16], v[6:7], 0
	ds_read_b128 v[6:9], v30 offset:512
	s_waitcnt lgkmcnt(0)
	v_mul_f64 v[40:41], v[8:9], v[19:20]
	v_fma_f64 v[40:41], v[6:7], v[17:18], -v[40:41]
	v_mul_f64 v[6:7], v[6:7], v[19:20]
	v_add_f64 v[13:14], v[13:14], v[40:41]
	v_fma_f64 v[6:7], v[8:9], v[17:18], v[6:7]
	v_add_f64 v[15:16], v[15:16], v[6:7]
	ds_read_b128 v[6:9], v30 offset:1024
	s_waitcnt lgkmcnt(0)
	v_mul_f64 v[17:18], v[8:9], v[38:39]
	v_fma_f64 v[17:18], v[6:7], v[36:37], -v[17:18]
	v_mul_f64 v[6:7], v[6:7], v[38:39]
	v_add_f64 v[13:14], v[13:14], v[17:18]
	v_fma_f64 v[6:7], v[8:9], v[36:37], v[6:7]
	v_add_f64 v[15:16], v[15:16], v[6:7]
	ds_read_b128 v[6:9], v30 offset:1536
	s_waitcnt lgkmcnt(0)
	v_mul_f64 v[17:18], v[8:9], v[4:5]
	v_mul_f64 v[4:5], v[6:7], v[4:5]
	v_fma_f64 v[17:18], v[6:7], v[2:3], -v[17:18]
	v_fma_f64 v[2:3], v[8:9], v[2:3], v[4:5]
	v_add_f64 v[13:14], v[13:14], v[17:18]
	v_add_f64 v[15:16], v[15:16], v[2:3]
	ds_read_b128 v[2:5], v30 offset:2048
	ds_read_b128 v[6:9], v26 offset:64
	s_waitcnt lgkmcnt(0)
	v_mul_f64 v[17:18], v[4:5], v[8:9]
	v_fma_f64 v[17:18], v[2:3], v[6:7], -v[17:18]
	v_mul_f64 v[2:3], v[2:3], v[8:9]
	v_add_f64 v[13:14], v[13:14], v[17:18]
	v_fma_f64 v[2:3], v[4:5], v[6:7], v[2:3]
	v_add_f64 v[15:16], v[15:16], v[2:3]
	ds_read_b128 v[2:5], v30 offset:2560
	ds_read_b128 v[6:9], v26 offset:80
	s_waitcnt lgkmcnt(0)
	v_mul_f64 v[17:18], v[4:5], v[8:9]
	v_fma_f64 v[17:18], v[2:3], v[6:7], -v[17:18]
	v_mul_f64 v[2:3], v[2:3], v[8:9]
	v_add_f64 v[13:14], v[13:14], v[17:18]
	v_fma_f64 v[2:3], v[4:5], v[6:7], v[2:3]
	;; [unrolled: 9-line block ×27, first 2 shown]
	v_add_f64 v[15:16], v[15:16], v[2:3]
	ds_read_b128 v[2:5], v30 offset:15872
	ds_read_b128 v[6:9], v26 offset:496
	s_waitcnt lgkmcnt(0)
	v_mul_f64 v[17:18], v[4:5], v[8:9]
	v_fma_f64 v[17:18], v[2:3], v[6:7], -v[17:18]
	v_mul_f64 v[2:3], v[2:3], v[8:9]
	v_fma_f64 v[2:3], v[4:5], v[6:7], v[2:3]
	v_add_f64 v[4:5], v[13:14], v[17:18]
	v_add_f64 v[2:3], v[15:16], v[2:3]
	v_mul_f64 v[6:7], s[14:15], v[2:3]
	v_mul_f64 v[2:3], s[12:13], v[2:3]
	v_fma_f64 v[6:7], s[12:13], v[4:5], -v[6:7]
	v_fma_f64 v[8:9], s[14:15], v[4:5], v[2:3]
	flat_load_dwordx4 v[2:5], v[22:23]
	s_waitcnt vmcnt(0) lgkmcnt(0)
	v_add_f64 v[2:3], v[2:3], v[6:7]
	v_add_f64 v[4:5], v[4:5], v[8:9]
	flat_store_dwordx4 v[22:23], v[2:5]
.LBB1925_11:                            ;   in Loop: Header=BB1925_5 Depth=1
	s_or_b64 exec, exec, s[2:3]
	v_mov_b32_e32 v4, 0
	v_mov_b32_e32 v8, 0
	;; [unrolled: 1-line block ×6, first 2 shown]
	s_waitcnt vmcnt(0) lgkmcnt(0)
	s_barrier
	s_and_saveexec_b64 s[16:17], s[6:7]
	s_cbranch_execz .LBB1925_13
; %bb.12:                               ;   in Loop: Header=BB1925_5 Depth=1
	v_ashrrev_i32_e32 v11, 31, v10
	v_lshlrev_b64 v[2:3], 4, v[10:11]
	v_add_co_u32_e64 v2, s[2:3], v32, v2
	v_addc_co_u32_e64 v3, s[2:3], v33, v3, s[2:3]
	flat_load_dwordx4 v[6:9], v[2:3]
.LBB1925_13:                            ;   in Loop: Header=BB1925_5 Depth=1
	s_or_b64 exec, exec, s[16:17]
	v_mov_b32_e32 v2, 0
	v_mov_b32_e32 v3, 0
	s_waitcnt vmcnt(0) lgkmcnt(0)
	ds_write_b128 v27, v[6:9]
	s_and_saveexec_b64 s[6:7], s[10:11]
	s_cbranch_execz .LBB1925_15
; %bb.14:                               ;   in Loop: Header=BB1925_5 Depth=1
	v_ashrrev_i32_e32 v13, 31, v12
	v_lshlrev_b64 v[2:3], 4, v[12:13]
	v_add_co_u32_e64 v2, s[2:3], v34, v2
	v_addc_co_u32_e64 v3, s[2:3], v35, v3, s[2:3]
	flat_load_dwordx4 v[2:5], v[2:3]
.LBB1925_15:                            ;   in Loop: Header=BB1925_5 Depth=1
	s_or_b64 exec, exec, s[6:7]
	s_waitcnt vmcnt(0) lgkmcnt(0)
	ds_write_b128 v31, v[2:5]
	s_waitcnt lgkmcnt(0)
	s_barrier
	s_and_saveexec_b64 s[2:3], s[4:5]
	s_cbranch_execz .LBB1925_4
; %bb.16:                               ;   in Loop: Header=BB1925_5 Depth=1
	ds_read_b128 v[2:5], v30
	ds_read_b128 v[6:9], v26
	ds_read_b128 v[10:13], v26 offset:16
	ds_read_b128 v[14:17], v30 offset:512
	;; [unrolled: 1-line block ×5, first 2 shown]
	s_waitcnt lgkmcnt(5)
	v_mul_f64 v[44:45], v[2:3], v[8:9]
	v_mul_f64 v[8:9], v[4:5], v[8:9]
	s_waitcnt lgkmcnt(3)
	v_mul_f64 v[46:47], v[16:17], v[12:13]
	v_mul_f64 v[12:13], v[14:15], v[12:13]
	;; [unrolled: 3-line block ×3, first 2 shown]
	v_fma_f64 v[44:45], v[4:5], v[6:7], v[44:45]
	v_fma_f64 v[48:49], v[2:3], v[6:7], -v[8:9]
	v_fma_f64 v[46:47], v[14:15], v[10:11], -v[46:47]
	v_fma_f64 v[52:53], v[16:17], v[10:11], v[12:13]
	ds_read_b128 v[2:5], v30 offset:1536
	ds_read_b128 v[6:9], v26 offset:64
	v_fma_f64 v[50:51], v[18:19], v[36:37], -v[50:51]
	v_fma_f64 v[56:57], v[20:21], v[36:37], v[38:39]
	ds_read_b128 v[10:13], v30 offset:2048
	ds_read_b128 v[14:17], v30 offset:2560
	v_add_f64 v[44:45], v[44:45], 0
	v_add_f64 v[48:49], v[48:49], 0
	s_waitcnt lgkmcnt(3)
	v_mul_f64 v[54:55], v[4:5], v[42:43]
	v_mul_f64 v[42:43], v[2:3], v[42:43]
	ds_read_b128 v[18:21], v26 offset:80
	ds_read_b128 v[36:39], v26 offset:96
	v_add_f64 v[44:45], v[44:45], v[52:53]
	v_add_f64 v[46:47], v[48:49], v[46:47]
	s_waitcnt lgkmcnt(3)
	v_mul_f64 v[48:49], v[12:13], v[8:9]
	v_mul_f64 v[8:9], v[10:11], v[8:9]
	v_fma_f64 v[52:53], v[2:3], v[40:41], -v[54:55]
	v_fma_f64 v[54:55], v[4:5], v[40:41], v[42:43]
	ds_read_b128 v[2:5], v30 offset:3072
	ds_read_b128 v[40:43], v30 offset:3584
	v_add_f64 v[44:45], v[44:45], v[56:57]
	v_add_f64 v[46:47], v[46:47], v[50:51]
	s_waitcnt lgkmcnt(3)
	v_mul_f64 v[50:51], v[16:17], v[20:21]
	v_mul_f64 v[20:21], v[14:15], v[20:21]
	v_fma_f64 v[48:49], v[10:11], v[6:7], -v[48:49]
	v_fma_f64 v[56:57], v[12:13], v[6:7], v[8:9]
	;; [unrolled: 9-line block ×15, first 2 shown]
	s_waitcnt lgkmcnt(1)
	v_mul_f64 v[54:55], v[42:43], v[8:9]
	v_mul_f64 v[56:57], v[40:41], v[8:9]
	v_add_f64 v[20:21], v[44:45], v[16:17]
	v_add_f64 v[48:49], v[46:47], v[48:49]
	v_fma_f64 v[52:53], v[2:3], v[36:37], -v[52:53]
	v_fma_f64 v[36:37], v[4:5], v[36:37], v[38:39]
	ds_read_b128 v[16:19], v30 offset:10240
	ds_read_b128 v[44:47], v30 offset:10752
	v_add_f64 v[20:21], v[20:21], v[10:11]
	v_add_f64 v[38:39], v[48:49], v[50:51]
	s_waitcnt lgkmcnt(1)
	v_mul_f64 v[48:49], v[18:19], v[14:15]
	v_mul_f64 v[14:15], v[16:17], v[14:15]
	v_fma_f64 v[50:51], v[40:41], v[6:7], -v[54:55]
	v_fma_f64 v[6:7], v[42:43], v[6:7], v[56:57]
	ds_read_b128 v[2:5], v26 offset:336
	ds_read_b128 v[8:11], v26 offset:352
	v_add_f64 v[20:21], v[20:21], v[36:37]
	v_add_f64 v[52:53], v[38:39], v[52:53]
	s_waitcnt lgkmcnt(1)
	v_mul_f64 v[54:55], v[46:47], v[4:5]
	v_mul_f64 v[4:5], v[44:45], v[4:5]
	;; [unrolled: 9-line block ×3, first 2 shown]
	v_fma_f64 v[52:53], v[44:45], v[2:3], -v[54:55]
	v_fma_f64 v[54:55], v[46:47], v[2:3], v[4:5]
	ds_read_b128 v[14:17], v26 offset:368
	ds_read_b128 v[48:51], v26 offset:384
	;; [unrolled: 1-line block ×4, first 2 shown]
	v_add_f64 v[6:7], v[6:7], v[12:13]
	v_add_f64 v[12:13], v[18:19], v[56:57]
	s_waitcnt lgkmcnt(3)
	v_mul_f64 v[18:19], v[42:43], v[16:17]
	v_mul_f64 v[16:17], v[40:41], v[16:17]
	v_fma_f64 v[20:21], v[36:37], v[8:9], -v[20:21]
	v_fma_f64 v[36:37], v[38:39], v[8:9], v[10:11]
	v_add_f64 v[38:39], v[6:7], v[54:55]
	v_add_f64 v[52:53], v[12:13], v[52:53]
	s_waitcnt lgkmcnt(1)
	v_mul_f64 v[54:55], v[46:47], v[50:51]
	v_mul_f64 v[50:51], v[44:45], v[50:51]
	v_fma_f64 v[40:41], v[40:41], v[14:15], -v[18:19]
	v_fma_f64 v[42:43], v[42:43], v[14:15], v[16:17]
	ds_read_b128 v[6:9], v26 offset:400
	ds_read_b128 v[10:13], v26 offset:416
	v_add_f64 v[36:37], v[38:39], v[36:37]
	v_add_f64 v[38:39], v[52:53], v[20:21]
	s_waitcnt lgkmcnt(1)
	v_mul_f64 v[52:53], v[4:5], v[8:9]
	v_mul_f64 v[8:9], v[2:3], v[8:9]
	v_fma_f64 v[44:45], v[44:45], v[48:49], -v[54:55]
	v_fma_f64 v[46:47], v[46:47], v[48:49], v[50:51]
	ds_read_b128 v[14:17], v30 offset:13312
	ds_read_b128 v[18:21], v30 offset:13824
	v_add_f64 v[48:49], v[36:37], v[42:43]
	v_add_f64 v[50:51], v[38:39], v[40:41]
	flat_load_dwordx4 v[40:43], v[22:23]
	s_waitcnt lgkmcnt(0)
	v_mul_f64 v[54:55], v[16:17], v[12:13]
	v_mul_f64 v[12:13], v[14:15], v[12:13]
	v_fma_f64 v[52:53], v[2:3], v[6:7], -v[52:53]
	v_fma_f64 v[56:57], v[4:5], v[6:7], v[8:9]
	ds_read_b128 v[36:39], v26 offset:432
	v_add_f64 v[46:47], v[48:49], v[46:47]
	v_add_f64 v[44:45], v[50:51], v[44:45]
	ds_read_b128 v[2:5], v26 offset:448
	ds_read_b128 v[6:9], v30 offset:14336
	v_fma_f64 v[50:51], v[14:15], v[10:11], -v[54:55]
	s_waitcnt lgkmcnt(0)
	v_mul_f64 v[48:49], v[20:21], v[38:39]
	v_mul_f64 v[38:39], v[18:19], v[38:39]
	v_fma_f64 v[54:55], v[16:17], v[10:11], v[12:13]
	ds_read_b128 v[10:13], v30 offset:14848
	ds_read_b128 v[14:17], v26 offset:464
	v_add_f64 v[46:47], v[46:47], v[56:57]
	v_add_f64 v[44:45], v[44:45], v[52:53]
	v_mul_f64 v[52:53], v[8:9], v[4:5]
	v_mul_f64 v[4:5], v[6:7], v[4:5]
	v_fma_f64 v[48:49], v[18:19], v[36:37], -v[48:49]
	v_fma_f64 v[56:57], v[20:21], v[36:37], v[38:39]
	ds_read_b128 v[18:21], v26 offset:480
	ds_read_b128 v[36:39], v30 offset:15360
	v_add_f64 v[46:47], v[46:47], v[54:55]
	v_add_f64 v[44:45], v[44:45], v[50:51]
	s_waitcnt lgkmcnt(0)
	v_mul_f64 v[50:51], v[12:13], v[16:17]
	v_mul_f64 v[16:17], v[10:11], v[16:17]
	v_fma_f64 v[52:53], v[6:7], v[2:3], -v[52:53]
	v_fma_f64 v[54:55], v[8:9], v[2:3], v[4:5]
	ds_read_b128 v[2:5], v30 offset:15872
	ds_read_b128 v[6:9], v26 offset:496
	v_add_f64 v[46:47], v[46:47], v[56:57]
	v_add_f64 v[44:45], v[44:45], v[48:49]
	v_mul_f64 v[48:49], v[38:39], v[20:21]
	v_mul_f64 v[20:21], v[36:37], v[20:21]
	v_fma_f64 v[10:11], v[10:11], v[14:15], -v[50:51]
	v_fma_f64 v[12:13], v[12:13], v[14:15], v[16:17]
	v_add_f64 v[14:15], v[46:47], v[54:55]
	v_add_f64 v[16:17], v[44:45], v[52:53]
	s_waitcnt lgkmcnt(0)
	v_mul_f64 v[44:45], v[4:5], v[8:9]
	v_mul_f64 v[8:9], v[2:3], v[8:9]
	v_fma_f64 v[36:37], v[36:37], v[18:19], -v[48:49]
	v_fma_f64 v[18:19], v[38:39], v[18:19], v[20:21]
	v_add_f64 v[12:13], v[14:15], v[12:13]
	v_add_f64 v[10:11], v[16:17], v[10:11]
	v_fma_f64 v[2:3], v[2:3], v[6:7], -v[44:45]
	v_fma_f64 v[4:5], v[4:5], v[6:7], v[8:9]
	v_add_f64 v[6:7], v[12:13], v[18:19]
	v_add_f64 v[8:9], v[10:11], v[36:37]
	;; [unrolled: 1-line block ×4, first 2 shown]
	v_mul_f64 v[6:7], s[14:15], v[4:5]
	v_mul_f64 v[8:9], s[14:15], v[2:3]
	v_fma_f64 v[2:3], s[12:13], v[2:3], -v[6:7]
	v_fma_f64 v[4:5], s[12:13], v[4:5], v[8:9]
	s_waitcnt vmcnt(0)
	v_add_f64 v[2:3], v[40:41], v[2:3]
	v_add_f64 v[4:5], v[42:43], v[4:5]
	flat_store_dwordx4 v[22:23], v[2:5]
	s_branch .LBB1925_4
.LBB1925_17:
	s_endpgm
	.section	.rodata,"a",@progbits
	.p2align	6, 0x0
	.amdhsa_kernel _ZL26rocblas_syr2k_her2k_kernelIiLb1ELb0ELb1ELi32E19rocblas_complex_numIdEPKPKS1_PKPS1_EvbiT_T4_T5_S9_lSB_S9_lT6_S9_li
		.amdhsa_group_segment_fixed_size 32768
		.amdhsa_private_segment_fixed_size 0
		.amdhsa_kernarg_size 108
		.amdhsa_user_sgpr_count 6
		.amdhsa_user_sgpr_private_segment_buffer 1
		.amdhsa_user_sgpr_dispatch_ptr 0
		.amdhsa_user_sgpr_queue_ptr 0
		.amdhsa_user_sgpr_kernarg_segment_ptr 1
		.amdhsa_user_sgpr_dispatch_id 0
		.amdhsa_user_sgpr_flat_scratch_init 0
		.amdhsa_user_sgpr_private_segment_size 0
		.amdhsa_uses_dynamic_stack 0
		.amdhsa_system_sgpr_private_segment_wavefront_offset 0
		.amdhsa_system_sgpr_workgroup_id_x 1
		.amdhsa_system_sgpr_workgroup_id_y 1
		.amdhsa_system_sgpr_workgroup_id_z 1
		.amdhsa_system_sgpr_workgroup_info 0
		.amdhsa_system_vgpr_workitem_id 1
		.amdhsa_next_free_vgpr 58
		.amdhsa_next_free_sgpr 61
		.amdhsa_reserve_vcc 1
		.amdhsa_reserve_flat_scratch 0
		.amdhsa_float_round_mode_32 0
		.amdhsa_float_round_mode_16_64 0
		.amdhsa_float_denorm_mode_32 3
		.amdhsa_float_denorm_mode_16_64 3
		.amdhsa_dx10_clamp 1
		.amdhsa_ieee_mode 1
		.amdhsa_fp16_overflow 0
		.amdhsa_exception_fp_ieee_invalid_op 0
		.amdhsa_exception_fp_denorm_src 0
		.amdhsa_exception_fp_ieee_div_zero 0
		.amdhsa_exception_fp_ieee_overflow 0
		.amdhsa_exception_fp_ieee_underflow 0
		.amdhsa_exception_fp_ieee_inexact 0
		.amdhsa_exception_int_div_zero 0
	.end_amdhsa_kernel
	.section	.text._ZL26rocblas_syr2k_her2k_kernelIiLb1ELb0ELb1ELi32E19rocblas_complex_numIdEPKPKS1_PKPS1_EvbiT_T4_T5_S9_lSB_S9_lT6_S9_li,"axG",@progbits,_ZL26rocblas_syr2k_her2k_kernelIiLb1ELb0ELb1ELi32E19rocblas_complex_numIdEPKPKS1_PKPS1_EvbiT_T4_T5_S9_lSB_S9_lT6_S9_li,comdat
.Lfunc_end1925:
	.size	_ZL26rocblas_syr2k_her2k_kernelIiLb1ELb0ELb1ELi32E19rocblas_complex_numIdEPKPKS1_PKPS1_EvbiT_T4_T5_S9_lSB_S9_lT6_S9_li, .Lfunc_end1925-_ZL26rocblas_syr2k_her2k_kernelIiLb1ELb0ELb1ELi32E19rocblas_complex_numIdEPKPKS1_PKPS1_EvbiT_T4_T5_S9_lSB_S9_lT6_S9_li
                                        ; -- End function
	.set _ZL26rocblas_syr2k_her2k_kernelIiLb1ELb0ELb1ELi32E19rocblas_complex_numIdEPKPKS1_PKPS1_EvbiT_T4_T5_S9_lSB_S9_lT6_S9_li.num_vgpr, 58
	.set _ZL26rocblas_syr2k_her2k_kernelIiLb1ELb0ELb1ELi32E19rocblas_complex_numIdEPKPKS1_PKPS1_EvbiT_T4_T5_S9_lSB_S9_lT6_S9_li.num_agpr, 0
	.set _ZL26rocblas_syr2k_her2k_kernelIiLb1ELb0ELb1ELi32E19rocblas_complex_numIdEPKPKS1_PKPS1_EvbiT_T4_T5_S9_lSB_S9_lT6_S9_li.numbered_sgpr, 29
	.set _ZL26rocblas_syr2k_her2k_kernelIiLb1ELb0ELb1ELi32E19rocblas_complex_numIdEPKPKS1_PKPS1_EvbiT_T4_T5_S9_lSB_S9_lT6_S9_li.num_named_barrier, 0
	.set _ZL26rocblas_syr2k_her2k_kernelIiLb1ELb0ELb1ELi32E19rocblas_complex_numIdEPKPKS1_PKPS1_EvbiT_T4_T5_S9_lSB_S9_lT6_S9_li.private_seg_size, 0
	.set _ZL26rocblas_syr2k_her2k_kernelIiLb1ELb0ELb1ELi32E19rocblas_complex_numIdEPKPKS1_PKPS1_EvbiT_T4_T5_S9_lSB_S9_lT6_S9_li.uses_vcc, 1
	.set _ZL26rocblas_syr2k_her2k_kernelIiLb1ELb0ELb1ELi32E19rocblas_complex_numIdEPKPKS1_PKPS1_EvbiT_T4_T5_S9_lSB_S9_lT6_S9_li.uses_flat_scratch, 0
	.set _ZL26rocblas_syr2k_her2k_kernelIiLb1ELb0ELb1ELi32E19rocblas_complex_numIdEPKPKS1_PKPS1_EvbiT_T4_T5_S9_lSB_S9_lT6_S9_li.has_dyn_sized_stack, 0
	.set _ZL26rocblas_syr2k_her2k_kernelIiLb1ELb0ELb1ELi32E19rocblas_complex_numIdEPKPKS1_PKPS1_EvbiT_T4_T5_S9_lSB_S9_lT6_S9_li.has_recursion, 0
	.set _ZL26rocblas_syr2k_her2k_kernelIiLb1ELb0ELb1ELi32E19rocblas_complex_numIdEPKPKS1_PKPS1_EvbiT_T4_T5_S9_lSB_S9_lT6_S9_li.has_indirect_call, 0
	.section	.AMDGPU.csdata,"",@progbits
; Kernel info:
; codeLenInByte = 5432
; TotalNumSgprs: 33
; NumVgprs: 58
; ScratchSize: 0
; MemoryBound: 1
; FloatMode: 240
; IeeeMode: 1
; LDSByteSize: 32768 bytes/workgroup (compile time only)
; SGPRBlocks: 8
; VGPRBlocks: 14
; NumSGPRsForWavesPerEU: 65
; NumVGPRsForWavesPerEU: 58
; Occupancy: 4
; WaveLimiterHint : 1
; COMPUTE_PGM_RSRC2:SCRATCH_EN: 0
; COMPUTE_PGM_RSRC2:USER_SGPR: 6
; COMPUTE_PGM_RSRC2:TRAP_HANDLER: 0
; COMPUTE_PGM_RSRC2:TGID_X_EN: 1
; COMPUTE_PGM_RSRC2:TGID_Y_EN: 1
; COMPUTE_PGM_RSRC2:TGID_Z_EN: 1
; COMPUTE_PGM_RSRC2:TIDIG_COMP_CNT: 1
	.section	.text._ZL26rocblas_syr2k_her2k_kernelIiLb1ELb0ELb0ELi32EPK19rocblas_complex_numIdEPKS3_PKPS1_EvbiT_T4_T5_S9_lSB_S9_lT6_S9_li,"axG",@progbits,_ZL26rocblas_syr2k_her2k_kernelIiLb1ELb0ELb0ELi32EPK19rocblas_complex_numIdEPKS3_PKPS1_EvbiT_T4_T5_S9_lSB_S9_lT6_S9_li,comdat
	.globl	_ZL26rocblas_syr2k_her2k_kernelIiLb1ELb0ELb0ELi32EPK19rocblas_complex_numIdEPKS3_PKPS1_EvbiT_T4_T5_S9_lSB_S9_lT6_S9_li ; -- Begin function _ZL26rocblas_syr2k_her2k_kernelIiLb1ELb0ELb0ELi32EPK19rocblas_complex_numIdEPKS3_PKPS1_EvbiT_T4_T5_S9_lSB_S9_lT6_S9_li
	.p2align	8
	.type	_ZL26rocblas_syr2k_her2k_kernelIiLb1ELb0ELb0ELi32EPK19rocblas_complex_numIdEPKS3_PKPS1_EvbiT_T4_T5_S9_lSB_S9_lT6_S9_li,@function
_ZL26rocblas_syr2k_her2k_kernelIiLb1ELb0ELb0ELi32EPK19rocblas_complex_numIdEPKS3_PKPS1_EvbiT_T4_T5_S9_lSB_S9_lT6_S9_li: ; @_ZL26rocblas_syr2k_her2k_kernelIiLb1ELb0ELb0ELi32EPK19rocblas_complex_numIdEPKS3_PKPS1_EvbiT_T4_T5_S9_lSB_S9_lT6_S9_li
; %bb.0:
	s_load_dwordx4 s[0:3], s[4:5], 0x10
	s_waitcnt lgkmcnt(0)
	s_load_dwordx4 s[12:15], s[0:1], 0x0
	s_waitcnt lgkmcnt(0)
	v_cmp_eq_f64_e64 s[0:1], s[12:13], 0
	v_cmp_eq_f64_e64 s[10:11], s[14:15], 0
	s_and_b64 s[0:1], s[0:1], s[10:11]
	s_and_b64 vcc, exec, s[0:1]
	s_cbranch_vccnz .LBB1926_17
; %bb.1:
	s_load_dwordx4 s[16:19], s[4:5], 0x0
	s_lshl_b32 s0, s7, 5
	s_lshl_b32 s1, s6, 5
	s_waitcnt lgkmcnt(0)
	s_and_b32 s6, 1, s16
	s_cmp_eq_u32 s6, 1
	s_cselect_b64 vcc, -1, 0
	s_and_b64 s[6:7], vcc, exec
	s_cselect_b32 s6, s1, s0
	s_cselect_b32 s7, s0, s1
	s_cmp_gt_i32 s6, s7
	s_cbranch_scc1 .LBB1926_17
; %bb.2:
	s_cmp_lt_i32 s18, 1
	s_cbranch_scc1 .LBB1926_17
; %bb.3:
	s_mov_b32 s9, 0
	s_load_dword s19, s[4:5], 0x20
	s_load_dwordx4 s[24:27], s[4:5], 0x28
	s_load_dword s20, s[4:5], 0x38
	s_load_dwordx4 s[28:31], s[4:5], 0x40
	s_load_dword s16, s[4:5], 0x50
	s_load_dwordx2 s[6:7], s[4:5], 0x58
	s_lshl_b64 s[4:5], s[8:9], 3
	s_add_u32 s2, s2, s4
	s_addc_u32 s3, s3, s5
	s_load_dwordx2 s[2:3], s[2:3], 0x0
	s_waitcnt lgkmcnt(0)
	s_add_u32 s10, s26, s4
	s_addc_u32 s11, s27, s5
	s_load_dwordx2 s[10:11], s[10:11], 0x0
	s_add_u32 s4, s30, s4
	v_add_u32_e32 v3, s1, v0
	s_addc_u32 s5, s31, s5
	s_lshl_b64 s[22:23], s[24:25], 4
	v_ashrrev_i32_e32 v4, 31, v3
	s_load_dwordx2 s[4:5], s[4:5], 0x0
	s_add_u32 s8, s2, s22
	v_lshlrev_b64 v[4:5], 4, v[3:4]
	s_addc_u32 s21, s3, s23
	v_add_u32_e32 v2, s0, v1
	s_lshl_b64 s[2:3], s[28:29], 4
	v_cndmask_b32_e32 v8, v3, v2, vcc
	v_cndmask_b32_e32 v9, v2, v3, vcc
	v_cmp_gt_i32_e32 vcc, s17, v3
	v_mov_b32_e32 v3, s21
	v_add_co_u32_e64 v24, s[0:1], s8, v4
	s_waitcnt lgkmcnt(0)
	s_add_u32 s10, s10, s2
	v_addc_co_u32_e64 v25, s[0:1], v3, v5, s[0:1]
	v_ashrrev_i32_e32 v3, 31, v2
	s_addc_u32 s11, s11, s3
	s_lshl_b64 s[2:3], s[6:7], 4
	v_lshlrev_b64 v[6:7], 4, v[2:3]
	s_add_u32 s6, s4, s2
	s_addc_u32 s7, s5, s3
	v_mov_b32_e32 v3, s11
	v_add_co_u32_e64 v28, s[2:3], s10, v6
	v_cmp_gt_i32_e64 s[0:1], s17, v2
	v_addc_co_u32_e64 v29, s[2:3], v3, v7, s[2:3]
	v_mad_i64_i32 v[2:3], s[2:3], s16, v2, 0
	v_cmp_le_i32_e64 s[2:3], v9, v8
	s_and_b64 s[4:5], s[0:1], vcc
	v_lshlrev_b64 v[2:3], 4, v[2:3]
	s_and_b64 s[4:5], s[4:5], s[2:3]
	v_mov_b32_e32 v8, s7
	v_add_co_u32_e64 v2, s[2:3], s6, v2
	v_addc_co_u32_e64 v3, s[2:3], v8, v3, s[2:3]
	v_add_co_u32_e64 v22, s[2:3], v2, v4
	v_addc_co_u32_e64 v23, s[2:3], v3, v5, s[2:3]
	v_mov_b32_e32 v2, s11
	v_add_co_u32_e64 v32, s[2:3], s10, v4
	v_lshlrev_b32_e32 v10, 4, v1
	v_addc_co_u32_e64 v33, s[2:3], v2, v5, s[2:3]
	v_lshlrev_b32_e32 v26, 9, v0
	v_or_b32_e32 v30, 0x4000, v10
	v_mov_b32_e32 v2, s21
	v_add_co_u32_e64 v34, s[2:3], s8, v6
	v_add_u32_e32 v27, v26, v10
	v_add_u32_e32 v31, v30, v26
	v_addc_co_u32_e64 v35, s[2:3], v2, v7, s[2:3]
	s_branch .LBB1926_5
.LBB1926_4:                             ;   in Loop: Header=BB1926_5 Depth=1
	s_or_b64 exec, exec, s[2:3]
	s_add_i32 s9, s9, 32
	s_cmp_lt_i32 s9, s18
	s_waitcnt vmcnt(0) lgkmcnt(0)
	s_barrier
	s_cbranch_scc0 .LBB1926_17
.LBB1926_5:                             ; =>This Inner Loop Header: Depth=1
	v_add_u32_e32 v10, s9, v1
	v_cmp_gt_i32_e64 s[2:3], s18, v10
	v_mov_b32_e32 v2, 0
	v_mov_b32_e32 v4, 0
	v_mov_b32_e32 v6, 0
	v_mov_b32_e32 v3, 0
	v_mov_b32_e32 v5, 0
	v_mov_b32_e32 v7, 0
	s_and_b64 s[6:7], vcc, s[2:3]
	s_and_saveexec_b64 s[10:11], s[6:7]
	s_cbranch_execz .LBB1926_7
; %bb.6:                                ;   in Loop: Header=BB1926_5 Depth=1
	v_mad_i64_i32 v[4:5], s[2:3], v10, s19, 0
	v_lshlrev_b64 v[4:5], 4, v[4:5]
	v_add_co_u32_e64 v4, s[2:3], v24, v4
	v_addc_co_u32_e64 v5, s[2:3], v25, v5, s[2:3]
	flat_load_dwordx4 v[4:7], v[4:5]
.LBB1926_7:                             ;   in Loop: Header=BB1926_5 Depth=1
	s_or_b64 exec, exec, s[10:11]
	v_add_u32_e32 v11, s9, v0
	s_waitcnt vmcnt(0) lgkmcnt(0)
	ds_write_b128 v27, v[4:7]
	v_cmp_gt_i32_e64 s[2:3], s18, v11
	v_mov_b32_e32 v4, 0
	v_mov_b32_e32 v5, 0
	s_and_b64 s[10:11], s[0:1], s[2:3]
	s_and_saveexec_b64 s[16:17], s[10:11]
	s_cbranch_execz .LBB1926_9
; %bb.8:                                ;   in Loop: Header=BB1926_5 Depth=1
	v_mad_i64_i32 v[2:3], s[2:3], v11, s20, 0
	v_lshlrev_b64 v[2:3], 4, v[2:3]
	v_add_co_u32_e64 v2, s[2:3], v28, v2
	v_addc_co_u32_e64 v3, s[2:3], v29, v3, s[2:3]
	flat_load_dwordx4 v[2:5], v[2:3]
.LBB1926_9:                             ;   in Loop: Header=BB1926_5 Depth=1
	s_or_b64 exec, exec, s[16:17]
	s_waitcnt vmcnt(0) lgkmcnt(0)
	ds_write_b128 v31, v[2:5]
	s_waitcnt lgkmcnt(0)
	s_barrier
	s_and_saveexec_b64 s[2:3], s[4:5]
	s_cbranch_execz .LBB1926_11
; %bb.10:                               ;   in Loop: Header=BB1926_5 Depth=1
	ds_read_b128 v[6:9], v30
	ds_read_b128 v[12:15], v26
	ds_read_b128 v[16:19], v26 offset:16
	ds_read_b128 v[36:39], v26 offset:32
	;; [unrolled: 1-line block ×3, first 2 shown]
	s_waitcnt lgkmcnt(3)
	v_mul_f64 v[20:21], v[8:9], v[14:15]
	v_fma_f64 v[20:21], v[6:7], v[12:13], -v[20:21]
	v_mul_f64 v[6:7], v[6:7], v[14:15]
	v_fma_f64 v[6:7], v[8:9], v[12:13], v[6:7]
	v_add_f64 v[12:13], v[20:21], 0
	v_add_f64 v[14:15], v[6:7], 0
	ds_read_b128 v[6:9], v30 offset:512
	s_waitcnt lgkmcnt(0)
	v_mul_f64 v[20:21], v[8:9], v[18:19]
	v_fma_f64 v[20:21], v[6:7], v[16:17], -v[20:21]
	v_mul_f64 v[6:7], v[6:7], v[18:19]
	v_add_f64 v[12:13], v[12:13], v[20:21]
	v_fma_f64 v[6:7], v[8:9], v[16:17], v[6:7]
	v_add_f64 v[14:15], v[14:15], v[6:7]
	ds_read_b128 v[6:9], v30 offset:1024
	s_waitcnt lgkmcnt(0)
	v_mul_f64 v[16:17], v[8:9], v[38:39]
	v_fma_f64 v[16:17], v[6:7], v[36:37], -v[16:17]
	v_mul_f64 v[6:7], v[6:7], v[38:39]
	v_add_f64 v[12:13], v[12:13], v[16:17]
	v_fma_f64 v[6:7], v[8:9], v[36:37], v[6:7]
	v_add_f64 v[14:15], v[14:15], v[6:7]
	ds_read_b128 v[6:9], v30 offset:1536
	s_waitcnt lgkmcnt(0)
	v_mul_f64 v[16:17], v[8:9], v[4:5]
	v_mul_f64 v[4:5], v[6:7], v[4:5]
	v_fma_f64 v[16:17], v[6:7], v[2:3], -v[16:17]
	v_fma_f64 v[2:3], v[8:9], v[2:3], v[4:5]
	v_add_f64 v[12:13], v[12:13], v[16:17]
	v_add_f64 v[14:15], v[14:15], v[2:3]
	ds_read_b128 v[2:5], v30 offset:2048
	ds_read_b128 v[6:9], v26 offset:64
	s_waitcnt lgkmcnt(0)
	v_mul_f64 v[16:17], v[4:5], v[8:9]
	v_fma_f64 v[16:17], v[2:3], v[6:7], -v[16:17]
	v_mul_f64 v[2:3], v[2:3], v[8:9]
	v_add_f64 v[12:13], v[12:13], v[16:17]
	v_fma_f64 v[2:3], v[4:5], v[6:7], v[2:3]
	v_add_f64 v[14:15], v[14:15], v[2:3]
	ds_read_b128 v[2:5], v30 offset:2560
	ds_read_b128 v[6:9], v26 offset:80
	s_waitcnt lgkmcnt(0)
	v_mul_f64 v[16:17], v[4:5], v[8:9]
	v_fma_f64 v[16:17], v[2:3], v[6:7], -v[16:17]
	v_mul_f64 v[2:3], v[2:3], v[8:9]
	v_add_f64 v[12:13], v[12:13], v[16:17]
	v_fma_f64 v[2:3], v[4:5], v[6:7], v[2:3]
	;; [unrolled: 9-line block ×27, first 2 shown]
	v_add_f64 v[14:15], v[14:15], v[2:3]
	ds_read_b128 v[2:5], v30 offset:15872
	ds_read_b128 v[6:9], v26 offset:496
	s_waitcnt lgkmcnt(0)
	v_mul_f64 v[16:17], v[4:5], v[8:9]
	v_fma_f64 v[16:17], v[2:3], v[6:7], -v[16:17]
	v_mul_f64 v[2:3], v[2:3], v[8:9]
	v_fma_f64 v[2:3], v[4:5], v[6:7], v[2:3]
	v_add_f64 v[4:5], v[12:13], v[16:17]
	v_add_f64 v[2:3], v[14:15], v[2:3]
	v_mul_f64 v[6:7], s[14:15], v[2:3]
	v_mul_f64 v[2:3], s[12:13], v[2:3]
	v_fma_f64 v[6:7], s[12:13], v[4:5], -v[6:7]
	v_fma_f64 v[8:9], s[14:15], v[4:5], v[2:3]
	flat_load_dwordx4 v[2:5], v[22:23]
	s_waitcnt vmcnt(0) lgkmcnt(0)
	v_add_f64 v[2:3], v[2:3], v[6:7]
	v_add_f64 v[4:5], v[4:5], v[8:9]
	flat_store_dwordx4 v[22:23], v[2:5]
.LBB1926_11:                            ;   in Loop: Header=BB1926_5 Depth=1
	s_or_b64 exec, exec, s[2:3]
	v_mov_b32_e32 v4, 0
	v_mov_b32_e32 v8, 0
	;; [unrolled: 1-line block ×6, first 2 shown]
	s_waitcnt vmcnt(0) lgkmcnt(0)
	s_barrier
	s_and_saveexec_b64 s[16:17], s[6:7]
	s_cbranch_execz .LBB1926_13
; %bb.12:                               ;   in Loop: Header=BB1926_5 Depth=1
	v_mad_i64_i32 v[2:3], s[2:3], v10, s20, 0
	v_lshlrev_b64 v[2:3], 4, v[2:3]
	v_add_co_u32_e64 v2, s[2:3], v32, v2
	v_addc_co_u32_e64 v3, s[2:3], v33, v3, s[2:3]
	flat_load_dwordx4 v[6:9], v[2:3]
.LBB1926_13:                            ;   in Loop: Header=BB1926_5 Depth=1
	s_or_b64 exec, exec, s[16:17]
	v_mov_b32_e32 v2, 0
	v_mov_b32_e32 v3, 0
	s_waitcnt vmcnt(0) lgkmcnt(0)
	ds_write_b128 v27, v[6:9]
	s_and_saveexec_b64 s[6:7], s[10:11]
	s_cbranch_execz .LBB1926_15
; %bb.14:                               ;   in Loop: Header=BB1926_5 Depth=1
	v_mad_i64_i32 v[2:3], s[2:3], v11, s19, 0
	v_lshlrev_b64 v[2:3], 4, v[2:3]
	v_add_co_u32_e64 v2, s[2:3], v34, v2
	v_addc_co_u32_e64 v3, s[2:3], v35, v3, s[2:3]
	flat_load_dwordx4 v[2:5], v[2:3]
.LBB1926_15:                            ;   in Loop: Header=BB1926_5 Depth=1
	s_or_b64 exec, exec, s[6:7]
	s_waitcnt vmcnt(0) lgkmcnt(0)
	ds_write_b128 v31, v[2:5]
	s_waitcnt lgkmcnt(0)
	s_barrier
	s_and_saveexec_b64 s[2:3], s[4:5]
	s_cbranch_execz .LBB1926_4
; %bb.16:                               ;   in Loop: Header=BB1926_5 Depth=1
	ds_read_b128 v[2:5], v30
	ds_read_b128 v[6:9], v26
	ds_read_b128 v[10:13], v26 offset:16
	ds_read_b128 v[14:17], v30 offset:512
	;; [unrolled: 1-line block ×5, first 2 shown]
	s_waitcnt lgkmcnt(5)
	v_mul_f64 v[44:45], v[2:3], v[8:9]
	v_mul_f64 v[8:9], v[4:5], v[8:9]
	s_waitcnt lgkmcnt(3)
	v_mul_f64 v[46:47], v[16:17], v[12:13]
	v_mul_f64 v[12:13], v[14:15], v[12:13]
	;; [unrolled: 3-line block ×3, first 2 shown]
	v_fma_f64 v[44:45], v[4:5], v[6:7], v[44:45]
	v_fma_f64 v[48:49], v[2:3], v[6:7], -v[8:9]
	v_fma_f64 v[46:47], v[14:15], v[10:11], -v[46:47]
	v_fma_f64 v[52:53], v[16:17], v[10:11], v[12:13]
	ds_read_b128 v[2:5], v30 offset:1536
	ds_read_b128 v[6:9], v26 offset:64
	v_fma_f64 v[50:51], v[18:19], v[36:37], -v[50:51]
	v_fma_f64 v[56:57], v[20:21], v[36:37], v[38:39]
	ds_read_b128 v[10:13], v30 offset:2048
	ds_read_b128 v[14:17], v30 offset:2560
	v_add_f64 v[44:45], v[44:45], 0
	v_add_f64 v[48:49], v[48:49], 0
	s_waitcnt lgkmcnt(3)
	v_mul_f64 v[54:55], v[4:5], v[42:43]
	v_mul_f64 v[42:43], v[2:3], v[42:43]
	ds_read_b128 v[18:21], v26 offset:80
	ds_read_b128 v[36:39], v26 offset:96
	v_add_f64 v[44:45], v[44:45], v[52:53]
	v_add_f64 v[46:47], v[48:49], v[46:47]
	s_waitcnt lgkmcnt(3)
	v_mul_f64 v[48:49], v[12:13], v[8:9]
	v_mul_f64 v[8:9], v[10:11], v[8:9]
	v_fma_f64 v[52:53], v[2:3], v[40:41], -v[54:55]
	v_fma_f64 v[54:55], v[4:5], v[40:41], v[42:43]
	ds_read_b128 v[2:5], v30 offset:3072
	ds_read_b128 v[40:43], v30 offset:3584
	v_add_f64 v[44:45], v[44:45], v[56:57]
	v_add_f64 v[46:47], v[46:47], v[50:51]
	s_waitcnt lgkmcnt(3)
	v_mul_f64 v[50:51], v[16:17], v[20:21]
	v_mul_f64 v[20:21], v[14:15], v[20:21]
	v_fma_f64 v[48:49], v[10:11], v[6:7], -v[48:49]
	v_fma_f64 v[56:57], v[12:13], v[6:7], v[8:9]
	;; [unrolled: 9-line block ×15, first 2 shown]
	s_waitcnt lgkmcnt(1)
	v_mul_f64 v[54:55], v[42:43], v[8:9]
	v_mul_f64 v[56:57], v[40:41], v[8:9]
	v_add_f64 v[20:21], v[44:45], v[16:17]
	v_add_f64 v[48:49], v[46:47], v[48:49]
	v_fma_f64 v[52:53], v[2:3], v[36:37], -v[52:53]
	v_fma_f64 v[36:37], v[4:5], v[36:37], v[38:39]
	ds_read_b128 v[16:19], v30 offset:10240
	ds_read_b128 v[44:47], v30 offset:10752
	v_add_f64 v[20:21], v[20:21], v[10:11]
	v_add_f64 v[38:39], v[48:49], v[50:51]
	s_waitcnt lgkmcnt(1)
	v_mul_f64 v[48:49], v[18:19], v[14:15]
	v_mul_f64 v[14:15], v[16:17], v[14:15]
	v_fma_f64 v[50:51], v[40:41], v[6:7], -v[54:55]
	v_fma_f64 v[6:7], v[42:43], v[6:7], v[56:57]
	ds_read_b128 v[2:5], v26 offset:336
	ds_read_b128 v[8:11], v26 offset:352
	v_add_f64 v[20:21], v[20:21], v[36:37]
	v_add_f64 v[52:53], v[38:39], v[52:53]
	s_waitcnt lgkmcnt(1)
	v_mul_f64 v[54:55], v[46:47], v[4:5]
	v_mul_f64 v[4:5], v[44:45], v[4:5]
	;; [unrolled: 9-line block ×3, first 2 shown]
	v_fma_f64 v[52:53], v[44:45], v[2:3], -v[54:55]
	v_fma_f64 v[54:55], v[46:47], v[2:3], v[4:5]
	ds_read_b128 v[14:17], v26 offset:368
	ds_read_b128 v[48:51], v26 offset:384
	;; [unrolled: 1-line block ×4, first 2 shown]
	v_add_f64 v[6:7], v[6:7], v[12:13]
	v_add_f64 v[12:13], v[18:19], v[56:57]
	s_waitcnt lgkmcnt(3)
	v_mul_f64 v[18:19], v[42:43], v[16:17]
	v_mul_f64 v[16:17], v[40:41], v[16:17]
	v_fma_f64 v[20:21], v[36:37], v[8:9], -v[20:21]
	v_fma_f64 v[36:37], v[38:39], v[8:9], v[10:11]
	v_add_f64 v[38:39], v[6:7], v[54:55]
	v_add_f64 v[52:53], v[12:13], v[52:53]
	s_waitcnt lgkmcnt(1)
	v_mul_f64 v[54:55], v[46:47], v[50:51]
	v_mul_f64 v[50:51], v[44:45], v[50:51]
	v_fma_f64 v[40:41], v[40:41], v[14:15], -v[18:19]
	v_fma_f64 v[42:43], v[42:43], v[14:15], v[16:17]
	ds_read_b128 v[6:9], v26 offset:400
	ds_read_b128 v[10:13], v26 offset:416
	v_add_f64 v[36:37], v[38:39], v[36:37]
	v_add_f64 v[38:39], v[52:53], v[20:21]
	s_waitcnt lgkmcnt(1)
	v_mul_f64 v[52:53], v[4:5], v[8:9]
	v_mul_f64 v[8:9], v[2:3], v[8:9]
	v_fma_f64 v[44:45], v[44:45], v[48:49], -v[54:55]
	v_fma_f64 v[46:47], v[46:47], v[48:49], v[50:51]
	ds_read_b128 v[14:17], v30 offset:13312
	ds_read_b128 v[18:21], v30 offset:13824
	v_add_f64 v[48:49], v[36:37], v[42:43]
	v_add_f64 v[50:51], v[38:39], v[40:41]
	flat_load_dwordx4 v[40:43], v[22:23]
	s_waitcnt lgkmcnt(0)
	v_mul_f64 v[54:55], v[16:17], v[12:13]
	v_mul_f64 v[12:13], v[14:15], v[12:13]
	v_fma_f64 v[52:53], v[2:3], v[6:7], -v[52:53]
	v_fma_f64 v[56:57], v[4:5], v[6:7], v[8:9]
	ds_read_b128 v[36:39], v26 offset:432
	v_add_f64 v[46:47], v[48:49], v[46:47]
	v_add_f64 v[44:45], v[50:51], v[44:45]
	ds_read_b128 v[2:5], v26 offset:448
	ds_read_b128 v[6:9], v30 offset:14336
	v_fma_f64 v[50:51], v[14:15], v[10:11], -v[54:55]
	s_waitcnt lgkmcnt(0)
	v_mul_f64 v[48:49], v[20:21], v[38:39]
	v_mul_f64 v[38:39], v[18:19], v[38:39]
	v_fma_f64 v[54:55], v[16:17], v[10:11], v[12:13]
	ds_read_b128 v[10:13], v30 offset:14848
	ds_read_b128 v[14:17], v26 offset:464
	v_add_f64 v[46:47], v[46:47], v[56:57]
	v_add_f64 v[44:45], v[44:45], v[52:53]
	v_mul_f64 v[52:53], v[8:9], v[4:5]
	v_mul_f64 v[4:5], v[6:7], v[4:5]
	v_fma_f64 v[48:49], v[18:19], v[36:37], -v[48:49]
	v_fma_f64 v[56:57], v[20:21], v[36:37], v[38:39]
	ds_read_b128 v[18:21], v26 offset:480
	ds_read_b128 v[36:39], v30 offset:15360
	v_add_f64 v[46:47], v[46:47], v[54:55]
	v_add_f64 v[44:45], v[44:45], v[50:51]
	s_waitcnt lgkmcnt(0)
	v_mul_f64 v[50:51], v[12:13], v[16:17]
	v_mul_f64 v[16:17], v[10:11], v[16:17]
	v_fma_f64 v[52:53], v[6:7], v[2:3], -v[52:53]
	v_fma_f64 v[54:55], v[8:9], v[2:3], v[4:5]
	ds_read_b128 v[2:5], v30 offset:15872
	ds_read_b128 v[6:9], v26 offset:496
	v_add_f64 v[46:47], v[46:47], v[56:57]
	v_add_f64 v[44:45], v[44:45], v[48:49]
	v_mul_f64 v[48:49], v[38:39], v[20:21]
	v_mul_f64 v[20:21], v[36:37], v[20:21]
	v_fma_f64 v[10:11], v[10:11], v[14:15], -v[50:51]
	v_fma_f64 v[12:13], v[12:13], v[14:15], v[16:17]
	v_add_f64 v[14:15], v[46:47], v[54:55]
	v_add_f64 v[16:17], v[44:45], v[52:53]
	s_waitcnt lgkmcnt(0)
	v_mul_f64 v[44:45], v[4:5], v[8:9]
	v_mul_f64 v[8:9], v[2:3], v[8:9]
	v_fma_f64 v[36:37], v[36:37], v[18:19], -v[48:49]
	v_fma_f64 v[18:19], v[38:39], v[18:19], v[20:21]
	v_add_f64 v[12:13], v[14:15], v[12:13]
	v_add_f64 v[10:11], v[16:17], v[10:11]
	v_fma_f64 v[2:3], v[2:3], v[6:7], -v[44:45]
	v_fma_f64 v[4:5], v[4:5], v[6:7], v[8:9]
	v_add_f64 v[6:7], v[12:13], v[18:19]
	v_add_f64 v[8:9], v[10:11], v[36:37]
	;; [unrolled: 1-line block ×4, first 2 shown]
	v_mul_f64 v[6:7], s[14:15], v[4:5]
	v_mul_f64 v[8:9], s[14:15], v[2:3]
	v_fma_f64 v[2:3], s[12:13], v[2:3], -v[6:7]
	v_fma_f64 v[4:5], s[12:13], v[4:5], v[8:9]
	s_waitcnt vmcnt(0)
	v_add_f64 v[2:3], v[40:41], v[2:3]
	v_add_f64 v[4:5], v[42:43], v[4:5]
	flat_store_dwordx4 v[22:23], v[2:5]
	s_branch .LBB1926_4
.LBB1926_17:
	s_endpgm
	.section	.rodata,"a",@progbits
	.p2align	6, 0x0
	.amdhsa_kernel _ZL26rocblas_syr2k_her2k_kernelIiLb1ELb0ELb0ELi32EPK19rocblas_complex_numIdEPKS3_PKPS1_EvbiT_T4_T5_S9_lSB_S9_lT6_S9_li
		.amdhsa_group_segment_fixed_size 32768
		.amdhsa_private_segment_fixed_size 0
		.amdhsa_kernarg_size 100
		.amdhsa_user_sgpr_count 6
		.amdhsa_user_sgpr_private_segment_buffer 1
		.amdhsa_user_sgpr_dispatch_ptr 0
		.amdhsa_user_sgpr_queue_ptr 0
		.amdhsa_user_sgpr_kernarg_segment_ptr 1
		.amdhsa_user_sgpr_dispatch_id 0
		.amdhsa_user_sgpr_flat_scratch_init 0
		.amdhsa_user_sgpr_private_segment_size 0
		.amdhsa_uses_dynamic_stack 0
		.amdhsa_system_sgpr_private_segment_wavefront_offset 0
		.amdhsa_system_sgpr_workgroup_id_x 1
		.amdhsa_system_sgpr_workgroup_id_y 1
		.amdhsa_system_sgpr_workgroup_id_z 1
		.amdhsa_system_sgpr_workgroup_info 0
		.amdhsa_system_vgpr_workitem_id 1
		.amdhsa_next_free_vgpr 58
		.amdhsa_next_free_sgpr 61
		.amdhsa_reserve_vcc 1
		.amdhsa_reserve_flat_scratch 0
		.amdhsa_float_round_mode_32 0
		.amdhsa_float_round_mode_16_64 0
		.amdhsa_float_denorm_mode_32 3
		.amdhsa_float_denorm_mode_16_64 3
		.amdhsa_dx10_clamp 1
		.amdhsa_ieee_mode 1
		.amdhsa_fp16_overflow 0
		.amdhsa_exception_fp_ieee_invalid_op 0
		.amdhsa_exception_fp_denorm_src 0
		.amdhsa_exception_fp_ieee_div_zero 0
		.amdhsa_exception_fp_ieee_overflow 0
		.amdhsa_exception_fp_ieee_underflow 0
		.amdhsa_exception_fp_ieee_inexact 0
		.amdhsa_exception_int_div_zero 0
	.end_amdhsa_kernel
	.section	.text._ZL26rocblas_syr2k_her2k_kernelIiLb1ELb0ELb0ELi32EPK19rocblas_complex_numIdEPKS3_PKPS1_EvbiT_T4_T5_S9_lSB_S9_lT6_S9_li,"axG",@progbits,_ZL26rocblas_syr2k_her2k_kernelIiLb1ELb0ELb0ELi32EPK19rocblas_complex_numIdEPKS3_PKPS1_EvbiT_T4_T5_S9_lSB_S9_lT6_S9_li,comdat
.Lfunc_end1926:
	.size	_ZL26rocblas_syr2k_her2k_kernelIiLb1ELb0ELb0ELi32EPK19rocblas_complex_numIdEPKS3_PKPS1_EvbiT_T4_T5_S9_lSB_S9_lT6_S9_li, .Lfunc_end1926-_ZL26rocblas_syr2k_her2k_kernelIiLb1ELb0ELb0ELi32EPK19rocblas_complex_numIdEPKS3_PKPS1_EvbiT_T4_T5_S9_lSB_S9_lT6_S9_li
                                        ; -- End function
	.set _ZL26rocblas_syr2k_her2k_kernelIiLb1ELb0ELb0ELi32EPK19rocblas_complex_numIdEPKS3_PKPS1_EvbiT_T4_T5_S9_lSB_S9_lT6_S9_li.num_vgpr, 58
	.set _ZL26rocblas_syr2k_her2k_kernelIiLb1ELb0ELb0ELi32EPK19rocblas_complex_numIdEPKS3_PKPS1_EvbiT_T4_T5_S9_lSB_S9_lT6_S9_li.num_agpr, 0
	.set _ZL26rocblas_syr2k_her2k_kernelIiLb1ELb0ELb0ELi32EPK19rocblas_complex_numIdEPKS3_PKPS1_EvbiT_T4_T5_S9_lSB_S9_lT6_S9_li.numbered_sgpr, 32
	.set _ZL26rocblas_syr2k_her2k_kernelIiLb1ELb0ELb0ELi32EPK19rocblas_complex_numIdEPKS3_PKPS1_EvbiT_T4_T5_S9_lSB_S9_lT6_S9_li.num_named_barrier, 0
	.set _ZL26rocblas_syr2k_her2k_kernelIiLb1ELb0ELb0ELi32EPK19rocblas_complex_numIdEPKS3_PKPS1_EvbiT_T4_T5_S9_lSB_S9_lT6_S9_li.private_seg_size, 0
	.set _ZL26rocblas_syr2k_her2k_kernelIiLb1ELb0ELb0ELi32EPK19rocblas_complex_numIdEPKS3_PKPS1_EvbiT_T4_T5_S9_lSB_S9_lT6_S9_li.uses_vcc, 1
	.set _ZL26rocblas_syr2k_her2k_kernelIiLb1ELb0ELb0ELi32EPK19rocblas_complex_numIdEPKS3_PKPS1_EvbiT_T4_T5_S9_lSB_S9_lT6_S9_li.uses_flat_scratch, 0
	.set _ZL26rocblas_syr2k_her2k_kernelIiLb1ELb0ELb0ELi32EPK19rocblas_complex_numIdEPKS3_PKPS1_EvbiT_T4_T5_S9_lSB_S9_lT6_S9_li.has_dyn_sized_stack, 0
	.set _ZL26rocblas_syr2k_her2k_kernelIiLb1ELb0ELb0ELi32EPK19rocblas_complex_numIdEPKS3_PKPS1_EvbiT_T4_T5_S9_lSB_S9_lT6_S9_li.has_recursion, 0
	.set _ZL26rocblas_syr2k_her2k_kernelIiLb1ELb0ELb0ELi32EPK19rocblas_complex_numIdEPKS3_PKPS1_EvbiT_T4_T5_S9_lSB_S9_lT6_S9_li.has_indirect_call, 0
	.section	.AMDGPU.csdata,"",@progbits
; Kernel info:
; codeLenInByte = 5396
; TotalNumSgprs: 36
; NumVgprs: 58
; ScratchSize: 0
; MemoryBound: 1
; FloatMode: 240
; IeeeMode: 1
; LDSByteSize: 32768 bytes/workgroup (compile time only)
; SGPRBlocks: 8
; VGPRBlocks: 14
; NumSGPRsForWavesPerEU: 65
; NumVGPRsForWavesPerEU: 58
; Occupancy: 4
; WaveLimiterHint : 1
; COMPUTE_PGM_RSRC2:SCRATCH_EN: 0
; COMPUTE_PGM_RSRC2:USER_SGPR: 6
; COMPUTE_PGM_RSRC2:TRAP_HANDLER: 0
; COMPUTE_PGM_RSRC2:TGID_X_EN: 1
; COMPUTE_PGM_RSRC2:TGID_Y_EN: 1
; COMPUTE_PGM_RSRC2:TGID_Z_EN: 1
; COMPUTE_PGM_RSRC2:TIDIG_COMP_CNT: 1
	.section	.text._ZL26rocblas_syr2k_her2k_kernelIiLb1ELb0ELb1ELi32EPK19rocblas_complex_numIdEPKS3_PKPS1_EvbiT_T4_T5_S9_lSB_S9_lT6_S9_li,"axG",@progbits,_ZL26rocblas_syr2k_her2k_kernelIiLb1ELb0ELb1ELi32EPK19rocblas_complex_numIdEPKS3_PKPS1_EvbiT_T4_T5_S9_lSB_S9_lT6_S9_li,comdat
	.globl	_ZL26rocblas_syr2k_her2k_kernelIiLb1ELb0ELb1ELi32EPK19rocblas_complex_numIdEPKS3_PKPS1_EvbiT_T4_T5_S9_lSB_S9_lT6_S9_li ; -- Begin function _ZL26rocblas_syr2k_her2k_kernelIiLb1ELb0ELb1ELi32EPK19rocblas_complex_numIdEPKS3_PKPS1_EvbiT_T4_T5_S9_lSB_S9_lT6_S9_li
	.p2align	8
	.type	_ZL26rocblas_syr2k_her2k_kernelIiLb1ELb0ELb1ELi32EPK19rocblas_complex_numIdEPKS3_PKPS1_EvbiT_T4_T5_S9_lSB_S9_lT6_S9_li,@function
_ZL26rocblas_syr2k_her2k_kernelIiLb1ELb0ELb1ELi32EPK19rocblas_complex_numIdEPKS3_PKPS1_EvbiT_T4_T5_S9_lSB_S9_lT6_S9_li: ; @_ZL26rocblas_syr2k_her2k_kernelIiLb1ELb0ELb1ELi32EPK19rocblas_complex_numIdEPKS3_PKPS1_EvbiT_T4_T5_S9_lSB_S9_lT6_S9_li
; %bb.0:
	s_load_dwordx4 s[0:3], s[4:5], 0x10
	s_waitcnt lgkmcnt(0)
	s_load_dwordx4 s[12:15], s[0:1], 0x0
	s_waitcnt lgkmcnt(0)
	v_cmp_eq_f64_e64 s[0:1], s[12:13], 0
	v_cmp_eq_f64_e64 s[10:11], s[14:15], 0
	s_and_b64 s[0:1], s[0:1], s[10:11]
	s_and_b64 vcc, exec, s[0:1]
	s_cbranch_vccnz .LBB1927_17
; %bb.1:
	s_load_dwordx4 s[16:19], s[4:5], 0x0
	s_lshl_b32 s0, s7, 5
	s_lshl_b32 s1, s6, 5
	s_waitcnt lgkmcnt(0)
	s_and_b32 s6, 1, s16
	s_cmp_eq_u32 s6, 1
	s_cselect_b64 vcc, -1, 0
	s_and_b64 s[6:7], vcc, exec
	s_cselect_b32 s6, s1, s0
	s_cselect_b32 s7, s0, s1
	s_cmp_gt_i32 s6, s7
	s_cbranch_scc1 .LBB1927_17
; %bb.2:
	s_cmp_lt_i32 s18, 1
	s_cbranch_scc1 .LBB1927_17
; %bb.3:
	s_mov_b32 s9, 0
	s_load_dword s16, s[4:5], 0x20
	s_load_dwordx4 s[20:23], s[4:5], 0x28
	s_load_dword s19, s[4:5], 0x38
	s_load_dwordx4 s[24:27], s[4:5], 0x40
	s_load_dword s28, s[4:5], 0x50
	s_load_dwordx2 s[6:7], s[4:5], 0x58
	s_lshl_b64 s[4:5], s[8:9], 3
	s_add_u32 s2, s2, s4
	s_addc_u32 s3, s3, s5
	s_load_dwordx2 s[2:3], s[2:3], 0x0
	v_add_u32_e32 v2, s1, v0
	s_waitcnt lgkmcnt(0)
	s_add_u32 s10, s22, s4
	v_add_u32_e32 v7, s0, v1
	v_mad_i64_i32 v[4:5], s[0:1], s16, v2, 0
	s_addc_u32 s11, s23, s5
	s_add_u32 s4, s26, s4
	s_addc_u32 s5, s27, s5
	s_lshl_b64 s[20:21], s[20:21], 4
	s_add_u32 s8, s2, s20
	v_lshlrev_b64 v[4:5], 4, v[4:5]
	s_load_dwordx2 s[10:11], s[10:11], 0x0
	s_addc_u32 s20, s3, s21
	v_mov_b32_e32 v9, s20
	v_add_co_u32_e64 v24, s[0:1], s8, v4
	s_load_dwordx2 s[4:5], s[4:5], 0x0
	v_addc_co_u32_e64 v25, s[0:1], v9, v5, s[0:1]
	v_mad_i64_i32 v[4:5], s[0:1], s19, v7, 0
	s_lshl_b64 s[2:3], s[24:25], 4
	s_waitcnt lgkmcnt(0)
	s_add_u32 s10, s10, s2
	s_addc_u32 s11, s11, s3
	s_lshl_b64 s[2:3], s[6:7], 4
	v_lshlrev_b64 v[4:5], 4, v[4:5]
	s_add_u32 s6, s4, s2
	s_addc_u32 s7, s5, s3
	v_mov_b32_e32 v10, s11
	v_add_co_u32_e64 v28, s[2:3], s10, v4
	v_addc_co_u32_e64 v29, s[2:3], v10, v5, s[2:3]
	v_mad_i64_i32 v[4:5], s[2:3], s28, v7, 0
	v_cndmask_b32_e32 v6, v2, v7, vcc
	v_cndmask_b32_e32 v8, v7, v2, vcc
	v_cmp_gt_i32_e32 vcc, s17, v2
	v_cmp_gt_i32_e64 s[0:1], s17, v7
	v_lshlrev_b64 v[4:5], 4, v[4:5]
	v_cmp_le_i32_e64 s[2:3], v8, v6
	s_and_b64 s[4:5], s[0:1], vcc
	v_lshlrev_b32_e32 v26, 9, v0
	v_lshlrev_b32_e32 v9, 4, v1
	s_and_b64 s[4:5], s[4:5], s[2:3]
	v_mov_b32_e32 v6, s7
	v_add_co_u32_e64 v8, s[2:3], s6, v4
	v_ashrrev_i32_e32 v3, 31, v2
	v_add_u32_e32 v27, v26, v9
	v_or_b32_e32 v30, 0x4000, v9
	v_addc_co_u32_e64 v9, s[2:3], v6, v5, s[2:3]
	v_mad_i64_i32 v[5:6], s[2:3], s19, v2, 0
	v_lshlrev_b64 v[3:4], 4, v[2:3]
	v_add_u32_e32 v31, v30, v26
	v_add_co_u32_e64 v22, s[2:3], v8, v3
	v_addc_co_u32_e64 v23, s[2:3], v9, v4, s[2:3]
	v_lshlrev_b64 v[2:3], 4, v[5:6]
	v_mad_i64_i32 v[4:5], s[2:3], s16, v7, 0
	v_mov_b32_e32 v6, s11
	v_add_co_u32_e64 v32, s[2:3], s10, v2
	v_addc_co_u32_e64 v33, s[2:3], v6, v3, s[2:3]
	v_lshlrev_b64 v[2:3], 4, v[4:5]
	v_mov_b32_e32 v4, s20
	v_add_co_u32_e64 v34, s[2:3], s8, v2
	v_addc_co_u32_e64 v35, s[2:3], v4, v3, s[2:3]
	s_branch .LBB1927_5
.LBB1927_4:                             ;   in Loop: Header=BB1927_5 Depth=1
	s_or_b64 exec, exec, s[2:3]
	s_add_i32 s9, s9, 32
	s_cmp_lt_i32 s9, s18
	s_waitcnt vmcnt(0) lgkmcnt(0)
	s_barrier
	s_cbranch_scc0 .LBB1927_17
.LBB1927_5:                             ; =>This Inner Loop Header: Depth=1
	v_add_u32_e32 v10, s9, v1
	v_cmp_gt_i32_e64 s[2:3], s18, v10
	v_mov_b32_e32 v2, 0
	v_mov_b32_e32 v4, 0
	;; [unrolled: 1-line block ×6, first 2 shown]
	s_and_b64 s[6:7], vcc, s[2:3]
	s_and_saveexec_b64 s[10:11], s[6:7]
	s_cbranch_execz .LBB1927_7
; %bb.6:                                ;   in Loop: Header=BB1927_5 Depth=1
	v_ashrrev_i32_e32 v11, 31, v10
	v_lshlrev_b64 v[4:5], 4, v[10:11]
	v_add_co_u32_e64 v4, s[2:3], v24, v4
	v_addc_co_u32_e64 v5, s[2:3], v25, v5, s[2:3]
	flat_load_dwordx4 v[4:7], v[4:5]
.LBB1927_7:                             ;   in Loop: Header=BB1927_5 Depth=1
	s_or_b64 exec, exec, s[10:11]
	v_add_u32_e32 v12, s9, v0
	s_waitcnt vmcnt(0) lgkmcnt(0)
	ds_write_b128 v27, v[4:7]
	v_cmp_gt_i32_e64 s[2:3], s18, v12
	v_mov_b32_e32 v4, 0
	v_mov_b32_e32 v5, 0
	s_and_b64 s[10:11], s[0:1], s[2:3]
	s_and_saveexec_b64 s[16:17], s[10:11]
	s_cbranch_execz .LBB1927_9
; %bb.8:                                ;   in Loop: Header=BB1927_5 Depth=1
	v_ashrrev_i32_e32 v13, 31, v12
	v_lshlrev_b64 v[2:3], 4, v[12:13]
	v_add_co_u32_e64 v2, s[2:3], v28, v2
	v_addc_co_u32_e64 v3, s[2:3], v29, v3, s[2:3]
	flat_load_dwordx4 v[2:5], v[2:3]
.LBB1927_9:                             ;   in Loop: Header=BB1927_5 Depth=1
	s_or_b64 exec, exec, s[16:17]
	s_waitcnt vmcnt(0) lgkmcnt(0)
	ds_write_b128 v31, v[2:5]
	s_waitcnt lgkmcnt(0)
	s_barrier
	s_and_saveexec_b64 s[2:3], s[4:5]
	s_cbranch_execz .LBB1927_11
; %bb.10:                               ;   in Loop: Header=BB1927_5 Depth=1
	ds_read_b128 v[6:9], v30
	ds_read_b128 v[13:16], v26
	ds_read_b128 v[17:20], v26 offset:16
	ds_read_b128 v[36:39], v26 offset:32
	;; [unrolled: 1-line block ×3, first 2 shown]
	s_waitcnt lgkmcnt(3)
	v_mul_f64 v[40:41], v[8:9], v[15:16]
	v_fma_f64 v[40:41], v[6:7], v[13:14], -v[40:41]
	v_mul_f64 v[6:7], v[6:7], v[15:16]
	v_fma_f64 v[6:7], v[8:9], v[13:14], v[6:7]
	v_add_f64 v[13:14], v[40:41], 0
	v_add_f64 v[15:16], v[6:7], 0
	ds_read_b128 v[6:9], v30 offset:512
	s_waitcnt lgkmcnt(0)
	v_mul_f64 v[40:41], v[8:9], v[19:20]
	v_fma_f64 v[40:41], v[6:7], v[17:18], -v[40:41]
	v_mul_f64 v[6:7], v[6:7], v[19:20]
	v_add_f64 v[13:14], v[13:14], v[40:41]
	v_fma_f64 v[6:7], v[8:9], v[17:18], v[6:7]
	v_add_f64 v[15:16], v[15:16], v[6:7]
	ds_read_b128 v[6:9], v30 offset:1024
	s_waitcnt lgkmcnt(0)
	v_mul_f64 v[17:18], v[8:9], v[38:39]
	v_fma_f64 v[17:18], v[6:7], v[36:37], -v[17:18]
	v_mul_f64 v[6:7], v[6:7], v[38:39]
	v_add_f64 v[13:14], v[13:14], v[17:18]
	v_fma_f64 v[6:7], v[8:9], v[36:37], v[6:7]
	v_add_f64 v[15:16], v[15:16], v[6:7]
	ds_read_b128 v[6:9], v30 offset:1536
	s_waitcnt lgkmcnt(0)
	v_mul_f64 v[17:18], v[8:9], v[4:5]
	v_mul_f64 v[4:5], v[6:7], v[4:5]
	v_fma_f64 v[17:18], v[6:7], v[2:3], -v[17:18]
	v_fma_f64 v[2:3], v[8:9], v[2:3], v[4:5]
	v_add_f64 v[13:14], v[13:14], v[17:18]
	v_add_f64 v[15:16], v[15:16], v[2:3]
	ds_read_b128 v[2:5], v30 offset:2048
	ds_read_b128 v[6:9], v26 offset:64
	s_waitcnt lgkmcnt(0)
	v_mul_f64 v[17:18], v[4:5], v[8:9]
	v_fma_f64 v[17:18], v[2:3], v[6:7], -v[17:18]
	v_mul_f64 v[2:3], v[2:3], v[8:9]
	v_add_f64 v[13:14], v[13:14], v[17:18]
	v_fma_f64 v[2:3], v[4:5], v[6:7], v[2:3]
	v_add_f64 v[15:16], v[15:16], v[2:3]
	ds_read_b128 v[2:5], v30 offset:2560
	ds_read_b128 v[6:9], v26 offset:80
	s_waitcnt lgkmcnt(0)
	v_mul_f64 v[17:18], v[4:5], v[8:9]
	v_fma_f64 v[17:18], v[2:3], v[6:7], -v[17:18]
	v_mul_f64 v[2:3], v[2:3], v[8:9]
	v_add_f64 v[13:14], v[13:14], v[17:18]
	v_fma_f64 v[2:3], v[4:5], v[6:7], v[2:3]
	v_add_f64 v[15:16], v[15:16], v[2:3]
	ds_read_b128 v[2:5], v30 offset:3072
	ds_read_b128 v[6:9], v26 offset:96
	s_waitcnt lgkmcnt(0)
	v_mul_f64 v[17:18], v[4:5], v[8:9]
	v_fma_f64 v[17:18], v[2:3], v[6:7], -v[17:18]
	v_mul_f64 v[2:3], v[2:3], v[8:9]
	v_add_f64 v[13:14], v[13:14], v[17:18]
	v_fma_f64 v[2:3], v[4:5], v[6:7], v[2:3]
	v_add_f64 v[15:16], v[15:16], v[2:3]
	ds_read_b128 v[2:5], v30 offset:3584
	ds_read_b128 v[6:9], v26 offset:112
	s_waitcnt lgkmcnt(0)
	v_mul_f64 v[17:18], v[4:5], v[8:9]
	v_fma_f64 v[17:18], v[2:3], v[6:7], -v[17:18]
	v_mul_f64 v[2:3], v[2:3], v[8:9]
	v_add_f64 v[13:14], v[13:14], v[17:18]
	v_fma_f64 v[2:3], v[4:5], v[6:7], v[2:3]
	v_add_f64 v[15:16], v[15:16], v[2:3]
	ds_read_b128 v[2:5], v30 offset:4096
	ds_read_b128 v[6:9], v26 offset:128
	s_waitcnt lgkmcnt(0)
	v_mul_f64 v[17:18], v[4:5], v[8:9]
	v_fma_f64 v[17:18], v[2:3], v[6:7], -v[17:18]
	v_mul_f64 v[2:3], v[2:3], v[8:9]
	v_add_f64 v[13:14], v[13:14], v[17:18]
	v_fma_f64 v[2:3], v[4:5], v[6:7], v[2:3]
	v_add_f64 v[15:16], v[15:16], v[2:3]
	ds_read_b128 v[2:5], v30 offset:4608
	ds_read_b128 v[6:9], v26 offset:144
	s_waitcnt lgkmcnt(0)
	v_mul_f64 v[17:18], v[4:5], v[8:9]
	v_fma_f64 v[17:18], v[2:3], v[6:7], -v[17:18]
	v_mul_f64 v[2:3], v[2:3], v[8:9]
	v_add_f64 v[13:14], v[13:14], v[17:18]
	v_fma_f64 v[2:3], v[4:5], v[6:7], v[2:3]
	v_add_f64 v[15:16], v[15:16], v[2:3]
	ds_read_b128 v[2:5], v30 offset:5120
	ds_read_b128 v[6:9], v26 offset:160
	s_waitcnt lgkmcnt(0)
	v_mul_f64 v[17:18], v[4:5], v[8:9]
	v_fma_f64 v[17:18], v[2:3], v[6:7], -v[17:18]
	v_mul_f64 v[2:3], v[2:3], v[8:9]
	v_add_f64 v[13:14], v[13:14], v[17:18]
	v_fma_f64 v[2:3], v[4:5], v[6:7], v[2:3]
	v_add_f64 v[15:16], v[15:16], v[2:3]
	ds_read_b128 v[2:5], v30 offset:5632
	ds_read_b128 v[6:9], v26 offset:176
	s_waitcnt lgkmcnt(0)
	v_mul_f64 v[17:18], v[4:5], v[8:9]
	v_fma_f64 v[17:18], v[2:3], v[6:7], -v[17:18]
	v_mul_f64 v[2:3], v[2:3], v[8:9]
	v_add_f64 v[13:14], v[13:14], v[17:18]
	v_fma_f64 v[2:3], v[4:5], v[6:7], v[2:3]
	v_add_f64 v[15:16], v[15:16], v[2:3]
	ds_read_b128 v[2:5], v30 offset:6144
	ds_read_b128 v[6:9], v26 offset:192
	s_waitcnt lgkmcnt(0)
	v_mul_f64 v[17:18], v[4:5], v[8:9]
	v_fma_f64 v[17:18], v[2:3], v[6:7], -v[17:18]
	v_mul_f64 v[2:3], v[2:3], v[8:9]
	v_add_f64 v[13:14], v[13:14], v[17:18]
	v_fma_f64 v[2:3], v[4:5], v[6:7], v[2:3]
	v_add_f64 v[15:16], v[15:16], v[2:3]
	ds_read_b128 v[2:5], v30 offset:6656
	ds_read_b128 v[6:9], v26 offset:208
	s_waitcnt lgkmcnt(0)
	v_mul_f64 v[17:18], v[4:5], v[8:9]
	v_fma_f64 v[17:18], v[2:3], v[6:7], -v[17:18]
	v_mul_f64 v[2:3], v[2:3], v[8:9]
	v_add_f64 v[13:14], v[13:14], v[17:18]
	v_fma_f64 v[2:3], v[4:5], v[6:7], v[2:3]
	v_add_f64 v[15:16], v[15:16], v[2:3]
	ds_read_b128 v[2:5], v30 offset:7168
	ds_read_b128 v[6:9], v26 offset:224
	s_waitcnt lgkmcnt(0)
	v_mul_f64 v[17:18], v[4:5], v[8:9]
	v_fma_f64 v[17:18], v[2:3], v[6:7], -v[17:18]
	v_mul_f64 v[2:3], v[2:3], v[8:9]
	v_add_f64 v[13:14], v[13:14], v[17:18]
	v_fma_f64 v[2:3], v[4:5], v[6:7], v[2:3]
	v_add_f64 v[15:16], v[15:16], v[2:3]
	ds_read_b128 v[2:5], v30 offset:7680
	ds_read_b128 v[6:9], v26 offset:240
	s_waitcnt lgkmcnt(0)
	v_mul_f64 v[17:18], v[4:5], v[8:9]
	v_fma_f64 v[17:18], v[2:3], v[6:7], -v[17:18]
	v_mul_f64 v[2:3], v[2:3], v[8:9]
	v_add_f64 v[13:14], v[13:14], v[17:18]
	v_fma_f64 v[2:3], v[4:5], v[6:7], v[2:3]
	v_add_f64 v[15:16], v[15:16], v[2:3]
	ds_read_b128 v[2:5], v30 offset:8192
	ds_read_b128 v[6:9], v26 offset:256
	s_waitcnt lgkmcnt(0)
	v_mul_f64 v[17:18], v[4:5], v[8:9]
	v_fma_f64 v[17:18], v[2:3], v[6:7], -v[17:18]
	v_mul_f64 v[2:3], v[2:3], v[8:9]
	v_add_f64 v[13:14], v[13:14], v[17:18]
	v_fma_f64 v[2:3], v[4:5], v[6:7], v[2:3]
	v_add_f64 v[15:16], v[15:16], v[2:3]
	ds_read_b128 v[2:5], v30 offset:8704
	ds_read_b128 v[6:9], v26 offset:272
	s_waitcnt lgkmcnt(0)
	v_mul_f64 v[17:18], v[4:5], v[8:9]
	v_fma_f64 v[17:18], v[2:3], v[6:7], -v[17:18]
	v_mul_f64 v[2:3], v[2:3], v[8:9]
	v_add_f64 v[13:14], v[13:14], v[17:18]
	v_fma_f64 v[2:3], v[4:5], v[6:7], v[2:3]
	v_add_f64 v[15:16], v[15:16], v[2:3]
	ds_read_b128 v[2:5], v30 offset:9216
	ds_read_b128 v[6:9], v26 offset:288
	s_waitcnt lgkmcnt(0)
	v_mul_f64 v[17:18], v[4:5], v[8:9]
	v_fma_f64 v[17:18], v[2:3], v[6:7], -v[17:18]
	v_mul_f64 v[2:3], v[2:3], v[8:9]
	v_add_f64 v[13:14], v[13:14], v[17:18]
	v_fma_f64 v[2:3], v[4:5], v[6:7], v[2:3]
	v_add_f64 v[15:16], v[15:16], v[2:3]
	ds_read_b128 v[2:5], v30 offset:9728
	ds_read_b128 v[6:9], v26 offset:304
	s_waitcnt lgkmcnt(0)
	v_mul_f64 v[17:18], v[4:5], v[8:9]
	v_fma_f64 v[17:18], v[2:3], v[6:7], -v[17:18]
	v_mul_f64 v[2:3], v[2:3], v[8:9]
	v_add_f64 v[13:14], v[13:14], v[17:18]
	v_fma_f64 v[2:3], v[4:5], v[6:7], v[2:3]
	v_add_f64 v[15:16], v[15:16], v[2:3]
	ds_read_b128 v[2:5], v30 offset:10240
	ds_read_b128 v[6:9], v26 offset:320
	s_waitcnt lgkmcnt(0)
	v_mul_f64 v[17:18], v[4:5], v[8:9]
	v_fma_f64 v[17:18], v[2:3], v[6:7], -v[17:18]
	v_mul_f64 v[2:3], v[2:3], v[8:9]
	v_add_f64 v[13:14], v[13:14], v[17:18]
	v_fma_f64 v[2:3], v[4:5], v[6:7], v[2:3]
	v_add_f64 v[15:16], v[15:16], v[2:3]
	ds_read_b128 v[2:5], v30 offset:10752
	ds_read_b128 v[6:9], v26 offset:336
	s_waitcnt lgkmcnt(0)
	v_mul_f64 v[17:18], v[4:5], v[8:9]
	v_fma_f64 v[17:18], v[2:3], v[6:7], -v[17:18]
	v_mul_f64 v[2:3], v[2:3], v[8:9]
	v_add_f64 v[13:14], v[13:14], v[17:18]
	v_fma_f64 v[2:3], v[4:5], v[6:7], v[2:3]
	v_add_f64 v[15:16], v[15:16], v[2:3]
	ds_read_b128 v[2:5], v30 offset:11264
	ds_read_b128 v[6:9], v26 offset:352
	s_waitcnt lgkmcnt(0)
	v_mul_f64 v[17:18], v[4:5], v[8:9]
	v_fma_f64 v[17:18], v[2:3], v[6:7], -v[17:18]
	v_mul_f64 v[2:3], v[2:3], v[8:9]
	v_add_f64 v[13:14], v[13:14], v[17:18]
	v_fma_f64 v[2:3], v[4:5], v[6:7], v[2:3]
	v_add_f64 v[15:16], v[15:16], v[2:3]
	ds_read_b128 v[2:5], v30 offset:11776
	ds_read_b128 v[6:9], v26 offset:368
	s_waitcnt lgkmcnt(0)
	v_mul_f64 v[17:18], v[4:5], v[8:9]
	v_fma_f64 v[17:18], v[2:3], v[6:7], -v[17:18]
	v_mul_f64 v[2:3], v[2:3], v[8:9]
	v_add_f64 v[13:14], v[13:14], v[17:18]
	v_fma_f64 v[2:3], v[4:5], v[6:7], v[2:3]
	v_add_f64 v[15:16], v[15:16], v[2:3]
	ds_read_b128 v[2:5], v30 offset:12288
	ds_read_b128 v[6:9], v26 offset:384
	s_waitcnt lgkmcnt(0)
	v_mul_f64 v[17:18], v[4:5], v[8:9]
	v_fma_f64 v[17:18], v[2:3], v[6:7], -v[17:18]
	v_mul_f64 v[2:3], v[2:3], v[8:9]
	v_add_f64 v[13:14], v[13:14], v[17:18]
	v_fma_f64 v[2:3], v[4:5], v[6:7], v[2:3]
	v_add_f64 v[15:16], v[15:16], v[2:3]
	ds_read_b128 v[2:5], v30 offset:12800
	ds_read_b128 v[6:9], v26 offset:400
	s_waitcnt lgkmcnt(0)
	v_mul_f64 v[17:18], v[4:5], v[8:9]
	v_fma_f64 v[17:18], v[2:3], v[6:7], -v[17:18]
	v_mul_f64 v[2:3], v[2:3], v[8:9]
	v_add_f64 v[13:14], v[13:14], v[17:18]
	v_fma_f64 v[2:3], v[4:5], v[6:7], v[2:3]
	v_add_f64 v[15:16], v[15:16], v[2:3]
	ds_read_b128 v[2:5], v30 offset:13312
	ds_read_b128 v[6:9], v26 offset:416
	s_waitcnt lgkmcnt(0)
	v_mul_f64 v[17:18], v[4:5], v[8:9]
	v_fma_f64 v[17:18], v[2:3], v[6:7], -v[17:18]
	v_mul_f64 v[2:3], v[2:3], v[8:9]
	v_add_f64 v[13:14], v[13:14], v[17:18]
	v_fma_f64 v[2:3], v[4:5], v[6:7], v[2:3]
	v_add_f64 v[15:16], v[15:16], v[2:3]
	ds_read_b128 v[2:5], v30 offset:13824
	ds_read_b128 v[6:9], v26 offset:432
	s_waitcnt lgkmcnt(0)
	v_mul_f64 v[17:18], v[4:5], v[8:9]
	v_fma_f64 v[17:18], v[2:3], v[6:7], -v[17:18]
	v_mul_f64 v[2:3], v[2:3], v[8:9]
	v_add_f64 v[13:14], v[13:14], v[17:18]
	v_fma_f64 v[2:3], v[4:5], v[6:7], v[2:3]
	v_add_f64 v[15:16], v[15:16], v[2:3]
	ds_read_b128 v[2:5], v30 offset:14336
	ds_read_b128 v[6:9], v26 offset:448
	s_waitcnt lgkmcnt(0)
	v_mul_f64 v[17:18], v[4:5], v[8:9]
	v_fma_f64 v[17:18], v[2:3], v[6:7], -v[17:18]
	v_mul_f64 v[2:3], v[2:3], v[8:9]
	v_add_f64 v[13:14], v[13:14], v[17:18]
	v_fma_f64 v[2:3], v[4:5], v[6:7], v[2:3]
	v_add_f64 v[15:16], v[15:16], v[2:3]
	ds_read_b128 v[2:5], v30 offset:14848
	ds_read_b128 v[6:9], v26 offset:464
	s_waitcnt lgkmcnt(0)
	v_mul_f64 v[17:18], v[4:5], v[8:9]
	v_fma_f64 v[17:18], v[2:3], v[6:7], -v[17:18]
	v_mul_f64 v[2:3], v[2:3], v[8:9]
	v_add_f64 v[13:14], v[13:14], v[17:18]
	v_fma_f64 v[2:3], v[4:5], v[6:7], v[2:3]
	v_add_f64 v[15:16], v[15:16], v[2:3]
	ds_read_b128 v[2:5], v30 offset:15360
	ds_read_b128 v[6:9], v26 offset:480
	s_waitcnt lgkmcnt(0)
	v_mul_f64 v[17:18], v[4:5], v[8:9]
	v_fma_f64 v[17:18], v[2:3], v[6:7], -v[17:18]
	v_mul_f64 v[2:3], v[2:3], v[8:9]
	v_add_f64 v[13:14], v[13:14], v[17:18]
	v_fma_f64 v[2:3], v[4:5], v[6:7], v[2:3]
	v_add_f64 v[15:16], v[15:16], v[2:3]
	ds_read_b128 v[2:5], v30 offset:15872
	ds_read_b128 v[6:9], v26 offset:496
	s_waitcnt lgkmcnt(0)
	v_mul_f64 v[17:18], v[4:5], v[8:9]
	v_fma_f64 v[17:18], v[2:3], v[6:7], -v[17:18]
	v_mul_f64 v[2:3], v[2:3], v[8:9]
	v_fma_f64 v[2:3], v[4:5], v[6:7], v[2:3]
	v_add_f64 v[4:5], v[13:14], v[17:18]
	v_add_f64 v[2:3], v[15:16], v[2:3]
	v_mul_f64 v[6:7], s[14:15], v[2:3]
	v_mul_f64 v[2:3], s[12:13], v[2:3]
	v_fma_f64 v[6:7], s[12:13], v[4:5], -v[6:7]
	v_fma_f64 v[8:9], s[14:15], v[4:5], v[2:3]
	flat_load_dwordx4 v[2:5], v[22:23]
	s_waitcnt vmcnt(0) lgkmcnt(0)
	v_add_f64 v[2:3], v[2:3], v[6:7]
	v_add_f64 v[4:5], v[4:5], v[8:9]
	flat_store_dwordx4 v[22:23], v[2:5]
.LBB1927_11:                            ;   in Loop: Header=BB1927_5 Depth=1
	s_or_b64 exec, exec, s[2:3]
	v_mov_b32_e32 v4, 0
	v_mov_b32_e32 v8, 0
	v_mov_b32_e32 v6, 0
	v_mov_b32_e32 v5, 0
	v_mov_b32_e32 v9, 0
	v_mov_b32_e32 v7, 0
	s_waitcnt vmcnt(0) lgkmcnt(0)
	s_barrier
	s_and_saveexec_b64 s[16:17], s[6:7]
	s_cbranch_execz .LBB1927_13
; %bb.12:                               ;   in Loop: Header=BB1927_5 Depth=1
	v_ashrrev_i32_e32 v11, 31, v10
	v_lshlrev_b64 v[2:3], 4, v[10:11]
	v_add_co_u32_e64 v2, s[2:3], v32, v2
	v_addc_co_u32_e64 v3, s[2:3], v33, v3, s[2:3]
	flat_load_dwordx4 v[6:9], v[2:3]
.LBB1927_13:                            ;   in Loop: Header=BB1927_5 Depth=1
	s_or_b64 exec, exec, s[16:17]
	v_mov_b32_e32 v2, 0
	v_mov_b32_e32 v3, 0
	s_waitcnt vmcnt(0) lgkmcnt(0)
	ds_write_b128 v27, v[6:9]
	s_and_saveexec_b64 s[6:7], s[10:11]
	s_cbranch_execz .LBB1927_15
; %bb.14:                               ;   in Loop: Header=BB1927_5 Depth=1
	v_ashrrev_i32_e32 v13, 31, v12
	v_lshlrev_b64 v[2:3], 4, v[12:13]
	v_add_co_u32_e64 v2, s[2:3], v34, v2
	v_addc_co_u32_e64 v3, s[2:3], v35, v3, s[2:3]
	flat_load_dwordx4 v[2:5], v[2:3]
.LBB1927_15:                            ;   in Loop: Header=BB1927_5 Depth=1
	s_or_b64 exec, exec, s[6:7]
	s_waitcnt vmcnt(0) lgkmcnt(0)
	ds_write_b128 v31, v[2:5]
	s_waitcnt lgkmcnt(0)
	s_barrier
	s_and_saveexec_b64 s[2:3], s[4:5]
	s_cbranch_execz .LBB1927_4
; %bb.16:                               ;   in Loop: Header=BB1927_5 Depth=1
	ds_read_b128 v[2:5], v30
	ds_read_b128 v[6:9], v26
	ds_read_b128 v[10:13], v26 offset:16
	ds_read_b128 v[14:17], v30 offset:512
	;; [unrolled: 1-line block ×5, first 2 shown]
	s_waitcnt lgkmcnt(5)
	v_mul_f64 v[44:45], v[2:3], v[8:9]
	v_mul_f64 v[8:9], v[4:5], v[8:9]
	s_waitcnt lgkmcnt(3)
	v_mul_f64 v[46:47], v[16:17], v[12:13]
	v_mul_f64 v[12:13], v[14:15], v[12:13]
	;; [unrolled: 3-line block ×3, first 2 shown]
	v_fma_f64 v[44:45], v[4:5], v[6:7], v[44:45]
	v_fma_f64 v[48:49], v[2:3], v[6:7], -v[8:9]
	v_fma_f64 v[46:47], v[14:15], v[10:11], -v[46:47]
	v_fma_f64 v[52:53], v[16:17], v[10:11], v[12:13]
	ds_read_b128 v[2:5], v30 offset:1536
	ds_read_b128 v[6:9], v26 offset:64
	v_fma_f64 v[50:51], v[18:19], v[36:37], -v[50:51]
	v_fma_f64 v[56:57], v[20:21], v[36:37], v[38:39]
	ds_read_b128 v[10:13], v30 offset:2048
	ds_read_b128 v[14:17], v30 offset:2560
	v_add_f64 v[44:45], v[44:45], 0
	v_add_f64 v[48:49], v[48:49], 0
	s_waitcnt lgkmcnt(3)
	v_mul_f64 v[54:55], v[4:5], v[42:43]
	v_mul_f64 v[42:43], v[2:3], v[42:43]
	ds_read_b128 v[18:21], v26 offset:80
	ds_read_b128 v[36:39], v26 offset:96
	v_add_f64 v[44:45], v[44:45], v[52:53]
	v_add_f64 v[46:47], v[48:49], v[46:47]
	s_waitcnt lgkmcnt(3)
	v_mul_f64 v[48:49], v[12:13], v[8:9]
	v_mul_f64 v[8:9], v[10:11], v[8:9]
	v_fma_f64 v[52:53], v[2:3], v[40:41], -v[54:55]
	v_fma_f64 v[54:55], v[4:5], v[40:41], v[42:43]
	ds_read_b128 v[2:5], v30 offset:3072
	ds_read_b128 v[40:43], v30 offset:3584
	v_add_f64 v[44:45], v[44:45], v[56:57]
	v_add_f64 v[46:47], v[46:47], v[50:51]
	s_waitcnt lgkmcnt(3)
	v_mul_f64 v[50:51], v[16:17], v[20:21]
	v_mul_f64 v[20:21], v[14:15], v[20:21]
	v_fma_f64 v[48:49], v[10:11], v[6:7], -v[48:49]
	v_fma_f64 v[56:57], v[12:13], v[6:7], v[8:9]
	;; [unrolled: 9-line block ×15, first 2 shown]
	s_waitcnt lgkmcnt(1)
	v_mul_f64 v[54:55], v[42:43], v[8:9]
	v_mul_f64 v[56:57], v[40:41], v[8:9]
	v_add_f64 v[20:21], v[44:45], v[16:17]
	v_add_f64 v[48:49], v[46:47], v[48:49]
	v_fma_f64 v[52:53], v[2:3], v[36:37], -v[52:53]
	v_fma_f64 v[36:37], v[4:5], v[36:37], v[38:39]
	ds_read_b128 v[16:19], v30 offset:10240
	ds_read_b128 v[44:47], v30 offset:10752
	v_add_f64 v[20:21], v[20:21], v[10:11]
	v_add_f64 v[38:39], v[48:49], v[50:51]
	s_waitcnt lgkmcnt(1)
	v_mul_f64 v[48:49], v[18:19], v[14:15]
	v_mul_f64 v[14:15], v[16:17], v[14:15]
	v_fma_f64 v[50:51], v[40:41], v[6:7], -v[54:55]
	v_fma_f64 v[6:7], v[42:43], v[6:7], v[56:57]
	ds_read_b128 v[2:5], v26 offset:336
	ds_read_b128 v[8:11], v26 offset:352
	v_add_f64 v[20:21], v[20:21], v[36:37]
	v_add_f64 v[52:53], v[38:39], v[52:53]
	s_waitcnt lgkmcnt(1)
	v_mul_f64 v[54:55], v[46:47], v[4:5]
	v_mul_f64 v[4:5], v[44:45], v[4:5]
	;; [unrolled: 9-line block ×3, first 2 shown]
	v_fma_f64 v[52:53], v[44:45], v[2:3], -v[54:55]
	v_fma_f64 v[54:55], v[46:47], v[2:3], v[4:5]
	ds_read_b128 v[14:17], v26 offset:368
	ds_read_b128 v[48:51], v26 offset:384
	;; [unrolled: 1-line block ×4, first 2 shown]
	v_add_f64 v[6:7], v[6:7], v[12:13]
	v_add_f64 v[12:13], v[18:19], v[56:57]
	s_waitcnt lgkmcnt(3)
	v_mul_f64 v[18:19], v[42:43], v[16:17]
	v_mul_f64 v[16:17], v[40:41], v[16:17]
	v_fma_f64 v[20:21], v[36:37], v[8:9], -v[20:21]
	v_fma_f64 v[36:37], v[38:39], v[8:9], v[10:11]
	v_add_f64 v[38:39], v[6:7], v[54:55]
	v_add_f64 v[52:53], v[12:13], v[52:53]
	s_waitcnt lgkmcnt(1)
	v_mul_f64 v[54:55], v[46:47], v[50:51]
	v_mul_f64 v[50:51], v[44:45], v[50:51]
	v_fma_f64 v[40:41], v[40:41], v[14:15], -v[18:19]
	v_fma_f64 v[42:43], v[42:43], v[14:15], v[16:17]
	ds_read_b128 v[6:9], v26 offset:400
	ds_read_b128 v[10:13], v26 offset:416
	v_add_f64 v[36:37], v[38:39], v[36:37]
	v_add_f64 v[38:39], v[52:53], v[20:21]
	s_waitcnt lgkmcnt(1)
	v_mul_f64 v[52:53], v[4:5], v[8:9]
	v_mul_f64 v[8:9], v[2:3], v[8:9]
	v_fma_f64 v[44:45], v[44:45], v[48:49], -v[54:55]
	v_fma_f64 v[46:47], v[46:47], v[48:49], v[50:51]
	ds_read_b128 v[14:17], v30 offset:13312
	ds_read_b128 v[18:21], v30 offset:13824
	v_add_f64 v[48:49], v[36:37], v[42:43]
	v_add_f64 v[50:51], v[38:39], v[40:41]
	flat_load_dwordx4 v[40:43], v[22:23]
	s_waitcnt lgkmcnt(0)
	v_mul_f64 v[54:55], v[16:17], v[12:13]
	v_mul_f64 v[12:13], v[14:15], v[12:13]
	v_fma_f64 v[52:53], v[2:3], v[6:7], -v[52:53]
	v_fma_f64 v[56:57], v[4:5], v[6:7], v[8:9]
	ds_read_b128 v[36:39], v26 offset:432
	v_add_f64 v[46:47], v[48:49], v[46:47]
	v_add_f64 v[44:45], v[50:51], v[44:45]
	ds_read_b128 v[2:5], v26 offset:448
	ds_read_b128 v[6:9], v30 offset:14336
	v_fma_f64 v[50:51], v[14:15], v[10:11], -v[54:55]
	s_waitcnt lgkmcnt(0)
	v_mul_f64 v[48:49], v[20:21], v[38:39]
	v_mul_f64 v[38:39], v[18:19], v[38:39]
	v_fma_f64 v[54:55], v[16:17], v[10:11], v[12:13]
	ds_read_b128 v[10:13], v30 offset:14848
	ds_read_b128 v[14:17], v26 offset:464
	v_add_f64 v[46:47], v[46:47], v[56:57]
	v_add_f64 v[44:45], v[44:45], v[52:53]
	v_mul_f64 v[52:53], v[8:9], v[4:5]
	v_mul_f64 v[4:5], v[6:7], v[4:5]
	v_fma_f64 v[48:49], v[18:19], v[36:37], -v[48:49]
	v_fma_f64 v[56:57], v[20:21], v[36:37], v[38:39]
	ds_read_b128 v[18:21], v26 offset:480
	ds_read_b128 v[36:39], v30 offset:15360
	v_add_f64 v[46:47], v[46:47], v[54:55]
	v_add_f64 v[44:45], v[44:45], v[50:51]
	s_waitcnt lgkmcnt(0)
	v_mul_f64 v[50:51], v[12:13], v[16:17]
	v_mul_f64 v[16:17], v[10:11], v[16:17]
	v_fma_f64 v[52:53], v[6:7], v[2:3], -v[52:53]
	v_fma_f64 v[54:55], v[8:9], v[2:3], v[4:5]
	ds_read_b128 v[2:5], v30 offset:15872
	ds_read_b128 v[6:9], v26 offset:496
	v_add_f64 v[46:47], v[46:47], v[56:57]
	v_add_f64 v[44:45], v[44:45], v[48:49]
	v_mul_f64 v[48:49], v[38:39], v[20:21]
	v_mul_f64 v[20:21], v[36:37], v[20:21]
	v_fma_f64 v[10:11], v[10:11], v[14:15], -v[50:51]
	v_fma_f64 v[12:13], v[12:13], v[14:15], v[16:17]
	v_add_f64 v[14:15], v[46:47], v[54:55]
	v_add_f64 v[16:17], v[44:45], v[52:53]
	s_waitcnt lgkmcnt(0)
	v_mul_f64 v[44:45], v[4:5], v[8:9]
	v_mul_f64 v[8:9], v[2:3], v[8:9]
	v_fma_f64 v[36:37], v[36:37], v[18:19], -v[48:49]
	v_fma_f64 v[18:19], v[38:39], v[18:19], v[20:21]
	v_add_f64 v[12:13], v[14:15], v[12:13]
	v_add_f64 v[10:11], v[16:17], v[10:11]
	v_fma_f64 v[2:3], v[2:3], v[6:7], -v[44:45]
	v_fma_f64 v[4:5], v[4:5], v[6:7], v[8:9]
	v_add_f64 v[6:7], v[12:13], v[18:19]
	v_add_f64 v[8:9], v[10:11], v[36:37]
	;; [unrolled: 1-line block ×4, first 2 shown]
	v_mul_f64 v[6:7], s[14:15], v[4:5]
	v_mul_f64 v[8:9], s[14:15], v[2:3]
	v_fma_f64 v[2:3], s[12:13], v[2:3], -v[6:7]
	v_fma_f64 v[4:5], s[12:13], v[4:5], v[8:9]
	s_waitcnt vmcnt(0)
	v_add_f64 v[2:3], v[40:41], v[2:3]
	v_add_f64 v[4:5], v[42:43], v[4:5]
	flat_store_dwordx4 v[22:23], v[2:5]
	s_branch .LBB1927_4
.LBB1927_17:
	s_endpgm
	.section	.rodata,"a",@progbits
	.p2align	6, 0x0
	.amdhsa_kernel _ZL26rocblas_syr2k_her2k_kernelIiLb1ELb0ELb1ELi32EPK19rocblas_complex_numIdEPKS3_PKPS1_EvbiT_T4_T5_S9_lSB_S9_lT6_S9_li
		.amdhsa_group_segment_fixed_size 32768
		.amdhsa_private_segment_fixed_size 0
		.amdhsa_kernarg_size 100
		.amdhsa_user_sgpr_count 6
		.amdhsa_user_sgpr_private_segment_buffer 1
		.amdhsa_user_sgpr_dispatch_ptr 0
		.amdhsa_user_sgpr_queue_ptr 0
		.amdhsa_user_sgpr_kernarg_segment_ptr 1
		.amdhsa_user_sgpr_dispatch_id 0
		.amdhsa_user_sgpr_flat_scratch_init 0
		.amdhsa_user_sgpr_private_segment_size 0
		.amdhsa_uses_dynamic_stack 0
		.amdhsa_system_sgpr_private_segment_wavefront_offset 0
		.amdhsa_system_sgpr_workgroup_id_x 1
		.amdhsa_system_sgpr_workgroup_id_y 1
		.amdhsa_system_sgpr_workgroup_id_z 1
		.amdhsa_system_sgpr_workgroup_info 0
		.amdhsa_system_vgpr_workitem_id 1
		.amdhsa_next_free_vgpr 58
		.amdhsa_next_free_sgpr 61
		.amdhsa_reserve_vcc 1
		.amdhsa_reserve_flat_scratch 0
		.amdhsa_float_round_mode_32 0
		.amdhsa_float_round_mode_16_64 0
		.amdhsa_float_denorm_mode_32 3
		.amdhsa_float_denorm_mode_16_64 3
		.amdhsa_dx10_clamp 1
		.amdhsa_ieee_mode 1
		.amdhsa_fp16_overflow 0
		.amdhsa_exception_fp_ieee_invalid_op 0
		.amdhsa_exception_fp_denorm_src 0
		.amdhsa_exception_fp_ieee_div_zero 0
		.amdhsa_exception_fp_ieee_overflow 0
		.amdhsa_exception_fp_ieee_underflow 0
		.amdhsa_exception_fp_ieee_inexact 0
		.amdhsa_exception_int_div_zero 0
	.end_amdhsa_kernel
	.section	.text._ZL26rocblas_syr2k_her2k_kernelIiLb1ELb0ELb1ELi32EPK19rocblas_complex_numIdEPKS3_PKPS1_EvbiT_T4_T5_S9_lSB_S9_lT6_S9_li,"axG",@progbits,_ZL26rocblas_syr2k_her2k_kernelIiLb1ELb0ELb1ELi32EPK19rocblas_complex_numIdEPKS3_PKPS1_EvbiT_T4_T5_S9_lSB_S9_lT6_S9_li,comdat
.Lfunc_end1927:
	.size	_ZL26rocblas_syr2k_her2k_kernelIiLb1ELb0ELb1ELi32EPK19rocblas_complex_numIdEPKS3_PKPS1_EvbiT_T4_T5_S9_lSB_S9_lT6_S9_li, .Lfunc_end1927-_ZL26rocblas_syr2k_her2k_kernelIiLb1ELb0ELb1ELi32EPK19rocblas_complex_numIdEPKS3_PKPS1_EvbiT_T4_T5_S9_lSB_S9_lT6_S9_li
                                        ; -- End function
	.set _ZL26rocblas_syr2k_her2k_kernelIiLb1ELb0ELb1ELi32EPK19rocblas_complex_numIdEPKS3_PKPS1_EvbiT_T4_T5_S9_lSB_S9_lT6_S9_li.num_vgpr, 58
	.set _ZL26rocblas_syr2k_her2k_kernelIiLb1ELb0ELb1ELi32EPK19rocblas_complex_numIdEPKS3_PKPS1_EvbiT_T4_T5_S9_lSB_S9_lT6_S9_li.num_agpr, 0
	.set _ZL26rocblas_syr2k_her2k_kernelIiLb1ELb0ELb1ELi32EPK19rocblas_complex_numIdEPKS3_PKPS1_EvbiT_T4_T5_S9_lSB_S9_lT6_S9_li.numbered_sgpr, 29
	.set _ZL26rocblas_syr2k_her2k_kernelIiLb1ELb0ELb1ELi32EPK19rocblas_complex_numIdEPKS3_PKPS1_EvbiT_T4_T5_S9_lSB_S9_lT6_S9_li.num_named_barrier, 0
	.set _ZL26rocblas_syr2k_her2k_kernelIiLb1ELb0ELb1ELi32EPK19rocblas_complex_numIdEPKS3_PKPS1_EvbiT_T4_T5_S9_lSB_S9_lT6_S9_li.private_seg_size, 0
	.set _ZL26rocblas_syr2k_her2k_kernelIiLb1ELb0ELb1ELi32EPK19rocblas_complex_numIdEPKS3_PKPS1_EvbiT_T4_T5_S9_lSB_S9_lT6_S9_li.uses_vcc, 1
	.set _ZL26rocblas_syr2k_her2k_kernelIiLb1ELb0ELb1ELi32EPK19rocblas_complex_numIdEPKS3_PKPS1_EvbiT_T4_T5_S9_lSB_S9_lT6_S9_li.uses_flat_scratch, 0
	.set _ZL26rocblas_syr2k_her2k_kernelIiLb1ELb0ELb1ELi32EPK19rocblas_complex_numIdEPKS3_PKPS1_EvbiT_T4_T5_S9_lSB_S9_lT6_S9_li.has_dyn_sized_stack, 0
	.set _ZL26rocblas_syr2k_her2k_kernelIiLb1ELb0ELb1ELi32EPK19rocblas_complex_numIdEPKS3_PKPS1_EvbiT_T4_T5_S9_lSB_S9_lT6_S9_li.has_recursion, 0
	.set _ZL26rocblas_syr2k_her2k_kernelIiLb1ELb0ELb1ELi32EPK19rocblas_complex_numIdEPKS3_PKPS1_EvbiT_T4_T5_S9_lSB_S9_lT6_S9_li.has_indirect_call, 0
	.section	.AMDGPU.csdata,"",@progbits
; Kernel info:
; codeLenInByte = 5432
; TotalNumSgprs: 33
; NumVgprs: 58
; ScratchSize: 0
; MemoryBound: 1
; FloatMode: 240
; IeeeMode: 1
; LDSByteSize: 32768 bytes/workgroup (compile time only)
; SGPRBlocks: 8
; VGPRBlocks: 14
; NumSGPRsForWavesPerEU: 65
; NumVGPRsForWavesPerEU: 58
; Occupancy: 4
; WaveLimiterHint : 1
; COMPUTE_PGM_RSRC2:SCRATCH_EN: 0
; COMPUTE_PGM_RSRC2:USER_SGPR: 6
; COMPUTE_PGM_RSRC2:TRAP_HANDLER: 0
; COMPUTE_PGM_RSRC2:TGID_X_EN: 1
; COMPUTE_PGM_RSRC2:TGID_Y_EN: 1
; COMPUTE_PGM_RSRC2:TGID_Z_EN: 1
; COMPUTE_PGM_RSRC2:TIDIG_COMP_CNT: 1
	.section	.text._ZL26rocblas_syr2k_her2k_kernelIiLb1ELb1ELb0ELi32E19rocblas_complex_numIfEPKS1_PS1_EvbiT_T4_T5_S5_lS7_S5_lT6_S5_li,"axG",@progbits,_ZL26rocblas_syr2k_her2k_kernelIiLb1ELb1ELb0ELi32E19rocblas_complex_numIfEPKS1_PS1_EvbiT_T4_T5_S5_lS7_S5_lT6_S5_li,comdat
	.globl	_ZL26rocblas_syr2k_her2k_kernelIiLb1ELb1ELb0ELi32E19rocblas_complex_numIfEPKS1_PS1_EvbiT_T4_T5_S5_lS7_S5_lT6_S5_li ; -- Begin function _ZL26rocblas_syr2k_her2k_kernelIiLb1ELb1ELb0ELi32E19rocblas_complex_numIfEPKS1_PS1_EvbiT_T4_T5_S5_lS7_S5_lT6_S5_li
	.p2align	8
	.type	_ZL26rocblas_syr2k_her2k_kernelIiLb1ELb1ELb0ELi32E19rocblas_complex_numIfEPKS1_PS1_EvbiT_T4_T5_S5_lS7_S5_lT6_S5_li,@function
_ZL26rocblas_syr2k_her2k_kernelIiLb1ELb1ELb0ELi32E19rocblas_complex_numIfEPKS1_PS1_EvbiT_T4_T5_S5_lS7_S5_lT6_S5_li: ; @_ZL26rocblas_syr2k_her2k_kernelIiLb1ELb1ELb0ELi32E19rocblas_complex_numIfEPKS1_PS1_EvbiT_T4_T5_S5_lS7_S5_lT6_S5_li
; %bb.0:
	s_load_dwordx4 s[12:15], s[4:5], 0x0
	s_load_dword s16, s[4:5], 0x10
	s_waitcnt lgkmcnt(0)
	v_cmp_eq_f32_e64 s[0:1], s15, 0
	v_cmp_eq_f32_e64 s[2:3], s16, 0
	s_and_b64 s[0:1], s[0:1], s[2:3]
	s_and_b64 vcc, exec, s[0:1]
	s_cbranch_vccnz .LBB1928_17
; %bb.1:
	s_and_b32 s2, 1, s12
	s_lshl_b32 s0, s7, 5
	s_lshl_b32 s1, s6, 5
	s_cmp_eq_u32 s2, 1
	s_cselect_b64 vcc, -1, 0
	s_and_b64 s[2:3], vcc, exec
	s_cselect_b32 s2, s1, s0
	s_cselect_b32 s3, s0, s1
	s_cmp_gt_i32 s2, s3
	s_cbranch_scc1 .LBB1928_17
; %bb.2:
	s_cmp_lt_i32 s14, 1
	s_cbranch_scc1 .LBB1928_17
; %bb.3:
	s_load_dwordx2 s[2:3], s[4:5], 0x18
	s_load_dword s12, s[4:5], 0x20
	s_load_dwordx4 s[20:23], s[4:5], 0x28
	s_load_dword s17, s[4:5], 0x38
	s_load_dwordx4 s[24:27], s[4:5], 0x40
	s_load_dword s9, s[4:5], 0x50
	s_load_dwordx2 s[6:7], s[4:5], 0x58
	s_waitcnt lgkmcnt(0)
	s_mul_i32 s4, s21, s8
	s_mul_hi_u32 s5, s20, s8
	s_add_i32 s5, s5, s4
	s_mul_i32 s4, s20, s8
	s_lshl_b64 s[4:5], s[4:5], 3
	s_add_u32 s10, s2, s4
	s_addc_u32 s11, s3, s5
	s_mul_i32 s2, s25, s8
	s_mul_hi_u32 s3, s24, s8
	v_add_u32_e32 v3, s1, v0
	s_add_i32 s3, s3, s2
	s_mul_i32 s2, s24, s8
	v_ashrrev_i32_e32 v4, 31, v3
	s_lshl_b64 s[2:3], s[2:3], 3
	v_lshlrev_b64 v[4:5], 3, v[3:4]
	s_add_u32 s18, s22, s2
	v_add_u32_e32 v2, s0, v1
	s_addc_u32 s19, s23, s3
	s_mul_i32 s2, s7, s8
	s_mul_hi_u32 s3, s6, s8
	v_cndmask_b32_e32 v8, v3, v2, vcc
	v_cndmask_b32_e32 v9, v2, v3, vcc
	v_cmp_gt_i32_e32 vcc, s13, v3
	v_mov_b32_e32 v3, s11
	v_add_co_u32_e64 v12, s[0:1], s10, v4
	s_add_i32 s3, s3, s2
	s_mul_i32 s2, s6, s8
	v_addc_co_u32_e64 v13, s[0:1], v3, v5, s[0:1]
	v_ashrrev_i32_e32 v3, 31, v2
	s_lshl_b64 s[2:3], s[2:3], 3
	v_lshlrev_b64 v[6:7], 3, v[2:3]
	s_add_u32 s6, s26, s2
	s_addc_u32 s7, s27, s3
	v_mov_b32_e32 v3, s19
	v_add_co_u32_e64 v16, s[2:3], s18, v6
	v_cmp_gt_i32_e64 s[0:1], s13, v2
	v_addc_co_u32_e64 v17, s[2:3], v3, v7, s[2:3]
	v_mad_i64_i32 v[2:3], s[2:3], s9, v2, 0
	v_cmp_le_i32_e64 s[2:3], v9, v8
	s_and_b64 s[4:5], s[0:1], vcc
	v_lshlrev_b64 v[2:3], 3, v[2:3]
	s_and_b64 s[4:5], s[4:5], s[2:3]
	v_mov_b32_e32 v8, s7
	v_add_co_u32_e64 v2, s[2:3], s6, v2
	v_lshlrev_b32_e32 v14, 8, v0
	v_lshlrev_b32_e32 v10, 3, v1
	v_addc_co_u32_e64 v3, s[2:3], v8, v3, s[2:3]
	v_add_u32_e32 v15, v14, v10
	v_or_b32_e32 v18, 0x2000, v10
	v_add_co_u32_e64 v10, s[2:3], v2, v4
	v_addc_co_u32_e64 v11, s[2:3], v3, v5, s[2:3]
	v_mov_b32_e32 v2, s19
	v_add_co_u32_e64 v20, s[2:3], s18, v4
	v_addc_co_u32_e64 v21, s[2:3], v2, v5, s[2:3]
	v_mov_b32_e32 v2, s11
	v_add_co_u32_e64 v22, s[2:3], s10, v6
	v_add_u32_e32 v19, v18, v14
	v_addc_co_u32_e64 v23, s[2:3], v2, v7, s[2:3]
	s_mov_b32 s13, 0
	v_add_u32_e32 v24, 0x800, v18
	v_add_u32_e32 v25, 0x1000, v18
	;; [unrolled: 1-line block ×3, first 2 shown]
	s_branch .LBB1928_5
.LBB1928_4:                             ;   in Loop: Header=BB1928_5 Depth=1
	s_or_b64 exec, exec, s[2:3]
	s_add_i32 s13, s13, 32
	s_cmp_lt_i32 s13, s14
	s_waitcnt vmcnt(0)
	s_barrier
	s_cbranch_scc0 .LBB1928_17
.LBB1928_5:                             ; =>This Inner Loop Header: Depth=1
	v_add_u32_e32 v27, s13, v1
	v_cmp_gt_i32_e64 s[2:3], s14, v27
	s_and_b64 s[6:7], vcc, s[2:3]
	v_mov_b32_e32 v2, 0
	v_mov_b32_e32 v3, 0
	v_mov_b32_e32 v4, 0
	s_and_saveexec_b64 s[8:9], s[6:7]
	s_cbranch_execz .LBB1928_7
; %bb.6:                                ;   in Loop: Header=BB1928_5 Depth=1
	v_mad_i64_i32 v[3:4], s[2:3], v27, s12, 0
	v_lshlrev_b64 v[3:4], 3, v[3:4]
	v_add_co_u32_e64 v3, s[2:3], v12, v3
	v_addc_co_u32_e64 v4, s[2:3], v13, v4, s[2:3]
	global_load_dwordx2 v[3:4], v[3:4], off
.LBB1928_7:                             ;   in Loop: Header=BB1928_5 Depth=1
	s_or_b64 exec, exec, s[8:9]
	v_add_u32_e32 v28, s13, v0
	v_cmp_gt_i32_e64 s[2:3], s14, v28
	s_waitcnt vmcnt(0)
	ds_write_b64 v15, v[3:4]
	s_and_b64 s[8:9], s[0:1], s[2:3]
	v_mov_b32_e32 v3, 0
	s_and_saveexec_b64 s[10:11], s[8:9]
	s_cbranch_execz .LBB1928_9
; %bb.8:                                ;   in Loop: Header=BB1928_5 Depth=1
	v_mad_i64_i32 v[2:3], s[2:3], v28, s17, 0
	v_lshlrev_b64 v[2:3], 3, v[2:3]
	v_add_co_u32_e64 v2, s[2:3], v16, v2
	v_addc_co_u32_e64 v3, s[2:3], v17, v3, s[2:3]
	global_load_dwordx2 v[2:3], v[2:3], off
	s_waitcnt vmcnt(0)
	v_xor_b32_e32 v3, 0x80000000, v3
.LBB1928_9:                             ;   in Loop: Header=BB1928_5 Depth=1
	s_or_b64 exec, exec, s[10:11]
	ds_write_b64 v19, v[2:3]
	s_waitcnt lgkmcnt(0)
	s_barrier
	s_and_saveexec_b64 s[2:3], s[4:5]
	s_cbranch_execz .LBB1928_11
; %bb.10:                               ;   in Loop: Header=BB1928_5 Depth=1
	ds_read2_b64 v[2:5], v18 offset1:32
	ds_read_b128 v[6:9], v14
	ds_read_b128 v[29:32], v14 offset:16
	s_waitcnt lgkmcnt(1)
	v_mul_f32_e32 v33, v3, v7
	v_fma_f32 v38, v2, v6, -v33
	ds_read2_b64 v[33:36], v18 offset0:64 offset1:96
	v_mul_f32_e32 v37, v2, v7
	v_mul_f32_e32 v2, v5, v9
	v_fma_f32 v39, v4, v8, -v2
	v_fmac_f32_e32 v37, v3, v6
	s_waitcnt lgkmcnt(0)
	v_mul_f32_e32 v2, v34, v30
	v_mul_f32_e32 v40, v4, v9
	v_fma_f32 v41, v33, v29, -v2
	v_mul_f32_e32 v33, v33, v30
	v_mul_f32_e32 v2, v36, v32
	v_fmac_f32_e32 v40, v5, v8
	v_fmac_f32_e32 v33, v34, v29
	v_fma_f32 v34, v35, v31, -v2
	v_mul_f32_e32 v35, v35, v32
	v_add_f32_e32 v29, 0, v38
	v_add_f32_e32 v30, 0, v37
	v_fmac_f32_e32 v35, v36, v31
	ds_read_b128 v[2:5], v14 offset:32
	ds_read_b128 v[6:9], v14 offset:48
	v_add_f32_e32 v36, v29, v39
	v_add_f32_e32 v37, v30, v40
	ds_read2_b64 v[29:32], v18 offset0:128 offset1:160
	v_add_f32_e32 v33, v37, v33
	v_add_f32_e32 v36, v36, v41
	;; [unrolled: 1-line block ×4, first 2 shown]
	s_waitcnt lgkmcnt(0)
	v_mul_f32_e32 v35, v30, v3
	v_mul_f32_e32 v3, v29, v3
	v_fma_f32 v35, v29, v2, -v35
	v_fmac_f32_e32 v3, v30, v2
	v_add_f32_e32 v2, v34, v35
	v_add_f32_e32 v3, v33, v3
	ds_read2_b64 v[33:36], v18 offset0:192 offset1:224
	v_mul_f32_e32 v29, v32, v5
	v_mul_f32_e32 v5, v31, v5
	v_fma_f32 v29, v31, v4, -v29
	v_fmac_f32_e32 v5, v32, v4
	s_waitcnt lgkmcnt(0)
	v_mul_f32_e32 v4, v34, v7
	v_add_f32_e32 v2, v2, v29
	v_add_f32_e32 v3, v3, v5
	v_fma_f32 v4, v33, v6, -v4
	v_mul_f32_e32 v5, v33, v7
	v_fmac_f32_e32 v5, v34, v6
	v_add_f32_e32 v6, v2, v4
	v_mul_f32_e32 v2, v36, v9
	v_add_f32_e32 v7, v3, v5
	v_fma_f32 v33, v35, v8, -v2
	ds_read_b128 v[2:5], v14 offset:64
	ds_read2_b64 v[29:32], v24 offset1:32
	v_mul_f32_e32 v9, v35, v9
	v_fmac_f32_e32 v9, v36, v8
	v_add_f32_e32 v33, v6, v33
	v_add_f32_e32 v34, v7, v9
	s_waitcnt lgkmcnt(0)
	v_mul_f32_e32 v35, v30, v3
	v_mul_f32_e32 v3, v29, v3
	v_fma_f32 v35, v29, v2, -v35
	v_fmac_f32_e32 v3, v30, v2
	ds_read_b128 v[6:9], v14 offset:80
	v_add_f32_e32 v2, v33, v35
	v_add_f32_e32 v3, v34, v3
	ds_read2_b64 v[33:36], v24 offset0:64 offset1:96
	v_mul_f32_e32 v29, v32, v5
	v_mul_f32_e32 v5, v31, v5
	v_fma_f32 v29, v31, v4, -v29
	v_fmac_f32_e32 v5, v32, v4
	s_waitcnt lgkmcnt(0)
	v_mul_f32_e32 v4, v34, v7
	v_add_f32_e32 v2, v2, v29
	v_add_f32_e32 v3, v3, v5
	v_fma_f32 v4, v33, v6, -v4
	v_mul_f32_e32 v5, v33, v7
	v_fmac_f32_e32 v5, v34, v6
	v_add_f32_e32 v6, v2, v4
	v_mul_f32_e32 v2, v36, v9
	v_add_f32_e32 v7, v3, v5
	v_fma_f32 v33, v35, v8, -v2
	ds_read_b128 v[2:5], v14 offset:96
	ds_read2_b64 v[29:32], v24 offset0:128 offset1:160
	v_mul_f32_e32 v9, v35, v9
	v_fmac_f32_e32 v9, v36, v8
	v_add_f32_e32 v33, v6, v33
	v_add_f32_e32 v34, v7, v9
	s_waitcnt lgkmcnt(0)
	v_mul_f32_e32 v35, v30, v3
	v_mul_f32_e32 v3, v29, v3
	v_fma_f32 v35, v29, v2, -v35
	v_fmac_f32_e32 v3, v30, v2
	ds_read_b128 v[6:9], v14 offset:112
	v_add_f32_e32 v2, v33, v35
	v_add_f32_e32 v3, v34, v3
	ds_read2_b64 v[33:36], v24 offset0:192 offset1:224
	v_mul_f32_e32 v29, v32, v5
	v_mul_f32_e32 v5, v31, v5
	v_fma_f32 v29, v31, v4, -v29
	v_fmac_f32_e32 v5, v32, v4
	s_waitcnt lgkmcnt(0)
	v_mul_f32_e32 v4, v34, v7
	v_add_f32_e32 v2, v2, v29
	v_add_f32_e32 v3, v3, v5
	v_fma_f32 v4, v33, v6, -v4
	v_mul_f32_e32 v5, v33, v7
	v_fmac_f32_e32 v5, v34, v6
	v_add_f32_e32 v6, v2, v4
	v_mul_f32_e32 v2, v36, v9
	v_add_f32_e32 v7, v3, v5
	v_fma_f32 v33, v35, v8, -v2
	ds_read_b128 v[2:5], v14 offset:128
	ds_read2_b64 v[29:32], v25 offset1:32
	v_mul_f32_e32 v9, v35, v9
	v_fmac_f32_e32 v9, v36, v8
	v_add_f32_e32 v6, v6, v33
	ds_read_b128 v[33:36], v14 offset:144
	ds_read2_b64 v[37:40], v25 offset0:64 offset1:96
	s_waitcnt lgkmcnt(2)
	v_mul_f32_e32 v8, v30, v3
	v_fma_f32 v8, v29, v2, -v8
	v_mul_f32_e32 v3, v29, v3
	v_add_f32_e32 v7, v7, v9
	v_fmac_f32_e32 v3, v30, v2
	v_add_f32_e32 v2, v6, v8
	v_mul_f32_e32 v6, v32, v5
	v_mul_f32_e32 v5, v31, v5
	v_add_f32_e32 v3, v7, v3
	v_fma_f32 v6, v31, v4, -v6
	v_fmac_f32_e32 v5, v32, v4
	s_waitcnt lgkmcnt(0)
	v_mul_f32_e32 v4, v38, v34
	v_add_f32_e32 v2, v2, v6
	v_add_f32_e32 v3, v3, v5
	v_fma_f32 v4, v37, v33, -v4
	v_mul_f32_e32 v5, v37, v34
	v_fmac_f32_e32 v5, v38, v33
	v_add_f32_e32 v29, v2, v4
	v_mul_f32_e32 v2, v40, v36
	v_add_f32_e32 v30, v3, v5
	v_fma_f32 v31, v39, v35, -v2
	ds_read_b128 v[2:5], v14 offset:160
	ds_read2_b64 v[6:9], v25 offset0:128 offset1:160
	v_mul_f32_e32 v32, v39, v36
	v_fmac_f32_e32 v32, v40, v35
	v_add_f32_e32 v35, v29, v31
	v_add_f32_e32 v36, v30, v32
	s_waitcnt lgkmcnt(0)
	v_mul_f32_e32 v33, v7, v3
	v_fma_f32 v37, v6, v2, -v33
	global_load_dwordx2 v[33:34], v[10:11], off
	v_mul_f32_e32 v6, v6, v3
	v_fmac_f32_e32 v6, v7, v2
	v_mul_f32_e32 v2, v9, v5
	v_fma_f32 v7, v8, v4, -v2
	v_mul_f32_e32 v8, v8, v5
	ds_read_b128 v[29:32], v14 offset:176
	v_fmac_f32_e32 v8, v9, v4
	ds_read2_b64 v[2:5], v25 offset0:192 offset1:224
	v_add_f32_e32 v6, v36, v6
	v_add_f32_e32 v9, v35, v37
	;; [unrolled: 1-line block ×4, first 2 shown]
	s_waitcnt lgkmcnt(0)
	v_mul_f32_e32 v6, v3, v30
	v_fma_f32 v6, v2, v29, -v6
	v_mul_f32_e32 v30, v2, v30
	v_mul_f32_e32 v2, v5, v32
	;; [unrolled: 1-line block ×3, first 2 shown]
	v_fmac_f32_e32 v30, v3, v29
	v_add_f32_e32 v29, v7, v6
	v_fma_f32 v36, v4, v31, -v2
	v_fmac_f32_e32 v32, v5, v31
	ds_read_b128 v[2:5], v14 offset:192
	ds_read2_b64 v[6:9], v26 offset1:32
	v_add_f32_e32 v30, v35, v30
	v_add_f32_e32 v35, v29, v36
	;; [unrolled: 1-line block ×3, first 2 shown]
	ds_read_b128 v[29:32], v14 offset:208
	s_waitcnt lgkmcnt(1)
	v_mul_f32_e32 v37, v7, v3
	v_fma_f32 v37, v6, v2, -v37
	v_mul_f32_e32 v6, v6, v3
	v_fmac_f32_e32 v6, v7, v2
	v_mul_f32_e32 v2, v9, v5
	v_fma_f32 v7, v8, v4, -v2
	v_mul_f32_e32 v8, v8, v5
	v_fmac_f32_e32 v8, v9, v4
	ds_read2_b64 v[2:5], v26 offset0:64 offset1:96
	v_add_f32_e32 v6, v36, v6
	v_add_f32_e32 v9, v35, v37
	;; [unrolled: 1-line block ×4, first 2 shown]
	s_waitcnt lgkmcnt(0)
	v_mul_f32_e32 v6, v3, v30
	v_fma_f32 v6, v2, v29, -v6
	v_mul_f32_e32 v30, v2, v30
	v_mul_f32_e32 v2, v5, v32
	;; [unrolled: 1-line block ×3, first 2 shown]
	v_fmac_f32_e32 v30, v3, v29
	v_add_f32_e32 v29, v7, v6
	v_fma_f32 v36, v4, v31, -v2
	v_fmac_f32_e32 v32, v5, v31
	ds_read_b128 v[2:5], v14 offset:224
	ds_read2_b64 v[6:9], v26 offset0:128 offset1:160
	v_add_f32_e32 v30, v35, v30
	v_add_f32_e32 v35, v29, v36
	;; [unrolled: 1-line block ×3, first 2 shown]
	ds_read_b128 v[29:32], v14 offset:240
	s_waitcnt lgkmcnt(1)
	v_mul_f32_e32 v37, v7, v3
	v_fma_f32 v37, v6, v2, -v37
	v_mul_f32_e32 v6, v6, v3
	v_fmac_f32_e32 v6, v7, v2
	v_mul_f32_e32 v2, v9, v5
	v_fma_f32 v7, v8, v4, -v2
	v_mul_f32_e32 v8, v8, v5
	v_fmac_f32_e32 v8, v9, v4
	ds_read2_b64 v[2:5], v26 offset0:192 offset1:224
	v_add_f32_e32 v6, v36, v6
	v_add_f32_e32 v6, v6, v8
	;; [unrolled: 1-line block ×4, first 2 shown]
	s_waitcnt lgkmcnt(0)
	v_mul_f32_e32 v8, v3, v30
	v_fma_f32 v8, v2, v29, -v8
	v_mul_f32_e32 v2, v2, v30
	v_fmac_f32_e32 v2, v3, v29
	v_add_f32_e32 v2, v6, v2
	v_mul_f32_e32 v6, v5, v32
	v_fma_f32 v6, v4, v31, -v6
	v_mul_f32_e32 v4, v4, v32
	v_fmac_f32_e32 v4, v5, v31
	v_add_f32_e32 v3, v7, v8
	v_add_f32_e32 v2, v2, v4
	;; [unrolled: 1-line block ×3, first 2 shown]
	v_mul_f32_e32 v4, s16, v2
	v_mul_f32_e32 v5, s15, v2
	v_fma_f32 v4, s15, v3, -v4
	v_fmac_f32_e32 v5, s16, v3
	s_waitcnt vmcnt(0)
	v_add_f32_e32 v2, v33, v4
	v_add_f32_e32 v3, v34, v5
	global_store_dwordx2 v[10:11], v[2:3], off
.LBB1928_11:                            ;   in Loop: Header=BB1928_5 Depth=1
	s_or_b64 exec, exec, s[2:3]
	v_mov_b32_e32 v3, 0
	v_mov_b32_e32 v5, 0
	;; [unrolled: 1-line block ×3, first 2 shown]
	s_waitcnt vmcnt(0)
	s_barrier
	s_and_saveexec_b64 s[10:11], s[6:7]
	s_cbranch_execz .LBB1928_13
; %bb.12:                               ;   in Loop: Header=BB1928_5 Depth=1
	v_mad_i64_i32 v[4:5], s[2:3], v27, s17, 0
	v_lshlrev_b64 v[4:5], 3, v[4:5]
	v_add_co_u32_e64 v4, s[2:3], v20, v4
	v_addc_co_u32_e64 v5, s[2:3], v21, v5, s[2:3]
	global_load_dwordx2 v[4:5], v[4:5], off
.LBB1928_13:                            ;   in Loop: Header=BB1928_5 Depth=1
	s_or_b64 exec, exec, s[10:11]
	v_mov_b32_e32 v2, 0
	s_waitcnt vmcnt(0)
	ds_write_b64 v15, v[4:5]
	s_and_saveexec_b64 s[6:7], s[8:9]
	s_cbranch_execz .LBB1928_15
; %bb.14:                               ;   in Loop: Header=BB1928_5 Depth=1
	v_mad_i64_i32 v[2:3], s[2:3], v28, s12, 0
	v_lshlrev_b64 v[2:3], 3, v[2:3]
	v_add_co_u32_e64 v2, s[2:3], v22, v2
	v_addc_co_u32_e64 v3, s[2:3], v23, v3, s[2:3]
	global_load_dwordx2 v[2:3], v[2:3], off
	s_waitcnt vmcnt(0)
	v_xor_b32_e32 v3, 0x80000000, v3
.LBB1928_15:                            ;   in Loop: Header=BB1928_5 Depth=1
	s_or_b64 exec, exec, s[6:7]
	ds_write_b64 v19, v[2:3]
	s_waitcnt lgkmcnt(0)
	s_barrier
	s_and_saveexec_b64 s[2:3], s[4:5]
	s_cbranch_execz .LBB1928_4
; %bb.16:                               ;   in Loop: Header=BB1928_5 Depth=1
	ds_read2_b64 v[2:5], v18 offset1:32
	ds_read_b128 v[6:9], v14
	ds_read_b128 v[27:30], v14 offset:16
	s_waitcnt lgkmcnt(1)
	v_mul_f32_e32 v31, v3, v7
	v_mul_f32_e32 v35, v2, v7
	v_fma_f32 v36, v2, v6, -v31
	v_mul_f32_e32 v2, v5, v9
	v_mul_f32_e32 v38, v4, v9
	v_fmac_f32_e32 v35, v3, v6
	v_fma_f32 v37, v4, v8, -v2
	v_fmac_f32_e32 v38, v5, v8
	ds_read_b128 v[2:5], v14 offset:32
	ds_read_b128 v[6:9], v14 offset:48
	ds_read2_b64 v[31:34], v18 offset0:64 offset1:96
	v_add_f32_e32 v36, 0, v36
	v_add_f32_e32 v36, v36, v37
	;; [unrolled: 1-line block ×4, first 2 shown]
	s_waitcnt lgkmcnt(0)
	v_mul_f32_e32 v37, v32, v28
	v_fma_f32 v37, v31, v27, -v37
	v_mul_f32_e32 v31, v31, v28
	v_fmac_f32_e32 v31, v32, v27
	v_mul_f32_e32 v27, v34, v30
	v_fma_f32 v32, v33, v29, -v27
	v_mul_f32_e32 v33, v33, v30
	v_fmac_f32_e32 v33, v34, v29
	ds_read2_b64 v[27:30], v18 offset0:128 offset1:160
	v_add_f32_e32 v31, v35, v31
	v_add_f32_e32 v34, v36, v37
	;; [unrolled: 1-line block ×4, first 2 shown]
	s_waitcnt lgkmcnt(0)
	v_mul_f32_e32 v33, v28, v3
	v_mul_f32_e32 v3, v27, v3
	v_fma_f32 v33, v27, v2, -v33
	v_fmac_f32_e32 v3, v28, v2
	v_add_f32_e32 v2, v32, v33
	v_add_f32_e32 v3, v31, v3
	ds_read2_b64 v[31:34], v18 offset0:192 offset1:224
	v_mul_f32_e32 v27, v30, v5
	v_mul_f32_e32 v5, v29, v5
	v_fma_f32 v27, v29, v4, -v27
	v_fmac_f32_e32 v5, v30, v4
	s_waitcnt lgkmcnt(0)
	v_mul_f32_e32 v4, v32, v7
	v_add_f32_e32 v2, v2, v27
	v_add_f32_e32 v3, v3, v5
	v_fma_f32 v4, v31, v6, -v4
	v_mul_f32_e32 v5, v31, v7
	v_fmac_f32_e32 v5, v32, v6
	v_add_f32_e32 v6, v2, v4
	v_mul_f32_e32 v2, v34, v9
	v_add_f32_e32 v7, v3, v5
	v_fma_f32 v31, v33, v8, -v2
	ds_read_b128 v[2:5], v14 offset:64
	ds_read2_b64 v[27:30], v24 offset1:32
	v_mul_f32_e32 v9, v33, v9
	v_fmac_f32_e32 v9, v34, v8
	v_add_f32_e32 v31, v6, v31
	v_add_f32_e32 v32, v7, v9
	s_waitcnt lgkmcnt(0)
	v_mul_f32_e32 v33, v28, v3
	v_mul_f32_e32 v3, v27, v3
	v_fma_f32 v33, v27, v2, -v33
	v_fmac_f32_e32 v3, v28, v2
	ds_read_b128 v[6:9], v14 offset:80
	v_add_f32_e32 v2, v31, v33
	v_add_f32_e32 v3, v32, v3
	ds_read2_b64 v[31:34], v24 offset0:64 offset1:96
	v_mul_f32_e32 v27, v30, v5
	v_mul_f32_e32 v5, v29, v5
	v_fma_f32 v27, v29, v4, -v27
	v_fmac_f32_e32 v5, v30, v4
	s_waitcnt lgkmcnt(0)
	v_mul_f32_e32 v4, v32, v7
	v_add_f32_e32 v2, v2, v27
	v_add_f32_e32 v3, v3, v5
	v_fma_f32 v4, v31, v6, -v4
	v_mul_f32_e32 v5, v31, v7
	v_fmac_f32_e32 v5, v32, v6
	v_add_f32_e32 v6, v2, v4
	v_mul_f32_e32 v2, v34, v9
	v_add_f32_e32 v7, v3, v5
	v_fma_f32 v31, v33, v8, -v2
	ds_read_b128 v[2:5], v14 offset:96
	ds_read2_b64 v[27:30], v24 offset0:128 offset1:160
	v_mul_f32_e32 v9, v33, v9
	v_fmac_f32_e32 v9, v34, v8
	v_add_f32_e32 v31, v6, v31
	v_add_f32_e32 v32, v7, v9
	s_waitcnt lgkmcnt(0)
	v_mul_f32_e32 v33, v28, v3
	v_mul_f32_e32 v3, v27, v3
	v_fma_f32 v33, v27, v2, -v33
	v_fmac_f32_e32 v3, v28, v2
	ds_read_b128 v[6:9], v14 offset:112
	v_add_f32_e32 v2, v31, v33
	v_add_f32_e32 v3, v32, v3
	ds_read2_b64 v[31:34], v24 offset0:192 offset1:224
	v_mul_f32_e32 v27, v30, v5
	v_mul_f32_e32 v5, v29, v5
	v_fma_f32 v27, v29, v4, -v27
	v_fmac_f32_e32 v5, v30, v4
	s_waitcnt lgkmcnt(0)
	v_mul_f32_e32 v4, v32, v7
	v_add_f32_e32 v2, v2, v27
	v_add_f32_e32 v3, v3, v5
	v_fma_f32 v4, v31, v6, -v4
	v_mul_f32_e32 v5, v31, v7
	v_fmac_f32_e32 v5, v32, v6
	v_add_f32_e32 v6, v2, v4
	v_mul_f32_e32 v2, v34, v9
	v_add_f32_e32 v7, v3, v5
	v_fma_f32 v31, v33, v8, -v2
	ds_read_b128 v[2:5], v14 offset:128
	ds_read2_b64 v[27:30], v25 offset1:32
	v_mul_f32_e32 v9, v33, v9
	v_fmac_f32_e32 v9, v34, v8
	v_add_f32_e32 v6, v6, v31
	ds_read_b128 v[31:34], v14 offset:144
	ds_read2_b64 v[35:38], v25 offset0:64 offset1:96
	s_waitcnt lgkmcnt(2)
	v_mul_f32_e32 v8, v28, v3
	v_fma_f32 v8, v27, v2, -v8
	v_mul_f32_e32 v3, v27, v3
	v_add_f32_e32 v7, v7, v9
	v_fmac_f32_e32 v3, v28, v2
	v_add_f32_e32 v2, v6, v8
	v_mul_f32_e32 v6, v30, v5
	v_mul_f32_e32 v5, v29, v5
	v_add_f32_e32 v3, v7, v3
	v_fma_f32 v6, v29, v4, -v6
	v_fmac_f32_e32 v5, v30, v4
	s_waitcnt lgkmcnt(0)
	v_mul_f32_e32 v4, v36, v32
	v_add_f32_e32 v2, v2, v6
	v_add_f32_e32 v3, v3, v5
	v_fma_f32 v4, v35, v31, -v4
	v_mul_f32_e32 v5, v35, v32
	v_fmac_f32_e32 v5, v36, v31
	v_add_f32_e32 v27, v2, v4
	v_mul_f32_e32 v2, v38, v34
	v_add_f32_e32 v28, v3, v5
	v_fma_f32 v29, v37, v33, -v2
	ds_read_b128 v[2:5], v14 offset:160
	ds_read2_b64 v[6:9], v25 offset0:128 offset1:160
	global_load_dwordx2 v[35:36], v[10:11], off
	v_mul_f32_e32 v30, v37, v34
	v_fmac_f32_e32 v30, v38, v33
	v_add_f32_e32 v31, v27, v29
	s_waitcnt lgkmcnt(0)
	v_mul_f32_e32 v33, v7, v3
	v_mul_f32_e32 v3, v6, v3
	v_add_f32_e32 v32, v28, v30
	v_fma_f32 v33, v6, v2, -v33
	v_fmac_f32_e32 v3, v7, v2
	ds_read_b128 v[27:30], v14 offset:176
	v_add_f32_e32 v2, v31, v33
	v_add_f32_e32 v3, v32, v3
	ds_read2_b64 v[31:34], v25 offset0:192 offset1:224
	v_mul_f32_e32 v6, v9, v5
	v_mul_f32_e32 v5, v8, v5
	v_fma_f32 v6, v8, v4, -v6
	v_fmac_f32_e32 v5, v9, v4
	s_waitcnt lgkmcnt(0)
	v_mul_f32_e32 v4, v32, v28
	v_add_f32_e32 v2, v2, v6
	v_add_f32_e32 v3, v3, v5
	v_fma_f32 v4, v31, v27, -v4
	v_mul_f32_e32 v5, v31, v28
	v_fmac_f32_e32 v5, v32, v27
	v_add_f32_e32 v27, v2, v4
	v_mul_f32_e32 v2, v34, v30
	v_add_f32_e32 v28, v3, v5
	v_fma_f32 v31, v33, v29, -v2
	ds_read_b128 v[2:5], v14 offset:192
	ds_read2_b64 v[6:9], v26 offset1:32
	v_mul_f32_e32 v30, v33, v30
	v_fmac_f32_e32 v30, v34, v29
	v_add_f32_e32 v31, v27, v31
	v_add_f32_e32 v32, v28, v30
	s_waitcnt lgkmcnt(0)
	v_mul_f32_e32 v33, v7, v3
	v_mul_f32_e32 v3, v6, v3
	v_fma_f32 v33, v6, v2, -v33
	v_fmac_f32_e32 v3, v7, v2
	ds_read_b128 v[27:30], v14 offset:208
	v_add_f32_e32 v2, v31, v33
	v_add_f32_e32 v3, v32, v3
	ds_read2_b64 v[31:34], v26 offset0:64 offset1:96
	v_mul_f32_e32 v6, v9, v5
	v_mul_f32_e32 v5, v8, v5
	v_fma_f32 v6, v8, v4, -v6
	v_fmac_f32_e32 v5, v9, v4
	s_waitcnt lgkmcnt(0)
	v_mul_f32_e32 v4, v32, v28
	v_add_f32_e32 v2, v2, v6
	v_add_f32_e32 v3, v3, v5
	v_fma_f32 v4, v31, v27, -v4
	v_mul_f32_e32 v5, v31, v28
	v_fmac_f32_e32 v5, v32, v27
	v_add_f32_e32 v27, v2, v4
	v_mul_f32_e32 v2, v34, v30
	v_add_f32_e32 v28, v3, v5
	v_fma_f32 v31, v33, v29, -v2
	ds_read_b128 v[2:5], v14 offset:224
	ds_read2_b64 v[6:9], v26 offset0:128 offset1:160
	v_mul_f32_e32 v30, v33, v30
	v_fmac_f32_e32 v30, v34, v29
	v_add_f32_e32 v31, v27, v31
	v_add_f32_e32 v32, v28, v30
	s_waitcnt lgkmcnt(0)
	v_mul_f32_e32 v33, v7, v3
	v_mul_f32_e32 v3, v6, v3
	v_fma_f32 v33, v6, v2, -v33
	v_fmac_f32_e32 v3, v7, v2
	ds_read_b128 v[27:30], v14 offset:240
	v_add_f32_e32 v2, v31, v33
	v_add_f32_e32 v3, v32, v3
	ds_read2_b64 v[31:34], v26 offset0:192 offset1:224
	v_mul_f32_e32 v6, v9, v5
	v_mul_f32_e32 v5, v8, v5
	v_fma_f32 v6, v8, v4, -v6
	v_fmac_f32_e32 v5, v9, v4
	s_waitcnt lgkmcnt(0)
	v_mul_f32_e32 v4, v32, v28
	v_add_f32_e32 v2, v2, v6
	v_add_f32_e32 v3, v3, v5
	v_fma_f32 v4, v31, v27, -v4
	v_mul_f32_e32 v5, v31, v28
	v_fmac_f32_e32 v5, v32, v27
	v_add_f32_e32 v2, v2, v4
	v_mul_f32_e32 v4, v34, v30
	v_add_f32_e32 v3, v3, v5
	v_fma_f32 v4, v33, v29, -v4
	v_mul_f32_e32 v5, v33, v30
	v_fmac_f32_e32 v5, v34, v29
	v_add_f32_e32 v2, v2, v4
	v_add_f32_e32 v3, v3, v5
	v_mul_f32_e32 v4, s15, v2
	v_mul_f32_e32 v2, s16, v2
	v_fmac_f32_e32 v4, s16, v3
	v_fma_f32 v3, s15, v3, -v2
	s_waitcnt vmcnt(0)
	v_add_f32_e32 v2, v35, v4
	v_add_f32_e32 v3, v36, v3
	global_store_dwordx2 v[10:11], v[2:3], off
	s_branch .LBB1928_4
.LBB1928_17:
	s_endpgm
	.section	.rodata,"a",@progbits
	.p2align	6, 0x0
	.amdhsa_kernel _ZL26rocblas_syr2k_her2k_kernelIiLb1ELb1ELb0ELi32E19rocblas_complex_numIfEPKS1_PS1_EvbiT_T4_T5_S5_lS7_S5_lT6_S5_li
		.amdhsa_group_segment_fixed_size 16384
		.amdhsa_private_segment_fixed_size 0
		.amdhsa_kernarg_size 100
		.amdhsa_user_sgpr_count 6
		.amdhsa_user_sgpr_private_segment_buffer 1
		.amdhsa_user_sgpr_dispatch_ptr 0
		.amdhsa_user_sgpr_queue_ptr 0
		.amdhsa_user_sgpr_kernarg_segment_ptr 1
		.amdhsa_user_sgpr_dispatch_id 0
		.amdhsa_user_sgpr_flat_scratch_init 0
		.amdhsa_user_sgpr_private_segment_size 0
		.amdhsa_uses_dynamic_stack 0
		.amdhsa_system_sgpr_private_segment_wavefront_offset 0
		.amdhsa_system_sgpr_workgroup_id_x 1
		.amdhsa_system_sgpr_workgroup_id_y 1
		.amdhsa_system_sgpr_workgroup_id_z 1
		.amdhsa_system_sgpr_workgroup_info 0
		.amdhsa_system_vgpr_workitem_id 1
		.amdhsa_next_free_vgpr 42
		.amdhsa_next_free_sgpr 61
		.amdhsa_reserve_vcc 1
		.amdhsa_reserve_flat_scratch 0
		.amdhsa_float_round_mode_32 0
		.amdhsa_float_round_mode_16_64 0
		.amdhsa_float_denorm_mode_32 3
		.amdhsa_float_denorm_mode_16_64 3
		.amdhsa_dx10_clamp 1
		.amdhsa_ieee_mode 1
		.amdhsa_fp16_overflow 0
		.amdhsa_exception_fp_ieee_invalid_op 0
		.amdhsa_exception_fp_denorm_src 0
		.amdhsa_exception_fp_ieee_div_zero 0
		.amdhsa_exception_fp_ieee_overflow 0
		.amdhsa_exception_fp_ieee_underflow 0
		.amdhsa_exception_fp_ieee_inexact 0
		.amdhsa_exception_int_div_zero 0
	.end_amdhsa_kernel
	.section	.text._ZL26rocblas_syr2k_her2k_kernelIiLb1ELb1ELb0ELi32E19rocblas_complex_numIfEPKS1_PS1_EvbiT_T4_T5_S5_lS7_S5_lT6_S5_li,"axG",@progbits,_ZL26rocblas_syr2k_her2k_kernelIiLb1ELb1ELb0ELi32E19rocblas_complex_numIfEPKS1_PS1_EvbiT_T4_T5_S5_lS7_S5_lT6_S5_li,comdat
.Lfunc_end1928:
	.size	_ZL26rocblas_syr2k_her2k_kernelIiLb1ELb1ELb0ELi32E19rocblas_complex_numIfEPKS1_PS1_EvbiT_T4_T5_S5_lS7_S5_lT6_S5_li, .Lfunc_end1928-_ZL26rocblas_syr2k_her2k_kernelIiLb1ELb1ELb0ELi32E19rocblas_complex_numIfEPKS1_PS1_EvbiT_T4_T5_S5_lS7_S5_lT6_S5_li
                                        ; -- End function
	.set _ZL26rocblas_syr2k_her2k_kernelIiLb1ELb1ELb0ELi32E19rocblas_complex_numIfEPKS1_PS1_EvbiT_T4_T5_S5_lS7_S5_lT6_S5_li.num_vgpr, 42
	.set _ZL26rocblas_syr2k_her2k_kernelIiLb1ELb1ELb0ELi32E19rocblas_complex_numIfEPKS1_PS1_EvbiT_T4_T5_S5_lS7_S5_lT6_S5_li.num_agpr, 0
	.set _ZL26rocblas_syr2k_her2k_kernelIiLb1ELb1ELb0ELi32E19rocblas_complex_numIfEPKS1_PS1_EvbiT_T4_T5_S5_lS7_S5_lT6_S5_li.numbered_sgpr, 28
	.set _ZL26rocblas_syr2k_her2k_kernelIiLb1ELb1ELb0ELi32E19rocblas_complex_numIfEPKS1_PS1_EvbiT_T4_T5_S5_lS7_S5_lT6_S5_li.num_named_barrier, 0
	.set _ZL26rocblas_syr2k_her2k_kernelIiLb1ELb1ELb0ELi32E19rocblas_complex_numIfEPKS1_PS1_EvbiT_T4_T5_S5_lS7_S5_lT6_S5_li.private_seg_size, 0
	.set _ZL26rocblas_syr2k_her2k_kernelIiLb1ELb1ELb0ELi32E19rocblas_complex_numIfEPKS1_PS1_EvbiT_T4_T5_S5_lS7_S5_lT6_S5_li.uses_vcc, 1
	.set _ZL26rocblas_syr2k_her2k_kernelIiLb1ELb1ELb0ELi32E19rocblas_complex_numIfEPKS1_PS1_EvbiT_T4_T5_S5_lS7_S5_lT6_S5_li.uses_flat_scratch, 0
	.set _ZL26rocblas_syr2k_her2k_kernelIiLb1ELb1ELb0ELi32E19rocblas_complex_numIfEPKS1_PS1_EvbiT_T4_T5_S5_lS7_S5_lT6_S5_li.has_dyn_sized_stack, 0
	.set _ZL26rocblas_syr2k_her2k_kernelIiLb1ELb1ELb0ELi32E19rocblas_complex_numIfEPKS1_PS1_EvbiT_T4_T5_S5_lS7_S5_lT6_S5_li.has_recursion, 0
	.set _ZL26rocblas_syr2k_her2k_kernelIiLb1ELb1ELb0ELi32E19rocblas_complex_numIfEPKS1_PS1_EvbiT_T4_T5_S5_lS7_S5_lT6_S5_li.has_indirect_call, 0
	.section	.AMDGPU.csdata,"",@progbits
; Kernel info:
; codeLenInByte = 3436
; TotalNumSgprs: 32
; NumVgprs: 42
; ScratchSize: 0
; MemoryBound: 0
; FloatMode: 240
; IeeeMode: 1
; LDSByteSize: 16384 bytes/workgroup (compile time only)
; SGPRBlocks: 8
; VGPRBlocks: 10
; NumSGPRsForWavesPerEU: 65
; NumVGPRsForWavesPerEU: 42
; Occupancy: 5
; WaveLimiterHint : 0
; COMPUTE_PGM_RSRC2:SCRATCH_EN: 0
; COMPUTE_PGM_RSRC2:USER_SGPR: 6
; COMPUTE_PGM_RSRC2:TRAP_HANDLER: 0
; COMPUTE_PGM_RSRC2:TGID_X_EN: 1
; COMPUTE_PGM_RSRC2:TGID_Y_EN: 1
; COMPUTE_PGM_RSRC2:TGID_Z_EN: 1
; COMPUTE_PGM_RSRC2:TIDIG_COMP_CNT: 1
	.section	.text._ZL26rocblas_syr2k_her2k_kernelIiLb1ELb1ELb1ELi32E19rocblas_complex_numIfEPKS1_PS1_EvbiT_T4_T5_S5_lS7_S5_lT6_S5_li,"axG",@progbits,_ZL26rocblas_syr2k_her2k_kernelIiLb1ELb1ELb1ELi32E19rocblas_complex_numIfEPKS1_PS1_EvbiT_T4_T5_S5_lS7_S5_lT6_S5_li,comdat
	.globl	_ZL26rocblas_syr2k_her2k_kernelIiLb1ELb1ELb1ELi32E19rocblas_complex_numIfEPKS1_PS1_EvbiT_T4_T5_S5_lS7_S5_lT6_S5_li ; -- Begin function _ZL26rocblas_syr2k_her2k_kernelIiLb1ELb1ELb1ELi32E19rocblas_complex_numIfEPKS1_PS1_EvbiT_T4_T5_S5_lS7_S5_lT6_S5_li
	.p2align	8
	.type	_ZL26rocblas_syr2k_her2k_kernelIiLb1ELb1ELb1ELi32E19rocblas_complex_numIfEPKS1_PS1_EvbiT_T4_T5_S5_lS7_S5_lT6_S5_li,@function
_ZL26rocblas_syr2k_her2k_kernelIiLb1ELb1ELb1ELi32E19rocblas_complex_numIfEPKS1_PS1_EvbiT_T4_T5_S5_lS7_S5_lT6_S5_li: ; @_ZL26rocblas_syr2k_her2k_kernelIiLb1ELb1ELb1ELi32E19rocblas_complex_numIfEPKS1_PS1_EvbiT_T4_T5_S5_lS7_S5_lT6_S5_li
; %bb.0:
	s_load_dwordx4 s[12:15], s[4:5], 0x0
	s_load_dword s16, s[4:5], 0x10
	s_waitcnt lgkmcnt(0)
	v_cmp_eq_f32_e64 s[0:1], s15, 0
	v_cmp_eq_f32_e64 s[2:3], s16, 0
	s_and_b64 s[0:1], s[0:1], s[2:3]
	s_and_b64 vcc, exec, s[0:1]
	s_cbranch_vccnz .LBB1929_17
; %bb.1:
	s_and_b32 s2, 1, s12
	s_lshl_b32 s0, s7, 5
	s_lshl_b32 s1, s6, 5
	s_cmp_eq_u32 s2, 1
	s_cselect_b64 vcc, -1, 0
	s_and_b64 s[2:3], vcc, exec
	s_cselect_b32 s2, s1, s0
	s_cselect_b32 s3, s0, s1
	s_cmp_gt_i32 s2, s3
	s_cbranch_scc1 .LBB1929_17
; %bb.2:
	s_cmp_lt_i32 s14, 1
	s_cbranch_scc1 .LBB1929_17
; %bb.3:
	v_add_u32_e32 v2, s1, v0
	s_load_dwordx2 s[2:3], s[4:5], 0x18
	s_load_dword s9, s[4:5], 0x20
	s_load_dwordx4 s[20:23], s[4:5], 0x28
	s_load_dword s10, s[4:5], 0x38
	s_load_dwordx4 s[24:27], s[4:5], 0x40
	s_load_dword s11, s[4:5], 0x50
	s_load_dwordx2 s[6:7], s[4:5], 0x58
	v_add_u32_e32 v7, s0, v1
	s_waitcnt lgkmcnt(0)
	v_mad_i64_i32 v[4:5], s[0:1], s9, v2, 0
	s_mul_i32 s4, s21, s8
	s_mul_hi_u32 s5, s20, s8
	s_add_i32 s5, s5, s4
	s_mul_i32 s4, s20, s8
	s_lshl_b64 s[4:5], s[4:5], 3
	s_add_u32 s12, s2, s4
	v_lshlrev_b64 v[4:5], 3, v[4:5]
	s_addc_u32 s17, s3, s5
	s_mul_i32 s2, s25, s8
	s_mul_hi_u32 s3, s24, s8
	s_add_i32 s3, s3, s2
	s_mul_i32 s2, s24, s8
	v_mov_b32_e32 v9, s17
	v_add_co_u32_e64 v16, s[0:1], s12, v4
	s_lshl_b64 s[2:3], s[2:3], 3
	v_addc_co_u32_e64 v17, s[0:1], v9, v5, s[0:1]
	v_mad_i64_i32 v[4:5], s[0:1], s10, v7, 0
	s_add_u32 s18, s22, s2
	s_addc_u32 s19, s23, s3
	s_mul_i32 s2, s7, s8
	s_mul_hi_u32 s3, s6, s8
	s_add_i32 s3, s3, s2
	s_mul_i32 s2, s6, s8
	s_lshl_b64 s[2:3], s[2:3], 3
	v_lshlrev_b64 v[4:5], 3, v[4:5]
	s_add_u32 s6, s26, s2
	s_addc_u32 s7, s27, s3
	v_mov_b32_e32 v10, s19
	v_add_co_u32_e64 v20, s[2:3], s18, v4
	v_addc_co_u32_e64 v21, s[2:3], v10, v5, s[2:3]
	v_mad_i64_i32 v[4:5], s[2:3], s11, v7, 0
	v_cndmask_b32_e32 v6, v2, v7, vcc
	v_cndmask_b32_e32 v8, v7, v2, vcc
	v_cmp_gt_i32_e32 vcc, s13, v2
	v_cmp_gt_i32_e64 s[0:1], s13, v7
	v_lshlrev_b64 v[4:5], 3, v[4:5]
	v_cmp_le_i32_e64 s[2:3], v8, v6
	s_and_b64 s[4:5], s[0:1], vcc
	v_lshlrev_b32_e32 v18, 8, v0
	v_lshlrev_b32_e32 v9, 3, v1
	s_and_b64 s[4:5], s[4:5], s[2:3]
	v_mov_b32_e32 v6, s7
	v_add_co_u32_e64 v8, s[2:3], s6, v4
	v_ashrrev_i32_e32 v3, 31, v2
	v_add_u32_e32 v19, v18, v9
	v_or_b32_e32 v22, 0x2000, v9
	v_addc_co_u32_e64 v9, s[2:3], v6, v5, s[2:3]
	v_mad_i64_i32 v[5:6], s[2:3], s10, v2, 0
	v_lshlrev_b64 v[3:4], 3, v[2:3]
	v_add_u32_e32 v23, v22, v18
	v_add_co_u32_e64 v10, s[2:3], v8, v3
	v_addc_co_u32_e64 v11, s[2:3], v9, v4, s[2:3]
	v_lshlrev_b64 v[2:3], 3, v[5:6]
	v_mad_i64_i32 v[4:5], s[2:3], s9, v7, 0
	v_mov_b32_e32 v6, s19
	v_add_co_u32_e64 v24, s[2:3], s18, v2
	v_addc_co_u32_e64 v25, s[2:3], v6, v3, s[2:3]
	v_lshlrev_b64 v[2:3], 3, v[4:5]
	v_mov_b32_e32 v4, s17
	v_add_co_u32_e64 v26, s[2:3], s12, v2
	v_addc_co_u32_e64 v27, s[2:3], v4, v3, s[2:3]
	s_mov_b32 s12, 0
	v_add_u32_e32 v28, 0x800, v22
	v_add_u32_e32 v29, 0x1000, v22
	s_branch .LBB1929_5
.LBB1929_4:                             ;   in Loop: Header=BB1929_5 Depth=1
	s_or_b64 exec, exec, s[2:3]
	s_add_i32 s12, s12, 32
	s_cmp_lt_i32 s12, s14
	s_waitcnt vmcnt(0)
	s_barrier
	s_cbranch_scc0 .LBB1929_17
.LBB1929_5:                             ; =>This Inner Loop Header: Depth=1
	v_add_u32_e32 v12, s12, v1
	v_cmp_gt_i32_e64 s[2:3], s14, v12
	s_and_b64 s[6:7], vcc, s[2:3]
	v_mov_b32_e32 v4, 0
	v_mov_b32_e32 v2, 0
	;; [unrolled: 1-line block ×3, first 2 shown]
	s_and_saveexec_b64 s[8:9], s[6:7]
	s_cbranch_execz .LBB1929_7
; %bb.6:                                ;   in Loop: Header=BB1929_5 Depth=1
	v_ashrrev_i32_e32 v13, 31, v12
	v_lshlrev_b64 v[3:4], 3, v[12:13]
	v_add_co_u32_e64 v3, s[2:3], v16, v3
	v_addc_co_u32_e64 v4, s[2:3], v17, v4, s[2:3]
	global_load_dwordx2 v[3:4], v[3:4], off
	s_waitcnt vmcnt(0)
	v_xor_b32_e32 v4, 0x80000000, v4
.LBB1929_7:                             ;   in Loop: Header=BB1929_5 Depth=1
	s_or_b64 exec, exec, s[8:9]
	v_add_u32_e32 v14, s12, v0
	v_cmp_gt_i32_e64 s[2:3], s14, v14
	ds_write_b64 v19, v[3:4]
	s_and_b64 s[8:9], s[0:1], s[2:3]
	v_mov_b32_e32 v3, 0
	s_and_saveexec_b64 s[10:11], s[8:9]
	s_cbranch_execz .LBB1929_9
; %bb.8:                                ;   in Loop: Header=BB1929_5 Depth=1
	v_ashrrev_i32_e32 v15, 31, v14
	v_lshlrev_b64 v[2:3], 3, v[14:15]
	v_add_co_u32_e64 v2, s[2:3], v20, v2
	v_addc_co_u32_e64 v3, s[2:3], v21, v3, s[2:3]
	global_load_dwordx2 v[2:3], v[2:3], off
.LBB1929_9:                             ;   in Loop: Header=BB1929_5 Depth=1
	s_or_b64 exec, exec, s[10:11]
	s_waitcnt vmcnt(0)
	ds_write_b64 v23, v[2:3]
	s_waitcnt lgkmcnt(0)
	s_barrier
	s_and_saveexec_b64 s[2:3], s[4:5]
	s_cbranch_execz .LBB1929_11
; %bb.10:                               ;   in Loop: Header=BB1929_5 Depth=1
	ds_read2_b64 v[2:5], v22 offset1:32
	ds_read_b128 v[6:9], v18
	ds_read_b128 v[30:33], v18 offset:16
	s_waitcnt lgkmcnt(1)
	v_mul_f32_e32 v13, v3, v7
	v_mul_f32_e32 v15, v2, v7
	v_fma_f32 v13, v2, v6, -v13
	v_mul_f32_e32 v2, v5, v9
	v_mul_f32_e32 v39, v4, v9
	v_fmac_f32_e32 v15, v3, v6
	v_fma_f32 v38, v4, v8, -v2
	v_fmac_f32_e32 v39, v5, v8
	ds_read_b128 v[2:5], v18 offset:32
	ds_read_b128 v[6:9], v18 offset:48
	ds_read2_b64 v[34:37], v22 offset0:64 offset1:96
	v_add_f32_e32 v13, 0, v13
	v_add_f32_e32 v13, v13, v38
	;; [unrolled: 1-line block ×4, first 2 shown]
	s_waitcnt lgkmcnt(0)
	v_mul_f32_e32 v38, v35, v31
	v_fma_f32 v38, v34, v30, -v38
	v_mul_f32_e32 v34, v34, v31
	v_fmac_f32_e32 v34, v35, v30
	v_mul_f32_e32 v30, v37, v33
	v_fma_f32 v35, v36, v32, -v30
	v_mul_f32_e32 v36, v36, v33
	v_fmac_f32_e32 v36, v37, v32
	ds_read2_b64 v[30:33], v22 offset0:128 offset1:160
	v_add_f32_e32 v13, v13, v38
	v_add_f32_e32 v15, v15, v34
	;; [unrolled: 1-line block ×4, first 2 shown]
	s_waitcnt lgkmcnt(0)
	v_mul_f32_e32 v34, v31, v3
	v_fma_f32 v34, v30, v2, -v34
	v_mul_f32_e32 v3, v30, v3
	v_fmac_f32_e32 v3, v31, v2
	v_add_f32_e32 v2, v13, v34
	ds_read2_b64 v[34:37], v22 offset0:192 offset1:224
	v_mul_f32_e32 v13, v33, v5
	v_mul_f32_e32 v5, v32, v5
	v_add_f32_e32 v3, v15, v3
	v_fma_f32 v13, v32, v4, -v13
	v_fmac_f32_e32 v5, v33, v4
	s_waitcnt lgkmcnt(0)
	v_mul_f32_e32 v4, v35, v7
	v_add_f32_e32 v2, v2, v13
	v_add_f32_e32 v3, v3, v5
	v_fma_f32 v4, v34, v6, -v4
	v_mul_f32_e32 v5, v34, v7
	v_fmac_f32_e32 v5, v35, v6
	v_add_f32_e32 v6, v2, v4
	v_mul_f32_e32 v2, v37, v9
	v_add_f32_e32 v7, v3, v5
	v_fma_f32 v13, v36, v8, -v2
	ds_read_b128 v[2:5], v18 offset:64
	ds_read2_b64 v[30:33], v28 offset1:32
	v_mul_f32_e32 v9, v36, v9
	v_fmac_f32_e32 v9, v37, v8
	v_add_f32_e32 v13, v6, v13
	v_add_f32_e32 v15, v7, v9
	s_waitcnt lgkmcnt(0)
	v_mul_f32_e32 v34, v31, v3
	v_fma_f32 v34, v30, v2, -v34
	v_mul_f32_e32 v3, v30, v3
	ds_read_b128 v[6:9], v18 offset:80
	v_fmac_f32_e32 v3, v31, v2
	v_add_f32_e32 v2, v13, v34
	ds_read2_b64 v[34:37], v28 offset0:64 offset1:96
	v_mul_f32_e32 v13, v33, v5
	v_mul_f32_e32 v5, v32, v5
	v_add_f32_e32 v3, v15, v3
	v_fma_f32 v13, v32, v4, -v13
	v_fmac_f32_e32 v5, v33, v4
	s_waitcnt lgkmcnt(0)
	v_mul_f32_e32 v4, v35, v7
	v_add_f32_e32 v2, v2, v13
	v_add_f32_e32 v3, v3, v5
	v_fma_f32 v4, v34, v6, -v4
	v_mul_f32_e32 v5, v34, v7
	v_fmac_f32_e32 v5, v35, v6
	v_add_f32_e32 v6, v2, v4
	v_mul_f32_e32 v2, v37, v9
	v_add_f32_e32 v7, v3, v5
	v_fma_f32 v13, v36, v8, -v2
	ds_read_b128 v[2:5], v18 offset:96
	ds_read2_b64 v[30:33], v28 offset0:128 offset1:160
	v_mul_f32_e32 v9, v36, v9
	v_fmac_f32_e32 v9, v37, v8
	v_add_f32_e32 v13, v6, v13
	v_add_f32_e32 v15, v7, v9
	s_waitcnt lgkmcnt(0)
	v_mul_f32_e32 v34, v31, v3
	v_fma_f32 v34, v30, v2, -v34
	v_mul_f32_e32 v3, v30, v3
	ds_read_b128 v[6:9], v18 offset:112
	v_fmac_f32_e32 v3, v31, v2
	v_add_f32_e32 v2, v13, v34
	ds_read2_b64 v[34:37], v28 offset0:192 offset1:224
	v_mul_f32_e32 v13, v33, v5
	v_mul_f32_e32 v5, v32, v5
	v_add_f32_e32 v3, v15, v3
	v_fma_f32 v13, v32, v4, -v13
	v_fmac_f32_e32 v5, v33, v4
	s_waitcnt lgkmcnt(0)
	v_mul_f32_e32 v4, v35, v7
	v_add_f32_e32 v2, v2, v13
	v_add_f32_e32 v3, v3, v5
	v_fma_f32 v4, v34, v6, -v4
	v_mul_f32_e32 v5, v34, v7
	v_fmac_f32_e32 v5, v35, v6
	v_add_f32_e32 v6, v2, v4
	v_mul_f32_e32 v2, v37, v9
	v_add_f32_e32 v7, v3, v5
	v_fma_f32 v13, v36, v8, -v2
	ds_read_b128 v[2:5], v18 offset:128
	ds_read2_b64 v[30:33], v29 offset1:32
	v_mul_f32_e32 v9, v36, v9
	v_fmac_f32_e32 v9, v37, v8
	ds_read_b128 v[34:37], v18 offset:144
	ds_read2_b64 v[38:41], v29 offset0:64 offset1:96
	s_waitcnt lgkmcnt(2)
	v_mul_f32_e32 v8, v31, v3
	v_add_f32_e32 v6, v6, v13
	v_fma_f32 v8, v30, v2, -v8
	v_mul_f32_e32 v3, v30, v3
	v_add_f32_e32 v7, v7, v9
	v_fmac_f32_e32 v3, v31, v2
	v_add_f32_e32 v2, v6, v8
	v_mul_f32_e32 v6, v33, v5
	v_mul_f32_e32 v5, v32, v5
	v_add_f32_e32 v3, v7, v3
	v_fma_f32 v6, v32, v4, -v6
	v_fmac_f32_e32 v5, v33, v4
	s_waitcnt lgkmcnt(0)
	v_mul_f32_e32 v4, v39, v35
	v_add_f32_e32 v2, v2, v6
	v_add_f32_e32 v3, v3, v5
	v_fma_f32 v4, v38, v34, -v4
	v_mul_f32_e32 v5, v38, v35
	v_fmac_f32_e32 v5, v39, v34
	v_add_f32_e32 v13, v2, v4
	v_mul_f32_e32 v2, v41, v37
	v_add_f32_e32 v15, v3, v5
	v_fma_f32 v30, v40, v36, -v2
	ds_read_b128 v[2:5], v18 offset:160
	ds_read2_b64 v[6:9], v29 offset0:128 offset1:160
	global_load_dwordx2 v[38:39], v[10:11], off
	v_mul_f32_e32 v31, v40, v37
	v_fmac_f32_e32 v31, v41, v36
	v_add_f32_e32 v13, v13, v30
	s_waitcnt lgkmcnt(0)
	v_mul_f32_e32 v34, v7, v3
	v_fma_f32 v34, v6, v2, -v34
	v_mul_f32_e32 v3, v6, v3
	v_add_f32_e32 v15, v15, v31
	ds_read_b128 v[30:33], v18 offset:176
	v_fmac_f32_e32 v3, v7, v2
	v_add_f32_e32 v2, v13, v34
	ds_read2_b64 v[34:37], v29 offset0:192 offset1:224
	v_mul_f32_e32 v6, v9, v5
	v_mul_f32_e32 v5, v8, v5
	v_add_f32_e32 v3, v15, v3
	v_fmac_f32_e32 v5, v9, v4
	v_fma_f32 v6, v8, v4, -v6
	v_add_f32_e32 v13, v3, v5
	s_waitcnt lgkmcnt(0)
	v_mul_f32_e32 v3, v35, v31
	v_add_f32_e32 v2, v2, v6
	v_fma_f32 v3, v34, v30, -v3
	v_mul_f32_e32 v15, v34, v31
	v_fmac_f32_e32 v15, v35, v30
	v_add_f32_e32 v30, v2, v3
	v_mul_f32_e32 v2, v37, v33
	v_add_u32_e32 v34, 0x1800, v22
	v_fma_f32 v31, v36, v32, -v2
	ds_read_b128 v[2:5], v18 offset:192
	ds_read2_b64 v[6:9], v34 offset1:32
	v_mul_f32_e32 v33, v36, v33
	v_fmac_f32_e32 v33, v37, v32
	v_add_f32_e32 v13, v13, v15
	v_add_f32_e32 v15, v30, v31
	;; [unrolled: 1-line block ×3, first 2 shown]
	ds_read_b128 v[30:33], v18 offset:208
	s_waitcnt lgkmcnt(1)
	v_mul_f32_e32 v35, v7, v3
	v_fma_f32 v35, v6, v2, -v35
	v_mul_f32_e32 v6, v6, v3
	v_fmac_f32_e32 v6, v7, v2
	v_mul_f32_e32 v2, v9, v5
	v_fma_f32 v7, v8, v4, -v2
	v_mul_f32_e32 v8, v8, v5
	v_fmac_f32_e32 v8, v9, v4
	ds_read2_b64 v[2:5], v34 offset0:64 offset1:96
	v_add_f32_e32 v6, v13, v6
	v_add_f32_e32 v9, v15, v35
	;; [unrolled: 1-line block ×4, first 2 shown]
	s_waitcnt lgkmcnt(0)
	v_mul_f32_e32 v6, v3, v31
	v_fma_f32 v6, v2, v30, -v6
	v_mul_f32_e32 v15, v2, v31
	v_mul_f32_e32 v2, v5, v33
	;; [unrolled: 1-line block ×3, first 2 shown]
	v_fmac_f32_e32 v15, v3, v30
	v_add_f32_e32 v30, v7, v6
	v_fma_f32 v31, v4, v32, -v2
	v_fmac_f32_e32 v33, v5, v32
	ds_read_b128 v[2:5], v18 offset:224
	ds_read2_b64 v[6:9], v34 offset0:128 offset1:160
	v_add_f32_e32 v13, v13, v15
	v_add_f32_e32 v15, v30, v31
	;; [unrolled: 1-line block ×3, first 2 shown]
	ds_read_b128 v[30:33], v18 offset:240
	s_waitcnt lgkmcnt(1)
	v_mul_f32_e32 v35, v7, v3
	v_fma_f32 v35, v6, v2, -v35
	v_mul_f32_e32 v3, v6, v3
	v_fmac_f32_e32 v3, v7, v2
	v_add_f32_e32 v2, v15, v35
	ds_read2_b64 v[34:37], v34 offset0:192 offset1:224
	v_mul_f32_e32 v6, v9, v5
	v_mul_f32_e32 v5, v8, v5
	v_add_f32_e32 v3, v13, v3
	v_fmac_f32_e32 v5, v9, v4
	v_add_f32_e32 v3, v3, v5
	s_waitcnt lgkmcnt(0)
	v_mul_f32_e32 v5, v34, v31
	v_fma_f32 v6, v8, v4, -v6
	v_mul_f32_e32 v4, v35, v31
	v_fmac_f32_e32 v5, v35, v30
	v_add_f32_e32 v2, v2, v6
	v_fma_f32 v4, v34, v30, -v4
	v_add_f32_e32 v3, v3, v5
	v_mul_f32_e32 v5, v36, v33
	v_add_f32_e32 v2, v2, v4
	v_mul_f32_e32 v4, v37, v33
	v_fmac_f32_e32 v5, v37, v32
	v_fma_f32 v4, v36, v32, -v4
	v_add_f32_e32 v3, v3, v5
	v_add_f32_e32 v2, v2, v4
	v_mul_f32_e32 v4, s16, v3
	v_mul_f32_e32 v3, s15, v3
	v_fma_f32 v4, s15, v2, -v4
	v_fmac_f32_e32 v3, s16, v2
	s_waitcnt vmcnt(0)
	v_add_f32_e32 v2, v38, v4
	v_add_f32_e32 v3, v39, v3
	global_store_dwordx2 v[10:11], v[2:3], off
.LBB1929_11:                            ;   in Loop: Header=BB1929_5 Depth=1
	s_or_b64 exec, exec, s[2:3]
	v_mov_b32_e32 v4, 0
	v_mov_b32_e32 v3, 0
	;; [unrolled: 1-line block ×3, first 2 shown]
	s_waitcnt vmcnt(0)
	s_barrier
	s_and_saveexec_b64 s[10:11], s[6:7]
	s_cbranch_execz .LBB1929_13
; %bb.12:                               ;   in Loop: Header=BB1929_5 Depth=1
	v_ashrrev_i32_e32 v13, 31, v12
	v_lshlrev_b64 v[4:5], 3, v[12:13]
	v_add_co_u32_e64 v4, s[2:3], v24, v4
	v_addc_co_u32_e64 v5, s[2:3], v25, v5, s[2:3]
	global_load_dwordx2 v[4:5], v[4:5], off
	s_waitcnt vmcnt(0)
	v_xor_b32_e32 v5, 0x80000000, v5
.LBB1929_13:                            ;   in Loop: Header=BB1929_5 Depth=1
	s_or_b64 exec, exec, s[10:11]
	v_mov_b32_e32 v2, 0
	ds_write_b64 v19, v[4:5]
	s_and_saveexec_b64 s[6:7], s[8:9]
	s_cbranch_execz .LBB1929_15
; %bb.14:                               ;   in Loop: Header=BB1929_5 Depth=1
	v_ashrrev_i32_e32 v15, 31, v14
	v_lshlrev_b64 v[2:3], 3, v[14:15]
	v_add_co_u32_e64 v2, s[2:3], v26, v2
	v_addc_co_u32_e64 v3, s[2:3], v27, v3, s[2:3]
	global_load_dwordx2 v[2:3], v[2:3], off
.LBB1929_15:                            ;   in Loop: Header=BB1929_5 Depth=1
	s_or_b64 exec, exec, s[6:7]
	s_waitcnt vmcnt(0)
	ds_write_b64 v23, v[2:3]
	s_waitcnt lgkmcnt(0)
	s_barrier
	s_and_saveexec_b64 s[2:3], s[4:5]
	s_cbranch_execz .LBB1929_4
; %bb.16:                               ;   in Loop: Header=BB1929_5 Depth=1
	ds_read2_b64 v[2:5], v22 offset1:32
	ds_read_b128 v[6:9], v18
	ds_read_b128 v[12:15], v18 offset:16
	ds_read_b128 v[30:33], v18 offset:32
	;; [unrolled: 1-line block ×3, first 2 shown]
	s_waitcnt lgkmcnt(3)
	v_mul_f32_e32 v38, v3, v7
	v_fma_f32 v38, v2, v6, -v38
	v_mul_f32_e32 v2, v2, v7
	v_fmac_f32_e32 v2, v3, v6
	v_add_f32_e32 v3, 0, v38
	ds_read2_b64 v[38:41], v22 offset0:64 offset1:96
	v_mul_f32_e32 v6, v5, v9
	v_fma_f32 v6, v4, v8, -v6
	v_mul_f32_e32 v4, v4, v9
	v_add_f32_e32 v2, 0, v2
	v_fmac_f32_e32 v4, v5, v8
	s_waitcnt lgkmcnt(0)
	v_mul_f32_e32 v5, v38, v13
	v_add_f32_e32 v2, v2, v4
	v_mul_f32_e32 v4, v39, v13
	v_fmac_f32_e32 v5, v39, v12
	v_add_f32_e32 v3, v3, v6
	v_fma_f32 v4, v38, v12, -v4
	v_add_f32_e32 v7, v2, v5
	v_mul_f32_e32 v2, v41, v15
	v_add_f32_e32 v6, v3, v4
	v_fma_f32 v8, v40, v14, -v2
	ds_read2_b64 v[2:5], v22 offset0:128 offset1:160
	v_mul_f32_e32 v9, v40, v15
	v_add_f32_e32 v6, v6, v8
	v_fmac_f32_e32 v9, v41, v14
	v_add_f32_e32 v7, v7, v9
	s_waitcnt lgkmcnt(0)
	v_mul_f32_e32 v8, v3, v31
	v_fma_f32 v8, v2, v30, -v8
	v_mul_f32_e32 v2, v2, v31
	v_fmac_f32_e32 v2, v3, v30
	v_add_f32_e32 v3, v6, v8
	v_mul_f32_e32 v6, v5, v33
	v_add_f32_e32 v2, v7, v2
	v_fma_f32 v12, v4, v32, -v6
	ds_read2_b64 v[6:9], v22 offset0:192 offset1:224
	v_mul_f32_e32 v4, v4, v33
	v_fmac_f32_e32 v4, v5, v32
	v_add_f32_e32 v2, v2, v4
	v_add_f32_e32 v3, v3, v12
	s_waitcnt lgkmcnt(0)
	v_mul_f32_e32 v5, v6, v35
	v_mul_f32_e32 v4, v7, v35
	v_fmac_f32_e32 v5, v7, v34
	v_fma_f32 v4, v6, v34, -v4
	v_add_f32_e32 v7, v2, v5
	v_mul_f32_e32 v2, v9, v37
	v_add_f32_e32 v6, v3, v4
	v_fma_f32 v30, v8, v36, -v2
	ds_read_b128 v[2:5], v18 offset:64
	ds_read2_b64 v[12:15], v28 offset1:32
	v_mul_f32_e32 v8, v8, v37
	v_fmac_f32_e32 v8, v9, v36
	v_add_f32_e32 v30, v6, v30
	v_add_f32_e32 v31, v7, v8
	s_waitcnt lgkmcnt(0)
	v_mul_f32_e32 v32, v13, v3
	v_mul_f32_e32 v3, v12, v3
	v_fma_f32 v32, v12, v2, -v32
	v_fmac_f32_e32 v3, v13, v2
	ds_read_b128 v[6:9], v18 offset:80
	v_add_f32_e32 v2, v30, v32
	v_add_f32_e32 v3, v31, v3
	ds_read2_b64 v[30:33], v28 offset0:64 offset1:96
	v_mul_f32_e32 v12, v15, v5
	v_mul_f32_e32 v5, v14, v5
	v_fma_f32 v12, v14, v4, -v12
	v_fmac_f32_e32 v5, v15, v4
	s_waitcnt lgkmcnt(0)
	v_mul_f32_e32 v4, v31, v7
	v_add_f32_e32 v2, v2, v12
	v_add_f32_e32 v3, v3, v5
	v_fma_f32 v4, v30, v6, -v4
	v_mul_f32_e32 v5, v30, v7
	v_fmac_f32_e32 v5, v31, v6
	v_add_f32_e32 v6, v2, v4
	v_mul_f32_e32 v2, v33, v9
	v_add_f32_e32 v7, v3, v5
	v_fma_f32 v30, v32, v8, -v2
	ds_read_b128 v[2:5], v18 offset:96
	ds_read2_b64 v[12:15], v28 offset0:128 offset1:160
	v_mul_f32_e32 v9, v32, v9
	v_fmac_f32_e32 v9, v33, v8
	v_add_f32_e32 v30, v6, v30
	v_add_f32_e32 v31, v7, v9
	s_waitcnt lgkmcnt(0)
	v_mul_f32_e32 v32, v13, v3
	v_mul_f32_e32 v3, v12, v3
	v_fma_f32 v32, v12, v2, -v32
	v_fmac_f32_e32 v3, v13, v2
	ds_read_b128 v[6:9], v18 offset:112
	v_add_f32_e32 v2, v30, v32
	v_add_f32_e32 v3, v31, v3
	ds_read2_b64 v[30:33], v28 offset0:192 offset1:224
	v_mul_f32_e32 v12, v15, v5
	v_mul_f32_e32 v5, v14, v5
	v_fma_f32 v12, v14, v4, -v12
	v_fmac_f32_e32 v5, v15, v4
	s_waitcnt lgkmcnt(0)
	v_mul_f32_e32 v4, v31, v7
	v_add_f32_e32 v2, v2, v12
	v_add_f32_e32 v3, v3, v5
	v_fma_f32 v4, v30, v6, -v4
	v_mul_f32_e32 v5, v30, v7
	v_fmac_f32_e32 v5, v31, v6
	v_add_f32_e32 v6, v2, v4
	v_mul_f32_e32 v2, v33, v9
	v_add_f32_e32 v7, v3, v5
	v_fma_f32 v30, v32, v8, -v2
	ds_read_b128 v[2:5], v18 offset:128
	ds_read2_b64 v[12:15], v29 offset1:32
	v_mul_f32_e32 v9, v32, v9
	v_fmac_f32_e32 v9, v33, v8
	v_add_f32_e32 v6, v6, v30
	ds_read_b128 v[30:33], v18 offset:144
	ds_read2_b64 v[34:37], v29 offset0:64 offset1:96
	s_waitcnt lgkmcnt(2)
	v_mul_f32_e32 v8, v13, v3
	v_fma_f32 v8, v12, v2, -v8
	v_mul_f32_e32 v3, v12, v3
	v_add_f32_e32 v7, v7, v9
	v_fmac_f32_e32 v3, v13, v2
	v_add_f32_e32 v2, v6, v8
	v_mul_f32_e32 v6, v15, v5
	v_mul_f32_e32 v5, v14, v5
	v_add_f32_e32 v3, v7, v3
	v_fma_f32 v6, v14, v4, -v6
	v_fmac_f32_e32 v5, v15, v4
	s_waitcnt lgkmcnt(0)
	v_mul_f32_e32 v4, v35, v31
	v_add_f32_e32 v2, v2, v6
	v_add_f32_e32 v3, v3, v5
	v_fma_f32 v4, v34, v30, -v4
	v_mul_f32_e32 v5, v34, v31
	v_fmac_f32_e32 v5, v35, v30
	v_add_f32_e32 v12, v2, v4
	v_mul_f32_e32 v2, v37, v33
	v_add_f32_e32 v13, v3, v5
	v_fma_f32 v14, v36, v32, -v2
	ds_read_b128 v[2:5], v18 offset:160
	ds_read2_b64 v[6:9], v29 offset0:128 offset1:160
	global_load_dwordx2 v[34:35], v[10:11], off
	v_mul_f32_e32 v15, v36, v33
	v_fmac_f32_e32 v15, v37, v32
	v_add_f32_e32 v30, v12, v14
	s_waitcnt lgkmcnt(0)
	v_mul_f32_e32 v32, v7, v3
	v_mul_f32_e32 v3, v6, v3
	v_add_f32_e32 v31, v13, v15
	v_fma_f32 v32, v6, v2, -v32
	v_fmac_f32_e32 v3, v7, v2
	ds_read_b128 v[12:15], v18 offset:176
	v_add_f32_e32 v2, v30, v32
	v_add_f32_e32 v3, v31, v3
	ds_read2_b64 v[30:33], v29 offset0:192 offset1:224
	v_mul_f32_e32 v6, v9, v5
	v_mul_f32_e32 v5, v8, v5
	v_fma_f32 v6, v8, v4, -v6
	v_fmac_f32_e32 v5, v9, v4
	s_waitcnt lgkmcnt(0)
	v_mul_f32_e32 v4, v31, v13
	v_add_f32_e32 v2, v2, v6
	v_add_f32_e32 v3, v3, v5
	v_fma_f32 v4, v30, v12, -v4
	v_mul_f32_e32 v5, v30, v13
	v_fmac_f32_e32 v5, v31, v12
	v_add_f32_e32 v12, v2, v4
	v_mul_f32_e32 v2, v33, v15
	v_add_u32_e32 v36, 0x1800, v22
	v_add_f32_e32 v13, v3, v5
	v_fma_f32 v30, v32, v14, -v2
	ds_read_b128 v[2:5], v18 offset:192
	ds_read2_b64 v[6:9], v36 offset1:32
	v_mul_f32_e32 v15, v32, v15
	v_fmac_f32_e32 v15, v33, v14
	v_add_f32_e32 v30, v12, v30
	v_add_f32_e32 v31, v13, v15
	ds_read_b128 v[12:15], v18 offset:208
	s_waitcnt lgkmcnt(1)
	v_mul_f32_e32 v32, v7, v3
	v_mul_f32_e32 v3, v6, v3
	v_fma_f32 v32, v6, v2, -v32
	v_fmac_f32_e32 v3, v7, v2
	v_add_f32_e32 v2, v30, v32
	v_add_f32_e32 v3, v31, v3
	ds_read2_b64 v[30:33], v36 offset0:64 offset1:96
	v_mul_f32_e32 v6, v9, v5
	v_mul_f32_e32 v5, v8, v5
	v_fma_f32 v6, v8, v4, -v6
	v_fmac_f32_e32 v5, v9, v4
	s_waitcnt lgkmcnt(0)
	v_mul_f32_e32 v4, v31, v13
	v_add_f32_e32 v2, v2, v6
	v_add_f32_e32 v3, v3, v5
	v_fma_f32 v4, v30, v12, -v4
	v_mul_f32_e32 v5, v30, v13
	v_fmac_f32_e32 v5, v31, v12
	v_add_f32_e32 v12, v2, v4
	v_mul_f32_e32 v2, v33, v15
	v_add_f32_e32 v13, v3, v5
	v_fma_f32 v30, v32, v14, -v2
	ds_read_b128 v[2:5], v18 offset:224
	ds_read2_b64 v[6:9], v36 offset0:128 offset1:160
	v_mul_f32_e32 v15, v32, v15
	v_fmac_f32_e32 v15, v33, v14
	v_add_f32_e32 v30, v12, v30
	v_add_f32_e32 v31, v13, v15
	s_waitcnt lgkmcnt(0)
	v_mul_f32_e32 v32, v7, v3
	v_mul_f32_e32 v3, v6, v3
	v_fma_f32 v32, v6, v2, -v32
	v_fmac_f32_e32 v3, v7, v2
	ds_read_b128 v[12:15], v18 offset:240
	v_add_f32_e32 v2, v30, v32
	v_add_f32_e32 v3, v31, v3
	ds_read2_b64 v[30:33], v36 offset0:192 offset1:224
	v_mul_f32_e32 v6, v9, v5
	v_mul_f32_e32 v5, v8, v5
	v_fma_f32 v6, v8, v4, -v6
	v_fmac_f32_e32 v5, v9, v4
	s_waitcnt lgkmcnt(0)
	v_mul_f32_e32 v4, v31, v13
	v_add_f32_e32 v2, v2, v6
	v_add_f32_e32 v3, v3, v5
	v_fma_f32 v4, v30, v12, -v4
	v_mul_f32_e32 v5, v30, v13
	v_fmac_f32_e32 v5, v31, v12
	v_add_f32_e32 v2, v2, v4
	v_mul_f32_e32 v4, v33, v15
	v_add_f32_e32 v3, v3, v5
	v_fma_f32 v4, v32, v14, -v4
	v_mul_f32_e32 v5, v32, v15
	v_fmac_f32_e32 v5, v33, v14
	v_add_f32_e32 v2, v2, v4
	v_add_f32_e32 v3, v3, v5
	v_mul_f32_e32 v4, s15, v2
	v_mul_f32_e32 v2, s16, v2
	v_fmac_f32_e32 v4, s16, v3
	v_fma_f32 v3, s15, v3, -v2
	s_waitcnt vmcnt(0)
	v_add_f32_e32 v2, v34, v4
	v_add_f32_e32 v3, v35, v3
	global_store_dwordx2 v[10:11], v[2:3], off
	s_branch .LBB1929_4
.LBB1929_17:
	s_endpgm
	.section	.rodata,"a",@progbits
	.p2align	6, 0x0
	.amdhsa_kernel _ZL26rocblas_syr2k_her2k_kernelIiLb1ELb1ELb1ELi32E19rocblas_complex_numIfEPKS1_PS1_EvbiT_T4_T5_S5_lS7_S5_lT6_S5_li
		.amdhsa_group_segment_fixed_size 16384
		.amdhsa_private_segment_fixed_size 0
		.amdhsa_kernarg_size 100
		.amdhsa_user_sgpr_count 6
		.amdhsa_user_sgpr_private_segment_buffer 1
		.amdhsa_user_sgpr_dispatch_ptr 0
		.amdhsa_user_sgpr_queue_ptr 0
		.amdhsa_user_sgpr_kernarg_segment_ptr 1
		.amdhsa_user_sgpr_dispatch_id 0
		.amdhsa_user_sgpr_flat_scratch_init 0
		.amdhsa_user_sgpr_private_segment_size 0
		.amdhsa_uses_dynamic_stack 0
		.amdhsa_system_sgpr_private_segment_wavefront_offset 0
		.amdhsa_system_sgpr_workgroup_id_x 1
		.amdhsa_system_sgpr_workgroup_id_y 1
		.amdhsa_system_sgpr_workgroup_id_z 1
		.amdhsa_system_sgpr_workgroup_info 0
		.amdhsa_system_vgpr_workitem_id 1
		.amdhsa_next_free_vgpr 42
		.amdhsa_next_free_sgpr 61
		.amdhsa_reserve_vcc 1
		.amdhsa_reserve_flat_scratch 0
		.amdhsa_float_round_mode_32 0
		.amdhsa_float_round_mode_16_64 0
		.amdhsa_float_denorm_mode_32 3
		.amdhsa_float_denorm_mode_16_64 3
		.amdhsa_dx10_clamp 1
		.amdhsa_ieee_mode 1
		.amdhsa_fp16_overflow 0
		.amdhsa_exception_fp_ieee_invalid_op 0
		.amdhsa_exception_fp_denorm_src 0
		.amdhsa_exception_fp_ieee_div_zero 0
		.amdhsa_exception_fp_ieee_overflow 0
		.amdhsa_exception_fp_ieee_underflow 0
		.amdhsa_exception_fp_ieee_inexact 0
		.amdhsa_exception_int_div_zero 0
	.end_amdhsa_kernel
	.section	.text._ZL26rocblas_syr2k_her2k_kernelIiLb1ELb1ELb1ELi32E19rocblas_complex_numIfEPKS1_PS1_EvbiT_T4_T5_S5_lS7_S5_lT6_S5_li,"axG",@progbits,_ZL26rocblas_syr2k_her2k_kernelIiLb1ELb1ELb1ELi32E19rocblas_complex_numIfEPKS1_PS1_EvbiT_T4_T5_S5_lS7_S5_lT6_S5_li,comdat
.Lfunc_end1929:
	.size	_ZL26rocblas_syr2k_her2k_kernelIiLb1ELb1ELb1ELi32E19rocblas_complex_numIfEPKS1_PS1_EvbiT_T4_T5_S5_lS7_S5_lT6_S5_li, .Lfunc_end1929-_ZL26rocblas_syr2k_her2k_kernelIiLb1ELb1ELb1ELi32E19rocblas_complex_numIfEPKS1_PS1_EvbiT_T4_T5_S5_lS7_S5_lT6_S5_li
                                        ; -- End function
	.set _ZL26rocblas_syr2k_her2k_kernelIiLb1ELb1ELb1ELi32E19rocblas_complex_numIfEPKS1_PS1_EvbiT_T4_T5_S5_lS7_S5_lT6_S5_li.num_vgpr, 42
	.set _ZL26rocblas_syr2k_her2k_kernelIiLb1ELb1ELb1ELi32E19rocblas_complex_numIfEPKS1_PS1_EvbiT_T4_T5_S5_lS7_S5_lT6_S5_li.num_agpr, 0
	.set _ZL26rocblas_syr2k_her2k_kernelIiLb1ELb1ELb1ELi32E19rocblas_complex_numIfEPKS1_PS1_EvbiT_T4_T5_S5_lS7_S5_lT6_S5_li.numbered_sgpr, 28
	.set _ZL26rocblas_syr2k_her2k_kernelIiLb1ELb1ELb1ELi32E19rocblas_complex_numIfEPKS1_PS1_EvbiT_T4_T5_S5_lS7_S5_lT6_S5_li.num_named_barrier, 0
	.set _ZL26rocblas_syr2k_her2k_kernelIiLb1ELb1ELb1ELi32E19rocblas_complex_numIfEPKS1_PS1_EvbiT_T4_T5_S5_lS7_S5_lT6_S5_li.private_seg_size, 0
	.set _ZL26rocblas_syr2k_her2k_kernelIiLb1ELb1ELb1ELi32E19rocblas_complex_numIfEPKS1_PS1_EvbiT_T4_T5_S5_lS7_S5_lT6_S5_li.uses_vcc, 1
	.set _ZL26rocblas_syr2k_her2k_kernelIiLb1ELb1ELb1ELi32E19rocblas_complex_numIfEPKS1_PS1_EvbiT_T4_T5_S5_lS7_S5_lT6_S5_li.uses_flat_scratch, 0
	.set _ZL26rocblas_syr2k_her2k_kernelIiLb1ELb1ELb1ELi32E19rocblas_complex_numIfEPKS1_PS1_EvbiT_T4_T5_S5_lS7_S5_lT6_S5_li.has_dyn_sized_stack, 0
	.set _ZL26rocblas_syr2k_her2k_kernelIiLb1ELb1ELb1ELi32E19rocblas_complex_numIfEPKS1_PS1_EvbiT_T4_T5_S5_lS7_S5_lT6_S5_li.has_recursion, 0
	.set _ZL26rocblas_syr2k_her2k_kernelIiLb1ELb1ELb1ELi32E19rocblas_complex_numIfEPKS1_PS1_EvbiT_T4_T5_S5_lS7_S5_lT6_S5_li.has_indirect_call, 0
	.section	.AMDGPU.csdata,"",@progbits
; Kernel info:
; codeLenInByte = 3480
; TotalNumSgprs: 32
; NumVgprs: 42
; ScratchSize: 0
; MemoryBound: 0
; FloatMode: 240
; IeeeMode: 1
; LDSByteSize: 16384 bytes/workgroup (compile time only)
; SGPRBlocks: 8
; VGPRBlocks: 10
; NumSGPRsForWavesPerEU: 65
; NumVGPRsForWavesPerEU: 42
; Occupancy: 5
; WaveLimiterHint : 0
; COMPUTE_PGM_RSRC2:SCRATCH_EN: 0
; COMPUTE_PGM_RSRC2:USER_SGPR: 6
; COMPUTE_PGM_RSRC2:TRAP_HANDLER: 0
; COMPUTE_PGM_RSRC2:TGID_X_EN: 1
; COMPUTE_PGM_RSRC2:TGID_Y_EN: 1
; COMPUTE_PGM_RSRC2:TGID_Z_EN: 1
; COMPUTE_PGM_RSRC2:TIDIG_COMP_CNT: 1
	.section	.text._ZL26rocblas_syr2k_her2k_kernelIiLb1ELb1ELb0ELi32EPK19rocblas_complex_numIfES3_PS1_EvbiT_T4_T5_S5_lS7_S5_lT6_S5_li,"axG",@progbits,_ZL26rocblas_syr2k_her2k_kernelIiLb1ELb1ELb0ELi32EPK19rocblas_complex_numIfES3_PS1_EvbiT_T4_T5_S5_lS7_S5_lT6_S5_li,comdat
	.globl	_ZL26rocblas_syr2k_her2k_kernelIiLb1ELb1ELb0ELi32EPK19rocblas_complex_numIfES3_PS1_EvbiT_T4_T5_S5_lS7_S5_lT6_S5_li ; -- Begin function _ZL26rocblas_syr2k_her2k_kernelIiLb1ELb1ELb0ELi32EPK19rocblas_complex_numIfES3_PS1_EvbiT_T4_T5_S5_lS7_S5_lT6_S5_li
	.p2align	8
	.type	_ZL26rocblas_syr2k_her2k_kernelIiLb1ELb1ELb0ELi32EPK19rocblas_complex_numIfES3_PS1_EvbiT_T4_T5_S5_lS7_S5_lT6_S5_li,@function
_ZL26rocblas_syr2k_her2k_kernelIiLb1ELb1ELb0ELi32EPK19rocblas_complex_numIfES3_PS1_EvbiT_T4_T5_S5_lS7_S5_lT6_S5_li: ; @_ZL26rocblas_syr2k_her2k_kernelIiLb1ELb1ELb0ELi32EPK19rocblas_complex_numIfES3_PS1_EvbiT_T4_T5_S5_lS7_S5_lT6_S5_li
; %bb.0:
	s_load_dwordx4 s[0:3], s[4:5], 0x10
	s_waitcnt lgkmcnt(0)
	s_load_dwordx2 s[10:11], s[0:1], 0x0
	s_waitcnt lgkmcnt(0)
	v_cmp_eq_f32_e64 s[0:1], s10, 0
	v_cmp_eq_f32_e64 s[12:13], s11, 0
	s_and_b64 s[0:1], s[0:1], s[12:13]
	s_and_b64 vcc, exec, s[0:1]
	s_cbranch_vccnz .LBB1930_17
; %bb.1:
	s_load_dwordx4 s[12:15], s[4:5], 0x0
	s_lshl_b32 s0, s7, 5
	s_lshl_b32 s1, s6, 5
	s_waitcnt lgkmcnt(0)
	s_and_b32 s6, 1, s12
	s_cmp_eq_u32 s6, 1
	s_cselect_b64 vcc, -1, 0
	s_and_b64 s[6:7], vcc, exec
	s_cselect_b32 s6, s1, s0
	s_cselect_b32 s7, s0, s1
	s_cmp_gt_i32 s6, s7
	s_cbranch_scc1 .LBB1930_17
; %bb.2:
	s_cmp_lt_i32 s14, 1
	s_cbranch_scc1 .LBB1930_17
; %bb.3:
	s_load_dword s15, s[4:5], 0x20
	s_load_dwordx4 s[20:23], s[4:5], 0x28
	s_load_dword s16, s[4:5], 0x38
	s_load_dwordx4 s[24:27], s[4:5], 0x40
	s_load_dword s9, s[4:5], 0x50
	s_load_dwordx2 s[6:7], s[4:5], 0x58
	s_waitcnt lgkmcnt(0)
	s_mul_i32 s4, s21, s8
	s_mul_hi_u32 s5, s20, s8
	s_add_i32 s5, s5, s4
	s_mul_i32 s4, s20, s8
	s_lshl_b64 s[4:5], s[4:5], 3
	s_add_u32 s12, s2, s4
	s_addc_u32 s17, s3, s5
	s_mul_i32 s2, s25, s8
	s_mul_hi_u32 s3, s24, s8
	v_add_u32_e32 v3, s1, v0
	s_add_i32 s3, s3, s2
	s_mul_i32 s2, s24, s8
	v_ashrrev_i32_e32 v4, 31, v3
	s_lshl_b64 s[2:3], s[2:3], 3
	v_lshlrev_b64 v[4:5], 3, v[3:4]
	s_add_u32 s18, s22, s2
	v_add_u32_e32 v2, s0, v1
	s_addc_u32 s19, s23, s3
	s_mul_i32 s2, s7, s8
	s_mul_hi_u32 s3, s6, s8
	v_cndmask_b32_e32 v8, v3, v2, vcc
	v_cndmask_b32_e32 v9, v2, v3, vcc
	v_cmp_gt_i32_e32 vcc, s13, v3
	v_mov_b32_e32 v3, s17
	v_add_co_u32_e64 v12, s[0:1], s12, v4
	s_add_i32 s3, s3, s2
	s_mul_i32 s2, s6, s8
	v_addc_co_u32_e64 v13, s[0:1], v3, v5, s[0:1]
	v_ashrrev_i32_e32 v3, 31, v2
	s_lshl_b64 s[2:3], s[2:3], 3
	v_lshlrev_b64 v[6:7], 3, v[2:3]
	s_add_u32 s6, s26, s2
	s_addc_u32 s7, s27, s3
	v_mov_b32_e32 v3, s19
	v_add_co_u32_e64 v16, s[2:3], s18, v6
	v_cmp_gt_i32_e64 s[0:1], s13, v2
	v_addc_co_u32_e64 v17, s[2:3], v3, v7, s[2:3]
	v_mad_i64_i32 v[2:3], s[2:3], s9, v2, 0
	v_cmp_le_i32_e64 s[2:3], v9, v8
	s_and_b64 s[4:5], s[0:1], vcc
	v_lshlrev_b64 v[2:3], 3, v[2:3]
	s_and_b64 s[4:5], s[4:5], s[2:3]
	v_mov_b32_e32 v8, s7
	v_add_co_u32_e64 v2, s[2:3], s6, v2
	v_lshlrev_b32_e32 v14, 8, v0
	v_lshlrev_b32_e32 v10, 3, v1
	v_addc_co_u32_e64 v3, s[2:3], v8, v3, s[2:3]
	v_add_u32_e32 v15, v14, v10
	v_or_b32_e32 v18, 0x2000, v10
	v_add_co_u32_e64 v10, s[2:3], v2, v4
	v_addc_co_u32_e64 v11, s[2:3], v3, v5, s[2:3]
	v_mov_b32_e32 v2, s19
	v_add_co_u32_e64 v20, s[2:3], s18, v4
	v_addc_co_u32_e64 v21, s[2:3], v2, v5, s[2:3]
	v_mov_b32_e32 v2, s17
	v_add_co_u32_e64 v22, s[2:3], s12, v6
	v_add_u32_e32 v19, v18, v14
	v_addc_co_u32_e64 v23, s[2:3], v2, v7, s[2:3]
	s_mov_b32 s17, 0
	v_add_u32_e32 v24, 0x800, v18
	v_add_u32_e32 v25, 0x1000, v18
	v_add_u32_e32 v26, 0x1800, v18
	s_branch .LBB1930_5
.LBB1930_4:                             ;   in Loop: Header=BB1930_5 Depth=1
	s_or_b64 exec, exec, s[2:3]
	s_add_i32 s17, s17, 32
	s_cmp_lt_i32 s17, s14
	s_waitcnt vmcnt(0)
	s_barrier
	s_cbranch_scc0 .LBB1930_17
.LBB1930_5:                             ; =>This Inner Loop Header: Depth=1
	v_add_u32_e32 v27, s17, v1
	v_cmp_gt_i32_e64 s[2:3], s14, v27
	s_and_b64 s[6:7], vcc, s[2:3]
	v_mov_b32_e32 v2, 0
	v_mov_b32_e32 v3, 0
	;; [unrolled: 1-line block ×3, first 2 shown]
	s_and_saveexec_b64 s[8:9], s[6:7]
	s_cbranch_execz .LBB1930_7
; %bb.6:                                ;   in Loop: Header=BB1930_5 Depth=1
	v_mad_i64_i32 v[3:4], s[2:3], v27, s15, 0
	v_lshlrev_b64 v[3:4], 3, v[3:4]
	v_add_co_u32_e64 v3, s[2:3], v12, v3
	v_addc_co_u32_e64 v4, s[2:3], v13, v4, s[2:3]
	global_load_dwordx2 v[3:4], v[3:4], off
.LBB1930_7:                             ;   in Loop: Header=BB1930_5 Depth=1
	s_or_b64 exec, exec, s[8:9]
	v_add_u32_e32 v28, s17, v0
	v_cmp_gt_i32_e64 s[2:3], s14, v28
	s_waitcnt vmcnt(0)
	ds_write_b64 v15, v[3:4]
	s_and_b64 s[8:9], s[0:1], s[2:3]
	v_mov_b32_e32 v3, 0
	s_and_saveexec_b64 s[12:13], s[8:9]
	s_cbranch_execz .LBB1930_9
; %bb.8:                                ;   in Loop: Header=BB1930_5 Depth=1
	v_mad_i64_i32 v[2:3], s[2:3], v28, s16, 0
	v_lshlrev_b64 v[2:3], 3, v[2:3]
	v_add_co_u32_e64 v2, s[2:3], v16, v2
	v_addc_co_u32_e64 v3, s[2:3], v17, v3, s[2:3]
	global_load_dwordx2 v[2:3], v[2:3], off
	s_waitcnt vmcnt(0)
	v_xor_b32_e32 v3, 0x80000000, v3
.LBB1930_9:                             ;   in Loop: Header=BB1930_5 Depth=1
	s_or_b64 exec, exec, s[12:13]
	ds_write_b64 v19, v[2:3]
	s_waitcnt lgkmcnt(0)
	s_barrier
	s_and_saveexec_b64 s[2:3], s[4:5]
	s_cbranch_execz .LBB1930_11
; %bb.10:                               ;   in Loop: Header=BB1930_5 Depth=1
	ds_read2_b64 v[2:5], v18 offset1:32
	ds_read_b128 v[6:9], v14
	ds_read_b128 v[29:32], v14 offset:16
	s_waitcnt lgkmcnt(1)
	v_mul_f32_e32 v33, v3, v7
	v_fma_f32 v38, v2, v6, -v33
	ds_read2_b64 v[33:36], v18 offset0:64 offset1:96
	v_mul_f32_e32 v37, v2, v7
	v_mul_f32_e32 v2, v5, v9
	v_fma_f32 v39, v4, v8, -v2
	v_fmac_f32_e32 v37, v3, v6
	s_waitcnt lgkmcnt(0)
	v_mul_f32_e32 v2, v34, v30
	v_mul_f32_e32 v40, v4, v9
	v_fma_f32 v41, v33, v29, -v2
	v_mul_f32_e32 v33, v33, v30
	v_mul_f32_e32 v2, v36, v32
	v_fmac_f32_e32 v40, v5, v8
	v_fmac_f32_e32 v33, v34, v29
	v_fma_f32 v34, v35, v31, -v2
	v_mul_f32_e32 v35, v35, v32
	v_add_f32_e32 v29, 0, v38
	v_add_f32_e32 v30, 0, v37
	v_fmac_f32_e32 v35, v36, v31
	ds_read_b128 v[2:5], v14 offset:32
	ds_read_b128 v[6:9], v14 offset:48
	v_add_f32_e32 v36, v29, v39
	v_add_f32_e32 v37, v30, v40
	ds_read2_b64 v[29:32], v18 offset0:128 offset1:160
	v_add_f32_e32 v33, v37, v33
	v_add_f32_e32 v36, v36, v41
	;; [unrolled: 1-line block ×4, first 2 shown]
	s_waitcnt lgkmcnt(0)
	v_mul_f32_e32 v35, v30, v3
	v_mul_f32_e32 v3, v29, v3
	v_fma_f32 v35, v29, v2, -v35
	v_fmac_f32_e32 v3, v30, v2
	v_add_f32_e32 v2, v34, v35
	v_add_f32_e32 v3, v33, v3
	ds_read2_b64 v[33:36], v18 offset0:192 offset1:224
	v_mul_f32_e32 v29, v32, v5
	v_mul_f32_e32 v5, v31, v5
	v_fma_f32 v29, v31, v4, -v29
	v_fmac_f32_e32 v5, v32, v4
	s_waitcnt lgkmcnt(0)
	v_mul_f32_e32 v4, v34, v7
	v_add_f32_e32 v2, v2, v29
	v_add_f32_e32 v3, v3, v5
	v_fma_f32 v4, v33, v6, -v4
	v_mul_f32_e32 v5, v33, v7
	v_fmac_f32_e32 v5, v34, v6
	v_add_f32_e32 v6, v2, v4
	v_mul_f32_e32 v2, v36, v9
	v_add_f32_e32 v7, v3, v5
	v_fma_f32 v33, v35, v8, -v2
	ds_read_b128 v[2:5], v14 offset:64
	ds_read2_b64 v[29:32], v24 offset1:32
	v_mul_f32_e32 v9, v35, v9
	v_fmac_f32_e32 v9, v36, v8
	v_add_f32_e32 v33, v6, v33
	v_add_f32_e32 v34, v7, v9
	s_waitcnt lgkmcnt(0)
	v_mul_f32_e32 v35, v30, v3
	v_mul_f32_e32 v3, v29, v3
	v_fma_f32 v35, v29, v2, -v35
	v_fmac_f32_e32 v3, v30, v2
	ds_read_b128 v[6:9], v14 offset:80
	v_add_f32_e32 v2, v33, v35
	v_add_f32_e32 v3, v34, v3
	ds_read2_b64 v[33:36], v24 offset0:64 offset1:96
	v_mul_f32_e32 v29, v32, v5
	v_mul_f32_e32 v5, v31, v5
	v_fma_f32 v29, v31, v4, -v29
	v_fmac_f32_e32 v5, v32, v4
	s_waitcnt lgkmcnt(0)
	v_mul_f32_e32 v4, v34, v7
	v_add_f32_e32 v2, v2, v29
	v_add_f32_e32 v3, v3, v5
	v_fma_f32 v4, v33, v6, -v4
	v_mul_f32_e32 v5, v33, v7
	v_fmac_f32_e32 v5, v34, v6
	v_add_f32_e32 v6, v2, v4
	v_mul_f32_e32 v2, v36, v9
	v_add_f32_e32 v7, v3, v5
	v_fma_f32 v33, v35, v8, -v2
	ds_read_b128 v[2:5], v14 offset:96
	ds_read2_b64 v[29:32], v24 offset0:128 offset1:160
	v_mul_f32_e32 v9, v35, v9
	v_fmac_f32_e32 v9, v36, v8
	v_add_f32_e32 v33, v6, v33
	v_add_f32_e32 v34, v7, v9
	s_waitcnt lgkmcnt(0)
	v_mul_f32_e32 v35, v30, v3
	v_mul_f32_e32 v3, v29, v3
	v_fma_f32 v35, v29, v2, -v35
	v_fmac_f32_e32 v3, v30, v2
	ds_read_b128 v[6:9], v14 offset:112
	v_add_f32_e32 v2, v33, v35
	v_add_f32_e32 v3, v34, v3
	ds_read2_b64 v[33:36], v24 offset0:192 offset1:224
	v_mul_f32_e32 v29, v32, v5
	v_mul_f32_e32 v5, v31, v5
	v_fma_f32 v29, v31, v4, -v29
	v_fmac_f32_e32 v5, v32, v4
	s_waitcnt lgkmcnt(0)
	v_mul_f32_e32 v4, v34, v7
	v_add_f32_e32 v2, v2, v29
	v_add_f32_e32 v3, v3, v5
	v_fma_f32 v4, v33, v6, -v4
	v_mul_f32_e32 v5, v33, v7
	v_fmac_f32_e32 v5, v34, v6
	v_add_f32_e32 v6, v2, v4
	v_mul_f32_e32 v2, v36, v9
	v_add_f32_e32 v7, v3, v5
	v_fma_f32 v33, v35, v8, -v2
	ds_read_b128 v[2:5], v14 offset:128
	ds_read2_b64 v[29:32], v25 offset1:32
	v_mul_f32_e32 v9, v35, v9
	v_fmac_f32_e32 v9, v36, v8
	v_add_f32_e32 v6, v6, v33
	ds_read_b128 v[33:36], v14 offset:144
	ds_read2_b64 v[37:40], v25 offset0:64 offset1:96
	s_waitcnt lgkmcnt(2)
	v_mul_f32_e32 v8, v30, v3
	v_fma_f32 v8, v29, v2, -v8
	v_mul_f32_e32 v3, v29, v3
	v_add_f32_e32 v7, v7, v9
	v_fmac_f32_e32 v3, v30, v2
	v_add_f32_e32 v2, v6, v8
	v_mul_f32_e32 v6, v32, v5
	v_mul_f32_e32 v5, v31, v5
	v_add_f32_e32 v3, v7, v3
	v_fma_f32 v6, v31, v4, -v6
	v_fmac_f32_e32 v5, v32, v4
	s_waitcnt lgkmcnt(0)
	v_mul_f32_e32 v4, v38, v34
	v_add_f32_e32 v2, v2, v6
	v_add_f32_e32 v3, v3, v5
	v_fma_f32 v4, v37, v33, -v4
	v_mul_f32_e32 v5, v37, v34
	v_fmac_f32_e32 v5, v38, v33
	v_add_f32_e32 v29, v2, v4
	v_mul_f32_e32 v2, v40, v36
	v_add_f32_e32 v30, v3, v5
	v_fma_f32 v31, v39, v35, -v2
	ds_read_b128 v[2:5], v14 offset:160
	ds_read2_b64 v[6:9], v25 offset0:128 offset1:160
	v_mul_f32_e32 v32, v39, v36
	v_fmac_f32_e32 v32, v40, v35
	v_add_f32_e32 v35, v29, v31
	v_add_f32_e32 v36, v30, v32
	s_waitcnt lgkmcnt(0)
	v_mul_f32_e32 v33, v7, v3
	v_fma_f32 v37, v6, v2, -v33
	global_load_dwordx2 v[33:34], v[10:11], off
	v_mul_f32_e32 v6, v6, v3
	v_fmac_f32_e32 v6, v7, v2
	v_mul_f32_e32 v2, v9, v5
	v_fma_f32 v7, v8, v4, -v2
	v_mul_f32_e32 v8, v8, v5
	ds_read_b128 v[29:32], v14 offset:176
	v_fmac_f32_e32 v8, v9, v4
	ds_read2_b64 v[2:5], v25 offset0:192 offset1:224
	v_add_f32_e32 v6, v36, v6
	v_add_f32_e32 v9, v35, v37
	;; [unrolled: 1-line block ×4, first 2 shown]
	s_waitcnt lgkmcnt(0)
	v_mul_f32_e32 v6, v3, v30
	v_fma_f32 v6, v2, v29, -v6
	v_mul_f32_e32 v30, v2, v30
	v_mul_f32_e32 v2, v5, v32
	;; [unrolled: 1-line block ×3, first 2 shown]
	v_fmac_f32_e32 v30, v3, v29
	v_add_f32_e32 v29, v7, v6
	v_fma_f32 v36, v4, v31, -v2
	v_fmac_f32_e32 v32, v5, v31
	ds_read_b128 v[2:5], v14 offset:192
	ds_read2_b64 v[6:9], v26 offset1:32
	v_add_f32_e32 v30, v35, v30
	v_add_f32_e32 v35, v29, v36
	;; [unrolled: 1-line block ×3, first 2 shown]
	ds_read_b128 v[29:32], v14 offset:208
	s_waitcnt lgkmcnt(1)
	v_mul_f32_e32 v37, v7, v3
	v_fma_f32 v37, v6, v2, -v37
	v_mul_f32_e32 v6, v6, v3
	v_fmac_f32_e32 v6, v7, v2
	v_mul_f32_e32 v2, v9, v5
	v_fma_f32 v7, v8, v4, -v2
	v_mul_f32_e32 v8, v8, v5
	v_fmac_f32_e32 v8, v9, v4
	ds_read2_b64 v[2:5], v26 offset0:64 offset1:96
	v_add_f32_e32 v6, v36, v6
	v_add_f32_e32 v9, v35, v37
	;; [unrolled: 1-line block ×4, first 2 shown]
	s_waitcnt lgkmcnt(0)
	v_mul_f32_e32 v6, v3, v30
	v_fma_f32 v6, v2, v29, -v6
	v_mul_f32_e32 v30, v2, v30
	v_mul_f32_e32 v2, v5, v32
	;; [unrolled: 1-line block ×3, first 2 shown]
	v_fmac_f32_e32 v30, v3, v29
	v_add_f32_e32 v29, v7, v6
	v_fma_f32 v36, v4, v31, -v2
	v_fmac_f32_e32 v32, v5, v31
	ds_read_b128 v[2:5], v14 offset:224
	ds_read2_b64 v[6:9], v26 offset0:128 offset1:160
	v_add_f32_e32 v30, v35, v30
	v_add_f32_e32 v35, v29, v36
	;; [unrolled: 1-line block ×3, first 2 shown]
	ds_read_b128 v[29:32], v14 offset:240
	s_waitcnt lgkmcnt(1)
	v_mul_f32_e32 v37, v7, v3
	v_fma_f32 v37, v6, v2, -v37
	v_mul_f32_e32 v6, v6, v3
	v_fmac_f32_e32 v6, v7, v2
	v_mul_f32_e32 v2, v9, v5
	v_fma_f32 v7, v8, v4, -v2
	v_mul_f32_e32 v8, v8, v5
	v_fmac_f32_e32 v8, v9, v4
	ds_read2_b64 v[2:5], v26 offset0:192 offset1:224
	v_add_f32_e32 v6, v36, v6
	v_add_f32_e32 v6, v6, v8
	;; [unrolled: 1-line block ×4, first 2 shown]
	s_waitcnt lgkmcnt(0)
	v_mul_f32_e32 v8, v3, v30
	v_fma_f32 v8, v2, v29, -v8
	v_mul_f32_e32 v2, v2, v30
	v_fmac_f32_e32 v2, v3, v29
	v_add_f32_e32 v2, v6, v2
	v_mul_f32_e32 v6, v5, v32
	v_fma_f32 v6, v4, v31, -v6
	v_mul_f32_e32 v4, v4, v32
	v_fmac_f32_e32 v4, v5, v31
	v_add_f32_e32 v3, v7, v8
	v_add_f32_e32 v2, v2, v4
	;; [unrolled: 1-line block ×3, first 2 shown]
	v_mul_f32_e32 v4, s11, v2
	v_mul_f32_e32 v5, s10, v2
	v_fma_f32 v4, s10, v3, -v4
	v_fmac_f32_e32 v5, s11, v3
	s_waitcnt vmcnt(0)
	v_add_f32_e32 v2, v33, v4
	v_add_f32_e32 v3, v34, v5
	global_store_dwordx2 v[10:11], v[2:3], off
.LBB1930_11:                            ;   in Loop: Header=BB1930_5 Depth=1
	s_or_b64 exec, exec, s[2:3]
	v_mov_b32_e32 v3, 0
	v_mov_b32_e32 v5, 0
	;; [unrolled: 1-line block ×3, first 2 shown]
	s_waitcnt vmcnt(0)
	s_barrier
	s_and_saveexec_b64 s[12:13], s[6:7]
	s_cbranch_execz .LBB1930_13
; %bb.12:                               ;   in Loop: Header=BB1930_5 Depth=1
	v_mad_i64_i32 v[4:5], s[2:3], v27, s16, 0
	v_lshlrev_b64 v[4:5], 3, v[4:5]
	v_add_co_u32_e64 v4, s[2:3], v20, v4
	v_addc_co_u32_e64 v5, s[2:3], v21, v5, s[2:3]
	global_load_dwordx2 v[4:5], v[4:5], off
.LBB1930_13:                            ;   in Loop: Header=BB1930_5 Depth=1
	s_or_b64 exec, exec, s[12:13]
	v_mov_b32_e32 v2, 0
	s_waitcnt vmcnt(0)
	ds_write_b64 v15, v[4:5]
	s_and_saveexec_b64 s[6:7], s[8:9]
	s_cbranch_execz .LBB1930_15
; %bb.14:                               ;   in Loop: Header=BB1930_5 Depth=1
	v_mad_i64_i32 v[2:3], s[2:3], v28, s15, 0
	v_lshlrev_b64 v[2:3], 3, v[2:3]
	v_add_co_u32_e64 v2, s[2:3], v22, v2
	v_addc_co_u32_e64 v3, s[2:3], v23, v3, s[2:3]
	global_load_dwordx2 v[2:3], v[2:3], off
	s_waitcnt vmcnt(0)
	v_xor_b32_e32 v3, 0x80000000, v3
.LBB1930_15:                            ;   in Loop: Header=BB1930_5 Depth=1
	s_or_b64 exec, exec, s[6:7]
	ds_write_b64 v19, v[2:3]
	s_waitcnt lgkmcnt(0)
	s_barrier
	s_and_saveexec_b64 s[2:3], s[4:5]
	s_cbranch_execz .LBB1930_4
; %bb.16:                               ;   in Loop: Header=BB1930_5 Depth=1
	ds_read2_b64 v[2:5], v18 offset1:32
	ds_read_b128 v[6:9], v14
	ds_read_b128 v[27:30], v14 offset:16
	s_waitcnt lgkmcnt(1)
	v_mul_f32_e32 v31, v3, v7
	v_mul_f32_e32 v35, v2, v7
	v_fma_f32 v36, v2, v6, -v31
	v_mul_f32_e32 v2, v5, v9
	v_mul_f32_e32 v38, v4, v9
	v_fmac_f32_e32 v35, v3, v6
	v_fma_f32 v37, v4, v8, -v2
	v_fmac_f32_e32 v38, v5, v8
	ds_read_b128 v[2:5], v14 offset:32
	ds_read_b128 v[6:9], v14 offset:48
	ds_read2_b64 v[31:34], v18 offset0:64 offset1:96
	v_add_f32_e32 v36, 0, v36
	v_add_f32_e32 v36, v36, v37
	;; [unrolled: 1-line block ×4, first 2 shown]
	s_waitcnt lgkmcnt(0)
	v_mul_f32_e32 v37, v32, v28
	v_fma_f32 v37, v31, v27, -v37
	v_mul_f32_e32 v31, v31, v28
	v_fmac_f32_e32 v31, v32, v27
	v_mul_f32_e32 v27, v34, v30
	v_fma_f32 v32, v33, v29, -v27
	v_mul_f32_e32 v33, v33, v30
	v_fmac_f32_e32 v33, v34, v29
	ds_read2_b64 v[27:30], v18 offset0:128 offset1:160
	v_add_f32_e32 v31, v35, v31
	v_add_f32_e32 v34, v36, v37
	;; [unrolled: 1-line block ×4, first 2 shown]
	s_waitcnt lgkmcnt(0)
	v_mul_f32_e32 v33, v28, v3
	v_mul_f32_e32 v3, v27, v3
	v_fma_f32 v33, v27, v2, -v33
	v_fmac_f32_e32 v3, v28, v2
	v_add_f32_e32 v2, v32, v33
	v_add_f32_e32 v3, v31, v3
	ds_read2_b64 v[31:34], v18 offset0:192 offset1:224
	v_mul_f32_e32 v27, v30, v5
	v_mul_f32_e32 v5, v29, v5
	v_fma_f32 v27, v29, v4, -v27
	v_fmac_f32_e32 v5, v30, v4
	s_waitcnt lgkmcnt(0)
	v_mul_f32_e32 v4, v32, v7
	v_add_f32_e32 v2, v2, v27
	v_add_f32_e32 v3, v3, v5
	v_fma_f32 v4, v31, v6, -v4
	v_mul_f32_e32 v5, v31, v7
	v_fmac_f32_e32 v5, v32, v6
	v_add_f32_e32 v6, v2, v4
	v_mul_f32_e32 v2, v34, v9
	v_add_f32_e32 v7, v3, v5
	v_fma_f32 v31, v33, v8, -v2
	ds_read_b128 v[2:5], v14 offset:64
	ds_read2_b64 v[27:30], v24 offset1:32
	v_mul_f32_e32 v9, v33, v9
	v_fmac_f32_e32 v9, v34, v8
	v_add_f32_e32 v31, v6, v31
	v_add_f32_e32 v32, v7, v9
	s_waitcnt lgkmcnt(0)
	v_mul_f32_e32 v33, v28, v3
	v_mul_f32_e32 v3, v27, v3
	v_fma_f32 v33, v27, v2, -v33
	v_fmac_f32_e32 v3, v28, v2
	ds_read_b128 v[6:9], v14 offset:80
	v_add_f32_e32 v2, v31, v33
	v_add_f32_e32 v3, v32, v3
	ds_read2_b64 v[31:34], v24 offset0:64 offset1:96
	v_mul_f32_e32 v27, v30, v5
	v_mul_f32_e32 v5, v29, v5
	v_fma_f32 v27, v29, v4, -v27
	v_fmac_f32_e32 v5, v30, v4
	s_waitcnt lgkmcnt(0)
	v_mul_f32_e32 v4, v32, v7
	v_add_f32_e32 v2, v2, v27
	v_add_f32_e32 v3, v3, v5
	v_fma_f32 v4, v31, v6, -v4
	v_mul_f32_e32 v5, v31, v7
	v_fmac_f32_e32 v5, v32, v6
	v_add_f32_e32 v6, v2, v4
	v_mul_f32_e32 v2, v34, v9
	v_add_f32_e32 v7, v3, v5
	v_fma_f32 v31, v33, v8, -v2
	ds_read_b128 v[2:5], v14 offset:96
	ds_read2_b64 v[27:30], v24 offset0:128 offset1:160
	v_mul_f32_e32 v9, v33, v9
	v_fmac_f32_e32 v9, v34, v8
	v_add_f32_e32 v31, v6, v31
	v_add_f32_e32 v32, v7, v9
	s_waitcnt lgkmcnt(0)
	v_mul_f32_e32 v33, v28, v3
	v_mul_f32_e32 v3, v27, v3
	v_fma_f32 v33, v27, v2, -v33
	v_fmac_f32_e32 v3, v28, v2
	ds_read_b128 v[6:9], v14 offset:112
	v_add_f32_e32 v2, v31, v33
	v_add_f32_e32 v3, v32, v3
	ds_read2_b64 v[31:34], v24 offset0:192 offset1:224
	v_mul_f32_e32 v27, v30, v5
	v_mul_f32_e32 v5, v29, v5
	v_fma_f32 v27, v29, v4, -v27
	v_fmac_f32_e32 v5, v30, v4
	s_waitcnt lgkmcnt(0)
	v_mul_f32_e32 v4, v32, v7
	v_add_f32_e32 v2, v2, v27
	v_add_f32_e32 v3, v3, v5
	v_fma_f32 v4, v31, v6, -v4
	v_mul_f32_e32 v5, v31, v7
	v_fmac_f32_e32 v5, v32, v6
	v_add_f32_e32 v6, v2, v4
	v_mul_f32_e32 v2, v34, v9
	v_add_f32_e32 v7, v3, v5
	v_fma_f32 v31, v33, v8, -v2
	ds_read_b128 v[2:5], v14 offset:128
	ds_read2_b64 v[27:30], v25 offset1:32
	v_mul_f32_e32 v9, v33, v9
	v_fmac_f32_e32 v9, v34, v8
	v_add_f32_e32 v6, v6, v31
	ds_read_b128 v[31:34], v14 offset:144
	ds_read2_b64 v[35:38], v25 offset0:64 offset1:96
	s_waitcnt lgkmcnt(2)
	v_mul_f32_e32 v8, v28, v3
	v_fma_f32 v8, v27, v2, -v8
	v_mul_f32_e32 v3, v27, v3
	v_add_f32_e32 v7, v7, v9
	v_fmac_f32_e32 v3, v28, v2
	v_add_f32_e32 v2, v6, v8
	v_mul_f32_e32 v6, v30, v5
	v_mul_f32_e32 v5, v29, v5
	v_add_f32_e32 v3, v7, v3
	v_fma_f32 v6, v29, v4, -v6
	v_fmac_f32_e32 v5, v30, v4
	s_waitcnt lgkmcnt(0)
	v_mul_f32_e32 v4, v36, v32
	v_add_f32_e32 v2, v2, v6
	v_add_f32_e32 v3, v3, v5
	v_fma_f32 v4, v35, v31, -v4
	v_mul_f32_e32 v5, v35, v32
	v_fmac_f32_e32 v5, v36, v31
	v_add_f32_e32 v27, v2, v4
	v_mul_f32_e32 v2, v38, v34
	v_add_f32_e32 v28, v3, v5
	v_fma_f32 v29, v37, v33, -v2
	ds_read_b128 v[2:5], v14 offset:160
	ds_read2_b64 v[6:9], v25 offset0:128 offset1:160
	global_load_dwordx2 v[35:36], v[10:11], off
	v_mul_f32_e32 v30, v37, v34
	v_fmac_f32_e32 v30, v38, v33
	v_add_f32_e32 v31, v27, v29
	s_waitcnt lgkmcnt(0)
	v_mul_f32_e32 v33, v7, v3
	v_mul_f32_e32 v3, v6, v3
	v_add_f32_e32 v32, v28, v30
	v_fma_f32 v33, v6, v2, -v33
	v_fmac_f32_e32 v3, v7, v2
	ds_read_b128 v[27:30], v14 offset:176
	v_add_f32_e32 v2, v31, v33
	v_add_f32_e32 v3, v32, v3
	ds_read2_b64 v[31:34], v25 offset0:192 offset1:224
	v_mul_f32_e32 v6, v9, v5
	v_mul_f32_e32 v5, v8, v5
	v_fma_f32 v6, v8, v4, -v6
	v_fmac_f32_e32 v5, v9, v4
	s_waitcnt lgkmcnt(0)
	v_mul_f32_e32 v4, v32, v28
	v_add_f32_e32 v2, v2, v6
	v_add_f32_e32 v3, v3, v5
	v_fma_f32 v4, v31, v27, -v4
	v_mul_f32_e32 v5, v31, v28
	v_fmac_f32_e32 v5, v32, v27
	v_add_f32_e32 v27, v2, v4
	v_mul_f32_e32 v2, v34, v30
	v_add_f32_e32 v28, v3, v5
	v_fma_f32 v31, v33, v29, -v2
	ds_read_b128 v[2:5], v14 offset:192
	ds_read2_b64 v[6:9], v26 offset1:32
	v_mul_f32_e32 v30, v33, v30
	v_fmac_f32_e32 v30, v34, v29
	v_add_f32_e32 v31, v27, v31
	v_add_f32_e32 v32, v28, v30
	s_waitcnt lgkmcnt(0)
	v_mul_f32_e32 v33, v7, v3
	v_mul_f32_e32 v3, v6, v3
	v_fma_f32 v33, v6, v2, -v33
	v_fmac_f32_e32 v3, v7, v2
	ds_read_b128 v[27:30], v14 offset:208
	v_add_f32_e32 v2, v31, v33
	v_add_f32_e32 v3, v32, v3
	ds_read2_b64 v[31:34], v26 offset0:64 offset1:96
	v_mul_f32_e32 v6, v9, v5
	v_mul_f32_e32 v5, v8, v5
	v_fma_f32 v6, v8, v4, -v6
	v_fmac_f32_e32 v5, v9, v4
	s_waitcnt lgkmcnt(0)
	v_mul_f32_e32 v4, v32, v28
	v_add_f32_e32 v2, v2, v6
	v_add_f32_e32 v3, v3, v5
	v_fma_f32 v4, v31, v27, -v4
	v_mul_f32_e32 v5, v31, v28
	v_fmac_f32_e32 v5, v32, v27
	v_add_f32_e32 v27, v2, v4
	v_mul_f32_e32 v2, v34, v30
	v_add_f32_e32 v28, v3, v5
	v_fma_f32 v31, v33, v29, -v2
	ds_read_b128 v[2:5], v14 offset:224
	ds_read2_b64 v[6:9], v26 offset0:128 offset1:160
	v_mul_f32_e32 v30, v33, v30
	v_fmac_f32_e32 v30, v34, v29
	v_add_f32_e32 v31, v27, v31
	v_add_f32_e32 v32, v28, v30
	s_waitcnt lgkmcnt(0)
	v_mul_f32_e32 v33, v7, v3
	v_mul_f32_e32 v3, v6, v3
	v_fma_f32 v33, v6, v2, -v33
	v_fmac_f32_e32 v3, v7, v2
	ds_read_b128 v[27:30], v14 offset:240
	v_add_f32_e32 v2, v31, v33
	v_add_f32_e32 v3, v32, v3
	ds_read2_b64 v[31:34], v26 offset0:192 offset1:224
	v_mul_f32_e32 v6, v9, v5
	v_mul_f32_e32 v5, v8, v5
	v_fma_f32 v6, v8, v4, -v6
	v_fmac_f32_e32 v5, v9, v4
	s_waitcnt lgkmcnt(0)
	v_mul_f32_e32 v4, v32, v28
	v_add_f32_e32 v2, v2, v6
	v_add_f32_e32 v3, v3, v5
	v_fma_f32 v4, v31, v27, -v4
	v_mul_f32_e32 v5, v31, v28
	v_fmac_f32_e32 v5, v32, v27
	v_add_f32_e32 v2, v2, v4
	v_mul_f32_e32 v4, v34, v30
	v_add_f32_e32 v3, v3, v5
	v_fma_f32 v4, v33, v29, -v4
	v_mul_f32_e32 v5, v33, v30
	v_fmac_f32_e32 v5, v34, v29
	v_add_f32_e32 v2, v2, v4
	v_add_f32_e32 v3, v3, v5
	v_mul_f32_e32 v4, s10, v2
	v_mul_f32_e32 v2, s11, v2
	v_fmac_f32_e32 v4, s11, v3
	v_fma_f32 v3, s10, v3, -v2
	s_waitcnt vmcnt(0)
	v_add_f32_e32 v2, v35, v4
	v_add_f32_e32 v3, v36, v3
	global_store_dwordx2 v[10:11], v[2:3], off
	s_branch .LBB1930_4
.LBB1930_17:
	s_endpgm
	.section	.rodata,"a",@progbits
	.p2align	6, 0x0
	.amdhsa_kernel _ZL26rocblas_syr2k_her2k_kernelIiLb1ELb1ELb0ELi32EPK19rocblas_complex_numIfES3_PS1_EvbiT_T4_T5_S5_lS7_S5_lT6_S5_li
		.amdhsa_group_segment_fixed_size 16384
		.amdhsa_private_segment_fixed_size 0
		.amdhsa_kernarg_size 100
		.amdhsa_user_sgpr_count 6
		.amdhsa_user_sgpr_private_segment_buffer 1
		.amdhsa_user_sgpr_dispatch_ptr 0
		.amdhsa_user_sgpr_queue_ptr 0
		.amdhsa_user_sgpr_kernarg_segment_ptr 1
		.amdhsa_user_sgpr_dispatch_id 0
		.amdhsa_user_sgpr_flat_scratch_init 0
		.amdhsa_user_sgpr_private_segment_size 0
		.amdhsa_uses_dynamic_stack 0
		.amdhsa_system_sgpr_private_segment_wavefront_offset 0
		.amdhsa_system_sgpr_workgroup_id_x 1
		.amdhsa_system_sgpr_workgroup_id_y 1
		.amdhsa_system_sgpr_workgroup_id_z 1
		.amdhsa_system_sgpr_workgroup_info 0
		.amdhsa_system_vgpr_workitem_id 1
		.amdhsa_next_free_vgpr 42
		.amdhsa_next_free_sgpr 61
		.amdhsa_reserve_vcc 1
		.amdhsa_reserve_flat_scratch 0
		.amdhsa_float_round_mode_32 0
		.amdhsa_float_round_mode_16_64 0
		.amdhsa_float_denorm_mode_32 3
		.amdhsa_float_denorm_mode_16_64 3
		.amdhsa_dx10_clamp 1
		.amdhsa_ieee_mode 1
		.amdhsa_fp16_overflow 0
		.amdhsa_exception_fp_ieee_invalid_op 0
		.amdhsa_exception_fp_denorm_src 0
		.amdhsa_exception_fp_ieee_div_zero 0
		.amdhsa_exception_fp_ieee_overflow 0
		.amdhsa_exception_fp_ieee_underflow 0
		.amdhsa_exception_fp_ieee_inexact 0
		.amdhsa_exception_int_div_zero 0
	.end_amdhsa_kernel
	.section	.text._ZL26rocblas_syr2k_her2k_kernelIiLb1ELb1ELb0ELi32EPK19rocblas_complex_numIfES3_PS1_EvbiT_T4_T5_S5_lS7_S5_lT6_S5_li,"axG",@progbits,_ZL26rocblas_syr2k_her2k_kernelIiLb1ELb1ELb0ELi32EPK19rocblas_complex_numIfES3_PS1_EvbiT_T4_T5_S5_lS7_S5_lT6_S5_li,comdat
.Lfunc_end1930:
	.size	_ZL26rocblas_syr2k_her2k_kernelIiLb1ELb1ELb0ELi32EPK19rocblas_complex_numIfES3_PS1_EvbiT_T4_T5_S5_lS7_S5_lT6_S5_li, .Lfunc_end1930-_ZL26rocblas_syr2k_her2k_kernelIiLb1ELb1ELb0ELi32EPK19rocblas_complex_numIfES3_PS1_EvbiT_T4_T5_S5_lS7_S5_lT6_S5_li
                                        ; -- End function
	.set _ZL26rocblas_syr2k_her2k_kernelIiLb1ELb1ELb0ELi32EPK19rocblas_complex_numIfES3_PS1_EvbiT_T4_T5_S5_lS7_S5_lT6_S5_li.num_vgpr, 42
	.set _ZL26rocblas_syr2k_her2k_kernelIiLb1ELb1ELb0ELi32EPK19rocblas_complex_numIfES3_PS1_EvbiT_T4_T5_S5_lS7_S5_lT6_S5_li.num_agpr, 0
	.set _ZL26rocblas_syr2k_her2k_kernelIiLb1ELb1ELb0ELi32EPK19rocblas_complex_numIfES3_PS1_EvbiT_T4_T5_S5_lS7_S5_lT6_S5_li.numbered_sgpr, 28
	.set _ZL26rocblas_syr2k_her2k_kernelIiLb1ELb1ELb0ELi32EPK19rocblas_complex_numIfES3_PS1_EvbiT_T4_T5_S5_lS7_S5_lT6_S5_li.num_named_barrier, 0
	.set _ZL26rocblas_syr2k_her2k_kernelIiLb1ELb1ELb0ELi32EPK19rocblas_complex_numIfES3_PS1_EvbiT_T4_T5_S5_lS7_S5_lT6_S5_li.private_seg_size, 0
	.set _ZL26rocblas_syr2k_her2k_kernelIiLb1ELb1ELb0ELi32EPK19rocblas_complex_numIfES3_PS1_EvbiT_T4_T5_S5_lS7_S5_lT6_S5_li.uses_vcc, 1
	.set _ZL26rocblas_syr2k_her2k_kernelIiLb1ELb1ELb0ELi32EPK19rocblas_complex_numIfES3_PS1_EvbiT_T4_T5_S5_lS7_S5_lT6_S5_li.uses_flat_scratch, 0
	.set _ZL26rocblas_syr2k_her2k_kernelIiLb1ELb1ELb0ELi32EPK19rocblas_complex_numIfES3_PS1_EvbiT_T4_T5_S5_lS7_S5_lT6_S5_li.has_dyn_sized_stack, 0
	.set _ZL26rocblas_syr2k_her2k_kernelIiLb1ELb1ELb0ELi32EPK19rocblas_complex_numIfES3_PS1_EvbiT_T4_T5_S5_lS7_S5_lT6_S5_li.has_recursion, 0
	.set _ZL26rocblas_syr2k_her2k_kernelIiLb1ELb1ELb0ELi32EPK19rocblas_complex_numIfES3_PS1_EvbiT_T4_T5_S5_lS7_S5_lT6_S5_li.has_indirect_call, 0
	.section	.AMDGPU.csdata,"",@progbits
; Kernel info:
; codeLenInByte = 3444
; TotalNumSgprs: 32
; NumVgprs: 42
; ScratchSize: 0
; MemoryBound: 0
; FloatMode: 240
; IeeeMode: 1
; LDSByteSize: 16384 bytes/workgroup (compile time only)
; SGPRBlocks: 8
; VGPRBlocks: 10
; NumSGPRsForWavesPerEU: 65
; NumVGPRsForWavesPerEU: 42
; Occupancy: 5
; WaveLimiterHint : 0
; COMPUTE_PGM_RSRC2:SCRATCH_EN: 0
; COMPUTE_PGM_RSRC2:USER_SGPR: 6
; COMPUTE_PGM_RSRC2:TRAP_HANDLER: 0
; COMPUTE_PGM_RSRC2:TGID_X_EN: 1
; COMPUTE_PGM_RSRC2:TGID_Y_EN: 1
; COMPUTE_PGM_RSRC2:TGID_Z_EN: 1
; COMPUTE_PGM_RSRC2:TIDIG_COMP_CNT: 1
	.section	.text._ZL26rocblas_syr2k_her2k_kernelIiLb1ELb1ELb1ELi32EPK19rocblas_complex_numIfES3_PS1_EvbiT_T4_T5_S5_lS7_S5_lT6_S5_li,"axG",@progbits,_ZL26rocblas_syr2k_her2k_kernelIiLb1ELb1ELb1ELi32EPK19rocblas_complex_numIfES3_PS1_EvbiT_T4_T5_S5_lS7_S5_lT6_S5_li,comdat
	.globl	_ZL26rocblas_syr2k_her2k_kernelIiLb1ELb1ELb1ELi32EPK19rocblas_complex_numIfES3_PS1_EvbiT_T4_T5_S5_lS7_S5_lT6_S5_li ; -- Begin function _ZL26rocblas_syr2k_her2k_kernelIiLb1ELb1ELb1ELi32EPK19rocblas_complex_numIfES3_PS1_EvbiT_T4_T5_S5_lS7_S5_lT6_S5_li
	.p2align	8
	.type	_ZL26rocblas_syr2k_her2k_kernelIiLb1ELb1ELb1ELi32EPK19rocblas_complex_numIfES3_PS1_EvbiT_T4_T5_S5_lS7_S5_lT6_S5_li,@function
_ZL26rocblas_syr2k_her2k_kernelIiLb1ELb1ELb1ELi32EPK19rocblas_complex_numIfES3_PS1_EvbiT_T4_T5_S5_lS7_S5_lT6_S5_li: ; @_ZL26rocblas_syr2k_her2k_kernelIiLb1ELb1ELb1ELi32EPK19rocblas_complex_numIfES3_PS1_EvbiT_T4_T5_S5_lS7_S5_lT6_S5_li
; %bb.0:
	s_load_dwordx4 s[0:3], s[4:5], 0x10
	s_waitcnt lgkmcnt(0)
	s_load_dwordx2 s[10:11], s[0:1], 0x0
	s_waitcnt lgkmcnt(0)
	v_cmp_eq_f32_e64 s[0:1], s10, 0
	v_cmp_eq_f32_e64 s[12:13], s11, 0
	s_and_b64 s[0:1], s[0:1], s[12:13]
	s_and_b64 vcc, exec, s[0:1]
	s_cbranch_vccnz .LBB1931_17
; %bb.1:
	s_load_dwordx4 s[12:15], s[4:5], 0x0
	s_lshl_b32 s0, s7, 5
	s_lshl_b32 s1, s6, 5
	s_waitcnt lgkmcnt(0)
	s_and_b32 s6, 1, s12
	s_cmp_eq_u32 s6, 1
	s_cselect_b64 vcc, -1, 0
	s_and_b64 s[6:7], vcc, exec
	s_cselect_b32 s6, s1, s0
	s_cselect_b32 s7, s0, s1
	s_cmp_gt_i32 s6, s7
	s_cbranch_scc1 .LBB1931_17
; %bb.2:
	s_cmp_lt_i32 s14, 1
	s_cbranch_scc1 .LBB1931_17
; %bb.3:
	v_add_u32_e32 v2, s1, v0
	s_load_dword s9, s[4:5], 0x20
	s_load_dwordx4 s[16:19], s[4:5], 0x28
	s_load_dword s12, s[4:5], 0x38
	s_load_dwordx4 s[20:23], s[4:5], 0x40
	s_load_dword s15, s[4:5], 0x50
	s_load_dwordx2 s[6:7], s[4:5], 0x58
	v_add_u32_e32 v7, s0, v1
	s_waitcnt lgkmcnt(0)
	v_mad_i64_i32 v[4:5], s[0:1], s9, v2, 0
	s_mul_i32 s4, s17, s8
	s_mul_hi_u32 s5, s16, s8
	s_add_i32 s5, s5, s4
	s_mul_i32 s4, s16, s8
	s_lshl_b64 s[4:5], s[4:5], 3
	s_add_u32 s16, s2, s4
	v_lshlrev_b64 v[4:5], 3, v[4:5]
	s_addc_u32 s17, s3, s5
	s_mul_i32 s2, s21, s8
	s_mul_hi_u32 s3, s20, s8
	s_add_i32 s3, s3, s2
	s_mul_i32 s2, s20, s8
	v_mov_b32_e32 v9, s17
	v_add_co_u32_e64 v16, s[0:1], s16, v4
	s_lshl_b64 s[2:3], s[2:3], 3
	v_addc_co_u32_e64 v17, s[0:1], v9, v5, s[0:1]
	v_mad_i64_i32 v[4:5], s[0:1], s12, v7, 0
	s_add_u32 s18, s18, s2
	s_addc_u32 s19, s19, s3
	s_mul_i32 s2, s7, s8
	s_mul_hi_u32 s3, s6, s8
	s_add_i32 s3, s3, s2
	s_mul_i32 s2, s6, s8
	s_lshl_b64 s[2:3], s[2:3], 3
	v_lshlrev_b64 v[4:5], 3, v[4:5]
	s_add_u32 s6, s22, s2
	s_addc_u32 s7, s23, s3
	v_mov_b32_e32 v10, s19
	v_add_co_u32_e64 v20, s[2:3], s18, v4
	v_addc_co_u32_e64 v21, s[2:3], v10, v5, s[2:3]
	v_mad_i64_i32 v[4:5], s[2:3], s15, v7, 0
	v_cndmask_b32_e32 v6, v2, v7, vcc
	v_cndmask_b32_e32 v8, v7, v2, vcc
	v_cmp_gt_i32_e32 vcc, s13, v2
	v_cmp_gt_i32_e64 s[0:1], s13, v7
	v_lshlrev_b64 v[4:5], 3, v[4:5]
	v_cmp_le_i32_e64 s[2:3], v8, v6
	s_and_b64 s[4:5], s[0:1], vcc
	v_lshlrev_b32_e32 v18, 8, v0
	v_lshlrev_b32_e32 v9, 3, v1
	s_and_b64 s[4:5], s[4:5], s[2:3]
	v_mov_b32_e32 v6, s7
	v_add_co_u32_e64 v8, s[2:3], s6, v4
	v_ashrrev_i32_e32 v3, 31, v2
	v_add_u32_e32 v19, v18, v9
	v_or_b32_e32 v22, 0x2000, v9
	v_addc_co_u32_e64 v9, s[2:3], v6, v5, s[2:3]
	v_mad_i64_i32 v[5:6], s[2:3], s12, v2, 0
	v_lshlrev_b64 v[3:4], 3, v[2:3]
	v_add_u32_e32 v23, v22, v18
	v_add_co_u32_e64 v10, s[2:3], v8, v3
	v_addc_co_u32_e64 v11, s[2:3], v9, v4, s[2:3]
	v_lshlrev_b64 v[2:3], 3, v[5:6]
	v_mad_i64_i32 v[4:5], s[2:3], s9, v7, 0
	v_mov_b32_e32 v6, s19
	v_add_co_u32_e64 v24, s[2:3], s18, v2
	v_addc_co_u32_e64 v25, s[2:3], v6, v3, s[2:3]
	v_lshlrev_b64 v[2:3], 3, v[4:5]
	v_mov_b32_e32 v4, s17
	v_add_co_u32_e64 v26, s[2:3], s16, v2
	v_addc_co_u32_e64 v27, s[2:3], v4, v3, s[2:3]
	s_mov_b32 s15, 0
	v_add_u32_e32 v28, 0x800, v22
	v_add_u32_e32 v29, 0x1000, v22
	s_branch .LBB1931_5
.LBB1931_4:                             ;   in Loop: Header=BB1931_5 Depth=1
	s_or_b64 exec, exec, s[2:3]
	s_add_i32 s15, s15, 32
	s_cmp_lt_i32 s15, s14
	s_waitcnt vmcnt(0)
	s_barrier
	s_cbranch_scc0 .LBB1931_17
.LBB1931_5:                             ; =>This Inner Loop Header: Depth=1
	v_add_u32_e32 v12, s15, v1
	v_cmp_gt_i32_e64 s[2:3], s14, v12
	s_and_b64 s[6:7], vcc, s[2:3]
	v_mov_b32_e32 v4, 0
	v_mov_b32_e32 v2, 0
	;; [unrolled: 1-line block ×3, first 2 shown]
	s_and_saveexec_b64 s[8:9], s[6:7]
	s_cbranch_execz .LBB1931_7
; %bb.6:                                ;   in Loop: Header=BB1931_5 Depth=1
	v_ashrrev_i32_e32 v13, 31, v12
	v_lshlrev_b64 v[3:4], 3, v[12:13]
	v_add_co_u32_e64 v3, s[2:3], v16, v3
	v_addc_co_u32_e64 v4, s[2:3], v17, v4, s[2:3]
	global_load_dwordx2 v[3:4], v[3:4], off
	s_waitcnt vmcnt(0)
	v_xor_b32_e32 v4, 0x80000000, v4
.LBB1931_7:                             ;   in Loop: Header=BB1931_5 Depth=1
	s_or_b64 exec, exec, s[8:9]
	v_add_u32_e32 v14, s15, v0
	v_cmp_gt_i32_e64 s[2:3], s14, v14
	ds_write_b64 v19, v[3:4]
	s_and_b64 s[8:9], s[0:1], s[2:3]
	v_mov_b32_e32 v3, 0
	s_and_saveexec_b64 s[12:13], s[8:9]
	s_cbranch_execz .LBB1931_9
; %bb.8:                                ;   in Loop: Header=BB1931_5 Depth=1
	v_ashrrev_i32_e32 v15, 31, v14
	v_lshlrev_b64 v[2:3], 3, v[14:15]
	v_add_co_u32_e64 v2, s[2:3], v20, v2
	v_addc_co_u32_e64 v3, s[2:3], v21, v3, s[2:3]
	global_load_dwordx2 v[2:3], v[2:3], off
.LBB1931_9:                             ;   in Loop: Header=BB1931_5 Depth=1
	s_or_b64 exec, exec, s[12:13]
	s_waitcnt vmcnt(0)
	ds_write_b64 v23, v[2:3]
	s_waitcnt lgkmcnt(0)
	s_barrier
	s_and_saveexec_b64 s[2:3], s[4:5]
	s_cbranch_execz .LBB1931_11
; %bb.10:                               ;   in Loop: Header=BB1931_5 Depth=1
	ds_read2_b64 v[2:5], v22 offset1:32
	ds_read_b128 v[6:9], v18
	ds_read_b128 v[30:33], v18 offset:16
	s_waitcnt lgkmcnt(1)
	v_mul_f32_e32 v13, v3, v7
	v_mul_f32_e32 v15, v2, v7
	v_fma_f32 v13, v2, v6, -v13
	v_mul_f32_e32 v2, v5, v9
	v_mul_f32_e32 v39, v4, v9
	v_fmac_f32_e32 v15, v3, v6
	v_fma_f32 v38, v4, v8, -v2
	v_fmac_f32_e32 v39, v5, v8
	ds_read_b128 v[2:5], v18 offset:32
	ds_read_b128 v[6:9], v18 offset:48
	ds_read2_b64 v[34:37], v22 offset0:64 offset1:96
	v_add_f32_e32 v13, 0, v13
	v_add_f32_e32 v13, v13, v38
	;; [unrolled: 1-line block ×4, first 2 shown]
	s_waitcnt lgkmcnt(0)
	v_mul_f32_e32 v38, v35, v31
	v_fma_f32 v38, v34, v30, -v38
	v_mul_f32_e32 v34, v34, v31
	v_fmac_f32_e32 v34, v35, v30
	v_mul_f32_e32 v30, v37, v33
	v_fma_f32 v35, v36, v32, -v30
	v_mul_f32_e32 v36, v36, v33
	v_fmac_f32_e32 v36, v37, v32
	ds_read2_b64 v[30:33], v22 offset0:128 offset1:160
	v_add_f32_e32 v13, v13, v38
	v_add_f32_e32 v15, v15, v34
	;; [unrolled: 1-line block ×4, first 2 shown]
	s_waitcnt lgkmcnt(0)
	v_mul_f32_e32 v34, v31, v3
	v_fma_f32 v34, v30, v2, -v34
	v_mul_f32_e32 v3, v30, v3
	v_fmac_f32_e32 v3, v31, v2
	v_add_f32_e32 v2, v13, v34
	ds_read2_b64 v[34:37], v22 offset0:192 offset1:224
	v_mul_f32_e32 v13, v33, v5
	v_mul_f32_e32 v5, v32, v5
	v_add_f32_e32 v3, v15, v3
	v_fma_f32 v13, v32, v4, -v13
	v_fmac_f32_e32 v5, v33, v4
	s_waitcnt lgkmcnt(0)
	v_mul_f32_e32 v4, v35, v7
	v_add_f32_e32 v2, v2, v13
	v_add_f32_e32 v3, v3, v5
	v_fma_f32 v4, v34, v6, -v4
	v_mul_f32_e32 v5, v34, v7
	v_fmac_f32_e32 v5, v35, v6
	v_add_f32_e32 v6, v2, v4
	v_mul_f32_e32 v2, v37, v9
	v_add_f32_e32 v7, v3, v5
	v_fma_f32 v13, v36, v8, -v2
	ds_read_b128 v[2:5], v18 offset:64
	ds_read2_b64 v[30:33], v28 offset1:32
	v_mul_f32_e32 v9, v36, v9
	v_fmac_f32_e32 v9, v37, v8
	v_add_f32_e32 v13, v6, v13
	v_add_f32_e32 v15, v7, v9
	s_waitcnt lgkmcnt(0)
	v_mul_f32_e32 v34, v31, v3
	v_fma_f32 v34, v30, v2, -v34
	v_mul_f32_e32 v3, v30, v3
	ds_read_b128 v[6:9], v18 offset:80
	v_fmac_f32_e32 v3, v31, v2
	v_add_f32_e32 v2, v13, v34
	ds_read2_b64 v[34:37], v28 offset0:64 offset1:96
	v_mul_f32_e32 v13, v33, v5
	v_mul_f32_e32 v5, v32, v5
	v_add_f32_e32 v3, v15, v3
	v_fma_f32 v13, v32, v4, -v13
	v_fmac_f32_e32 v5, v33, v4
	s_waitcnt lgkmcnt(0)
	v_mul_f32_e32 v4, v35, v7
	v_add_f32_e32 v2, v2, v13
	v_add_f32_e32 v3, v3, v5
	v_fma_f32 v4, v34, v6, -v4
	v_mul_f32_e32 v5, v34, v7
	v_fmac_f32_e32 v5, v35, v6
	v_add_f32_e32 v6, v2, v4
	v_mul_f32_e32 v2, v37, v9
	v_add_f32_e32 v7, v3, v5
	v_fma_f32 v13, v36, v8, -v2
	ds_read_b128 v[2:5], v18 offset:96
	ds_read2_b64 v[30:33], v28 offset0:128 offset1:160
	v_mul_f32_e32 v9, v36, v9
	v_fmac_f32_e32 v9, v37, v8
	v_add_f32_e32 v13, v6, v13
	v_add_f32_e32 v15, v7, v9
	s_waitcnt lgkmcnt(0)
	v_mul_f32_e32 v34, v31, v3
	v_fma_f32 v34, v30, v2, -v34
	v_mul_f32_e32 v3, v30, v3
	ds_read_b128 v[6:9], v18 offset:112
	v_fmac_f32_e32 v3, v31, v2
	v_add_f32_e32 v2, v13, v34
	ds_read2_b64 v[34:37], v28 offset0:192 offset1:224
	v_mul_f32_e32 v13, v33, v5
	v_mul_f32_e32 v5, v32, v5
	v_add_f32_e32 v3, v15, v3
	v_fma_f32 v13, v32, v4, -v13
	v_fmac_f32_e32 v5, v33, v4
	s_waitcnt lgkmcnt(0)
	v_mul_f32_e32 v4, v35, v7
	v_add_f32_e32 v2, v2, v13
	v_add_f32_e32 v3, v3, v5
	v_fma_f32 v4, v34, v6, -v4
	v_mul_f32_e32 v5, v34, v7
	v_fmac_f32_e32 v5, v35, v6
	v_add_f32_e32 v6, v2, v4
	v_mul_f32_e32 v2, v37, v9
	v_add_f32_e32 v7, v3, v5
	v_fma_f32 v13, v36, v8, -v2
	ds_read_b128 v[2:5], v18 offset:128
	ds_read2_b64 v[30:33], v29 offset1:32
	v_mul_f32_e32 v9, v36, v9
	v_fmac_f32_e32 v9, v37, v8
	ds_read_b128 v[34:37], v18 offset:144
	ds_read2_b64 v[38:41], v29 offset0:64 offset1:96
	s_waitcnt lgkmcnt(2)
	v_mul_f32_e32 v8, v31, v3
	v_add_f32_e32 v6, v6, v13
	v_fma_f32 v8, v30, v2, -v8
	v_mul_f32_e32 v3, v30, v3
	v_add_f32_e32 v7, v7, v9
	v_fmac_f32_e32 v3, v31, v2
	v_add_f32_e32 v2, v6, v8
	v_mul_f32_e32 v6, v33, v5
	v_mul_f32_e32 v5, v32, v5
	v_add_f32_e32 v3, v7, v3
	v_fma_f32 v6, v32, v4, -v6
	v_fmac_f32_e32 v5, v33, v4
	s_waitcnt lgkmcnt(0)
	v_mul_f32_e32 v4, v39, v35
	v_add_f32_e32 v2, v2, v6
	v_add_f32_e32 v3, v3, v5
	v_fma_f32 v4, v38, v34, -v4
	v_mul_f32_e32 v5, v38, v35
	v_fmac_f32_e32 v5, v39, v34
	v_add_f32_e32 v13, v2, v4
	v_mul_f32_e32 v2, v41, v37
	v_add_f32_e32 v15, v3, v5
	v_fma_f32 v30, v40, v36, -v2
	ds_read_b128 v[2:5], v18 offset:160
	ds_read2_b64 v[6:9], v29 offset0:128 offset1:160
	global_load_dwordx2 v[38:39], v[10:11], off
	v_mul_f32_e32 v31, v40, v37
	v_fmac_f32_e32 v31, v41, v36
	v_add_f32_e32 v13, v13, v30
	s_waitcnt lgkmcnt(0)
	v_mul_f32_e32 v34, v7, v3
	v_fma_f32 v34, v6, v2, -v34
	v_mul_f32_e32 v3, v6, v3
	v_add_f32_e32 v15, v15, v31
	ds_read_b128 v[30:33], v18 offset:176
	v_fmac_f32_e32 v3, v7, v2
	v_add_f32_e32 v2, v13, v34
	ds_read2_b64 v[34:37], v29 offset0:192 offset1:224
	v_mul_f32_e32 v6, v9, v5
	v_mul_f32_e32 v5, v8, v5
	v_add_f32_e32 v3, v15, v3
	v_fmac_f32_e32 v5, v9, v4
	v_fma_f32 v6, v8, v4, -v6
	v_add_f32_e32 v13, v3, v5
	s_waitcnt lgkmcnt(0)
	v_mul_f32_e32 v3, v35, v31
	v_add_f32_e32 v2, v2, v6
	v_fma_f32 v3, v34, v30, -v3
	v_mul_f32_e32 v15, v34, v31
	v_fmac_f32_e32 v15, v35, v30
	v_add_f32_e32 v30, v2, v3
	v_mul_f32_e32 v2, v37, v33
	v_add_u32_e32 v34, 0x1800, v22
	v_fma_f32 v31, v36, v32, -v2
	ds_read_b128 v[2:5], v18 offset:192
	ds_read2_b64 v[6:9], v34 offset1:32
	v_mul_f32_e32 v33, v36, v33
	v_fmac_f32_e32 v33, v37, v32
	v_add_f32_e32 v13, v13, v15
	v_add_f32_e32 v15, v30, v31
	v_add_f32_e32 v13, v13, v33
	ds_read_b128 v[30:33], v18 offset:208
	s_waitcnt lgkmcnt(1)
	v_mul_f32_e32 v35, v7, v3
	v_fma_f32 v35, v6, v2, -v35
	v_mul_f32_e32 v6, v6, v3
	v_fmac_f32_e32 v6, v7, v2
	v_mul_f32_e32 v2, v9, v5
	v_fma_f32 v7, v8, v4, -v2
	v_mul_f32_e32 v8, v8, v5
	v_fmac_f32_e32 v8, v9, v4
	ds_read2_b64 v[2:5], v34 offset0:64 offset1:96
	v_add_f32_e32 v6, v13, v6
	v_add_f32_e32 v9, v15, v35
	;; [unrolled: 1-line block ×4, first 2 shown]
	s_waitcnt lgkmcnt(0)
	v_mul_f32_e32 v6, v3, v31
	v_fma_f32 v6, v2, v30, -v6
	v_mul_f32_e32 v15, v2, v31
	v_mul_f32_e32 v2, v5, v33
	;; [unrolled: 1-line block ×3, first 2 shown]
	v_fmac_f32_e32 v15, v3, v30
	v_add_f32_e32 v30, v7, v6
	v_fma_f32 v31, v4, v32, -v2
	v_fmac_f32_e32 v33, v5, v32
	ds_read_b128 v[2:5], v18 offset:224
	ds_read2_b64 v[6:9], v34 offset0:128 offset1:160
	v_add_f32_e32 v13, v13, v15
	v_add_f32_e32 v15, v30, v31
	;; [unrolled: 1-line block ×3, first 2 shown]
	ds_read_b128 v[30:33], v18 offset:240
	s_waitcnt lgkmcnt(1)
	v_mul_f32_e32 v35, v7, v3
	v_fma_f32 v35, v6, v2, -v35
	v_mul_f32_e32 v3, v6, v3
	v_fmac_f32_e32 v3, v7, v2
	v_add_f32_e32 v2, v15, v35
	ds_read2_b64 v[34:37], v34 offset0:192 offset1:224
	v_mul_f32_e32 v6, v9, v5
	v_mul_f32_e32 v5, v8, v5
	v_add_f32_e32 v3, v13, v3
	v_fmac_f32_e32 v5, v9, v4
	v_add_f32_e32 v3, v3, v5
	s_waitcnt lgkmcnt(0)
	v_mul_f32_e32 v5, v34, v31
	v_fma_f32 v6, v8, v4, -v6
	v_mul_f32_e32 v4, v35, v31
	v_fmac_f32_e32 v5, v35, v30
	v_add_f32_e32 v2, v2, v6
	v_fma_f32 v4, v34, v30, -v4
	v_add_f32_e32 v3, v3, v5
	v_mul_f32_e32 v5, v36, v33
	v_add_f32_e32 v2, v2, v4
	v_mul_f32_e32 v4, v37, v33
	v_fmac_f32_e32 v5, v37, v32
	v_fma_f32 v4, v36, v32, -v4
	v_add_f32_e32 v3, v3, v5
	v_add_f32_e32 v2, v2, v4
	v_mul_f32_e32 v4, s11, v3
	v_mul_f32_e32 v3, s10, v3
	v_fma_f32 v4, s10, v2, -v4
	v_fmac_f32_e32 v3, s11, v2
	s_waitcnt vmcnt(0)
	v_add_f32_e32 v2, v38, v4
	v_add_f32_e32 v3, v39, v3
	global_store_dwordx2 v[10:11], v[2:3], off
.LBB1931_11:                            ;   in Loop: Header=BB1931_5 Depth=1
	s_or_b64 exec, exec, s[2:3]
	v_mov_b32_e32 v4, 0
	v_mov_b32_e32 v3, 0
	v_mov_b32_e32 v5, 0
	s_waitcnt vmcnt(0)
	s_barrier
	s_and_saveexec_b64 s[12:13], s[6:7]
	s_cbranch_execz .LBB1931_13
; %bb.12:                               ;   in Loop: Header=BB1931_5 Depth=1
	v_ashrrev_i32_e32 v13, 31, v12
	v_lshlrev_b64 v[4:5], 3, v[12:13]
	v_add_co_u32_e64 v4, s[2:3], v24, v4
	v_addc_co_u32_e64 v5, s[2:3], v25, v5, s[2:3]
	global_load_dwordx2 v[4:5], v[4:5], off
	s_waitcnt vmcnt(0)
	v_xor_b32_e32 v5, 0x80000000, v5
.LBB1931_13:                            ;   in Loop: Header=BB1931_5 Depth=1
	s_or_b64 exec, exec, s[12:13]
	v_mov_b32_e32 v2, 0
	ds_write_b64 v19, v[4:5]
	s_and_saveexec_b64 s[6:7], s[8:9]
	s_cbranch_execz .LBB1931_15
; %bb.14:                               ;   in Loop: Header=BB1931_5 Depth=1
	v_ashrrev_i32_e32 v15, 31, v14
	v_lshlrev_b64 v[2:3], 3, v[14:15]
	v_add_co_u32_e64 v2, s[2:3], v26, v2
	v_addc_co_u32_e64 v3, s[2:3], v27, v3, s[2:3]
	global_load_dwordx2 v[2:3], v[2:3], off
.LBB1931_15:                            ;   in Loop: Header=BB1931_5 Depth=1
	s_or_b64 exec, exec, s[6:7]
	s_waitcnt vmcnt(0)
	ds_write_b64 v23, v[2:3]
	s_waitcnt lgkmcnt(0)
	s_barrier
	s_and_saveexec_b64 s[2:3], s[4:5]
	s_cbranch_execz .LBB1931_4
; %bb.16:                               ;   in Loop: Header=BB1931_5 Depth=1
	ds_read2_b64 v[2:5], v22 offset1:32
	ds_read_b128 v[6:9], v18
	ds_read_b128 v[12:15], v18 offset:16
	ds_read_b128 v[30:33], v18 offset:32
	ds_read_b128 v[34:37], v18 offset:48
	s_waitcnt lgkmcnt(3)
	v_mul_f32_e32 v38, v3, v7
	v_fma_f32 v38, v2, v6, -v38
	v_mul_f32_e32 v2, v2, v7
	v_fmac_f32_e32 v2, v3, v6
	v_add_f32_e32 v3, 0, v38
	ds_read2_b64 v[38:41], v22 offset0:64 offset1:96
	v_mul_f32_e32 v6, v5, v9
	v_fma_f32 v6, v4, v8, -v6
	v_mul_f32_e32 v4, v4, v9
	v_add_f32_e32 v2, 0, v2
	v_fmac_f32_e32 v4, v5, v8
	s_waitcnt lgkmcnt(0)
	v_mul_f32_e32 v5, v38, v13
	v_add_f32_e32 v2, v2, v4
	v_mul_f32_e32 v4, v39, v13
	v_fmac_f32_e32 v5, v39, v12
	v_add_f32_e32 v3, v3, v6
	v_fma_f32 v4, v38, v12, -v4
	v_add_f32_e32 v7, v2, v5
	v_mul_f32_e32 v2, v41, v15
	v_add_f32_e32 v6, v3, v4
	v_fma_f32 v8, v40, v14, -v2
	ds_read2_b64 v[2:5], v22 offset0:128 offset1:160
	v_mul_f32_e32 v9, v40, v15
	v_add_f32_e32 v6, v6, v8
	v_fmac_f32_e32 v9, v41, v14
	v_add_f32_e32 v7, v7, v9
	s_waitcnt lgkmcnt(0)
	v_mul_f32_e32 v8, v3, v31
	v_fma_f32 v8, v2, v30, -v8
	v_mul_f32_e32 v2, v2, v31
	v_fmac_f32_e32 v2, v3, v30
	v_add_f32_e32 v3, v6, v8
	v_mul_f32_e32 v6, v5, v33
	v_add_f32_e32 v2, v7, v2
	v_fma_f32 v12, v4, v32, -v6
	ds_read2_b64 v[6:9], v22 offset0:192 offset1:224
	v_mul_f32_e32 v4, v4, v33
	v_fmac_f32_e32 v4, v5, v32
	v_add_f32_e32 v2, v2, v4
	v_add_f32_e32 v3, v3, v12
	s_waitcnt lgkmcnt(0)
	v_mul_f32_e32 v5, v6, v35
	v_mul_f32_e32 v4, v7, v35
	v_fmac_f32_e32 v5, v7, v34
	v_fma_f32 v4, v6, v34, -v4
	v_add_f32_e32 v7, v2, v5
	v_mul_f32_e32 v2, v9, v37
	v_add_f32_e32 v6, v3, v4
	v_fma_f32 v30, v8, v36, -v2
	ds_read_b128 v[2:5], v18 offset:64
	ds_read2_b64 v[12:15], v28 offset1:32
	v_mul_f32_e32 v8, v8, v37
	v_fmac_f32_e32 v8, v9, v36
	v_add_f32_e32 v30, v6, v30
	v_add_f32_e32 v31, v7, v8
	s_waitcnt lgkmcnt(0)
	v_mul_f32_e32 v32, v13, v3
	v_mul_f32_e32 v3, v12, v3
	v_fma_f32 v32, v12, v2, -v32
	v_fmac_f32_e32 v3, v13, v2
	ds_read_b128 v[6:9], v18 offset:80
	v_add_f32_e32 v2, v30, v32
	v_add_f32_e32 v3, v31, v3
	ds_read2_b64 v[30:33], v28 offset0:64 offset1:96
	v_mul_f32_e32 v12, v15, v5
	v_mul_f32_e32 v5, v14, v5
	v_fma_f32 v12, v14, v4, -v12
	v_fmac_f32_e32 v5, v15, v4
	s_waitcnt lgkmcnt(0)
	v_mul_f32_e32 v4, v31, v7
	v_add_f32_e32 v2, v2, v12
	v_add_f32_e32 v3, v3, v5
	v_fma_f32 v4, v30, v6, -v4
	v_mul_f32_e32 v5, v30, v7
	v_fmac_f32_e32 v5, v31, v6
	v_add_f32_e32 v6, v2, v4
	v_mul_f32_e32 v2, v33, v9
	v_add_f32_e32 v7, v3, v5
	v_fma_f32 v30, v32, v8, -v2
	ds_read_b128 v[2:5], v18 offset:96
	ds_read2_b64 v[12:15], v28 offset0:128 offset1:160
	v_mul_f32_e32 v9, v32, v9
	v_fmac_f32_e32 v9, v33, v8
	v_add_f32_e32 v30, v6, v30
	v_add_f32_e32 v31, v7, v9
	s_waitcnt lgkmcnt(0)
	v_mul_f32_e32 v32, v13, v3
	v_mul_f32_e32 v3, v12, v3
	v_fma_f32 v32, v12, v2, -v32
	v_fmac_f32_e32 v3, v13, v2
	ds_read_b128 v[6:9], v18 offset:112
	v_add_f32_e32 v2, v30, v32
	v_add_f32_e32 v3, v31, v3
	ds_read2_b64 v[30:33], v28 offset0:192 offset1:224
	v_mul_f32_e32 v12, v15, v5
	v_mul_f32_e32 v5, v14, v5
	v_fma_f32 v12, v14, v4, -v12
	v_fmac_f32_e32 v5, v15, v4
	s_waitcnt lgkmcnt(0)
	v_mul_f32_e32 v4, v31, v7
	v_add_f32_e32 v2, v2, v12
	v_add_f32_e32 v3, v3, v5
	v_fma_f32 v4, v30, v6, -v4
	v_mul_f32_e32 v5, v30, v7
	v_fmac_f32_e32 v5, v31, v6
	v_add_f32_e32 v6, v2, v4
	v_mul_f32_e32 v2, v33, v9
	v_add_f32_e32 v7, v3, v5
	v_fma_f32 v30, v32, v8, -v2
	ds_read_b128 v[2:5], v18 offset:128
	ds_read2_b64 v[12:15], v29 offset1:32
	v_mul_f32_e32 v9, v32, v9
	v_fmac_f32_e32 v9, v33, v8
	v_add_f32_e32 v6, v6, v30
	ds_read_b128 v[30:33], v18 offset:144
	ds_read2_b64 v[34:37], v29 offset0:64 offset1:96
	s_waitcnt lgkmcnt(2)
	v_mul_f32_e32 v8, v13, v3
	v_fma_f32 v8, v12, v2, -v8
	v_mul_f32_e32 v3, v12, v3
	v_add_f32_e32 v7, v7, v9
	v_fmac_f32_e32 v3, v13, v2
	v_add_f32_e32 v2, v6, v8
	v_mul_f32_e32 v6, v15, v5
	v_mul_f32_e32 v5, v14, v5
	v_add_f32_e32 v3, v7, v3
	v_fma_f32 v6, v14, v4, -v6
	v_fmac_f32_e32 v5, v15, v4
	s_waitcnt lgkmcnt(0)
	v_mul_f32_e32 v4, v35, v31
	v_add_f32_e32 v2, v2, v6
	v_add_f32_e32 v3, v3, v5
	v_fma_f32 v4, v34, v30, -v4
	v_mul_f32_e32 v5, v34, v31
	v_fmac_f32_e32 v5, v35, v30
	v_add_f32_e32 v12, v2, v4
	v_mul_f32_e32 v2, v37, v33
	v_add_f32_e32 v13, v3, v5
	v_fma_f32 v14, v36, v32, -v2
	ds_read_b128 v[2:5], v18 offset:160
	ds_read2_b64 v[6:9], v29 offset0:128 offset1:160
	global_load_dwordx2 v[34:35], v[10:11], off
	v_mul_f32_e32 v15, v36, v33
	v_fmac_f32_e32 v15, v37, v32
	v_add_f32_e32 v30, v12, v14
	s_waitcnt lgkmcnt(0)
	v_mul_f32_e32 v32, v7, v3
	v_mul_f32_e32 v3, v6, v3
	v_add_f32_e32 v31, v13, v15
	v_fma_f32 v32, v6, v2, -v32
	v_fmac_f32_e32 v3, v7, v2
	ds_read_b128 v[12:15], v18 offset:176
	v_add_f32_e32 v2, v30, v32
	v_add_f32_e32 v3, v31, v3
	ds_read2_b64 v[30:33], v29 offset0:192 offset1:224
	v_mul_f32_e32 v6, v9, v5
	v_mul_f32_e32 v5, v8, v5
	v_fma_f32 v6, v8, v4, -v6
	v_fmac_f32_e32 v5, v9, v4
	s_waitcnt lgkmcnt(0)
	v_mul_f32_e32 v4, v31, v13
	v_add_f32_e32 v2, v2, v6
	v_add_f32_e32 v3, v3, v5
	v_fma_f32 v4, v30, v12, -v4
	v_mul_f32_e32 v5, v30, v13
	v_fmac_f32_e32 v5, v31, v12
	v_add_f32_e32 v12, v2, v4
	v_mul_f32_e32 v2, v33, v15
	v_add_u32_e32 v36, 0x1800, v22
	v_add_f32_e32 v13, v3, v5
	v_fma_f32 v30, v32, v14, -v2
	ds_read_b128 v[2:5], v18 offset:192
	ds_read2_b64 v[6:9], v36 offset1:32
	v_mul_f32_e32 v15, v32, v15
	v_fmac_f32_e32 v15, v33, v14
	v_add_f32_e32 v30, v12, v30
	v_add_f32_e32 v31, v13, v15
	ds_read_b128 v[12:15], v18 offset:208
	s_waitcnt lgkmcnt(1)
	v_mul_f32_e32 v32, v7, v3
	v_mul_f32_e32 v3, v6, v3
	v_fma_f32 v32, v6, v2, -v32
	v_fmac_f32_e32 v3, v7, v2
	v_add_f32_e32 v2, v30, v32
	v_add_f32_e32 v3, v31, v3
	ds_read2_b64 v[30:33], v36 offset0:64 offset1:96
	v_mul_f32_e32 v6, v9, v5
	v_mul_f32_e32 v5, v8, v5
	v_fma_f32 v6, v8, v4, -v6
	v_fmac_f32_e32 v5, v9, v4
	s_waitcnt lgkmcnt(0)
	v_mul_f32_e32 v4, v31, v13
	v_add_f32_e32 v2, v2, v6
	v_add_f32_e32 v3, v3, v5
	v_fma_f32 v4, v30, v12, -v4
	v_mul_f32_e32 v5, v30, v13
	v_fmac_f32_e32 v5, v31, v12
	v_add_f32_e32 v12, v2, v4
	v_mul_f32_e32 v2, v33, v15
	v_add_f32_e32 v13, v3, v5
	v_fma_f32 v30, v32, v14, -v2
	ds_read_b128 v[2:5], v18 offset:224
	ds_read2_b64 v[6:9], v36 offset0:128 offset1:160
	v_mul_f32_e32 v15, v32, v15
	v_fmac_f32_e32 v15, v33, v14
	v_add_f32_e32 v30, v12, v30
	v_add_f32_e32 v31, v13, v15
	s_waitcnt lgkmcnt(0)
	v_mul_f32_e32 v32, v7, v3
	v_mul_f32_e32 v3, v6, v3
	v_fma_f32 v32, v6, v2, -v32
	v_fmac_f32_e32 v3, v7, v2
	ds_read_b128 v[12:15], v18 offset:240
	v_add_f32_e32 v2, v30, v32
	v_add_f32_e32 v3, v31, v3
	ds_read2_b64 v[30:33], v36 offset0:192 offset1:224
	v_mul_f32_e32 v6, v9, v5
	v_mul_f32_e32 v5, v8, v5
	v_fma_f32 v6, v8, v4, -v6
	v_fmac_f32_e32 v5, v9, v4
	s_waitcnt lgkmcnt(0)
	v_mul_f32_e32 v4, v31, v13
	v_add_f32_e32 v2, v2, v6
	v_add_f32_e32 v3, v3, v5
	v_fma_f32 v4, v30, v12, -v4
	v_mul_f32_e32 v5, v30, v13
	v_fmac_f32_e32 v5, v31, v12
	v_add_f32_e32 v2, v2, v4
	v_mul_f32_e32 v4, v33, v15
	v_add_f32_e32 v3, v3, v5
	v_fma_f32 v4, v32, v14, -v4
	v_mul_f32_e32 v5, v32, v15
	v_fmac_f32_e32 v5, v33, v14
	v_add_f32_e32 v2, v2, v4
	v_add_f32_e32 v3, v3, v5
	v_mul_f32_e32 v4, s10, v2
	v_mul_f32_e32 v2, s11, v2
	v_fmac_f32_e32 v4, s11, v3
	v_fma_f32 v3, s10, v3, -v2
	s_waitcnt vmcnt(0)
	v_add_f32_e32 v2, v34, v4
	v_add_f32_e32 v3, v35, v3
	global_store_dwordx2 v[10:11], v[2:3], off
	s_branch .LBB1931_4
.LBB1931_17:
	s_endpgm
	.section	.rodata,"a",@progbits
	.p2align	6, 0x0
	.amdhsa_kernel _ZL26rocblas_syr2k_her2k_kernelIiLb1ELb1ELb1ELi32EPK19rocblas_complex_numIfES3_PS1_EvbiT_T4_T5_S5_lS7_S5_lT6_S5_li
		.amdhsa_group_segment_fixed_size 16384
		.amdhsa_private_segment_fixed_size 0
		.amdhsa_kernarg_size 100
		.amdhsa_user_sgpr_count 6
		.amdhsa_user_sgpr_private_segment_buffer 1
		.amdhsa_user_sgpr_dispatch_ptr 0
		.amdhsa_user_sgpr_queue_ptr 0
		.amdhsa_user_sgpr_kernarg_segment_ptr 1
		.amdhsa_user_sgpr_dispatch_id 0
		.amdhsa_user_sgpr_flat_scratch_init 0
		.amdhsa_user_sgpr_private_segment_size 0
		.amdhsa_uses_dynamic_stack 0
		.amdhsa_system_sgpr_private_segment_wavefront_offset 0
		.amdhsa_system_sgpr_workgroup_id_x 1
		.amdhsa_system_sgpr_workgroup_id_y 1
		.amdhsa_system_sgpr_workgroup_id_z 1
		.amdhsa_system_sgpr_workgroup_info 0
		.amdhsa_system_vgpr_workitem_id 1
		.amdhsa_next_free_vgpr 42
		.amdhsa_next_free_sgpr 61
		.amdhsa_reserve_vcc 1
		.amdhsa_reserve_flat_scratch 0
		.amdhsa_float_round_mode_32 0
		.amdhsa_float_round_mode_16_64 0
		.amdhsa_float_denorm_mode_32 3
		.amdhsa_float_denorm_mode_16_64 3
		.amdhsa_dx10_clamp 1
		.amdhsa_ieee_mode 1
		.amdhsa_fp16_overflow 0
		.amdhsa_exception_fp_ieee_invalid_op 0
		.amdhsa_exception_fp_denorm_src 0
		.amdhsa_exception_fp_ieee_div_zero 0
		.amdhsa_exception_fp_ieee_overflow 0
		.amdhsa_exception_fp_ieee_underflow 0
		.amdhsa_exception_fp_ieee_inexact 0
		.amdhsa_exception_int_div_zero 0
	.end_amdhsa_kernel
	.section	.text._ZL26rocblas_syr2k_her2k_kernelIiLb1ELb1ELb1ELi32EPK19rocblas_complex_numIfES3_PS1_EvbiT_T4_T5_S5_lS7_S5_lT6_S5_li,"axG",@progbits,_ZL26rocblas_syr2k_her2k_kernelIiLb1ELb1ELb1ELi32EPK19rocblas_complex_numIfES3_PS1_EvbiT_T4_T5_S5_lS7_S5_lT6_S5_li,comdat
.Lfunc_end1931:
	.size	_ZL26rocblas_syr2k_her2k_kernelIiLb1ELb1ELb1ELi32EPK19rocblas_complex_numIfES3_PS1_EvbiT_T4_T5_S5_lS7_S5_lT6_S5_li, .Lfunc_end1931-_ZL26rocblas_syr2k_her2k_kernelIiLb1ELb1ELb1ELi32EPK19rocblas_complex_numIfES3_PS1_EvbiT_T4_T5_S5_lS7_S5_lT6_S5_li
                                        ; -- End function
	.set _ZL26rocblas_syr2k_her2k_kernelIiLb1ELb1ELb1ELi32EPK19rocblas_complex_numIfES3_PS1_EvbiT_T4_T5_S5_lS7_S5_lT6_S5_li.num_vgpr, 42
	.set _ZL26rocblas_syr2k_her2k_kernelIiLb1ELb1ELb1ELi32EPK19rocblas_complex_numIfES3_PS1_EvbiT_T4_T5_S5_lS7_S5_lT6_S5_li.num_agpr, 0
	.set _ZL26rocblas_syr2k_her2k_kernelIiLb1ELb1ELb1ELi32EPK19rocblas_complex_numIfES3_PS1_EvbiT_T4_T5_S5_lS7_S5_lT6_S5_li.numbered_sgpr, 24
	.set _ZL26rocblas_syr2k_her2k_kernelIiLb1ELb1ELb1ELi32EPK19rocblas_complex_numIfES3_PS1_EvbiT_T4_T5_S5_lS7_S5_lT6_S5_li.num_named_barrier, 0
	.set _ZL26rocblas_syr2k_her2k_kernelIiLb1ELb1ELb1ELi32EPK19rocblas_complex_numIfES3_PS1_EvbiT_T4_T5_S5_lS7_S5_lT6_S5_li.private_seg_size, 0
	.set _ZL26rocblas_syr2k_her2k_kernelIiLb1ELb1ELb1ELi32EPK19rocblas_complex_numIfES3_PS1_EvbiT_T4_T5_S5_lS7_S5_lT6_S5_li.uses_vcc, 1
	.set _ZL26rocblas_syr2k_her2k_kernelIiLb1ELb1ELb1ELi32EPK19rocblas_complex_numIfES3_PS1_EvbiT_T4_T5_S5_lS7_S5_lT6_S5_li.uses_flat_scratch, 0
	.set _ZL26rocblas_syr2k_her2k_kernelIiLb1ELb1ELb1ELi32EPK19rocblas_complex_numIfES3_PS1_EvbiT_T4_T5_S5_lS7_S5_lT6_S5_li.has_dyn_sized_stack, 0
	.set _ZL26rocblas_syr2k_her2k_kernelIiLb1ELb1ELb1ELi32EPK19rocblas_complex_numIfES3_PS1_EvbiT_T4_T5_S5_lS7_S5_lT6_S5_li.has_recursion, 0
	.set _ZL26rocblas_syr2k_her2k_kernelIiLb1ELb1ELb1ELi32EPK19rocblas_complex_numIfES3_PS1_EvbiT_T4_T5_S5_lS7_S5_lT6_S5_li.has_indirect_call, 0
	.section	.AMDGPU.csdata,"",@progbits
; Kernel info:
; codeLenInByte = 3488
; TotalNumSgprs: 28
; NumVgprs: 42
; ScratchSize: 0
; MemoryBound: 0
; FloatMode: 240
; IeeeMode: 1
; LDSByteSize: 16384 bytes/workgroup (compile time only)
; SGPRBlocks: 8
; VGPRBlocks: 10
; NumSGPRsForWavesPerEU: 65
; NumVGPRsForWavesPerEU: 42
; Occupancy: 5
; WaveLimiterHint : 0
; COMPUTE_PGM_RSRC2:SCRATCH_EN: 0
; COMPUTE_PGM_RSRC2:USER_SGPR: 6
; COMPUTE_PGM_RSRC2:TRAP_HANDLER: 0
; COMPUTE_PGM_RSRC2:TGID_X_EN: 1
; COMPUTE_PGM_RSRC2:TGID_Y_EN: 1
; COMPUTE_PGM_RSRC2:TGID_Z_EN: 1
; COMPUTE_PGM_RSRC2:TIDIG_COMP_CNT: 1
	.section	.text._ZL26rocblas_syr2k_her2k_kernelIiLb1ELb1ELb0ELi32E19rocblas_complex_numIdEPKS1_PS1_EvbiT_T4_T5_S5_lS7_S5_lT6_S5_li,"axG",@progbits,_ZL26rocblas_syr2k_her2k_kernelIiLb1ELb1ELb0ELi32E19rocblas_complex_numIdEPKS1_PS1_EvbiT_T4_T5_S5_lS7_S5_lT6_S5_li,comdat
	.globl	_ZL26rocblas_syr2k_her2k_kernelIiLb1ELb1ELb0ELi32E19rocblas_complex_numIdEPKS1_PS1_EvbiT_T4_T5_S5_lS7_S5_lT6_S5_li ; -- Begin function _ZL26rocblas_syr2k_her2k_kernelIiLb1ELb1ELb0ELi32E19rocblas_complex_numIdEPKS1_PS1_EvbiT_T4_T5_S5_lS7_S5_lT6_S5_li
	.p2align	8
	.type	_ZL26rocblas_syr2k_her2k_kernelIiLb1ELb1ELb0ELi32E19rocblas_complex_numIdEPKS1_PS1_EvbiT_T4_T5_S5_lS7_S5_lT6_S5_li,@function
_ZL26rocblas_syr2k_her2k_kernelIiLb1ELb1ELb0ELi32E19rocblas_complex_numIdEPKS1_PS1_EvbiT_T4_T5_S5_lS7_S5_lT6_S5_li: ; @_ZL26rocblas_syr2k_her2k_kernelIiLb1ELb1ELb0ELi32E19rocblas_complex_numIdEPKS1_PS1_EvbiT_T4_T5_S5_lS7_S5_lT6_S5_li
; %bb.0:
	s_load_dwordx4 s[12:15], s[4:5], 0x10
	s_waitcnt lgkmcnt(0)
	v_cmp_eq_f64_e64 s[0:1], s[12:13], 0
	v_cmp_eq_f64_e64 s[2:3], s[14:15], 0
	s_and_b64 s[0:1], s[0:1], s[2:3]
	s_and_b64 vcc, exec, s[0:1]
	s_cbranch_vccnz .LBB1932_17
; %bb.1:
	s_load_dwordx4 s[16:19], s[4:5], 0x0
	s_lshl_b32 s0, s7, 5
	s_lshl_b32 s1, s6, 5
	s_waitcnt lgkmcnt(0)
	s_and_b32 s2, 1, s16
	s_cmp_eq_u32 s2, 1
	s_cselect_b64 vcc, -1, 0
	s_and_b64 s[2:3], vcc, exec
	s_cselect_b32 s2, s1, s0
	s_cselect_b32 s3, s0, s1
	s_cmp_gt_i32 s2, s3
	s_cbranch_scc1 .LBB1932_17
; %bb.2:
	s_cmp_lt_i32 s18, 1
	s_cbranch_scc1 .LBB1932_17
; %bb.3:
	s_load_dwordx2 s[2:3], s[4:5], 0x20
	s_load_dword s16, s[4:5], 0x28
	s_load_dwordx4 s[20:23], s[4:5], 0x30
	s_load_dword s19, s[4:5], 0x40
	s_load_dwordx4 s[24:27], s[4:5], 0x48
	s_load_dword s9, s[4:5], 0x58
	s_load_dwordx2 s[6:7], s[4:5], 0x60
	s_waitcnt lgkmcnt(0)
	s_mul_i32 s4, s21, s8
	s_mul_hi_u32 s5, s20, s8
	s_add_i32 s5, s5, s4
	s_mul_i32 s4, s20, s8
	s_lshl_b64 s[4:5], s[4:5], 4
	s_add_u32 s10, s2, s4
	s_addc_u32 s11, s3, s5
	s_mul_i32 s2, s25, s8
	s_mul_hi_u32 s3, s24, s8
	v_add_u32_e32 v3, s1, v0
	s_add_i32 s3, s3, s2
	s_mul_i32 s2, s24, s8
	v_ashrrev_i32_e32 v4, 31, v3
	s_lshl_b64 s[2:3], s[2:3], 4
	v_lshlrev_b64 v[4:5], 4, v[3:4]
	s_add_u32 s20, s22, s2
	v_add_u32_e32 v2, s0, v1
	s_addc_u32 s21, s23, s3
	s_mul_i32 s2, s7, s8
	s_mul_hi_u32 s3, s6, s8
	v_cndmask_b32_e32 v8, v3, v2, vcc
	v_cndmask_b32_e32 v9, v2, v3, vcc
	v_cmp_gt_i32_e32 vcc, s17, v3
	v_mov_b32_e32 v3, s11
	v_add_co_u32_e64 v36, s[0:1], s10, v4
	s_add_i32 s3, s3, s2
	s_mul_i32 s2, s6, s8
	v_addc_co_u32_e64 v37, s[0:1], v3, v5, s[0:1]
	v_ashrrev_i32_e32 v3, 31, v2
	s_lshl_b64 s[2:3], s[2:3], 4
	v_lshlrev_b64 v[6:7], 4, v[2:3]
	s_add_u32 s6, s26, s2
	s_addc_u32 s7, s27, s3
	v_mov_b32_e32 v3, s21
	v_add_co_u32_e64 v40, s[2:3], s20, v6
	v_cmp_gt_i32_e64 s[0:1], s17, v2
	v_addc_co_u32_e64 v41, s[2:3], v3, v7, s[2:3]
	v_mad_i64_i32 v[2:3], s[2:3], s9, v2, 0
	v_cmp_le_i32_e64 s[2:3], v9, v8
	s_and_b64 s[4:5], s[0:1], vcc
	v_lshlrev_b64 v[2:3], 4, v[2:3]
	s_and_b64 s[4:5], s[4:5], s[2:3]
	v_mov_b32_e32 v8, s7
	v_add_co_u32_e64 v2, s[2:3], s6, v2
	v_addc_co_u32_e64 v3, s[2:3], v8, v3, s[2:3]
	v_add_co_u32_e64 v34, s[2:3], v2, v4
	v_addc_co_u32_e64 v35, s[2:3], v3, v5, s[2:3]
	v_mov_b32_e32 v2, s21
	v_add_co_u32_e64 v44, s[2:3], s20, v4
	v_lshlrev_b32_e32 v10, 4, v1
	v_addc_co_u32_e64 v45, s[2:3], v2, v5, s[2:3]
	v_lshlrev_b32_e32 v38, 9, v0
	v_or_b32_e32 v42, 0x4000, v10
	v_mov_b32_e32 v2, s11
	v_add_co_u32_e64 v46, s[2:3], s10, v6
	v_add_u32_e32 v39, v38, v10
	v_add_u32_e32 v43, v42, v38
	v_addc_co_u32_e64 v47, s[2:3], v2, v7, s[2:3]
	s_mov_b32 s17, 0
	s_branch .LBB1932_5
.LBB1932_4:                             ;   in Loop: Header=BB1932_5 Depth=1
	s_or_b64 exec, exec, s[2:3]
	s_add_i32 s17, s17, 32
	s_cmp_lt_i32 s17, s18
	s_waitcnt vmcnt(0)
	s_barrier
	s_cbranch_scc0 .LBB1932_17
.LBB1932_5:                             ; =>This Inner Loop Header: Depth=1
	v_add_u32_e32 v10, s17, v1
	v_cmp_gt_i32_e64 s[2:3], s18, v10
	v_mov_b32_e32 v2, 0
	v_mov_b32_e32 v4, 0
	;; [unrolled: 1-line block ×6, first 2 shown]
	s_and_b64 s[6:7], vcc, s[2:3]
	s_and_saveexec_b64 s[8:9], s[6:7]
	s_cbranch_execz .LBB1932_7
; %bb.6:                                ;   in Loop: Header=BB1932_5 Depth=1
	v_mad_i64_i32 v[4:5], s[2:3], v10, s16, 0
	v_lshlrev_b64 v[4:5], 4, v[4:5]
	v_add_co_u32_e64 v4, s[2:3], v36, v4
	v_addc_co_u32_e64 v5, s[2:3], v37, v5, s[2:3]
	global_load_dwordx4 v[4:7], v[4:5], off
.LBB1932_7:                             ;   in Loop: Header=BB1932_5 Depth=1
	s_or_b64 exec, exec, s[8:9]
	v_add_u32_e32 v11, s17, v0
	s_waitcnt vmcnt(0)
	ds_write_b128 v39, v[4:7]
	v_cmp_gt_i32_e64 s[2:3], s18, v11
	v_mov_b32_e32 v4, 0
	v_mov_b32_e32 v5, 0
	s_and_b64 s[8:9], s[0:1], s[2:3]
	s_and_saveexec_b64 s[10:11], s[8:9]
	s_cbranch_execz .LBB1932_9
; %bb.8:                                ;   in Loop: Header=BB1932_5 Depth=1
	v_mad_i64_i32 v[2:3], s[2:3], v11, s19, 0
	v_lshlrev_b64 v[2:3], 4, v[2:3]
	v_add_co_u32_e64 v2, s[2:3], v40, v2
	v_addc_co_u32_e64 v3, s[2:3], v41, v3, s[2:3]
	global_load_dwordx4 v[2:5], v[2:3], off
	s_waitcnt vmcnt(0)
	v_xor_b32_e32 v5, 0x80000000, v5
.LBB1932_9:                             ;   in Loop: Header=BB1932_5 Depth=1
	s_or_b64 exec, exec, s[10:11]
	ds_write_b128 v43, v[2:5]
	s_waitcnt lgkmcnt(0)
	s_barrier
	s_and_saveexec_b64 s[2:3], s[4:5]
	s_cbranch_execz .LBB1932_11
; %bb.10:                               ;   in Loop: Header=BB1932_5 Depth=1
	ds_read_b128 v[6:9], v42
	ds_read_b128 v[12:15], v38
	ds_read_b128 v[16:19], v38 offset:16
	ds_read_b128 v[20:23], v38 offset:32
	;; [unrolled: 1-line block ×3, first 2 shown]
	s_waitcnt lgkmcnt(3)
	v_mul_f64 v[24:25], v[8:9], v[14:15]
	v_fma_f64 v[24:25], v[6:7], v[12:13], -v[24:25]
	v_mul_f64 v[6:7], v[6:7], v[14:15]
	v_fma_f64 v[6:7], v[8:9], v[12:13], v[6:7]
	v_add_f64 v[12:13], v[24:25], 0
	v_add_f64 v[14:15], v[6:7], 0
	ds_read_b128 v[6:9], v42 offset:512
	s_waitcnt lgkmcnt(0)
	v_mul_f64 v[24:25], v[8:9], v[18:19]
	v_fma_f64 v[24:25], v[6:7], v[16:17], -v[24:25]
	v_mul_f64 v[6:7], v[6:7], v[18:19]
	v_add_f64 v[12:13], v[12:13], v[24:25]
	v_fma_f64 v[6:7], v[8:9], v[16:17], v[6:7]
	v_add_f64 v[14:15], v[14:15], v[6:7]
	ds_read_b128 v[6:9], v42 offset:1024
	s_waitcnt lgkmcnt(0)
	v_mul_f64 v[16:17], v[8:9], v[22:23]
	v_fma_f64 v[16:17], v[6:7], v[20:21], -v[16:17]
	v_mul_f64 v[6:7], v[6:7], v[22:23]
	v_add_f64 v[12:13], v[12:13], v[16:17]
	v_fma_f64 v[6:7], v[8:9], v[20:21], v[6:7]
	v_add_f64 v[14:15], v[14:15], v[6:7]
	ds_read_b128 v[6:9], v42 offset:1536
	s_waitcnt lgkmcnt(0)
	v_mul_f64 v[16:17], v[8:9], v[4:5]
	v_mul_f64 v[4:5], v[6:7], v[4:5]
	v_fma_f64 v[16:17], v[6:7], v[2:3], -v[16:17]
	v_fma_f64 v[2:3], v[8:9], v[2:3], v[4:5]
	v_add_f64 v[12:13], v[12:13], v[16:17]
	v_add_f64 v[14:15], v[14:15], v[2:3]
	ds_read_b128 v[2:5], v42 offset:2048
	ds_read_b128 v[6:9], v38 offset:64
	s_waitcnt lgkmcnt(0)
	v_mul_f64 v[16:17], v[4:5], v[8:9]
	v_fma_f64 v[16:17], v[2:3], v[6:7], -v[16:17]
	v_mul_f64 v[2:3], v[2:3], v[8:9]
	v_add_f64 v[12:13], v[12:13], v[16:17]
	v_fma_f64 v[2:3], v[4:5], v[6:7], v[2:3]
	v_add_f64 v[14:15], v[14:15], v[2:3]
	ds_read_b128 v[2:5], v42 offset:2560
	ds_read_b128 v[6:9], v38 offset:80
	s_waitcnt lgkmcnt(0)
	v_mul_f64 v[16:17], v[4:5], v[8:9]
	v_fma_f64 v[16:17], v[2:3], v[6:7], -v[16:17]
	v_mul_f64 v[2:3], v[2:3], v[8:9]
	v_add_f64 v[12:13], v[12:13], v[16:17]
	v_fma_f64 v[2:3], v[4:5], v[6:7], v[2:3]
	;; [unrolled: 9-line block ×27, first 2 shown]
	v_add_f64 v[14:15], v[14:15], v[2:3]
	ds_read_b128 v[2:5], v42 offset:15872
	ds_read_b128 v[6:9], v38 offset:496
	s_waitcnt lgkmcnt(0)
	v_mul_f64 v[16:17], v[4:5], v[8:9]
	v_fma_f64 v[16:17], v[2:3], v[6:7], -v[16:17]
	v_mul_f64 v[2:3], v[2:3], v[8:9]
	v_fma_f64 v[2:3], v[4:5], v[6:7], v[2:3]
	v_add_f64 v[4:5], v[12:13], v[16:17]
	v_add_f64 v[2:3], v[14:15], v[2:3]
	v_mul_f64 v[6:7], s[14:15], v[2:3]
	v_mul_f64 v[2:3], s[12:13], v[2:3]
	v_fma_f64 v[6:7], s[12:13], v[4:5], -v[6:7]
	v_fma_f64 v[8:9], s[14:15], v[4:5], v[2:3]
	global_load_dwordx4 v[2:5], v[34:35], off
	s_waitcnt vmcnt(0)
	v_add_f64 v[2:3], v[2:3], v[6:7]
	v_add_f64 v[4:5], v[4:5], v[8:9]
	global_store_dwordx4 v[34:35], v[2:5], off
.LBB1932_11:                            ;   in Loop: Header=BB1932_5 Depth=1
	s_or_b64 exec, exec, s[2:3]
	v_mov_b32_e32 v4, 0
	v_mov_b32_e32 v8, 0
	;; [unrolled: 1-line block ×6, first 2 shown]
	s_waitcnt vmcnt(0)
	s_barrier
	s_and_saveexec_b64 s[10:11], s[6:7]
	s_cbranch_execz .LBB1932_13
; %bb.12:                               ;   in Loop: Header=BB1932_5 Depth=1
	v_mad_i64_i32 v[2:3], s[2:3], v10, s19, 0
	v_lshlrev_b64 v[2:3], 4, v[2:3]
	v_add_co_u32_e64 v2, s[2:3], v44, v2
	v_addc_co_u32_e64 v3, s[2:3], v45, v3, s[2:3]
	global_load_dwordx4 v[6:9], v[2:3], off
.LBB1932_13:                            ;   in Loop: Header=BB1932_5 Depth=1
	s_or_b64 exec, exec, s[10:11]
	v_mov_b32_e32 v2, 0
	v_mov_b32_e32 v3, 0
	s_waitcnt vmcnt(0)
	ds_write_b128 v39, v[6:9]
	s_and_saveexec_b64 s[6:7], s[8:9]
	s_cbranch_execz .LBB1932_15
; %bb.14:                               ;   in Loop: Header=BB1932_5 Depth=1
	v_mad_i64_i32 v[2:3], s[2:3], v11, s16, 0
	v_lshlrev_b64 v[2:3], 4, v[2:3]
	v_add_co_u32_e64 v2, s[2:3], v46, v2
	v_addc_co_u32_e64 v3, s[2:3], v47, v3, s[2:3]
	global_load_dwordx4 v[2:5], v[2:3], off
	s_waitcnt vmcnt(0)
	v_xor_b32_e32 v5, 0x80000000, v5
.LBB1932_15:                            ;   in Loop: Header=BB1932_5 Depth=1
	s_or_b64 exec, exec, s[6:7]
	ds_write_b128 v43, v[2:5]
	s_waitcnt lgkmcnt(0)
	s_barrier
	s_and_saveexec_b64 s[2:3], s[4:5]
	s_cbranch_execz .LBB1932_4
; %bb.16:                               ;   in Loop: Header=BB1932_5 Depth=1
	ds_read_b128 v[4:7], v42
	ds_read_b128 v[8:11], v38
	ds_read_b128 v[12:15], v38 offset:16
	ds_read_b128 v[16:19], v42 offset:512
	;; [unrolled: 1-line block ×3, first 2 shown]
	s_waitcnt lgkmcnt(3)
	v_mul_f64 v[2:3], v[6:7], v[10:11]
	v_mul_f64 v[10:11], v[4:5], v[10:11]
	s_waitcnt lgkmcnt(1)
	v_mul_f64 v[32:33], v[18:19], v[14:15]
	v_mul_f64 v[54:55], v[16:17], v[14:15]
	v_fma_f64 v[52:53], v[4:5], v[8:9], -v[2:3]
	ds_read_b128 v[24:27], v38 offset:32
	ds_read_b128 v[2:5], v38 offset:48
	;; [unrolled: 1-line block ×4, first 2 shown]
	v_fma_f64 v[10:11], v[6:7], v[8:9], v[10:11]
	s_waitcnt lgkmcnt(3)
	v_mul_f64 v[56:57], v[22:23], v[26:27]
	v_fma_f64 v[32:33], v[16:17], v[12:13], -v[32:33]
	v_mul_f64 v[26:27], v[20:21], v[26:27]
	s_waitcnt lgkmcnt(1)
	v_mul_f64 v[58:59], v[30:31], v[4:5]
	v_fma_f64 v[54:55], v[18:19], v[12:13], v[54:55]
	v_add_f64 v[52:53], v[52:53], 0
	ds_read_b128 v[6:9], v42 offset:2048
	ds_read_b128 v[14:17], v42 offset:2560
	v_add_f64 v[60:61], v[10:11], 0
	v_fma_f64 v[56:57], v[20:21], v[24:25], -v[56:57]
	v_mul_f64 v[4:5], v[28:29], v[4:5]
	v_fma_f64 v[62:63], v[22:23], v[24:25], v[26:27]
	v_fma_f64 v[58:59], v[28:29], v[2:3], -v[58:59]
	ds_read_b128 v[10:13], v38 offset:80
	ds_read_b128 v[18:21], v38 offset:96
	v_add_f64 v[32:33], v[52:53], v[32:33]
	s_waitcnt lgkmcnt(3)
	v_mul_f64 v[52:53], v[8:9], v[50:51]
	v_add_f64 v[54:55], v[60:61], v[54:55]
	v_mul_f64 v[50:51], v[6:7], v[50:51]
	v_fma_f64 v[60:61], v[30:31], v[2:3], v[4:5]
	ds_read_b128 v[22:25], v42 offset:3072
	ds_read_b128 v[26:29], v42 offset:3584
	v_add_f64 v[32:33], v[32:33], v[56:57]
	s_waitcnt lgkmcnt(3)
	v_mul_f64 v[56:57], v[16:17], v[12:13]
	v_fma_f64 v[6:7], v[6:7], v[48:49], -v[52:53]
	v_add_f64 v[52:53], v[54:55], v[62:63]
	s_waitcnt lgkmcnt(1)
	v_mul_f64 v[62:63], v[24:25], v[20:21]
	v_fma_f64 v[48:49], v[8:9], v[48:49], v[50:51]
	v_add_f64 v[54:55], v[32:33], v[58:59]
	v_mul_f64 v[58:59], v[14:15], v[12:13]
	v_fma_f64 v[50:51], v[14:15], v[10:11], -v[56:57]
	v_add_f64 v[52:53], v[52:53], v[60:61]
	ds_read_b128 v[2:5], v38 offset:112
	ds_read_b128 v[30:33], v38 offset:128
	v_mul_f64 v[56:57], v[22:23], v[20:21]
	s_waitcnt lgkmcnt(1)
	v_mul_f64 v[60:61], v[28:29], v[4:5]
	v_add_f64 v[54:55], v[54:55], v[6:7]
	v_fma_f64 v[10:11], v[16:17], v[10:11], v[58:59]
	v_fma_f64 v[16:17], v[22:23], v[18:19], -v[62:63]
	v_add_f64 v[52:53], v[52:53], v[48:49]
	ds_read_b128 v[6:9], v42 offset:4096
	ds_read_b128 v[12:15], v42 offset:4608
	v_mul_f64 v[4:5], v[26:27], v[4:5]
	v_fma_f64 v[56:57], v[24:25], v[18:19], v[56:57]
	v_fma_f64 v[60:61], v[26:27], v[2:3], -v[60:61]
	v_add_f64 v[54:55], v[54:55], v[50:51]
	s_waitcnt lgkmcnt(1)
	v_mul_f64 v[58:59], v[8:9], v[32:33]
	ds_read_b128 v[20:23], v38 offset:144
	ds_read_b128 v[48:51], v38 offset:160
	v_add_f64 v[10:11], v[52:53], v[10:11]
	v_mul_f64 v[32:33], v[6:7], v[32:33]
	v_fma_f64 v[28:29], v[28:29], v[2:3], v[4:5]
	s_waitcnt lgkmcnt(1)
	v_mul_f64 v[62:63], v[14:15], v[22:23]
	v_mul_f64 v[22:23], v[12:13], v[22:23]
	v_add_f64 v[52:53], v[54:55], v[16:17]
	v_fma_f64 v[6:7], v[6:7], v[30:31], -v[58:59]
	ds_read_b128 v[16:19], v42 offset:5120
	ds_read_b128 v[24:27], v42 offset:5632
	v_add_f64 v[10:11], v[10:11], v[56:57]
	v_fma_f64 v[30:31], v[8:9], v[30:31], v[32:33]
	s_waitcnt lgkmcnt(1)
	v_mul_f64 v[58:59], v[18:19], v[50:51]
	v_fma_f64 v[32:33], v[12:13], v[20:21], -v[62:63]
	v_add_f64 v[56:57], v[52:53], v[60:61]
	ds_read_b128 v[2:5], v38 offset:176
	ds_read_b128 v[52:55], v38 offset:192
	v_mul_f64 v[50:51], v[16:17], v[50:51]
	v_add_f64 v[28:29], v[10:11], v[28:29]
	v_fma_f64 v[62:63], v[14:15], v[20:21], v[22:23]
	s_waitcnt lgkmcnt(1)
	v_mul_f64 v[60:61], v[26:27], v[4:5]
	v_fma_f64 v[58:59], v[16:17], v[48:49], -v[58:59]
	v_mul_f64 v[4:5], v[24:25], v[4:5]
	v_add_f64 v[56:57], v[56:57], v[6:7]
	ds_read_b128 v[6:9], v42 offset:6144
	ds_read_b128 v[10:13], v42 offset:6656
	v_fma_f64 v[18:19], v[18:19], v[48:49], v[50:51]
	v_add_f64 v[28:29], v[28:29], v[30:31]
	ds_read_b128 v[14:17], v38 offset:208
	ds_read_b128 v[20:23], v38 offset:224
	v_fma_f64 v[24:25], v[24:25], v[2:3], -v[60:61]
	s_waitcnt lgkmcnt(1)
	v_mul_f64 v[60:61], v[12:13], v[16:17]
	v_add_f64 v[30:31], v[56:57], v[32:33]
	v_mul_f64 v[32:33], v[8:9], v[54:55]
	v_add_f64 v[56:57], v[28:29], v[62:63]
	v_mul_f64 v[54:55], v[6:7], v[54:55]
	v_fma_f64 v[62:63], v[26:27], v[2:3], v[4:5]
	v_add_f64 v[58:59], v[30:31], v[58:59]
	v_fma_f64 v[6:7], v[6:7], v[52:53], -v[32:33]
	v_add_f64 v[18:19], v[56:57], v[18:19]
	ds_read_b128 v[28:31], v42 offset:7168
	ds_read_b128 v[48:51], v42 offset:7680
	v_mul_f64 v[56:57], v[10:11], v[16:17]
	v_fma_f64 v[52:53], v[8:9], v[52:53], v[54:55]
	v_fma_f64 v[10:11], v[10:11], v[14:15], -v[60:61]
	v_add_f64 v[32:33], v[58:59], v[24:25]
	s_waitcnt lgkmcnt(1)
	v_mul_f64 v[58:59], v[30:31], v[22:23]
	v_add_f64 v[54:55], v[18:19], v[62:63]
	ds_read_b128 v[2:5], v38 offset:240
	ds_read_b128 v[24:27], v38 offset:256
	v_mul_f64 v[22:23], v[28:29], v[22:23]
	v_fma_f64 v[14:15], v[12:13], v[14:15], v[56:57]
	s_waitcnt lgkmcnt(1)
	v_mul_f64 v[60:61], v[50:51], v[4:5]
	v_add_f64 v[32:33], v[32:33], v[6:7]
	v_fma_f64 v[28:29], v[28:29], v[20:21], -v[58:59]
	v_add_f64 v[56:57], v[54:55], v[52:53]
	ds_read_b128 v[6:9], v42 offset:8192
	ds_read_b128 v[16:19], v42 offset:8704
	v_mul_f64 v[4:5], v[48:49], v[4:5]
	v_fma_f64 v[62:63], v[30:31], v[20:21], v[22:23]
	s_waitcnt lgkmcnt(1)
	v_mul_f64 v[58:59], v[8:9], v[26:27]
	v_add_f64 v[32:33], v[32:33], v[10:11]
	v_fma_f64 v[48:49], v[48:49], v[2:3], -v[60:61]
	;; [unrolled: 9-line block ×9, first 2 shown]
	v_add_f64 v[48:49], v[56:57], v[48:49]
	ds_read_b128 v[10:13], v42 offset:12288
	ds_read_b128 v[6:9], v42 offset:12800
	v_mul_f64 v[32:33], v[52:53], v[32:33]
	v_fma_f64 v[56:57], v[22:23], v[24:25], v[26:27]
	ds_read_b128 v[14:17], v38 offset:400
	ds_read_b128 v[18:21], v38 offset:416
	v_fma_f64 v[52:53], v[52:53], v[30:31], -v[58:59]
	v_add_f64 v[28:29], v[28:29], v[50:51]
	s_waitcnt lgkmcnt(3)
	v_mul_f64 v[50:51], v[12:13], v[4:5]
	v_add_f64 v[48:49], v[48:49], v[62:63]
	v_mul_f64 v[4:5], v[10:11], v[4:5]
	v_fma_f64 v[54:55], v[54:55], v[30:31], v[32:33]
	v_add_f64 v[58:59], v[28:29], v[60:61]
	s_waitcnt lgkmcnt(1)
	v_mul_f64 v[60:61], v[8:9], v[16:17]
	v_fma_f64 v[10:11], v[10:11], v[2:3], -v[50:51]
	v_add_f64 v[56:57], v[48:49], v[56:57]
	ds_read_b128 v[26:29], v42 offset:13312
	ds_read_b128 v[22:25], v42 offset:13824
	global_load_dwordx4 v[48:51], v[34:35], off
	v_mul_f64 v[16:17], v[6:7], v[16:17]
	v_fma_f64 v[62:63], v[12:13], v[2:3], v[4:5]
	v_add_f64 v[52:53], v[58:59], v[52:53]
	s_waitcnt lgkmcnt(1)
	v_mul_f64 v[58:59], v[28:29], v[20:21]
	v_fma_f64 v[6:7], v[6:7], v[14:15], -v[60:61]
	v_add_f64 v[54:55], v[56:57], v[54:55]
	ds_read_b128 v[30:33], v38 offset:432
	v_mul_f64 v[20:21], v[26:27], v[20:21]
	v_fma_f64 v[60:61], v[8:9], v[14:15], v[16:17]
	v_add_f64 v[52:53], v[52:53], v[10:11]
	s_waitcnt lgkmcnt(0)
	v_mul_f64 v[56:57], v[24:25], v[32:33]
	v_fma_f64 v[26:27], v[26:27], v[18:19], -v[58:59]
	v_add_f64 v[54:55], v[54:55], v[62:63]
	ds_read_b128 v[2:5], v38 offset:448
	ds_read_b128 v[10:13], v42 offset:14336
	v_mul_f64 v[32:33], v[22:23], v[32:33]
	v_fma_f64 v[62:63], v[28:29], v[18:19], v[20:21]
	v_add_f64 v[52:53], v[52:53], v[6:7]
	s_waitcnt lgkmcnt(0)
	v_mul_f64 v[58:59], v[12:13], v[4:5]
	v_fma_f64 v[22:23], v[22:23], v[30:31], -v[56:57]
	v_add_f64 v[54:55], v[54:55], v[60:61]
	ds_read_b128 v[6:9], v42 offset:14848
	;; [unrolled: 9-line block ×4, first 2 shown]
	ds_read_b128 v[30:33], v38 offset:496
	v_mul_f64 v[12:13], v[26:27], v[20:21]
	v_fma_f64 v[8:9], v[8:9], v[14:15], v[16:17]
	v_add_f64 v[10:11], v[52:53], v[10:11]
	s_waitcnt lgkmcnt(0)
	v_mul_f64 v[20:21], v[24:25], v[32:33]
	v_fma_f64 v[14:15], v[26:27], v[18:19], -v[58:59]
	v_add_f64 v[2:3], v[6:7], v[2:3]
	v_mul_f64 v[6:7], v[22:23], v[32:33]
	v_add_f64 v[4:5], v[10:11], v[4:5]
	v_fma_f64 v[10:11], v[28:29], v[18:19], v[12:13]
	v_fma_f64 v[12:13], v[22:23], v[30:31], -v[20:21]
	v_add_f64 v[2:3], v[2:3], v[8:9]
	v_fma_f64 v[6:7], v[24:25], v[30:31], v[6:7]
	v_add_f64 v[4:5], v[4:5], v[14:15]
	v_add_f64 v[2:3], v[2:3], v[10:11]
	;; [unrolled: 1-line block ×4, first 2 shown]
	v_mul_f64 v[6:7], s[12:13], v[4:5]
	v_mul_f64 v[4:5], s[14:15], v[4:5]
	v_fma_f64 v[6:7], s[14:15], v[2:3], v[6:7]
	v_fma_f64 v[4:5], s[12:13], v[2:3], -v[4:5]
	s_waitcnt vmcnt(0)
	v_add_f64 v[2:3], v[48:49], v[6:7]
	v_add_f64 v[4:5], v[50:51], v[4:5]
	global_store_dwordx4 v[34:35], v[2:5], off
	s_branch .LBB1932_4
.LBB1932_17:
	s_endpgm
	.section	.rodata,"a",@progbits
	.p2align	6, 0x0
	.amdhsa_kernel _ZL26rocblas_syr2k_her2k_kernelIiLb1ELb1ELb0ELi32E19rocblas_complex_numIdEPKS1_PS1_EvbiT_T4_T5_S5_lS7_S5_lT6_S5_li
		.amdhsa_group_segment_fixed_size 32768
		.amdhsa_private_segment_fixed_size 0
		.amdhsa_kernarg_size 108
		.amdhsa_user_sgpr_count 6
		.amdhsa_user_sgpr_private_segment_buffer 1
		.amdhsa_user_sgpr_dispatch_ptr 0
		.amdhsa_user_sgpr_queue_ptr 0
		.amdhsa_user_sgpr_kernarg_segment_ptr 1
		.amdhsa_user_sgpr_dispatch_id 0
		.amdhsa_user_sgpr_flat_scratch_init 0
		.amdhsa_user_sgpr_private_segment_size 0
		.amdhsa_uses_dynamic_stack 0
		.amdhsa_system_sgpr_private_segment_wavefront_offset 0
		.amdhsa_system_sgpr_workgroup_id_x 1
		.amdhsa_system_sgpr_workgroup_id_y 1
		.amdhsa_system_sgpr_workgroup_id_z 1
		.amdhsa_system_sgpr_workgroup_info 0
		.amdhsa_system_vgpr_workitem_id 1
		.amdhsa_next_free_vgpr 64
		.amdhsa_next_free_sgpr 61
		.amdhsa_reserve_vcc 1
		.amdhsa_reserve_flat_scratch 0
		.amdhsa_float_round_mode_32 0
		.amdhsa_float_round_mode_16_64 0
		.amdhsa_float_denorm_mode_32 3
		.amdhsa_float_denorm_mode_16_64 3
		.amdhsa_dx10_clamp 1
		.amdhsa_ieee_mode 1
		.amdhsa_fp16_overflow 0
		.amdhsa_exception_fp_ieee_invalid_op 0
		.amdhsa_exception_fp_denorm_src 0
		.amdhsa_exception_fp_ieee_div_zero 0
		.amdhsa_exception_fp_ieee_overflow 0
		.amdhsa_exception_fp_ieee_underflow 0
		.amdhsa_exception_fp_ieee_inexact 0
		.amdhsa_exception_int_div_zero 0
	.end_amdhsa_kernel
	.section	.text._ZL26rocblas_syr2k_her2k_kernelIiLb1ELb1ELb0ELi32E19rocblas_complex_numIdEPKS1_PS1_EvbiT_T4_T5_S5_lS7_S5_lT6_S5_li,"axG",@progbits,_ZL26rocblas_syr2k_her2k_kernelIiLb1ELb1ELb0ELi32E19rocblas_complex_numIdEPKS1_PS1_EvbiT_T4_T5_S5_lS7_S5_lT6_S5_li,comdat
.Lfunc_end1932:
	.size	_ZL26rocblas_syr2k_her2k_kernelIiLb1ELb1ELb0ELi32E19rocblas_complex_numIdEPKS1_PS1_EvbiT_T4_T5_S5_lS7_S5_lT6_S5_li, .Lfunc_end1932-_ZL26rocblas_syr2k_her2k_kernelIiLb1ELb1ELb0ELi32E19rocblas_complex_numIdEPKS1_PS1_EvbiT_T4_T5_S5_lS7_S5_lT6_S5_li
                                        ; -- End function
	.set _ZL26rocblas_syr2k_her2k_kernelIiLb1ELb1ELb0ELi32E19rocblas_complex_numIdEPKS1_PS1_EvbiT_T4_T5_S5_lS7_S5_lT6_S5_li.num_vgpr, 64
	.set _ZL26rocblas_syr2k_her2k_kernelIiLb1ELb1ELb0ELi32E19rocblas_complex_numIdEPKS1_PS1_EvbiT_T4_T5_S5_lS7_S5_lT6_S5_li.num_agpr, 0
	.set _ZL26rocblas_syr2k_her2k_kernelIiLb1ELb1ELb0ELi32E19rocblas_complex_numIdEPKS1_PS1_EvbiT_T4_T5_S5_lS7_S5_lT6_S5_li.numbered_sgpr, 28
	.set _ZL26rocblas_syr2k_her2k_kernelIiLb1ELb1ELb0ELi32E19rocblas_complex_numIdEPKS1_PS1_EvbiT_T4_T5_S5_lS7_S5_lT6_S5_li.num_named_barrier, 0
	.set _ZL26rocblas_syr2k_her2k_kernelIiLb1ELb1ELb0ELi32E19rocblas_complex_numIdEPKS1_PS1_EvbiT_T4_T5_S5_lS7_S5_lT6_S5_li.private_seg_size, 0
	.set _ZL26rocblas_syr2k_her2k_kernelIiLb1ELb1ELb0ELi32E19rocblas_complex_numIdEPKS1_PS1_EvbiT_T4_T5_S5_lS7_S5_lT6_S5_li.uses_vcc, 1
	.set _ZL26rocblas_syr2k_her2k_kernelIiLb1ELb1ELb0ELi32E19rocblas_complex_numIdEPKS1_PS1_EvbiT_T4_T5_S5_lS7_S5_lT6_S5_li.uses_flat_scratch, 0
	.set _ZL26rocblas_syr2k_her2k_kernelIiLb1ELb1ELb0ELi32E19rocblas_complex_numIdEPKS1_PS1_EvbiT_T4_T5_S5_lS7_S5_lT6_S5_li.has_dyn_sized_stack, 0
	.set _ZL26rocblas_syr2k_her2k_kernelIiLb1ELb1ELb0ELi32E19rocblas_complex_numIdEPKS1_PS1_EvbiT_T4_T5_S5_lS7_S5_lT6_S5_li.has_recursion, 0
	.set _ZL26rocblas_syr2k_her2k_kernelIiLb1ELb1ELb0ELi32E19rocblas_complex_numIdEPKS1_PS1_EvbiT_T4_T5_S5_lS7_S5_lT6_S5_li.has_indirect_call, 0
	.section	.AMDGPU.csdata,"",@progbits
; Kernel info:
; codeLenInByte = 5404
; TotalNumSgprs: 32
; NumVgprs: 64
; ScratchSize: 0
; MemoryBound: 1
; FloatMode: 240
; IeeeMode: 1
; LDSByteSize: 32768 bytes/workgroup (compile time only)
; SGPRBlocks: 8
; VGPRBlocks: 15
; NumSGPRsForWavesPerEU: 65
; NumVGPRsForWavesPerEU: 64
; Occupancy: 4
; WaveLimiterHint : 0
; COMPUTE_PGM_RSRC2:SCRATCH_EN: 0
; COMPUTE_PGM_RSRC2:USER_SGPR: 6
; COMPUTE_PGM_RSRC2:TRAP_HANDLER: 0
; COMPUTE_PGM_RSRC2:TGID_X_EN: 1
; COMPUTE_PGM_RSRC2:TGID_Y_EN: 1
; COMPUTE_PGM_RSRC2:TGID_Z_EN: 1
; COMPUTE_PGM_RSRC2:TIDIG_COMP_CNT: 1
	.section	.text._ZL26rocblas_syr2k_her2k_kernelIiLb1ELb1ELb1ELi32E19rocblas_complex_numIdEPKS1_PS1_EvbiT_T4_T5_S5_lS7_S5_lT6_S5_li,"axG",@progbits,_ZL26rocblas_syr2k_her2k_kernelIiLb1ELb1ELb1ELi32E19rocblas_complex_numIdEPKS1_PS1_EvbiT_T4_T5_S5_lS7_S5_lT6_S5_li,comdat
	.globl	_ZL26rocblas_syr2k_her2k_kernelIiLb1ELb1ELb1ELi32E19rocblas_complex_numIdEPKS1_PS1_EvbiT_T4_T5_S5_lS7_S5_lT6_S5_li ; -- Begin function _ZL26rocblas_syr2k_her2k_kernelIiLb1ELb1ELb1ELi32E19rocblas_complex_numIdEPKS1_PS1_EvbiT_T4_T5_S5_lS7_S5_lT6_S5_li
	.p2align	8
	.type	_ZL26rocblas_syr2k_her2k_kernelIiLb1ELb1ELb1ELi32E19rocblas_complex_numIdEPKS1_PS1_EvbiT_T4_T5_S5_lS7_S5_lT6_S5_li,@function
_ZL26rocblas_syr2k_her2k_kernelIiLb1ELb1ELb1ELi32E19rocblas_complex_numIdEPKS1_PS1_EvbiT_T4_T5_S5_lS7_S5_lT6_S5_li: ; @_ZL26rocblas_syr2k_her2k_kernelIiLb1ELb1ELb1ELi32E19rocblas_complex_numIdEPKS1_PS1_EvbiT_T4_T5_S5_lS7_S5_lT6_S5_li
; %bb.0:
	s_load_dwordx4 s[12:15], s[4:5], 0x10
	s_waitcnt lgkmcnt(0)
	v_cmp_eq_f64_e64 s[0:1], s[12:13], 0
	v_cmp_eq_f64_e64 s[2:3], s[14:15], 0
	s_and_b64 s[0:1], s[0:1], s[2:3]
	s_and_b64 vcc, exec, s[0:1]
	s_cbranch_vccnz .LBB1933_17
; %bb.1:
	s_load_dwordx4 s[16:19], s[4:5], 0x0
	s_lshl_b32 s0, s7, 5
	s_lshl_b32 s1, s6, 5
	s_waitcnt lgkmcnt(0)
	s_and_b32 s2, 1, s16
	s_cmp_eq_u32 s2, 1
	s_cselect_b64 vcc, -1, 0
	s_and_b64 s[2:3], vcc, exec
	s_cselect_b32 s2, s1, s0
	s_cselect_b32 s3, s0, s1
	s_cmp_gt_i32 s2, s3
	s_cbranch_scc1 .LBB1933_17
; %bb.2:
	s_cmp_lt_i32 s18, 1
	s_cbranch_scc1 .LBB1933_17
; %bb.3:
	v_add_u32_e32 v2, s1, v0
	s_load_dwordx2 s[2:3], s[4:5], 0x20
	s_load_dword s9, s[4:5], 0x28
	s_load_dwordx4 s[20:23], s[4:5], 0x30
	s_load_dword s10, s[4:5], 0x40
	s_load_dwordx4 s[24:27], s[4:5], 0x48
	s_load_dword s11, s[4:5], 0x58
	s_load_dwordx2 s[6:7], s[4:5], 0x60
	v_add_u32_e32 v7, s0, v1
	s_waitcnt lgkmcnt(0)
	v_mad_i64_i32 v[4:5], s[0:1], s9, v2, 0
	s_mul_i32 s4, s21, s8
	s_mul_hi_u32 s5, s20, s8
	s_add_i32 s5, s5, s4
	s_mul_i32 s4, s20, s8
	s_lshl_b64 s[4:5], s[4:5], 4
	s_add_u32 s16, s2, s4
	v_lshlrev_b64 v[4:5], 4, v[4:5]
	s_addc_u32 s19, s3, s5
	s_mul_i32 s2, s25, s8
	s_mul_hi_u32 s3, s24, s8
	s_add_i32 s3, s3, s2
	s_mul_i32 s2, s24, s8
	v_mov_b32_e32 v9, s19
	v_add_co_u32_e64 v36, s[0:1], s16, v4
	s_lshl_b64 s[2:3], s[2:3], 4
	v_addc_co_u32_e64 v37, s[0:1], v9, v5, s[0:1]
	v_mad_i64_i32 v[4:5], s[0:1], s10, v7, 0
	s_add_u32 s20, s22, s2
	s_addc_u32 s21, s23, s3
	s_mul_i32 s2, s7, s8
	s_mul_hi_u32 s3, s6, s8
	s_add_i32 s3, s3, s2
	s_mul_i32 s2, s6, s8
	s_lshl_b64 s[2:3], s[2:3], 4
	v_lshlrev_b64 v[4:5], 4, v[4:5]
	s_add_u32 s6, s26, s2
	s_addc_u32 s7, s27, s3
	v_mov_b32_e32 v10, s21
	v_add_co_u32_e64 v40, s[2:3], s20, v4
	v_addc_co_u32_e64 v41, s[2:3], v10, v5, s[2:3]
	v_mad_i64_i32 v[4:5], s[2:3], s11, v7, 0
	v_cndmask_b32_e32 v6, v2, v7, vcc
	v_cndmask_b32_e32 v8, v7, v2, vcc
	v_cmp_gt_i32_e32 vcc, s17, v2
	v_cmp_gt_i32_e64 s[0:1], s17, v7
	v_lshlrev_b64 v[4:5], 4, v[4:5]
	v_cmp_le_i32_e64 s[2:3], v8, v6
	s_and_b64 s[4:5], s[0:1], vcc
	v_lshlrev_b32_e32 v38, 9, v0
	v_lshlrev_b32_e32 v9, 4, v1
	s_and_b64 s[4:5], s[4:5], s[2:3]
	v_mov_b32_e32 v6, s7
	v_add_co_u32_e64 v8, s[2:3], s6, v4
	v_ashrrev_i32_e32 v3, 31, v2
	v_add_u32_e32 v39, v38, v9
	v_or_b32_e32 v42, 0x4000, v9
	v_addc_co_u32_e64 v9, s[2:3], v6, v5, s[2:3]
	v_mad_i64_i32 v[5:6], s[2:3], s10, v2, 0
	v_lshlrev_b64 v[3:4], 4, v[2:3]
	v_add_u32_e32 v43, v42, v38
	v_add_co_u32_e64 v34, s[2:3], v8, v3
	v_addc_co_u32_e64 v35, s[2:3], v9, v4, s[2:3]
	v_lshlrev_b64 v[2:3], 4, v[5:6]
	v_mad_i64_i32 v[4:5], s[2:3], s9, v7, 0
	v_mov_b32_e32 v6, s21
	v_add_co_u32_e64 v44, s[2:3], s20, v2
	v_addc_co_u32_e64 v45, s[2:3], v6, v3, s[2:3]
	v_lshlrev_b64 v[2:3], 4, v[4:5]
	v_mov_b32_e32 v4, s19
	v_add_co_u32_e64 v46, s[2:3], s16, v2
	v_addc_co_u32_e64 v47, s[2:3], v4, v3, s[2:3]
	s_mov_b32 s16, 0
	s_branch .LBB1933_5
.LBB1933_4:                             ;   in Loop: Header=BB1933_5 Depth=1
	s_or_b64 exec, exec, s[2:3]
	s_add_i32 s16, s16, 32
	s_cmp_lt_i32 s16, s18
	s_waitcnt vmcnt(0)
	s_barrier
	s_cbranch_scc0 .LBB1933_17
.LBB1933_5:                             ; =>This Inner Loop Header: Depth=1
	v_add_u32_e32 v10, s16, v1
	v_cmp_gt_i32_e64 s[2:3], s18, v10
	v_mov_b32_e32 v2, 0
	v_mov_b32_e32 v4, 0
	;; [unrolled: 1-line block ×6, first 2 shown]
	s_and_b64 s[6:7], vcc, s[2:3]
	s_and_saveexec_b64 s[8:9], s[6:7]
	s_cbranch_execz .LBB1933_7
; %bb.6:                                ;   in Loop: Header=BB1933_5 Depth=1
	v_ashrrev_i32_e32 v11, 31, v10
	v_lshlrev_b64 v[4:5], 4, v[10:11]
	v_add_co_u32_e64 v4, s[2:3], v36, v4
	v_addc_co_u32_e64 v5, s[2:3], v37, v5, s[2:3]
	global_load_dwordx4 v[4:7], v[4:5], off
	s_waitcnt vmcnt(0)
	v_xor_b32_e32 v7, 0x80000000, v7
.LBB1933_7:                             ;   in Loop: Header=BB1933_5 Depth=1
	s_or_b64 exec, exec, s[8:9]
	v_add_u32_e32 v12, s16, v0
	ds_write_b128 v39, v[4:7]
	v_cmp_gt_i32_e64 s[2:3], s18, v12
	v_mov_b32_e32 v4, 0
	v_mov_b32_e32 v5, 0
	s_and_b64 s[8:9], s[0:1], s[2:3]
	s_and_saveexec_b64 s[10:11], s[8:9]
	s_cbranch_execz .LBB1933_9
; %bb.8:                                ;   in Loop: Header=BB1933_5 Depth=1
	v_ashrrev_i32_e32 v13, 31, v12
	v_lshlrev_b64 v[2:3], 4, v[12:13]
	v_add_co_u32_e64 v2, s[2:3], v40, v2
	v_addc_co_u32_e64 v3, s[2:3], v41, v3, s[2:3]
	global_load_dwordx4 v[2:5], v[2:3], off
.LBB1933_9:                             ;   in Loop: Header=BB1933_5 Depth=1
	s_or_b64 exec, exec, s[10:11]
	s_waitcnt vmcnt(0)
	ds_write_b128 v43, v[2:5]
	s_waitcnt lgkmcnt(0)
	s_barrier
	s_and_saveexec_b64 s[2:3], s[4:5]
	s_cbranch_execz .LBB1933_11
; %bb.10:                               ;   in Loop: Header=BB1933_5 Depth=1
	ds_read_b128 v[6:9], v42
	ds_read_b128 v[13:16], v38
	ds_read_b128 v[17:20], v38 offset:16
	ds_read_b128 v[21:24], v38 offset:32
	ds_read_b128 v[2:5], v38 offset:48
	s_waitcnt lgkmcnt(3)
	v_mul_f64 v[25:26], v[8:9], v[15:16]
	v_fma_f64 v[25:26], v[6:7], v[13:14], -v[25:26]
	v_mul_f64 v[6:7], v[6:7], v[15:16]
	v_fma_f64 v[6:7], v[8:9], v[13:14], v[6:7]
	v_add_f64 v[13:14], v[25:26], 0
	v_add_f64 v[15:16], v[6:7], 0
	ds_read_b128 v[6:9], v42 offset:512
	s_waitcnt lgkmcnt(0)
	v_mul_f64 v[25:26], v[8:9], v[19:20]
	v_fma_f64 v[25:26], v[6:7], v[17:18], -v[25:26]
	v_mul_f64 v[6:7], v[6:7], v[19:20]
	v_add_f64 v[13:14], v[13:14], v[25:26]
	v_fma_f64 v[6:7], v[8:9], v[17:18], v[6:7]
	v_add_f64 v[15:16], v[15:16], v[6:7]
	ds_read_b128 v[6:9], v42 offset:1024
	s_waitcnt lgkmcnt(0)
	v_mul_f64 v[17:18], v[8:9], v[23:24]
	v_fma_f64 v[17:18], v[6:7], v[21:22], -v[17:18]
	v_mul_f64 v[6:7], v[6:7], v[23:24]
	v_add_f64 v[13:14], v[13:14], v[17:18]
	v_fma_f64 v[6:7], v[8:9], v[21:22], v[6:7]
	v_add_f64 v[15:16], v[15:16], v[6:7]
	ds_read_b128 v[6:9], v42 offset:1536
	s_waitcnt lgkmcnt(0)
	v_mul_f64 v[17:18], v[8:9], v[4:5]
	v_mul_f64 v[4:5], v[6:7], v[4:5]
	v_fma_f64 v[17:18], v[6:7], v[2:3], -v[17:18]
	v_fma_f64 v[2:3], v[8:9], v[2:3], v[4:5]
	v_add_f64 v[13:14], v[13:14], v[17:18]
	v_add_f64 v[15:16], v[15:16], v[2:3]
	ds_read_b128 v[2:5], v42 offset:2048
	ds_read_b128 v[6:9], v38 offset:64
	s_waitcnt lgkmcnt(0)
	v_mul_f64 v[17:18], v[4:5], v[8:9]
	v_fma_f64 v[17:18], v[2:3], v[6:7], -v[17:18]
	v_mul_f64 v[2:3], v[2:3], v[8:9]
	v_add_f64 v[13:14], v[13:14], v[17:18]
	v_fma_f64 v[2:3], v[4:5], v[6:7], v[2:3]
	v_add_f64 v[15:16], v[15:16], v[2:3]
	ds_read_b128 v[2:5], v42 offset:2560
	ds_read_b128 v[6:9], v38 offset:80
	s_waitcnt lgkmcnt(0)
	v_mul_f64 v[17:18], v[4:5], v[8:9]
	v_fma_f64 v[17:18], v[2:3], v[6:7], -v[17:18]
	v_mul_f64 v[2:3], v[2:3], v[8:9]
	v_add_f64 v[13:14], v[13:14], v[17:18]
	v_fma_f64 v[2:3], v[4:5], v[6:7], v[2:3]
	v_add_f64 v[15:16], v[15:16], v[2:3]
	ds_read_b128 v[2:5], v42 offset:3072
	ds_read_b128 v[6:9], v38 offset:96
	s_waitcnt lgkmcnt(0)
	v_mul_f64 v[17:18], v[4:5], v[8:9]
	v_fma_f64 v[17:18], v[2:3], v[6:7], -v[17:18]
	v_mul_f64 v[2:3], v[2:3], v[8:9]
	v_add_f64 v[13:14], v[13:14], v[17:18]
	v_fma_f64 v[2:3], v[4:5], v[6:7], v[2:3]
	v_add_f64 v[15:16], v[15:16], v[2:3]
	ds_read_b128 v[2:5], v42 offset:3584
	ds_read_b128 v[6:9], v38 offset:112
	s_waitcnt lgkmcnt(0)
	v_mul_f64 v[17:18], v[4:5], v[8:9]
	v_fma_f64 v[17:18], v[2:3], v[6:7], -v[17:18]
	v_mul_f64 v[2:3], v[2:3], v[8:9]
	v_add_f64 v[13:14], v[13:14], v[17:18]
	v_fma_f64 v[2:3], v[4:5], v[6:7], v[2:3]
	v_add_f64 v[15:16], v[15:16], v[2:3]
	ds_read_b128 v[2:5], v42 offset:4096
	ds_read_b128 v[6:9], v38 offset:128
	s_waitcnt lgkmcnt(0)
	v_mul_f64 v[17:18], v[4:5], v[8:9]
	v_fma_f64 v[17:18], v[2:3], v[6:7], -v[17:18]
	v_mul_f64 v[2:3], v[2:3], v[8:9]
	v_add_f64 v[13:14], v[13:14], v[17:18]
	v_fma_f64 v[2:3], v[4:5], v[6:7], v[2:3]
	v_add_f64 v[15:16], v[15:16], v[2:3]
	ds_read_b128 v[2:5], v42 offset:4608
	ds_read_b128 v[6:9], v38 offset:144
	s_waitcnt lgkmcnt(0)
	v_mul_f64 v[17:18], v[4:5], v[8:9]
	v_fma_f64 v[17:18], v[2:3], v[6:7], -v[17:18]
	v_mul_f64 v[2:3], v[2:3], v[8:9]
	v_add_f64 v[13:14], v[13:14], v[17:18]
	v_fma_f64 v[2:3], v[4:5], v[6:7], v[2:3]
	v_add_f64 v[15:16], v[15:16], v[2:3]
	ds_read_b128 v[2:5], v42 offset:5120
	ds_read_b128 v[6:9], v38 offset:160
	s_waitcnt lgkmcnt(0)
	v_mul_f64 v[17:18], v[4:5], v[8:9]
	v_fma_f64 v[17:18], v[2:3], v[6:7], -v[17:18]
	v_mul_f64 v[2:3], v[2:3], v[8:9]
	v_add_f64 v[13:14], v[13:14], v[17:18]
	v_fma_f64 v[2:3], v[4:5], v[6:7], v[2:3]
	v_add_f64 v[15:16], v[15:16], v[2:3]
	ds_read_b128 v[2:5], v42 offset:5632
	ds_read_b128 v[6:9], v38 offset:176
	s_waitcnt lgkmcnt(0)
	v_mul_f64 v[17:18], v[4:5], v[8:9]
	v_fma_f64 v[17:18], v[2:3], v[6:7], -v[17:18]
	v_mul_f64 v[2:3], v[2:3], v[8:9]
	v_add_f64 v[13:14], v[13:14], v[17:18]
	v_fma_f64 v[2:3], v[4:5], v[6:7], v[2:3]
	v_add_f64 v[15:16], v[15:16], v[2:3]
	ds_read_b128 v[2:5], v42 offset:6144
	ds_read_b128 v[6:9], v38 offset:192
	s_waitcnt lgkmcnt(0)
	v_mul_f64 v[17:18], v[4:5], v[8:9]
	v_fma_f64 v[17:18], v[2:3], v[6:7], -v[17:18]
	v_mul_f64 v[2:3], v[2:3], v[8:9]
	v_add_f64 v[13:14], v[13:14], v[17:18]
	v_fma_f64 v[2:3], v[4:5], v[6:7], v[2:3]
	v_add_f64 v[15:16], v[15:16], v[2:3]
	ds_read_b128 v[2:5], v42 offset:6656
	ds_read_b128 v[6:9], v38 offset:208
	s_waitcnt lgkmcnt(0)
	v_mul_f64 v[17:18], v[4:5], v[8:9]
	v_fma_f64 v[17:18], v[2:3], v[6:7], -v[17:18]
	v_mul_f64 v[2:3], v[2:3], v[8:9]
	v_add_f64 v[13:14], v[13:14], v[17:18]
	v_fma_f64 v[2:3], v[4:5], v[6:7], v[2:3]
	v_add_f64 v[15:16], v[15:16], v[2:3]
	ds_read_b128 v[2:5], v42 offset:7168
	ds_read_b128 v[6:9], v38 offset:224
	s_waitcnt lgkmcnt(0)
	v_mul_f64 v[17:18], v[4:5], v[8:9]
	v_fma_f64 v[17:18], v[2:3], v[6:7], -v[17:18]
	v_mul_f64 v[2:3], v[2:3], v[8:9]
	v_add_f64 v[13:14], v[13:14], v[17:18]
	v_fma_f64 v[2:3], v[4:5], v[6:7], v[2:3]
	v_add_f64 v[15:16], v[15:16], v[2:3]
	ds_read_b128 v[2:5], v42 offset:7680
	ds_read_b128 v[6:9], v38 offset:240
	s_waitcnt lgkmcnt(0)
	v_mul_f64 v[17:18], v[4:5], v[8:9]
	v_fma_f64 v[17:18], v[2:3], v[6:7], -v[17:18]
	v_mul_f64 v[2:3], v[2:3], v[8:9]
	v_add_f64 v[13:14], v[13:14], v[17:18]
	v_fma_f64 v[2:3], v[4:5], v[6:7], v[2:3]
	v_add_f64 v[15:16], v[15:16], v[2:3]
	ds_read_b128 v[2:5], v42 offset:8192
	ds_read_b128 v[6:9], v38 offset:256
	s_waitcnt lgkmcnt(0)
	v_mul_f64 v[17:18], v[4:5], v[8:9]
	v_fma_f64 v[17:18], v[2:3], v[6:7], -v[17:18]
	v_mul_f64 v[2:3], v[2:3], v[8:9]
	v_add_f64 v[13:14], v[13:14], v[17:18]
	v_fma_f64 v[2:3], v[4:5], v[6:7], v[2:3]
	v_add_f64 v[15:16], v[15:16], v[2:3]
	ds_read_b128 v[2:5], v42 offset:8704
	ds_read_b128 v[6:9], v38 offset:272
	s_waitcnt lgkmcnt(0)
	v_mul_f64 v[17:18], v[4:5], v[8:9]
	v_fma_f64 v[17:18], v[2:3], v[6:7], -v[17:18]
	v_mul_f64 v[2:3], v[2:3], v[8:9]
	v_add_f64 v[13:14], v[13:14], v[17:18]
	v_fma_f64 v[2:3], v[4:5], v[6:7], v[2:3]
	v_add_f64 v[15:16], v[15:16], v[2:3]
	ds_read_b128 v[2:5], v42 offset:9216
	ds_read_b128 v[6:9], v38 offset:288
	s_waitcnt lgkmcnt(0)
	v_mul_f64 v[17:18], v[4:5], v[8:9]
	v_fma_f64 v[17:18], v[2:3], v[6:7], -v[17:18]
	v_mul_f64 v[2:3], v[2:3], v[8:9]
	v_add_f64 v[13:14], v[13:14], v[17:18]
	v_fma_f64 v[2:3], v[4:5], v[6:7], v[2:3]
	v_add_f64 v[15:16], v[15:16], v[2:3]
	ds_read_b128 v[2:5], v42 offset:9728
	ds_read_b128 v[6:9], v38 offset:304
	s_waitcnt lgkmcnt(0)
	v_mul_f64 v[17:18], v[4:5], v[8:9]
	v_fma_f64 v[17:18], v[2:3], v[6:7], -v[17:18]
	v_mul_f64 v[2:3], v[2:3], v[8:9]
	v_add_f64 v[13:14], v[13:14], v[17:18]
	v_fma_f64 v[2:3], v[4:5], v[6:7], v[2:3]
	v_add_f64 v[15:16], v[15:16], v[2:3]
	ds_read_b128 v[2:5], v42 offset:10240
	ds_read_b128 v[6:9], v38 offset:320
	s_waitcnt lgkmcnt(0)
	v_mul_f64 v[17:18], v[4:5], v[8:9]
	v_fma_f64 v[17:18], v[2:3], v[6:7], -v[17:18]
	v_mul_f64 v[2:3], v[2:3], v[8:9]
	v_add_f64 v[13:14], v[13:14], v[17:18]
	v_fma_f64 v[2:3], v[4:5], v[6:7], v[2:3]
	v_add_f64 v[15:16], v[15:16], v[2:3]
	ds_read_b128 v[2:5], v42 offset:10752
	ds_read_b128 v[6:9], v38 offset:336
	s_waitcnt lgkmcnt(0)
	v_mul_f64 v[17:18], v[4:5], v[8:9]
	v_fma_f64 v[17:18], v[2:3], v[6:7], -v[17:18]
	v_mul_f64 v[2:3], v[2:3], v[8:9]
	v_add_f64 v[13:14], v[13:14], v[17:18]
	v_fma_f64 v[2:3], v[4:5], v[6:7], v[2:3]
	v_add_f64 v[15:16], v[15:16], v[2:3]
	ds_read_b128 v[2:5], v42 offset:11264
	ds_read_b128 v[6:9], v38 offset:352
	s_waitcnt lgkmcnt(0)
	v_mul_f64 v[17:18], v[4:5], v[8:9]
	v_fma_f64 v[17:18], v[2:3], v[6:7], -v[17:18]
	v_mul_f64 v[2:3], v[2:3], v[8:9]
	v_add_f64 v[13:14], v[13:14], v[17:18]
	v_fma_f64 v[2:3], v[4:5], v[6:7], v[2:3]
	v_add_f64 v[15:16], v[15:16], v[2:3]
	ds_read_b128 v[2:5], v42 offset:11776
	ds_read_b128 v[6:9], v38 offset:368
	s_waitcnt lgkmcnt(0)
	v_mul_f64 v[17:18], v[4:5], v[8:9]
	v_fma_f64 v[17:18], v[2:3], v[6:7], -v[17:18]
	v_mul_f64 v[2:3], v[2:3], v[8:9]
	v_add_f64 v[13:14], v[13:14], v[17:18]
	v_fma_f64 v[2:3], v[4:5], v[6:7], v[2:3]
	v_add_f64 v[15:16], v[15:16], v[2:3]
	ds_read_b128 v[2:5], v42 offset:12288
	ds_read_b128 v[6:9], v38 offset:384
	s_waitcnt lgkmcnt(0)
	v_mul_f64 v[17:18], v[4:5], v[8:9]
	v_fma_f64 v[17:18], v[2:3], v[6:7], -v[17:18]
	v_mul_f64 v[2:3], v[2:3], v[8:9]
	v_add_f64 v[13:14], v[13:14], v[17:18]
	v_fma_f64 v[2:3], v[4:5], v[6:7], v[2:3]
	v_add_f64 v[15:16], v[15:16], v[2:3]
	ds_read_b128 v[2:5], v42 offset:12800
	ds_read_b128 v[6:9], v38 offset:400
	s_waitcnt lgkmcnt(0)
	v_mul_f64 v[17:18], v[4:5], v[8:9]
	v_fma_f64 v[17:18], v[2:3], v[6:7], -v[17:18]
	v_mul_f64 v[2:3], v[2:3], v[8:9]
	v_add_f64 v[13:14], v[13:14], v[17:18]
	v_fma_f64 v[2:3], v[4:5], v[6:7], v[2:3]
	v_add_f64 v[15:16], v[15:16], v[2:3]
	ds_read_b128 v[2:5], v42 offset:13312
	ds_read_b128 v[6:9], v38 offset:416
	s_waitcnt lgkmcnt(0)
	v_mul_f64 v[17:18], v[4:5], v[8:9]
	v_fma_f64 v[17:18], v[2:3], v[6:7], -v[17:18]
	v_mul_f64 v[2:3], v[2:3], v[8:9]
	v_add_f64 v[13:14], v[13:14], v[17:18]
	v_fma_f64 v[2:3], v[4:5], v[6:7], v[2:3]
	v_add_f64 v[15:16], v[15:16], v[2:3]
	ds_read_b128 v[2:5], v42 offset:13824
	ds_read_b128 v[6:9], v38 offset:432
	s_waitcnt lgkmcnt(0)
	v_mul_f64 v[17:18], v[4:5], v[8:9]
	v_fma_f64 v[17:18], v[2:3], v[6:7], -v[17:18]
	v_mul_f64 v[2:3], v[2:3], v[8:9]
	v_add_f64 v[13:14], v[13:14], v[17:18]
	v_fma_f64 v[2:3], v[4:5], v[6:7], v[2:3]
	v_add_f64 v[15:16], v[15:16], v[2:3]
	ds_read_b128 v[2:5], v42 offset:14336
	ds_read_b128 v[6:9], v38 offset:448
	s_waitcnt lgkmcnt(0)
	v_mul_f64 v[17:18], v[4:5], v[8:9]
	v_fma_f64 v[17:18], v[2:3], v[6:7], -v[17:18]
	v_mul_f64 v[2:3], v[2:3], v[8:9]
	v_add_f64 v[13:14], v[13:14], v[17:18]
	v_fma_f64 v[2:3], v[4:5], v[6:7], v[2:3]
	v_add_f64 v[15:16], v[15:16], v[2:3]
	ds_read_b128 v[2:5], v42 offset:14848
	ds_read_b128 v[6:9], v38 offset:464
	s_waitcnt lgkmcnt(0)
	v_mul_f64 v[17:18], v[4:5], v[8:9]
	v_fma_f64 v[17:18], v[2:3], v[6:7], -v[17:18]
	v_mul_f64 v[2:3], v[2:3], v[8:9]
	v_add_f64 v[13:14], v[13:14], v[17:18]
	v_fma_f64 v[2:3], v[4:5], v[6:7], v[2:3]
	v_add_f64 v[15:16], v[15:16], v[2:3]
	ds_read_b128 v[2:5], v42 offset:15360
	ds_read_b128 v[6:9], v38 offset:480
	s_waitcnt lgkmcnt(0)
	v_mul_f64 v[17:18], v[4:5], v[8:9]
	v_fma_f64 v[17:18], v[2:3], v[6:7], -v[17:18]
	v_mul_f64 v[2:3], v[2:3], v[8:9]
	v_add_f64 v[13:14], v[13:14], v[17:18]
	v_fma_f64 v[2:3], v[4:5], v[6:7], v[2:3]
	v_add_f64 v[15:16], v[15:16], v[2:3]
	ds_read_b128 v[2:5], v42 offset:15872
	ds_read_b128 v[6:9], v38 offset:496
	s_waitcnt lgkmcnt(0)
	v_mul_f64 v[17:18], v[4:5], v[8:9]
	v_fma_f64 v[17:18], v[2:3], v[6:7], -v[17:18]
	v_mul_f64 v[2:3], v[2:3], v[8:9]
	v_fma_f64 v[2:3], v[4:5], v[6:7], v[2:3]
	v_add_f64 v[4:5], v[13:14], v[17:18]
	v_add_f64 v[2:3], v[15:16], v[2:3]
	v_mul_f64 v[6:7], s[14:15], v[2:3]
	v_mul_f64 v[2:3], s[12:13], v[2:3]
	v_fma_f64 v[6:7], s[12:13], v[4:5], -v[6:7]
	v_fma_f64 v[8:9], s[14:15], v[4:5], v[2:3]
	global_load_dwordx4 v[2:5], v[34:35], off
	s_waitcnt vmcnt(0)
	v_add_f64 v[2:3], v[2:3], v[6:7]
	v_add_f64 v[4:5], v[4:5], v[8:9]
	global_store_dwordx4 v[34:35], v[2:5], off
.LBB1933_11:                            ;   in Loop: Header=BB1933_5 Depth=1
	s_or_b64 exec, exec, s[2:3]
	v_mov_b32_e32 v4, 0
	v_mov_b32_e32 v8, 0
	;; [unrolled: 1-line block ×6, first 2 shown]
	s_waitcnt vmcnt(0)
	s_barrier
	s_and_saveexec_b64 s[10:11], s[6:7]
	s_cbranch_execz .LBB1933_13
; %bb.12:                               ;   in Loop: Header=BB1933_5 Depth=1
	v_ashrrev_i32_e32 v11, 31, v10
	v_lshlrev_b64 v[2:3], 4, v[10:11]
	v_add_co_u32_e64 v2, s[2:3], v44, v2
	v_addc_co_u32_e64 v3, s[2:3], v45, v3, s[2:3]
	global_load_dwordx4 v[6:9], v[2:3], off
	s_waitcnt vmcnt(0)
	v_xor_b32_e32 v9, 0x80000000, v9
.LBB1933_13:                            ;   in Loop: Header=BB1933_5 Depth=1
	s_or_b64 exec, exec, s[10:11]
	v_mov_b32_e32 v2, 0
	v_mov_b32_e32 v3, 0
	ds_write_b128 v39, v[6:9]
	s_and_saveexec_b64 s[6:7], s[8:9]
	s_cbranch_execz .LBB1933_15
; %bb.14:                               ;   in Loop: Header=BB1933_5 Depth=1
	v_ashrrev_i32_e32 v13, 31, v12
	v_lshlrev_b64 v[2:3], 4, v[12:13]
	v_add_co_u32_e64 v2, s[2:3], v46, v2
	v_addc_co_u32_e64 v3, s[2:3], v47, v3, s[2:3]
	global_load_dwordx4 v[2:5], v[2:3], off
.LBB1933_15:                            ;   in Loop: Header=BB1933_5 Depth=1
	s_or_b64 exec, exec, s[6:7]
	s_waitcnt vmcnt(0)
	ds_write_b128 v43, v[2:5]
	s_waitcnt lgkmcnt(0)
	s_barrier
	s_and_saveexec_b64 s[2:3], s[4:5]
	s_cbranch_execz .LBB1933_4
; %bb.16:                               ;   in Loop: Header=BB1933_5 Depth=1
	ds_read_b128 v[4:7], v42
	ds_read_b128 v[8:11], v38
	ds_read_b128 v[12:15], v38 offset:16
	ds_read_b128 v[16:19], v42 offset:512
	;; [unrolled: 1-line block ×3, first 2 shown]
	s_waitcnt lgkmcnt(3)
	v_mul_f64 v[2:3], v[6:7], v[10:11]
	v_mul_f64 v[10:11], v[4:5], v[10:11]
	s_waitcnt lgkmcnt(1)
	v_mul_f64 v[32:33], v[18:19], v[14:15]
	v_mul_f64 v[54:55], v[16:17], v[14:15]
	v_fma_f64 v[52:53], v[4:5], v[8:9], -v[2:3]
	ds_read_b128 v[24:27], v38 offset:32
	ds_read_b128 v[2:5], v38 offset:48
	;; [unrolled: 1-line block ×4, first 2 shown]
	v_fma_f64 v[10:11], v[6:7], v[8:9], v[10:11]
	s_waitcnt lgkmcnt(3)
	v_mul_f64 v[56:57], v[22:23], v[26:27]
	v_fma_f64 v[32:33], v[16:17], v[12:13], -v[32:33]
	v_mul_f64 v[26:27], v[20:21], v[26:27]
	s_waitcnt lgkmcnt(1)
	v_mul_f64 v[58:59], v[30:31], v[4:5]
	v_fma_f64 v[54:55], v[18:19], v[12:13], v[54:55]
	v_add_f64 v[52:53], v[52:53], 0
	ds_read_b128 v[6:9], v42 offset:2048
	ds_read_b128 v[14:17], v42 offset:2560
	v_add_f64 v[60:61], v[10:11], 0
	v_fma_f64 v[56:57], v[20:21], v[24:25], -v[56:57]
	v_mul_f64 v[4:5], v[28:29], v[4:5]
	v_fma_f64 v[62:63], v[22:23], v[24:25], v[26:27]
	v_fma_f64 v[58:59], v[28:29], v[2:3], -v[58:59]
	ds_read_b128 v[10:13], v38 offset:80
	ds_read_b128 v[18:21], v38 offset:96
	v_add_f64 v[32:33], v[52:53], v[32:33]
	s_waitcnt lgkmcnt(3)
	v_mul_f64 v[52:53], v[8:9], v[50:51]
	v_add_f64 v[54:55], v[60:61], v[54:55]
	v_mul_f64 v[50:51], v[6:7], v[50:51]
	v_fma_f64 v[60:61], v[30:31], v[2:3], v[4:5]
	ds_read_b128 v[22:25], v42 offset:3072
	ds_read_b128 v[26:29], v42 offset:3584
	v_add_f64 v[32:33], v[32:33], v[56:57]
	s_waitcnt lgkmcnt(3)
	v_mul_f64 v[56:57], v[16:17], v[12:13]
	v_fma_f64 v[6:7], v[6:7], v[48:49], -v[52:53]
	v_add_f64 v[52:53], v[54:55], v[62:63]
	s_waitcnt lgkmcnt(1)
	v_mul_f64 v[62:63], v[24:25], v[20:21]
	v_fma_f64 v[48:49], v[8:9], v[48:49], v[50:51]
	v_add_f64 v[54:55], v[32:33], v[58:59]
	v_mul_f64 v[58:59], v[14:15], v[12:13]
	v_fma_f64 v[50:51], v[14:15], v[10:11], -v[56:57]
	v_add_f64 v[52:53], v[52:53], v[60:61]
	ds_read_b128 v[2:5], v38 offset:112
	ds_read_b128 v[30:33], v38 offset:128
	v_mul_f64 v[56:57], v[22:23], v[20:21]
	s_waitcnt lgkmcnt(1)
	v_mul_f64 v[60:61], v[28:29], v[4:5]
	v_add_f64 v[54:55], v[54:55], v[6:7]
	v_fma_f64 v[10:11], v[16:17], v[10:11], v[58:59]
	v_fma_f64 v[16:17], v[22:23], v[18:19], -v[62:63]
	v_add_f64 v[52:53], v[52:53], v[48:49]
	ds_read_b128 v[6:9], v42 offset:4096
	ds_read_b128 v[12:15], v42 offset:4608
	v_mul_f64 v[4:5], v[26:27], v[4:5]
	v_fma_f64 v[56:57], v[24:25], v[18:19], v[56:57]
	v_fma_f64 v[60:61], v[26:27], v[2:3], -v[60:61]
	v_add_f64 v[54:55], v[54:55], v[50:51]
	s_waitcnt lgkmcnt(1)
	v_mul_f64 v[58:59], v[8:9], v[32:33]
	ds_read_b128 v[20:23], v38 offset:144
	ds_read_b128 v[48:51], v38 offset:160
	v_add_f64 v[10:11], v[52:53], v[10:11]
	v_mul_f64 v[32:33], v[6:7], v[32:33]
	v_fma_f64 v[28:29], v[28:29], v[2:3], v[4:5]
	s_waitcnt lgkmcnt(1)
	v_mul_f64 v[62:63], v[14:15], v[22:23]
	v_mul_f64 v[22:23], v[12:13], v[22:23]
	v_add_f64 v[52:53], v[54:55], v[16:17]
	v_fma_f64 v[6:7], v[6:7], v[30:31], -v[58:59]
	ds_read_b128 v[16:19], v42 offset:5120
	ds_read_b128 v[24:27], v42 offset:5632
	v_add_f64 v[10:11], v[10:11], v[56:57]
	v_fma_f64 v[30:31], v[8:9], v[30:31], v[32:33]
	s_waitcnt lgkmcnt(1)
	v_mul_f64 v[58:59], v[18:19], v[50:51]
	v_fma_f64 v[32:33], v[12:13], v[20:21], -v[62:63]
	v_add_f64 v[56:57], v[52:53], v[60:61]
	ds_read_b128 v[2:5], v38 offset:176
	ds_read_b128 v[52:55], v38 offset:192
	v_mul_f64 v[50:51], v[16:17], v[50:51]
	v_add_f64 v[28:29], v[10:11], v[28:29]
	v_fma_f64 v[62:63], v[14:15], v[20:21], v[22:23]
	s_waitcnt lgkmcnt(1)
	v_mul_f64 v[60:61], v[26:27], v[4:5]
	v_fma_f64 v[58:59], v[16:17], v[48:49], -v[58:59]
	v_mul_f64 v[4:5], v[24:25], v[4:5]
	v_add_f64 v[56:57], v[56:57], v[6:7]
	ds_read_b128 v[6:9], v42 offset:6144
	ds_read_b128 v[10:13], v42 offset:6656
	v_fma_f64 v[18:19], v[18:19], v[48:49], v[50:51]
	v_add_f64 v[28:29], v[28:29], v[30:31]
	ds_read_b128 v[14:17], v38 offset:208
	ds_read_b128 v[20:23], v38 offset:224
	v_fma_f64 v[24:25], v[24:25], v[2:3], -v[60:61]
	s_waitcnt lgkmcnt(1)
	v_mul_f64 v[60:61], v[12:13], v[16:17]
	v_add_f64 v[30:31], v[56:57], v[32:33]
	v_mul_f64 v[32:33], v[8:9], v[54:55]
	v_add_f64 v[56:57], v[28:29], v[62:63]
	v_mul_f64 v[54:55], v[6:7], v[54:55]
	v_fma_f64 v[62:63], v[26:27], v[2:3], v[4:5]
	v_add_f64 v[58:59], v[30:31], v[58:59]
	v_fma_f64 v[6:7], v[6:7], v[52:53], -v[32:33]
	v_add_f64 v[18:19], v[56:57], v[18:19]
	ds_read_b128 v[28:31], v42 offset:7168
	ds_read_b128 v[48:51], v42 offset:7680
	v_mul_f64 v[56:57], v[10:11], v[16:17]
	v_fma_f64 v[52:53], v[8:9], v[52:53], v[54:55]
	v_fma_f64 v[10:11], v[10:11], v[14:15], -v[60:61]
	v_add_f64 v[32:33], v[58:59], v[24:25]
	s_waitcnt lgkmcnt(1)
	v_mul_f64 v[58:59], v[30:31], v[22:23]
	v_add_f64 v[54:55], v[18:19], v[62:63]
	ds_read_b128 v[2:5], v38 offset:240
	ds_read_b128 v[24:27], v38 offset:256
	v_mul_f64 v[22:23], v[28:29], v[22:23]
	v_fma_f64 v[14:15], v[12:13], v[14:15], v[56:57]
	s_waitcnt lgkmcnt(1)
	v_mul_f64 v[60:61], v[50:51], v[4:5]
	v_add_f64 v[32:33], v[32:33], v[6:7]
	v_fma_f64 v[28:29], v[28:29], v[20:21], -v[58:59]
	v_add_f64 v[56:57], v[54:55], v[52:53]
	ds_read_b128 v[6:9], v42 offset:8192
	ds_read_b128 v[16:19], v42 offset:8704
	v_mul_f64 v[4:5], v[48:49], v[4:5]
	v_fma_f64 v[62:63], v[30:31], v[20:21], v[22:23]
	s_waitcnt lgkmcnt(1)
	v_mul_f64 v[58:59], v[8:9], v[26:27]
	v_add_f64 v[32:33], v[32:33], v[10:11]
	v_fma_f64 v[48:49], v[48:49], v[2:3], -v[60:61]
	;; [unrolled: 9-line block ×9, first 2 shown]
	v_add_f64 v[48:49], v[56:57], v[48:49]
	ds_read_b128 v[10:13], v42 offset:12288
	ds_read_b128 v[6:9], v42 offset:12800
	v_mul_f64 v[32:33], v[52:53], v[32:33]
	v_fma_f64 v[56:57], v[22:23], v[24:25], v[26:27]
	ds_read_b128 v[14:17], v38 offset:400
	ds_read_b128 v[18:21], v38 offset:416
	v_fma_f64 v[52:53], v[52:53], v[30:31], -v[58:59]
	v_add_f64 v[28:29], v[28:29], v[50:51]
	s_waitcnt lgkmcnt(3)
	v_mul_f64 v[50:51], v[12:13], v[4:5]
	v_add_f64 v[48:49], v[48:49], v[62:63]
	v_mul_f64 v[4:5], v[10:11], v[4:5]
	v_fma_f64 v[54:55], v[54:55], v[30:31], v[32:33]
	v_add_f64 v[58:59], v[28:29], v[60:61]
	s_waitcnt lgkmcnt(1)
	v_mul_f64 v[60:61], v[8:9], v[16:17]
	v_fma_f64 v[10:11], v[10:11], v[2:3], -v[50:51]
	v_add_f64 v[56:57], v[48:49], v[56:57]
	ds_read_b128 v[26:29], v42 offset:13312
	ds_read_b128 v[22:25], v42 offset:13824
	global_load_dwordx4 v[48:51], v[34:35], off
	v_mul_f64 v[16:17], v[6:7], v[16:17]
	v_fma_f64 v[62:63], v[12:13], v[2:3], v[4:5]
	v_add_f64 v[52:53], v[58:59], v[52:53]
	s_waitcnt lgkmcnt(1)
	v_mul_f64 v[58:59], v[28:29], v[20:21]
	v_fma_f64 v[6:7], v[6:7], v[14:15], -v[60:61]
	v_add_f64 v[54:55], v[56:57], v[54:55]
	ds_read_b128 v[30:33], v38 offset:432
	v_mul_f64 v[20:21], v[26:27], v[20:21]
	v_fma_f64 v[60:61], v[8:9], v[14:15], v[16:17]
	v_add_f64 v[52:53], v[52:53], v[10:11]
	s_waitcnt lgkmcnt(0)
	v_mul_f64 v[56:57], v[24:25], v[32:33]
	v_fma_f64 v[26:27], v[26:27], v[18:19], -v[58:59]
	v_add_f64 v[54:55], v[54:55], v[62:63]
	ds_read_b128 v[2:5], v38 offset:448
	ds_read_b128 v[10:13], v42 offset:14336
	v_mul_f64 v[32:33], v[22:23], v[32:33]
	v_fma_f64 v[62:63], v[28:29], v[18:19], v[20:21]
	v_add_f64 v[52:53], v[52:53], v[6:7]
	s_waitcnt lgkmcnt(0)
	v_mul_f64 v[58:59], v[12:13], v[4:5]
	v_fma_f64 v[22:23], v[22:23], v[30:31], -v[56:57]
	v_add_f64 v[54:55], v[54:55], v[60:61]
	ds_read_b128 v[6:9], v42 offset:14848
	;; [unrolled: 9-line block ×4, first 2 shown]
	ds_read_b128 v[30:33], v38 offset:496
	v_mul_f64 v[12:13], v[26:27], v[20:21]
	v_fma_f64 v[8:9], v[8:9], v[14:15], v[16:17]
	v_add_f64 v[10:11], v[52:53], v[10:11]
	s_waitcnt lgkmcnt(0)
	v_mul_f64 v[20:21], v[24:25], v[32:33]
	v_fma_f64 v[14:15], v[26:27], v[18:19], -v[58:59]
	v_add_f64 v[2:3], v[6:7], v[2:3]
	v_mul_f64 v[6:7], v[22:23], v[32:33]
	v_add_f64 v[4:5], v[10:11], v[4:5]
	v_fma_f64 v[10:11], v[28:29], v[18:19], v[12:13]
	v_fma_f64 v[12:13], v[22:23], v[30:31], -v[20:21]
	v_add_f64 v[2:3], v[2:3], v[8:9]
	v_fma_f64 v[6:7], v[24:25], v[30:31], v[6:7]
	v_add_f64 v[4:5], v[4:5], v[14:15]
	v_add_f64 v[2:3], v[2:3], v[10:11]
	;; [unrolled: 1-line block ×4, first 2 shown]
	v_mul_f64 v[6:7], s[12:13], v[4:5]
	v_mul_f64 v[4:5], s[14:15], v[4:5]
	v_fma_f64 v[6:7], s[14:15], v[2:3], v[6:7]
	v_fma_f64 v[4:5], s[12:13], v[2:3], -v[4:5]
	s_waitcnt vmcnt(0)
	v_add_f64 v[2:3], v[48:49], v[6:7]
	v_add_f64 v[4:5], v[50:51], v[4:5]
	global_store_dwordx4 v[34:35], v[2:5], off
	s_branch .LBB1933_4
.LBB1933_17:
	s_endpgm
	.section	.rodata,"a",@progbits
	.p2align	6, 0x0
	.amdhsa_kernel _ZL26rocblas_syr2k_her2k_kernelIiLb1ELb1ELb1ELi32E19rocblas_complex_numIdEPKS1_PS1_EvbiT_T4_T5_S5_lS7_S5_lT6_S5_li
		.amdhsa_group_segment_fixed_size 32768
		.amdhsa_private_segment_fixed_size 0
		.amdhsa_kernarg_size 108
		.amdhsa_user_sgpr_count 6
		.amdhsa_user_sgpr_private_segment_buffer 1
		.amdhsa_user_sgpr_dispatch_ptr 0
		.amdhsa_user_sgpr_queue_ptr 0
		.amdhsa_user_sgpr_kernarg_segment_ptr 1
		.amdhsa_user_sgpr_dispatch_id 0
		.amdhsa_user_sgpr_flat_scratch_init 0
		.amdhsa_user_sgpr_private_segment_size 0
		.amdhsa_uses_dynamic_stack 0
		.amdhsa_system_sgpr_private_segment_wavefront_offset 0
		.amdhsa_system_sgpr_workgroup_id_x 1
		.amdhsa_system_sgpr_workgroup_id_y 1
		.amdhsa_system_sgpr_workgroup_id_z 1
		.amdhsa_system_sgpr_workgroup_info 0
		.amdhsa_system_vgpr_workitem_id 1
		.amdhsa_next_free_vgpr 64
		.amdhsa_next_free_sgpr 61
		.amdhsa_reserve_vcc 1
		.amdhsa_reserve_flat_scratch 0
		.amdhsa_float_round_mode_32 0
		.amdhsa_float_round_mode_16_64 0
		.amdhsa_float_denorm_mode_32 3
		.amdhsa_float_denorm_mode_16_64 3
		.amdhsa_dx10_clamp 1
		.amdhsa_ieee_mode 1
		.amdhsa_fp16_overflow 0
		.amdhsa_exception_fp_ieee_invalid_op 0
		.amdhsa_exception_fp_denorm_src 0
		.amdhsa_exception_fp_ieee_div_zero 0
		.amdhsa_exception_fp_ieee_overflow 0
		.amdhsa_exception_fp_ieee_underflow 0
		.amdhsa_exception_fp_ieee_inexact 0
		.amdhsa_exception_int_div_zero 0
	.end_amdhsa_kernel
	.section	.text._ZL26rocblas_syr2k_her2k_kernelIiLb1ELb1ELb1ELi32E19rocblas_complex_numIdEPKS1_PS1_EvbiT_T4_T5_S5_lS7_S5_lT6_S5_li,"axG",@progbits,_ZL26rocblas_syr2k_her2k_kernelIiLb1ELb1ELb1ELi32E19rocblas_complex_numIdEPKS1_PS1_EvbiT_T4_T5_S5_lS7_S5_lT6_S5_li,comdat
.Lfunc_end1933:
	.size	_ZL26rocblas_syr2k_her2k_kernelIiLb1ELb1ELb1ELi32E19rocblas_complex_numIdEPKS1_PS1_EvbiT_T4_T5_S5_lS7_S5_lT6_S5_li, .Lfunc_end1933-_ZL26rocblas_syr2k_her2k_kernelIiLb1ELb1ELb1ELi32E19rocblas_complex_numIdEPKS1_PS1_EvbiT_T4_T5_S5_lS7_S5_lT6_S5_li
                                        ; -- End function
	.set _ZL26rocblas_syr2k_her2k_kernelIiLb1ELb1ELb1ELi32E19rocblas_complex_numIdEPKS1_PS1_EvbiT_T4_T5_S5_lS7_S5_lT6_S5_li.num_vgpr, 64
	.set _ZL26rocblas_syr2k_her2k_kernelIiLb1ELb1ELb1ELi32E19rocblas_complex_numIdEPKS1_PS1_EvbiT_T4_T5_S5_lS7_S5_lT6_S5_li.num_agpr, 0
	.set _ZL26rocblas_syr2k_her2k_kernelIiLb1ELb1ELb1ELi32E19rocblas_complex_numIdEPKS1_PS1_EvbiT_T4_T5_S5_lS7_S5_lT6_S5_li.numbered_sgpr, 28
	.set _ZL26rocblas_syr2k_her2k_kernelIiLb1ELb1ELb1ELi32E19rocblas_complex_numIdEPKS1_PS1_EvbiT_T4_T5_S5_lS7_S5_lT6_S5_li.num_named_barrier, 0
	.set _ZL26rocblas_syr2k_her2k_kernelIiLb1ELb1ELb1ELi32E19rocblas_complex_numIdEPKS1_PS1_EvbiT_T4_T5_S5_lS7_S5_lT6_S5_li.private_seg_size, 0
	.set _ZL26rocblas_syr2k_her2k_kernelIiLb1ELb1ELb1ELi32E19rocblas_complex_numIdEPKS1_PS1_EvbiT_T4_T5_S5_lS7_S5_lT6_S5_li.uses_vcc, 1
	.set _ZL26rocblas_syr2k_her2k_kernelIiLb1ELb1ELb1ELi32E19rocblas_complex_numIdEPKS1_PS1_EvbiT_T4_T5_S5_lS7_S5_lT6_S5_li.uses_flat_scratch, 0
	.set _ZL26rocblas_syr2k_her2k_kernelIiLb1ELb1ELb1ELi32E19rocblas_complex_numIdEPKS1_PS1_EvbiT_T4_T5_S5_lS7_S5_lT6_S5_li.has_dyn_sized_stack, 0
	.set _ZL26rocblas_syr2k_her2k_kernelIiLb1ELb1ELb1ELi32E19rocblas_complex_numIdEPKS1_PS1_EvbiT_T4_T5_S5_lS7_S5_lT6_S5_li.has_recursion, 0
	.set _ZL26rocblas_syr2k_her2k_kernelIiLb1ELb1ELb1ELi32E19rocblas_complex_numIdEPKS1_PS1_EvbiT_T4_T5_S5_lS7_S5_lT6_S5_li.has_indirect_call, 0
	.section	.AMDGPU.csdata,"",@progbits
; Kernel info:
; codeLenInByte = 5440
; TotalNumSgprs: 32
; NumVgprs: 64
; ScratchSize: 0
; MemoryBound: 1
; FloatMode: 240
; IeeeMode: 1
; LDSByteSize: 32768 bytes/workgroup (compile time only)
; SGPRBlocks: 8
; VGPRBlocks: 15
; NumSGPRsForWavesPerEU: 65
; NumVGPRsForWavesPerEU: 64
; Occupancy: 4
; WaveLimiterHint : 0
; COMPUTE_PGM_RSRC2:SCRATCH_EN: 0
; COMPUTE_PGM_RSRC2:USER_SGPR: 6
; COMPUTE_PGM_RSRC2:TRAP_HANDLER: 0
; COMPUTE_PGM_RSRC2:TGID_X_EN: 1
; COMPUTE_PGM_RSRC2:TGID_Y_EN: 1
; COMPUTE_PGM_RSRC2:TGID_Z_EN: 1
; COMPUTE_PGM_RSRC2:TIDIG_COMP_CNT: 1
	.section	.text._ZL26rocblas_syr2k_her2k_kernelIiLb1ELb1ELb0ELi32EPK19rocblas_complex_numIdES3_PS1_EvbiT_T4_T5_S5_lS7_S5_lT6_S5_li,"axG",@progbits,_ZL26rocblas_syr2k_her2k_kernelIiLb1ELb1ELb0ELi32EPK19rocblas_complex_numIdES3_PS1_EvbiT_T4_T5_S5_lS7_S5_lT6_S5_li,comdat
	.globl	_ZL26rocblas_syr2k_her2k_kernelIiLb1ELb1ELb0ELi32EPK19rocblas_complex_numIdES3_PS1_EvbiT_T4_T5_S5_lS7_S5_lT6_S5_li ; -- Begin function _ZL26rocblas_syr2k_her2k_kernelIiLb1ELb1ELb0ELi32EPK19rocblas_complex_numIdES3_PS1_EvbiT_T4_T5_S5_lS7_S5_lT6_S5_li
	.p2align	8
	.type	_ZL26rocblas_syr2k_her2k_kernelIiLb1ELb1ELb0ELi32EPK19rocblas_complex_numIdES3_PS1_EvbiT_T4_T5_S5_lS7_S5_lT6_S5_li,@function
_ZL26rocblas_syr2k_her2k_kernelIiLb1ELb1ELb0ELi32EPK19rocblas_complex_numIdES3_PS1_EvbiT_T4_T5_S5_lS7_S5_lT6_S5_li: ; @_ZL26rocblas_syr2k_her2k_kernelIiLb1ELb1ELb0ELi32EPK19rocblas_complex_numIdES3_PS1_EvbiT_T4_T5_S5_lS7_S5_lT6_S5_li
; %bb.0:
	s_load_dwordx4 s[0:3], s[4:5], 0x10
	s_waitcnt lgkmcnt(0)
	s_load_dwordx4 s[12:15], s[0:1], 0x0
	s_waitcnt lgkmcnt(0)
	v_cmp_eq_f64_e64 s[0:1], s[12:13], 0
	v_cmp_eq_f64_e64 s[10:11], s[14:15], 0
	s_and_b64 s[0:1], s[0:1], s[10:11]
	s_and_b64 vcc, exec, s[0:1]
	s_cbranch_vccnz .LBB1934_17
; %bb.1:
	s_load_dwordx4 s[16:19], s[4:5], 0x0
	s_lshl_b32 s0, s7, 5
	s_lshl_b32 s1, s6, 5
	s_waitcnt lgkmcnt(0)
	s_and_b32 s6, 1, s16
	s_cmp_eq_u32 s6, 1
	s_cselect_b64 vcc, -1, 0
	s_and_b64 s[6:7], vcc, exec
	s_cselect_b32 s6, s1, s0
	s_cselect_b32 s7, s0, s1
	s_cmp_gt_i32 s6, s7
	s_cbranch_scc1 .LBB1934_17
; %bb.2:
	s_cmp_lt_i32 s18, 1
	s_cbranch_scc1 .LBB1934_17
; %bb.3:
	s_load_dword s16, s[4:5], 0x20
	s_load_dwordx4 s[20:23], s[4:5], 0x28
	s_load_dword s19, s[4:5], 0x38
	s_load_dwordx4 s[24:27], s[4:5], 0x40
	s_load_dword s9, s[4:5], 0x50
	s_load_dwordx2 s[6:7], s[4:5], 0x58
	s_waitcnt lgkmcnt(0)
	s_mul_i32 s4, s21, s8
	s_mul_hi_u32 s5, s20, s8
	s_add_i32 s5, s5, s4
	s_mul_i32 s4, s20, s8
	s_lshl_b64 s[4:5], s[4:5], 4
	s_add_u32 s10, s2, s4
	s_addc_u32 s11, s3, s5
	s_mul_i32 s2, s25, s8
	s_mul_hi_u32 s3, s24, s8
	v_add_u32_e32 v3, s1, v0
	s_add_i32 s3, s3, s2
	s_mul_i32 s2, s24, s8
	v_ashrrev_i32_e32 v4, 31, v3
	s_lshl_b64 s[2:3], s[2:3], 4
	v_lshlrev_b64 v[4:5], 4, v[3:4]
	s_add_u32 s20, s22, s2
	v_add_u32_e32 v2, s0, v1
	s_addc_u32 s21, s23, s3
	s_mul_i32 s2, s7, s8
	s_mul_hi_u32 s3, s6, s8
	v_cndmask_b32_e32 v8, v3, v2, vcc
	v_cndmask_b32_e32 v9, v2, v3, vcc
	v_cmp_gt_i32_e32 vcc, s17, v3
	v_mov_b32_e32 v3, s11
	v_add_co_u32_e64 v36, s[0:1], s10, v4
	s_add_i32 s3, s3, s2
	s_mul_i32 s2, s6, s8
	v_addc_co_u32_e64 v37, s[0:1], v3, v5, s[0:1]
	v_ashrrev_i32_e32 v3, 31, v2
	s_lshl_b64 s[2:3], s[2:3], 4
	v_lshlrev_b64 v[6:7], 4, v[2:3]
	s_add_u32 s6, s26, s2
	s_addc_u32 s7, s27, s3
	v_mov_b32_e32 v3, s21
	v_add_co_u32_e64 v40, s[2:3], s20, v6
	v_cmp_gt_i32_e64 s[0:1], s17, v2
	v_addc_co_u32_e64 v41, s[2:3], v3, v7, s[2:3]
	v_mad_i64_i32 v[2:3], s[2:3], s9, v2, 0
	v_cmp_le_i32_e64 s[2:3], v9, v8
	s_and_b64 s[4:5], s[0:1], vcc
	v_lshlrev_b64 v[2:3], 4, v[2:3]
	s_and_b64 s[4:5], s[4:5], s[2:3]
	v_mov_b32_e32 v8, s7
	v_add_co_u32_e64 v2, s[2:3], s6, v2
	v_addc_co_u32_e64 v3, s[2:3], v8, v3, s[2:3]
	v_add_co_u32_e64 v34, s[2:3], v2, v4
	v_addc_co_u32_e64 v35, s[2:3], v3, v5, s[2:3]
	v_mov_b32_e32 v2, s21
	v_add_co_u32_e64 v44, s[2:3], s20, v4
	v_lshlrev_b32_e32 v10, 4, v1
	v_addc_co_u32_e64 v45, s[2:3], v2, v5, s[2:3]
	v_lshlrev_b32_e32 v38, 9, v0
	v_or_b32_e32 v42, 0x4000, v10
	v_mov_b32_e32 v2, s11
	v_add_co_u32_e64 v46, s[2:3], s10, v6
	v_add_u32_e32 v39, v38, v10
	v_add_u32_e32 v43, v42, v38
	v_addc_co_u32_e64 v47, s[2:3], v2, v7, s[2:3]
	s_mov_b32 s17, 0
	s_branch .LBB1934_5
.LBB1934_4:                             ;   in Loop: Header=BB1934_5 Depth=1
	s_or_b64 exec, exec, s[2:3]
	s_add_i32 s17, s17, 32
	s_cmp_lt_i32 s17, s18
	s_waitcnt vmcnt(0)
	s_barrier
	s_cbranch_scc0 .LBB1934_17
.LBB1934_5:                             ; =>This Inner Loop Header: Depth=1
	v_add_u32_e32 v10, s17, v1
	v_cmp_gt_i32_e64 s[2:3], s18, v10
	v_mov_b32_e32 v2, 0
	v_mov_b32_e32 v4, 0
	;; [unrolled: 1-line block ×6, first 2 shown]
	s_and_b64 s[6:7], vcc, s[2:3]
	s_and_saveexec_b64 s[8:9], s[6:7]
	s_cbranch_execz .LBB1934_7
; %bb.6:                                ;   in Loop: Header=BB1934_5 Depth=1
	v_mad_i64_i32 v[4:5], s[2:3], v10, s16, 0
	v_lshlrev_b64 v[4:5], 4, v[4:5]
	v_add_co_u32_e64 v4, s[2:3], v36, v4
	v_addc_co_u32_e64 v5, s[2:3], v37, v5, s[2:3]
	global_load_dwordx4 v[4:7], v[4:5], off
.LBB1934_7:                             ;   in Loop: Header=BB1934_5 Depth=1
	s_or_b64 exec, exec, s[8:9]
	v_add_u32_e32 v11, s17, v0
	s_waitcnt vmcnt(0)
	ds_write_b128 v39, v[4:7]
	v_cmp_gt_i32_e64 s[2:3], s18, v11
	v_mov_b32_e32 v4, 0
	v_mov_b32_e32 v5, 0
	s_and_b64 s[8:9], s[0:1], s[2:3]
	s_and_saveexec_b64 s[10:11], s[8:9]
	s_cbranch_execz .LBB1934_9
; %bb.8:                                ;   in Loop: Header=BB1934_5 Depth=1
	v_mad_i64_i32 v[2:3], s[2:3], v11, s19, 0
	v_lshlrev_b64 v[2:3], 4, v[2:3]
	v_add_co_u32_e64 v2, s[2:3], v40, v2
	v_addc_co_u32_e64 v3, s[2:3], v41, v3, s[2:3]
	global_load_dwordx4 v[2:5], v[2:3], off
	s_waitcnt vmcnt(0)
	v_xor_b32_e32 v5, 0x80000000, v5
.LBB1934_9:                             ;   in Loop: Header=BB1934_5 Depth=1
	s_or_b64 exec, exec, s[10:11]
	ds_write_b128 v43, v[2:5]
	s_waitcnt lgkmcnt(0)
	s_barrier
	s_and_saveexec_b64 s[2:3], s[4:5]
	s_cbranch_execz .LBB1934_11
; %bb.10:                               ;   in Loop: Header=BB1934_5 Depth=1
	ds_read_b128 v[6:9], v42
	ds_read_b128 v[12:15], v38
	ds_read_b128 v[16:19], v38 offset:16
	ds_read_b128 v[20:23], v38 offset:32
	;; [unrolled: 1-line block ×3, first 2 shown]
	s_waitcnt lgkmcnt(3)
	v_mul_f64 v[24:25], v[8:9], v[14:15]
	v_fma_f64 v[24:25], v[6:7], v[12:13], -v[24:25]
	v_mul_f64 v[6:7], v[6:7], v[14:15]
	v_fma_f64 v[6:7], v[8:9], v[12:13], v[6:7]
	v_add_f64 v[12:13], v[24:25], 0
	v_add_f64 v[14:15], v[6:7], 0
	ds_read_b128 v[6:9], v42 offset:512
	s_waitcnt lgkmcnt(0)
	v_mul_f64 v[24:25], v[8:9], v[18:19]
	v_fma_f64 v[24:25], v[6:7], v[16:17], -v[24:25]
	v_mul_f64 v[6:7], v[6:7], v[18:19]
	v_add_f64 v[12:13], v[12:13], v[24:25]
	v_fma_f64 v[6:7], v[8:9], v[16:17], v[6:7]
	v_add_f64 v[14:15], v[14:15], v[6:7]
	ds_read_b128 v[6:9], v42 offset:1024
	s_waitcnt lgkmcnt(0)
	v_mul_f64 v[16:17], v[8:9], v[22:23]
	v_fma_f64 v[16:17], v[6:7], v[20:21], -v[16:17]
	v_mul_f64 v[6:7], v[6:7], v[22:23]
	v_add_f64 v[12:13], v[12:13], v[16:17]
	v_fma_f64 v[6:7], v[8:9], v[20:21], v[6:7]
	v_add_f64 v[14:15], v[14:15], v[6:7]
	ds_read_b128 v[6:9], v42 offset:1536
	s_waitcnt lgkmcnt(0)
	v_mul_f64 v[16:17], v[8:9], v[4:5]
	v_mul_f64 v[4:5], v[6:7], v[4:5]
	v_fma_f64 v[16:17], v[6:7], v[2:3], -v[16:17]
	v_fma_f64 v[2:3], v[8:9], v[2:3], v[4:5]
	v_add_f64 v[12:13], v[12:13], v[16:17]
	v_add_f64 v[14:15], v[14:15], v[2:3]
	ds_read_b128 v[2:5], v42 offset:2048
	ds_read_b128 v[6:9], v38 offset:64
	s_waitcnt lgkmcnt(0)
	v_mul_f64 v[16:17], v[4:5], v[8:9]
	v_fma_f64 v[16:17], v[2:3], v[6:7], -v[16:17]
	v_mul_f64 v[2:3], v[2:3], v[8:9]
	v_add_f64 v[12:13], v[12:13], v[16:17]
	v_fma_f64 v[2:3], v[4:5], v[6:7], v[2:3]
	v_add_f64 v[14:15], v[14:15], v[2:3]
	ds_read_b128 v[2:5], v42 offset:2560
	ds_read_b128 v[6:9], v38 offset:80
	s_waitcnt lgkmcnt(0)
	v_mul_f64 v[16:17], v[4:5], v[8:9]
	v_fma_f64 v[16:17], v[2:3], v[6:7], -v[16:17]
	v_mul_f64 v[2:3], v[2:3], v[8:9]
	v_add_f64 v[12:13], v[12:13], v[16:17]
	v_fma_f64 v[2:3], v[4:5], v[6:7], v[2:3]
	v_add_f64 v[14:15], v[14:15], v[2:3]
	ds_read_b128 v[2:5], v42 offset:3072
	ds_read_b128 v[6:9], v38 offset:96
	s_waitcnt lgkmcnt(0)
	v_mul_f64 v[16:17], v[4:5], v[8:9]
	v_fma_f64 v[16:17], v[2:3], v[6:7], -v[16:17]
	v_mul_f64 v[2:3], v[2:3], v[8:9]
	v_add_f64 v[12:13], v[12:13], v[16:17]
	v_fma_f64 v[2:3], v[4:5], v[6:7], v[2:3]
	v_add_f64 v[14:15], v[14:15], v[2:3]
	ds_read_b128 v[2:5], v42 offset:3584
	ds_read_b128 v[6:9], v38 offset:112
	s_waitcnt lgkmcnt(0)
	v_mul_f64 v[16:17], v[4:5], v[8:9]
	v_fma_f64 v[16:17], v[2:3], v[6:7], -v[16:17]
	v_mul_f64 v[2:3], v[2:3], v[8:9]
	v_add_f64 v[12:13], v[12:13], v[16:17]
	v_fma_f64 v[2:3], v[4:5], v[6:7], v[2:3]
	v_add_f64 v[14:15], v[14:15], v[2:3]
	ds_read_b128 v[2:5], v42 offset:4096
	ds_read_b128 v[6:9], v38 offset:128
	s_waitcnt lgkmcnt(0)
	v_mul_f64 v[16:17], v[4:5], v[8:9]
	v_fma_f64 v[16:17], v[2:3], v[6:7], -v[16:17]
	v_mul_f64 v[2:3], v[2:3], v[8:9]
	v_add_f64 v[12:13], v[12:13], v[16:17]
	v_fma_f64 v[2:3], v[4:5], v[6:7], v[2:3]
	v_add_f64 v[14:15], v[14:15], v[2:3]
	ds_read_b128 v[2:5], v42 offset:4608
	ds_read_b128 v[6:9], v38 offset:144
	s_waitcnt lgkmcnt(0)
	v_mul_f64 v[16:17], v[4:5], v[8:9]
	v_fma_f64 v[16:17], v[2:3], v[6:7], -v[16:17]
	v_mul_f64 v[2:3], v[2:3], v[8:9]
	v_add_f64 v[12:13], v[12:13], v[16:17]
	v_fma_f64 v[2:3], v[4:5], v[6:7], v[2:3]
	v_add_f64 v[14:15], v[14:15], v[2:3]
	ds_read_b128 v[2:5], v42 offset:5120
	ds_read_b128 v[6:9], v38 offset:160
	s_waitcnt lgkmcnt(0)
	v_mul_f64 v[16:17], v[4:5], v[8:9]
	v_fma_f64 v[16:17], v[2:3], v[6:7], -v[16:17]
	v_mul_f64 v[2:3], v[2:3], v[8:9]
	v_add_f64 v[12:13], v[12:13], v[16:17]
	v_fma_f64 v[2:3], v[4:5], v[6:7], v[2:3]
	v_add_f64 v[14:15], v[14:15], v[2:3]
	ds_read_b128 v[2:5], v42 offset:5632
	ds_read_b128 v[6:9], v38 offset:176
	s_waitcnt lgkmcnt(0)
	v_mul_f64 v[16:17], v[4:5], v[8:9]
	v_fma_f64 v[16:17], v[2:3], v[6:7], -v[16:17]
	v_mul_f64 v[2:3], v[2:3], v[8:9]
	v_add_f64 v[12:13], v[12:13], v[16:17]
	v_fma_f64 v[2:3], v[4:5], v[6:7], v[2:3]
	v_add_f64 v[14:15], v[14:15], v[2:3]
	ds_read_b128 v[2:5], v42 offset:6144
	ds_read_b128 v[6:9], v38 offset:192
	s_waitcnt lgkmcnt(0)
	v_mul_f64 v[16:17], v[4:5], v[8:9]
	v_fma_f64 v[16:17], v[2:3], v[6:7], -v[16:17]
	v_mul_f64 v[2:3], v[2:3], v[8:9]
	v_add_f64 v[12:13], v[12:13], v[16:17]
	v_fma_f64 v[2:3], v[4:5], v[6:7], v[2:3]
	v_add_f64 v[14:15], v[14:15], v[2:3]
	ds_read_b128 v[2:5], v42 offset:6656
	ds_read_b128 v[6:9], v38 offset:208
	s_waitcnt lgkmcnt(0)
	v_mul_f64 v[16:17], v[4:5], v[8:9]
	v_fma_f64 v[16:17], v[2:3], v[6:7], -v[16:17]
	v_mul_f64 v[2:3], v[2:3], v[8:9]
	v_add_f64 v[12:13], v[12:13], v[16:17]
	v_fma_f64 v[2:3], v[4:5], v[6:7], v[2:3]
	v_add_f64 v[14:15], v[14:15], v[2:3]
	ds_read_b128 v[2:5], v42 offset:7168
	ds_read_b128 v[6:9], v38 offset:224
	s_waitcnt lgkmcnt(0)
	v_mul_f64 v[16:17], v[4:5], v[8:9]
	v_fma_f64 v[16:17], v[2:3], v[6:7], -v[16:17]
	v_mul_f64 v[2:3], v[2:3], v[8:9]
	v_add_f64 v[12:13], v[12:13], v[16:17]
	v_fma_f64 v[2:3], v[4:5], v[6:7], v[2:3]
	v_add_f64 v[14:15], v[14:15], v[2:3]
	ds_read_b128 v[2:5], v42 offset:7680
	ds_read_b128 v[6:9], v38 offset:240
	s_waitcnt lgkmcnt(0)
	v_mul_f64 v[16:17], v[4:5], v[8:9]
	v_fma_f64 v[16:17], v[2:3], v[6:7], -v[16:17]
	v_mul_f64 v[2:3], v[2:3], v[8:9]
	v_add_f64 v[12:13], v[12:13], v[16:17]
	v_fma_f64 v[2:3], v[4:5], v[6:7], v[2:3]
	v_add_f64 v[14:15], v[14:15], v[2:3]
	ds_read_b128 v[2:5], v42 offset:8192
	ds_read_b128 v[6:9], v38 offset:256
	s_waitcnt lgkmcnt(0)
	v_mul_f64 v[16:17], v[4:5], v[8:9]
	v_fma_f64 v[16:17], v[2:3], v[6:7], -v[16:17]
	v_mul_f64 v[2:3], v[2:3], v[8:9]
	v_add_f64 v[12:13], v[12:13], v[16:17]
	v_fma_f64 v[2:3], v[4:5], v[6:7], v[2:3]
	v_add_f64 v[14:15], v[14:15], v[2:3]
	ds_read_b128 v[2:5], v42 offset:8704
	ds_read_b128 v[6:9], v38 offset:272
	s_waitcnt lgkmcnt(0)
	v_mul_f64 v[16:17], v[4:5], v[8:9]
	v_fma_f64 v[16:17], v[2:3], v[6:7], -v[16:17]
	v_mul_f64 v[2:3], v[2:3], v[8:9]
	v_add_f64 v[12:13], v[12:13], v[16:17]
	v_fma_f64 v[2:3], v[4:5], v[6:7], v[2:3]
	v_add_f64 v[14:15], v[14:15], v[2:3]
	ds_read_b128 v[2:5], v42 offset:9216
	ds_read_b128 v[6:9], v38 offset:288
	s_waitcnt lgkmcnt(0)
	v_mul_f64 v[16:17], v[4:5], v[8:9]
	v_fma_f64 v[16:17], v[2:3], v[6:7], -v[16:17]
	v_mul_f64 v[2:3], v[2:3], v[8:9]
	v_add_f64 v[12:13], v[12:13], v[16:17]
	v_fma_f64 v[2:3], v[4:5], v[6:7], v[2:3]
	v_add_f64 v[14:15], v[14:15], v[2:3]
	ds_read_b128 v[2:5], v42 offset:9728
	ds_read_b128 v[6:9], v38 offset:304
	s_waitcnt lgkmcnt(0)
	v_mul_f64 v[16:17], v[4:5], v[8:9]
	v_fma_f64 v[16:17], v[2:3], v[6:7], -v[16:17]
	v_mul_f64 v[2:3], v[2:3], v[8:9]
	v_add_f64 v[12:13], v[12:13], v[16:17]
	v_fma_f64 v[2:3], v[4:5], v[6:7], v[2:3]
	v_add_f64 v[14:15], v[14:15], v[2:3]
	ds_read_b128 v[2:5], v42 offset:10240
	ds_read_b128 v[6:9], v38 offset:320
	s_waitcnt lgkmcnt(0)
	v_mul_f64 v[16:17], v[4:5], v[8:9]
	v_fma_f64 v[16:17], v[2:3], v[6:7], -v[16:17]
	v_mul_f64 v[2:3], v[2:3], v[8:9]
	v_add_f64 v[12:13], v[12:13], v[16:17]
	v_fma_f64 v[2:3], v[4:5], v[6:7], v[2:3]
	v_add_f64 v[14:15], v[14:15], v[2:3]
	ds_read_b128 v[2:5], v42 offset:10752
	ds_read_b128 v[6:9], v38 offset:336
	s_waitcnt lgkmcnt(0)
	v_mul_f64 v[16:17], v[4:5], v[8:9]
	v_fma_f64 v[16:17], v[2:3], v[6:7], -v[16:17]
	v_mul_f64 v[2:3], v[2:3], v[8:9]
	v_add_f64 v[12:13], v[12:13], v[16:17]
	v_fma_f64 v[2:3], v[4:5], v[6:7], v[2:3]
	v_add_f64 v[14:15], v[14:15], v[2:3]
	ds_read_b128 v[2:5], v42 offset:11264
	ds_read_b128 v[6:9], v38 offset:352
	s_waitcnt lgkmcnt(0)
	v_mul_f64 v[16:17], v[4:5], v[8:9]
	v_fma_f64 v[16:17], v[2:3], v[6:7], -v[16:17]
	v_mul_f64 v[2:3], v[2:3], v[8:9]
	v_add_f64 v[12:13], v[12:13], v[16:17]
	v_fma_f64 v[2:3], v[4:5], v[6:7], v[2:3]
	v_add_f64 v[14:15], v[14:15], v[2:3]
	ds_read_b128 v[2:5], v42 offset:11776
	ds_read_b128 v[6:9], v38 offset:368
	s_waitcnt lgkmcnt(0)
	v_mul_f64 v[16:17], v[4:5], v[8:9]
	v_fma_f64 v[16:17], v[2:3], v[6:7], -v[16:17]
	v_mul_f64 v[2:3], v[2:3], v[8:9]
	v_add_f64 v[12:13], v[12:13], v[16:17]
	v_fma_f64 v[2:3], v[4:5], v[6:7], v[2:3]
	v_add_f64 v[14:15], v[14:15], v[2:3]
	ds_read_b128 v[2:5], v42 offset:12288
	ds_read_b128 v[6:9], v38 offset:384
	s_waitcnt lgkmcnt(0)
	v_mul_f64 v[16:17], v[4:5], v[8:9]
	v_fma_f64 v[16:17], v[2:3], v[6:7], -v[16:17]
	v_mul_f64 v[2:3], v[2:3], v[8:9]
	v_add_f64 v[12:13], v[12:13], v[16:17]
	v_fma_f64 v[2:3], v[4:5], v[6:7], v[2:3]
	v_add_f64 v[14:15], v[14:15], v[2:3]
	ds_read_b128 v[2:5], v42 offset:12800
	ds_read_b128 v[6:9], v38 offset:400
	s_waitcnt lgkmcnt(0)
	v_mul_f64 v[16:17], v[4:5], v[8:9]
	v_fma_f64 v[16:17], v[2:3], v[6:7], -v[16:17]
	v_mul_f64 v[2:3], v[2:3], v[8:9]
	v_add_f64 v[12:13], v[12:13], v[16:17]
	v_fma_f64 v[2:3], v[4:5], v[6:7], v[2:3]
	v_add_f64 v[14:15], v[14:15], v[2:3]
	ds_read_b128 v[2:5], v42 offset:13312
	ds_read_b128 v[6:9], v38 offset:416
	s_waitcnt lgkmcnt(0)
	v_mul_f64 v[16:17], v[4:5], v[8:9]
	v_fma_f64 v[16:17], v[2:3], v[6:7], -v[16:17]
	v_mul_f64 v[2:3], v[2:3], v[8:9]
	v_add_f64 v[12:13], v[12:13], v[16:17]
	v_fma_f64 v[2:3], v[4:5], v[6:7], v[2:3]
	v_add_f64 v[14:15], v[14:15], v[2:3]
	ds_read_b128 v[2:5], v42 offset:13824
	ds_read_b128 v[6:9], v38 offset:432
	s_waitcnt lgkmcnt(0)
	v_mul_f64 v[16:17], v[4:5], v[8:9]
	v_fma_f64 v[16:17], v[2:3], v[6:7], -v[16:17]
	v_mul_f64 v[2:3], v[2:3], v[8:9]
	v_add_f64 v[12:13], v[12:13], v[16:17]
	v_fma_f64 v[2:3], v[4:5], v[6:7], v[2:3]
	v_add_f64 v[14:15], v[14:15], v[2:3]
	ds_read_b128 v[2:5], v42 offset:14336
	ds_read_b128 v[6:9], v38 offset:448
	s_waitcnt lgkmcnt(0)
	v_mul_f64 v[16:17], v[4:5], v[8:9]
	v_fma_f64 v[16:17], v[2:3], v[6:7], -v[16:17]
	v_mul_f64 v[2:3], v[2:3], v[8:9]
	v_add_f64 v[12:13], v[12:13], v[16:17]
	v_fma_f64 v[2:3], v[4:5], v[6:7], v[2:3]
	v_add_f64 v[14:15], v[14:15], v[2:3]
	ds_read_b128 v[2:5], v42 offset:14848
	ds_read_b128 v[6:9], v38 offset:464
	s_waitcnt lgkmcnt(0)
	v_mul_f64 v[16:17], v[4:5], v[8:9]
	v_fma_f64 v[16:17], v[2:3], v[6:7], -v[16:17]
	v_mul_f64 v[2:3], v[2:3], v[8:9]
	v_add_f64 v[12:13], v[12:13], v[16:17]
	v_fma_f64 v[2:3], v[4:5], v[6:7], v[2:3]
	v_add_f64 v[14:15], v[14:15], v[2:3]
	ds_read_b128 v[2:5], v42 offset:15360
	ds_read_b128 v[6:9], v38 offset:480
	s_waitcnt lgkmcnt(0)
	v_mul_f64 v[16:17], v[4:5], v[8:9]
	v_fma_f64 v[16:17], v[2:3], v[6:7], -v[16:17]
	v_mul_f64 v[2:3], v[2:3], v[8:9]
	v_add_f64 v[12:13], v[12:13], v[16:17]
	v_fma_f64 v[2:3], v[4:5], v[6:7], v[2:3]
	v_add_f64 v[14:15], v[14:15], v[2:3]
	ds_read_b128 v[2:5], v42 offset:15872
	ds_read_b128 v[6:9], v38 offset:496
	s_waitcnt lgkmcnt(0)
	v_mul_f64 v[16:17], v[4:5], v[8:9]
	v_fma_f64 v[16:17], v[2:3], v[6:7], -v[16:17]
	v_mul_f64 v[2:3], v[2:3], v[8:9]
	v_fma_f64 v[2:3], v[4:5], v[6:7], v[2:3]
	v_add_f64 v[4:5], v[12:13], v[16:17]
	v_add_f64 v[2:3], v[14:15], v[2:3]
	v_mul_f64 v[6:7], s[14:15], v[2:3]
	v_mul_f64 v[2:3], s[12:13], v[2:3]
	v_fma_f64 v[6:7], s[12:13], v[4:5], -v[6:7]
	v_fma_f64 v[8:9], s[14:15], v[4:5], v[2:3]
	global_load_dwordx4 v[2:5], v[34:35], off
	s_waitcnt vmcnt(0)
	v_add_f64 v[2:3], v[2:3], v[6:7]
	v_add_f64 v[4:5], v[4:5], v[8:9]
	global_store_dwordx4 v[34:35], v[2:5], off
.LBB1934_11:                            ;   in Loop: Header=BB1934_5 Depth=1
	s_or_b64 exec, exec, s[2:3]
	v_mov_b32_e32 v4, 0
	v_mov_b32_e32 v8, 0
	;; [unrolled: 1-line block ×6, first 2 shown]
	s_waitcnt vmcnt(0)
	s_barrier
	s_and_saveexec_b64 s[10:11], s[6:7]
	s_cbranch_execz .LBB1934_13
; %bb.12:                               ;   in Loop: Header=BB1934_5 Depth=1
	v_mad_i64_i32 v[2:3], s[2:3], v10, s19, 0
	v_lshlrev_b64 v[2:3], 4, v[2:3]
	v_add_co_u32_e64 v2, s[2:3], v44, v2
	v_addc_co_u32_e64 v3, s[2:3], v45, v3, s[2:3]
	global_load_dwordx4 v[6:9], v[2:3], off
.LBB1934_13:                            ;   in Loop: Header=BB1934_5 Depth=1
	s_or_b64 exec, exec, s[10:11]
	v_mov_b32_e32 v2, 0
	v_mov_b32_e32 v3, 0
	s_waitcnt vmcnt(0)
	ds_write_b128 v39, v[6:9]
	s_and_saveexec_b64 s[6:7], s[8:9]
	s_cbranch_execz .LBB1934_15
; %bb.14:                               ;   in Loop: Header=BB1934_5 Depth=1
	v_mad_i64_i32 v[2:3], s[2:3], v11, s16, 0
	v_lshlrev_b64 v[2:3], 4, v[2:3]
	v_add_co_u32_e64 v2, s[2:3], v46, v2
	v_addc_co_u32_e64 v3, s[2:3], v47, v3, s[2:3]
	global_load_dwordx4 v[2:5], v[2:3], off
	s_waitcnt vmcnt(0)
	v_xor_b32_e32 v5, 0x80000000, v5
.LBB1934_15:                            ;   in Loop: Header=BB1934_5 Depth=1
	s_or_b64 exec, exec, s[6:7]
	ds_write_b128 v43, v[2:5]
	s_waitcnt lgkmcnt(0)
	s_barrier
	s_and_saveexec_b64 s[2:3], s[4:5]
	s_cbranch_execz .LBB1934_4
; %bb.16:                               ;   in Loop: Header=BB1934_5 Depth=1
	ds_read_b128 v[4:7], v42
	ds_read_b128 v[8:11], v38
	ds_read_b128 v[12:15], v38 offset:16
	ds_read_b128 v[16:19], v42 offset:512
	;; [unrolled: 1-line block ×3, first 2 shown]
	s_waitcnt lgkmcnt(3)
	v_mul_f64 v[2:3], v[6:7], v[10:11]
	v_mul_f64 v[10:11], v[4:5], v[10:11]
	s_waitcnt lgkmcnt(1)
	v_mul_f64 v[32:33], v[18:19], v[14:15]
	v_mul_f64 v[54:55], v[16:17], v[14:15]
	v_fma_f64 v[52:53], v[4:5], v[8:9], -v[2:3]
	ds_read_b128 v[24:27], v38 offset:32
	ds_read_b128 v[2:5], v38 offset:48
	;; [unrolled: 1-line block ×4, first 2 shown]
	v_fma_f64 v[10:11], v[6:7], v[8:9], v[10:11]
	s_waitcnt lgkmcnt(3)
	v_mul_f64 v[56:57], v[22:23], v[26:27]
	v_fma_f64 v[32:33], v[16:17], v[12:13], -v[32:33]
	v_mul_f64 v[26:27], v[20:21], v[26:27]
	s_waitcnt lgkmcnt(1)
	v_mul_f64 v[58:59], v[30:31], v[4:5]
	v_fma_f64 v[54:55], v[18:19], v[12:13], v[54:55]
	v_add_f64 v[52:53], v[52:53], 0
	ds_read_b128 v[6:9], v42 offset:2048
	ds_read_b128 v[14:17], v42 offset:2560
	v_add_f64 v[60:61], v[10:11], 0
	v_fma_f64 v[56:57], v[20:21], v[24:25], -v[56:57]
	v_mul_f64 v[4:5], v[28:29], v[4:5]
	v_fma_f64 v[62:63], v[22:23], v[24:25], v[26:27]
	v_fma_f64 v[58:59], v[28:29], v[2:3], -v[58:59]
	ds_read_b128 v[10:13], v38 offset:80
	ds_read_b128 v[18:21], v38 offset:96
	v_add_f64 v[32:33], v[52:53], v[32:33]
	s_waitcnt lgkmcnt(3)
	v_mul_f64 v[52:53], v[8:9], v[50:51]
	v_add_f64 v[54:55], v[60:61], v[54:55]
	v_mul_f64 v[50:51], v[6:7], v[50:51]
	v_fma_f64 v[60:61], v[30:31], v[2:3], v[4:5]
	ds_read_b128 v[22:25], v42 offset:3072
	ds_read_b128 v[26:29], v42 offset:3584
	v_add_f64 v[32:33], v[32:33], v[56:57]
	s_waitcnt lgkmcnt(3)
	v_mul_f64 v[56:57], v[16:17], v[12:13]
	v_fma_f64 v[6:7], v[6:7], v[48:49], -v[52:53]
	v_add_f64 v[52:53], v[54:55], v[62:63]
	s_waitcnt lgkmcnt(1)
	v_mul_f64 v[62:63], v[24:25], v[20:21]
	v_fma_f64 v[48:49], v[8:9], v[48:49], v[50:51]
	v_add_f64 v[54:55], v[32:33], v[58:59]
	v_mul_f64 v[58:59], v[14:15], v[12:13]
	v_fma_f64 v[50:51], v[14:15], v[10:11], -v[56:57]
	v_add_f64 v[52:53], v[52:53], v[60:61]
	ds_read_b128 v[2:5], v38 offset:112
	ds_read_b128 v[30:33], v38 offset:128
	v_mul_f64 v[56:57], v[22:23], v[20:21]
	s_waitcnt lgkmcnt(1)
	v_mul_f64 v[60:61], v[28:29], v[4:5]
	v_add_f64 v[54:55], v[54:55], v[6:7]
	v_fma_f64 v[10:11], v[16:17], v[10:11], v[58:59]
	v_fma_f64 v[16:17], v[22:23], v[18:19], -v[62:63]
	v_add_f64 v[52:53], v[52:53], v[48:49]
	ds_read_b128 v[6:9], v42 offset:4096
	ds_read_b128 v[12:15], v42 offset:4608
	v_mul_f64 v[4:5], v[26:27], v[4:5]
	v_fma_f64 v[56:57], v[24:25], v[18:19], v[56:57]
	v_fma_f64 v[60:61], v[26:27], v[2:3], -v[60:61]
	v_add_f64 v[54:55], v[54:55], v[50:51]
	s_waitcnt lgkmcnt(1)
	v_mul_f64 v[58:59], v[8:9], v[32:33]
	ds_read_b128 v[20:23], v38 offset:144
	ds_read_b128 v[48:51], v38 offset:160
	v_add_f64 v[10:11], v[52:53], v[10:11]
	v_mul_f64 v[32:33], v[6:7], v[32:33]
	v_fma_f64 v[28:29], v[28:29], v[2:3], v[4:5]
	s_waitcnt lgkmcnt(1)
	v_mul_f64 v[62:63], v[14:15], v[22:23]
	v_mul_f64 v[22:23], v[12:13], v[22:23]
	v_add_f64 v[52:53], v[54:55], v[16:17]
	v_fma_f64 v[6:7], v[6:7], v[30:31], -v[58:59]
	ds_read_b128 v[16:19], v42 offset:5120
	ds_read_b128 v[24:27], v42 offset:5632
	v_add_f64 v[10:11], v[10:11], v[56:57]
	v_fma_f64 v[30:31], v[8:9], v[30:31], v[32:33]
	s_waitcnt lgkmcnt(1)
	v_mul_f64 v[58:59], v[18:19], v[50:51]
	v_fma_f64 v[32:33], v[12:13], v[20:21], -v[62:63]
	v_add_f64 v[56:57], v[52:53], v[60:61]
	ds_read_b128 v[2:5], v38 offset:176
	ds_read_b128 v[52:55], v38 offset:192
	v_mul_f64 v[50:51], v[16:17], v[50:51]
	v_add_f64 v[28:29], v[10:11], v[28:29]
	v_fma_f64 v[62:63], v[14:15], v[20:21], v[22:23]
	s_waitcnt lgkmcnt(1)
	v_mul_f64 v[60:61], v[26:27], v[4:5]
	v_fma_f64 v[58:59], v[16:17], v[48:49], -v[58:59]
	v_mul_f64 v[4:5], v[24:25], v[4:5]
	v_add_f64 v[56:57], v[56:57], v[6:7]
	ds_read_b128 v[6:9], v42 offset:6144
	ds_read_b128 v[10:13], v42 offset:6656
	v_fma_f64 v[18:19], v[18:19], v[48:49], v[50:51]
	v_add_f64 v[28:29], v[28:29], v[30:31]
	ds_read_b128 v[14:17], v38 offset:208
	ds_read_b128 v[20:23], v38 offset:224
	v_fma_f64 v[24:25], v[24:25], v[2:3], -v[60:61]
	s_waitcnt lgkmcnt(1)
	v_mul_f64 v[60:61], v[12:13], v[16:17]
	v_add_f64 v[30:31], v[56:57], v[32:33]
	v_mul_f64 v[32:33], v[8:9], v[54:55]
	v_add_f64 v[56:57], v[28:29], v[62:63]
	v_mul_f64 v[54:55], v[6:7], v[54:55]
	v_fma_f64 v[62:63], v[26:27], v[2:3], v[4:5]
	v_add_f64 v[58:59], v[30:31], v[58:59]
	v_fma_f64 v[6:7], v[6:7], v[52:53], -v[32:33]
	v_add_f64 v[18:19], v[56:57], v[18:19]
	ds_read_b128 v[28:31], v42 offset:7168
	ds_read_b128 v[48:51], v42 offset:7680
	v_mul_f64 v[56:57], v[10:11], v[16:17]
	v_fma_f64 v[52:53], v[8:9], v[52:53], v[54:55]
	v_fma_f64 v[10:11], v[10:11], v[14:15], -v[60:61]
	v_add_f64 v[32:33], v[58:59], v[24:25]
	s_waitcnt lgkmcnt(1)
	v_mul_f64 v[58:59], v[30:31], v[22:23]
	v_add_f64 v[54:55], v[18:19], v[62:63]
	ds_read_b128 v[2:5], v38 offset:240
	ds_read_b128 v[24:27], v38 offset:256
	v_mul_f64 v[22:23], v[28:29], v[22:23]
	v_fma_f64 v[14:15], v[12:13], v[14:15], v[56:57]
	s_waitcnt lgkmcnt(1)
	v_mul_f64 v[60:61], v[50:51], v[4:5]
	v_add_f64 v[32:33], v[32:33], v[6:7]
	v_fma_f64 v[28:29], v[28:29], v[20:21], -v[58:59]
	v_add_f64 v[56:57], v[54:55], v[52:53]
	ds_read_b128 v[6:9], v42 offset:8192
	ds_read_b128 v[16:19], v42 offset:8704
	v_mul_f64 v[4:5], v[48:49], v[4:5]
	v_fma_f64 v[62:63], v[30:31], v[20:21], v[22:23]
	s_waitcnt lgkmcnt(1)
	v_mul_f64 v[58:59], v[8:9], v[26:27]
	v_add_f64 v[32:33], v[32:33], v[10:11]
	v_fma_f64 v[48:49], v[48:49], v[2:3], -v[60:61]
	;; [unrolled: 9-line block ×9, first 2 shown]
	v_add_f64 v[48:49], v[56:57], v[48:49]
	ds_read_b128 v[10:13], v42 offset:12288
	ds_read_b128 v[6:9], v42 offset:12800
	v_mul_f64 v[32:33], v[52:53], v[32:33]
	v_fma_f64 v[56:57], v[22:23], v[24:25], v[26:27]
	ds_read_b128 v[14:17], v38 offset:400
	ds_read_b128 v[18:21], v38 offset:416
	v_fma_f64 v[52:53], v[52:53], v[30:31], -v[58:59]
	v_add_f64 v[28:29], v[28:29], v[50:51]
	s_waitcnt lgkmcnt(3)
	v_mul_f64 v[50:51], v[12:13], v[4:5]
	v_add_f64 v[48:49], v[48:49], v[62:63]
	v_mul_f64 v[4:5], v[10:11], v[4:5]
	v_fma_f64 v[54:55], v[54:55], v[30:31], v[32:33]
	v_add_f64 v[58:59], v[28:29], v[60:61]
	s_waitcnt lgkmcnt(1)
	v_mul_f64 v[60:61], v[8:9], v[16:17]
	v_fma_f64 v[10:11], v[10:11], v[2:3], -v[50:51]
	v_add_f64 v[56:57], v[48:49], v[56:57]
	ds_read_b128 v[26:29], v42 offset:13312
	ds_read_b128 v[22:25], v42 offset:13824
	global_load_dwordx4 v[48:51], v[34:35], off
	v_mul_f64 v[16:17], v[6:7], v[16:17]
	v_fma_f64 v[62:63], v[12:13], v[2:3], v[4:5]
	v_add_f64 v[52:53], v[58:59], v[52:53]
	s_waitcnt lgkmcnt(1)
	v_mul_f64 v[58:59], v[28:29], v[20:21]
	v_fma_f64 v[6:7], v[6:7], v[14:15], -v[60:61]
	v_add_f64 v[54:55], v[56:57], v[54:55]
	ds_read_b128 v[30:33], v38 offset:432
	v_mul_f64 v[20:21], v[26:27], v[20:21]
	v_fma_f64 v[60:61], v[8:9], v[14:15], v[16:17]
	v_add_f64 v[52:53], v[52:53], v[10:11]
	s_waitcnt lgkmcnt(0)
	v_mul_f64 v[56:57], v[24:25], v[32:33]
	v_fma_f64 v[26:27], v[26:27], v[18:19], -v[58:59]
	v_add_f64 v[54:55], v[54:55], v[62:63]
	ds_read_b128 v[2:5], v38 offset:448
	ds_read_b128 v[10:13], v42 offset:14336
	v_mul_f64 v[32:33], v[22:23], v[32:33]
	v_fma_f64 v[62:63], v[28:29], v[18:19], v[20:21]
	v_add_f64 v[52:53], v[52:53], v[6:7]
	s_waitcnt lgkmcnt(0)
	v_mul_f64 v[58:59], v[12:13], v[4:5]
	v_fma_f64 v[22:23], v[22:23], v[30:31], -v[56:57]
	v_add_f64 v[54:55], v[54:55], v[60:61]
	ds_read_b128 v[6:9], v42 offset:14848
	;; [unrolled: 9-line block ×4, first 2 shown]
	ds_read_b128 v[30:33], v38 offset:496
	v_mul_f64 v[12:13], v[26:27], v[20:21]
	v_fma_f64 v[8:9], v[8:9], v[14:15], v[16:17]
	v_add_f64 v[10:11], v[52:53], v[10:11]
	s_waitcnt lgkmcnt(0)
	v_mul_f64 v[20:21], v[24:25], v[32:33]
	v_fma_f64 v[14:15], v[26:27], v[18:19], -v[58:59]
	v_add_f64 v[2:3], v[6:7], v[2:3]
	v_mul_f64 v[6:7], v[22:23], v[32:33]
	v_add_f64 v[4:5], v[10:11], v[4:5]
	v_fma_f64 v[10:11], v[28:29], v[18:19], v[12:13]
	v_fma_f64 v[12:13], v[22:23], v[30:31], -v[20:21]
	v_add_f64 v[2:3], v[2:3], v[8:9]
	v_fma_f64 v[6:7], v[24:25], v[30:31], v[6:7]
	v_add_f64 v[4:5], v[4:5], v[14:15]
	v_add_f64 v[2:3], v[2:3], v[10:11]
	;; [unrolled: 1-line block ×4, first 2 shown]
	v_mul_f64 v[6:7], s[12:13], v[4:5]
	v_mul_f64 v[4:5], s[14:15], v[4:5]
	v_fma_f64 v[6:7], s[14:15], v[2:3], v[6:7]
	v_fma_f64 v[4:5], s[12:13], v[2:3], -v[4:5]
	s_waitcnt vmcnt(0)
	v_add_f64 v[2:3], v[48:49], v[6:7]
	v_add_f64 v[4:5], v[50:51], v[4:5]
	global_store_dwordx4 v[34:35], v[2:5], off
	s_branch .LBB1934_4
.LBB1934_17:
	s_endpgm
	.section	.rodata,"a",@progbits
	.p2align	6, 0x0
	.amdhsa_kernel _ZL26rocblas_syr2k_her2k_kernelIiLb1ELb1ELb0ELi32EPK19rocblas_complex_numIdES3_PS1_EvbiT_T4_T5_S5_lS7_S5_lT6_S5_li
		.amdhsa_group_segment_fixed_size 32768
		.amdhsa_private_segment_fixed_size 0
		.amdhsa_kernarg_size 100
		.amdhsa_user_sgpr_count 6
		.amdhsa_user_sgpr_private_segment_buffer 1
		.amdhsa_user_sgpr_dispatch_ptr 0
		.amdhsa_user_sgpr_queue_ptr 0
		.amdhsa_user_sgpr_kernarg_segment_ptr 1
		.amdhsa_user_sgpr_dispatch_id 0
		.amdhsa_user_sgpr_flat_scratch_init 0
		.amdhsa_user_sgpr_private_segment_size 0
		.amdhsa_uses_dynamic_stack 0
		.amdhsa_system_sgpr_private_segment_wavefront_offset 0
		.amdhsa_system_sgpr_workgroup_id_x 1
		.amdhsa_system_sgpr_workgroup_id_y 1
		.amdhsa_system_sgpr_workgroup_id_z 1
		.amdhsa_system_sgpr_workgroup_info 0
		.amdhsa_system_vgpr_workitem_id 1
		.amdhsa_next_free_vgpr 64
		.amdhsa_next_free_sgpr 61
		.amdhsa_reserve_vcc 1
		.amdhsa_reserve_flat_scratch 0
		.amdhsa_float_round_mode_32 0
		.amdhsa_float_round_mode_16_64 0
		.amdhsa_float_denorm_mode_32 3
		.amdhsa_float_denorm_mode_16_64 3
		.amdhsa_dx10_clamp 1
		.amdhsa_ieee_mode 1
		.amdhsa_fp16_overflow 0
		.amdhsa_exception_fp_ieee_invalid_op 0
		.amdhsa_exception_fp_denorm_src 0
		.amdhsa_exception_fp_ieee_div_zero 0
		.amdhsa_exception_fp_ieee_overflow 0
		.amdhsa_exception_fp_ieee_underflow 0
		.amdhsa_exception_fp_ieee_inexact 0
		.amdhsa_exception_int_div_zero 0
	.end_amdhsa_kernel
	.section	.text._ZL26rocblas_syr2k_her2k_kernelIiLb1ELb1ELb0ELi32EPK19rocblas_complex_numIdES3_PS1_EvbiT_T4_T5_S5_lS7_S5_lT6_S5_li,"axG",@progbits,_ZL26rocblas_syr2k_her2k_kernelIiLb1ELb1ELb0ELi32EPK19rocblas_complex_numIdES3_PS1_EvbiT_T4_T5_S5_lS7_S5_lT6_S5_li,comdat
.Lfunc_end1934:
	.size	_ZL26rocblas_syr2k_her2k_kernelIiLb1ELb1ELb0ELi32EPK19rocblas_complex_numIdES3_PS1_EvbiT_T4_T5_S5_lS7_S5_lT6_S5_li, .Lfunc_end1934-_ZL26rocblas_syr2k_her2k_kernelIiLb1ELb1ELb0ELi32EPK19rocblas_complex_numIdES3_PS1_EvbiT_T4_T5_S5_lS7_S5_lT6_S5_li
                                        ; -- End function
	.set _ZL26rocblas_syr2k_her2k_kernelIiLb1ELb1ELb0ELi32EPK19rocblas_complex_numIdES3_PS1_EvbiT_T4_T5_S5_lS7_S5_lT6_S5_li.num_vgpr, 64
	.set _ZL26rocblas_syr2k_her2k_kernelIiLb1ELb1ELb0ELi32EPK19rocblas_complex_numIdES3_PS1_EvbiT_T4_T5_S5_lS7_S5_lT6_S5_li.num_agpr, 0
	.set _ZL26rocblas_syr2k_her2k_kernelIiLb1ELb1ELb0ELi32EPK19rocblas_complex_numIdES3_PS1_EvbiT_T4_T5_S5_lS7_S5_lT6_S5_li.numbered_sgpr, 28
	.set _ZL26rocblas_syr2k_her2k_kernelIiLb1ELb1ELb0ELi32EPK19rocblas_complex_numIdES3_PS1_EvbiT_T4_T5_S5_lS7_S5_lT6_S5_li.num_named_barrier, 0
	.set _ZL26rocblas_syr2k_her2k_kernelIiLb1ELb1ELb0ELi32EPK19rocblas_complex_numIdES3_PS1_EvbiT_T4_T5_S5_lS7_S5_lT6_S5_li.private_seg_size, 0
	.set _ZL26rocblas_syr2k_her2k_kernelIiLb1ELb1ELb0ELi32EPK19rocblas_complex_numIdES3_PS1_EvbiT_T4_T5_S5_lS7_S5_lT6_S5_li.uses_vcc, 1
	.set _ZL26rocblas_syr2k_her2k_kernelIiLb1ELb1ELb0ELi32EPK19rocblas_complex_numIdES3_PS1_EvbiT_T4_T5_S5_lS7_S5_lT6_S5_li.uses_flat_scratch, 0
	.set _ZL26rocblas_syr2k_her2k_kernelIiLb1ELb1ELb0ELi32EPK19rocblas_complex_numIdES3_PS1_EvbiT_T4_T5_S5_lS7_S5_lT6_S5_li.has_dyn_sized_stack, 0
	.set _ZL26rocblas_syr2k_her2k_kernelIiLb1ELb1ELb0ELi32EPK19rocblas_complex_numIdES3_PS1_EvbiT_T4_T5_S5_lS7_S5_lT6_S5_li.has_recursion, 0
	.set _ZL26rocblas_syr2k_her2k_kernelIiLb1ELb1ELb0ELi32EPK19rocblas_complex_numIdES3_PS1_EvbiT_T4_T5_S5_lS7_S5_lT6_S5_li.has_indirect_call, 0
	.section	.AMDGPU.csdata,"",@progbits
; Kernel info:
; codeLenInByte = 5408
; TotalNumSgprs: 32
; NumVgprs: 64
; ScratchSize: 0
; MemoryBound: 1
; FloatMode: 240
; IeeeMode: 1
; LDSByteSize: 32768 bytes/workgroup (compile time only)
; SGPRBlocks: 8
; VGPRBlocks: 15
; NumSGPRsForWavesPerEU: 65
; NumVGPRsForWavesPerEU: 64
; Occupancy: 4
; WaveLimiterHint : 0
; COMPUTE_PGM_RSRC2:SCRATCH_EN: 0
; COMPUTE_PGM_RSRC2:USER_SGPR: 6
; COMPUTE_PGM_RSRC2:TRAP_HANDLER: 0
; COMPUTE_PGM_RSRC2:TGID_X_EN: 1
; COMPUTE_PGM_RSRC2:TGID_Y_EN: 1
; COMPUTE_PGM_RSRC2:TGID_Z_EN: 1
; COMPUTE_PGM_RSRC2:TIDIG_COMP_CNT: 1
	.section	.text._ZL26rocblas_syr2k_her2k_kernelIiLb1ELb1ELb1ELi32EPK19rocblas_complex_numIdES3_PS1_EvbiT_T4_T5_S5_lS7_S5_lT6_S5_li,"axG",@progbits,_ZL26rocblas_syr2k_her2k_kernelIiLb1ELb1ELb1ELi32EPK19rocblas_complex_numIdES3_PS1_EvbiT_T4_T5_S5_lS7_S5_lT6_S5_li,comdat
	.globl	_ZL26rocblas_syr2k_her2k_kernelIiLb1ELb1ELb1ELi32EPK19rocblas_complex_numIdES3_PS1_EvbiT_T4_T5_S5_lS7_S5_lT6_S5_li ; -- Begin function _ZL26rocblas_syr2k_her2k_kernelIiLb1ELb1ELb1ELi32EPK19rocblas_complex_numIdES3_PS1_EvbiT_T4_T5_S5_lS7_S5_lT6_S5_li
	.p2align	8
	.type	_ZL26rocblas_syr2k_her2k_kernelIiLb1ELb1ELb1ELi32EPK19rocblas_complex_numIdES3_PS1_EvbiT_T4_T5_S5_lS7_S5_lT6_S5_li,@function
_ZL26rocblas_syr2k_her2k_kernelIiLb1ELb1ELb1ELi32EPK19rocblas_complex_numIdES3_PS1_EvbiT_T4_T5_S5_lS7_S5_lT6_S5_li: ; @_ZL26rocblas_syr2k_her2k_kernelIiLb1ELb1ELb1ELi32EPK19rocblas_complex_numIdES3_PS1_EvbiT_T4_T5_S5_lS7_S5_lT6_S5_li
; %bb.0:
	s_load_dwordx4 s[0:3], s[4:5], 0x10
	s_waitcnt lgkmcnt(0)
	s_load_dwordx4 s[12:15], s[0:1], 0x0
	s_waitcnt lgkmcnt(0)
	v_cmp_eq_f64_e64 s[0:1], s[12:13], 0
	v_cmp_eq_f64_e64 s[10:11], s[14:15], 0
	s_and_b64 s[0:1], s[0:1], s[10:11]
	s_and_b64 vcc, exec, s[0:1]
	s_cbranch_vccnz .LBB1935_17
; %bb.1:
	s_load_dwordx4 s[16:19], s[4:5], 0x0
	s_lshl_b32 s0, s7, 5
	s_lshl_b32 s1, s6, 5
	s_waitcnt lgkmcnt(0)
	s_and_b32 s6, 1, s16
	s_cmp_eq_u32 s6, 1
	s_cselect_b64 vcc, -1, 0
	s_and_b64 s[6:7], vcc, exec
	s_cselect_b32 s6, s1, s0
	s_cselect_b32 s7, s0, s1
	s_cmp_gt_i32 s6, s7
	s_cbranch_scc1 .LBB1935_17
; %bb.2:
	s_cmp_lt_i32 s18, 1
	s_cbranch_scc1 .LBB1935_17
; %bb.3:
	v_add_u32_e32 v2, s1, v0
	s_load_dword s9, s[4:5], 0x20
	s_load_dwordx4 s[20:23], s[4:5], 0x28
	s_load_dword s10, s[4:5], 0x38
	s_load_dwordx4 s[24:27], s[4:5], 0x40
	s_load_dword s11, s[4:5], 0x50
	s_load_dwordx2 s[6:7], s[4:5], 0x58
	v_add_u32_e32 v7, s0, v1
	s_waitcnt lgkmcnt(0)
	v_mad_i64_i32 v[4:5], s[0:1], s9, v2, 0
	s_mul_i32 s4, s21, s8
	s_mul_hi_u32 s5, s20, s8
	s_add_i32 s5, s5, s4
	s_mul_i32 s4, s20, s8
	s_lshl_b64 s[4:5], s[4:5], 4
	s_add_u32 s16, s2, s4
	v_lshlrev_b64 v[4:5], 4, v[4:5]
	s_addc_u32 s19, s3, s5
	s_mul_i32 s2, s25, s8
	s_mul_hi_u32 s3, s24, s8
	s_add_i32 s3, s3, s2
	s_mul_i32 s2, s24, s8
	v_mov_b32_e32 v9, s19
	v_add_co_u32_e64 v36, s[0:1], s16, v4
	s_lshl_b64 s[2:3], s[2:3], 4
	v_addc_co_u32_e64 v37, s[0:1], v9, v5, s[0:1]
	v_mad_i64_i32 v[4:5], s[0:1], s10, v7, 0
	s_add_u32 s20, s22, s2
	s_addc_u32 s21, s23, s3
	s_mul_i32 s2, s7, s8
	s_mul_hi_u32 s3, s6, s8
	s_add_i32 s3, s3, s2
	s_mul_i32 s2, s6, s8
	s_lshl_b64 s[2:3], s[2:3], 4
	v_lshlrev_b64 v[4:5], 4, v[4:5]
	s_add_u32 s6, s26, s2
	s_addc_u32 s7, s27, s3
	v_mov_b32_e32 v10, s21
	v_add_co_u32_e64 v40, s[2:3], s20, v4
	v_addc_co_u32_e64 v41, s[2:3], v10, v5, s[2:3]
	v_mad_i64_i32 v[4:5], s[2:3], s11, v7, 0
	v_cndmask_b32_e32 v6, v2, v7, vcc
	v_cndmask_b32_e32 v8, v7, v2, vcc
	v_cmp_gt_i32_e32 vcc, s17, v2
	v_cmp_gt_i32_e64 s[0:1], s17, v7
	v_lshlrev_b64 v[4:5], 4, v[4:5]
	v_cmp_le_i32_e64 s[2:3], v8, v6
	s_and_b64 s[4:5], s[0:1], vcc
	v_lshlrev_b32_e32 v38, 9, v0
	v_lshlrev_b32_e32 v9, 4, v1
	s_and_b64 s[4:5], s[4:5], s[2:3]
	v_mov_b32_e32 v6, s7
	v_add_co_u32_e64 v8, s[2:3], s6, v4
	v_ashrrev_i32_e32 v3, 31, v2
	v_add_u32_e32 v39, v38, v9
	v_or_b32_e32 v42, 0x4000, v9
	v_addc_co_u32_e64 v9, s[2:3], v6, v5, s[2:3]
	v_mad_i64_i32 v[5:6], s[2:3], s10, v2, 0
	v_lshlrev_b64 v[3:4], 4, v[2:3]
	v_add_u32_e32 v43, v42, v38
	v_add_co_u32_e64 v34, s[2:3], v8, v3
	v_addc_co_u32_e64 v35, s[2:3], v9, v4, s[2:3]
	v_lshlrev_b64 v[2:3], 4, v[5:6]
	v_mad_i64_i32 v[4:5], s[2:3], s9, v7, 0
	v_mov_b32_e32 v6, s21
	v_add_co_u32_e64 v44, s[2:3], s20, v2
	v_addc_co_u32_e64 v45, s[2:3], v6, v3, s[2:3]
	v_lshlrev_b64 v[2:3], 4, v[4:5]
	v_mov_b32_e32 v4, s19
	v_add_co_u32_e64 v46, s[2:3], s16, v2
	v_addc_co_u32_e64 v47, s[2:3], v4, v3, s[2:3]
	s_mov_b32 s16, 0
	s_branch .LBB1935_5
.LBB1935_4:                             ;   in Loop: Header=BB1935_5 Depth=1
	s_or_b64 exec, exec, s[2:3]
	s_add_i32 s16, s16, 32
	s_cmp_lt_i32 s16, s18
	s_waitcnt vmcnt(0)
	s_barrier
	s_cbranch_scc0 .LBB1935_17
.LBB1935_5:                             ; =>This Inner Loop Header: Depth=1
	v_add_u32_e32 v10, s16, v1
	v_cmp_gt_i32_e64 s[2:3], s18, v10
	v_mov_b32_e32 v2, 0
	v_mov_b32_e32 v4, 0
	;; [unrolled: 1-line block ×6, first 2 shown]
	s_and_b64 s[6:7], vcc, s[2:3]
	s_and_saveexec_b64 s[8:9], s[6:7]
	s_cbranch_execz .LBB1935_7
; %bb.6:                                ;   in Loop: Header=BB1935_5 Depth=1
	v_ashrrev_i32_e32 v11, 31, v10
	v_lshlrev_b64 v[4:5], 4, v[10:11]
	v_add_co_u32_e64 v4, s[2:3], v36, v4
	v_addc_co_u32_e64 v5, s[2:3], v37, v5, s[2:3]
	global_load_dwordx4 v[4:7], v[4:5], off
	s_waitcnt vmcnt(0)
	v_xor_b32_e32 v7, 0x80000000, v7
.LBB1935_7:                             ;   in Loop: Header=BB1935_5 Depth=1
	s_or_b64 exec, exec, s[8:9]
	v_add_u32_e32 v12, s16, v0
	ds_write_b128 v39, v[4:7]
	v_cmp_gt_i32_e64 s[2:3], s18, v12
	v_mov_b32_e32 v4, 0
	v_mov_b32_e32 v5, 0
	s_and_b64 s[8:9], s[0:1], s[2:3]
	s_and_saveexec_b64 s[10:11], s[8:9]
	s_cbranch_execz .LBB1935_9
; %bb.8:                                ;   in Loop: Header=BB1935_5 Depth=1
	v_ashrrev_i32_e32 v13, 31, v12
	v_lshlrev_b64 v[2:3], 4, v[12:13]
	v_add_co_u32_e64 v2, s[2:3], v40, v2
	v_addc_co_u32_e64 v3, s[2:3], v41, v3, s[2:3]
	global_load_dwordx4 v[2:5], v[2:3], off
.LBB1935_9:                             ;   in Loop: Header=BB1935_5 Depth=1
	s_or_b64 exec, exec, s[10:11]
	s_waitcnt vmcnt(0)
	ds_write_b128 v43, v[2:5]
	s_waitcnt lgkmcnt(0)
	s_barrier
	s_and_saveexec_b64 s[2:3], s[4:5]
	s_cbranch_execz .LBB1935_11
; %bb.10:                               ;   in Loop: Header=BB1935_5 Depth=1
	ds_read_b128 v[6:9], v42
	ds_read_b128 v[13:16], v38
	ds_read_b128 v[17:20], v38 offset:16
	ds_read_b128 v[21:24], v38 offset:32
	;; [unrolled: 1-line block ×3, first 2 shown]
	s_waitcnt lgkmcnt(3)
	v_mul_f64 v[25:26], v[8:9], v[15:16]
	v_fma_f64 v[25:26], v[6:7], v[13:14], -v[25:26]
	v_mul_f64 v[6:7], v[6:7], v[15:16]
	v_fma_f64 v[6:7], v[8:9], v[13:14], v[6:7]
	v_add_f64 v[13:14], v[25:26], 0
	v_add_f64 v[15:16], v[6:7], 0
	ds_read_b128 v[6:9], v42 offset:512
	s_waitcnt lgkmcnt(0)
	v_mul_f64 v[25:26], v[8:9], v[19:20]
	v_fma_f64 v[25:26], v[6:7], v[17:18], -v[25:26]
	v_mul_f64 v[6:7], v[6:7], v[19:20]
	v_add_f64 v[13:14], v[13:14], v[25:26]
	v_fma_f64 v[6:7], v[8:9], v[17:18], v[6:7]
	v_add_f64 v[15:16], v[15:16], v[6:7]
	ds_read_b128 v[6:9], v42 offset:1024
	s_waitcnt lgkmcnt(0)
	v_mul_f64 v[17:18], v[8:9], v[23:24]
	v_fma_f64 v[17:18], v[6:7], v[21:22], -v[17:18]
	v_mul_f64 v[6:7], v[6:7], v[23:24]
	v_add_f64 v[13:14], v[13:14], v[17:18]
	v_fma_f64 v[6:7], v[8:9], v[21:22], v[6:7]
	v_add_f64 v[15:16], v[15:16], v[6:7]
	ds_read_b128 v[6:9], v42 offset:1536
	s_waitcnt lgkmcnt(0)
	v_mul_f64 v[17:18], v[8:9], v[4:5]
	v_mul_f64 v[4:5], v[6:7], v[4:5]
	v_fma_f64 v[17:18], v[6:7], v[2:3], -v[17:18]
	v_fma_f64 v[2:3], v[8:9], v[2:3], v[4:5]
	v_add_f64 v[13:14], v[13:14], v[17:18]
	v_add_f64 v[15:16], v[15:16], v[2:3]
	ds_read_b128 v[2:5], v42 offset:2048
	ds_read_b128 v[6:9], v38 offset:64
	s_waitcnt lgkmcnt(0)
	v_mul_f64 v[17:18], v[4:5], v[8:9]
	v_fma_f64 v[17:18], v[2:3], v[6:7], -v[17:18]
	v_mul_f64 v[2:3], v[2:3], v[8:9]
	v_add_f64 v[13:14], v[13:14], v[17:18]
	v_fma_f64 v[2:3], v[4:5], v[6:7], v[2:3]
	v_add_f64 v[15:16], v[15:16], v[2:3]
	ds_read_b128 v[2:5], v42 offset:2560
	ds_read_b128 v[6:9], v38 offset:80
	s_waitcnt lgkmcnt(0)
	v_mul_f64 v[17:18], v[4:5], v[8:9]
	v_fma_f64 v[17:18], v[2:3], v[6:7], -v[17:18]
	v_mul_f64 v[2:3], v[2:3], v[8:9]
	v_add_f64 v[13:14], v[13:14], v[17:18]
	v_fma_f64 v[2:3], v[4:5], v[6:7], v[2:3]
	;; [unrolled: 9-line block ×27, first 2 shown]
	v_add_f64 v[15:16], v[15:16], v[2:3]
	ds_read_b128 v[2:5], v42 offset:15872
	ds_read_b128 v[6:9], v38 offset:496
	s_waitcnt lgkmcnt(0)
	v_mul_f64 v[17:18], v[4:5], v[8:9]
	v_fma_f64 v[17:18], v[2:3], v[6:7], -v[17:18]
	v_mul_f64 v[2:3], v[2:3], v[8:9]
	v_fma_f64 v[2:3], v[4:5], v[6:7], v[2:3]
	v_add_f64 v[4:5], v[13:14], v[17:18]
	v_add_f64 v[2:3], v[15:16], v[2:3]
	v_mul_f64 v[6:7], s[14:15], v[2:3]
	v_mul_f64 v[2:3], s[12:13], v[2:3]
	v_fma_f64 v[6:7], s[12:13], v[4:5], -v[6:7]
	v_fma_f64 v[8:9], s[14:15], v[4:5], v[2:3]
	global_load_dwordx4 v[2:5], v[34:35], off
	s_waitcnt vmcnt(0)
	v_add_f64 v[2:3], v[2:3], v[6:7]
	v_add_f64 v[4:5], v[4:5], v[8:9]
	global_store_dwordx4 v[34:35], v[2:5], off
.LBB1935_11:                            ;   in Loop: Header=BB1935_5 Depth=1
	s_or_b64 exec, exec, s[2:3]
	v_mov_b32_e32 v4, 0
	v_mov_b32_e32 v8, 0
	;; [unrolled: 1-line block ×6, first 2 shown]
	s_waitcnt vmcnt(0)
	s_barrier
	s_and_saveexec_b64 s[10:11], s[6:7]
	s_cbranch_execz .LBB1935_13
; %bb.12:                               ;   in Loop: Header=BB1935_5 Depth=1
	v_ashrrev_i32_e32 v11, 31, v10
	v_lshlrev_b64 v[2:3], 4, v[10:11]
	v_add_co_u32_e64 v2, s[2:3], v44, v2
	v_addc_co_u32_e64 v3, s[2:3], v45, v3, s[2:3]
	global_load_dwordx4 v[6:9], v[2:3], off
	s_waitcnt vmcnt(0)
	v_xor_b32_e32 v9, 0x80000000, v9
.LBB1935_13:                            ;   in Loop: Header=BB1935_5 Depth=1
	s_or_b64 exec, exec, s[10:11]
	v_mov_b32_e32 v2, 0
	v_mov_b32_e32 v3, 0
	ds_write_b128 v39, v[6:9]
	s_and_saveexec_b64 s[6:7], s[8:9]
	s_cbranch_execz .LBB1935_15
; %bb.14:                               ;   in Loop: Header=BB1935_5 Depth=1
	v_ashrrev_i32_e32 v13, 31, v12
	v_lshlrev_b64 v[2:3], 4, v[12:13]
	v_add_co_u32_e64 v2, s[2:3], v46, v2
	v_addc_co_u32_e64 v3, s[2:3], v47, v3, s[2:3]
	global_load_dwordx4 v[2:5], v[2:3], off
.LBB1935_15:                            ;   in Loop: Header=BB1935_5 Depth=1
	s_or_b64 exec, exec, s[6:7]
	s_waitcnt vmcnt(0)
	ds_write_b128 v43, v[2:5]
	s_waitcnt lgkmcnt(0)
	s_barrier
	s_and_saveexec_b64 s[2:3], s[4:5]
	s_cbranch_execz .LBB1935_4
; %bb.16:                               ;   in Loop: Header=BB1935_5 Depth=1
	ds_read_b128 v[4:7], v42
	ds_read_b128 v[8:11], v38
	ds_read_b128 v[12:15], v38 offset:16
	ds_read_b128 v[16:19], v42 offset:512
	;; [unrolled: 1-line block ×3, first 2 shown]
	s_waitcnt lgkmcnt(3)
	v_mul_f64 v[2:3], v[6:7], v[10:11]
	v_mul_f64 v[10:11], v[4:5], v[10:11]
	s_waitcnt lgkmcnt(1)
	v_mul_f64 v[32:33], v[18:19], v[14:15]
	v_mul_f64 v[54:55], v[16:17], v[14:15]
	v_fma_f64 v[52:53], v[4:5], v[8:9], -v[2:3]
	ds_read_b128 v[24:27], v38 offset:32
	ds_read_b128 v[2:5], v38 offset:48
	;; [unrolled: 1-line block ×4, first 2 shown]
	v_fma_f64 v[10:11], v[6:7], v[8:9], v[10:11]
	s_waitcnt lgkmcnt(3)
	v_mul_f64 v[56:57], v[22:23], v[26:27]
	v_fma_f64 v[32:33], v[16:17], v[12:13], -v[32:33]
	v_mul_f64 v[26:27], v[20:21], v[26:27]
	s_waitcnt lgkmcnt(1)
	v_mul_f64 v[58:59], v[30:31], v[4:5]
	v_fma_f64 v[54:55], v[18:19], v[12:13], v[54:55]
	v_add_f64 v[52:53], v[52:53], 0
	ds_read_b128 v[6:9], v42 offset:2048
	ds_read_b128 v[14:17], v42 offset:2560
	v_add_f64 v[60:61], v[10:11], 0
	v_fma_f64 v[56:57], v[20:21], v[24:25], -v[56:57]
	v_mul_f64 v[4:5], v[28:29], v[4:5]
	v_fma_f64 v[62:63], v[22:23], v[24:25], v[26:27]
	v_fma_f64 v[58:59], v[28:29], v[2:3], -v[58:59]
	ds_read_b128 v[10:13], v38 offset:80
	ds_read_b128 v[18:21], v38 offset:96
	v_add_f64 v[32:33], v[52:53], v[32:33]
	s_waitcnt lgkmcnt(3)
	v_mul_f64 v[52:53], v[8:9], v[50:51]
	v_add_f64 v[54:55], v[60:61], v[54:55]
	v_mul_f64 v[50:51], v[6:7], v[50:51]
	v_fma_f64 v[60:61], v[30:31], v[2:3], v[4:5]
	ds_read_b128 v[22:25], v42 offset:3072
	ds_read_b128 v[26:29], v42 offset:3584
	v_add_f64 v[32:33], v[32:33], v[56:57]
	s_waitcnt lgkmcnt(3)
	v_mul_f64 v[56:57], v[16:17], v[12:13]
	v_fma_f64 v[6:7], v[6:7], v[48:49], -v[52:53]
	v_add_f64 v[52:53], v[54:55], v[62:63]
	s_waitcnt lgkmcnt(1)
	v_mul_f64 v[62:63], v[24:25], v[20:21]
	v_fma_f64 v[48:49], v[8:9], v[48:49], v[50:51]
	v_add_f64 v[54:55], v[32:33], v[58:59]
	v_mul_f64 v[58:59], v[14:15], v[12:13]
	v_fma_f64 v[50:51], v[14:15], v[10:11], -v[56:57]
	v_add_f64 v[52:53], v[52:53], v[60:61]
	ds_read_b128 v[2:5], v38 offset:112
	ds_read_b128 v[30:33], v38 offset:128
	v_mul_f64 v[56:57], v[22:23], v[20:21]
	s_waitcnt lgkmcnt(1)
	v_mul_f64 v[60:61], v[28:29], v[4:5]
	v_add_f64 v[54:55], v[54:55], v[6:7]
	v_fma_f64 v[10:11], v[16:17], v[10:11], v[58:59]
	v_fma_f64 v[16:17], v[22:23], v[18:19], -v[62:63]
	v_add_f64 v[52:53], v[52:53], v[48:49]
	ds_read_b128 v[6:9], v42 offset:4096
	ds_read_b128 v[12:15], v42 offset:4608
	v_mul_f64 v[4:5], v[26:27], v[4:5]
	v_fma_f64 v[56:57], v[24:25], v[18:19], v[56:57]
	v_fma_f64 v[60:61], v[26:27], v[2:3], -v[60:61]
	v_add_f64 v[54:55], v[54:55], v[50:51]
	s_waitcnt lgkmcnt(1)
	v_mul_f64 v[58:59], v[8:9], v[32:33]
	ds_read_b128 v[20:23], v38 offset:144
	ds_read_b128 v[48:51], v38 offset:160
	v_add_f64 v[10:11], v[52:53], v[10:11]
	v_mul_f64 v[32:33], v[6:7], v[32:33]
	v_fma_f64 v[28:29], v[28:29], v[2:3], v[4:5]
	s_waitcnt lgkmcnt(1)
	v_mul_f64 v[62:63], v[14:15], v[22:23]
	v_mul_f64 v[22:23], v[12:13], v[22:23]
	v_add_f64 v[52:53], v[54:55], v[16:17]
	v_fma_f64 v[6:7], v[6:7], v[30:31], -v[58:59]
	ds_read_b128 v[16:19], v42 offset:5120
	ds_read_b128 v[24:27], v42 offset:5632
	v_add_f64 v[10:11], v[10:11], v[56:57]
	v_fma_f64 v[30:31], v[8:9], v[30:31], v[32:33]
	s_waitcnt lgkmcnt(1)
	v_mul_f64 v[58:59], v[18:19], v[50:51]
	v_fma_f64 v[32:33], v[12:13], v[20:21], -v[62:63]
	v_add_f64 v[56:57], v[52:53], v[60:61]
	ds_read_b128 v[2:5], v38 offset:176
	ds_read_b128 v[52:55], v38 offset:192
	v_mul_f64 v[50:51], v[16:17], v[50:51]
	v_add_f64 v[28:29], v[10:11], v[28:29]
	v_fma_f64 v[62:63], v[14:15], v[20:21], v[22:23]
	s_waitcnt lgkmcnt(1)
	v_mul_f64 v[60:61], v[26:27], v[4:5]
	v_fma_f64 v[58:59], v[16:17], v[48:49], -v[58:59]
	v_mul_f64 v[4:5], v[24:25], v[4:5]
	v_add_f64 v[56:57], v[56:57], v[6:7]
	ds_read_b128 v[6:9], v42 offset:6144
	ds_read_b128 v[10:13], v42 offset:6656
	v_fma_f64 v[18:19], v[18:19], v[48:49], v[50:51]
	v_add_f64 v[28:29], v[28:29], v[30:31]
	ds_read_b128 v[14:17], v38 offset:208
	ds_read_b128 v[20:23], v38 offset:224
	v_fma_f64 v[24:25], v[24:25], v[2:3], -v[60:61]
	s_waitcnt lgkmcnt(1)
	v_mul_f64 v[60:61], v[12:13], v[16:17]
	v_add_f64 v[30:31], v[56:57], v[32:33]
	v_mul_f64 v[32:33], v[8:9], v[54:55]
	v_add_f64 v[56:57], v[28:29], v[62:63]
	v_mul_f64 v[54:55], v[6:7], v[54:55]
	v_fma_f64 v[62:63], v[26:27], v[2:3], v[4:5]
	v_add_f64 v[58:59], v[30:31], v[58:59]
	v_fma_f64 v[6:7], v[6:7], v[52:53], -v[32:33]
	v_add_f64 v[18:19], v[56:57], v[18:19]
	ds_read_b128 v[28:31], v42 offset:7168
	ds_read_b128 v[48:51], v42 offset:7680
	v_mul_f64 v[56:57], v[10:11], v[16:17]
	v_fma_f64 v[52:53], v[8:9], v[52:53], v[54:55]
	v_fma_f64 v[10:11], v[10:11], v[14:15], -v[60:61]
	v_add_f64 v[32:33], v[58:59], v[24:25]
	s_waitcnt lgkmcnt(1)
	v_mul_f64 v[58:59], v[30:31], v[22:23]
	v_add_f64 v[54:55], v[18:19], v[62:63]
	ds_read_b128 v[2:5], v38 offset:240
	ds_read_b128 v[24:27], v38 offset:256
	v_mul_f64 v[22:23], v[28:29], v[22:23]
	v_fma_f64 v[14:15], v[12:13], v[14:15], v[56:57]
	s_waitcnt lgkmcnt(1)
	v_mul_f64 v[60:61], v[50:51], v[4:5]
	v_add_f64 v[32:33], v[32:33], v[6:7]
	v_fma_f64 v[28:29], v[28:29], v[20:21], -v[58:59]
	v_add_f64 v[56:57], v[54:55], v[52:53]
	ds_read_b128 v[6:9], v42 offset:8192
	ds_read_b128 v[16:19], v42 offset:8704
	v_mul_f64 v[4:5], v[48:49], v[4:5]
	v_fma_f64 v[62:63], v[30:31], v[20:21], v[22:23]
	s_waitcnt lgkmcnt(1)
	v_mul_f64 v[58:59], v[8:9], v[26:27]
	v_add_f64 v[32:33], v[32:33], v[10:11]
	v_fma_f64 v[48:49], v[48:49], v[2:3], -v[60:61]
	;; [unrolled: 9-line block ×9, first 2 shown]
	v_add_f64 v[48:49], v[56:57], v[48:49]
	ds_read_b128 v[10:13], v42 offset:12288
	ds_read_b128 v[6:9], v42 offset:12800
	v_mul_f64 v[32:33], v[52:53], v[32:33]
	v_fma_f64 v[56:57], v[22:23], v[24:25], v[26:27]
	ds_read_b128 v[14:17], v38 offset:400
	ds_read_b128 v[18:21], v38 offset:416
	v_fma_f64 v[52:53], v[52:53], v[30:31], -v[58:59]
	v_add_f64 v[28:29], v[28:29], v[50:51]
	s_waitcnt lgkmcnt(3)
	v_mul_f64 v[50:51], v[12:13], v[4:5]
	v_add_f64 v[48:49], v[48:49], v[62:63]
	v_mul_f64 v[4:5], v[10:11], v[4:5]
	v_fma_f64 v[54:55], v[54:55], v[30:31], v[32:33]
	v_add_f64 v[58:59], v[28:29], v[60:61]
	s_waitcnt lgkmcnt(1)
	v_mul_f64 v[60:61], v[8:9], v[16:17]
	v_fma_f64 v[10:11], v[10:11], v[2:3], -v[50:51]
	v_add_f64 v[56:57], v[48:49], v[56:57]
	ds_read_b128 v[26:29], v42 offset:13312
	ds_read_b128 v[22:25], v42 offset:13824
	global_load_dwordx4 v[48:51], v[34:35], off
	v_mul_f64 v[16:17], v[6:7], v[16:17]
	v_fma_f64 v[62:63], v[12:13], v[2:3], v[4:5]
	v_add_f64 v[52:53], v[58:59], v[52:53]
	s_waitcnt lgkmcnt(1)
	v_mul_f64 v[58:59], v[28:29], v[20:21]
	v_fma_f64 v[6:7], v[6:7], v[14:15], -v[60:61]
	v_add_f64 v[54:55], v[56:57], v[54:55]
	ds_read_b128 v[30:33], v38 offset:432
	v_mul_f64 v[20:21], v[26:27], v[20:21]
	v_fma_f64 v[60:61], v[8:9], v[14:15], v[16:17]
	v_add_f64 v[52:53], v[52:53], v[10:11]
	s_waitcnt lgkmcnt(0)
	v_mul_f64 v[56:57], v[24:25], v[32:33]
	v_fma_f64 v[26:27], v[26:27], v[18:19], -v[58:59]
	v_add_f64 v[54:55], v[54:55], v[62:63]
	ds_read_b128 v[2:5], v38 offset:448
	ds_read_b128 v[10:13], v42 offset:14336
	v_mul_f64 v[32:33], v[22:23], v[32:33]
	v_fma_f64 v[62:63], v[28:29], v[18:19], v[20:21]
	v_add_f64 v[52:53], v[52:53], v[6:7]
	s_waitcnt lgkmcnt(0)
	v_mul_f64 v[58:59], v[12:13], v[4:5]
	v_fma_f64 v[22:23], v[22:23], v[30:31], -v[56:57]
	v_add_f64 v[54:55], v[54:55], v[60:61]
	ds_read_b128 v[6:9], v42 offset:14848
	ds_read_b128 v[14:17], v38 offset:464
	v_mul_f64 v[4:5], v[10:11], v[4:5]
	v_fma_f64 v[60:61], v[24:25], v[30:31], v[32:33]
	v_add_f64 v[52:53], v[52:53], v[26:27]
	s_waitcnt lgkmcnt(0)
	v_mul_f64 v[56:57], v[8:9], v[16:17]
	v_fma_f64 v[10:11], v[10:11], v[2:3], -v[58:59]
	v_add_f64 v[54:55], v[54:55], v[62:63]
	ds_read_b128 v[18:21], v38 offset:480
	ds_read_b128 v[26:29], v42 offset:15360
	v_mul_f64 v[16:17], v[6:7], v[16:17]
	v_fma_f64 v[2:3], v[12:13], v[2:3], v[4:5]
	v_add_f64 v[52:53], v[52:53], v[22:23]
	s_waitcnt lgkmcnt(0)
	v_mul_f64 v[58:59], v[28:29], v[20:21]
	v_fma_f64 v[4:5], v[6:7], v[14:15], -v[56:57]
	v_add_f64 v[6:7], v[54:55], v[60:61]
	ds_read_b128 v[22:25], v42 offset:15872
	ds_read_b128 v[30:33], v38 offset:496
	v_mul_f64 v[12:13], v[26:27], v[20:21]
	v_fma_f64 v[8:9], v[8:9], v[14:15], v[16:17]
	v_add_f64 v[10:11], v[52:53], v[10:11]
	s_waitcnt lgkmcnt(0)
	v_mul_f64 v[20:21], v[24:25], v[32:33]
	v_fma_f64 v[14:15], v[26:27], v[18:19], -v[58:59]
	v_add_f64 v[2:3], v[6:7], v[2:3]
	v_mul_f64 v[6:7], v[22:23], v[32:33]
	v_add_f64 v[4:5], v[10:11], v[4:5]
	v_fma_f64 v[10:11], v[28:29], v[18:19], v[12:13]
	v_fma_f64 v[12:13], v[22:23], v[30:31], -v[20:21]
	v_add_f64 v[2:3], v[2:3], v[8:9]
	v_fma_f64 v[6:7], v[24:25], v[30:31], v[6:7]
	v_add_f64 v[4:5], v[4:5], v[14:15]
	v_add_f64 v[2:3], v[2:3], v[10:11]
	;; [unrolled: 1-line block ×4, first 2 shown]
	v_mul_f64 v[6:7], s[12:13], v[4:5]
	v_mul_f64 v[4:5], s[14:15], v[4:5]
	v_fma_f64 v[6:7], s[14:15], v[2:3], v[6:7]
	v_fma_f64 v[4:5], s[12:13], v[2:3], -v[4:5]
	s_waitcnt vmcnt(0)
	v_add_f64 v[2:3], v[48:49], v[6:7]
	v_add_f64 v[4:5], v[50:51], v[4:5]
	global_store_dwordx4 v[34:35], v[2:5], off
	s_branch .LBB1935_4
.LBB1935_17:
	s_endpgm
	.section	.rodata,"a",@progbits
	.p2align	6, 0x0
	.amdhsa_kernel _ZL26rocblas_syr2k_her2k_kernelIiLb1ELb1ELb1ELi32EPK19rocblas_complex_numIdES3_PS1_EvbiT_T4_T5_S5_lS7_S5_lT6_S5_li
		.amdhsa_group_segment_fixed_size 32768
		.amdhsa_private_segment_fixed_size 0
		.amdhsa_kernarg_size 100
		.amdhsa_user_sgpr_count 6
		.amdhsa_user_sgpr_private_segment_buffer 1
		.amdhsa_user_sgpr_dispatch_ptr 0
		.amdhsa_user_sgpr_queue_ptr 0
		.amdhsa_user_sgpr_kernarg_segment_ptr 1
		.amdhsa_user_sgpr_dispatch_id 0
		.amdhsa_user_sgpr_flat_scratch_init 0
		.amdhsa_user_sgpr_private_segment_size 0
		.amdhsa_uses_dynamic_stack 0
		.amdhsa_system_sgpr_private_segment_wavefront_offset 0
		.amdhsa_system_sgpr_workgroup_id_x 1
		.amdhsa_system_sgpr_workgroup_id_y 1
		.amdhsa_system_sgpr_workgroup_id_z 1
		.amdhsa_system_sgpr_workgroup_info 0
		.amdhsa_system_vgpr_workitem_id 1
		.amdhsa_next_free_vgpr 64
		.amdhsa_next_free_sgpr 61
		.amdhsa_reserve_vcc 1
		.amdhsa_reserve_flat_scratch 0
		.amdhsa_float_round_mode_32 0
		.amdhsa_float_round_mode_16_64 0
		.amdhsa_float_denorm_mode_32 3
		.amdhsa_float_denorm_mode_16_64 3
		.amdhsa_dx10_clamp 1
		.amdhsa_ieee_mode 1
		.amdhsa_fp16_overflow 0
		.amdhsa_exception_fp_ieee_invalid_op 0
		.amdhsa_exception_fp_denorm_src 0
		.amdhsa_exception_fp_ieee_div_zero 0
		.amdhsa_exception_fp_ieee_overflow 0
		.amdhsa_exception_fp_ieee_underflow 0
		.amdhsa_exception_fp_ieee_inexact 0
		.amdhsa_exception_int_div_zero 0
	.end_amdhsa_kernel
	.section	.text._ZL26rocblas_syr2k_her2k_kernelIiLb1ELb1ELb1ELi32EPK19rocblas_complex_numIdES3_PS1_EvbiT_T4_T5_S5_lS7_S5_lT6_S5_li,"axG",@progbits,_ZL26rocblas_syr2k_her2k_kernelIiLb1ELb1ELb1ELi32EPK19rocblas_complex_numIdES3_PS1_EvbiT_T4_T5_S5_lS7_S5_lT6_S5_li,comdat
.Lfunc_end1935:
	.size	_ZL26rocblas_syr2k_her2k_kernelIiLb1ELb1ELb1ELi32EPK19rocblas_complex_numIdES3_PS1_EvbiT_T4_T5_S5_lS7_S5_lT6_S5_li, .Lfunc_end1935-_ZL26rocblas_syr2k_her2k_kernelIiLb1ELb1ELb1ELi32EPK19rocblas_complex_numIdES3_PS1_EvbiT_T4_T5_S5_lS7_S5_lT6_S5_li
                                        ; -- End function
	.set _ZL26rocblas_syr2k_her2k_kernelIiLb1ELb1ELb1ELi32EPK19rocblas_complex_numIdES3_PS1_EvbiT_T4_T5_S5_lS7_S5_lT6_S5_li.num_vgpr, 64
	.set _ZL26rocblas_syr2k_her2k_kernelIiLb1ELb1ELb1ELi32EPK19rocblas_complex_numIdES3_PS1_EvbiT_T4_T5_S5_lS7_S5_lT6_S5_li.num_agpr, 0
	.set _ZL26rocblas_syr2k_her2k_kernelIiLb1ELb1ELb1ELi32EPK19rocblas_complex_numIdES3_PS1_EvbiT_T4_T5_S5_lS7_S5_lT6_S5_li.numbered_sgpr, 28
	.set _ZL26rocblas_syr2k_her2k_kernelIiLb1ELb1ELb1ELi32EPK19rocblas_complex_numIdES3_PS1_EvbiT_T4_T5_S5_lS7_S5_lT6_S5_li.num_named_barrier, 0
	.set _ZL26rocblas_syr2k_her2k_kernelIiLb1ELb1ELb1ELi32EPK19rocblas_complex_numIdES3_PS1_EvbiT_T4_T5_S5_lS7_S5_lT6_S5_li.private_seg_size, 0
	.set _ZL26rocblas_syr2k_her2k_kernelIiLb1ELb1ELb1ELi32EPK19rocblas_complex_numIdES3_PS1_EvbiT_T4_T5_S5_lS7_S5_lT6_S5_li.uses_vcc, 1
	.set _ZL26rocblas_syr2k_her2k_kernelIiLb1ELb1ELb1ELi32EPK19rocblas_complex_numIdES3_PS1_EvbiT_T4_T5_S5_lS7_S5_lT6_S5_li.uses_flat_scratch, 0
	.set _ZL26rocblas_syr2k_her2k_kernelIiLb1ELb1ELb1ELi32EPK19rocblas_complex_numIdES3_PS1_EvbiT_T4_T5_S5_lS7_S5_lT6_S5_li.has_dyn_sized_stack, 0
	.set _ZL26rocblas_syr2k_her2k_kernelIiLb1ELb1ELb1ELi32EPK19rocblas_complex_numIdES3_PS1_EvbiT_T4_T5_S5_lS7_S5_lT6_S5_li.has_recursion, 0
	.set _ZL26rocblas_syr2k_her2k_kernelIiLb1ELb1ELb1ELi32EPK19rocblas_complex_numIdES3_PS1_EvbiT_T4_T5_S5_lS7_S5_lT6_S5_li.has_indirect_call, 0
	.section	.AMDGPU.csdata,"",@progbits
; Kernel info:
; codeLenInByte = 5444
; TotalNumSgprs: 32
; NumVgprs: 64
; ScratchSize: 0
; MemoryBound: 1
; FloatMode: 240
; IeeeMode: 1
; LDSByteSize: 32768 bytes/workgroup (compile time only)
; SGPRBlocks: 8
; VGPRBlocks: 15
; NumSGPRsForWavesPerEU: 65
; NumVGPRsForWavesPerEU: 64
; Occupancy: 4
; WaveLimiterHint : 0
; COMPUTE_PGM_RSRC2:SCRATCH_EN: 0
; COMPUTE_PGM_RSRC2:USER_SGPR: 6
; COMPUTE_PGM_RSRC2:TRAP_HANDLER: 0
; COMPUTE_PGM_RSRC2:TGID_X_EN: 1
; COMPUTE_PGM_RSRC2:TGID_Y_EN: 1
; COMPUTE_PGM_RSRC2:TGID_Z_EN: 1
; COMPUTE_PGM_RSRC2:TIDIG_COMP_CNT: 1
	.section	.text._ZL26rocblas_syr2k_her2k_kernelIiLb1ELb1ELb0ELi32E19rocblas_complex_numIfEPKPKS1_PKPS1_EvbiT_T4_T5_S9_lSB_S9_lT6_S9_li,"axG",@progbits,_ZL26rocblas_syr2k_her2k_kernelIiLb1ELb1ELb0ELi32E19rocblas_complex_numIfEPKPKS1_PKPS1_EvbiT_T4_T5_S9_lSB_S9_lT6_S9_li,comdat
	.globl	_ZL26rocblas_syr2k_her2k_kernelIiLb1ELb1ELb0ELi32E19rocblas_complex_numIfEPKPKS1_PKPS1_EvbiT_T4_T5_S9_lSB_S9_lT6_S9_li ; -- Begin function _ZL26rocblas_syr2k_her2k_kernelIiLb1ELb1ELb0ELi32E19rocblas_complex_numIfEPKPKS1_PKPS1_EvbiT_T4_T5_S9_lSB_S9_lT6_S9_li
	.p2align	8
	.type	_ZL26rocblas_syr2k_her2k_kernelIiLb1ELb1ELb0ELi32E19rocblas_complex_numIfEPKPKS1_PKPS1_EvbiT_T4_T5_S9_lSB_S9_lT6_S9_li,@function
_ZL26rocblas_syr2k_her2k_kernelIiLb1ELb1ELb0ELi32E19rocblas_complex_numIfEPKPKS1_PKPS1_EvbiT_T4_T5_S9_lSB_S9_lT6_S9_li: ; @_ZL26rocblas_syr2k_her2k_kernelIiLb1ELb1ELb0ELi32E19rocblas_complex_numIfEPKPKS1_PKPS1_EvbiT_T4_T5_S9_lSB_S9_lT6_S9_li
; %bb.0:
	s_load_dwordx4 s[12:15], s[4:5], 0x0
	s_load_dword s16, s[4:5], 0x10
	s_waitcnt lgkmcnt(0)
	v_cmp_eq_f32_e64 s[0:1], s15, 0
	v_cmp_eq_f32_e64 s[2:3], s16, 0
	s_and_b64 s[0:1], s[0:1], s[2:3]
	s_and_b64 vcc, exec, s[0:1]
	s_cbranch_vccnz .LBB1936_17
; %bb.1:
	s_and_b32 s2, 1, s12
	s_lshl_b32 s0, s7, 5
	s_lshl_b32 s1, s6, 5
	s_cmp_eq_u32 s2, 1
	s_cselect_b64 vcc, -1, 0
	s_and_b64 s[2:3], vcc, exec
	s_cselect_b32 s2, s1, s0
	s_cselect_b32 s3, s0, s1
	s_cmp_gt_i32 s2, s3
	s_cbranch_scc1 .LBB1936_17
; %bb.2:
	s_cmp_lt_i32 s14, 1
	s_cbranch_scc1 .LBB1936_17
; %bb.3:
	s_mov_b32 s9, 0
	s_load_dwordx2 s[2:3], s[4:5], 0x18
	s_load_dword s17, s[4:5], 0x20
	s_load_dwordx4 s[20:23], s[4:5], 0x28
	s_load_dword s18, s[4:5], 0x38
	s_load_dwordx4 s[24:27], s[4:5], 0x40
	s_load_dword s12, s[4:5], 0x50
	s_lshl_b64 s[6:7], s[8:9], 3
	s_waitcnt lgkmcnt(0)
	s_add_u32 s2, s2, s6
	s_addc_u32 s3, s3, s7
	s_load_dwordx2 s[2:3], s[2:3], 0x0
	s_add_u32 s10, s22, s6
	s_addc_u32 s11, s23, s7
	s_add_u32 s6, s26, s6
	s_load_dwordx2 s[10:11], s[10:11], 0x0
	s_addc_u32 s7, s27, s7
	v_add_u32_e32 v3, s1, v0
	s_load_dwordx2 s[22:23], s[6:7], 0x0
	s_load_dwordx2 s[26:27], s[4:5], 0x58
	s_lshl_b64 s[4:5], s[20:21], 3
	v_ashrrev_i32_e32 v4, 31, v3
	s_waitcnt lgkmcnt(0)
	s_add_u32 s6, s2, s4
	v_lshlrev_b64 v[4:5], 3, v[3:4]
	s_addc_u32 s7, s3, s5
	v_add_u32_e32 v2, s0, v1
	s_lshl_b64 s[2:3], s[24:25], 3
	v_cndmask_b32_e32 v8, v3, v2, vcc
	v_cndmask_b32_e32 v9, v2, v3, vcc
	v_cmp_gt_i32_e32 vcc, s13, v3
	v_mov_b32_e32 v3, s7
	v_add_co_u32_e64 v12, s[0:1], s6, v4
	s_add_u32 s8, s10, s2
	v_addc_co_u32_e64 v13, s[0:1], v3, v5, s[0:1]
	v_ashrrev_i32_e32 v3, 31, v2
	s_addc_u32 s10, s11, s3
	s_lshl_b64 s[2:3], s[26:27], 3
	v_lshlrev_b64 v[6:7], 3, v[2:3]
	s_add_u32 s11, s22, s2
	s_addc_u32 s19, s23, s3
	v_mov_b32_e32 v3, s10
	v_add_co_u32_e64 v16, s[2:3], s8, v6
	v_cmp_gt_i32_e64 s[0:1], s13, v2
	v_addc_co_u32_e64 v17, s[2:3], v3, v7, s[2:3]
	v_mad_i64_i32 v[2:3], s[2:3], s12, v2, 0
	v_cmp_le_i32_e64 s[2:3], v9, v8
	s_and_b64 s[4:5], s[0:1], vcc
	v_lshlrev_b64 v[2:3], 3, v[2:3]
	s_and_b64 s[4:5], s[4:5], s[2:3]
	v_mov_b32_e32 v8, s19
	v_add_co_u32_e64 v2, s[2:3], s11, v2
	v_lshlrev_b32_e32 v14, 8, v0
	v_lshlrev_b32_e32 v10, 3, v1
	v_addc_co_u32_e64 v3, s[2:3], v8, v3, s[2:3]
	v_add_u32_e32 v15, v14, v10
	v_or_b32_e32 v18, 0x2000, v10
	v_add_co_u32_e64 v10, s[2:3], v2, v4
	v_addc_co_u32_e64 v11, s[2:3], v3, v5, s[2:3]
	v_mov_b32_e32 v2, s10
	v_add_co_u32_e64 v20, s[2:3], s8, v4
	v_addc_co_u32_e64 v21, s[2:3], v2, v5, s[2:3]
	v_mov_b32_e32 v2, s7
	v_add_co_u32_e64 v22, s[2:3], s6, v6
	v_add_u32_e32 v19, v18, v14
	v_addc_co_u32_e64 v23, s[2:3], v2, v7, s[2:3]
	v_add_u32_e32 v24, 0x800, v18
	v_add_u32_e32 v25, 0x1000, v18
	;; [unrolled: 1-line block ×3, first 2 shown]
	s_branch .LBB1936_5
.LBB1936_4:                             ;   in Loop: Header=BB1936_5 Depth=1
	s_or_b64 exec, exec, s[2:3]
	s_add_i32 s9, s9, 32
	s_cmp_lt_i32 s9, s14
	s_waitcnt vmcnt(0) lgkmcnt(0)
	s_barrier
	s_cbranch_scc0 .LBB1936_17
.LBB1936_5:                             ; =>This Inner Loop Header: Depth=1
	v_add_u32_e32 v27, s9, v1
	v_cmp_gt_i32_e64 s[2:3], s14, v27
	s_and_b64 s[6:7], vcc, s[2:3]
	v_mov_b32_e32 v2, 0
	v_mov_b32_e32 v3, 0
	;; [unrolled: 1-line block ×3, first 2 shown]
	s_and_saveexec_b64 s[10:11], s[6:7]
	s_cbranch_execz .LBB1936_7
; %bb.6:                                ;   in Loop: Header=BB1936_5 Depth=1
	v_mad_i64_i32 v[3:4], s[2:3], v27, s17, 0
	v_lshlrev_b64 v[3:4], 3, v[3:4]
	v_add_co_u32_e64 v3, s[2:3], v12, v3
	v_addc_co_u32_e64 v4, s[2:3], v13, v4, s[2:3]
	flat_load_dwordx2 v[3:4], v[3:4]
.LBB1936_7:                             ;   in Loop: Header=BB1936_5 Depth=1
	s_or_b64 exec, exec, s[10:11]
	v_add_u32_e32 v28, s9, v0
	v_cmp_gt_i32_e64 s[2:3], s14, v28
	s_waitcnt vmcnt(0) lgkmcnt(0)
	ds_write_b64 v15, v[3:4]
	s_and_b64 s[10:11], s[0:1], s[2:3]
	v_mov_b32_e32 v3, 0
	s_and_saveexec_b64 s[12:13], s[10:11]
	s_cbranch_execz .LBB1936_9
; %bb.8:                                ;   in Loop: Header=BB1936_5 Depth=1
	v_mad_i64_i32 v[2:3], s[2:3], v28, s18, 0
	v_lshlrev_b64 v[2:3], 3, v[2:3]
	v_add_co_u32_e64 v2, s[2:3], v16, v2
	v_addc_co_u32_e64 v3, s[2:3], v17, v3, s[2:3]
	flat_load_dwordx2 v[2:3], v[2:3]
	s_waitcnt vmcnt(0) lgkmcnt(0)
	v_xor_b32_e32 v3, 0x80000000, v3
.LBB1936_9:                             ;   in Loop: Header=BB1936_5 Depth=1
	s_or_b64 exec, exec, s[12:13]
	ds_write_b64 v19, v[2:3]
	s_waitcnt lgkmcnt(0)
	s_barrier
	s_and_saveexec_b64 s[2:3], s[4:5]
	s_cbranch_execz .LBB1936_11
; %bb.10:                               ;   in Loop: Header=BB1936_5 Depth=1
	ds_read2_b64 v[2:5], v18 offset1:32
	ds_read_b128 v[6:9], v14
	ds_read_b128 v[29:32], v14 offset:16
	s_waitcnt lgkmcnt(1)
	v_mul_f32_e32 v33, v3, v7
	v_fma_f32 v38, v2, v6, -v33
	ds_read2_b64 v[33:36], v18 offset0:64 offset1:96
	v_mul_f32_e32 v37, v2, v7
	v_mul_f32_e32 v2, v5, v9
	v_fma_f32 v39, v4, v8, -v2
	v_fmac_f32_e32 v37, v3, v6
	s_waitcnt lgkmcnt(0)
	v_mul_f32_e32 v2, v34, v30
	v_mul_f32_e32 v40, v4, v9
	v_fma_f32 v41, v33, v29, -v2
	v_mul_f32_e32 v33, v33, v30
	v_mul_f32_e32 v2, v36, v32
	v_fmac_f32_e32 v40, v5, v8
	v_fmac_f32_e32 v33, v34, v29
	v_fma_f32 v34, v35, v31, -v2
	v_mul_f32_e32 v35, v35, v32
	v_add_f32_e32 v29, 0, v38
	v_add_f32_e32 v30, 0, v37
	v_fmac_f32_e32 v35, v36, v31
	ds_read_b128 v[2:5], v14 offset:32
	ds_read_b128 v[6:9], v14 offset:48
	v_add_f32_e32 v36, v29, v39
	v_add_f32_e32 v37, v30, v40
	ds_read2_b64 v[29:32], v18 offset0:128 offset1:160
	v_add_f32_e32 v33, v37, v33
	v_add_f32_e32 v36, v36, v41
	;; [unrolled: 1-line block ×4, first 2 shown]
	s_waitcnt lgkmcnt(0)
	v_mul_f32_e32 v35, v30, v3
	v_mul_f32_e32 v3, v29, v3
	v_fma_f32 v35, v29, v2, -v35
	v_fmac_f32_e32 v3, v30, v2
	v_add_f32_e32 v2, v34, v35
	v_add_f32_e32 v3, v33, v3
	ds_read2_b64 v[33:36], v18 offset0:192 offset1:224
	v_mul_f32_e32 v29, v32, v5
	v_mul_f32_e32 v5, v31, v5
	v_fma_f32 v29, v31, v4, -v29
	v_fmac_f32_e32 v5, v32, v4
	s_waitcnt lgkmcnt(0)
	v_mul_f32_e32 v4, v34, v7
	v_add_f32_e32 v2, v2, v29
	v_add_f32_e32 v3, v3, v5
	v_fma_f32 v4, v33, v6, -v4
	v_mul_f32_e32 v5, v33, v7
	v_fmac_f32_e32 v5, v34, v6
	v_add_f32_e32 v6, v2, v4
	v_mul_f32_e32 v2, v36, v9
	v_add_f32_e32 v7, v3, v5
	v_fma_f32 v33, v35, v8, -v2
	ds_read_b128 v[2:5], v14 offset:64
	ds_read2_b64 v[29:32], v24 offset1:32
	v_mul_f32_e32 v9, v35, v9
	v_fmac_f32_e32 v9, v36, v8
	v_add_f32_e32 v33, v6, v33
	v_add_f32_e32 v34, v7, v9
	s_waitcnt lgkmcnt(0)
	v_mul_f32_e32 v35, v30, v3
	v_mul_f32_e32 v3, v29, v3
	v_fma_f32 v35, v29, v2, -v35
	v_fmac_f32_e32 v3, v30, v2
	ds_read_b128 v[6:9], v14 offset:80
	v_add_f32_e32 v2, v33, v35
	v_add_f32_e32 v3, v34, v3
	ds_read2_b64 v[33:36], v24 offset0:64 offset1:96
	v_mul_f32_e32 v29, v32, v5
	v_mul_f32_e32 v5, v31, v5
	v_fma_f32 v29, v31, v4, -v29
	v_fmac_f32_e32 v5, v32, v4
	s_waitcnt lgkmcnt(0)
	v_mul_f32_e32 v4, v34, v7
	v_add_f32_e32 v2, v2, v29
	v_add_f32_e32 v3, v3, v5
	v_fma_f32 v4, v33, v6, -v4
	v_mul_f32_e32 v5, v33, v7
	v_fmac_f32_e32 v5, v34, v6
	v_add_f32_e32 v6, v2, v4
	v_mul_f32_e32 v2, v36, v9
	v_add_f32_e32 v7, v3, v5
	v_fma_f32 v33, v35, v8, -v2
	ds_read_b128 v[2:5], v14 offset:96
	ds_read2_b64 v[29:32], v24 offset0:128 offset1:160
	v_mul_f32_e32 v9, v35, v9
	v_fmac_f32_e32 v9, v36, v8
	v_add_f32_e32 v33, v6, v33
	v_add_f32_e32 v34, v7, v9
	s_waitcnt lgkmcnt(0)
	v_mul_f32_e32 v35, v30, v3
	v_mul_f32_e32 v3, v29, v3
	v_fma_f32 v35, v29, v2, -v35
	v_fmac_f32_e32 v3, v30, v2
	ds_read_b128 v[6:9], v14 offset:112
	v_add_f32_e32 v2, v33, v35
	v_add_f32_e32 v3, v34, v3
	ds_read2_b64 v[33:36], v24 offset0:192 offset1:224
	v_mul_f32_e32 v29, v32, v5
	v_mul_f32_e32 v5, v31, v5
	v_fma_f32 v29, v31, v4, -v29
	v_fmac_f32_e32 v5, v32, v4
	s_waitcnt lgkmcnt(0)
	v_mul_f32_e32 v4, v34, v7
	v_add_f32_e32 v2, v2, v29
	v_add_f32_e32 v3, v3, v5
	v_fma_f32 v4, v33, v6, -v4
	v_mul_f32_e32 v5, v33, v7
	v_fmac_f32_e32 v5, v34, v6
	v_add_f32_e32 v6, v2, v4
	v_mul_f32_e32 v2, v36, v9
	v_add_f32_e32 v7, v3, v5
	v_fma_f32 v33, v35, v8, -v2
	ds_read_b128 v[2:5], v14 offset:128
	ds_read2_b64 v[29:32], v25 offset1:32
	v_mul_f32_e32 v9, v35, v9
	v_fmac_f32_e32 v9, v36, v8
	v_add_f32_e32 v6, v6, v33
	ds_read_b128 v[33:36], v14 offset:144
	ds_read2_b64 v[37:40], v25 offset0:64 offset1:96
	s_waitcnt lgkmcnt(2)
	v_mul_f32_e32 v8, v30, v3
	v_fma_f32 v8, v29, v2, -v8
	v_mul_f32_e32 v3, v29, v3
	v_add_f32_e32 v7, v7, v9
	v_fmac_f32_e32 v3, v30, v2
	v_add_f32_e32 v2, v6, v8
	v_mul_f32_e32 v6, v32, v5
	v_mul_f32_e32 v5, v31, v5
	v_add_f32_e32 v3, v7, v3
	v_fma_f32 v6, v31, v4, -v6
	v_fmac_f32_e32 v5, v32, v4
	s_waitcnt lgkmcnt(0)
	v_mul_f32_e32 v4, v38, v34
	v_add_f32_e32 v2, v2, v6
	v_add_f32_e32 v3, v3, v5
	v_fma_f32 v4, v37, v33, -v4
	v_mul_f32_e32 v5, v37, v34
	v_fmac_f32_e32 v5, v38, v33
	v_add_f32_e32 v29, v2, v4
	v_mul_f32_e32 v2, v40, v36
	v_add_f32_e32 v30, v3, v5
	v_fma_f32 v31, v39, v35, -v2
	ds_read_b128 v[2:5], v14 offset:160
	ds_read2_b64 v[6:9], v25 offset0:128 offset1:160
	v_mul_f32_e32 v32, v39, v36
	v_fmac_f32_e32 v32, v40, v35
	v_add_f32_e32 v35, v29, v31
	v_add_f32_e32 v36, v30, v32
	s_waitcnt lgkmcnt(0)
	v_mul_f32_e32 v33, v7, v3
	v_fma_f32 v37, v6, v2, -v33
	flat_load_dwordx2 v[33:34], v[10:11]
	v_mul_f32_e32 v6, v6, v3
	v_fmac_f32_e32 v6, v7, v2
	v_mul_f32_e32 v2, v9, v5
	v_fma_f32 v7, v8, v4, -v2
	v_mul_f32_e32 v8, v8, v5
	ds_read_b128 v[29:32], v14 offset:176
	v_fmac_f32_e32 v8, v9, v4
	ds_read2_b64 v[2:5], v25 offset0:192 offset1:224
	v_add_f32_e32 v6, v36, v6
	v_add_f32_e32 v9, v35, v37
	;; [unrolled: 1-line block ×4, first 2 shown]
	s_waitcnt lgkmcnt(0)
	v_mul_f32_e32 v6, v3, v30
	v_fma_f32 v6, v2, v29, -v6
	v_mul_f32_e32 v30, v2, v30
	v_mul_f32_e32 v2, v5, v32
	;; [unrolled: 1-line block ×3, first 2 shown]
	v_fmac_f32_e32 v30, v3, v29
	v_add_f32_e32 v29, v7, v6
	v_fma_f32 v36, v4, v31, -v2
	v_fmac_f32_e32 v32, v5, v31
	ds_read_b128 v[2:5], v14 offset:192
	ds_read2_b64 v[6:9], v26 offset1:32
	v_add_f32_e32 v30, v35, v30
	v_add_f32_e32 v35, v29, v36
	;; [unrolled: 1-line block ×3, first 2 shown]
	ds_read_b128 v[29:32], v14 offset:208
	s_waitcnt lgkmcnt(0)
	v_mul_f32_e32 v37, v7, v3
	v_fma_f32 v37, v6, v2, -v37
	v_mul_f32_e32 v6, v6, v3
	v_fmac_f32_e32 v6, v7, v2
	v_mul_f32_e32 v2, v9, v5
	v_fma_f32 v7, v8, v4, -v2
	v_mul_f32_e32 v8, v8, v5
	v_fmac_f32_e32 v8, v9, v4
	ds_read2_b64 v[2:5], v26 offset0:64 offset1:96
	v_add_f32_e32 v6, v36, v6
	v_add_f32_e32 v9, v35, v37
	;; [unrolled: 1-line block ×4, first 2 shown]
	s_waitcnt lgkmcnt(0)
	v_mul_f32_e32 v6, v3, v30
	v_fma_f32 v6, v2, v29, -v6
	v_mul_f32_e32 v30, v2, v30
	v_mul_f32_e32 v2, v5, v32
	;; [unrolled: 1-line block ×3, first 2 shown]
	v_fmac_f32_e32 v30, v3, v29
	v_add_f32_e32 v29, v7, v6
	v_fma_f32 v36, v4, v31, -v2
	v_fmac_f32_e32 v32, v5, v31
	ds_read_b128 v[2:5], v14 offset:224
	ds_read2_b64 v[6:9], v26 offset0:128 offset1:160
	v_add_f32_e32 v30, v35, v30
	v_add_f32_e32 v35, v29, v36
	;; [unrolled: 1-line block ×3, first 2 shown]
	ds_read_b128 v[29:32], v14 offset:240
	s_waitcnt lgkmcnt(0)
	v_mul_f32_e32 v37, v7, v3
	v_fma_f32 v37, v6, v2, -v37
	v_mul_f32_e32 v6, v6, v3
	v_fmac_f32_e32 v6, v7, v2
	v_mul_f32_e32 v2, v9, v5
	v_fma_f32 v7, v8, v4, -v2
	v_mul_f32_e32 v8, v8, v5
	v_fmac_f32_e32 v8, v9, v4
	ds_read2_b64 v[2:5], v26 offset0:192 offset1:224
	v_add_f32_e32 v6, v36, v6
	v_add_f32_e32 v6, v6, v8
	;; [unrolled: 1-line block ×4, first 2 shown]
	s_waitcnt lgkmcnt(0)
	v_mul_f32_e32 v8, v3, v30
	v_fma_f32 v8, v2, v29, -v8
	v_mul_f32_e32 v2, v2, v30
	v_fmac_f32_e32 v2, v3, v29
	v_add_f32_e32 v2, v6, v2
	v_mul_f32_e32 v6, v5, v32
	v_fma_f32 v6, v4, v31, -v6
	v_mul_f32_e32 v4, v4, v32
	v_fmac_f32_e32 v4, v5, v31
	v_add_f32_e32 v3, v7, v8
	v_add_f32_e32 v2, v2, v4
	;; [unrolled: 1-line block ×3, first 2 shown]
	v_mul_f32_e32 v4, s16, v2
	v_mul_f32_e32 v5, s15, v2
	v_fma_f32 v4, s15, v3, -v4
	v_fmac_f32_e32 v5, s16, v3
	s_waitcnt vmcnt(0)
	v_add_f32_e32 v2, v33, v4
	v_add_f32_e32 v3, v34, v5
	flat_store_dwordx2 v[10:11], v[2:3]
.LBB1936_11:                            ;   in Loop: Header=BB1936_5 Depth=1
	s_or_b64 exec, exec, s[2:3]
	v_mov_b32_e32 v3, 0
	v_mov_b32_e32 v5, 0
	;; [unrolled: 1-line block ×3, first 2 shown]
	s_waitcnt vmcnt(0) lgkmcnt(0)
	s_barrier
	s_and_saveexec_b64 s[12:13], s[6:7]
	s_cbranch_execz .LBB1936_13
; %bb.12:                               ;   in Loop: Header=BB1936_5 Depth=1
	v_mad_i64_i32 v[4:5], s[2:3], v27, s18, 0
	v_lshlrev_b64 v[4:5], 3, v[4:5]
	v_add_co_u32_e64 v4, s[2:3], v20, v4
	v_addc_co_u32_e64 v5, s[2:3], v21, v5, s[2:3]
	flat_load_dwordx2 v[4:5], v[4:5]
.LBB1936_13:                            ;   in Loop: Header=BB1936_5 Depth=1
	s_or_b64 exec, exec, s[12:13]
	v_mov_b32_e32 v2, 0
	s_waitcnt vmcnt(0) lgkmcnt(0)
	ds_write_b64 v15, v[4:5]
	s_and_saveexec_b64 s[6:7], s[10:11]
	s_cbranch_execz .LBB1936_15
; %bb.14:                               ;   in Loop: Header=BB1936_5 Depth=1
	v_mad_i64_i32 v[2:3], s[2:3], v28, s17, 0
	v_lshlrev_b64 v[2:3], 3, v[2:3]
	v_add_co_u32_e64 v2, s[2:3], v22, v2
	v_addc_co_u32_e64 v3, s[2:3], v23, v3, s[2:3]
	flat_load_dwordx2 v[2:3], v[2:3]
	s_waitcnt vmcnt(0) lgkmcnt(0)
	v_xor_b32_e32 v3, 0x80000000, v3
.LBB1936_15:                            ;   in Loop: Header=BB1936_5 Depth=1
	s_or_b64 exec, exec, s[6:7]
	ds_write_b64 v19, v[2:3]
	s_waitcnt lgkmcnt(0)
	s_barrier
	s_and_saveexec_b64 s[2:3], s[4:5]
	s_cbranch_execz .LBB1936_4
; %bb.16:                               ;   in Loop: Header=BB1936_5 Depth=1
	ds_read2_b64 v[2:5], v18 offset1:32
	ds_read_b128 v[6:9], v14
	ds_read_b128 v[27:30], v14 offset:16
	s_waitcnt lgkmcnt(1)
	v_mul_f32_e32 v31, v3, v7
	v_mul_f32_e32 v35, v2, v7
	v_fma_f32 v36, v2, v6, -v31
	v_mul_f32_e32 v2, v5, v9
	v_mul_f32_e32 v38, v4, v9
	v_fmac_f32_e32 v35, v3, v6
	v_fma_f32 v37, v4, v8, -v2
	v_fmac_f32_e32 v38, v5, v8
	ds_read_b128 v[2:5], v14 offset:32
	ds_read_b128 v[6:9], v14 offset:48
	ds_read2_b64 v[31:34], v18 offset0:64 offset1:96
	v_add_f32_e32 v36, 0, v36
	v_add_f32_e32 v36, v36, v37
	;; [unrolled: 1-line block ×4, first 2 shown]
	s_waitcnt lgkmcnt(0)
	v_mul_f32_e32 v37, v32, v28
	v_fma_f32 v37, v31, v27, -v37
	v_mul_f32_e32 v31, v31, v28
	v_fmac_f32_e32 v31, v32, v27
	v_mul_f32_e32 v27, v34, v30
	v_fma_f32 v32, v33, v29, -v27
	v_mul_f32_e32 v33, v33, v30
	v_fmac_f32_e32 v33, v34, v29
	ds_read2_b64 v[27:30], v18 offset0:128 offset1:160
	v_add_f32_e32 v31, v35, v31
	v_add_f32_e32 v34, v36, v37
	;; [unrolled: 1-line block ×4, first 2 shown]
	s_waitcnt lgkmcnt(0)
	v_mul_f32_e32 v33, v28, v3
	v_mul_f32_e32 v3, v27, v3
	v_fma_f32 v33, v27, v2, -v33
	v_fmac_f32_e32 v3, v28, v2
	v_add_f32_e32 v2, v32, v33
	v_add_f32_e32 v3, v31, v3
	ds_read2_b64 v[31:34], v18 offset0:192 offset1:224
	v_mul_f32_e32 v27, v30, v5
	v_mul_f32_e32 v5, v29, v5
	v_fma_f32 v27, v29, v4, -v27
	v_fmac_f32_e32 v5, v30, v4
	s_waitcnt lgkmcnt(0)
	v_mul_f32_e32 v4, v32, v7
	v_add_f32_e32 v2, v2, v27
	v_add_f32_e32 v3, v3, v5
	v_fma_f32 v4, v31, v6, -v4
	v_mul_f32_e32 v5, v31, v7
	v_fmac_f32_e32 v5, v32, v6
	v_add_f32_e32 v6, v2, v4
	v_mul_f32_e32 v2, v34, v9
	v_add_f32_e32 v7, v3, v5
	v_fma_f32 v31, v33, v8, -v2
	ds_read_b128 v[2:5], v14 offset:64
	ds_read2_b64 v[27:30], v24 offset1:32
	v_mul_f32_e32 v9, v33, v9
	v_fmac_f32_e32 v9, v34, v8
	v_add_f32_e32 v31, v6, v31
	v_add_f32_e32 v32, v7, v9
	s_waitcnt lgkmcnt(0)
	v_mul_f32_e32 v33, v28, v3
	v_mul_f32_e32 v3, v27, v3
	v_fma_f32 v33, v27, v2, -v33
	v_fmac_f32_e32 v3, v28, v2
	ds_read_b128 v[6:9], v14 offset:80
	v_add_f32_e32 v2, v31, v33
	v_add_f32_e32 v3, v32, v3
	ds_read2_b64 v[31:34], v24 offset0:64 offset1:96
	v_mul_f32_e32 v27, v30, v5
	v_mul_f32_e32 v5, v29, v5
	v_fma_f32 v27, v29, v4, -v27
	v_fmac_f32_e32 v5, v30, v4
	s_waitcnt lgkmcnt(0)
	v_mul_f32_e32 v4, v32, v7
	v_add_f32_e32 v2, v2, v27
	v_add_f32_e32 v3, v3, v5
	v_fma_f32 v4, v31, v6, -v4
	v_mul_f32_e32 v5, v31, v7
	v_fmac_f32_e32 v5, v32, v6
	v_add_f32_e32 v6, v2, v4
	v_mul_f32_e32 v2, v34, v9
	v_add_f32_e32 v7, v3, v5
	v_fma_f32 v31, v33, v8, -v2
	ds_read_b128 v[2:5], v14 offset:96
	ds_read2_b64 v[27:30], v24 offset0:128 offset1:160
	v_mul_f32_e32 v9, v33, v9
	v_fmac_f32_e32 v9, v34, v8
	v_add_f32_e32 v31, v6, v31
	v_add_f32_e32 v32, v7, v9
	s_waitcnt lgkmcnt(0)
	v_mul_f32_e32 v33, v28, v3
	v_mul_f32_e32 v3, v27, v3
	v_fma_f32 v33, v27, v2, -v33
	v_fmac_f32_e32 v3, v28, v2
	ds_read_b128 v[6:9], v14 offset:112
	v_add_f32_e32 v2, v31, v33
	v_add_f32_e32 v3, v32, v3
	ds_read2_b64 v[31:34], v24 offset0:192 offset1:224
	v_mul_f32_e32 v27, v30, v5
	v_mul_f32_e32 v5, v29, v5
	v_fma_f32 v27, v29, v4, -v27
	v_fmac_f32_e32 v5, v30, v4
	s_waitcnt lgkmcnt(0)
	v_mul_f32_e32 v4, v32, v7
	v_add_f32_e32 v2, v2, v27
	v_add_f32_e32 v3, v3, v5
	v_fma_f32 v4, v31, v6, -v4
	v_mul_f32_e32 v5, v31, v7
	v_fmac_f32_e32 v5, v32, v6
	v_add_f32_e32 v6, v2, v4
	v_mul_f32_e32 v2, v34, v9
	v_add_f32_e32 v7, v3, v5
	v_fma_f32 v31, v33, v8, -v2
	ds_read_b128 v[2:5], v14 offset:128
	ds_read2_b64 v[27:30], v25 offset1:32
	v_mul_f32_e32 v9, v33, v9
	v_fmac_f32_e32 v9, v34, v8
	v_add_f32_e32 v6, v6, v31
	ds_read_b128 v[31:34], v14 offset:144
	ds_read2_b64 v[35:38], v25 offset0:64 offset1:96
	s_waitcnt lgkmcnt(2)
	v_mul_f32_e32 v8, v28, v3
	v_fma_f32 v8, v27, v2, -v8
	v_mul_f32_e32 v3, v27, v3
	v_add_f32_e32 v7, v7, v9
	v_fmac_f32_e32 v3, v28, v2
	v_add_f32_e32 v2, v6, v8
	v_mul_f32_e32 v6, v30, v5
	v_mul_f32_e32 v5, v29, v5
	v_add_f32_e32 v3, v7, v3
	v_fma_f32 v6, v29, v4, -v6
	v_fmac_f32_e32 v5, v30, v4
	s_waitcnt lgkmcnt(0)
	v_mul_f32_e32 v4, v36, v32
	v_add_f32_e32 v2, v2, v6
	v_add_f32_e32 v3, v3, v5
	v_fma_f32 v4, v35, v31, -v4
	v_mul_f32_e32 v5, v35, v32
	v_fmac_f32_e32 v5, v36, v31
	v_add_f32_e32 v27, v2, v4
	v_mul_f32_e32 v2, v38, v34
	v_add_f32_e32 v28, v3, v5
	v_fma_f32 v29, v37, v33, -v2
	ds_read_b128 v[2:5], v14 offset:160
	ds_read2_b64 v[6:9], v25 offset0:128 offset1:160
	flat_load_dwordx2 v[35:36], v[10:11]
	v_mul_f32_e32 v30, v37, v34
	v_fmac_f32_e32 v30, v38, v33
	v_add_f32_e32 v31, v27, v29
	s_waitcnt lgkmcnt(0)
	v_mul_f32_e32 v33, v7, v3
	v_mul_f32_e32 v3, v6, v3
	v_add_f32_e32 v32, v28, v30
	v_fma_f32 v33, v6, v2, -v33
	v_fmac_f32_e32 v3, v7, v2
	ds_read_b128 v[27:30], v14 offset:176
	v_add_f32_e32 v2, v31, v33
	v_add_f32_e32 v3, v32, v3
	ds_read2_b64 v[31:34], v25 offset0:192 offset1:224
	v_mul_f32_e32 v6, v9, v5
	v_mul_f32_e32 v5, v8, v5
	v_fma_f32 v6, v8, v4, -v6
	v_fmac_f32_e32 v5, v9, v4
	s_waitcnt lgkmcnt(0)
	v_mul_f32_e32 v4, v32, v28
	v_add_f32_e32 v2, v2, v6
	v_add_f32_e32 v3, v3, v5
	v_fma_f32 v4, v31, v27, -v4
	v_mul_f32_e32 v5, v31, v28
	v_fmac_f32_e32 v5, v32, v27
	v_add_f32_e32 v27, v2, v4
	v_mul_f32_e32 v2, v34, v30
	v_add_f32_e32 v28, v3, v5
	v_fma_f32 v31, v33, v29, -v2
	ds_read_b128 v[2:5], v14 offset:192
	ds_read2_b64 v[6:9], v26 offset1:32
	v_mul_f32_e32 v30, v33, v30
	v_fmac_f32_e32 v30, v34, v29
	v_add_f32_e32 v31, v27, v31
	v_add_f32_e32 v32, v28, v30
	s_waitcnt lgkmcnt(0)
	v_mul_f32_e32 v33, v7, v3
	v_mul_f32_e32 v3, v6, v3
	v_fma_f32 v33, v6, v2, -v33
	v_fmac_f32_e32 v3, v7, v2
	ds_read_b128 v[27:30], v14 offset:208
	v_add_f32_e32 v2, v31, v33
	v_add_f32_e32 v3, v32, v3
	ds_read2_b64 v[31:34], v26 offset0:64 offset1:96
	v_mul_f32_e32 v6, v9, v5
	v_mul_f32_e32 v5, v8, v5
	v_fma_f32 v6, v8, v4, -v6
	v_fmac_f32_e32 v5, v9, v4
	s_waitcnt lgkmcnt(0)
	v_mul_f32_e32 v4, v32, v28
	v_add_f32_e32 v2, v2, v6
	v_add_f32_e32 v3, v3, v5
	v_fma_f32 v4, v31, v27, -v4
	v_mul_f32_e32 v5, v31, v28
	v_fmac_f32_e32 v5, v32, v27
	v_add_f32_e32 v27, v2, v4
	v_mul_f32_e32 v2, v34, v30
	v_add_f32_e32 v28, v3, v5
	v_fma_f32 v31, v33, v29, -v2
	ds_read_b128 v[2:5], v14 offset:224
	ds_read2_b64 v[6:9], v26 offset0:128 offset1:160
	v_mul_f32_e32 v30, v33, v30
	v_fmac_f32_e32 v30, v34, v29
	v_add_f32_e32 v31, v27, v31
	v_add_f32_e32 v32, v28, v30
	s_waitcnt lgkmcnt(0)
	v_mul_f32_e32 v33, v7, v3
	v_mul_f32_e32 v3, v6, v3
	v_fma_f32 v33, v6, v2, -v33
	v_fmac_f32_e32 v3, v7, v2
	ds_read_b128 v[27:30], v14 offset:240
	v_add_f32_e32 v2, v31, v33
	v_add_f32_e32 v3, v32, v3
	ds_read2_b64 v[31:34], v26 offset0:192 offset1:224
	v_mul_f32_e32 v6, v9, v5
	v_mul_f32_e32 v5, v8, v5
	v_fma_f32 v6, v8, v4, -v6
	v_fmac_f32_e32 v5, v9, v4
	s_waitcnt lgkmcnt(0)
	v_mul_f32_e32 v4, v32, v28
	v_add_f32_e32 v2, v2, v6
	v_add_f32_e32 v3, v3, v5
	v_fma_f32 v4, v31, v27, -v4
	v_mul_f32_e32 v5, v31, v28
	v_fmac_f32_e32 v5, v32, v27
	v_add_f32_e32 v2, v2, v4
	v_mul_f32_e32 v4, v34, v30
	v_add_f32_e32 v3, v3, v5
	v_fma_f32 v4, v33, v29, -v4
	v_mul_f32_e32 v5, v33, v30
	v_fmac_f32_e32 v5, v34, v29
	v_add_f32_e32 v2, v2, v4
	v_add_f32_e32 v3, v3, v5
	v_mul_f32_e32 v4, s15, v2
	v_mul_f32_e32 v2, s16, v2
	v_fmac_f32_e32 v4, s16, v3
	v_fma_f32 v3, s15, v3, -v2
	s_waitcnt vmcnt(0)
	v_add_f32_e32 v2, v35, v4
	v_add_f32_e32 v3, v36, v3
	flat_store_dwordx2 v[10:11], v[2:3]
	s_branch .LBB1936_4
.LBB1936_17:
	s_endpgm
	.section	.rodata,"a",@progbits
	.p2align	6, 0x0
	.amdhsa_kernel _ZL26rocblas_syr2k_her2k_kernelIiLb1ELb1ELb0ELi32E19rocblas_complex_numIfEPKPKS1_PKPS1_EvbiT_T4_T5_S9_lSB_S9_lT6_S9_li
		.amdhsa_group_segment_fixed_size 16384
		.amdhsa_private_segment_fixed_size 0
		.amdhsa_kernarg_size 100
		.amdhsa_user_sgpr_count 6
		.amdhsa_user_sgpr_private_segment_buffer 1
		.amdhsa_user_sgpr_dispatch_ptr 0
		.amdhsa_user_sgpr_queue_ptr 0
		.amdhsa_user_sgpr_kernarg_segment_ptr 1
		.amdhsa_user_sgpr_dispatch_id 0
		.amdhsa_user_sgpr_flat_scratch_init 0
		.amdhsa_user_sgpr_private_segment_size 0
		.amdhsa_uses_dynamic_stack 0
		.amdhsa_system_sgpr_private_segment_wavefront_offset 0
		.amdhsa_system_sgpr_workgroup_id_x 1
		.amdhsa_system_sgpr_workgroup_id_y 1
		.amdhsa_system_sgpr_workgroup_id_z 1
		.amdhsa_system_sgpr_workgroup_info 0
		.amdhsa_system_vgpr_workitem_id 1
		.amdhsa_next_free_vgpr 42
		.amdhsa_next_free_sgpr 61
		.amdhsa_reserve_vcc 1
		.amdhsa_reserve_flat_scratch 0
		.amdhsa_float_round_mode_32 0
		.amdhsa_float_round_mode_16_64 0
		.amdhsa_float_denorm_mode_32 3
		.amdhsa_float_denorm_mode_16_64 3
		.amdhsa_dx10_clamp 1
		.amdhsa_ieee_mode 1
		.amdhsa_fp16_overflow 0
		.amdhsa_exception_fp_ieee_invalid_op 0
		.amdhsa_exception_fp_denorm_src 0
		.amdhsa_exception_fp_ieee_div_zero 0
		.amdhsa_exception_fp_ieee_overflow 0
		.amdhsa_exception_fp_ieee_underflow 0
		.amdhsa_exception_fp_ieee_inexact 0
		.amdhsa_exception_int_div_zero 0
	.end_amdhsa_kernel
	.section	.text._ZL26rocblas_syr2k_her2k_kernelIiLb1ELb1ELb0ELi32E19rocblas_complex_numIfEPKPKS1_PKPS1_EvbiT_T4_T5_S9_lSB_S9_lT6_S9_li,"axG",@progbits,_ZL26rocblas_syr2k_her2k_kernelIiLb1ELb1ELb0ELi32E19rocblas_complex_numIfEPKPKS1_PKPS1_EvbiT_T4_T5_S9_lSB_S9_lT6_S9_li,comdat
.Lfunc_end1936:
	.size	_ZL26rocblas_syr2k_her2k_kernelIiLb1ELb1ELb0ELi32E19rocblas_complex_numIfEPKPKS1_PKPS1_EvbiT_T4_T5_S9_lSB_S9_lT6_S9_li, .Lfunc_end1936-_ZL26rocblas_syr2k_her2k_kernelIiLb1ELb1ELb0ELi32E19rocblas_complex_numIfEPKPKS1_PKPS1_EvbiT_T4_T5_S9_lSB_S9_lT6_S9_li
                                        ; -- End function
	.set _ZL26rocblas_syr2k_her2k_kernelIiLb1ELb1ELb0ELi32E19rocblas_complex_numIfEPKPKS1_PKPS1_EvbiT_T4_T5_S9_lSB_S9_lT6_S9_li.num_vgpr, 42
	.set _ZL26rocblas_syr2k_her2k_kernelIiLb1ELb1ELb0ELi32E19rocblas_complex_numIfEPKPKS1_PKPS1_EvbiT_T4_T5_S9_lSB_S9_lT6_S9_li.num_agpr, 0
	.set _ZL26rocblas_syr2k_her2k_kernelIiLb1ELb1ELb0ELi32E19rocblas_complex_numIfEPKPKS1_PKPS1_EvbiT_T4_T5_S9_lSB_S9_lT6_S9_li.numbered_sgpr, 28
	.set _ZL26rocblas_syr2k_her2k_kernelIiLb1ELb1ELb0ELi32E19rocblas_complex_numIfEPKPKS1_PKPS1_EvbiT_T4_T5_S9_lSB_S9_lT6_S9_li.num_named_barrier, 0
	.set _ZL26rocblas_syr2k_her2k_kernelIiLb1ELb1ELb0ELi32E19rocblas_complex_numIfEPKPKS1_PKPS1_EvbiT_T4_T5_S9_lSB_S9_lT6_S9_li.private_seg_size, 0
	.set _ZL26rocblas_syr2k_her2k_kernelIiLb1ELb1ELb0ELi32E19rocblas_complex_numIfEPKPKS1_PKPS1_EvbiT_T4_T5_S9_lSB_S9_lT6_S9_li.uses_vcc, 1
	.set _ZL26rocblas_syr2k_her2k_kernelIiLb1ELb1ELb0ELi32E19rocblas_complex_numIfEPKPKS1_PKPS1_EvbiT_T4_T5_S9_lSB_S9_lT6_S9_li.uses_flat_scratch, 0
	.set _ZL26rocblas_syr2k_her2k_kernelIiLb1ELb1ELb0ELi32E19rocblas_complex_numIfEPKPKS1_PKPS1_EvbiT_T4_T5_S9_lSB_S9_lT6_S9_li.has_dyn_sized_stack, 0
	.set _ZL26rocblas_syr2k_her2k_kernelIiLb1ELb1ELb0ELi32E19rocblas_complex_numIfEPKPKS1_PKPS1_EvbiT_T4_T5_S9_lSB_S9_lT6_S9_li.has_recursion, 0
	.set _ZL26rocblas_syr2k_her2k_kernelIiLb1ELb1ELb0ELi32E19rocblas_complex_numIfEPKPKS1_PKPS1_EvbiT_T4_T5_S9_lSB_S9_lT6_S9_li.has_indirect_call, 0
	.section	.AMDGPU.csdata,"",@progbits
; Kernel info:
; codeLenInByte = 3444
; TotalNumSgprs: 32
; NumVgprs: 42
; ScratchSize: 0
; MemoryBound: 0
; FloatMode: 240
; IeeeMode: 1
; LDSByteSize: 16384 bytes/workgroup (compile time only)
; SGPRBlocks: 8
; VGPRBlocks: 10
; NumSGPRsForWavesPerEU: 65
; NumVGPRsForWavesPerEU: 42
; Occupancy: 5
; WaveLimiterHint : 1
; COMPUTE_PGM_RSRC2:SCRATCH_EN: 0
; COMPUTE_PGM_RSRC2:USER_SGPR: 6
; COMPUTE_PGM_RSRC2:TRAP_HANDLER: 0
; COMPUTE_PGM_RSRC2:TGID_X_EN: 1
; COMPUTE_PGM_RSRC2:TGID_Y_EN: 1
; COMPUTE_PGM_RSRC2:TGID_Z_EN: 1
; COMPUTE_PGM_RSRC2:TIDIG_COMP_CNT: 1
	.section	.text._ZL26rocblas_syr2k_her2k_kernelIiLb1ELb1ELb1ELi32E19rocblas_complex_numIfEPKPKS1_PKPS1_EvbiT_T4_T5_S9_lSB_S9_lT6_S9_li,"axG",@progbits,_ZL26rocblas_syr2k_her2k_kernelIiLb1ELb1ELb1ELi32E19rocblas_complex_numIfEPKPKS1_PKPS1_EvbiT_T4_T5_S9_lSB_S9_lT6_S9_li,comdat
	.globl	_ZL26rocblas_syr2k_her2k_kernelIiLb1ELb1ELb1ELi32E19rocblas_complex_numIfEPKPKS1_PKPS1_EvbiT_T4_T5_S9_lSB_S9_lT6_S9_li ; -- Begin function _ZL26rocblas_syr2k_her2k_kernelIiLb1ELb1ELb1ELi32E19rocblas_complex_numIfEPKPKS1_PKPS1_EvbiT_T4_T5_S9_lSB_S9_lT6_S9_li
	.p2align	8
	.type	_ZL26rocblas_syr2k_her2k_kernelIiLb1ELb1ELb1ELi32E19rocblas_complex_numIfEPKPKS1_PKPS1_EvbiT_T4_T5_S9_lSB_S9_lT6_S9_li,@function
_ZL26rocblas_syr2k_her2k_kernelIiLb1ELb1ELb1ELi32E19rocblas_complex_numIfEPKPKS1_PKPS1_EvbiT_T4_T5_S9_lSB_S9_lT6_S9_li: ; @_ZL26rocblas_syr2k_her2k_kernelIiLb1ELb1ELb1ELi32E19rocblas_complex_numIfEPKPKS1_PKPS1_EvbiT_T4_T5_S9_lSB_S9_lT6_S9_li
; %bb.0:
	s_load_dwordx4 s[12:15], s[4:5], 0x0
	s_load_dword s16, s[4:5], 0x10
	s_waitcnt lgkmcnt(0)
	v_cmp_eq_f32_e64 s[0:1], s15, 0
	v_cmp_eq_f32_e64 s[2:3], s16, 0
	s_and_b64 s[0:1], s[0:1], s[2:3]
	s_and_b64 vcc, exec, s[0:1]
	s_cbranch_vccnz .LBB1937_17
; %bb.1:
	s_and_b32 s2, 1, s12
	s_lshl_b32 s0, s7, 5
	s_lshl_b32 s1, s6, 5
	s_cmp_eq_u32 s2, 1
	s_cselect_b64 vcc, -1, 0
	s_and_b64 s[2:3], vcc, exec
	s_cselect_b32 s2, s1, s0
	s_cselect_b32 s3, s0, s1
	s_cmp_gt_i32 s2, s3
	s_cbranch_scc1 .LBB1937_17
; %bb.2:
	s_cmp_lt_i32 s14, 1
	s_cbranch_scc1 .LBB1937_17
; %bb.3:
	s_mov_b32 s9, 0
	s_load_dwordx2 s[2:3], s[4:5], 0x18
	s_load_dword s12, s[4:5], 0x20
	s_load_dwordx4 s[20:23], s[4:5], 0x28
	s_load_dword s17, s[4:5], 0x38
	s_load_dwordx4 s[24:27], s[4:5], 0x40
	s_load_dword s28, s[4:5], 0x50
	s_lshl_b64 s[6:7], s[8:9], 3
	s_waitcnt lgkmcnt(0)
	s_add_u32 s2, s2, s6
	s_addc_u32 s3, s3, s7
	s_load_dwordx2 s[2:3], s[2:3], 0x0
	s_add_u32 s10, s22, s6
	v_add_u32_e32 v2, s1, v0
	s_addc_u32 s11, s23, s7
	v_add_u32_e32 v7, s0, v1
	v_mad_i64_i32 v[4:5], s[0:1], s12, v2, 0
	s_add_u32 s6, s26, s6
	s_addc_u32 s7, s27, s7
	s_load_dwordx2 s[10:11], s[10:11], 0x0
	s_nop 0
	s_load_dwordx2 s[18:19], s[6:7], 0x0
	s_load_dwordx2 s[22:23], s[4:5], 0x58
	s_lshl_b64 s[4:5], s[20:21], 3
	s_waitcnt lgkmcnt(0)
	s_add_u32 s6, s2, s4
	v_lshlrev_b64 v[4:5], 3, v[4:5]
	s_addc_u32 s7, s3, s5
	v_mov_b32_e32 v9, s7
	v_add_co_u32_e64 v16, s[0:1], s6, v4
	v_addc_co_u32_e64 v17, s[0:1], v9, v5, s[0:1]
	v_mad_i64_i32 v[4:5], s[0:1], s17, v7, 0
	s_lshl_b64 s[2:3], s[24:25], 3
	s_add_u32 s8, s10, s2
	s_addc_u32 s10, s11, s3
	s_lshl_b64 s[2:3], s[22:23], 3
	v_lshlrev_b64 v[4:5], 3, v[4:5]
	s_add_u32 s11, s18, s2
	s_addc_u32 s18, s19, s3
	v_mov_b32_e32 v10, s10
	v_add_co_u32_e64 v20, s[2:3], s8, v4
	v_addc_co_u32_e64 v21, s[2:3], v10, v5, s[2:3]
	v_mad_i64_i32 v[4:5], s[2:3], s28, v7, 0
	v_cndmask_b32_e32 v6, v2, v7, vcc
	v_cndmask_b32_e32 v8, v7, v2, vcc
	v_cmp_gt_i32_e32 vcc, s13, v2
	v_cmp_gt_i32_e64 s[0:1], s13, v7
	v_lshlrev_b64 v[4:5], 3, v[4:5]
	v_cmp_le_i32_e64 s[2:3], v8, v6
	s_and_b64 s[4:5], s[0:1], vcc
	v_lshlrev_b32_e32 v18, 8, v0
	v_lshlrev_b32_e32 v9, 3, v1
	s_and_b64 s[4:5], s[4:5], s[2:3]
	v_mov_b32_e32 v6, s18
	v_add_co_u32_e64 v8, s[2:3], s11, v4
	v_ashrrev_i32_e32 v3, 31, v2
	v_add_u32_e32 v19, v18, v9
	v_or_b32_e32 v22, 0x2000, v9
	v_addc_co_u32_e64 v9, s[2:3], v6, v5, s[2:3]
	v_mad_i64_i32 v[5:6], s[2:3], s17, v2, 0
	v_lshlrev_b64 v[3:4], 3, v[2:3]
	v_add_u32_e32 v23, v22, v18
	v_add_co_u32_e64 v10, s[2:3], v8, v3
	v_addc_co_u32_e64 v11, s[2:3], v9, v4, s[2:3]
	v_lshlrev_b64 v[2:3], 3, v[5:6]
	v_mad_i64_i32 v[4:5], s[2:3], s12, v7, 0
	v_mov_b32_e32 v6, s10
	v_add_co_u32_e64 v24, s[2:3], s8, v2
	v_addc_co_u32_e64 v25, s[2:3], v6, v3, s[2:3]
	v_lshlrev_b64 v[2:3], 3, v[4:5]
	v_mov_b32_e32 v4, s7
	v_add_co_u32_e64 v26, s[2:3], s6, v2
	v_addc_co_u32_e64 v27, s[2:3], v4, v3, s[2:3]
	v_add_u32_e32 v28, 0x800, v22
	v_add_u32_e32 v29, 0x1000, v22
	s_branch .LBB1937_5
.LBB1937_4:                             ;   in Loop: Header=BB1937_5 Depth=1
	s_or_b64 exec, exec, s[2:3]
	s_add_i32 s9, s9, 32
	s_cmp_lt_i32 s9, s14
	s_waitcnt vmcnt(0) lgkmcnt(0)
	s_barrier
	s_cbranch_scc0 .LBB1937_17
.LBB1937_5:                             ; =>This Inner Loop Header: Depth=1
	v_add_u32_e32 v12, s9, v1
	v_cmp_gt_i32_e64 s[2:3], s14, v12
	s_and_b64 s[6:7], vcc, s[2:3]
	v_mov_b32_e32 v4, 0
	v_mov_b32_e32 v2, 0
	;; [unrolled: 1-line block ×3, first 2 shown]
	s_and_saveexec_b64 s[10:11], s[6:7]
	s_cbranch_execz .LBB1937_7
; %bb.6:                                ;   in Loop: Header=BB1937_5 Depth=1
	v_ashrrev_i32_e32 v13, 31, v12
	v_lshlrev_b64 v[3:4], 3, v[12:13]
	v_add_co_u32_e64 v3, s[2:3], v16, v3
	v_addc_co_u32_e64 v4, s[2:3], v17, v4, s[2:3]
	flat_load_dwordx2 v[3:4], v[3:4]
	s_waitcnt vmcnt(0) lgkmcnt(0)
	v_xor_b32_e32 v4, 0x80000000, v4
.LBB1937_7:                             ;   in Loop: Header=BB1937_5 Depth=1
	s_or_b64 exec, exec, s[10:11]
	v_add_u32_e32 v14, s9, v0
	v_cmp_gt_i32_e64 s[2:3], s14, v14
	ds_write_b64 v19, v[3:4]
	s_and_b64 s[10:11], s[0:1], s[2:3]
	v_mov_b32_e32 v3, 0
	s_and_saveexec_b64 s[12:13], s[10:11]
	s_cbranch_execz .LBB1937_9
; %bb.8:                                ;   in Loop: Header=BB1937_5 Depth=1
	v_ashrrev_i32_e32 v15, 31, v14
	v_lshlrev_b64 v[2:3], 3, v[14:15]
	v_add_co_u32_e64 v2, s[2:3], v20, v2
	v_addc_co_u32_e64 v3, s[2:3], v21, v3, s[2:3]
	flat_load_dwordx2 v[2:3], v[2:3]
.LBB1937_9:                             ;   in Loop: Header=BB1937_5 Depth=1
	s_or_b64 exec, exec, s[12:13]
	s_waitcnt vmcnt(0) lgkmcnt(0)
	ds_write_b64 v23, v[2:3]
	s_waitcnt lgkmcnt(0)
	s_barrier
	s_and_saveexec_b64 s[2:3], s[4:5]
	s_cbranch_execz .LBB1937_11
; %bb.10:                               ;   in Loop: Header=BB1937_5 Depth=1
	ds_read2_b64 v[2:5], v22 offset1:32
	ds_read_b128 v[6:9], v18
	ds_read_b128 v[30:33], v18 offset:16
	s_waitcnt lgkmcnt(1)
	v_mul_f32_e32 v13, v3, v7
	v_mul_f32_e32 v15, v2, v7
	v_fma_f32 v13, v2, v6, -v13
	v_mul_f32_e32 v2, v5, v9
	v_mul_f32_e32 v39, v4, v9
	v_fmac_f32_e32 v15, v3, v6
	v_fma_f32 v38, v4, v8, -v2
	v_fmac_f32_e32 v39, v5, v8
	ds_read_b128 v[2:5], v18 offset:32
	ds_read_b128 v[6:9], v18 offset:48
	ds_read2_b64 v[34:37], v22 offset0:64 offset1:96
	v_add_f32_e32 v13, 0, v13
	v_add_f32_e32 v13, v13, v38
	v_add_f32_e32 v15, 0, v15
	v_add_f32_e32 v15, v15, v39
	s_waitcnt lgkmcnt(0)
	v_mul_f32_e32 v38, v35, v31
	v_fma_f32 v38, v34, v30, -v38
	v_mul_f32_e32 v34, v34, v31
	v_fmac_f32_e32 v34, v35, v30
	v_mul_f32_e32 v30, v37, v33
	v_fma_f32 v35, v36, v32, -v30
	v_mul_f32_e32 v36, v36, v33
	v_fmac_f32_e32 v36, v37, v32
	ds_read2_b64 v[30:33], v22 offset0:128 offset1:160
	v_add_f32_e32 v13, v13, v38
	v_add_f32_e32 v15, v15, v34
	;; [unrolled: 1-line block ×4, first 2 shown]
	s_waitcnt lgkmcnt(0)
	v_mul_f32_e32 v34, v31, v3
	v_fma_f32 v34, v30, v2, -v34
	v_mul_f32_e32 v3, v30, v3
	v_fmac_f32_e32 v3, v31, v2
	v_add_f32_e32 v2, v13, v34
	ds_read2_b64 v[34:37], v22 offset0:192 offset1:224
	v_mul_f32_e32 v13, v33, v5
	v_mul_f32_e32 v5, v32, v5
	v_add_f32_e32 v3, v15, v3
	v_fma_f32 v13, v32, v4, -v13
	v_fmac_f32_e32 v5, v33, v4
	s_waitcnt lgkmcnt(0)
	v_mul_f32_e32 v4, v35, v7
	v_add_f32_e32 v2, v2, v13
	v_add_f32_e32 v3, v3, v5
	v_fma_f32 v4, v34, v6, -v4
	v_mul_f32_e32 v5, v34, v7
	v_fmac_f32_e32 v5, v35, v6
	v_add_f32_e32 v6, v2, v4
	v_mul_f32_e32 v2, v37, v9
	v_add_f32_e32 v7, v3, v5
	v_fma_f32 v13, v36, v8, -v2
	ds_read_b128 v[2:5], v18 offset:64
	ds_read2_b64 v[30:33], v28 offset1:32
	v_mul_f32_e32 v9, v36, v9
	v_fmac_f32_e32 v9, v37, v8
	v_add_f32_e32 v13, v6, v13
	v_add_f32_e32 v15, v7, v9
	s_waitcnt lgkmcnt(0)
	v_mul_f32_e32 v34, v31, v3
	v_fma_f32 v34, v30, v2, -v34
	v_mul_f32_e32 v3, v30, v3
	ds_read_b128 v[6:9], v18 offset:80
	v_fmac_f32_e32 v3, v31, v2
	v_add_f32_e32 v2, v13, v34
	ds_read2_b64 v[34:37], v28 offset0:64 offset1:96
	v_mul_f32_e32 v13, v33, v5
	v_mul_f32_e32 v5, v32, v5
	v_add_f32_e32 v3, v15, v3
	v_fma_f32 v13, v32, v4, -v13
	v_fmac_f32_e32 v5, v33, v4
	s_waitcnt lgkmcnt(0)
	v_mul_f32_e32 v4, v35, v7
	v_add_f32_e32 v2, v2, v13
	v_add_f32_e32 v3, v3, v5
	v_fma_f32 v4, v34, v6, -v4
	v_mul_f32_e32 v5, v34, v7
	v_fmac_f32_e32 v5, v35, v6
	v_add_f32_e32 v6, v2, v4
	v_mul_f32_e32 v2, v37, v9
	v_add_f32_e32 v7, v3, v5
	v_fma_f32 v13, v36, v8, -v2
	ds_read_b128 v[2:5], v18 offset:96
	ds_read2_b64 v[30:33], v28 offset0:128 offset1:160
	v_mul_f32_e32 v9, v36, v9
	v_fmac_f32_e32 v9, v37, v8
	v_add_f32_e32 v13, v6, v13
	v_add_f32_e32 v15, v7, v9
	s_waitcnt lgkmcnt(0)
	v_mul_f32_e32 v34, v31, v3
	v_fma_f32 v34, v30, v2, -v34
	v_mul_f32_e32 v3, v30, v3
	ds_read_b128 v[6:9], v18 offset:112
	v_fmac_f32_e32 v3, v31, v2
	v_add_f32_e32 v2, v13, v34
	ds_read2_b64 v[34:37], v28 offset0:192 offset1:224
	v_mul_f32_e32 v13, v33, v5
	v_mul_f32_e32 v5, v32, v5
	v_add_f32_e32 v3, v15, v3
	v_fma_f32 v13, v32, v4, -v13
	v_fmac_f32_e32 v5, v33, v4
	s_waitcnt lgkmcnt(0)
	v_mul_f32_e32 v4, v35, v7
	v_add_f32_e32 v2, v2, v13
	v_add_f32_e32 v3, v3, v5
	v_fma_f32 v4, v34, v6, -v4
	v_mul_f32_e32 v5, v34, v7
	v_fmac_f32_e32 v5, v35, v6
	v_add_f32_e32 v6, v2, v4
	v_mul_f32_e32 v2, v37, v9
	v_add_f32_e32 v7, v3, v5
	v_fma_f32 v13, v36, v8, -v2
	ds_read_b128 v[2:5], v18 offset:128
	ds_read2_b64 v[30:33], v29 offset1:32
	v_mul_f32_e32 v9, v36, v9
	v_fmac_f32_e32 v9, v37, v8
	ds_read_b128 v[34:37], v18 offset:144
	ds_read2_b64 v[38:41], v29 offset0:64 offset1:96
	s_waitcnt lgkmcnt(2)
	v_mul_f32_e32 v8, v31, v3
	v_add_f32_e32 v6, v6, v13
	v_fma_f32 v8, v30, v2, -v8
	v_mul_f32_e32 v3, v30, v3
	v_add_f32_e32 v7, v7, v9
	v_fmac_f32_e32 v3, v31, v2
	v_add_f32_e32 v2, v6, v8
	v_mul_f32_e32 v6, v33, v5
	v_mul_f32_e32 v5, v32, v5
	v_add_f32_e32 v3, v7, v3
	v_fma_f32 v6, v32, v4, -v6
	v_fmac_f32_e32 v5, v33, v4
	s_waitcnt lgkmcnt(0)
	v_mul_f32_e32 v4, v39, v35
	v_add_f32_e32 v2, v2, v6
	v_add_f32_e32 v3, v3, v5
	v_fma_f32 v4, v38, v34, -v4
	v_mul_f32_e32 v5, v38, v35
	v_fmac_f32_e32 v5, v39, v34
	v_add_f32_e32 v13, v2, v4
	v_mul_f32_e32 v2, v41, v37
	v_add_f32_e32 v15, v3, v5
	v_fma_f32 v30, v40, v36, -v2
	ds_read_b128 v[2:5], v18 offset:160
	ds_read2_b64 v[6:9], v29 offset0:128 offset1:160
	flat_load_dwordx2 v[38:39], v[10:11]
	v_mul_f32_e32 v31, v40, v37
	v_fmac_f32_e32 v31, v41, v36
	v_add_f32_e32 v13, v13, v30
	s_waitcnt lgkmcnt(0)
	v_mul_f32_e32 v34, v7, v3
	v_fma_f32 v34, v6, v2, -v34
	v_mul_f32_e32 v3, v6, v3
	v_add_f32_e32 v15, v15, v31
	ds_read_b128 v[30:33], v18 offset:176
	v_fmac_f32_e32 v3, v7, v2
	v_add_f32_e32 v2, v13, v34
	ds_read2_b64 v[34:37], v29 offset0:192 offset1:224
	v_mul_f32_e32 v6, v9, v5
	v_mul_f32_e32 v5, v8, v5
	v_add_f32_e32 v3, v15, v3
	v_fmac_f32_e32 v5, v9, v4
	v_fma_f32 v6, v8, v4, -v6
	v_add_f32_e32 v13, v3, v5
	s_waitcnt lgkmcnt(0)
	v_mul_f32_e32 v3, v35, v31
	v_add_f32_e32 v2, v2, v6
	v_fma_f32 v3, v34, v30, -v3
	v_mul_f32_e32 v15, v34, v31
	v_fmac_f32_e32 v15, v35, v30
	v_add_f32_e32 v30, v2, v3
	v_mul_f32_e32 v2, v37, v33
	v_add_u32_e32 v34, 0x1800, v22
	v_fma_f32 v31, v36, v32, -v2
	ds_read_b128 v[2:5], v18 offset:192
	ds_read2_b64 v[6:9], v34 offset1:32
	v_mul_f32_e32 v33, v36, v33
	v_fmac_f32_e32 v33, v37, v32
	v_add_f32_e32 v13, v13, v15
	v_add_f32_e32 v15, v30, v31
	;; [unrolled: 1-line block ×3, first 2 shown]
	ds_read_b128 v[30:33], v18 offset:208
	s_waitcnt lgkmcnt(0)
	v_mul_f32_e32 v35, v7, v3
	v_fma_f32 v35, v6, v2, -v35
	v_mul_f32_e32 v6, v6, v3
	v_fmac_f32_e32 v6, v7, v2
	v_mul_f32_e32 v2, v9, v5
	v_fma_f32 v7, v8, v4, -v2
	v_mul_f32_e32 v8, v8, v5
	v_fmac_f32_e32 v8, v9, v4
	ds_read2_b64 v[2:5], v34 offset0:64 offset1:96
	v_add_f32_e32 v6, v13, v6
	v_add_f32_e32 v9, v15, v35
	;; [unrolled: 1-line block ×4, first 2 shown]
	s_waitcnt lgkmcnt(0)
	v_mul_f32_e32 v6, v3, v31
	v_fma_f32 v6, v2, v30, -v6
	v_mul_f32_e32 v15, v2, v31
	v_mul_f32_e32 v2, v5, v33
	;; [unrolled: 1-line block ×3, first 2 shown]
	v_fmac_f32_e32 v15, v3, v30
	v_add_f32_e32 v30, v7, v6
	v_fma_f32 v31, v4, v32, -v2
	v_fmac_f32_e32 v33, v5, v32
	ds_read_b128 v[2:5], v18 offset:224
	ds_read2_b64 v[6:9], v34 offset0:128 offset1:160
	v_add_f32_e32 v13, v13, v15
	v_add_f32_e32 v15, v30, v31
	;; [unrolled: 1-line block ×3, first 2 shown]
	ds_read_b128 v[30:33], v18 offset:240
	s_waitcnt lgkmcnt(0)
	v_mul_f32_e32 v35, v7, v3
	v_fma_f32 v35, v6, v2, -v35
	v_mul_f32_e32 v3, v6, v3
	v_fmac_f32_e32 v3, v7, v2
	v_add_f32_e32 v2, v15, v35
	ds_read2_b64 v[34:37], v34 offset0:192 offset1:224
	v_mul_f32_e32 v6, v9, v5
	v_mul_f32_e32 v5, v8, v5
	v_add_f32_e32 v3, v13, v3
	v_fmac_f32_e32 v5, v9, v4
	v_add_f32_e32 v3, v3, v5
	s_waitcnt lgkmcnt(0)
	v_mul_f32_e32 v5, v34, v31
	v_fma_f32 v6, v8, v4, -v6
	v_mul_f32_e32 v4, v35, v31
	v_fmac_f32_e32 v5, v35, v30
	v_add_f32_e32 v2, v2, v6
	v_fma_f32 v4, v34, v30, -v4
	v_add_f32_e32 v3, v3, v5
	v_mul_f32_e32 v5, v36, v33
	v_add_f32_e32 v2, v2, v4
	v_mul_f32_e32 v4, v37, v33
	v_fmac_f32_e32 v5, v37, v32
	v_fma_f32 v4, v36, v32, -v4
	v_add_f32_e32 v3, v3, v5
	v_add_f32_e32 v2, v2, v4
	v_mul_f32_e32 v4, s16, v3
	v_mul_f32_e32 v3, s15, v3
	v_fma_f32 v4, s15, v2, -v4
	v_fmac_f32_e32 v3, s16, v2
	s_waitcnt vmcnt(0)
	v_add_f32_e32 v2, v38, v4
	v_add_f32_e32 v3, v39, v3
	flat_store_dwordx2 v[10:11], v[2:3]
.LBB1937_11:                            ;   in Loop: Header=BB1937_5 Depth=1
	s_or_b64 exec, exec, s[2:3]
	v_mov_b32_e32 v4, 0
	v_mov_b32_e32 v3, 0
	;; [unrolled: 1-line block ×3, first 2 shown]
	s_waitcnt vmcnt(0) lgkmcnt(0)
	s_barrier
	s_and_saveexec_b64 s[12:13], s[6:7]
	s_cbranch_execz .LBB1937_13
; %bb.12:                               ;   in Loop: Header=BB1937_5 Depth=1
	v_ashrrev_i32_e32 v13, 31, v12
	v_lshlrev_b64 v[4:5], 3, v[12:13]
	v_add_co_u32_e64 v4, s[2:3], v24, v4
	v_addc_co_u32_e64 v5, s[2:3], v25, v5, s[2:3]
	flat_load_dwordx2 v[4:5], v[4:5]
	s_waitcnt vmcnt(0) lgkmcnt(0)
	v_xor_b32_e32 v5, 0x80000000, v5
.LBB1937_13:                            ;   in Loop: Header=BB1937_5 Depth=1
	s_or_b64 exec, exec, s[12:13]
	v_mov_b32_e32 v2, 0
	ds_write_b64 v19, v[4:5]
	s_and_saveexec_b64 s[6:7], s[10:11]
	s_cbranch_execz .LBB1937_15
; %bb.14:                               ;   in Loop: Header=BB1937_5 Depth=1
	v_ashrrev_i32_e32 v15, 31, v14
	v_lshlrev_b64 v[2:3], 3, v[14:15]
	v_add_co_u32_e64 v2, s[2:3], v26, v2
	v_addc_co_u32_e64 v3, s[2:3], v27, v3, s[2:3]
	flat_load_dwordx2 v[2:3], v[2:3]
.LBB1937_15:                            ;   in Loop: Header=BB1937_5 Depth=1
	s_or_b64 exec, exec, s[6:7]
	s_waitcnt vmcnt(0) lgkmcnt(0)
	ds_write_b64 v23, v[2:3]
	s_waitcnt lgkmcnt(0)
	s_barrier
	s_and_saveexec_b64 s[2:3], s[4:5]
	s_cbranch_execz .LBB1937_4
; %bb.16:                               ;   in Loop: Header=BB1937_5 Depth=1
	ds_read2_b64 v[2:5], v22 offset1:32
	ds_read_b128 v[6:9], v18
	ds_read_b128 v[12:15], v18 offset:16
	ds_read_b128 v[30:33], v18 offset:32
	;; [unrolled: 1-line block ×3, first 2 shown]
	s_waitcnt lgkmcnt(3)
	v_mul_f32_e32 v38, v3, v7
	v_fma_f32 v38, v2, v6, -v38
	v_mul_f32_e32 v2, v2, v7
	v_fmac_f32_e32 v2, v3, v6
	v_add_f32_e32 v3, 0, v38
	ds_read2_b64 v[38:41], v22 offset0:64 offset1:96
	v_mul_f32_e32 v6, v5, v9
	v_fma_f32 v6, v4, v8, -v6
	v_mul_f32_e32 v4, v4, v9
	v_add_f32_e32 v2, 0, v2
	v_fmac_f32_e32 v4, v5, v8
	s_waitcnt lgkmcnt(0)
	v_mul_f32_e32 v5, v38, v13
	v_add_f32_e32 v2, v2, v4
	v_mul_f32_e32 v4, v39, v13
	v_fmac_f32_e32 v5, v39, v12
	v_add_f32_e32 v3, v3, v6
	v_fma_f32 v4, v38, v12, -v4
	v_add_f32_e32 v7, v2, v5
	v_mul_f32_e32 v2, v41, v15
	v_add_f32_e32 v6, v3, v4
	v_fma_f32 v8, v40, v14, -v2
	ds_read2_b64 v[2:5], v22 offset0:128 offset1:160
	v_mul_f32_e32 v9, v40, v15
	v_add_f32_e32 v6, v6, v8
	v_fmac_f32_e32 v9, v41, v14
	v_add_f32_e32 v7, v7, v9
	s_waitcnt lgkmcnt(0)
	v_mul_f32_e32 v8, v3, v31
	v_fma_f32 v8, v2, v30, -v8
	v_mul_f32_e32 v2, v2, v31
	v_fmac_f32_e32 v2, v3, v30
	v_add_f32_e32 v3, v6, v8
	v_mul_f32_e32 v6, v5, v33
	v_add_f32_e32 v2, v7, v2
	v_fma_f32 v12, v4, v32, -v6
	ds_read2_b64 v[6:9], v22 offset0:192 offset1:224
	v_mul_f32_e32 v4, v4, v33
	v_fmac_f32_e32 v4, v5, v32
	v_add_f32_e32 v2, v2, v4
	v_add_f32_e32 v3, v3, v12
	s_waitcnt lgkmcnt(0)
	v_mul_f32_e32 v5, v6, v35
	v_mul_f32_e32 v4, v7, v35
	v_fmac_f32_e32 v5, v7, v34
	v_fma_f32 v4, v6, v34, -v4
	v_add_f32_e32 v7, v2, v5
	v_mul_f32_e32 v2, v9, v37
	v_add_f32_e32 v6, v3, v4
	v_fma_f32 v30, v8, v36, -v2
	ds_read_b128 v[2:5], v18 offset:64
	ds_read2_b64 v[12:15], v28 offset1:32
	v_mul_f32_e32 v8, v8, v37
	v_fmac_f32_e32 v8, v9, v36
	v_add_f32_e32 v30, v6, v30
	v_add_f32_e32 v31, v7, v8
	s_waitcnt lgkmcnt(0)
	v_mul_f32_e32 v32, v13, v3
	v_mul_f32_e32 v3, v12, v3
	v_fma_f32 v32, v12, v2, -v32
	v_fmac_f32_e32 v3, v13, v2
	ds_read_b128 v[6:9], v18 offset:80
	v_add_f32_e32 v2, v30, v32
	v_add_f32_e32 v3, v31, v3
	ds_read2_b64 v[30:33], v28 offset0:64 offset1:96
	v_mul_f32_e32 v12, v15, v5
	v_mul_f32_e32 v5, v14, v5
	v_fma_f32 v12, v14, v4, -v12
	v_fmac_f32_e32 v5, v15, v4
	s_waitcnt lgkmcnt(0)
	v_mul_f32_e32 v4, v31, v7
	v_add_f32_e32 v2, v2, v12
	v_add_f32_e32 v3, v3, v5
	v_fma_f32 v4, v30, v6, -v4
	v_mul_f32_e32 v5, v30, v7
	v_fmac_f32_e32 v5, v31, v6
	v_add_f32_e32 v6, v2, v4
	v_mul_f32_e32 v2, v33, v9
	v_add_f32_e32 v7, v3, v5
	v_fma_f32 v30, v32, v8, -v2
	ds_read_b128 v[2:5], v18 offset:96
	ds_read2_b64 v[12:15], v28 offset0:128 offset1:160
	v_mul_f32_e32 v9, v32, v9
	v_fmac_f32_e32 v9, v33, v8
	v_add_f32_e32 v30, v6, v30
	v_add_f32_e32 v31, v7, v9
	s_waitcnt lgkmcnt(0)
	v_mul_f32_e32 v32, v13, v3
	v_mul_f32_e32 v3, v12, v3
	v_fma_f32 v32, v12, v2, -v32
	v_fmac_f32_e32 v3, v13, v2
	ds_read_b128 v[6:9], v18 offset:112
	v_add_f32_e32 v2, v30, v32
	v_add_f32_e32 v3, v31, v3
	ds_read2_b64 v[30:33], v28 offset0:192 offset1:224
	v_mul_f32_e32 v12, v15, v5
	v_mul_f32_e32 v5, v14, v5
	v_fma_f32 v12, v14, v4, -v12
	v_fmac_f32_e32 v5, v15, v4
	s_waitcnt lgkmcnt(0)
	v_mul_f32_e32 v4, v31, v7
	v_add_f32_e32 v2, v2, v12
	v_add_f32_e32 v3, v3, v5
	v_fma_f32 v4, v30, v6, -v4
	v_mul_f32_e32 v5, v30, v7
	v_fmac_f32_e32 v5, v31, v6
	v_add_f32_e32 v6, v2, v4
	v_mul_f32_e32 v2, v33, v9
	v_add_f32_e32 v7, v3, v5
	v_fma_f32 v30, v32, v8, -v2
	ds_read_b128 v[2:5], v18 offset:128
	ds_read2_b64 v[12:15], v29 offset1:32
	v_mul_f32_e32 v9, v32, v9
	v_fmac_f32_e32 v9, v33, v8
	v_add_f32_e32 v6, v6, v30
	ds_read_b128 v[30:33], v18 offset:144
	ds_read2_b64 v[34:37], v29 offset0:64 offset1:96
	s_waitcnt lgkmcnt(2)
	v_mul_f32_e32 v8, v13, v3
	v_fma_f32 v8, v12, v2, -v8
	v_mul_f32_e32 v3, v12, v3
	v_add_f32_e32 v7, v7, v9
	v_fmac_f32_e32 v3, v13, v2
	v_add_f32_e32 v2, v6, v8
	v_mul_f32_e32 v6, v15, v5
	v_mul_f32_e32 v5, v14, v5
	v_add_f32_e32 v3, v7, v3
	v_fma_f32 v6, v14, v4, -v6
	v_fmac_f32_e32 v5, v15, v4
	s_waitcnt lgkmcnt(0)
	v_mul_f32_e32 v4, v35, v31
	v_add_f32_e32 v2, v2, v6
	v_add_f32_e32 v3, v3, v5
	v_fma_f32 v4, v34, v30, -v4
	v_mul_f32_e32 v5, v34, v31
	v_fmac_f32_e32 v5, v35, v30
	v_add_f32_e32 v12, v2, v4
	v_mul_f32_e32 v2, v37, v33
	v_add_f32_e32 v13, v3, v5
	v_fma_f32 v14, v36, v32, -v2
	ds_read_b128 v[2:5], v18 offset:160
	ds_read2_b64 v[6:9], v29 offset0:128 offset1:160
	flat_load_dwordx2 v[34:35], v[10:11]
	v_mul_f32_e32 v15, v36, v33
	v_fmac_f32_e32 v15, v37, v32
	v_add_f32_e32 v30, v12, v14
	s_waitcnt lgkmcnt(0)
	v_mul_f32_e32 v32, v7, v3
	v_mul_f32_e32 v3, v6, v3
	v_add_f32_e32 v31, v13, v15
	v_fma_f32 v32, v6, v2, -v32
	v_fmac_f32_e32 v3, v7, v2
	ds_read_b128 v[12:15], v18 offset:176
	v_add_f32_e32 v2, v30, v32
	v_add_f32_e32 v3, v31, v3
	ds_read2_b64 v[30:33], v29 offset0:192 offset1:224
	v_mul_f32_e32 v6, v9, v5
	v_mul_f32_e32 v5, v8, v5
	v_fma_f32 v6, v8, v4, -v6
	v_fmac_f32_e32 v5, v9, v4
	s_waitcnt lgkmcnt(0)
	v_mul_f32_e32 v4, v31, v13
	v_add_f32_e32 v2, v2, v6
	v_add_f32_e32 v3, v3, v5
	v_fma_f32 v4, v30, v12, -v4
	v_mul_f32_e32 v5, v30, v13
	v_fmac_f32_e32 v5, v31, v12
	v_add_f32_e32 v12, v2, v4
	v_mul_f32_e32 v2, v33, v15
	v_add_u32_e32 v36, 0x1800, v22
	v_add_f32_e32 v13, v3, v5
	v_fma_f32 v30, v32, v14, -v2
	ds_read_b128 v[2:5], v18 offset:192
	ds_read2_b64 v[6:9], v36 offset1:32
	v_mul_f32_e32 v15, v32, v15
	v_fmac_f32_e32 v15, v33, v14
	v_add_f32_e32 v30, v12, v30
	v_add_f32_e32 v31, v13, v15
	ds_read_b128 v[12:15], v18 offset:208
	s_waitcnt lgkmcnt(0)
	v_mul_f32_e32 v32, v7, v3
	v_mul_f32_e32 v3, v6, v3
	v_fma_f32 v32, v6, v2, -v32
	v_fmac_f32_e32 v3, v7, v2
	v_add_f32_e32 v2, v30, v32
	v_add_f32_e32 v3, v31, v3
	ds_read2_b64 v[30:33], v36 offset0:64 offset1:96
	v_mul_f32_e32 v6, v9, v5
	v_mul_f32_e32 v5, v8, v5
	v_fma_f32 v6, v8, v4, -v6
	v_fmac_f32_e32 v5, v9, v4
	s_waitcnt lgkmcnt(0)
	v_mul_f32_e32 v4, v31, v13
	v_add_f32_e32 v2, v2, v6
	v_add_f32_e32 v3, v3, v5
	v_fma_f32 v4, v30, v12, -v4
	v_mul_f32_e32 v5, v30, v13
	v_fmac_f32_e32 v5, v31, v12
	v_add_f32_e32 v12, v2, v4
	v_mul_f32_e32 v2, v33, v15
	v_add_f32_e32 v13, v3, v5
	v_fma_f32 v30, v32, v14, -v2
	ds_read_b128 v[2:5], v18 offset:224
	ds_read2_b64 v[6:9], v36 offset0:128 offset1:160
	v_mul_f32_e32 v15, v32, v15
	v_fmac_f32_e32 v15, v33, v14
	v_add_f32_e32 v30, v12, v30
	v_add_f32_e32 v31, v13, v15
	s_waitcnt lgkmcnt(0)
	v_mul_f32_e32 v32, v7, v3
	v_mul_f32_e32 v3, v6, v3
	v_fma_f32 v32, v6, v2, -v32
	v_fmac_f32_e32 v3, v7, v2
	ds_read_b128 v[12:15], v18 offset:240
	v_add_f32_e32 v2, v30, v32
	v_add_f32_e32 v3, v31, v3
	ds_read2_b64 v[30:33], v36 offset0:192 offset1:224
	v_mul_f32_e32 v6, v9, v5
	v_mul_f32_e32 v5, v8, v5
	v_fma_f32 v6, v8, v4, -v6
	v_fmac_f32_e32 v5, v9, v4
	s_waitcnt lgkmcnt(0)
	v_mul_f32_e32 v4, v31, v13
	v_add_f32_e32 v2, v2, v6
	v_add_f32_e32 v3, v3, v5
	v_fma_f32 v4, v30, v12, -v4
	v_mul_f32_e32 v5, v30, v13
	v_fmac_f32_e32 v5, v31, v12
	v_add_f32_e32 v2, v2, v4
	v_mul_f32_e32 v4, v33, v15
	v_add_f32_e32 v3, v3, v5
	v_fma_f32 v4, v32, v14, -v4
	v_mul_f32_e32 v5, v32, v15
	v_fmac_f32_e32 v5, v33, v14
	v_add_f32_e32 v2, v2, v4
	v_add_f32_e32 v3, v3, v5
	v_mul_f32_e32 v4, s15, v2
	v_mul_f32_e32 v2, s16, v2
	v_fmac_f32_e32 v4, s16, v3
	v_fma_f32 v3, s15, v3, -v2
	s_waitcnt vmcnt(0)
	v_add_f32_e32 v2, v34, v4
	v_add_f32_e32 v3, v35, v3
	flat_store_dwordx2 v[10:11], v[2:3]
	s_branch .LBB1937_4
.LBB1937_17:
	s_endpgm
	.section	.rodata,"a",@progbits
	.p2align	6, 0x0
	.amdhsa_kernel _ZL26rocblas_syr2k_her2k_kernelIiLb1ELb1ELb1ELi32E19rocblas_complex_numIfEPKPKS1_PKPS1_EvbiT_T4_T5_S9_lSB_S9_lT6_S9_li
		.amdhsa_group_segment_fixed_size 16384
		.amdhsa_private_segment_fixed_size 0
		.amdhsa_kernarg_size 100
		.amdhsa_user_sgpr_count 6
		.amdhsa_user_sgpr_private_segment_buffer 1
		.amdhsa_user_sgpr_dispatch_ptr 0
		.amdhsa_user_sgpr_queue_ptr 0
		.amdhsa_user_sgpr_kernarg_segment_ptr 1
		.amdhsa_user_sgpr_dispatch_id 0
		.amdhsa_user_sgpr_flat_scratch_init 0
		.amdhsa_user_sgpr_private_segment_size 0
		.amdhsa_uses_dynamic_stack 0
		.amdhsa_system_sgpr_private_segment_wavefront_offset 0
		.amdhsa_system_sgpr_workgroup_id_x 1
		.amdhsa_system_sgpr_workgroup_id_y 1
		.amdhsa_system_sgpr_workgroup_id_z 1
		.amdhsa_system_sgpr_workgroup_info 0
		.amdhsa_system_vgpr_workitem_id 1
		.amdhsa_next_free_vgpr 42
		.amdhsa_next_free_sgpr 61
		.amdhsa_reserve_vcc 1
		.amdhsa_reserve_flat_scratch 0
		.amdhsa_float_round_mode_32 0
		.amdhsa_float_round_mode_16_64 0
		.amdhsa_float_denorm_mode_32 3
		.amdhsa_float_denorm_mode_16_64 3
		.amdhsa_dx10_clamp 1
		.amdhsa_ieee_mode 1
		.amdhsa_fp16_overflow 0
		.amdhsa_exception_fp_ieee_invalid_op 0
		.amdhsa_exception_fp_denorm_src 0
		.amdhsa_exception_fp_ieee_div_zero 0
		.amdhsa_exception_fp_ieee_overflow 0
		.amdhsa_exception_fp_ieee_underflow 0
		.amdhsa_exception_fp_ieee_inexact 0
		.amdhsa_exception_int_div_zero 0
	.end_amdhsa_kernel
	.section	.text._ZL26rocblas_syr2k_her2k_kernelIiLb1ELb1ELb1ELi32E19rocblas_complex_numIfEPKPKS1_PKPS1_EvbiT_T4_T5_S9_lSB_S9_lT6_S9_li,"axG",@progbits,_ZL26rocblas_syr2k_her2k_kernelIiLb1ELb1ELb1ELi32E19rocblas_complex_numIfEPKPKS1_PKPS1_EvbiT_T4_T5_S9_lSB_S9_lT6_S9_li,comdat
.Lfunc_end1937:
	.size	_ZL26rocblas_syr2k_her2k_kernelIiLb1ELb1ELb1ELi32E19rocblas_complex_numIfEPKPKS1_PKPS1_EvbiT_T4_T5_S9_lSB_S9_lT6_S9_li, .Lfunc_end1937-_ZL26rocblas_syr2k_her2k_kernelIiLb1ELb1ELb1ELi32E19rocblas_complex_numIfEPKPKS1_PKPS1_EvbiT_T4_T5_S9_lSB_S9_lT6_S9_li
                                        ; -- End function
	.set _ZL26rocblas_syr2k_her2k_kernelIiLb1ELb1ELb1ELi32E19rocblas_complex_numIfEPKPKS1_PKPS1_EvbiT_T4_T5_S9_lSB_S9_lT6_S9_li.num_vgpr, 42
	.set _ZL26rocblas_syr2k_her2k_kernelIiLb1ELb1ELb1ELi32E19rocblas_complex_numIfEPKPKS1_PKPS1_EvbiT_T4_T5_S9_lSB_S9_lT6_S9_li.num_agpr, 0
	.set _ZL26rocblas_syr2k_her2k_kernelIiLb1ELb1ELb1ELi32E19rocblas_complex_numIfEPKPKS1_PKPS1_EvbiT_T4_T5_S9_lSB_S9_lT6_S9_li.numbered_sgpr, 29
	.set _ZL26rocblas_syr2k_her2k_kernelIiLb1ELb1ELb1ELi32E19rocblas_complex_numIfEPKPKS1_PKPS1_EvbiT_T4_T5_S9_lSB_S9_lT6_S9_li.num_named_barrier, 0
	.set _ZL26rocblas_syr2k_her2k_kernelIiLb1ELb1ELb1ELi32E19rocblas_complex_numIfEPKPKS1_PKPS1_EvbiT_T4_T5_S9_lSB_S9_lT6_S9_li.private_seg_size, 0
	.set _ZL26rocblas_syr2k_her2k_kernelIiLb1ELb1ELb1ELi32E19rocblas_complex_numIfEPKPKS1_PKPS1_EvbiT_T4_T5_S9_lSB_S9_lT6_S9_li.uses_vcc, 1
	.set _ZL26rocblas_syr2k_her2k_kernelIiLb1ELb1ELb1ELi32E19rocblas_complex_numIfEPKPKS1_PKPS1_EvbiT_T4_T5_S9_lSB_S9_lT6_S9_li.uses_flat_scratch, 0
	.set _ZL26rocblas_syr2k_her2k_kernelIiLb1ELb1ELb1ELi32E19rocblas_complex_numIfEPKPKS1_PKPS1_EvbiT_T4_T5_S9_lSB_S9_lT6_S9_li.has_dyn_sized_stack, 0
	.set _ZL26rocblas_syr2k_her2k_kernelIiLb1ELb1ELb1ELi32E19rocblas_complex_numIfEPKPKS1_PKPS1_EvbiT_T4_T5_S9_lSB_S9_lT6_S9_li.has_recursion, 0
	.set _ZL26rocblas_syr2k_her2k_kernelIiLb1ELb1ELb1ELi32E19rocblas_complex_numIfEPKPKS1_PKPS1_EvbiT_T4_T5_S9_lSB_S9_lT6_S9_li.has_indirect_call, 0
	.section	.AMDGPU.csdata,"",@progbits
; Kernel info:
; codeLenInByte = 3492
; TotalNumSgprs: 33
; NumVgprs: 42
; ScratchSize: 0
; MemoryBound: 0
; FloatMode: 240
; IeeeMode: 1
; LDSByteSize: 16384 bytes/workgroup (compile time only)
; SGPRBlocks: 8
; VGPRBlocks: 10
; NumSGPRsForWavesPerEU: 65
; NumVGPRsForWavesPerEU: 42
; Occupancy: 5
; WaveLimiterHint : 1
; COMPUTE_PGM_RSRC2:SCRATCH_EN: 0
; COMPUTE_PGM_RSRC2:USER_SGPR: 6
; COMPUTE_PGM_RSRC2:TRAP_HANDLER: 0
; COMPUTE_PGM_RSRC2:TGID_X_EN: 1
; COMPUTE_PGM_RSRC2:TGID_Y_EN: 1
; COMPUTE_PGM_RSRC2:TGID_Z_EN: 1
; COMPUTE_PGM_RSRC2:TIDIG_COMP_CNT: 1
	.section	.text._ZL26rocblas_syr2k_her2k_kernelIiLb1ELb1ELb0ELi32EPK19rocblas_complex_numIfEPKS3_PKPS1_EvbiT_T4_T5_S9_lSB_S9_lT6_S9_li,"axG",@progbits,_ZL26rocblas_syr2k_her2k_kernelIiLb1ELb1ELb0ELi32EPK19rocblas_complex_numIfEPKS3_PKPS1_EvbiT_T4_T5_S9_lSB_S9_lT6_S9_li,comdat
	.globl	_ZL26rocblas_syr2k_her2k_kernelIiLb1ELb1ELb0ELi32EPK19rocblas_complex_numIfEPKS3_PKPS1_EvbiT_T4_T5_S9_lSB_S9_lT6_S9_li ; -- Begin function _ZL26rocblas_syr2k_her2k_kernelIiLb1ELb1ELb0ELi32EPK19rocblas_complex_numIfEPKS3_PKPS1_EvbiT_T4_T5_S9_lSB_S9_lT6_S9_li
	.p2align	8
	.type	_ZL26rocblas_syr2k_her2k_kernelIiLb1ELb1ELb0ELi32EPK19rocblas_complex_numIfEPKS3_PKPS1_EvbiT_T4_T5_S9_lSB_S9_lT6_S9_li,@function
_ZL26rocblas_syr2k_her2k_kernelIiLb1ELb1ELb0ELi32EPK19rocblas_complex_numIfEPKS3_PKPS1_EvbiT_T4_T5_S9_lSB_S9_lT6_S9_li: ; @_ZL26rocblas_syr2k_her2k_kernelIiLb1ELb1ELb0ELi32EPK19rocblas_complex_numIfEPKS3_PKPS1_EvbiT_T4_T5_S9_lSB_S9_lT6_S9_li
; %bb.0:
	s_load_dwordx4 s[0:3], s[4:5], 0x10
	s_waitcnt lgkmcnt(0)
	s_load_dwordx2 s[10:11], s[0:1], 0x0
	s_waitcnt lgkmcnt(0)
	v_cmp_eq_f32_e64 s[0:1], s10, 0
	v_cmp_eq_f32_e64 s[12:13], s11, 0
	s_and_b64 s[0:1], s[0:1], s[12:13]
	s_and_b64 vcc, exec, s[0:1]
	s_cbranch_vccnz .LBB1938_17
; %bb.1:
	s_load_dwordx4 s[12:15], s[4:5], 0x0
	s_lshl_b32 s0, s7, 5
	s_lshl_b32 s1, s6, 5
	s_waitcnt lgkmcnt(0)
	s_and_b32 s6, 1, s12
	s_cmp_eq_u32 s6, 1
	s_cselect_b64 vcc, -1, 0
	s_and_b64 s[6:7], vcc, exec
	s_cselect_b32 s6, s1, s0
	s_cselect_b32 s7, s0, s1
	s_cmp_gt_i32 s6, s7
	s_cbranch_scc1 .LBB1938_17
; %bb.2:
	s_cmp_lt_i32 s14, 1
	s_cbranch_scc1 .LBB1938_17
; %bb.3:
	s_mov_b32 s9, 0
	s_load_dword s15, s[4:5], 0x20
	s_load_dwordx4 s[20:23], s[4:5], 0x28
	s_load_dword s18, s[4:5], 0x38
	s_load_dwordx4 s[24:27], s[4:5], 0x40
	s_load_dword s12, s[4:5], 0x50
	s_load_dwordx2 s[6:7], s[4:5], 0x58
	s_lshl_b64 s[4:5], s[8:9], 3
	s_add_u32 s2, s2, s4
	s_addc_u32 s3, s3, s5
	s_load_dwordx2 s[2:3], s[2:3], 0x0
	s_waitcnt lgkmcnt(0)
	s_add_u32 s16, s22, s4
	s_addc_u32 s17, s23, s5
	s_load_dwordx2 s[16:17], s[16:17], 0x0
	s_add_u32 s4, s26, s4
	v_add_u32_e32 v3, s1, v0
	s_addc_u32 s5, s27, s5
	s_lshl_b64 s[20:21], s[20:21], 3
	v_ashrrev_i32_e32 v4, 31, v3
	s_load_dwordx2 s[4:5], s[4:5], 0x0
	s_add_u32 s8, s2, s20
	v_lshlrev_b64 v[4:5], 3, v[3:4]
	s_addc_u32 s19, s3, s21
	v_add_u32_e32 v2, s0, v1
	s_lshl_b64 s[2:3], s[24:25], 3
	v_cndmask_b32_e32 v8, v3, v2, vcc
	v_cndmask_b32_e32 v9, v2, v3, vcc
	v_cmp_gt_i32_e32 vcc, s13, v3
	v_mov_b32_e32 v3, s19
	v_add_co_u32_e64 v12, s[0:1], s8, v4
	s_waitcnt lgkmcnt(0)
	s_add_u32 s16, s16, s2
	v_addc_co_u32_e64 v13, s[0:1], v3, v5, s[0:1]
	v_ashrrev_i32_e32 v3, 31, v2
	s_addc_u32 s17, s17, s3
	s_lshl_b64 s[2:3], s[6:7], 3
	v_lshlrev_b64 v[6:7], 3, v[2:3]
	s_add_u32 s6, s4, s2
	s_addc_u32 s7, s5, s3
	v_mov_b32_e32 v3, s17
	v_add_co_u32_e64 v16, s[2:3], s16, v6
	v_cmp_gt_i32_e64 s[0:1], s13, v2
	v_addc_co_u32_e64 v17, s[2:3], v3, v7, s[2:3]
	v_mad_i64_i32 v[2:3], s[2:3], s12, v2, 0
	v_cmp_le_i32_e64 s[2:3], v9, v8
	s_and_b64 s[4:5], s[0:1], vcc
	v_lshlrev_b64 v[2:3], 3, v[2:3]
	s_and_b64 s[4:5], s[4:5], s[2:3]
	v_mov_b32_e32 v8, s7
	v_add_co_u32_e64 v2, s[2:3], s6, v2
	v_lshlrev_b32_e32 v14, 8, v0
	v_lshlrev_b32_e32 v10, 3, v1
	v_addc_co_u32_e64 v3, s[2:3], v8, v3, s[2:3]
	v_add_u32_e32 v15, v14, v10
	v_or_b32_e32 v18, 0x2000, v10
	v_add_co_u32_e64 v10, s[2:3], v2, v4
	v_addc_co_u32_e64 v11, s[2:3], v3, v5, s[2:3]
	v_mov_b32_e32 v2, s17
	v_add_co_u32_e64 v20, s[2:3], s16, v4
	v_addc_co_u32_e64 v21, s[2:3], v2, v5, s[2:3]
	v_mov_b32_e32 v2, s19
	v_add_co_u32_e64 v22, s[2:3], s8, v6
	v_add_u32_e32 v19, v18, v14
	v_addc_co_u32_e64 v23, s[2:3], v2, v7, s[2:3]
	v_add_u32_e32 v24, 0x800, v18
	v_add_u32_e32 v25, 0x1000, v18
	v_add_u32_e32 v26, 0x1800, v18
	s_branch .LBB1938_5
.LBB1938_4:                             ;   in Loop: Header=BB1938_5 Depth=1
	s_or_b64 exec, exec, s[2:3]
	s_add_i32 s9, s9, 32
	s_cmp_lt_i32 s9, s14
	s_waitcnt vmcnt(0) lgkmcnt(0)
	s_barrier
	s_cbranch_scc0 .LBB1938_17
.LBB1938_5:                             ; =>This Inner Loop Header: Depth=1
	v_add_u32_e32 v27, s9, v1
	v_cmp_gt_i32_e64 s[2:3], s14, v27
	s_and_b64 s[6:7], vcc, s[2:3]
	v_mov_b32_e32 v2, 0
	v_mov_b32_e32 v3, 0
	;; [unrolled: 1-line block ×3, first 2 shown]
	s_and_saveexec_b64 s[12:13], s[6:7]
	s_cbranch_execz .LBB1938_7
; %bb.6:                                ;   in Loop: Header=BB1938_5 Depth=1
	v_mad_i64_i32 v[3:4], s[2:3], v27, s15, 0
	v_lshlrev_b64 v[3:4], 3, v[3:4]
	v_add_co_u32_e64 v3, s[2:3], v12, v3
	v_addc_co_u32_e64 v4, s[2:3], v13, v4, s[2:3]
	flat_load_dwordx2 v[3:4], v[3:4]
.LBB1938_7:                             ;   in Loop: Header=BB1938_5 Depth=1
	s_or_b64 exec, exec, s[12:13]
	v_add_u32_e32 v28, s9, v0
	v_cmp_gt_i32_e64 s[2:3], s14, v28
	s_waitcnt vmcnt(0) lgkmcnt(0)
	ds_write_b64 v15, v[3:4]
	s_and_b64 s[12:13], s[0:1], s[2:3]
	v_mov_b32_e32 v3, 0
	s_and_saveexec_b64 s[16:17], s[12:13]
	s_cbranch_execz .LBB1938_9
; %bb.8:                                ;   in Loop: Header=BB1938_5 Depth=1
	v_mad_i64_i32 v[2:3], s[2:3], v28, s18, 0
	v_lshlrev_b64 v[2:3], 3, v[2:3]
	v_add_co_u32_e64 v2, s[2:3], v16, v2
	v_addc_co_u32_e64 v3, s[2:3], v17, v3, s[2:3]
	flat_load_dwordx2 v[2:3], v[2:3]
	s_waitcnt vmcnt(0) lgkmcnt(0)
	v_xor_b32_e32 v3, 0x80000000, v3
.LBB1938_9:                             ;   in Loop: Header=BB1938_5 Depth=1
	s_or_b64 exec, exec, s[16:17]
	ds_write_b64 v19, v[2:3]
	s_waitcnt lgkmcnt(0)
	s_barrier
	s_and_saveexec_b64 s[2:3], s[4:5]
	s_cbranch_execz .LBB1938_11
; %bb.10:                               ;   in Loop: Header=BB1938_5 Depth=1
	ds_read2_b64 v[2:5], v18 offset1:32
	ds_read_b128 v[6:9], v14
	ds_read_b128 v[29:32], v14 offset:16
	s_waitcnt lgkmcnt(1)
	v_mul_f32_e32 v33, v3, v7
	v_fma_f32 v38, v2, v6, -v33
	ds_read2_b64 v[33:36], v18 offset0:64 offset1:96
	v_mul_f32_e32 v37, v2, v7
	v_mul_f32_e32 v2, v5, v9
	v_fma_f32 v39, v4, v8, -v2
	v_fmac_f32_e32 v37, v3, v6
	s_waitcnt lgkmcnt(0)
	v_mul_f32_e32 v2, v34, v30
	v_mul_f32_e32 v40, v4, v9
	v_fma_f32 v41, v33, v29, -v2
	v_mul_f32_e32 v33, v33, v30
	v_mul_f32_e32 v2, v36, v32
	v_fmac_f32_e32 v40, v5, v8
	v_fmac_f32_e32 v33, v34, v29
	v_fma_f32 v34, v35, v31, -v2
	v_mul_f32_e32 v35, v35, v32
	v_add_f32_e32 v29, 0, v38
	v_add_f32_e32 v30, 0, v37
	v_fmac_f32_e32 v35, v36, v31
	ds_read_b128 v[2:5], v14 offset:32
	ds_read_b128 v[6:9], v14 offset:48
	v_add_f32_e32 v36, v29, v39
	v_add_f32_e32 v37, v30, v40
	ds_read2_b64 v[29:32], v18 offset0:128 offset1:160
	v_add_f32_e32 v33, v37, v33
	v_add_f32_e32 v36, v36, v41
	;; [unrolled: 1-line block ×4, first 2 shown]
	s_waitcnt lgkmcnt(0)
	v_mul_f32_e32 v35, v30, v3
	v_mul_f32_e32 v3, v29, v3
	v_fma_f32 v35, v29, v2, -v35
	v_fmac_f32_e32 v3, v30, v2
	v_add_f32_e32 v2, v34, v35
	v_add_f32_e32 v3, v33, v3
	ds_read2_b64 v[33:36], v18 offset0:192 offset1:224
	v_mul_f32_e32 v29, v32, v5
	v_mul_f32_e32 v5, v31, v5
	v_fma_f32 v29, v31, v4, -v29
	v_fmac_f32_e32 v5, v32, v4
	s_waitcnt lgkmcnt(0)
	v_mul_f32_e32 v4, v34, v7
	v_add_f32_e32 v2, v2, v29
	v_add_f32_e32 v3, v3, v5
	v_fma_f32 v4, v33, v6, -v4
	v_mul_f32_e32 v5, v33, v7
	v_fmac_f32_e32 v5, v34, v6
	v_add_f32_e32 v6, v2, v4
	v_mul_f32_e32 v2, v36, v9
	v_add_f32_e32 v7, v3, v5
	v_fma_f32 v33, v35, v8, -v2
	ds_read_b128 v[2:5], v14 offset:64
	ds_read2_b64 v[29:32], v24 offset1:32
	v_mul_f32_e32 v9, v35, v9
	v_fmac_f32_e32 v9, v36, v8
	v_add_f32_e32 v33, v6, v33
	v_add_f32_e32 v34, v7, v9
	s_waitcnt lgkmcnt(0)
	v_mul_f32_e32 v35, v30, v3
	v_mul_f32_e32 v3, v29, v3
	v_fma_f32 v35, v29, v2, -v35
	v_fmac_f32_e32 v3, v30, v2
	ds_read_b128 v[6:9], v14 offset:80
	v_add_f32_e32 v2, v33, v35
	v_add_f32_e32 v3, v34, v3
	ds_read2_b64 v[33:36], v24 offset0:64 offset1:96
	v_mul_f32_e32 v29, v32, v5
	v_mul_f32_e32 v5, v31, v5
	v_fma_f32 v29, v31, v4, -v29
	v_fmac_f32_e32 v5, v32, v4
	s_waitcnt lgkmcnt(0)
	v_mul_f32_e32 v4, v34, v7
	v_add_f32_e32 v2, v2, v29
	v_add_f32_e32 v3, v3, v5
	v_fma_f32 v4, v33, v6, -v4
	v_mul_f32_e32 v5, v33, v7
	v_fmac_f32_e32 v5, v34, v6
	v_add_f32_e32 v6, v2, v4
	v_mul_f32_e32 v2, v36, v9
	v_add_f32_e32 v7, v3, v5
	v_fma_f32 v33, v35, v8, -v2
	ds_read_b128 v[2:5], v14 offset:96
	ds_read2_b64 v[29:32], v24 offset0:128 offset1:160
	v_mul_f32_e32 v9, v35, v9
	v_fmac_f32_e32 v9, v36, v8
	v_add_f32_e32 v33, v6, v33
	v_add_f32_e32 v34, v7, v9
	s_waitcnt lgkmcnt(0)
	v_mul_f32_e32 v35, v30, v3
	v_mul_f32_e32 v3, v29, v3
	v_fma_f32 v35, v29, v2, -v35
	v_fmac_f32_e32 v3, v30, v2
	ds_read_b128 v[6:9], v14 offset:112
	v_add_f32_e32 v2, v33, v35
	v_add_f32_e32 v3, v34, v3
	ds_read2_b64 v[33:36], v24 offset0:192 offset1:224
	v_mul_f32_e32 v29, v32, v5
	v_mul_f32_e32 v5, v31, v5
	v_fma_f32 v29, v31, v4, -v29
	v_fmac_f32_e32 v5, v32, v4
	s_waitcnt lgkmcnt(0)
	v_mul_f32_e32 v4, v34, v7
	v_add_f32_e32 v2, v2, v29
	v_add_f32_e32 v3, v3, v5
	v_fma_f32 v4, v33, v6, -v4
	v_mul_f32_e32 v5, v33, v7
	v_fmac_f32_e32 v5, v34, v6
	v_add_f32_e32 v6, v2, v4
	v_mul_f32_e32 v2, v36, v9
	v_add_f32_e32 v7, v3, v5
	v_fma_f32 v33, v35, v8, -v2
	ds_read_b128 v[2:5], v14 offset:128
	ds_read2_b64 v[29:32], v25 offset1:32
	v_mul_f32_e32 v9, v35, v9
	v_fmac_f32_e32 v9, v36, v8
	v_add_f32_e32 v6, v6, v33
	ds_read_b128 v[33:36], v14 offset:144
	ds_read2_b64 v[37:40], v25 offset0:64 offset1:96
	s_waitcnt lgkmcnt(2)
	v_mul_f32_e32 v8, v30, v3
	v_fma_f32 v8, v29, v2, -v8
	v_mul_f32_e32 v3, v29, v3
	v_add_f32_e32 v7, v7, v9
	v_fmac_f32_e32 v3, v30, v2
	v_add_f32_e32 v2, v6, v8
	v_mul_f32_e32 v6, v32, v5
	v_mul_f32_e32 v5, v31, v5
	v_add_f32_e32 v3, v7, v3
	v_fma_f32 v6, v31, v4, -v6
	v_fmac_f32_e32 v5, v32, v4
	s_waitcnt lgkmcnt(0)
	v_mul_f32_e32 v4, v38, v34
	v_add_f32_e32 v2, v2, v6
	v_add_f32_e32 v3, v3, v5
	v_fma_f32 v4, v37, v33, -v4
	v_mul_f32_e32 v5, v37, v34
	v_fmac_f32_e32 v5, v38, v33
	v_add_f32_e32 v29, v2, v4
	v_mul_f32_e32 v2, v40, v36
	v_add_f32_e32 v30, v3, v5
	v_fma_f32 v31, v39, v35, -v2
	ds_read_b128 v[2:5], v14 offset:160
	ds_read2_b64 v[6:9], v25 offset0:128 offset1:160
	v_mul_f32_e32 v32, v39, v36
	v_fmac_f32_e32 v32, v40, v35
	v_add_f32_e32 v35, v29, v31
	v_add_f32_e32 v36, v30, v32
	s_waitcnt lgkmcnt(0)
	v_mul_f32_e32 v33, v7, v3
	v_fma_f32 v37, v6, v2, -v33
	flat_load_dwordx2 v[33:34], v[10:11]
	v_mul_f32_e32 v6, v6, v3
	v_fmac_f32_e32 v6, v7, v2
	v_mul_f32_e32 v2, v9, v5
	v_fma_f32 v7, v8, v4, -v2
	v_mul_f32_e32 v8, v8, v5
	ds_read_b128 v[29:32], v14 offset:176
	v_fmac_f32_e32 v8, v9, v4
	ds_read2_b64 v[2:5], v25 offset0:192 offset1:224
	v_add_f32_e32 v6, v36, v6
	v_add_f32_e32 v9, v35, v37
	;; [unrolled: 1-line block ×4, first 2 shown]
	s_waitcnt lgkmcnt(0)
	v_mul_f32_e32 v6, v3, v30
	v_fma_f32 v6, v2, v29, -v6
	v_mul_f32_e32 v30, v2, v30
	v_mul_f32_e32 v2, v5, v32
	;; [unrolled: 1-line block ×3, first 2 shown]
	v_fmac_f32_e32 v30, v3, v29
	v_add_f32_e32 v29, v7, v6
	v_fma_f32 v36, v4, v31, -v2
	v_fmac_f32_e32 v32, v5, v31
	ds_read_b128 v[2:5], v14 offset:192
	ds_read2_b64 v[6:9], v26 offset1:32
	v_add_f32_e32 v30, v35, v30
	v_add_f32_e32 v35, v29, v36
	;; [unrolled: 1-line block ×3, first 2 shown]
	ds_read_b128 v[29:32], v14 offset:208
	s_waitcnt lgkmcnt(0)
	v_mul_f32_e32 v37, v7, v3
	v_fma_f32 v37, v6, v2, -v37
	v_mul_f32_e32 v6, v6, v3
	v_fmac_f32_e32 v6, v7, v2
	v_mul_f32_e32 v2, v9, v5
	v_fma_f32 v7, v8, v4, -v2
	v_mul_f32_e32 v8, v8, v5
	v_fmac_f32_e32 v8, v9, v4
	ds_read2_b64 v[2:5], v26 offset0:64 offset1:96
	v_add_f32_e32 v6, v36, v6
	v_add_f32_e32 v9, v35, v37
	;; [unrolled: 1-line block ×4, first 2 shown]
	s_waitcnt lgkmcnt(0)
	v_mul_f32_e32 v6, v3, v30
	v_fma_f32 v6, v2, v29, -v6
	v_mul_f32_e32 v30, v2, v30
	v_mul_f32_e32 v2, v5, v32
	;; [unrolled: 1-line block ×3, first 2 shown]
	v_fmac_f32_e32 v30, v3, v29
	v_add_f32_e32 v29, v7, v6
	v_fma_f32 v36, v4, v31, -v2
	v_fmac_f32_e32 v32, v5, v31
	ds_read_b128 v[2:5], v14 offset:224
	ds_read2_b64 v[6:9], v26 offset0:128 offset1:160
	v_add_f32_e32 v30, v35, v30
	v_add_f32_e32 v35, v29, v36
	;; [unrolled: 1-line block ×3, first 2 shown]
	ds_read_b128 v[29:32], v14 offset:240
	s_waitcnt lgkmcnt(0)
	v_mul_f32_e32 v37, v7, v3
	v_fma_f32 v37, v6, v2, -v37
	v_mul_f32_e32 v6, v6, v3
	v_fmac_f32_e32 v6, v7, v2
	v_mul_f32_e32 v2, v9, v5
	v_fma_f32 v7, v8, v4, -v2
	v_mul_f32_e32 v8, v8, v5
	v_fmac_f32_e32 v8, v9, v4
	ds_read2_b64 v[2:5], v26 offset0:192 offset1:224
	v_add_f32_e32 v6, v36, v6
	v_add_f32_e32 v6, v6, v8
	;; [unrolled: 1-line block ×4, first 2 shown]
	s_waitcnt lgkmcnt(0)
	v_mul_f32_e32 v8, v3, v30
	v_fma_f32 v8, v2, v29, -v8
	v_mul_f32_e32 v2, v2, v30
	v_fmac_f32_e32 v2, v3, v29
	v_add_f32_e32 v2, v6, v2
	v_mul_f32_e32 v6, v5, v32
	v_fma_f32 v6, v4, v31, -v6
	v_mul_f32_e32 v4, v4, v32
	v_fmac_f32_e32 v4, v5, v31
	v_add_f32_e32 v3, v7, v8
	v_add_f32_e32 v2, v2, v4
	;; [unrolled: 1-line block ×3, first 2 shown]
	v_mul_f32_e32 v4, s11, v2
	v_mul_f32_e32 v5, s10, v2
	v_fma_f32 v4, s10, v3, -v4
	v_fmac_f32_e32 v5, s11, v3
	s_waitcnt vmcnt(0)
	v_add_f32_e32 v2, v33, v4
	v_add_f32_e32 v3, v34, v5
	flat_store_dwordx2 v[10:11], v[2:3]
.LBB1938_11:                            ;   in Loop: Header=BB1938_5 Depth=1
	s_or_b64 exec, exec, s[2:3]
	v_mov_b32_e32 v3, 0
	v_mov_b32_e32 v5, 0
	v_mov_b32_e32 v4, 0
	s_waitcnt vmcnt(0) lgkmcnt(0)
	s_barrier
	s_and_saveexec_b64 s[16:17], s[6:7]
	s_cbranch_execz .LBB1938_13
; %bb.12:                               ;   in Loop: Header=BB1938_5 Depth=1
	v_mad_i64_i32 v[4:5], s[2:3], v27, s18, 0
	v_lshlrev_b64 v[4:5], 3, v[4:5]
	v_add_co_u32_e64 v4, s[2:3], v20, v4
	v_addc_co_u32_e64 v5, s[2:3], v21, v5, s[2:3]
	flat_load_dwordx2 v[4:5], v[4:5]
.LBB1938_13:                            ;   in Loop: Header=BB1938_5 Depth=1
	s_or_b64 exec, exec, s[16:17]
	v_mov_b32_e32 v2, 0
	s_waitcnt vmcnt(0) lgkmcnt(0)
	ds_write_b64 v15, v[4:5]
	s_and_saveexec_b64 s[6:7], s[12:13]
	s_cbranch_execz .LBB1938_15
; %bb.14:                               ;   in Loop: Header=BB1938_5 Depth=1
	v_mad_i64_i32 v[2:3], s[2:3], v28, s15, 0
	v_lshlrev_b64 v[2:3], 3, v[2:3]
	v_add_co_u32_e64 v2, s[2:3], v22, v2
	v_addc_co_u32_e64 v3, s[2:3], v23, v3, s[2:3]
	flat_load_dwordx2 v[2:3], v[2:3]
	s_waitcnt vmcnt(0) lgkmcnt(0)
	v_xor_b32_e32 v3, 0x80000000, v3
.LBB1938_15:                            ;   in Loop: Header=BB1938_5 Depth=1
	s_or_b64 exec, exec, s[6:7]
	ds_write_b64 v19, v[2:3]
	s_waitcnt lgkmcnt(0)
	s_barrier
	s_and_saveexec_b64 s[2:3], s[4:5]
	s_cbranch_execz .LBB1938_4
; %bb.16:                               ;   in Loop: Header=BB1938_5 Depth=1
	ds_read2_b64 v[2:5], v18 offset1:32
	ds_read_b128 v[6:9], v14
	ds_read_b128 v[27:30], v14 offset:16
	s_waitcnt lgkmcnt(1)
	v_mul_f32_e32 v31, v3, v7
	v_mul_f32_e32 v35, v2, v7
	v_fma_f32 v36, v2, v6, -v31
	v_mul_f32_e32 v2, v5, v9
	v_mul_f32_e32 v38, v4, v9
	v_fmac_f32_e32 v35, v3, v6
	v_fma_f32 v37, v4, v8, -v2
	v_fmac_f32_e32 v38, v5, v8
	ds_read_b128 v[2:5], v14 offset:32
	ds_read_b128 v[6:9], v14 offset:48
	ds_read2_b64 v[31:34], v18 offset0:64 offset1:96
	v_add_f32_e32 v36, 0, v36
	v_add_f32_e32 v36, v36, v37
	;; [unrolled: 1-line block ×4, first 2 shown]
	s_waitcnt lgkmcnt(0)
	v_mul_f32_e32 v37, v32, v28
	v_fma_f32 v37, v31, v27, -v37
	v_mul_f32_e32 v31, v31, v28
	v_fmac_f32_e32 v31, v32, v27
	v_mul_f32_e32 v27, v34, v30
	v_fma_f32 v32, v33, v29, -v27
	v_mul_f32_e32 v33, v33, v30
	v_fmac_f32_e32 v33, v34, v29
	ds_read2_b64 v[27:30], v18 offset0:128 offset1:160
	v_add_f32_e32 v31, v35, v31
	v_add_f32_e32 v34, v36, v37
	;; [unrolled: 1-line block ×4, first 2 shown]
	s_waitcnt lgkmcnt(0)
	v_mul_f32_e32 v33, v28, v3
	v_mul_f32_e32 v3, v27, v3
	v_fma_f32 v33, v27, v2, -v33
	v_fmac_f32_e32 v3, v28, v2
	v_add_f32_e32 v2, v32, v33
	v_add_f32_e32 v3, v31, v3
	ds_read2_b64 v[31:34], v18 offset0:192 offset1:224
	v_mul_f32_e32 v27, v30, v5
	v_mul_f32_e32 v5, v29, v5
	v_fma_f32 v27, v29, v4, -v27
	v_fmac_f32_e32 v5, v30, v4
	s_waitcnt lgkmcnt(0)
	v_mul_f32_e32 v4, v32, v7
	v_add_f32_e32 v2, v2, v27
	v_add_f32_e32 v3, v3, v5
	v_fma_f32 v4, v31, v6, -v4
	v_mul_f32_e32 v5, v31, v7
	v_fmac_f32_e32 v5, v32, v6
	v_add_f32_e32 v6, v2, v4
	v_mul_f32_e32 v2, v34, v9
	v_add_f32_e32 v7, v3, v5
	v_fma_f32 v31, v33, v8, -v2
	ds_read_b128 v[2:5], v14 offset:64
	ds_read2_b64 v[27:30], v24 offset1:32
	v_mul_f32_e32 v9, v33, v9
	v_fmac_f32_e32 v9, v34, v8
	v_add_f32_e32 v31, v6, v31
	v_add_f32_e32 v32, v7, v9
	s_waitcnt lgkmcnt(0)
	v_mul_f32_e32 v33, v28, v3
	v_mul_f32_e32 v3, v27, v3
	v_fma_f32 v33, v27, v2, -v33
	v_fmac_f32_e32 v3, v28, v2
	ds_read_b128 v[6:9], v14 offset:80
	v_add_f32_e32 v2, v31, v33
	v_add_f32_e32 v3, v32, v3
	ds_read2_b64 v[31:34], v24 offset0:64 offset1:96
	v_mul_f32_e32 v27, v30, v5
	v_mul_f32_e32 v5, v29, v5
	v_fma_f32 v27, v29, v4, -v27
	v_fmac_f32_e32 v5, v30, v4
	s_waitcnt lgkmcnt(0)
	v_mul_f32_e32 v4, v32, v7
	v_add_f32_e32 v2, v2, v27
	v_add_f32_e32 v3, v3, v5
	v_fma_f32 v4, v31, v6, -v4
	v_mul_f32_e32 v5, v31, v7
	v_fmac_f32_e32 v5, v32, v6
	v_add_f32_e32 v6, v2, v4
	v_mul_f32_e32 v2, v34, v9
	v_add_f32_e32 v7, v3, v5
	v_fma_f32 v31, v33, v8, -v2
	ds_read_b128 v[2:5], v14 offset:96
	ds_read2_b64 v[27:30], v24 offset0:128 offset1:160
	v_mul_f32_e32 v9, v33, v9
	v_fmac_f32_e32 v9, v34, v8
	v_add_f32_e32 v31, v6, v31
	v_add_f32_e32 v32, v7, v9
	s_waitcnt lgkmcnt(0)
	v_mul_f32_e32 v33, v28, v3
	v_mul_f32_e32 v3, v27, v3
	v_fma_f32 v33, v27, v2, -v33
	v_fmac_f32_e32 v3, v28, v2
	ds_read_b128 v[6:9], v14 offset:112
	v_add_f32_e32 v2, v31, v33
	v_add_f32_e32 v3, v32, v3
	ds_read2_b64 v[31:34], v24 offset0:192 offset1:224
	v_mul_f32_e32 v27, v30, v5
	v_mul_f32_e32 v5, v29, v5
	v_fma_f32 v27, v29, v4, -v27
	v_fmac_f32_e32 v5, v30, v4
	s_waitcnt lgkmcnt(0)
	v_mul_f32_e32 v4, v32, v7
	v_add_f32_e32 v2, v2, v27
	v_add_f32_e32 v3, v3, v5
	v_fma_f32 v4, v31, v6, -v4
	v_mul_f32_e32 v5, v31, v7
	v_fmac_f32_e32 v5, v32, v6
	v_add_f32_e32 v6, v2, v4
	v_mul_f32_e32 v2, v34, v9
	v_add_f32_e32 v7, v3, v5
	v_fma_f32 v31, v33, v8, -v2
	ds_read_b128 v[2:5], v14 offset:128
	ds_read2_b64 v[27:30], v25 offset1:32
	v_mul_f32_e32 v9, v33, v9
	v_fmac_f32_e32 v9, v34, v8
	v_add_f32_e32 v6, v6, v31
	ds_read_b128 v[31:34], v14 offset:144
	ds_read2_b64 v[35:38], v25 offset0:64 offset1:96
	s_waitcnt lgkmcnt(2)
	v_mul_f32_e32 v8, v28, v3
	v_fma_f32 v8, v27, v2, -v8
	v_mul_f32_e32 v3, v27, v3
	v_add_f32_e32 v7, v7, v9
	v_fmac_f32_e32 v3, v28, v2
	v_add_f32_e32 v2, v6, v8
	v_mul_f32_e32 v6, v30, v5
	v_mul_f32_e32 v5, v29, v5
	v_add_f32_e32 v3, v7, v3
	v_fma_f32 v6, v29, v4, -v6
	v_fmac_f32_e32 v5, v30, v4
	s_waitcnt lgkmcnt(0)
	v_mul_f32_e32 v4, v36, v32
	v_add_f32_e32 v2, v2, v6
	v_add_f32_e32 v3, v3, v5
	v_fma_f32 v4, v35, v31, -v4
	v_mul_f32_e32 v5, v35, v32
	v_fmac_f32_e32 v5, v36, v31
	v_add_f32_e32 v27, v2, v4
	v_mul_f32_e32 v2, v38, v34
	v_add_f32_e32 v28, v3, v5
	v_fma_f32 v29, v37, v33, -v2
	ds_read_b128 v[2:5], v14 offset:160
	ds_read2_b64 v[6:9], v25 offset0:128 offset1:160
	flat_load_dwordx2 v[35:36], v[10:11]
	v_mul_f32_e32 v30, v37, v34
	v_fmac_f32_e32 v30, v38, v33
	v_add_f32_e32 v31, v27, v29
	s_waitcnt lgkmcnt(0)
	v_mul_f32_e32 v33, v7, v3
	v_mul_f32_e32 v3, v6, v3
	v_add_f32_e32 v32, v28, v30
	v_fma_f32 v33, v6, v2, -v33
	v_fmac_f32_e32 v3, v7, v2
	ds_read_b128 v[27:30], v14 offset:176
	v_add_f32_e32 v2, v31, v33
	v_add_f32_e32 v3, v32, v3
	ds_read2_b64 v[31:34], v25 offset0:192 offset1:224
	v_mul_f32_e32 v6, v9, v5
	v_mul_f32_e32 v5, v8, v5
	v_fma_f32 v6, v8, v4, -v6
	v_fmac_f32_e32 v5, v9, v4
	s_waitcnt lgkmcnt(0)
	v_mul_f32_e32 v4, v32, v28
	v_add_f32_e32 v2, v2, v6
	v_add_f32_e32 v3, v3, v5
	v_fma_f32 v4, v31, v27, -v4
	v_mul_f32_e32 v5, v31, v28
	v_fmac_f32_e32 v5, v32, v27
	v_add_f32_e32 v27, v2, v4
	v_mul_f32_e32 v2, v34, v30
	v_add_f32_e32 v28, v3, v5
	v_fma_f32 v31, v33, v29, -v2
	ds_read_b128 v[2:5], v14 offset:192
	ds_read2_b64 v[6:9], v26 offset1:32
	v_mul_f32_e32 v30, v33, v30
	v_fmac_f32_e32 v30, v34, v29
	v_add_f32_e32 v31, v27, v31
	v_add_f32_e32 v32, v28, v30
	s_waitcnt lgkmcnt(0)
	v_mul_f32_e32 v33, v7, v3
	v_mul_f32_e32 v3, v6, v3
	v_fma_f32 v33, v6, v2, -v33
	v_fmac_f32_e32 v3, v7, v2
	ds_read_b128 v[27:30], v14 offset:208
	v_add_f32_e32 v2, v31, v33
	v_add_f32_e32 v3, v32, v3
	ds_read2_b64 v[31:34], v26 offset0:64 offset1:96
	v_mul_f32_e32 v6, v9, v5
	v_mul_f32_e32 v5, v8, v5
	v_fma_f32 v6, v8, v4, -v6
	v_fmac_f32_e32 v5, v9, v4
	s_waitcnt lgkmcnt(0)
	v_mul_f32_e32 v4, v32, v28
	v_add_f32_e32 v2, v2, v6
	v_add_f32_e32 v3, v3, v5
	v_fma_f32 v4, v31, v27, -v4
	v_mul_f32_e32 v5, v31, v28
	v_fmac_f32_e32 v5, v32, v27
	v_add_f32_e32 v27, v2, v4
	v_mul_f32_e32 v2, v34, v30
	v_add_f32_e32 v28, v3, v5
	v_fma_f32 v31, v33, v29, -v2
	ds_read_b128 v[2:5], v14 offset:224
	ds_read2_b64 v[6:9], v26 offset0:128 offset1:160
	v_mul_f32_e32 v30, v33, v30
	v_fmac_f32_e32 v30, v34, v29
	v_add_f32_e32 v31, v27, v31
	v_add_f32_e32 v32, v28, v30
	s_waitcnt lgkmcnt(0)
	v_mul_f32_e32 v33, v7, v3
	v_mul_f32_e32 v3, v6, v3
	v_fma_f32 v33, v6, v2, -v33
	v_fmac_f32_e32 v3, v7, v2
	ds_read_b128 v[27:30], v14 offset:240
	v_add_f32_e32 v2, v31, v33
	v_add_f32_e32 v3, v32, v3
	ds_read2_b64 v[31:34], v26 offset0:192 offset1:224
	v_mul_f32_e32 v6, v9, v5
	v_mul_f32_e32 v5, v8, v5
	v_fma_f32 v6, v8, v4, -v6
	v_fmac_f32_e32 v5, v9, v4
	s_waitcnt lgkmcnt(0)
	v_mul_f32_e32 v4, v32, v28
	v_add_f32_e32 v2, v2, v6
	v_add_f32_e32 v3, v3, v5
	v_fma_f32 v4, v31, v27, -v4
	v_mul_f32_e32 v5, v31, v28
	v_fmac_f32_e32 v5, v32, v27
	v_add_f32_e32 v2, v2, v4
	v_mul_f32_e32 v4, v34, v30
	v_add_f32_e32 v3, v3, v5
	v_fma_f32 v4, v33, v29, -v4
	v_mul_f32_e32 v5, v33, v30
	v_fmac_f32_e32 v5, v34, v29
	v_add_f32_e32 v2, v2, v4
	v_add_f32_e32 v3, v3, v5
	v_mul_f32_e32 v4, s10, v2
	v_mul_f32_e32 v2, s11, v2
	v_fmac_f32_e32 v4, s11, v3
	v_fma_f32 v3, s10, v3, -v2
	s_waitcnt vmcnt(0)
	v_add_f32_e32 v2, v35, v4
	v_add_f32_e32 v3, v36, v3
	flat_store_dwordx2 v[10:11], v[2:3]
	s_branch .LBB1938_4
.LBB1938_17:
	s_endpgm
	.section	.rodata,"a",@progbits
	.p2align	6, 0x0
	.amdhsa_kernel _ZL26rocblas_syr2k_her2k_kernelIiLb1ELb1ELb0ELi32EPK19rocblas_complex_numIfEPKS3_PKPS1_EvbiT_T4_T5_S9_lSB_S9_lT6_S9_li
		.amdhsa_group_segment_fixed_size 16384
		.amdhsa_private_segment_fixed_size 0
		.amdhsa_kernarg_size 100
		.amdhsa_user_sgpr_count 6
		.amdhsa_user_sgpr_private_segment_buffer 1
		.amdhsa_user_sgpr_dispatch_ptr 0
		.amdhsa_user_sgpr_queue_ptr 0
		.amdhsa_user_sgpr_kernarg_segment_ptr 1
		.amdhsa_user_sgpr_dispatch_id 0
		.amdhsa_user_sgpr_flat_scratch_init 0
		.amdhsa_user_sgpr_private_segment_size 0
		.amdhsa_uses_dynamic_stack 0
		.amdhsa_system_sgpr_private_segment_wavefront_offset 0
		.amdhsa_system_sgpr_workgroup_id_x 1
		.amdhsa_system_sgpr_workgroup_id_y 1
		.amdhsa_system_sgpr_workgroup_id_z 1
		.amdhsa_system_sgpr_workgroup_info 0
		.amdhsa_system_vgpr_workitem_id 1
		.amdhsa_next_free_vgpr 42
		.amdhsa_next_free_sgpr 61
		.amdhsa_reserve_vcc 1
		.amdhsa_reserve_flat_scratch 0
		.amdhsa_float_round_mode_32 0
		.amdhsa_float_round_mode_16_64 0
		.amdhsa_float_denorm_mode_32 3
		.amdhsa_float_denorm_mode_16_64 3
		.amdhsa_dx10_clamp 1
		.amdhsa_ieee_mode 1
		.amdhsa_fp16_overflow 0
		.amdhsa_exception_fp_ieee_invalid_op 0
		.amdhsa_exception_fp_denorm_src 0
		.amdhsa_exception_fp_ieee_div_zero 0
		.amdhsa_exception_fp_ieee_overflow 0
		.amdhsa_exception_fp_ieee_underflow 0
		.amdhsa_exception_fp_ieee_inexact 0
		.amdhsa_exception_int_div_zero 0
	.end_amdhsa_kernel
	.section	.text._ZL26rocblas_syr2k_her2k_kernelIiLb1ELb1ELb0ELi32EPK19rocblas_complex_numIfEPKS3_PKPS1_EvbiT_T4_T5_S9_lSB_S9_lT6_S9_li,"axG",@progbits,_ZL26rocblas_syr2k_her2k_kernelIiLb1ELb1ELb0ELi32EPK19rocblas_complex_numIfEPKS3_PKPS1_EvbiT_T4_T5_S9_lSB_S9_lT6_S9_li,comdat
.Lfunc_end1938:
	.size	_ZL26rocblas_syr2k_her2k_kernelIiLb1ELb1ELb0ELi32EPK19rocblas_complex_numIfEPKS3_PKPS1_EvbiT_T4_T5_S9_lSB_S9_lT6_S9_li, .Lfunc_end1938-_ZL26rocblas_syr2k_her2k_kernelIiLb1ELb1ELb0ELi32EPK19rocblas_complex_numIfEPKS3_PKPS1_EvbiT_T4_T5_S9_lSB_S9_lT6_S9_li
                                        ; -- End function
	.set _ZL26rocblas_syr2k_her2k_kernelIiLb1ELb1ELb0ELi32EPK19rocblas_complex_numIfEPKS3_PKPS1_EvbiT_T4_T5_S9_lSB_S9_lT6_S9_li.num_vgpr, 42
	.set _ZL26rocblas_syr2k_her2k_kernelIiLb1ELb1ELb0ELi32EPK19rocblas_complex_numIfEPKS3_PKPS1_EvbiT_T4_T5_S9_lSB_S9_lT6_S9_li.num_agpr, 0
	.set _ZL26rocblas_syr2k_her2k_kernelIiLb1ELb1ELb0ELi32EPK19rocblas_complex_numIfEPKS3_PKPS1_EvbiT_T4_T5_S9_lSB_S9_lT6_S9_li.numbered_sgpr, 28
	.set _ZL26rocblas_syr2k_her2k_kernelIiLb1ELb1ELb0ELi32EPK19rocblas_complex_numIfEPKS3_PKPS1_EvbiT_T4_T5_S9_lSB_S9_lT6_S9_li.num_named_barrier, 0
	.set _ZL26rocblas_syr2k_her2k_kernelIiLb1ELb1ELb0ELi32EPK19rocblas_complex_numIfEPKS3_PKPS1_EvbiT_T4_T5_S9_lSB_S9_lT6_S9_li.private_seg_size, 0
	.set _ZL26rocblas_syr2k_her2k_kernelIiLb1ELb1ELb0ELi32EPK19rocblas_complex_numIfEPKS3_PKPS1_EvbiT_T4_T5_S9_lSB_S9_lT6_S9_li.uses_vcc, 1
	.set _ZL26rocblas_syr2k_her2k_kernelIiLb1ELb1ELb0ELi32EPK19rocblas_complex_numIfEPKS3_PKPS1_EvbiT_T4_T5_S9_lSB_S9_lT6_S9_li.uses_flat_scratch, 0
	.set _ZL26rocblas_syr2k_her2k_kernelIiLb1ELb1ELb0ELi32EPK19rocblas_complex_numIfEPKS3_PKPS1_EvbiT_T4_T5_S9_lSB_S9_lT6_S9_li.has_dyn_sized_stack, 0
	.set _ZL26rocblas_syr2k_her2k_kernelIiLb1ELb1ELb0ELi32EPK19rocblas_complex_numIfEPKS3_PKPS1_EvbiT_T4_T5_S9_lSB_S9_lT6_S9_li.has_recursion, 0
	.set _ZL26rocblas_syr2k_her2k_kernelIiLb1ELb1ELb0ELi32EPK19rocblas_complex_numIfEPKS3_PKPS1_EvbiT_T4_T5_S9_lSB_S9_lT6_S9_li.has_indirect_call, 0
	.section	.AMDGPU.csdata,"",@progbits
; Kernel info:
; codeLenInByte = 3452
; TotalNumSgprs: 32
; NumVgprs: 42
; ScratchSize: 0
; MemoryBound: 0
; FloatMode: 240
; IeeeMode: 1
; LDSByteSize: 16384 bytes/workgroup (compile time only)
; SGPRBlocks: 8
; VGPRBlocks: 10
; NumSGPRsForWavesPerEU: 65
; NumVGPRsForWavesPerEU: 42
; Occupancy: 5
; WaveLimiterHint : 1
; COMPUTE_PGM_RSRC2:SCRATCH_EN: 0
; COMPUTE_PGM_RSRC2:USER_SGPR: 6
; COMPUTE_PGM_RSRC2:TRAP_HANDLER: 0
; COMPUTE_PGM_RSRC2:TGID_X_EN: 1
; COMPUTE_PGM_RSRC2:TGID_Y_EN: 1
; COMPUTE_PGM_RSRC2:TGID_Z_EN: 1
; COMPUTE_PGM_RSRC2:TIDIG_COMP_CNT: 1
	.section	.text._ZL26rocblas_syr2k_her2k_kernelIiLb1ELb1ELb1ELi32EPK19rocblas_complex_numIfEPKS3_PKPS1_EvbiT_T4_T5_S9_lSB_S9_lT6_S9_li,"axG",@progbits,_ZL26rocblas_syr2k_her2k_kernelIiLb1ELb1ELb1ELi32EPK19rocblas_complex_numIfEPKS3_PKPS1_EvbiT_T4_T5_S9_lSB_S9_lT6_S9_li,comdat
	.globl	_ZL26rocblas_syr2k_her2k_kernelIiLb1ELb1ELb1ELi32EPK19rocblas_complex_numIfEPKS3_PKPS1_EvbiT_T4_T5_S9_lSB_S9_lT6_S9_li ; -- Begin function _ZL26rocblas_syr2k_her2k_kernelIiLb1ELb1ELb1ELi32EPK19rocblas_complex_numIfEPKS3_PKPS1_EvbiT_T4_T5_S9_lSB_S9_lT6_S9_li
	.p2align	8
	.type	_ZL26rocblas_syr2k_her2k_kernelIiLb1ELb1ELb1ELi32EPK19rocblas_complex_numIfEPKS3_PKPS1_EvbiT_T4_T5_S9_lSB_S9_lT6_S9_li,@function
_ZL26rocblas_syr2k_her2k_kernelIiLb1ELb1ELb1ELi32EPK19rocblas_complex_numIfEPKS3_PKPS1_EvbiT_T4_T5_S9_lSB_S9_lT6_S9_li: ; @_ZL26rocblas_syr2k_her2k_kernelIiLb1ELb1ELb1ELi32EPK19rocblas_complex_numIfEPKS3_PKPS1_EvbiT_T4_T5_S9_lSB_S9_lT6_S9_li
; %bb.0:
	s_load_dwordx4 s[0:3], s[4:5], 0x10
	s_waitcnt lgkmcnt(0)
	s_load_dwordx2 s[10:11], s[0:1], 0x0
	s_waitcnt lgkmcnt(0)
	v_cmp_eq_f32_e64 s[0:1], s10, 0
	v_cmp_eq_f32_e64 s[12:13], s11, 0
	s_and_b64 s[0:1], s[0:1], s[12:13]
	s_and_b64 vcc, exec, s[0:1]
	s_cbranch_vccnz .LBB1939_17
; %bb.1:
	s_load_dwordx4 s[12:15], s[4:5], 0x0
	s_lshl_b32 s0, s7, 5
	s_lshl_b32 s1, s6, 5
	s_waitcnt lgkmcnt(0)
	s_and_b32 s6, 1, s12
	s_cmp_eq_u32 s6, 1
	s_cselect_b64 vcc, -1, 0
	s_and_b64 s[6:7], vcc, exec
	s_cselect_b32 s6, s1, s0
	s_cselect_b32 s7, s0, s1
	s_cmp_gt_i32 s6, s7
	s_cbranch_scc1 .LBB1939_17
; %bb.2:
	s_cmp_lt_i32 s14, 1
	s_cbranch_scc1 .LBB1939_17
; %bb.3:
	s_mov_b32 s9, 0
	s_load_dword s12, s[4:5], 0x20
	s_load_dwordx4 s[16:19], s[4:5], 0x28
	s_load_dword s15, s[4:5], 0x38
	s_load_dwordx4 s[20:23], s[4:5], 0x40
	s_load_dword s24, s[4:5], 0x50
	s_load_dwordx2 s[6:7], s[4:5], 0x58
	s_lshl_b64 s[4:5], s[8:9], 3
	s_add_u32 s2, s2, s4
	s_addc_u32 s3, s3, s5
	s_load_dwordx2 s[2:3], s[2:3], 0x0
	v_add_u32_e32 v2, s1, v0
	s_waitcnt lgkmcnt(0)
	s_add_u32 s18, s18, s4
	v_add_u32_e32 v7, s0, v1
	v_mad_i64_i32 v[4:5], s[0:1], s12, v2, 0
	s_addc_u32 s19, s19, s5
	s_add_u32 s4, s22, s4
	s_addc_u32 s5, s23, s5
	s_lshl_b64 s[16:17], s[16:17], 3
	s_add_u32 s8, s2, s16
	v_lshlrev_b64 v[4:5], 3, v[4:5]
	s_load_dwordx2 s[18:19], s[18:19], 0x0
	s_addc_u32 s16, s3, s17
	v_mov_b32_e32 v9, s16
	v_add_co_u32_e64 v16, s[0:1], s8, v4
	s_load_dwordx2 s[4:5], s[4:5], 0x0
	v_addc_co_u32_e64 v17, s[0:1], v9, v5, s[0:1]
	v_mad_i64_i32 v[4:5], s[0:1], s15, v7, 0
	s_lshl_b64 s[2:3], s[20:21], 3
	s_waitcnt lgkmcnt(0)
	s_add_u32 s17, s18, s2
	s_addc_u32 s18, s19, s3
	s_lshl_b64 s[2:3], s[6:7], 3
	v_lshlrev_b64 v[4:5], 3, v[4:5]
	s_add_u32 s6, s4, s2
	s_addc_u32 s7, s5, s3
	v_mov_b32_e32 v10, s18
	v_add_co_u32_e64 v20, s[2:3], s17, v4
	v_addc_co_u32_e64 v21, s[2:3], v10, v5, s[2:3]
	v_mad_i64_i32 v[4:5], s[2:3], s24, v7, 0
	v_cndmask_b32_e32 v6, v2, v7, vcc
	v_cndmask_b32_e32 v8, v7, v2, vcc
	v_cmp_gt_i32_e32 vcc, s13, v2
	v_cmp_gt_i32_e64 s[0:1], s13, v7
	v_lshlrev_b64 v[4:5], 3, v[4:5]
	v_cmp_le_i32_e64 s[2:3], v8, v6
	s_and_b64 s[4:5], s[0:1], vcc
	v_lshlrev_b32_e32 v18, 8, v0
	v_lshlrev_b32_e32 v9, 3, v1
	s_and_b64 s[4:5], s[4:5], s[2:3]
	v_mov_b32_e32 v6, s7
	v_add_co_u32_e64 v8, s[2:3], s6, v4
	v_ashrrev_i32_e32 v3, 31, v2
	v_add_u32_e32 v19, v18, v9
	v_or_b32_e32 v22, 0x2000, v9
	v_addc_co_u32_e64 v9, s[2:3], v6, v5, s[2:3]
	v_mad_i64_i32 v[5:6], s[2:3], s15, v2, 0
	v_lshlrev_b64 v[3:4], 3, v[2:3]
	v_add_u32_e32 v23, v22, v18
	v_add_co_u32_e64 v10, s[2:3], v8, v3
	v_addc_co_u32_e64 v11, s[2:3], v9, v4, s[2:3]
	v_lshlrev_b64 v[2:3], 3, v[5:6]
	v_mad_i64_i32 v[4:5], s[2:3], s12, v7, 0
	v_mov_b32_e32 v6, s18
	v_add_co_u32_e64 v24, s[2:3], s17, v2
	v_addc_co_u32_e64 v25, s[2:3], v6, v3, s[2:3]
	v_lshlrev_b64 v[2:3], 3, v[4:5]
	v_mov_b32_e32 v4, s16
	v_add_co_u32_e64 v26, s[2:3], s8, v2
	v_addc_co_u32_e64 v27, s[2:3], v4, v3, s[2:3]
	v_add_u32_e32 v28, 0x800, v22
	v_add_u32_e32 v29, 0x1000, v22
	s_branch .LBB1939_5
.LBB1939_4:                             ;   in Loop: Header=BB1939_5 Depth=1
	s_or_b64 exec, exec, s[2:3]
	s_add_i32 s9, s9, 32
	s_cmp_lt_i32 s9, s14
	s_waitcnt vmcnt(0) lgkmcnt(0)
	s_barrier
	s_cbranch_scc0 .LBB1939_17
.LBB1939_5:                             ; =>This Inner Loop Header: Depth=1
	v_add_u32_e32 v12, s9, v1
	v_cmp_gt_i32_e64 s[2:3], s14, v12
	s_and_b64 s[6:7], vcc, s[2:3]
	v_mov_b32_e32 v4, 0
	v_mov_b32_e32 v2, 0
	;; [unrolled: 1-line block ×3, first 2 shown]
	s_and_saveexec_b64 s[12:13], s[6:7]
	s_cbranch_execz .LBB1939_7
; %bb.6:                                ;   in Loop: Header=BB1939_5 Depth=1
	v_ashrrev_i32_e32 v13, 31, v12
	v_lshlrev_b64 v[3:4], 3, v[12:13]
	v_add_co_u32_e64 v3, s[2:3], v16, v3
	v_addc_co_u32_e64 v4, s[2:3], v17, v4, s[2:3]
	flat_load_dwordx2 v[3:4], v[3:4]
	s_waitcnt vmcnt(0) lgkmcnt(0)
	v_xor_b32_e32 v4, 0x80000000, v4
.LBB1939_7:                             ;   in Loop: Header=BB1939_5 Depth=1
	s_or_b64 exec, exec, s[12:13]
	v_add_u32_e32 v14, s9, v0
	v_cmp_gt_i32_e64 s[2:3], s14, v14
	ds_write_b64 v19, v[3:4]
	s_and_b64 s[12:13], s[0:1], s[2:3]
	v_mov_b32_e32 v3, 0
	s_and_saveexec_b64 s[16:17], s[12:13]
	s_cbranch_execz .LBB1939_9
; %bb.8:                                ;   in Loop: Header=BB1939_5 Depth=1
	v_ashrrev_i32_e32 v15, 31, v14
	v_lshlrev_b64 v[2:3], 3, v[14:15]
	v_add_co_u32_e64 v2, s[2:3], v20, v2
	v_addc_co_u32_e64 v3, s[2:3], v21, v3, s[2:3]
	flat_load_dwordx2 v[2:3], v[2:3]
.LBB1939_9:                             ;   in Loop: Header=BB1939_5 Depth=1
	s_or_b64 exec, exec, s[16:17]
	s_waitcnt vmcnt(0) lgkmcnt(0)
	ds_write_b64 v23, v[2:3]
	s_waitcnt lgkmcnt(0)
	s_barrier
	s_and_saveexec_b64 s[2:3], s[4:5]
	s_cbranch_execz .LBB1939_11
; %bb.10:                               ;   in Loop: Header=BB1939_5 Depth=1
	ds_read2_b64 v[2:5], v22 offset1:32
	ds_read_b128 v[6:9], v18
	ds_read_b128 v[30:33], v18 offset:16
	s_waitcnt lgkmcnt(1)
	v_mul_f32_e32 v13, v3, v7
	v_mul_f32_e32 v15, v2, v7
	v_fma_f32 v13, v2, v6, -v13
	v_mul_f32_e32 v2, v5, v9
	v_mul_f32_e32 v39, v4, v9
	v_fmac_f32_e32 v15, v3, v6
	v_fma_f32 v38, v4, v8, -v2
	v_fmac_f32_e32 v39, v5, v8
	ds_read_b128 v[2:5], v18 offset:32
	ds_read_b128 v[6:9], v18 offset:48
	ds_read2_b64 v[34:37], v22 offset0:64 offset1:96
	v_add_f32_e32 v13, 0, v13
	v_add_f32_e32 v13, v13, v38
	;; [unrolled: 1-line block ×4, first 2 shown]
	s_waitcnt lgkmcnt(0)
	v_mul_f32_e32 v38, v35, v31
	v_fma_f32 v38, v34, v30, -v38
	v_mul_f32_e32 v34, v34, v31
	v_fmac_f32_e32 v34, v35, v30
	v_mul_f32_e32 v30, v37, v33
	v_fma_f32 v35, v36, v32, -v30
	v_mul_f32_e32 v36, v36, v33
	v_fmac_f32_e32 v36, v37, v32
	ds_read2_b64 v[30:33], v22 offset0:128 offset1:160
	v_add_f32_e32 v13, v13, v38
	v_add_f32_e32 v15, v15, v34
	;; [unrolled: 1-line block ×4, first 2 shown]
	s_waitcnt lgkmcnt(0)
	v_mul_f32_e32 v34, v31, v3
	v_fma_f32 v34, v30, v2, -v34
	v_mul_f32_e32 v3, v30, v3
	v_fmac_f32_e32 v3, v31, v2
	v_add_f32_e32 v2, v13, v34
	ds_read2_b64 v[34:37], v22 offset0:192 offset1:224
	v_mul_f32_e32 v13, v33, v5
	v_mul_f32_e32 v5, v32, v5
	v_add_f32_e32 v3, v15, v3
	v_fma_f32 v13, v32, v4, -v13
	v_fmac_f32_e32 v5, v33, v4
	s_waitcnt lgkmcnt(0)
	v_mul_f32_e32 v4, v35, v7
	v_add_f32_e32 v2, v2, v13
	v_add_f32_e32 v3, v3, v5
	v_fma_f32 v4, v34, v6, -v4
	v_mul_f32_e32 v5, v34, v7
	v_fmac_f32_e32 v5, v35, v6
	v_add_f32_e32 v6, v2, v4
	v_mul_f32_e32 v2, v37, v9
	v_add_f32_e32 v7, v3, v5
	v_fma_f32 v13, v36, v8, -v2
	ds_read_b128 v[2:5], v18 offset:64
	ds_read2_b64 v[30:33], v28 offset1:32
	v_mul_f32_e32 v9, v36, v9
	v_fmac_f32_e32 v9, v37, v8
	v_add_f32_e32 v13, v6, v13
	v_add_f32_e32 v15, v7, v9
	s_waitcnt lgkmcnt(0)
	v_mul_f32_e32 v34, v31, v3
	v_fma_f32 v34, v30, v2, -v34
	v_mul_f32_e32 v3, v30, v3
	ds_read_b128 v[6:9], v18 offset:80
	v_fmac_f32_e32 v3, v31, v2
	v_add_f32_e32 v2, v13, v34
	ds_read2_b64 v[34:37], v28 offset0:64 offset1:96
	v_mul_f32_e32 v13, v33, v5
	v_mul_f32_e32 v5, v32, v5
	v_add_f32_e32 v3, v15, v3
	v_fma_f32 v13, v32, v4, -v13
	v_fmac_f32_e32 v5, v33, v4
	s_waitcnt lgkmcnt(0)
	v_mul_f32_e32 v4, v35, v7
	v_add_f32_e32 v2, v2, v13
	v_add_f32_e32 v3, v3, v5
	v_fma_f32 v4, v34, v6, -v4
	v_mul_f32_e32 v5, v34, v7
	v_fmac_f32_e32 v5, v35, v6
	v_add_f32_e32 v6, v2, v4
	v_mul_f32_e32 v2, v37, v9
	v_add_f32_e32 v7, v3, v5
	v_fma_f32 v13, v36, v8, -v2
	ds_read_b128 v[2:5], v18 offset:96
	ds_read2_b64 v[30:33], v28 offset0:128 offset1:160
	v_mul_f32_e32 v9, v36, v9
	v_fmac_f32_e32 v9, v37, v8
	v_add_f32_e32 v13, v6, v13
	v_add_f32_e32 v15, v7, v9
	s_waitcnt lgkmcnt(0)
	v_mul_f32_e32 v34, v31, v3
	v_fma_f32 v34, v30, v2, -v34
	v_mul_f32_e32 v3, v30, v3
	ds_read_b128 v[6:9], v18 offset:112
	v_fmac_f32_e32 v3, v31, v2
	v_add_f32_e32 v2, v13, v34
	ds_read2_b64 v[34:37], v28 offset0:192 offset1:224
	v_mul_f32_e32 v13, v33, v5
	v_mul_f32_e32 v5, v32, v5
	v_add_f32_e32 v3, v15, v3
	v_fma_f32 v13, v32, v4, -v13
	v_fmac_f32_e32 v5, v33, v4
	s_waitcnt lgkmcnt(0)
	v_mul_f32_e32 v4, v35, v7
	v_add_f32_e32 v2, v2, v13
	v_add_f32_e32 v3, v3, v5
	v_fma_f32 v4, v34, v6, -v4
	v_mul_f32_e32 v5, v34, v7
	v_fmac_f32_e32 v5, v35, v6
	v_add_f32_e32 v6, v2, v4
	v_mul_f32_e32 v2, v37, v9
	v_add_f32_e32 v7, v3, v5
	v_fma_f32 v13, v36, v8, -v2
	ds_read_b128 v[2:5], v18 offset:128
	ds_read2_b64 v[30:33], v29 offset1:32
	v_mul_f32_e32 v9, v36, v9
	v_fmac_f32_e32 v9, v37, v8
	ds_read_b128 v[34:37], v18 offset:144
	ds_read2_b64 v[38:41], v29 offset0:64 offset1:96
	s_waitcnt lgkmcnt(2)
	v_mul_f32_e32 v8, v31, v3
	v_add_f32_e32 v6, v6, v13
	v_fma_f32 v8, v30, v2, -v8
	v_mul_f32_e32 v3, v30, v3
	v_add_f32_e32 v7, v7, v9
	v_fmac_f32_e32 v3, v31, v2
	v_add_f32_e32 v2, v6, v8
	v_mul_f32_e32 v6, v33, v5
	v_mul_f32_e32 v5, v32, v5
	v_add_f32_e32 v3, v7, v3
	v_fma_f32 v6, v32, v4, -v6
	v_fmac_f32_e32 v5, v33, v4
	s_waitcnt lgkmcnt(0)
	v_mul_f32_e32 v4, v39, v35
	v_add_f32_e32 v2, v2, v6
	v_add_f32_e32 v3, v3, v5
	v_fma_f32 v4, v38, v34, -v4
	v_mul_f32_e32 v5, v38, v35
	v_fmac_f32_e32 v5, v39, v34
	v_add_f32_e32 v13, v2, v4
	v_mul_f32_e32 v2, v41, v37
	v_add_f32_e32 v15, v3, v5
	v_fma_f32 v30, v40, v36, -v2
	ds_read_b128 v[2:5], v18 offset:160
	ds_read2_b64 v[6:9], v29 offset0:128 offset1:160
	flat_load_dwordx2 v[38:39], v[10:11]
	v_mul_f32_e32 v31, v40, v37
	v_fmac_f32_e32 v31, v41, v36
	v_add_f32_e32 v13, v13, v30
	s_waitcnt lgkmcnt(0)
	v_mul_f32_e32 v34, v7, v3
	v_fma_f32 v34, v6, v2, -v34
	v_mul_f32_e32 v3, v6, v3
	v_add_f32_e32 v15, v15, v31
	ds_read_b128 v[30:33], v18 offset:176
	v_fmac_f32_e32 v3, v7, v2
	v_add_f32_e32 v2, v13, v34
	ds_read2_b64 v[34:37], v29 offset0:192 offset1:224
	v_mul_f32_e32 v6, v9, v5
	v_mul_f32_e32 v5, v8, v5
	v_add_f32_e32 v3, v15, v3
	v_fmac_f32_e32 v5, v9, v4
	v_fma_f32 v6, v8, v4, -v6
	v_add_f32_e32 v13, v3, v5
	s_waitcnt lgkmcnt(0)
	v_mul_f32_e32 v3, v35, v31
	v_add_f32_e32 v2, v2, v6
	v_fma_f32 v3, v34, v30, -v3
	v_mul_f32_e32 v15, v34, v31
	v_fmac_f32_e32 v15, v35, v30
	v_add_f32_e32 v30, v2, v3
	v_mul_f32_e32 v2, v37, v33
	v_add_u32_e32 v34, 0x1800, v22
	v_fma_f32 v31, v36, v32, -v2
	ds_read_b128 v[2:5], v18 offset:192
	ds_read2_b64 v[6:9], v34 offset1:32
	v_mul_f32_e32 v33, v36, v33
	v_fmac_f32_e32 v33, v37, v32
	v_add_f32_e32 v13, v13, v15
	v_add_f32_e32 v15, v30, v31
	;; [unrolled: 1-line block ×3, first 2 shown]
	ds_read_b128 v[30:33], v18 offset:208
	s_waitcnt lgkmcnt(0)
	v_mul_f32_e32 v35, v7, v3
	v_fma_f32 v35, v6, v2, -v35
	v_mul_f32_e32 v6, v6, v3
	v_fmac_f32_e32 v6, v7, v2
	v_mul_f32_e32 v2, v9, v5
	v_fma_f32 v7, v8, v4, -v2
	v_mul_f32_e32 v8, v8, v5
	v_fmac_f32_e32 v8, v9, v4
	ds_read2_b64 v[2:5], v34 offset0:64 offset1:96
	v_add_f32_e32 v6, v13, v6
	v_add_f32_e32 v9, v15, v35
	;; [unrolled: 1-line block ×4, first 2 shown]
	s_waitcnt lgkmcnt(0)
	v_mul_f32_e32 v6, v3, v31
	v_fma_f32 v6, v2, v30, -v6
	v_mul_f32_e32 v15, v2, v31
	v_mul_f32_e32 v2, v5, v33
	;; [unrolled: 1-line block ×3, first 2 shown]
	v_fmac_f32_e32 v15, v3, v30
	v_add_f32_e32 v30, v7, v6
	v_fma_f32 v31, v4, v32, -v2
	v_fmac_f32_e32 v33, v5, v32
	ds_read_b128 v[2:5], v18 offset:224
	ds_read2_b64 v[6:9], v34 offset0:128 offset1:160
	v_add_f32_e32 v13, v13, v15
	v_add_f32_e32 v15, v30, v31
	;; [unrolled: 1-line block ×3, first 2 shown]
	ds_read_b128 v[30:33], v18 offset:240
	s_waitcnt lgkmcnt(0)
	v_mul_f32_e32 v35, v7, v3
	v_fma_f32 v35, v6, v2, -v35
	v_mul_f32_e32 v3, v6, v3
	v_fmac_f32_e32 v3, v7, v2
	v_add_f32_e32 v2, v15, v35
	ds_read2_b64 v[34:37], v34 offset0:192 offset1:224
	v_mul_f32_e32 v6, v9, v5
	v_mul_f32_e32 v5, v8, v5
	v_add_f32_e32 v3, v13, v3
	v_fmac_f32_e32 v5, v9, v4
	v_add_f32_e32 v3, v3, v5
	s_waitcnt lgkmcnt(0)
	v_mul_f32_e32 v5, v34, v31
	v_fma_f32 v6, v8, v4, -v6
	v_mul_f32_e32 v4, v35, v31
	v_fmac_f32_e32 v5, v35, v30
	v_add_f32_e32 v2, v2, v6
	v_fma_f32 v4, v34, v30, -v4
	v_add_f32_e32 v3, v3, v5
	v_mul_f32_e32 v5, v36, v33
	v_add_f32_e32 v2, v2, v4
	v_mul_f32_e32 v4, v37, v33
	v_fmac_f32_e32 v5, v37, v32
	v_fma_f32 v4, v36, v32, -v4
	v_add_f32_e32 v3, v3, v5
	v_add_f32_e32 v2, v2, v4
	v_mul_f32_e32 v4, s11, v3
	v_mul_f32_e32 v3, s10, v3
	v_fma_f32 v4, s10, v2, -v4
	v_fmac_f32_e32 v3, s11, v2
	s_waitcnt vmcnt(0)
	v_add_f32_e32 v2, v38, v4
	v_add_f32_e32 v3, v39, v3
	flat_store_dwordx2 v[10:11], v[2:3]
.LBB1939_11:                            ;   in Loop: Header=BB1939_5 Depth=1
	s_or_b64 exec, exec, s[2:3]
	v_mov_b32_e32 v4, 0
	v_mov_b32_e32 v3, 0
	;; [unrolled: 1-line block ×3, first 2 shown]
	s_waitcnt vmcnt(0) lgkmcnt(0)
	s_barrier
	s_and_saveexec_b64 s[16:17], s[6:7]
	s_cbranch_execz .LBB1939_13
; %bb.12:                               ;   in Loop: Header=BB1939_5 Depth=1
	v_ashrrev_i32_e32 v13, 31, v12
	v_lshlrev_b64 v[4:5], 3, v[12:13]
	v_add_co_u32_e64 v4, s[2:3], v24, v4
	v_addc_co_u32_e64 v5, s[2:3], v25, v5, s[2:3]
	flat_load_dwordx2 v[4:5], v[4:5]
	s_waitcnt vmcnt(0) lgkmcnt(0)
	v_xor_b32_e32 v5, 0x80000000, v5
.LBB1939_13:                            ;   in Loop: Header=BB1939_5 Depth=1
	s_or_b64 exec, exec, s[16:17]
	v_mov_b32_e32 v2, 0
	ds_write_b64 v19, v[4:5]
	s_and_saveexec_b64 s[6:7], s[12:13]
	s_cbranch_execz .LBB1939_15
; %bb.14:                               ;   in Loop: Header=BB1939_5 Depth=1
	v_ashrrev_i32_e32 v15, 31, v14
	v_lshlrev_b64 v[2:3], 3, v[14:15]
	v_add_co_u32_e64 v2, s[2:3], v26, v2
	v_addc_co_u32_e64 v3, s[2:3], v27, v3, s[2:3]
	flat_load_dwordx2 v[2:3], v[2:3]
.LBB1939_15:                            ;   in Loop: Header=BB1939_5 Depth=1
	s_or_b64 exec, exec, s[6:7]
	s_waitcnt vmcnt(0) lgkmcnt(0)
	ds_write_b64 v23, v[2:3]
	s_waitcnt lgkmcnt(0)
	s_barrier
	s_and_saveexec_b64 s[2:3], s[4:5]
	s_cbranch_execz .LBB1939_4
; %bb.16:                               ;   in Loop: Header=BB1939_5 Depth=1
	ds_read2_b64 v[2:5], v22 offset1:32
	ds_read_b128 v[6:9], v18
	ds_read_b128 v[12:15], v18 offset:16
	ds_read_b128 v[30:33], v18 offset:32
	;; [unrolled: 1-line block ×3, first 2 shown]
	s_waitcnt lgkmcnt(3)
	v_mul_f32_e32 v38, v3, v7
	v_fma_f32 v38, v2, v6, -v38
	v_mul_f32_e32 v2, v2, v7
	v_fmac_f32_e32 v2, v3, v6
	v_add_f32_e32 v3, 0, v38
	ds_read2_b64 v[38:41], v22 offset0:64 offset1:96
	v_mul_f32_e32 v6, v5, v9
	v_fma_f32 v6, v4, v8, -v6
	v_mul_f32_e32 v4, v4, v9
	v_add_f32_e32 v2, 0, v2
	v_fmac_f32_e32 v4, v5, v8
	s_waitcnt lgkmcnt(0)
	v_mul_f32_e32 v5, v38, v13
	v_add_f32_e32 v2, v2, v4
	v_mul_f32_e32 v4, v39, v13
	v_fmac_f32_e32 v5, v39, v12
	v_add_f32_e32 v3, v3, v6
	v_fma_f32 v4, v38, v12, -v4
	v_add_f32_e32 v7, v2, v5
	v_mul_f32_e32 v2, v41, v15
	v_add_f32_e32 v6, v3, v4
	v_fma_f32 v8, v40, v14, -v2
	ds_read2_b64 v[2:5], v22 offset0:128 offset1:160
	v_mul_f32_e32 v9, v40, v15
	v_add_f32_e32 v6, v6, v8
	v_fmac_f32_e32 v9, v41, v14
	v_add_f32_e32 v7, v7, v9
	s_waitcnt lgkmcnt(0)
	v_mul_f32_e32 v8, v3, v31
	v_fma_f32 v8, v2, v30, -v8
	v_mul_f32_e32 v2, v2, v31
	v_fmac_f32_e32 v2, v3, v30
	v_add_f32_e32 v3, v6, v8
	v_mul_f32_e32 v6, v5, v33
	v_add_f32_e32 v2, v7, v2
	v_fma_f32 v12, v4, v32, -v6
	ds_read2_b64 v[6:9], v22 offset0:192 offset1:224
	v_mul_f32_e32 v4, v4, v33
	v_fmac_f32_e32 v4, v5, v32
	v_add_f32_e32 v2, v2, v4
	v_add_f32_e32 v3, v3, v12
	s_waitcnt lgkmcnt(0)
	v_mul_f32_e32 v5, v6, v35
	v_mul_f32_e32 v4, v7, v35
	v_fmac_f32_e32 v5, v7, v34
	v_fma_f32 v4, v6, v34, -v4
	v_add_f32_e32 v7, v2, v5
	v_mul_f32_e32 v2, v9, v37
	v_add_f32_e32 v6, v3, v4
	v_fma_f32 v30, v8, v36, -v2
	ds_read_b128 v[2:5], v18 offset:64
	ds_read2_b64 v[12:15], v28 offset1:32
	v_mul_f32_e32 v8, v8, v37
	v_fmac_f32_e32 v8, v9, v36
	v_add_f32_e32 v30, v6, v30
	v_add_f32_e32 v31, v7, v8
	s_waitcnt lgkmcnt(0)
	v_mul_f32_e32 v32, v13, v3
	v_mul_f32_e32 v3, v12, v3
	v_fma_f32 v32, v12, v2, -v32
	v_fmac_f32_e32 v3, v13, v2
	ds_read_b128 v[6:9], v18 offset:80
	v_add_f32_e32 v2, v30, v32
	v_add_f32_e32 v3, v31, v3
	ds_read2_b64 v[30:33], v28 offset0:64 offset1:96
	v_mul_f32_e32 v12, v15, v5
	v_mul_f32_e32 v5, v14, v5
	v_fma_f32 v12, v14, v4, -v12
	v_fmac_f32_e32 v5, v15, v4
	s_waitcnt lgkmcnt(0)
	v_mul_f32_e32 v4, v31, v7
	v_add_f32_e32 v2, v2, v12
	v_add_f32_e32 v3, v3, v5
	v_fma_f32 v4, v30, v6, -v4
	v_mul_f32_e32 v5, v30, v7
	v_fmac_f32_e32 v5, v31, v6
	v_add_f32_e32 v6, v2, v4
	v_mul_f32_e32 v2, v33, v9
	v_add_f32_e32 v7, v3, v5
	v_fma_f32 v30, v32, v8, -v2
	ds_read_b128 v[2:5], v18 offset:96
	ds_read2_b64 v[12:15], v28 offset0:128 offset1:160
	v_mul_f32_e32 v9, v32, v9
	v_fmac_f32_e32 v9, v33, v8
	v_add_f32_e32 v30, v6, v30
	v_add_f32_e32 v31, v7, v9
	s_waitcnt lgkmcnt(0)
	v_mul_f32_e32 v32, v13, v3
	v_mul_f32_e32 v3, v12, v3
	v_fma_f32 v32, v12, v2, -v32
	v_fmac_f32_e32 v3, v13, v2
	ds_read_b128 v[6:9], v18 offset:112
	v_add_f32_e32 v2, v30, v32
	v_add_f32_e32 v3, v31, v3
	ds_read2_b64 v[30:33], v28 offset0:192 offset1:224
	v_mul_f32_e32 v12, v15, v5
	v_mul_f32_e32 v5, v14, v5
	v_fma_f32 v12, v14, v4, -v12
	v_fmac_f32_e32 v5, v15, v4
	s_waitcnt lgkmcnt(0)
	v_mul_f32_e32 v4, v31, v7
	v_add_f32_e32 v2, v2, v12
	v_add_f32_e32 v3, v3, v5
	v_fma_f32 v4, v30, v6, -v4
	v_mul_f32_e32 v5, v30, v7
	v_fmac_f32_e32 v5, v31, v6
	v_add_f32_e32 v6, v2, v4
	v_mul_f32_e32 v2, v33, v9
	v_add_f32_e32 v7, v3, v5
	v_fma_f32 v30, v32, v8, -v2
	ds_read_b128 v[2:5], v18 offset:128
	ds_read2_b64 v[12:15], v29 offset1:32
	v_mul_f32_e32 v9, v32, v9
	v_fmac_f32_e32 v9, v33, v8
	v_add_f32_e32 v6, v6, v30
	ds_read_b128 v[30:33], v18 offset:144
	ds_read2_b64 v[34:37], v29 offset0:64 offset1:96
	s_waitcnt lgkmcnt(2)
	v_mul_f32_e32 v8, v13, v3
	v_fma_f32 v8, v12, v2, -v8
	v_mul_f32_e32 v3, v12, v3
	v_add_f32_e32 v7, v7, v9
	v_fmac_f32_e32 v3, v13, v2
	v_add_f32_e32 v2, v6, v8
	v_mul_f32_e32 v6, v15, v5
	v_mul_f32_e32 v5, v14, v5
	v_add_f32_e32 v3, v7, v3
	v_fma_f32 v6, v14, v4, -v6
	v_fmac_f32_e32 v5, v15, v4
	s_waitcnt lgkmcnt(0)
	v_mul_f32_e32 v4, v35, v31
	v_add_f32_e32 v2, v2, v6
	v_add_f32_e32 v3, v3, v5
	v_fma_f32 v4, v34, v30, -v4
	v_mul_f32_e32 v5, v34, v31
	v_fmac_f32_e32 v5, v35, v30
	v_add_f32_e32 v12, v2, v4
	v_mul_f32_e32 v2, v37, v33
	v_add_f32_e32 v13, v3, v5
	v_fma_f32 v14, v36, v32, -v2
	ds_read_b128 v[2:5], v18 offset:160
	ds_read2_b64 v[6:9], v29 offset0:128 offset1:160
	flat_load_dwordx2 v[34:35], v[10:11]
	v_mul_f32_e32 v15, v36, v33
	v_fmac_f32_e32 v15, v37, v32
	v_add_f32_e32 v30, v12, v14
	s_waitcnt lgkmcnt(0)
	v_mul_f32_e32 v32, v7, v3
	v_mul_f32_e32 v3, v6, v3
	v_add_f32_e32 v31, v13, v15
	v_fma_f32 v32, v6, v2, -v32
	v_fmac_f32_e32 v3, v7, v2
	ds_read_b128 v[12:15], v18 offset:176
	v_add_f32_e32 v2, v30, v32
	v_add_f32_e32 v3, v31, v3
	ds_read2_b64 v[30:33], v29 offset0:192 offset1:224
	v_mul_f32_e32 v6, v9, v5
	v_mul_f32_e32 v5, v8, v5
	v_fma_f32 v6, v8, v4, -v6
	v_fmac_f32_e32 v5, v9, v4
	s_waitcnt lgkmcnt(0)
	v_mul_f32_e32 v4, v31, v13
	v_add_f32_e32 v2, v2, v6
	v_add_f32_e32 v3, v3, v5
	v_fma_f32 v4, v30, v12, -v4
	v_mul_f32_e32 v5, v30, v13
	v_fmac_f32_e32 v5, v31, v12
	v_add_f32_e32 v12, v2, v4
	v_mul_f32_e32 v2, v33, v15
	v_add_u32_e32 v36, 0x1800, v22
	v_add_f32_e32 v13, v3, v5
	v_fma_f32 v30, v32, v14, -v2
	ds_read_b128 v[2:5], v18 offset:192
	ds_read2_b64 v[6:9], v36 offset1:32
	v_mul_f32_e32 v15, v32, v15
	v_fmac_f32_e32 v15, v33, v14
	v_add_f32_e32 v30, v12, v30
	v_add_f32_e32 v31, v13, v15
	ds_read_b128 v[12:15], v18 offset:208
	s_waitcnt lgkmcnt(0)
	v_mul_f32_e32 v32, v7, v3
	v_mul_f32_e32 v3, v6, v3
	v_fma_f32 v32, v6, v2, -v32
	v_fmac_f32_e32 v3, v7, v2
	v_add_f32_e32 v2, v30, v32
	v_add_f32_e32 v3, v31, v3
	ds_read2_b64 v[30:33], v36 offset0:64 offset1:96
	v_mul_f32_e32 v6, v9, v5
	v_mul_f32_e32 v5, v8, v5
	v_fma_f32 v6, v8, v4, -v6
	v_fmac_f32_e32 v5, v9, v4
	s_waitcnt lgkmcnt(0)
	v_mul_f32_e32 v4, v31, v13
	v_add_f32_e32 v2, v2, v6
	v_add_f32_e32 v3, v3, v5
	v_fma_f32 v4, v30, v12, -v4
	v_mul_f32_e32 v5, v30, v13
	v_fmac_f32_e32 v5, v31, v12
	v_add_f32_e32 v12, v2, v4
	v_mul_f32_e32 v2, v33, v15
	v_add_f32_e32 v13, v3, v5
	v_fma_f32 v30, v32, v14, -v2
	ds_read_b128 v[2:5], v18 offset:224
	ds_read2_b64 v[6:9], v36 offset0:128 offset1:160
	v_mul_f32_e32 v15, v32, v15
	v_fmac_f32_e32 v15, v33, v14
	v_add_f32_e32 v30, v12, v30
	v_add_f32_e32 v31, v13, v15
	s_waitcnt lgkmcnt(0)
	v_mul_f32_e32 v32, v7, v3
	v_mul_f32_e32 v3, v6, v3
	v_fma_f32 v32, v6, v2, -v32
	v_fmac_f32_e32 v3, v7, v2
	ds_read_b128 v[12:15], v18 offset:240
	v_add_f32_e32 v2, v30, v32
	v_add_f32_e32 v3, v31, v3
	ds_read2_b64 v[30:33], v36 offset0:192 offset1:224
	v_mul_f32_e32 v6, v9, v5
	v_mul_f32_e32 v5, v8, v5
	v_fma_f32 v6, v8, v4, -v6
	v_fmac_f32_e32 v5, v9, v4
	s_waitcnt lgkmcnt(0)
	v_mul_f32_e32 v4, v31, v13
	v_add_f32_e32 v2, v2, v6
	v_add_f32_e32 v3, v3, v5
	v_fma_f32 v4, v30, v12, -v4
	v_mul_f32_e32 v5, v30, v13
	v_fmac_f32_e32 v5, v31, v12
	v_add_f32_e32 v2, v2, v4
	v_mul_f32_e32 v4, v33, v15
	v_add_f32_e32 v3, v3, v5
	v_fma_f32 v4, v32, v14, -v4
	v_mul_f32_e32 v5, v32, v15
	v_fmac_f32_e32 v5, v33, v14
	v_add_f32_e32 v2, v2, v4
	v_add_f32_e32 v3, v3, v5
	v_mul_f32_e32 v4, s10, v2
	v_mul_f32_e32 v2, s11, v2
	v_fmac_f32_e32 v4, s11, v3
	v_fma_f32 v3, s10, v3, -v2
	s_waitcnt vmcnt(0)
	v_add_f32_e32 v2, v34, v4
	v_add_f32_e32 v3, v35, v3
	flat_store_dwordx2 v[10:11], v[2:3]
	s_branch .LBB1939_4
.LBB1939_17:
	s_endpgm
	.section	.rodata,"a",@progbits
	.p2align	6, 0x0
	.amdhsa_kernel _ZL26rocblas_syr2k_her2k_kernelIiLb1ELb1ELb1ELi32EPK19rocblas_complex_numIfEPKS3_PKPS1_EvbiT_T4_T5_S9_lSB_S9_lT6_S9_li
		.amdhsa_group_segment_fixed_size 16384
		.amdhsa_private_segment_fixed_size 0
		.amdhsa_kernarg_size 100
		.amdhsa_user_sgpr_count 6
		.amdhsa_user_sgpr_private_segment_buffer 1
		.amdhsa_user_sgpr_dispatch_ptr 0
		.amdhsa_user_sgpr_queue_ptr 0
		.amdhsa_user_sgpr_kernarg_segment_ptr 1
		.amdhsa_user_sgpr_dispatch_id 0
		.amdhsa_user_sgpr_flat_scratch_init 0
		.amdhsa_user_sgpr_private_segment_size 0
		.amdhsa_uses_dynamic_stack 0
		.amdhsa_system_sgpr_private_segment_wavefront_offset 0
		.amdhsa_system_sgpr_workgroup_id_x 1
		.amdhsa_system_sgpr_workgroup_id_y 1
		.amdhsa_system_sgpr_workgroup_id_z 1
		.amdhsa_system_sgpr_workgroup_info 0
		.amdhsa_system_vgpr_workitem_id 1
		.amdhsa_next_free_vgpr 42
		.amdhsa_next_free_sgpr 61
		.amdhsa_reserve_vcc 1
		.amdhsa_reserve_flat_scratch 0
		.amdhsa_float_round_mode_32 0
		.amdhsa_float_round_mode_16_64 0
		.amdhsa_float_denorm_mode_32 3
		.amdhsa_float_denorm_mode_16_64 3
		.amdhsa_dx10_clamp 1
		.amdhsa_ieee_mode 1
		.amdhsa_fp16_overflow 0
		.amdhsa_exception_fp_ieee_invalid_op 0
		.amdhsa_exception_fp_denorm_src 0
		.amdhsa_exception_fp_ieee_div_zero 0
		.amdhsa_exception_fp_ieee_overflow 0
		.amdhsa_exception_fp_ieee_underflow 0
		.amdhsa_exception_fp_ieee_inexact 0
		.amdhsa_exception_int_div_zero 0
	.end_amdhsa_kernel
	.section	.text._ZL26rocblas_syr2k_her2k_kernelIiLb1ELb1ELb1ELi32EPK19rocblas_complex_numIfEPKS3_PKPS1_EvbiT_T4_T5_S9_lSB_S9_lT6_S9_li,"axG",@progbits,_ZL26rocblas_syr2k_her2k_kernelIiLb1ELb1ELb1ELi32EPK19rocblas_complex_numIfEPKS3_PKPS1_EvbiT_T4_T5_S9_lSB_S9_lT6_S9_li,comdat
.Lfunc_end1939:
	.size	_ZL26rocblas_syr2k_her2k_kernelIiLb1ELb1ELb1ELi32EPK19rocblas_complex_numIfEPKS3_PKPS1_EvbiT_T4_T5_S9_lSB_S9_lT6_S9_li, .Lfunc_end1939-_ZL26rocblas_syr2k_her2k_kernelIiLb1ELb1ELb1ELi32EPK19rocblas_complex_numIfEPKS3_PKPS1_EvbiT_T4_T5_S9_lSB_S9_lT6_S9_li
                                        ; -- End function
	.set _ZL26rocblas_syr2k_her2k_kernelIiLb1ELb1ELb1ELi32EPK19rocblas_complex_numIfEPKS3_PKPS1_EvbiT_T4_T5_S9_lSB_S9_lT6_S9_li.num_vgpr, 42
	.set _ZL26rocblas_syr2k_her2k_kernelIiLb1ELb1ELb1ELi32EPK19rocblas_complex_numIfEPKS3_PKPS1_EvbiT_T4_T5_S9_lSB_S9_lT6_S9_li.num_agpr, 0
	.set _ZL26rocblas_syr2k_her2k_kernelIiLb1ELb1ELb1ELi32EPK19rocblas_complex_numIfEPKS3_PKPS1_EvbiT_T4_T5_S9_lSB_S9_lT6_S9_li.numbered_sgpr, 25
	.set _ZL26rocblas_syr2k_her2k_kernelIiLb1ELb1ELb1ELi32EPK19rocblas_complex_numIfEPKS3_PKPS1_EvbiT_T4_T5_S9_lSB_S9_lT6_S9_li.num_named_barrier, 0
	.set _ZL26rocblas_syr2k_her2k_kernelIiLb1ELb1ELb1ELi32EPK19rocblas_complex_numIfEPKS3_PKPS1_EvbiT_T4_T5_S9_lSB_S9_lT6_S9_li.private_seg_size, 0
	.set _ZL26rocblas_syr2k_her2k_kernelIiLb1ELb1ELb1ELi32EPK19rocblas_complex_numIfEPKS3_PKPS1_EvbiT_T4_T5_S9_lSB_S9_lT6_S9_li.uses_vcc, 1
	.set _ZL26rocblas_syr2k_her2k_kernelIiLb1ELb1ELb1ELi32EPK19rocblas_complex_numIfEPKS3_PKPS1_EvbiT_T4_T5_S9_lSB_S9_lT6_S9_li.uses_flat_scratch, 0
	.set _ZL26rocblas_syr2k_her2k_kernelIiLb1ELb1ELb1ELi32EPK19rocblas_complex_numIfEPKS3_PKPS1_EvbiT_T4_T5_S9_lSB_S9_lT6_S9_li.has_dyn_sized_stack, 0
	.set _ZL26rocblas_syr2k_her2k_kernelIiLb1ELb1ELb1ELi32EPK19rocblas_complex_numIfEPKS3_PKPS1_EvbiT_T4_T5_S9_lSB_S9_lT6_S9_li.has_recursion, 0
	.set _ZL26rocblas_syr2k_her2k_kernelIiLb1ELb1ELb1ELi32EPK19rocblas_complex_numIfEPKS3_PKPS1_EvbiT_T4_T5_S9_lSB_S9_lT6_S9_li.has_indirect_call, 0
	.section	.AMDGPU.csdata,"",@progbits
; Kernel info:
; codeLenInByte = 3496
; TotalNumSgprs: 29
; NumVgprs: 42
; ScratchSize: 0
; MemoryBound: 0
; FloatMode: 240
; IeeeMode: 1
; LDSByteSize: 16384 bytes/workgroup (compile time only)
; SGPRBlocks: 8
; VGPRBlocks: 10
; NumSGPRsForWavesPerEU: 65
; NumVGPRsForWavesPerEU: 42
; Occupancy: 5
; WaveLimiterHint : 1
; COMPUTE_PGM_RSRC2:SCRATCH_EN: 0
; COMPUTE_PGM_RSRC2:USER_SGPR: 6
; COMPUTE_PGM_RSRC2:TRAP_HANDLER: 0
; COMPUTE_PGM_RSRC2:TGID_X_EN: 1
; COMPUTE_PGM_RSRC2:TGID_Y_EN: 1
; COMPUTE_PGM_RSRC2:TGID_Z_EN: 1
; COMPUTE_PGM_RSRC2:TIDIG_COMP_CNT: 1
	.section	.text._ZL26rocblas_syr2k_her2k_kernelIiLb1ELb1ELb0ELi32E19rocblas_complex_numIdEPKPKS1_PKPS1_EvbiT_T4_T5_S9_lSB_S9_lT6_S9_li,"axG",@progbits,_ZL26rocblas_syr2k_her2k_kernelIiLb1ELb1ELb0ELi32E19rocblas_complex_numIdEPKPKS1_PKPS1_EvbiT_T4_T5_S9_lSB_S9_lT6_S9_li,comdat
	.globl	_ZL26rocblas_syr2k_her2k_kernelIiLb1ELb1ELb0ELi32E19rocblas_complex_numIdEPKPKS1_PKPS1_EvbiT_T4_T5_S9_lSB_S9_lT6_S9_li ; -- Begin function _ZL26rocblas_syr2k_her2k_kernelIiLb1ELb1ELb0ELi32E19rocblas_complex_numIdEPKPKS1_PKPS1_EvbiT_T4_T5_S9_lSB_S9_lT6_S9_li
	.p2align	8
	.type	_ZL26rocblas_syr2k_her2k_kernelIiLb1ELb1ELb0ELi32E19rocblas_complex_numIdEPKPKS1_PKPS1_EvbiT_T4_T5_S9_lSB_S9_lT6_S9_li,@function
_ZL26rocblas_syr2k_her2k_kernelIiLb1ELb1ELb0ELi32E19rocblas_complex_numIdEPKPKS1_PKPS1_EvbiT_T4_T5_S9_lSB_S9_lT6_S9_li: ; @_ZL26rocblas_syr2k_her2k_kernelIiLb1ELb1ELb0ELi32E19rocblas_complex_numIdEPKPKS1_PKPS1_EvbiT_T4_T5_S9_lSB_S9_lT6_S9_li
; %bb.0:
	s_load_dwordx4 s[12:15], s[4:5], 0x10
	s_waitcnt lgkmcnt(0)
	v_cmp_eq_f64_e64 s[0:1], s[12:13], 0
	v_cmp_eq_f64_e64 s[2:3], s[14:15], 0
	s_and_b64 s[0:1], s[0:1], s[2:3]
	s_and_b64 vcc, exec, s[0:1]
	s_cbranch_vccnz .LBB1940_17
; %bb.1:
	s_load_dwordx4 s[16:19], s[4:5], 0x0
	s_lshl_b32 s0, s7, 5
	s_lshl_b32 s1, s6, 5
	s_waitcnt lgkmcnt(0)
	s_and_b32 s2, 1, s16
	s_cmp_eq_u32 s2, 1
	s_cselect_b64 vcc, -1, 0
	s_and_b64 s[2:3], vcc, exec
	s_cselect_b32 s2, s1, s0
	s_cselect_b32 s3, s0, s1
	s_cmp_gt_i32 s2, s3
	s_cbranch_scc1 .LBB1940_17
; %bb.2:
	s_cmp_lt_i32 s18, 1
	s_cbranch_scc1 .LBB1940_17
; %bb.3:
	s_mov_b32 s9, 0
	s_load_dwordx2 s[2:3], s[4:5], 0x20
	s_load_dword s19, s[4:5], 0x28
	s_load_dwordx4 s[24:27], s[4:5], 0x30
	s_load_dword s20, s[4:5], 0x40
	s_load_dwordx4 s[28:31], s[4:5], 0x48
	s_load_dword s16, s[4:5], 0x58
	s_load_dwordx2 s[6:7], s[4:5], 0x60
	s_lshl_b64 s[4:5], s[8:9], 3
	s_waitcnt lgkmcnt(0)
	s_add_u32 s2, s2, s4
	s_addc_u32 s3, s3, s5
	s_load_dwordx2 s[2:3], s[2:3], 0x0
	s_add_u32 s10, s26, s4
	s_addc_u32 s11, s27, s5
	s_load_dwordx2 s[10:11], s[10:11], 0x0
	s_add_u32 s4, s30, s4
	v_add_u32_e32 v3, s1, v0
	s_addc_u32 s5, s31, s5
	s_lshl_b64 s[22:23], s[24:25], 4
	v_ashrrev_i32_e32 v4, 31, v3
	s_load_dwordx2 s[4:5], s[4:5], 0x0
	s_waitcnt lgkmcnt(0)
	s_add_u32 s8, s2, s22
	v_lshlrev_b64 v[4:5], 4, v[3:4]
	s_addc_u32 s21, s3, s23
	v_add_u32_e32 v2, s0, v1
	s_lshl_b64 s[2:3], s[28:29], 4
	v_cndmask_b32_e32 v8, v3, v2, vcc
	v_cndmask_b32_e32 v9, v2, v3, vcc
	v_cmp_gt_i32_e32 vcc, s17, v3
	v_mov_b32_e32 v3, s21
	v_add_co_u32_e64 v36, s[0:1], s8, v4
	s_add_u32 s10, s10, s2
	v_addc_co_u32_e64 v37, s[0:1], v3, v5, s[0:1]
	v_ashrrev_i32_e32 v3, 31, v2
	s_addc_u32 s11, s11, s3
	s_lshl_b64 s[2:3], s[6:7], 4
	v_lshlrev_b64 v[6:7], 4, v[2:3]
	s_add_u32 s6, s4, s2
	s_addc_u32 s7, s5, s3
	v_mov_b32_e32 v3, s11
	v_add_co_u32_e64 v40, s[2:3], s10, v6
	v_cmp_gt_i32_e64 s[0:1], s17, v2
	v_addc_co_u32_e64 v41, s[2:3], v3, v7, s[2:3]
	v_mad_i64_i32 v[2:3], s[2:3], s16, v2, 0
	v_cmp_le_i32_e64 s[2:3], v9, v8
	s_and_b64 s[4:5], s[0:1], vcc
	v_lshlrev_b64 v[2:3], 4, v[2:3]
	s_and_b64 s[4:5], s[4:5], s[2:3]
	v_mov_b32_e32 v8, s7
	v_add_co_u32_e64 v2, s[2:3], s6, v2
	v_addc_co_u32_e64 v3, s[2:3], v8, v3, s[2:3]
	v_add_co_u32_e64 v34, s[2:3], v2, v4
	v_addc_co_u32_e64 v35, s[2:3], v3, v5, s[2:3]
	v_mov_b32_e32 v2, s11
	v_add_co_u32_e64 v44, s[2:3], s10, v4
	v_lshlrev_b32_e32 v10, 4, v1
	v_addc_co_u32_e64 v45, s[2:3], v2, v5, s[2:3]
	v_lshlrev_b32_e32 v38, 9, v0
	v_or_b32_e32 v42, 0x4000, v10
	v_mov_b32_e32 v2, s21
	v_add_co_u32_e64 v46, s[2:3], s8, v6
	v_add_u32_e32 v39, v38, v10
	v_add_u32_e32 v43, v42, v38
	v_addc_co_u32_e64 v47, s[2:3], v2, v7, s[2:3]
	s_branch .LBB1940_5
.LBB1940_4:                             ;   in Loop: Header=BB1940_5 Depth=1
	s_or_b64 exec, exec, s[2:3]
	s_add_i32 s9, s9, 32
	s_cmp_lt_i32 s9, s18
	s_waitcnt vmcnt(0) lgkmcnt(0)
	s_barrier
	s_cbranch_scc0 .LBB1940_17
.LBB1940_5:                             ; =>This Inner Loop Header: Depth=1
	v_add_u32_e32 v10, s9, v1
	v_cmp_gt_i32_e64 s[2:3], s18, v10
	v_mov_b32_e32 v2, 0
	v_mov_b32_e32 v4, 0
	;; [unrolled: 1-line block ×6, first 2 shown]
	s_and_b64 s[6:7], vcc, s[2:3]
	s_and_saveexec_b64 s[10:11], s[6:7]
	s_cbranch_execz .LBB1940_7
; %bb.6:                                ;   in Loop: Header=BB1940_5 Depth=1
	v_mad_i64_i32 v[4:5], s[2:3], v10, s19, 0
	v_lshlrev_b64 v[4:5], 4, v[4:5]
	v_add_co_u32_e64 v4, s[2:3], v36, v4
	v_addc_co_u32_e64 v5, s[2:3], v37, v5, s[2:3]
	flat_load_dwordx4 v[4:7], v[4:5]
.LBB1940_7:                             ;   in Loop: Header=BB1940_5 Depth=1
	s_or_b64 exec, exec, s[10:11]
	v_add_u32_e32 v11, s9, v0
	s_waitcnt vmcnt(0) lgkmcnt(0)
	ds_write_b128 v39, v[4:7]
	v_cmp_gt_i32_e64 s[2:3], s18, v11
	v_mov_b32_e32 v4, 0
	v_mov_b32_e32 v5, 0
	s_and_b64 s[10:11], s[0:1], s[2:3]
	s_and_saveexec_b64 s[16:17], s[10:11]
	s_cbranch_execz .LBB1940_9
; %bb.8:                                ;   in Loop: Header=BB1940_5 Depth=1
	v_mad_i64_i32 v[2:3], s[2:3], v11, s20, 0
	v_lshlrev_b64 v[2:3], 4, v[2:3]
	v_add_co_u32_e64 v2, s[2:3], v40, v2
	v_addc_co_u32_e64 v3, s[2:3], v41, v3, s[2:3]
	flat_load_dwordx4 v[2:5], v[2:3]
	s_waitcnt vmcnt(0) lgkmcnt(0)
	v_xor_b32_e32 v5, 0x80000000, v5
.LBB1940_9:                             ;   in Loop: Header=BB1940_5 Depth=1
	s_or_b64 exec, exec, s[16:17]
	ds_write_b128 v43, v[2:5]
	s_waitcnt lgkmcnt(0)
	s_barrier
	s_and_saveexec_b64 s[2:3], s[4:5]
	s_cbranch_execz .LBB1940_11
; %bb.10:                               ;   in Loop: Header=BB1940_5 Depth=1
	ds_read_b128 v[6:9], v42
	ds_read_b128 v[12:15], v38
	ds_read_b128 v[16:19], v38 offset:16
	ds_read_b128 v[20:23], v38 offset:32
	;; [unrolled: 1-line block ×3, first 2 shown]
	s_waitcnt lgkmcnt(3)
	v_mul_f64 v[24:25], v[8:9], v[14:15]
	v_fma_f64 v[24:25], v[6:7], v[12:13], -v[24:25]
	v_mul_f64 v[6:7], v[6:7], v[14:15]
	v_fma_f64 v[6:7], v[8:9], v[12:13], v[6:7]
	v_add_f64 v[12:13], v[24:25], 0
	v_add_f64 v[14:15], v[6:7], 0
	ds_read_b128 v[6:9], v42 offset:512
	s_waitcnt lgkmcnt(0)
	v_mul_f64 v[24:25], v[8:9], v[18:19]
	v_fma_f64 v[24:25], v[6:7], v[16:17], -v[24:25]
	v_mul_f64 v[6:7], v[6:7], v[18:19]
	v_add_f64 v[12:13], v[12:13], v[24:25]
	v_fma_f64 v[6:7], v[8:9], v[16:17], v[6:7]
	v_add_f64 v[14:15], v[14:15], v[6:7]
	ds_read_b128 v[6:9], v42 offset:1024
	s_waitcnt lgkmcnt(0)
	v_mul_f64 v[16:17], v[8:9], v[22:23]
	v_fma_f64 v[16:17], v[6:7], v[20:21], -v[16:17]
	v_mul_f64 v[6:7], v[6:7], v[22:23]
	v_add_f64 v[12:13], v[12:13], v[16:17]
	v_fma_f64 v[6:7], v[8:9], v[20:21], v[6:7]
	v_add_f64 v[14:15], v[14:15], v[6:7]
	ds_read_b128 v[6:9], v42 offset:1536
	s_waitcnt lgkmcnt(0)
	v_mul_f64 v[16:17], v[8:9], v[4:5]
	v_mul_f64 v[4:5], v[6:7], v[4:5]
	v_fma_f64 v[16:17], v[6:7], v[2:3], -v[16:17]
	v_fma_f64 v[2:3], v[8:9], v[2:3], v[4:5]
	v_add_f64 v[12:13], v[12:13], v[16:17]
	v_add_f64 v[14:15], v[14:15], v[2:3]
	ds_read_b128 v[2:5], v42 offset:2048
	ds_read_b128 v[6:9], v38 offset:64
	s_waitcnt lgkmcnt(0)
	v_mul_f64 v[16:17], v[4:5], v[8:9]
	v_fma_f64 v[16:17], v[2:3], v[6:7], -v[16:17]
	v_mul_f64 v[2:3], v[2:3], v[8:9]
	v_add_f64 v[12:13], v[12:13], v[16:17]
	v_fma_f64 v[2:3], v[4:5], v[6:7], v[2:3]
	v_add_f64 v[14:15], v[14:15], v[2:3]
	ds_read_b128 v[2:5], v42 offset:2560
	ds_read_b128 v[6:9], v38 offset:80
	s_waitcnt lgkmcnt(0)
	v_mul_f64 v[16:17], v[4:5], v[8:9]
	v_fma_f64 v[16:17], v[2:3], v[6:7], -v[16:17]
	v_mul_f64 v[2:3], v[2:3], v[8:9]
	v_add_f64 v[12:13], v[12:13], v[16:17]
	v_fma_f64 v[2:3], v[4:5], v[6:7], v[2:3]
	;; [unrolled: 9-line block ×27, first 2 shown]
	v_add_f64 v[14:15], v[14:15], v[2:3]
	ds_read_b128 v[2:5], v42 offset:15872
	ds_read_b128 v[6:9], v38 offset:496
	s_waitcnt lgkmcnt(0)
	v_mul_f64 v[16:17], v[4:5], v[8:9]
	v_fma_f64 v[16:17], v[2:3], v[6:7], -v[16:17]
	v_mul_f64 v[2:3], v[2:3], v[8:9]
	v_fma_f64 v[2:3], v[4:5], v[6:7], v[2:3]
	v_add_f64 v[4:5], v[12:13], v[16:17]
	v_add_f64 v[2:3], v[14:15], v[2:3]
	v_mul_f64 v[6:7], s[14:15], v[2:3]
	v_mul_f64 v[2:3], s[12:13], v[2:3]
	v_fma_f64 v[6:7], s[12:13], v[4:5], -v[6:7]
	v_fma_f64 v[8:9], s[14:15], v[4:5], v[2:3]
	flat_load_dwordx4 v[2:5], v[34:35]
	s_waitcnt vmcnt(0) lgkmcnt(0)
	v_add_f64 v[2:3], v[2:3], v[6:7]
	v_add_f64 v[4:5], v[4:5], v[8:9]
	flat_store_dwordx4 v[34:35], v[2:5]
.LBB1940_11:                            ;   in Loop: Header=BB1940_5 Depth=1
	s_or_b64 exec, exec, s[2:3]
	v_mov_b32_e32 v4, 0
	v_mov_b32_e32 v8, 0
	;; [unrolled: 1-line block ×6, first 2 shown]
	s_waitcnt vmcnt(0) lgkmcnt(0)
	s_barrier
	s_and_saveexec_b64 s[16:17], s[6:7]
	s_cbranch_execz .LBB1940_13
; %bb.12:                               ;   in Loop: Header=BB1940_5 Depth=1
	v_mad_i64_i32 v[2:3], s[2:3], v10, s20, 0
	v_lshlrev_b64 v[2:3], 4, v[2:3]
	v_add_co_u32_e64 v2, s[2:3], v44, v2
	v_addc_co_u32_e64 v3, s[2:3], v45, v3, s[2:3]
	flat_load_dwordx4 v[6:9], v[2:3]
.LBB1940_13:                            ;   in Loop: Header=BB1940_5 Depth=1
	s_or_b64 exec, exec, s[16:17]
	v_mov_b32_e32 v2, 0
	v_mov_b32_e32 v3, 0
	s_waitcnt vmcnt(0) lgkmcnt(0)
	ds_write_b128 v39, v[6:9]
	s_and_saveexec_b64 s[6:7], s[10:11]
	s_cbranch_execz .LBB1940_15
; %bb.14:                               ;   in Loop: Header=BB1940_5 Depth=1
	v_mad_i64_i32 v[2:3], s[2:3], v11, s19, 0
	v_lshlrev_b64 v[2:3], 4, v[2:3]
	v_add_co_u32_e64 v2, s[2:3], v46, v2
	v_addc_co_u32_e64 v3, s[2:3], v47, v3, s[2:3]
	flat_load_dwordx4 v[2:5], v[2:3]
	s_waitcnt vmcnt(0) lgkmcnt(0)
	v_xor_b32_e32 v5, 0x80000000, v5
.LBB1940_15:                            ;   in Loop: Header=BB1940_5 Depth=1
	s_or_b64 exec, exec, s[6:7]
	ds_write_b128 v43, v[2:5]
	s_waitcnt lgkmcnt(0)
	s_barrier
	s_and_saveexec_b64 s[2:3], s[4:5]
	s_cbranch_execz .LBB1940_4
; %bb.16:                               ;   in Loop: Header=BB1940_5 Depth=1
	ds_read_b128 v[4:7], v42
	ds_read_b128 v[8:11], v38
	ds_read_b128 v[12:15], v38 offset:16
	ds_read_b128 v[16:19], v42 offset:512
	;; [unrolled: 1-line block ×3, first 2 shown]
	s_waitcnt lgkmcnt(3)
	v_mul_f64 v[2:3], v[6:7], v[10:11]
	v_mul_f64 v[10:11], v[4:5], v[10:11]
	s_waitcnt lgkmcnt(1)
	v_mul_f64 v[32:33], v[18:19], v[14:15]
	v_mul_f64 v[54:55], v[16:17], v[14:15]
	v_fma_f64 v[52:53], v[4:5], v[8:9], -v[2:3]
	ds_read_b128 v[24:27], v38 offset:32
	ds_read_b128 v[2:5], v38 offset:48
	ds_read_b128 v[28:31], v42 offset:1536
	ds_read_b128 v[48:51], v38 offset:64
	v_fma_f64 v[10:11], v[6:7], v[8:9], v[10:11]
	s_waitcnt lgkmcnt(3)
	v_mul_f64 v[56:57], v[22:23], v[26:27]
	v_fma_f64 v[32:33], v[16:17], v[12:13], -v[32:33]
	v_mul_f64 v[26:27], v[20:21], v[26:27]
	s_waitcnt lgkmcnt(1)
	v_mul_f64 v[58:59], v[30:31], v[4:5]
	v_fma_f64 v[54:55], v[18:19], v[12:13], v[54:55]
	v_add_f64 v[52:53], v[52:53], 0
	ds_read_b128 v[6:9], v42 offset:2048
	ds_read_b128 v[14:17], v42 offset:2560
	v_add_f64 v[60:61], v[10:11], 0
	v_fma_f64 v[56:57], v[20:21], v[24:25], -v[56:57]
	v_mul_f64 v[4:5], v[28:29], v[4:5]
	v_fma_f64 v[62:63], v[22:23], v[24:25], v[26:27]
	v_fma_f64 v[58:59], v[28:29], v[2:3], -v[58:59]
	ds_read_b128 v[10:13], v38 offset:80
	ds_read_b128 v[18:21], v38 offset:96
	v_add_f64 v[32:33], v[52:53], v[32:33]
	s_waitcnt lgkmcnt(3)
	v_mul_f64 v[52:53], v[8:9], v[50:51]
	v_add_f64 v[54:55], v[60:61], v[54:55]
	v_mul_f64 v[50:51], v[6:7], v[50:51]
	v_fma_f64 v[60:61], v[30:31], v[2:3], v[4:5]
	ds_read_b128 v[22:25], v42 offset:3072
	ds_read_b128 v[26:29], v42 offset:3584
	v_add_f64 v[32:33], v[32:33], v[56:57]
	s_waitcnt lgkmcnt(3)
	v_mul_f64 v[56:57], v[16:17], v[12:13]
	v_fma_f64 v[6:7], v[6:7], v[48:49], -v[52:53]
	v_add_f64 v[52:53], v[54:55], v[62:63]
	s_waitcnt lgkmcnt(1)
	v_mul_f64 v[62:63], v[24:25], v[20:21]
	v_fma_f64 v[48:49], v[8:9], v[48:49], v[50:51]
	v_add_f64 v[54:55], v[32:33], v[58:59]
	v_mul_f64 v[58:59], v[14:15], v[12:13]
	v_fma_f64 v[50:51], v[14:15], v[10:11], -v[56:57]
	v_add_f64 v[52:53], v[52:53], v[60:61]
	ds_read_b128 v[2:5], v38 offset:112
	ds_read_b128 v[30:33], v38 offset:128
	v_mul_f64 v[56:57], v[22:23], v[20:21]
	s_waitcnt lgkmcnt(1)
	v_mul_f64 v[60:61], v[28:29], v[4:5]
	v_add_f64 v[54:55], v[54:55], v[6:7]
	v_fma_f64 v[10:11], v[16:17], v[10:11], v[58:59]
	v_fma_f64 v[16:17], v[22:23], v[18:19], -v[62:63]
	v_add_f64 v[52:53], v[52:53], v[48:49]
	ds_read_b128 v[6:9], v42 offset:4096
	ds_read_b128 v[12:15], v42 offset:4608
	v_mul_f64 v[4:5], v[26:27], v[4:5]
	v_fma_f64 v[56:57], v[24:25], v[18:19], v[56:57]
	v_fma_f64 v[60:61], v[26:27], v[2:3], -v[60:61]
	v_add_f64 v[54:55], v[54:55], v[50:51]
	s_waitcnt lgkmcnt(1)
	v_mul_f64 v[58:59], v[8:9], v[32:33]
	ds_read_b128 v[20:23], v38 offset:144
	ds_read_b128 v[48:51], v38 offset:160
	v_add_f64 v[10:11], v[52:53], v[10:11]
	v_mul_f64 v[32:33], v[6:7], v[32:33]
	v_fma_f64 v[28:29], v[28:29], v[2:3], v[4:5]
	s_waitcnt lgkmcnt(1)
	v_mul_f64 v[62:63], v[14:15], v[22:23]
	v_mul_f64 v[22:23], v[12:13], v[22:23]
	v_add_f64 v[52:53], v[54:55], v[16:17]
	v_fma_f64 v[6:7], v[6:7], v[30:31], -v[58:59]
	ds_read_b128 v[16:19], v42 offset:5120
	ds_read_b128 v[24:27], v42 offset:5632
	v_add_f64 v[10:11], v[10:11], v[56:57]
	v_fma_f64 v[30:31], v[8:9], v[30:31], v[32:33]
	s_waitcnt lgkmcnt(1)
	v_mul_f64 v[58:59], v[18:19], v[50:51]
	v_fma_f64 v[32:33], v[12:13], v[20:21], -v[62:63]
	v_add_f64 v[56:57], v[52:53], v[60:61]
	ds_read_b128 v[2:5], v38 offset:176
	ds_read_b128 v[52:55], v38 offset:192
	v_mul_f64 v[50:51], v[16:17], v[50:51]
	v_add_f64 v[28:29], v[10:11], v[28:29]
	v_fma_f64 v[62:63], v[14:15], v[20:21], v[22:23]
	s_waitcnt lgkmcnt(1)
	v_mul_f64 v[60:61], v[26:27], v[4:5]
	v_fma_f64 v[58:59], v[16:17], v[48:49], -v[58:59]
	v_mul_f64 v[4:5], v[24:25], v[4:5]
	v_add_f64 v[56:57], v[56:57], v[6:7]
	ds_read_b128 v[6:9], v42 offset:6144
	ds_read_b128 v[10:13], v42 offset:6656
	v_fma_f64 v[18:19], v[18:19], v[48:49], v[50:51]
	v_add_f64 v[28:29], v[28:29], v[30:31]
	ds_read_b128 v[14:17], v38 offset:208
	ds_read_b128 v[20:23], v38 offset:224
	v_fma_f64 v[24:25], v[24:25], v[2:3], -v[60:61]
	s_waitcnt lgkmcnt(1)
	v_mul_f64 v[60:61], v[12:13], v[16:17]
	v_add_f64 v[30:31], v[56:57], v[32:33]
	v_mul_f64 v[32:33], v[8:9], v[54:55]
	v_add_f64 v[56:57], v[28:29], v[62:63]
	v_mul_f64 v[54:55], v[6:7], v[54:55]
	v_fma_f64 v[62:63], v[26:27], v[2:3], v[4:5]
	v_add_f64 v[58:59], v[30:31], v[58:59]
	v_fma_f64 v[6:7], v[6:7], v[52:53], -v[32:33]
	v_add_f64 v[18:19], v[56:57], v[18:19]
	ds_read_b128 v[28:31], v42 offset:7168
	ds_read_b128 v[48:51], v42 offset:7680
	v_mul_f64 v[56:57], v[10:11], v[16:17]
	v_fma_f64 v[52:53], v[8:9], v[52:53], v[54:55]
	v_fma_f64 v[10:11], v[10:11], v[14:15], -v[60:61]
	v_add_f64 v[32:33], v[58:59], v[24:25]
	s_waitcnt lgkmcnt(1)
	v_mul_f64 v[58:59], v[30:31], v[22:23]
	v_add_f64 v[54:55], v[18:19], v[62:63]
	ds_read_b128 v[2:5], v38 offset:240
	ds_read_b128 v[24:27], v38 offset:256
	v_mul_f64 v[22:23], v[28:29], v[22:23]
	v_fma_f64 v[14:15], v[12:13], v[14:15], v[56:57]
	s_waitcnt lgkmcnt(1)
	v_mul_f64 v[60:61], v[50:51], v[4:5]
	v_add_f64 v[32:33], v[32:33], v[6:7]
	v_fma_f64 v[28:29], v[28:29], v[20:21], -v[58:59]
	v_add_f64 v[56:57], v[54:55], v[52:53]
	ds_read_b128 v[6:9], v42 offset:8192
	ds_read_b128 v[16:19], v42 offset:8704
	v_mul_f64 v[4:5], v[48:49], v[4:5]
	v_fma_f64 v[62:63], v[30:31], v[20:21], v[22:23]
	s_waitcnt lgkmcnt(1)
	v_mul_f64 v[58:59], v[8:9], v[26:27]
	v_add_f64 v[32:33], v[32:33], v[10:11]
	v_fma_f64 v[48:49], v[48:49], v[2:3], -v[60:61]
	;; [unrolled: 9-line block ×9, first 2 shown]
	v_add_f64 v[48:49], v[56:57], v[48:49]
	ds_read_b128 v[10:13], v42 offset:12288
	ds_read_b128 v[6:9], v42 offset:12800
	v_mul_f64 v[32:33], v[52:53], v[32:33]
	v_fma_f64 v[56:57], v[22:23], v[24:25], v[26:27]
	ds_read_b128 v[14:17], v38 offset:400
	ds_read_b128 v[18:21], v38 offset:416
	v_fma_f64 v[52:53], v[52:53], v[30:31], -v[58:59]
	v_add_f64 v[28:29], v[28:29], v[50:51]
	s_waitcnt lgkmcnt(3)
	v_mul_f64 v[50:51], v[12:13], v[4:5]
	v_add_f64 v[48:49], v[48:49], v[62:63]
	v_mul_f64 v[4:5], v[10:11], v[4:5]
	v_fma_f64 v[54:55], v[54:55], v[30:31], v[32:33]
	v_add_f64 v[58:59], v[28:29], v[60:61]
	s_waitcnt lgkmcnt(1)
	v_mul_f64 v[60:61], v[8:9], v[16:17]
	v_fma_f64 v[10:11], v[10:11], v[2:3], -v[50:51]
	v_add_f64 v[56:57], v[48:49], v[56:57]
	ds_read_b128 v[26:29], v42 offset:13312
	ds_read_b128 v[22:25], v42 offset:13824
	flat_load_dwordx4 v[48:51], v[34:35]
	v_mul_f64 v[16:17], v[6:7], v[16:17]
	v_fma_f64 v[62:63], v[12:13], v[2:3], v[4:5]
	v_add_f64 v[52:53], v[58:59], v[52:53]
	s_waitcnt lgkmcnt(0)
	v_mul_f64 v[58:59], v[28:29], v[20:21]
	v_fma_f64 v[6:7], v[6:7], v[14:15], -v[60:61]
	v_add_f64 v[54:55], v[56:57], v[54:55]
	ds_read_b128 v[30:33], v38 offset:432
	v_mul_f64 v[20:21], v[26:27], v[20:21]
	v_fma_f64 v[60:61], v[8:9], v[14:15], v[16:17]
	v_add_f64 v[52:53], v[52:53], v[10:11]
	s_waitcnt lgkmcnt(0)
	v_mul_f64 v[56:57], v[24:25], v[32:33]
	v_fma_f64 v[26:27], v[26:27], v[18:19], -v[58:59]
	v_add_f64 v[54:55], v[54:55], v[62:63]
	ds_read_b128 v[2:5], v38 offset:448
	ds_read_b128 v[10:13], v42 offset:14336
	v_mul_f64 v[32:33], v[22:23], v[32:33]
	v_fma_f64 v[62:63], v[28:29], v[18:19], v[20:21]
	v_add_f64 v[52:53], v[52:53], v[6:7]
	s_waitcnt lgkmcnt(0)
	v_mul_f64 v[58:59], v[12:13], v[4:5]
	v_fma_f64 v[22:23], v[22:23], v[30:31], -v[56:57]
	v_add_f64 v[54:55], v[54:55], v[60:61]
	ds_read_b128 v[6:9], v42 offset:14848
	;; [unrolled: 9-line block ×4, first 2 shown]
	ds_read_b128 v[30:33], v38 offset:496
	v_mul_f64 v[12:13], v[26:27], v[20:21]
	v_fma_f64 v[8:9], v[8:9], v[14:15], v[16:17]
	v_add_f64 v[10:11], v[52:53], v[10:11]
	s_waitcnt lgkmcnt(0)
	v_mul_f64 v[20:21], v[24:25], v[32:33]
	v_fma_f64 v[14:15], v[26:27], v[18:19], -v[58:59]
	v_add_f64 v[2:3], v[6:7], v[2:3]
	v_mul_f64 v[6:7], v[22:23], v[32:33]
	v_add_f64 v[4:5], v[10:11], v[4:5]
	v_fma_f64 v[10:11], v[28:29], v[18:19], v[12:13]
	v_fma_f64 v[12:13], v[22:23], v[30:31], -v[20:21]
	v_add_f64 v[2:3], v[2:3], v[8:9]
	v_fma_f64 v[6:7], v[24:25], v[30:31], v[6:7]
	v_add_f64 v[4:5], v[4:5], v[14:15]
	v_add_f64 v[2:3], v[2:3], v[10:11]
	v_add_f64 v[4:5], v[4:5], v[12:13]
	v_add_f64 v[2:3], v[2:3], v[6:7]
	v_mul_f64 v[6:7], s[12:13], v[4:5]
	v_mul_f64 v[4:5], s[14:15], v[4:5]
	v_fma_f64 v[6:7], s[14:15], v[2:3], v[6:7]
	v_fma_f64 v[4:5], s[12:13], v[2:3], -v[4:5]
	s_waitcnt vmcnt(0)
	v_add_f64 v[2:3], v[48:49], v[6:7]
	v_add_f64 v[4:5], v[50:51], v[4:5]
	flat_store_dwordx4 v[34:35], v[2:5]
	s_branch .LBB1940_4
.LBB1940_17:
	s_endpgm
	.section	.rodata,"a",@progbits
	.p2align	6, 0x0
	.amdhsa_kernel _ZL26rocblas_syr2k_her2k_kernelIiLb1ELb1ELb0ELi32E19rocblas_complex_numIdEPKPKS1_PKPS1_EvbiT_T4_T5_S9_lSB_S9_lT6_S9_li
		.amdhsa_group_segment_fixed_size 32768
		.amdhsa_private_segment_fixed_size 0
		.amdhsa_kernarg_size 108
		.amdhsa_user_sgpr_count 6
		.amdhsa_user_sgpr_private_segment_buffer 1
		.amdhsa_user_sgpr_dispatch_ptr 0
		.amdhsa_user_sgpr_queue_ptr 0
		.amdhsa_user_sgpr_kernarg_segment_ptr 1
		.amdhsa_user_sgpr_dispatch_id 0
		.amdhsa_user_sgpr_flat_scratch_init 0
		.amdhsa_user_sgpr_private_segment_size 0
		.amdhsa_uses_dynamic_stack 0
		.amdhsa_system_sgpr_private_segment_wavefront_offset 0
		.amdhsa_system_sgpr_workgroup_id_x 1
		.amdhsa_system_sgpr_workgroup_id_y 1
		.amdhsa_system_sgpr_workgroup_id_z 1
		.amdhsa_system_sgpr_workgroup_info 0
		.amdhsa_system_vgpr_workitem_id 1
		.amdhsa_next_free_vgpr 64
		.amdhsa_next_free_sgpr 61
		.amdhsa_reserve_vcc 1
		.amdhsa_reserve_flat_scratch 0
		.amdhsa_float_round_mode_32 0
		.amdhsa_float_round_mode_16_64 0
		.amdhsa_float_denorm_mode_32 3
		.amdhsa_float_denorm_mode_16_64 3
		.amdhsa_dx10_clamp 1
		.amdhsa_ieee_mode 1
		.amdhsa_fp16_overflow 0
		.amdhsa_exception_fp_ieee_invalid_op 0
		.amdhsa_exception_fp_denorm_src 0
		.amdhsa_exception_fp_ieee_div_zero 0
		.amdhsa_exception_fp_ieee_overflow 0
		.amdhsa_exception_fp_ieee_underflow 0
		.amdhsa_exception_fp_ieee_inexact 0
		.amdhsa_exception_int_div_zero 0
	.end_amdhsa_kernel
	.section	.text._ZL26rocblas_syr2k_her2k_kernelIiLb1ELb1ELb0ELi32E19rocblas_complex_numIdEPKPKS1_PKPS1_EvbiT_T4_T5_S9_lSB_S9_lT6_S9_li,"axG",@progbits,_ZL26rocblas_syr2k_her2k_kernelIiLb1ELb1ELb0ELi32E19rocblas_complex_numIdEPKPKS1_PKPS1_EvbiT_T4_T5_S9_lSB_S9_lT6_S9_li,comdat
.Lfunc_end1940:
	.size	_ZL26rocblas_syr2k_her2k_kernelIiLb1ELb1ELb0ELi32E19rocblas_complex_numIdEPKPKS1_PKPS1_EvbiT_T4_T5_S9_lSB_S9_lT6_S9_li, .Lfunc_end1940-_ZL26rocblas_syr2k_her2k_kernelIiLb1ELb1ELb0ELi32E19rocblas_complex_numIdEPKPKS1_PKPS1_EvbiT_T4_T5_S9_lSB_S9_lT6_S9_li
                                        ; -- End function
	.set _ZL26rocblas_syr2k_her2k_kernelIiLb1ELb1ELb0ELi32E19rocblas_complex_numIdEPKPKS1_PKPS1_EvbiT_T4_T5_S9_lSB_S9_lT6_S9_li.num_vgpr, 64
	.set _ZL26rocblas_syr2k_her2k_kernelIiLb1ELb1ELb0ELi32E19rocblas_complex_numIdEPKPKS1_PKPS1_EvbiT_T4_T5_S9_lSB_S9_lT6_S9_li.num_agpr, 0
	.set _ZL26rocblas_syr2k_her2k_kernelIiLb1ELb1ELb0ELi32E19rocblas_complex_numIdEPKPKS1_PKPS1_EvbiT_T4_T5_S9_lSB_S9_lT6_S9_li.numbered_sgpr, 32
	.set _ZL26rocblas_syr2k_her2k_kernelIiLb1ELb1ELb0ELi32E19rocblas_complex_numIdEPKPKS1_PKPS1_EvbiT_T4_T5_S9_lSB_S9_lT6_S9_li.num_named_barrier, 0
	.set _ZL26rocblas_syr2k_her2k_kernelIiLb1ELb1ELb0ELi32E19rocblas_complex_numIdEPKPKS1_PKPS1_EvbiT_T4_T5_S9_lSB_S9_lT6_S9_li.private_seg_size, 0
	.set _ZL26rocblas_syr2k_her2k_kernelIiLb1ELb1ELb0ELi32E19rocblas_complex_numIdEPKPKS1_PKPS1_EvbiT_T4_T5_S9_lSB_S9_lT6_S9_li.uses_vcc, 1
	.set _ZL26rocblas_syr2k_her2k_kernelIiLb1ELb1ELb0ELi32E19rocblas_complex_numIdEPKPKS1_PKPS1_EvbiT_T4_T5_S9_lSB_S9_lT6_S9_li.uses_flat_scratch, 0
	.set _ZL26rocblas_syr2k_her2k_kernelIiLb1ELb1ELb0ELi32E19rocblas_complex_numIdEPKPKS1_PKPS1_EvbiT_T4_T5_S9_lSB_S9_lT6_S9_li.has_dyn_sized_stack, 0
	.set _ZL26rocblas_syr2k_her2k_kernelIiLb1ELb1ELb0ELi32E19rocblas_complex_numIdEPKPKS1_PKPS1_EvbiT_T4_T5_S9_lSB_S9_lT6_S9_li.has_recursion, 0
	.set _ZL26rocblas_syr2k_her2k_kernelIiLb1ELb1ELb0ELi32E19rocblas_complex_numIdEPKPKS1_PKPS1_EvbiT_T4_T5_S9_lSB_S9_lT6_S9_li.has_indirect_call, 0
	.section	.AMDGPU.csdata,"",@progbits
; Kernel info:
; codeLenInByte = 5412
; TotalNumSgprs: 36
; NumVgprs: 64
; ScratchSize: 0
; MemoryBound: 1
; FloatMode: 240
; IeeeMode: 1
; LDSByteSize: 32768 bytes/workgroup (compile time only)
; SGPRBlocks: 8
; VGPRBlocks: 15
; NumSGPRsForWavesPerEU: 65
; NumVGPRsForWavesPerEU: 64
; Occupancy: 4
; WaveLimiterHint : 1
; COMPUTE_PGM_RSRC2:SCRATCH_EN: 0
; COMPUTE_PGM_RSRC2:USER_SGPR: 6
; COMPUTE_PGM_RSRC2:TRAP_HANDLER: 0
; COMPUTE_PGM_RSRC2:TGID_X_EN: 1
; COMPUTE_PGM_RSRC2:TGID_Y_EN: 1
; COMPUTE_PGM_RSRC2:TGID_Z_EN: 1
; COMPUTE_PGM_RSRC2:TIDIG_COMP_CNT: 1
	.section	.text._ZL26rocblas_syr2k_her2k_kernelIiLb1ELb1ELb1ELi32E19rocblas_complex_numIdEPKPKS1_PKPS1_EvbiT_T4_T5_S9_lSB_S9_lT6_S9_li,"axG",@progbits,_ZL26rocblas_syr2k_her2k_kernelIiLb1ELb1ELb1ELi32E19rocblas_complex_numIdEPKPKS1_PKPS1_EvbiT_T4_T5_S9_lSB_S9_lT6_S9_li,comdat
	.globl	_ZL26rocblas_syr2k_her2k_kernelIiLb1ELb1ELb1ELi32E19rocblas_complex_numIdEPKPKS1_PKPS1_EvbiT_T4_T5_S9_lSB_S9_lT6_S9_li ; -- Begin function _ZL26rocblas_syr2k_her2k_kernelIiLb1ELb1ELb1ELi32E19rocblas_complex_numIdEPKPKS1_PKPS1_EvbiT_T4_T5_S9_lSB_S9_lT6_S9_li
	.p2align	8
	.type	_ZL26rocblas_syr2k_her2k_kernelIiLb1ELb1ELb1ELi32E19rocblas_complex_numIdEPKPKS1_PKPS1_EvbiT_T4_T5_S9_lSB_S9_lT6_S9_li,@function
_ZL26rocblas_syr2k_her2k_kernelIiLb1ELb1ELb1ELi32E19rocblas_complex_numIdEPKPKS1_PKPS1_EvbiT_T4_T5_S9_lSB_S9_lT6_S9_li: ; @_ZL26rocblas_syr2k_her2k_kernelIiLb1ELb1ELb1ELi32E19rocblas_complex_numIdEPKPKS1_PKPS1_EvbiT_T4_T5_S9_lSB_S9_lT6_S9_li
; %bb.0:
	s_load_dwordx4 s[12:15], s[4:5], 0x10
	s_waitcnt lgkmcnt(0)
	v_cmp_eq_f64_e64 s[0:1], s[12:13], 0
	v_cmp_eq_f64_e64 s[2:3], s[14:15], 0
	s_and_b64 s[0:1], s[0:1], s[2:3]
	s_and_b64 vcc, exec, s[0:1]
	s_cbranch_vccnz .LBB1941_17
; %bb.1:
	s_load_dwordx4 s[16:19], s[4:5], 0x0
	s_lshl_b32 s0, s7, 5
	s_lshl_b32 s1, s6, 5
	s_waitcnt lgkmcnt(0)
	s_and_b32 s2, 1, s16
	s_cmp_eq_u32 s2, 1
	s_cselect_b64 vcc, -1, 0
	s_and_b64 s[2:3], vcc, exec
	s_cselect_b32 s2, s1, s0
	s_cselect_b32 s3, s0, s1
	s_cmp_gt_i32 s2, s3
	s_cbranch_scc1 .LBB1941_17
; %bb.2:
	s_cmp_lt_i32 s18, 1
	s_cbranch_scc1 .LBB1941_17
; %bb.3:
	s_mov_b32 s9, 0
	s_load_dwordx2 s[2:3], s[4:5], 0x20
	s_load_dword s16, s[4:5], 0x28
	s_load_dwordx4 s[20:23], s[4:5], 0x30
	s_load_dword s19, s[4:5], 0x40
	s_load_dwordx4 s[24:27], s[4:5], 0x48
	s_load_dword s28, s[4:5], 0x58
	s_load_dwordx2 s[6:7], s[4:5], 0x60
	s_lshl_b64 s[4:5], s[8:9], 3
	s_waitcnt lgkmcnt(0)
	s_add_u32 s2, s2, s4
	s_addc_u32 s3, s3, s5
	s_load_dwordx2 s[2:3], s[2:3], 0x0
	v_add_u32_e32 v2, s1, v0
	s_add_u32 s10, s22, s4
	v_add_u32_e32 v7, s0, v1
	v_mad_i64_i32 v[4:5], s[0:1], s16, v2, 0
	s_addc_u32 s11, s23, s5
	s_add_u32 s4, s26, s4
	s_addc_u32 s5, s27, s5
	s_lshl_b64 s[20:21], s[20:21], 4
	s_waitcnt lgkmcnt(0)
	s_add_u32 s8, s2, s20
	v_lshlrev_b64 v[4:5], 4, v[4:5]
	s_load_dwordx2 s[10:11], s[10:11], 0x0
	s_addc_u32 s20, s3, s21
	v_mov_b32_e32 v9, s20
	v_add_co_u32_e64 v36, s[0:1], s8, v4
	s_load_dwordx2 s[4:5], s[4:5], 0x0
	v_addc_co_u32_e64 v37, s[0:1], v9, v5, s[0:1]
	v_mad_i64_i32 v[4:5], s[0:1], s19, v7, 0
	s_lshl_b64 s[2:3], s[24:25], 4
	s_waitcnt lgkmcnt(0)
	s_add_u32 s10, s10, s2
	s_addc_u32 s11, s11, s3
	s_lshl_b64 s[2:3], s[6:7], 4
	v_lshlrev_b64 v[4:5], 4, v[4:5]
	s_add_u32 s6, s4, s2
	s_addc_u32 s7, s5, s3
	v_mov_b32_e32 v10, s11
	v_add_co_u32_e64 v40, s[2:3], s10, v4
	v_addc_co_u32_e64 v41, s[2:3], v10, v5, s[2:3]
	v_mad_i64_i32 v[4:5], s[2:3], s28, v7, 0
	v_cndmask_b32_e32 v6, v2, v7, vcc
	v_cndmask_b32_e32 v8, v7, v2, vcc
	v_cmp_gt_i32_e32 vcc, s17, v2
	v_cmp_gt_i32_e64 s[0:1], s17, v7
	v_lshlrev_b64 v[4:5], 4, v[4:5]
	v_cmp_le_i32_e64 s[2:3], v8, v6
	s_and_b64 s[4:5], s[0:1], vcc
	v_lshlrev_b32_e32 v38, 9, v0
	v_lshlrev_b32_e32 v9, 4, v1
	s_and_b64 s[4:5], s[4:5], s[2:3]
	v_mov_b32_e32 v6, s7
	v_add_co_u32_e64 v8, s[2:3], s6, v4
	v_ashrrev_i32_e32 v3, 31, v2
	v_add_u32_e32 v39, v38, v9
	v_or_b32_e32 v42, 0x4000, v9
	v_addc_co_u32_e64 v9, s[2:3], v6, v5, s[2:3]
	v_mad_i64_i32 v[5:6], s[2:3], s19, v2, 0
	v_lshlrev_b64 v[3:4], 4, v[2:3]
	v_add_u32_e32 v43, v42, v38
	v_add_co_u32_e64 v34, s[2:3], v8, v3
	v_addc_co_u32_e64 v35, s[2:3], v9, v4, s[2:3]
	v_lshlrev_b64 v[2:3], 4, v[5:6]
	v_mad_i64_i32 v[4:5], s[2:3], s16, v7, 0
	v_mov_b32_e32 v6, s11
	v_add_co_u32_e64 v44, s[2:3], s10, v2
	v_addc_co_u32_e64 v45, s[2:3], v6, v3, s[2:3]
	v_lshlrev_b64 v[2:3], 4, v[4:5]
	v_mov_b32_e32 v4, s20
	v_add_co_u32_e64 v46, s[2:3], s8, v2
	v_addc_co_u32_e64 v47, s[2:3], v4, v3, s[2:3]
	s_branch .LBB1941_5
.LBB1941_4:                             ;   in Loop: Header=BB1941_5 Depth=1
	s_or_b64 exec, exec, s[2:3]
	s_add_i32 s9, s9, 32
	s_cmp_lt_i32 s9, s18
	s_waitcnt vmcnt(0) lgkmcnt(0)
	s_barrier
	s_cbranch_scc0 .LBB1941_17
.LBB1941_5:                             ; =>This Inner Loop Header: Depth=1
	v_add_u32_e32 v10, s9, v1
	v_cmp_gt_i32_e64 s[2:3], s18, v10
	v_mov_b32_e32 v2, 0
	v_mov_b32_e32 v4, 0
	;; [unrolled: 1-line block ×6, first 2 shown]
	s_and_b64 s[6:7], vcc, s[2:3]
	s_and_saveexec_b64 s[10:11], s[6:7]
	s_cbranch_execz .LBB1941_7
; %bb.6:                                ;   in Loop: Header=BB1941_5 Depth=1
	v_ashrrev_i32_e32 v11, 31, v10
	v_lshlrev_b64 v[4:5], 4, v[10:11]
	v_add_co_u32_e64 v4, s[2:3], v36, v4
	v_addc_co_u32_e64 v5, s[2:3], v37, v5, s[2:3]
	flat_load_dwordx4 v[4:7], v[4:5]
	s_waitcnt vmcnt(0) lgkmcnt(0)
	v_xor_b32_e32 v7, 0x80000000, v7
.LBB1941_7:                             ;   in Loop: Header=BB1941_5 Depth=1
	s_or_b64 exec, exec, s[10:11]
	v_add_u32_e32 v12, s9, v0
	ds_write_b128 v39, v[4:7]
	v_cmp_gt_i32_e64 s[2:3], s18, v12
	v_mov_b32_e32 v4, 0
	v_mov_b32_e32 v5, 0
	s_and_b64 s[10:11], s[0:1], s[2:3]
	s_and_saveexec_b64 s[16:17], s[10:11]
	s_cbranch_execz .LBB1941_9
; %bb.8:                                ;   in Loop: Header=BB1941_5 Depth=1
	v_ashrrev_i32_e32 v13, 31, v12
	v_lshlrev_b64 v[2:3], 4, v[12:13]
	v_add_co_u32_e64 v2, s[2:3], v40, v2
	v_addc_co_u32_e64 v3, s[2:3], v41, v3, s[2:3]
	flat_load_dwordx4 v[2:5], v[2:3]
.LBB1941_9:                             ;   in Loop: Header=BB1941_5 Depth=1
	s_or_b64 exec, exec, s[16:17]
	s_waitcnt vmcnt(0) lgkmcnt(0)
	ds_write_b128 v43, v[2:5]
	s_waitcnt lgkmcnt(0)
	s_barrier
	s_and_saveexec_b64 s[2:3], s[4:5]
	s_cbranch_execz .LBB1941_11
; %bb.10:                               ;   in Loop: Header=BB1941_5 Depth=1
	ds_read_b128 v[6:9], v42
	ds_read_b128 v[13:16], v38
	ds_read_b128 v[17:20], v38 offset:16
	ds_read_b128 v[21:24], v38 offset:32
	;; [unrolled: 1-line block ×3, first 2 shown]
	s_waitcnt lgkmcnt(3)
	v_mul_f64 v[25:26], v[8:9], v[15:16]
	v_fma_f64 v[25:26], v[6:7], v[13:14], -v[25:26]
	v_mul_f64 v[6:7], v[6:7], v[15:16]
	v_fma_f64 v[6:7], v[8:9], v[13:14], v[6:7]
	v_add_f64 v[13:14], v[25:26], 0
	v_add_f64 v[15:16], v[6:7], 0
	ds_read_b128 v[6:9], v42 offset:512
	s_waitcnt lgkmcnt(0)
	v_mul_f64 v[25:26], v[8:9], v[19:20]
	v_fma_f64 v[25:26], v[6:7], v[17:18], -v[25:26]
	v_mul_f64 v[6:7], v[6:7], v[19:20]
	v_add_f64 v[13:14], v[13:14], v[25:26]
	v_fma_f64 v[6:7], v[8:9], v[17:18], v[6:7]
	v_add_f64 v[15:16], v[15:16], v[6:7]
	ds_read_b128 v[6:9], v42 offset:1024
	s_waitcnt lgkmcnt(0)
	v_mul_f64 v[17:18], v[8:9], v[23:24]
	v_fma_f64 v[17:18], v[6:7], v[21:22], -v[17:18]
	v_mul_f64 v[6:7], v[6:7], v[23:24]
	v_add_f64 v[13:14], v[13:14], v[17:18]
	v_fma_f64 v[6:7], v[8:9], v[21:22], v[6:7]
	v_add_f64 v[15:16], v[15:16], v[6:7]
	ds_read_b128 v[6:9], v42 offset:1536
	s_waitcnt lgkmcnt(0)
	v_mul_f64 v[17:18], v[8:9], v[4:5]
	v_mul_f64 v[4:5], v[6:7], v[4:5]
	v_fma_f64 v[17:18], v[6:7], v[2:3], -v[17:18]
	v_fma_f64 v[2:3], v[8:9], v[2:3], v[4:5]
	v_add_f64 v[13:14], v[13:14], v[17:18]
	v_add_f64 v[15:16], v[15:16], v[2:3]
	ds_read_b128 v[2:5], v42 offset:2048
	ds_read_b128 v[6:9], v38 offset:64
	s_waitcnt lgkmcnt(0)
	v_mul_f64 v[17:18], v[4:5], v[8:9]
	v_fma_f64 v[17:18], v[2:3], v[6:7], -v[17:18]
	v_mul_f64 v[2:3], v[2:3], v[8:9]
	v_add_f64 v[13:14], v[13:14], v[17:18]
	v_fma_f64 v[2:3], v[4:5], v[6:7], v[2:3]
	v_add_f64 v[15:16], v[15:16], v[2:3]
	ds_read_b128 v[2:5], v42 offset:2560
	ds_read_b128 v[6:9], v38 offset:80
	s_waitcnt lgkmcnt(0)
	v_mul_f64 v[17:18], v[4:5], v[8:9]
	v_fma_f64 v[17:18], v[2:3], v[6:7], -v[17:18]
	v_mul_f64 v[2:3], v[2:3], v[8:9]
	v_add_f64 v[13:14], v[13:14], v[17:18]
	v_fma_f64 v[2:3], v[4:5], v[6:7], v[2:3]
	;; [unrolled: 9-line block ×27, first 2 shown]
	v_add_f64 v[15:16], v[15:16], v[2:3]
	ds_read_b128 v[2:5], v42 offset:15872
	ds_read_b128 v[6:9], v38 offset:496
	s_waitcnt lgkmcnt(0)
	v_mul_f64 v[17:18], v[4:5], v[8:9]
	v_fma_f64 v[17:18], v[2:3], v[6:7], -v[17:18]
	v_mul_f64 v[2:3], v[2:3], v[8:9]
	v_fma_f64 v[2:3], v[4:5], v[6:7], v[2:3]
	v_add_f64 v[4:5], v[13:14], v[17:18]
	v_add_f64 v[2:3], v[15:16], v[2:3]
	v_mul_f64 v[6:7], s[14:15], v[2:3]
	v_mul_f64 v[2:3], s[12:13], v[2:3]
	v_fma_f64 v[6:7], s[12:13], v[4:5], -v[6:7]
	v_fma_f64 v[8:9], s[14:15], v[4:5], v[2:3]
	flat_load_dwordx4 v[2:5], v[34:35]
	s_waitcnt vmcnt(0) lgkmcnt(0)
	v_add_f64 v[2:3], v[2:3], v[6:7]
	v_add_f64 v[4:5], v[4:5], v[8:9]
	flat_store_dwordx4 v[34:35], v[2:5]
.LBB1941_11:                            ;   in Loop: Header=BB1941_5 Depth=1
	s_or_b64 exec, exec, s[2:3]
	v_mov_b32_e32 v4, 0
	v_mov_b32_e32 v8, 0
	;; [unrolled: 1-line block ×6, first 2 shown]
	s_waitcnt vmcnt(0) lgkmcnt(0)
	s_barrier
	s_and_saveexec_b64 s[16:17], s[6:7]
	s_cbranch_execz .LBB1941_13
; %bb.12:                               ;   in Loop: Header=BB1941_5 Depth=1
	v_ashrrev_i32_e32 v11, 31, v10
	v_lshlrev_b64 v[2:3], 4, v[10:11]
	v_add_co_u32_e64 v2, s[2:3], v44, v2
	v_addc_co_u32_e64 v3, s[2:3], v45, v3, s[2:3]
	flat_load_dwordx4 v[6:9], v[2:3]
	s_waitcnt vmcnt(0) lgkmcnt(0)
	v_xor_b32_e32 v9, 0x80000000, v9
.LBB1941_13:                            ;   in Loop: Header=BB1941_5 Depth=1
	s_or_b64 exec, exec, s[16:17]
	v_mov_b32_e32 v2, 0
	v_mov_b32_e32 v3, 0
	ds_write_b128 v39, v[6:9]
	s_and_saveexec_b64 s[6:7], s[10:11]
	s_cbranch_execz .LBB1941_15
; %bb.14:                               ;   in Loop: Header=BB1941_5 Depth=1
	v_ashrrev_i32_e32 v13, 31, v12
	v_lshlrev_b64 v[2:3], 4, v[12:13]
	v_add_co_u32_e64 v2, s[2:3], v46, v2
	v_addc_co_u32_e64 v3, s[2:3], v47, v3, s[2:3]
	flat_load_dwordx4 v[2:5], v[2:3]
.LBB1941_15:                            ;   in Loop: Header=BB1941_5 Depth=1
	s_or_b64 exec, exec, s[6:7]
	s_waitcnt vmcnt(0) lgkmcnt(0)
	ds_write_b128 v43, v[2:5]
	s_waitcnt lgkmcnt(0)
	s_barrier
	s_and_saveexec_b64 s[2:3], s[4:5]
	s_cbranch_execz .LBB1941_4
; %bb.16:                               ;   in Loop: Header=BB1941_5 Depth=1
	ds_read_b128 v[4:7], v42
	ds_read_b128 v[8:11], v38
	ds_read_b128 v[12:15], v38 offset:16
	ds_read_b128 v[16:19], v42 offset:512
	;; [unrolled: 1-line block ×3, first 2 shown]
	s_waitcnt lgkmcnt(3)
	v_mul_f64 v[2:3], v[6:7], v[10:11]
	v_mul_f64 v[10:11], v[4:5], v[10:11]
	s_waitcnt lgkmcnt(1)
	v_mul_f64 v[32:33], v[18:19], v[14:15]
	v_mul_f64 v[54:55], v[16:17], v[14:15]
	v_fma_f64 v[52:53], v[4:5], v[8:9], -v[2:3]
	ds_read_b128 v[24:27], v38 offset:32
	ds_read_b128 v[2:5], v38 offset:48
	;; [unrolled: 1-line block ×4, first 2 shown]
	v_fma_f64 v[10:11], v[6:7], v[8:9], v[10:11]
	s_waitcnt lgkmcnt(3)
	v_mul_f64 v[56:57], v[22:23], v[26:27]
	v_fma_f64 v[32:33], v[16:17], v[12:13], -v[32:33]
	v_mul_f64 v[26:27], v[20:21], v[26:27]
	s_waitcnt lgkmcnt(1)
	v_mul_f64 v[58:59], v[30:31], v[4:5]
	v_fma_f64 v[54:55], v[18:19], v[12:13], v[54:55]
	v_add_f64 v[52:53], v[52:53], 0
	ds_read_b128 v[6:9], v42 offset:2048
	ds_read_b128 v[14:17], v42 offset:2560
	v_add_f64 v[60:61], v[10:11], 0
	v_fma_f64 v[56:57], v[20:21], v[24:25], -v[56:57]
	v_mul_f64 v[4:5], v[28:29], v[4:5]
	v_fma_f64 v[62:63], v[22:23], v[24:25], v[26:27]
	v_fma_f64 v[58:59], v[28:29], v[2:3], -v[58:59]
	ds_read_b128 v[10:13], v38 offset:80
	ds_read_b128 v[18:21], v38 offset:96
	v_add_f64 v[32:33], v[52:53], v[32:33]
	s_waitcnt lgkmcnt(3)
	v_mul_f64 v[52:53], v[8:9], v[50:51]
	v_add_f64 v[54:55], v[60:61], v[54:55]
	v_mul_f64 v[50:51], v[6:7], v[50:51]
	v_fma_f64 v[60:61], v[30:31], v[2:3], v[4:5]
	ds_read_b128 v[22:25], v42 offset:3072
	ds_read_b128 v[26:29], v42 offset:3584
	v_add_f64 v[32:33], v[32:33], v[56:57]
	s_waitcnt lgkmcnt(3)
	v_mul_f64 v[56:57], v[16:17], v[12:13]
	v_fma_f64 v[6:7], v[6:7], v[48:49], -v[52:53]
	v_add_f64 v[52:53], v[54:55], v[62:63]
	s_waitcnt lgkmcnt(1)
	v_mul_f64 v[62:63], v[24:25], v[20:21]
	v_fma_f64 v[48:49], v[8:9], v[48:49], v[50:51]
	v_add_f64 v[54:55], v[32:33], v[58:59]
	v_mul_f64 v[58:59], v[14:15], v[12:13]
	v_fma_f64 v[50:51], v[14:15], v[10:11], -v[56:57]
	v_add_f64 v[52:53], v[52:53], v[60:61]
	ds_read_b128 v[2:5], v38 offset:112
	ds_read_b128 v[30:33], v38 offset:128
	v_mul_f64 v[56:57], v[22:23], v[20:21]
	s_waitcnt lgkmcnt(1)
	v_mul_f64 v[60:61], v[28:29], v[4:5]
	v_add_f64 v[54:55], v[54:55], v[6:7]
	v_fma_f64 v[10:11], v[16:17], v[10:11], v[58:59]
	v_fma_f64 v[16:17], v[22:23], v[18:19], -v[62:63]
	v_add_f64 v[52:53], v[52:53], v[48:49]
	ds_read_b128 v[6:9], v42 offset:4096
	ds_read_b128 v[12:15], v42 offset:4608
	v_mul_f64 v[4:5], v[26:27], v[4:5]
	v_fma_f64 v[56:57], v[24:25], v[18:19], v[56:57]
	v_fma_f64 v[60:61], v[26:27], v[2:3], -v[60:61]
	v_add_f64 v[54:55], v[54:55], v[50:51]
	s_waitcnt lgkmcnt(1)
	v_mul_f64 v[58:59], v[8:9], v[32:33]
	ds_read_b128 v[20:23], v38 offset:144
	ds_read_b128 v[48:51], v38 offset:160
	v_add_f64 v[10:11], v[52:53], v[10:11]
	v_mul_f64 v[32:33], v[6:7], v[32:33]
	v_fma_f64 v[28:29], v[28:29], v[2:3], v[4:5]
	s_waitcnt lgkmcnt(1)
	v_mul_f64 v[62:63], v[14:15], v[22:23]
	v_mul_f64 v[22:23], v[12:13], v[22:23]
	v_add_f64 v[52:53], v[54:55], v[16:17]
	v_fma_f64 v[6:7], v[6:7], v[30:31], -v[58:59]
	ds_read_b128 v[16:19], v42 offset:5120
	ds_read_b128 v[24:27], v42 offset:5632
	v_add_f64 v[10:11], v[10:11], v[56:57]
	v_fma_f64 v[30:31], v[8:9], v[30:31], v[32:33]
	s_waitcnt lgkmcnt(1)
	v_mul_f64 v[58:59], v[18:19], v[50:51]
	v_fma_f64 v[32:33], v[12:13], v[20:21], -v[62:63]
	v_add_f64 v[56:57], v[52:53], v[60:61]
	ds_read_b128 v[2:5], v38 offset:176
	ds_read_b128 v[52:55], v38 offset:192
	v_mul_f64 v[50:51], v[16:17], v[50:51]
	v_add_f64 v[28:29], v[10:11], v[28:29]
	v_fma_f64 v[62:63], v[14:15], v[20:21], v[22:23]
	s_waitcnt lgkmcnt(1)
	v_mul_f64 v[60:61], v[26:27], v[4:5]
	v_fma_f64 v[58:59], v[16:17], v[48:49], -v[58:59]
	v_mul_f64 v[4:5], v[24:25], v[4:5]
	v_add_f64 v[56:57], v[56:57], v[6:7]
	ds_read_b128 v[6:9], v42 offset:6144
	ds_read_b128 v[10:13], v42 offset:6656
	v_fma_f64 v[18:19], v[18:19], v[48:49], v[50:51]
	v_add_f64 v[28:29], v[28:29], v[30:31]
	ds_read_b128 v[14:17], v38 offset:208
	ds_read_b128 v[20:23], v38 offset:224
	v_fma_f64 v[24:25], v[24:25], v[2:3], -v[60:61]
	s_waitcnt lgkmcnt(1)
	v_mul_f64 v[60:61], v[12:13], v[16:17]
	v_add_f64 v[30:31], v[56:57], v[32:33]
	v_mul_f64 v[32:33], v[8:9], v[54:55]
	v_add_f64 v[56:57], v[28:29], v[62:63]
	v_mul_f64 v[54:55], v[6:7], v[54:55]
	v_fma_f64 v[62:63], v[26:27], v[2:3], v[4:5]
	v_add_f64 v[58:59], v[30:31], v[58:59]
	v_fma_f64 v[6:7], v[6:7], v[52:53], -v[32:33]
	v_add_f64 v[18:19], v[56:57], v[18:19]
	ds_read_b128 v[28:31], v42 offset:7168
	ds_read_b128 v[48:51], v42 offset:7680
	v_mul_f64 v[56:57], v[10:11], v[16:17]
	v_fma_f64 v[52:53], v[8:9], v[52:53], v[54:55]
	v_fma_f64 v[10:11], v[10:11], v[14:15], -v[60:61]
	v_add_f64 v[32:33], v[58:59], v[24:25]
	s_waitcnt lgkmcnt(1)
	v_mul_f64 v[58:59], v[30:31], v[22:23]
	v_add_f64 v[54:55], v[18:19], v[62:63]
	ds_read_b128 v[2:5], v38 offset:240
	ds_read_b128 v[24:27], v38 offset:256
	v_mul_f64 v[22:23], v[28:29], v[22:23]
	v_fma_f64 v[14:15], v[12:13], v[14:15], v[56:57]
	s_waitcnt lgkmcnt(1)
	v_mul_f64 v[60:61], v[50:51], v[4:5]
	v_add_f64 v[32:33], v[32:33], v[6:7]
	v_fma_f64 v[28:29], v[28:29], v[20:21], -v[58:59]
	v_add_f64 v[56:57], v[54:55], v[52:53]
	ds_read_b128 v[6:9], v42 offset:8192
	ds_read_b128 v[16:19], v42 offset:8704
	v_mul_f64 v[4:5], v[48:49], v[4:5]
	v_fma_f64 v[62:63], v[30:31], v[20:21], v[22:23]
	s_waitcnt lgkmcnt(1)
	v_mul_f64 v[58:59], v[8:9], v[26:27]
	v_add_f64 v[32:33], v[32:33], v[10:11]
	v_fma_f64 v[48:49], v[48:49], v[2:3], -v[60:61]
	;; [unrolled: 9-line block ×9, first 2 shown]
	v_add_f64 v[48:49], v[56:57], v[48:49]
	ds_read_b128 v[10:13], v42 offset:12288
	ds_read_b128 v[6:9], v42 offset:12800
	v_mul_f64 v[32:33], v[52:53], v[32:33]
	v_fma_f64 v[56:57], v[22:23], v[24:25], v[26:27]
	ds_read_b128 v[14:17], v38 offset:400
	ds_read_b128 v[18:21], v38 offset:416
	v_fma_f64 v[52:53], v[52:53], v[30:31], -v[58:59]
	v_add_f64 v[28:29], v[28:29], v[50:51]
	s_waitcnt lgkmcnt(3)
	v_mul_f64 v[50:51], v[12:13], v[4:5]
	v_add_f64 v[48:49], v[48:49], v[62:63]
	v_mul_f64 v[4:5], v[10:11], v[4:5]
	v_fma_f64 v[54:55], v[54:55], v[30:31], v[32:33]
	v_add_f64 v[58:59], v[28:29], v[60:61]
	s_waitcnt lgkmcnt(1)
	v_mul_f64 v[60:61], v[8:9], v[16:17]
	v_fma_f64 v[10:11], v[10:11], v[2:3], -v[50:51]
	v_add_f64 v[56:57], v[48:49], v[56:57]
	ds_read_b128 v[26:29], v42 offset:13312
	ds_read_b128 v[22:25], v42 offset:13824
	flat_load_dwordx4 v[48:51], v[34:35]
	v_mul_f64 v[16:17], v[6:7], v[16:17]
	v_fma_f64 v[62:63], v[12:13], v[2:3], v[4:5]
	v_add_f64 v[52:53], v[58:59], v[52:53]
	s_waitcnt lgkmcnt(0)
	v_mul_f64 v[58:59], v[28:29], v[20:21]
	v_fma_f64 v[6:7], v[6:7], v[14:15], -v[60:61]
	v_add_f64 v[54:55], v[56:57], v[54:55]
	ds_read_b128 v[30:33], v38 offset:432
	v_mul_f64 v[20:21], v[26:27], v[20:21]
	v_fma_f64 v[60:61], v[8:9], v[14:15], v[16:17]
	v_add_f64 v[52:53], v[52:53], v[10:11]
	s_waitcnt lgkmcnt(0)
	v_mul_f64 v[56:57], v[24:25], v[32:33]
	v_fma_f64 v[26:27], v[26:27], v[18:19], -v[58:59]
	v_add_f64 v[54:55], v[54:55], v[62:63]
	ds_read_b128 v[2:5], v38 offset:448
	ds_read_b128 v[10:13], v42 offset:14336
	v_mul_f64 v[32:33], v[22:23], v[32:33]
	v_fma_f64 v[62:63], v[28:29], v[18:19], v[20:21]
	v_add_f64 v[52:53], v[52:53], v[6:7]
	s_waitcnt lgkmcnt(0)
	v_mul_f64 v[58:59], v[12:13], v[4:5]
	v_fma_f64 v[22:23], v[22:23], v[30:31], -v[56:57]
	v_add_f64 v[54:55], v[54:55], v[60:61]
	ds_read_b128 v[6:9], v42 offset:14848
	;; [unrolled: 9-line block ×4, first 2 shown]
	ds_read_b128 v[30:33], v38 offset:496
	v_mul_f64 v[12:13], v[26:27], v[20:21]
	v_fma_f64 v[8:9], v[8:9], v[14:15], v[16:17]
	v_add_f64 v[10:11], v[52:53], v[10:11]
	s_waitcnt lgkmcnt(0)
	v_mul_f64 v[20:21], v[24:25], v[32:33]
	v_fma_f64 v[14:15], v[26:27], v[18:19], -v[58:59]
	v_add_f64 v[2:3], v[6:7], v[2:3]
	v_mul_f64 v[6:7], v[22:23], v[32:33]
	v_add_f64 v[4:5], v[10:11], v[4:5]
	v_fma_f64 v[10:11], v[28:29], v[18:19], v[12:13]
	v_fma_f64 v[12:13], v[22:23], v[30:31], -v[20:21]
	v_add_f64 v[2:3], v[2:3], v[8:9]
	v_fma_f64 v[6:7], v[24:25], v[30:31], v[6:7]
	v_add_f64 v[4:5], v[4:5], v[14:15]
	v_add_f64 v[2:3], v[2:3], v[10:11]
	;; [unrolled: 1-line block ×4, first 2 shown]
	v_mul_f64 v[6:7], s[12:13], v[4:5]
	v_mul_f64 v[4:5], s[14:15], v[4:5]
	v_fma_f64 v[6:7], s[14:15], v[2:3], v[6:7]
	v_fma_f64 v[4:5], s[12:13], v[2:3], -v[4:5]
	s_waitcnt vmcnt(0)
	v_add_f64 v[2:3], v[48:49], v[6:7]
	v_add_f64 v[4:5], v[50:51], v[4:5]
	flat_store_dwordx4 v[34:35], v[2:5]
	s_branch .LBB1941_4
.LBB1941_17:
	s_endpgm
	.section	.rodata,"a",@progbits
	.p2align	6, 0x0
	.amdhsa_kernel _ZL26rocblas_syr2k_her2k_kernelIiLb1ELb1ELb1ELi32E19rocblas_complex_numIdEPKPKS1_PKPS1_EvbiT_T4_T5_S9_lSB_S9_lT6_S9_li
		.amdhsa_group_segment_fixed_size 32768
		.amdhsa_private_segment_fixed_size 0
		.amdhsa_kernarg_size 108
		.amdhsa_user_sgpr_count 6
		.amdhsa_user_sgpr_private_segment_buffer 1
		.amdhsa_user_sgpr_dispatch_ptr 0
		.amdhsa_user_sgpr_queue_ptr 0
		.amdhsa_user_sgpr_kernarg_segment_ptr 1
		.amdhsa_user_sgpr_dispatch_id 0
		.amdhsa_user_sgpr_flat_scratch_init 0
		.amdhsa_user_sgpr_private_segment_size 0
		.amdhsa_uses_dynamic_stack 0
		.amdhsa_system_sgpr_private_segment_wavefront_offset 0
		.amdhsa_system_sgpr_workgroup_id_x 1
		.amdhsa_system_sgpr_workgroup_id_y 1
		.amdhsa_system_sgpr_workgroup_id_z 1
		.amdhsa_system_sgpr_workgroup_info 0
		.amdhsa_system_vgpr_workitem_id 1
		.amdhsa_next_free_vgpr 64
		.amdhsa_next_free_sgpr 61
		.amdhsa_reserve_vcc 1
		.amdhsa_reserve_flat_scratch 0
		.amdhsa_float_round_mode_32 0
		.amdhsa_float_round_mode_16_64 0
		.amdhsa_float_denorm_mode_32 3
		.amdhsa_float_denorm_mode_16_64 3
		.amdhsa_dx10_clamp 1
		.amdhsa_ieee_mode 1
		.amdhsa_fp16_overflow 0
		.amdhsa_exception_fp_ieee_invalid_op 0
		.amdhsa_exception_fp_denorm_src 0
		.amdhsa_exception_fp_ieee_div_zero 0
		.amdhsa_exception_fp_ieee_overflow 0
		.amdhsa_exception_fp_ieee_underflow 0
		.amdhsa_exception_fp_ieee_inexact 0
		.amdhsa_exception_int_div_zero 0
	.end_amdhsa_kernel
	.section	.text._ZL26rocblas_syr2k_her2k_kernelIiLb1ELb1ELb1ELi32E19rocblas_complex_numIdEPKPKS1_PKPS1_EvbiT_T4_T5_S9_lSB_S9_lT6_S9_li,"axG",@progbits,_ZL26rocblas_syr2k_her2k_kernelIiLb1ELb1ELb1ELi32E19rocblas_complex_numIdEPKPKS1_PKPS1_EvbiT_T4_T5_S9_lSB_S9_lT6_S9_li,comdat
.Lfunc_end1941:
	.size	_ZL26rocblas_syr2k_her2k_kernelIiLb1ELb1ELb1ELi32E19rocblas_complex_numIdEPKPKS1_PKPS1_EvbiT_T4_T5_S9_lSB_S9_lT6_S9_li, .Lfunc_end1941-_ZL26rocblas_syr2k_her2k_kernelIiLb1ELb1ELb1ELi32E19rocblas_complex_numIdEPKPKS1_PKPS1_EvbiT_T4_T5_S9_lSB_S9_lT6_S9_li
                                        ; -- End function
	.set _ZL26rocblas_syr2k_her2k_kernelIiLb1ELb1ELb1ELi32E19rocblas_complex_numIdEPKPKS1_PKPS1_EvbiT_T4_T5_S9_lSB_S9_lT6_S9_li.num_vgpr, 64
	.set _ZL26rocblas_syr2k_her2k_kernelIiLb1ELb1ELb1ELi32E19rocblas_complex_numIdEPKPKS1_PKPS1_EvbiT_T4_T5_S9_lSB_S9_lT6_S9_li.num_agpr, 0
	.set _ZL26rocblas_syr2k_her2k_kernelIiLb1ELb1ELb1ELi32E19rocblas_complex_numIdEPKPKS1_PKPS1_EvbiT_T4_T5_S9_lSB_S9_lT6_S9_li.numbered_sgpr, 29
	.set _ZL26rocblas_syr2k_her2k_kernelIiLb1ELb1ELb1ELi32E19rocblas_complex_numIdEPKPKS1_PKPS1_EvbiT_T4_T5_S9_lSB_S9_lT6_S9_li.num_named_barrier, 0
	.set _ZL26rocblas_syr2k_her2k_kernelIiLb1ELb1ELb1ELi32E19rocblas_complex_numIdEPKPKS1_PKPS1_EvbiT_T4_T5_S9_lSB_S9_lT6_S9_li.private_seg_size, 0
	.set _ZL26rocblas_syr2k_her2k_kernelIiLb1ELb1ELb1ELi32E19rocblas_complex_numIdEPKPKS1_PKPS1_EvbiT_T4_T5_S9_lSB_S9_lT6_S9_li.uses_vcc, 1
	.set _ZL26rocblas_syr2k_her2k_kernelIiLb1ELb1ELb1ELi32E19rocblas_complex_numIdEPKPKS1_PKPS1_EvbiT_T4_T5_S9_lSB_S9_lT6_S9_li.uses_flat_scratch, 0
	.set _ZL26rocblas_syr2k_her2k_kernelIiLb1ELb1ELb1ELi32E19rocblas_complex_numIdEPKPKS1_PKPS1_EvbiT_T4_T5_S9_lSB_S9_lT6_S9_li.has_dyn_sized_stack, 0
	.set _ZL26rocblas_syr2k_her2k_kernelIiLb1ELb1ELb1ELi32E19rocblas_complex_numIdEPKPKS1_PKPS1_EvbiT_T4_T5_S9_lSB_S9_lT6_S9_li.has_recursion, 0
	.set _ZL26rocblas_syr2k_her2k_kernelIiLb1ELb1ELb1ELi32E19rocblas_complex_numIdEPKPKS1_PKPS1_EvbiT_T4_T5_S9_lSB_S9_lT6_S9_li.has_indirect_call, 0
	.section	.AMDGPU.csdata,"",@progbits
; Kernel info:
; codeLenInByte = 5452
; TotalNumSgprs: 33
; NumVgprs: 64
; ScratchSize: 0
; MemoryBound: 1
; FloatMode: 240
; IeeeMode: 1
; LDSByteSize: 32768 bytes/workgroup (compile time only)
; SGPRBlocks: 8
; VGPRBlocks: 15
; NumSGPRsForWavesPerEU: 65
; NumVGPRsForWavesPerEU: 64
; Occupancy: 4
; WaveLimiterHint : 1
; COMPUTE_PGM_RSRC2:SCRATCH_EN: 0
; COMPUTE_PGM_RSRC2:USER_SGPR: 6
; COMPUTE_PGM_RSRC2:TRAP_HANDLER: 0
; COMPUTE_PGM_RSRC2:TGID_X_EN: 1
; COMPUTE_PGM_RSRC2:TGID_Y_EN: 1
; COMPUTE_PGM_RSRC2:TGID_Z_EN: 1
; COMPUTE_PGM_RSRC2:TIDIG_COMP_CNT: 1
	.section	.text._ZL26rocblas_syr2k_her2k_kernelIiLb1ELb1ELb0ELi32EPK19rocblas_complex_numIdEPKS3_PKPS1_EvbiT_T4_T5_S9_lSB_S9_lT6_S9_li,"axG",@progbits,_ZL26rocblas_syr2k_her2k_kernelIiLb1ELb1ELb0ELi32EPK19rocblas_complex_numIdEPKS3_PKPS1_EvbiT_T4_T5_S9_lSB_S9_lT6_S9_li,comdat
	.globl	_ZL26rocblas_syr2k_her2k_kernelIiLb1ELb1ELb0ELi32EPK19rocblas_complex_numIdEPKS3_PKPS1_EvbiT_T4_T5_S9_lSB_S9_lT6_S9_li ; -- Begin function _ZL26rocblas_syr2k_her2k_kernelIiLb1ELb1ELb0ELi32EPK19rocblas_complex_numIdEPKS3_PKPS1_EvbiT_T4_T5_S9_lSB_S9_lT6_S9_li
	.p2align	8
	.type	_ZL26rocblas_syr2k_her2k_kernelIiLb1ELb1ELb0ELi32EPK19rocblas_complex_numIdEPKS3_PKPS1_EvbiT_T4_T5_S9_lSB_S9_lT6_S9_li,@function
_ZL26rocblas_syr2k_her2k_kernelIiLb1ELb1ELb0ELi32EPK19rocblas_complex_numIdEPKS3_PKPS1_EvbiT_T4_T5_S9_lSB_S9_lT6_S9_li: ; @_ZL26rocblas_syr2k_her2k_kernelIiLb1ELb1ELb0ELi32EPK19rocblas_complex_numIdEPKS3_PKPS1_EvbiT_T4_T5_S9_lSB_S9_lT6_S9_li
; %bb.0:
	s_load_dwordx4 s[0:3], s[4:5], 0x10
	s_waitcnt lgkmcnt(0)
	s_load_dwordx4 s[12:15], s[0:1], 0x0
	s_waitcnt lgkmcnt(0)
	v_cmp_eq_f64_e64 s[0:1], s[12:13], 0
	v_cmp_eq_f64_e64 s[10:11], s[14:15], 0
	s_and_b64 s[0:1], s[0:1], s[10:11]
	s_and_b64 vcc, exec, s[0:1]
	s_cbranch_vccnz .LBB1942_17
; %bb.1:
	s_load_dwordx4 s[16:19], s[4:5], 0x0
	s_lshl_b32 s0, s7, 5
	s_lshl_b32 s1, s6, 5
	s_waitcnt lgkmcnt(0)
	s_and_b32 s6, 1, s16
	s_cmp_eq_u32 s6, 1
	s_cselect_b64 vcc, -1, 0
	s_and_b64 s[6:7], vcc, exec
	s_cselect_b32 s6, s1, s0
	s_cselect_b32 s7, s0, s1
	s_cmp_gt_i32 s6, s7
	s_cbranch_scc1 .LBB1942_17
; %bb.2:
	s_cmp_lt_i32 s18, 1
	s_cbranch_scc1 .LBB1942_17
; %bb.3:
	s_mov_b32 s9, 0
	s_load_dword s19, s[4:5], 0x20
	s_load_dwordx4 s[24:27], s[4:5], 0x28
	s_load_dword s20, s[4:5], 0x38
	s_load_dwordx4 s[28:31], s[4:5], 0x40
	s_load_dword s16, s[4:5], 0x50
	s_load_dwordx2 s[6:7], s[4:5], 0x58
	s_lshl_b64 s[4:5], s[8:9], 3
	s_add_u32 s2, s2, s4
	s_addc_u32 s3, s3, s5
	s_load_dwordx2 s[2:3], s[2:3], 0x0
	s_waitcnt lgkmcnt(0)
	s_add_u32 s10, s26, s4
	s_addc_u32 s11, s27, s5
	s_load_dwordx2 s[10:11], s[10:11], 0x0
	s_add_u32 s4, s30, s4
	v_add_u32_e32 v3, s1, v0
	s_addc_u32 s5, s31, s5
	s_lshl_b64 s[22:23], s[24:25], 4
	v_ashrrev_i32_e32 v4, 31, v3
	s_load_dwordx2 s[4:5], s[4:5], 0x0
	s_add_u32 s8, s2, s22
	v_lshlrev_b64 v[4:5], 4, v[3:4]
	s_addc_u32 s21, s3, s23
	v_add_u32_e32 v2, s0, v1
	s_lshl_b64 s[2:3], s[28:29], 4
	v_cndmask_b32_e32 v8, v3, v2, vcc
	v_cndmask_b32_e32 v9, v2, v3, vcc
	v_cmp_gt_i32_e32 vcc, s17, v3
	v_mov_b32_e32 v3, s21
	v_add_co_u32_e64 v36, s[0:1], s8, v4
	s_waitcnt lgkmcnt(0)
	s_add_u32 s10, s10, s2
	v_addc_co_u32_e64 v37, s[0:1], v3, v5, s[0:1]
	v_ashrrev_i32_e32 v3, 31, v2
	s_addc_u32 s11, s11, s3
	s_lshl_b64 s[2:3], s[6:7], 4
	v_lshlrev_b64 v[6:7], 4, v[2:3]
	s_add_u32 s6, s4, s2
	s_addc_u32 s7, s5, s3
	v_mov_b32_e32 v3, s11
	v_add_co_u32_e64 v40, s[2:3], s10, v6
	v_cmp_gt_i32_e64 s[0:1], s17, v2
	v_addc_co_u32_e64 v41, s[2:3], v3, v7, s[2:3]
	v_mad_i64_i32 v[2:3], s[2:3], s16, v2, 0
	v_cmp_le_i32_e64 s[2:3], v9, v8
	s_and_b64 s[4:5], s[0:1], vcc
	v_lshlrev_b64 v[2:3], 4, v[2:3]
	s_and_b64 s[4:5], s[4:5], s[2:3]
	v_mov_b32_e32 v8, s7
	v_add_co_u32_e64 v2, s[2:3], s6, v2
	v_addc_co_u32_e64 v3, s[2:3], v8, v3, s[2:3]
	v_add_co_u32_e64 v34, s[2:3], v2, v4
	v_addc_co_u32_e64 v35, s[2:3], v3, v5, s[2:3]
	v_mov_b32_e32 v2, s11
	v_add_co_u32_e64 v44, s[2:3], s10, v4
	v_lshlrev_b32_e32 v10, 4, v1
	v_addc_co_u32_e64 v45, s[2:3], v2, v5, s[2:3]
	v_lshlrev_b32_e32 v38, 9, v0
	v_or_b32_e32 v42, 0x4000, v10
	v_mov_b32_e32 v2, s21
	v_add_co_u32_e64 v46, s[2:3], s8, v6
	v_add_u32_e32 v39, v38, v10
	v_add_u32_e32 v43, v42, v38
	v_addc_co_u32_e64 v47, s[2:3], v2, v7, s[2:3]
	s_branch .LBB1942_5
.LBB1942_4:                             ;   in Loop: Header=BB1942_5 Depth=1
	s_or_b64 exec, exec, s[2:3]
	s_add_i32 s9, s9, 32
	s_cmp_lt_i32 s9, s18
	s_waitcnt vmcnt(0) lgkmcnt(0)
	s_barrier
	s_cbranch_scc0 .LBB1942_17
.LBB1942_5:                             ; =>This Inner Loop Header: Depth=1
	v_add_u32_e32 v10, s9, v1
	v_cmp_gt_i32_e64 s[2:3], s18, v10
	v_mov_b32_e32 v2, 0
	v_mov_b32_e32 v4, 0
	;; [unrolled: 1-line block ×6, first 2 shown]
	s_and_b64 s[6:7], vcc, s[2:3]
	s_and_saveexec_b64 s[10:11], s[6:7]
	s_cbranch_execz .LBB1942_7
; %bb.6:                                ;   in Loop: Header=BB1942_5 Depth=1
	v_mad_i64_i32 v[4:5], s[2:3], v10, s19, 0
	v_lshlrev_b64 v[4:5], 4, v[4:5]
	v_add_co_u32_e64 v4, s[2:3], v36, v4
	v_addc_co_u32_e64 v5, s[2:3], v37, v5, s[2:3]
	flat_load_dwordx4 v[4:7], v[4:5]
.LBB1942_7:                             ;   in Loop: Header=BB1942_5 Depth=1
	s_or_b64 exec, exec, s[10:11]
	v_add_u32_e32 v11, s9, v0
	s_waitcnt vmcnt(0) lgkmcnt(0)
	ds_write_b128 v39, v[4:7]
	v_cmp_gt_i32_e64 s[2:3], s18, v11
	v_mov_b32_e32 v4, 0
	v_mov_b32_e32 v5, 0
	s_and_b64 s[10:11], s[0:1], s[2:3]
	s_and_saveexec_b64 s[16:17], s[10:11]
	s_cbranch_execz .LBB1942_9
; %bb.8:                                ;   in Loop: Header=BB1942_5 Depth=1
	v_mad_i64_i32 v[2:3], s[2:3], v11, s20, 0
	v_lshlrev_b64 v[2:3], 4, v[2:3]
	v_add_co_u32_e64 v2, s[2:3], v40, v2
	v_addc_co_u32_e64 v3, s[2:3], v41, v3, s[2:3]
	flat_load_dwordx4 v[2:5], v[2:3]
	s_waitcnt vmcnt(0) lgkmcnt(0)
	v_xor_b32_e32 v5, 0x80000000, v5
.LBB1942_9:                             ;   in Loop: Header=BB1942_5 Depth=1
	s_or_b64 exec, exec, s[16:17]
	ds_write_b128 v43, v[2:5]
	s_waitcnt lgkmcnt(0)
	s_barrier
	s_and_saveexec_b64 s[2:3], s[4:5]
	s_cbranch_execz .LBB1942_11
; %bb.10:                               ;   in Loop: Header=BB1942_5 Depth=1
	ds_read_b128 v[6:9], v42
	ds_read_b128 v[12:15], v38
	ds_read_b128 v[16:19], v38 offset:16
	ds_read_b128 v[20:23], v38 offset:32
	;; [unrolled: 1-line block ×3, first 2 shown]
	s_waitcnt lgkmcnt(3)
	v_mul_f64 v[24:25], v[8:9], v[14:15]
	v_fma_f64 v[24:25], v[6:7], v[12:13], -v[24:25]
	v_mul_f64 v[6:7], v[6:7], v[14:15]
	v_fma_f64 v[6:7], v[8:9], v[12:13], v[6:7]
	v_add_f64 v[12:13], v[24:25], 0
	v_add_f64 v[14:15], v[6:7], 0
	ds_read_b128 v[6:9], v42 offset:512
	s_waitcnt lgkmcnt(0)
	v_mul_f64 v[24:25], v[8:9], v[18:19]
	v_fma_f64 v[24:25], v[6:7], v[16:17], -v[24:25]
	v_mul_f64 v[6:7], v[6:7], v[18:19]
	v_add_f64 v[12:13], v[12:13], v[24:25]
	v_fma_f64 v[6:7], v[8:9], v[16:17], v[6:7]
	v_add_f64 v[14:15], v[14:15], v[6:7]
	ds_read_b128 v[6:9], v42 offset:1024
	s_waitcnt lgkmcnt(0)
	v_mul_f64 v[16:17], v[8:9], v[22:23]
	v_fma_f64 v[16:17], v[6:7], v[20:21], -v[16:17]
	v_mul_f64 v[6:7], v[6:7], v[22:23]
	v_add_f64 v[12:13], v[12:13], v[16:17]
	v_fma_f64 v[6:7], v[8:9], v[20:21], v[6:7]
	v_add_f64 v[14:15], v[14:15], v[6:7]
	ds_read_b128 v[6:9], v42 offset:1536
	s_waitcnt lgkmcnt(0)
	v_mul_f64 v[16:17], v[8:9], v[4:5]
	v_mul_f64 v[4:5], v[6:7], v[4:5]
	v_fma_f64 v[16:17], v[6:7], v[2:3], -v[16:17]
	v_fma_f64 v[2:3], v[8:9], v[2:3], v[4:5]
	v_add_f64 v[12:13], v[12:13], v[16:17]
	v_add_f64 v[14:15], v[14:15], v[2:3]
	ds_read_b128 v[2:5], v42 offset:2048
	ds_read_b128 v[6:9], v38 offset:64
	s_waitcnt lgkmcnt(0)
	v_mul_f64 v[16:17], v[4:5], v[8:9]
	v_fma_f64 v[16:17], v[2:3], v[6:7], -v[16:17]
	v_mul_f64 v[2:3], v[2:3], v[8:9]
	v_add_f64 v[12:13], v[12:13], v[16:17]
	v_fma_f64 v[2:3], v[4:5], v[6:7], v[2:3]
	v_add_f64 v[14:15], v[14:15], v[2:3]
	ds_read_b128 v[2:5], v42 offset:2560
	ds_read_b128 v[6:9], v38 offset:80
	s_waitcnt lgkmcnt(0)
	v_mul_f64 v[16:17], v[4:5], v[8:9]
	v_fma_f64 v[16:17], v[2:3], v[6:7], -v[16:17]
	v_mul_f64 v[2:3], v[2:3], v[8:9]
	v_add_f64 v[12:13], v[12:13], v[16:17]
	v_fma_f64 v[2:3], v[4:5], v[6:7], v[2:3]
	;; [unrolled: 9-line block ×27, first 2 shown]
	v_add_f64 v[14:15], v[14:15], v[2:3]
	ds_read_b128 v[2:5], v42 offset:15872
	ds_read_b128 v[6:9], v38 offset:496
	s_waitcnt lgkmcnt(0)
	v_mul_f64 v[16:17], v[4:5], v[8:9]
	v_fma_f64 v[16:17], v[2:3], v[6:7], -v[16:17]
	v_mul_f64 v[2:3], v[2:3], v[8:9]
	v_fma_f64 v[2:3], v[4:5], v[6:7], v[2:3]
	v_add_f64 v[4:5], v[12:13], v[16:17]
	v_add_f64 v[2:3], v[14:15], v[2:3]
	v_mul_f64 v[6:7], s[14:15], v[2:3]
	v_mul_f64 v[2:3], s[12:13], v[2:3]
	v_fma_f64 v[6:7], s[12:13], v[4:5], -v[6:7]
	v_fma_f64 v[8:9], s[14:15], v[4:5], v[2:3]
	flat_load_dwordx4 v[2:5], v[34:35]
	s_waitcnt vmcnt(0) lgkmcnt(0)
	v_add_f64 v[2:3], v[2:3], v[6:7]
	v_add_f64 v[4:5], v[4:5], v[8:9]
	flat_store_dwordx4 v[34:35], v[2:5]
.LBB1942_11:                            ;   in Loop: Header=BB1942_5 Depth=1
	s_or_b64 exec, exec, s[2:3]
	v_mov_b32_e32 v4, 0
	v_mov_b32_e32 v8, 0
	;; [unrolled: 1-line block ×6, first 2 shown]
	s_waitcnt vmcnt(0) lgkmcnt(0)
	s_barrier
	s_and_saveexec_b64 s[16:17], s[6:7]
	s_cbranch_execz .LBB1942_13
; %bb.12:                               ;   in Loop: Header=BB1942_5 Depth=1
	v_mad_i64_i32 v[2:3], s[2:3], v10, s20, 0
	v_lshlrev_b64 v[2:3], 4, v[2:3]
	v_add_co_u32_e64 v2, s[2:3], v44, v2
	v_addc_co_u32_e64 v3, s[2:3], v45, v3, s[2:3]
	flat_load_dwordx4 v[6:9], v[2:3]
.LBB1942_13:                            ;   in Loop: Header=BB1942_5 Depth=1
	s_or_b64 exec, exec, s[16:17]
	v_mov_b32_e32 v2, 0
	v_mov_b32_e32 v3, 0
	s_waitcnt vmcnt(0) lgkmcnt(0)
	ds_write_b128 v39, v[6:9]
	s_and_saveexec_b64 s[6:7], s[10:11]
	s_cbranch_execz .LBB1942_15
; %bb.14:                               ;   in Loop: Header=BB1942_5 Depth=1
	v_mad_i64_i32 v[2:3], s[2:3], v11, s19, 0
	v_lshlrev_b64 v[2:3], 4, v[2:3]
	v_add_co_u32_e64 v2, s[2:3], v46, v2
	v_addc_co_u32_e64 v3, s[2:3], v47, v3, s[2:3]
	flat_load_dwordx4 v[2:5], v[2:3]
	s_waitcnt vmcnt(0) lgkmcnt(0)
	v_xor_b32_e32 v5, 0x80000000, v5
.LBB1942_15:                            ;   in Loop: Header=BB1942_5 Depth=1
	s_or_b64 exec, exec, s[6:7]
	ds_write_b128 v43, v[2:5]
	s_waitcnt lgkmcnt(0)
	s_barrier
	s_and_saveexec_b64 s[2:3], s[4:5]
	s_cbranch_execz .LBB1942_4
; %bb.16:                               ;   in Loop: Header=BB1942_5 Depth=1
	ds_read_b128 v[4:7], v42
	ds_read_b128 v[8:11], v38
	ds_read_b128 v[12:15], v38 offset:16
	ds_read_b128 v[16:19], v42 offset:512
	ds_read_b128 v[20:23], v42 offset:1024
	s_waitcnt lgkmcnt(3)
	v_mul_f64 v[2:3], v[6:7], v[10:11]
	v_mul_f64 v[10:11], v[4:5], v[10:11]
	s_waitcnt lgkmcnt(1)
	v_mul_f64 v[32:33], v[18:19], v[14:15]
	v_mul_f64 v[54:55], v[16:17], v[14:15]
	v_fma_f64 v[52:53], v[4:5], v[8:9], -v[2:3]
	ds_read_b128 v[24:27], v38 offset:32
	ds_read_b128 v[2:5], v38 offset:48
	;; [unrolled: 1-line block ×4, first 2 shown]
	v_fma_f64 v[10:11], v[6:7], v[8:9], v[10:11]
	s_waitcnt lgkmcnt(3)
	v_mul_f64 v[56:57], v[22:23], v[26:27]
	v_fma_f64 v[32:33], v[16:17], v[12:13], -v[32:33]
	v_mul_f64 v[26:27], v[20:21], v[26:27]
	s_waitcnt lgkmcnt(1)
	v_mul_f64 v[58:59], v[30:31], v[4:5]
	v_fma_f64 v[54:55], v[18:19], v[12:13], v[54:55]
	v_add_f64 v[52:53], v[52:53], 0
	ds_read_b128 v[6:9], v42 offset:2048
	ds_read_b128 v[14:17], v42 offset:2560
	v_add_f64 v[60:61], v[10:11], 0
	v_fma_f64 v[56:57], v[20:21], v[24:25], -v[56:57]
	v_mul_f64 v[4:5], v[28:29], v[4:5]
	v_fma_f64 v[62:63], v[22:23], v[24:25], v[26:27]
	v_fma_f64 v[58:59], v[28:29], v[2:3], -v[58:59]
	ds_read_b128 v[10:13], v38 offset:80
	ds_read_b128 v[18:21], v38 offset:96
	v_add_f64 v[32:33], v[52:53], v[32:33]
	s_waitcnt lgkmcnt(3)
	v_mul_f64 v[52:53], v[8:9], v[50:51]
	v_add_f64 v[54:55], v[60:61], v[54:55]
	v_mul_f64 v[50:51], v[6:7], v[50:51]
	v_fma_f64 v[60:61], v[30:31], v[2:3], v[4:5]
	ds_read_b128 v[22:25], v42 offset:3072
	ds_read_b128 v[26:29], v42 offset:3584
	v_add_f64 v[32:33], v[32:33], v[56:57]
	s_waitcnt lgkmcnt(3)
	v_mul_f64 v[56:57], v[16:17], v[12:13]
	v_fma_f64 v[6:7], v[6:7], v[48:49], -v[52:53]
	v_add_f64 v[52:53], v[54:55], v[62:63]
	s_waitcnt lgkmcnt(1)
	v_mul_f64 v[62:63], v[24:25], v[20:21]
	v_fma_f64 v[48:49], v[8:9], v[48:49], v[50:51]
	v_add_f64 v[54:55], v[32:33], v[58:59]
	v_mul_f64 v[58:59], v[14:15], v[12:13]
	v_fma_f64 v[50:51], v[14:15], v[10:11], -v[56:57]
	v_add_f64 v[52:53], v[52:53], v[60:61]
	ds_read_b128 v[2:5], v38 offset:112
	ds_read_b128 v[30:33], v38 offset:128
	v_mul_f64 v[56:57], v[22:23], v[20:21]
	s_waitcnt lgkmcnt(1)
	v_mul_f64 v[60:61], v[28:29], v[4:5]
	v_add_f64 v[54:55], v[54:55], v[6:7]
	v_fma_f64 v[10:11], v[16:17], v[10:11], v[58:59]
	v_fma_f64 v[16:17], v[22:23], v[18:19], -v[62:63]
	v_add_f64 v[52:53], v[52:53], v[48:49]
	ds_read_b128 v[6:9], v42 offset:4096
	ds_read_b128 v[12:15], v42 offset:4608
	v_mul_f64 v[4:5], v[26:27], v[4:5]
	v_fma_f64 v[56:57], v[24:25], v[18:19], v[56:57]
	v_fma_f64 v[60:61], v[26:27], v[2:3], -v[60:61]
	v_add_f64 v[54:55], v[54:55], v[50:51]
	s_waitcnt lgkmcnt(1)
	v_mul_f64 v[58:59], v[8:9], v[32:33]
	ds_read_b128 v[20:23], v38 offset:144
	ds_read_b128 v[48:51], v38 offset:160
	v_add_f64 v[10:11], v[52:53], v[10:11]
	v_mul_f64 v[32:33], v[6:7], v[32:33]
	v_fma_f64 v[28:29], v[28:29], v[2:3], v[4:5]
	s_waitcnt lgkmcnt(1)
	v_mul_f64 v[62:63], v[14:15], v[22:23]
	v_mul_f64 v[22:23], v[12:13], v[22:23]
	v_add_f64 v[52:53], v[54:55], v[16:17]
	v_fma_f64 v[6:7], v[6:7], v[30:31], -v[58:59]
	ds_read_b128 v[16:19], v42 offset:5120
	ds_read_b128 v[24:27], v42 offset:5632
	v_add_f64 v[10:11], v[10:11], v[56:57]
	v_fma_f64 v[30:31], v[8:9], v[30:31], v[32:33]
	s_waitcnt lgkmcnt(1)
	v_mul_f64 v[58:59], v[18:19], v[50:51]
	v_fma_f64 v[32:33], v[12:13], v[20:21], -v[62:63]
	v_add_f64 v[56:57], v[52:53], v[60:61]
	ds_read_b128 v[2:5], v38 offset:176
	ds_read_b128 v[52:55], v38 offset:192
	v_mul_f64 v[50:51], v[16:17], v[50:51]
	v_add_f64 v[28:29], v[10:11], v[28:29]
	v_fma_f64 v[62:63], v[14:15], v[20:21], v[22:23]
	s_waitcnt lgkmcnt(1)
	v_mul_f64 v[60:61], v[26:27], v[4:5]
	v_fma_f64 v[58:59], v[16:17], v[48:49], -v[58:59]
	v_mul_f64 v[4:5], v[24:25], v[4:5]
	v_add_f64 v[56:57], v[56:57], v[6:7]
	ds_read_b128 v[6:9], v42 offset:6144
	ds_read_b128 v[10:13], v42 offset:6656
	v_fma_f64 v[18:19], v[18:19], v[48:49], v[50:51]
	v_add_f64 v[28:29], v[28:29], v[30:31]
	ds_read_b128 v[14:17], v38 offset:208
	ds_read_b128 v[20:23], v38 offset:224
	v_fma_f64 v[24:25], v[24:25], v[2:3], -v[60:61]
	s_waitcnt lgkmcnt(1)
	v_mul_f64 v[60:61], v[12:13], v[16:17]
	v_add_f64 v[30:31], v[56:57], v[32:33]
	v_mul_f64 v[32:33], v[8:9], v[54:55]
	v_add_f64 v[56:57], v[28:29], v[62:63]
	v_mul_f64 v[54:55], v[6:7], v[54:55]
	v_fma_f64 v[62:63], v[26:27], v[2:3], v[4:5]
	v_add_f64 v[58:59], v[30:31], v[58:59]
	v_fma_f64 v[6:7], v[6:7], v[52:53], -v[32:33]
	v_add_f64 v[18:19], v[56:57], v[18:19]
	ds_read_b128 v[28:31], v42 offset:7168
	ds_read_b128 v[48:51], v42 offset:7680
	v_mul_f64 v[56:57], v[10:11], v[16:17]
	v_fma_f64 v[52:53], v[8:9], v[52:53], v[54:55]
	v_fma_f64 v[10:11], v[10:11], v[14:15], -v[60:61]
	v_add_f64 v[32:33], v[58:59], v[24:25]
	s_waitcnt lgkmcnt(1)
	v_mul_f64 v[58:59], v[30:31], v[22:23]
	v_add_f64 v[54:55], v[18:19], v[62:63]
	ds_read_b128 v[2:5], v38 offset:240
	ds_read_b128 v[24:27], v38 offset:256
	v_mul_f64 v[22:23], v[28:29], v[22:23]
	v_fma_f64 v[14:15], v[12:13], v[14:15], v[56:57]
	s_waitcnt lgkmcnt(1)
	v_mul_f64 v[60:61], v[50:51], v[4:5]
	v_add_f64 v[32:33], v[32:33], v[6:7]
	v_fma_f64 v[28:29], v[28:29], v[20:21], -v[58:59]
	v_add_f64 v[56:57], v[54:55], v[52:53]
	ds_read_b128 v[6:9], v42 offset:8192
	ds_read_b128 v[16:19], v42 offset:8704
	v_mul_f64 v[4:5], v[48:49], v[4:5]
	v_fma_f64 v[62:63], v[30:31], v[20:21], v[22:23]
	s_waitcnt lgkmcnt(1)
	v_mul_f64 v[58:59], v[8:9], v[26:27]
	v_add_f64 v[32:33], v[32:33], v[10:11]
	v_fma_f64 v[48:49], v[48:49], v[2:3], -v[60:61]
	;; [unrolled: 9-line block ×9, first 2 shown]
	v_add_f64 v[48:49], v[56:57], v[48:49]
	ds_read_b128 v[10:13], v42 offset:12288
	ds_read_b128 v[6:9], v42 offset:12800
	v_mul_f64 v[32:33], v[52:53], v[32:33]
	v_fma_f64 v[56:57], v[22:23], v[24:25], v[26:27]
	ds_read_b128 v[14:17], v38 offset:400
	ds_read_b128 v[18:21], v38 offset:416
	v_fma_f64 v[52:53], v[52:53], v[30:31], -v[58:59]
	v_add_f64 v[28:29], v[28:29], v[50:51]
	s_waitcnt lgkmcnt(3)
	v_mul_f64 v[50:51], v[12:13], v[4:5]
	v_add_f64 v[48:49], v[48:49], v[62:63]
	v_mul_f64 v[4:5], v[10:11], v[4:5]
	v_fma_f64 v[54:55], v[54:55], v[30:31], v[32:33]
	v_add_f64 v[58:59], v[28:29], v[60:61]
	s_waitcnt lgkmcnt(1)
	v_mul_f64 v[60:61], v[8:9], v[16:17]
	v_fma_f64 v[10:11], v[10:11], v[2:3], -v[50:51]
	v_add_f64 v[56:57], v[48:49], v[56:57]
	ds_read_b128 v[26:29], v42 offset:13312
	ds_read_b128 v[22:25], v42 offset:13824
	flat_load_dwordx4 v[48:51], v[34:35]
	v_mul_f64 v[16:17], v[6:7], v[16:17]
	v_fma_f64 v[62:63], v[12:13], v[2:3], v[4:5]
	v_add_f64 v[52:53], v[58:59], v[52:53]
	s_waitcnt lgkmcnt(0)
	v_mul_f64 v[58:59], v[28:29], v[20:21]
	v_fma_f64 v[6:7], v[6:7], v[14:15], -v[60:61]
	v_add_f64 v[54:55], v[56:57], v[54:55]
	ds_read_b128 v[30:33], v38 offset:432
	v_mul_f64 v[20:21], v[26:27], v[20:21]
	v_fma_f64 v[60:61], v[8:9], v[14:15], v[16:17]
	v_add_f64 v[52:53], v[52:53], v[10:11]
	s_waitcnt lgkmcnt(0)
	v_mul_f64 v[56:57], v[24:25], v[32:33]
	v_fma_f64 v[26:27], v[26:27], v[18:19], -v[58:59]
	v_add_f64 v[54:55], v[54:55], v[62:63]
	ds_read_b128 v[2:5], v38 offset:448
	ds_read_b128 v[10:13], v42 offset:14336
	v_mul_f64 v[32:33], v[22:23], v[32:33]
	v_fma_f64 v[62:63], v[28:29], v[18:19], v[20:21]
	v_add_f64 v[52:53], v[52:53], v[6:7]
	s_waitcnt lgkmcnt(0)
	v_mul_f64 v[58:59], v[12:13], v[4:5]
	v_fma_f64 v[22:23], v[22:23], v[30:31], -v[56:57]
	v_add_f64 v[54:55], v[54:55], v[60:61]
	ds_read_b128 v[6:9], v42 offset:14848
	;; [unrolled: 9-line block ×4, first 2 shown]
	ds_read_b128 v[30:33], v38 offset:496
	v_mul_f64 v[12:13], v[26:27], v[20:21]
	v_fma_f64 v[8:9], v[8:9], v[14:15], v[16:17]
	v_add_f64 v[10:11], v[52:53], v[10:11]
	s_waitcnt lgkmcnt(0)
	v_mul_f64 v[20:21], v[24:25], v[32:33]
	v_fma_f64 v[14:15], v[26:27], v[18:19], -v[58:59]
	v_add_f64 v[2:3], v[6:7], v[2:3]
	v_mul_f64 v[6:7], v[22:23], v[32:33]
	v_add_f64 v[4:5], v[10:11], v[4:5]
	v_fma_f64 v[10:11], v[28:29], v[18:19], v[12:13]
	v_fma_f64 v[12:13], v[22:23], v[30:31], -v[20:21]
	v_add_f64 v[2:3], v[2:3], v[8:9]
	v_fma_f64 v[6:7], v[24:25], v[30:31], v[6:7]
	v_add_f64 v[4:5], v[4:5], v[14:15]
	v_add_f64 v[2:3], v[2:3], v[10:11]
	;; [unrolled: 1-line block ×4, first 2 shown]
	v_mul_f64 v[6:7], s[12:13], v[4:5]
	v_mul_f64 v[4:5], s[14:15], v[4:5]
	v_fma_f64 v[6:7], s[14:15], v[2:3], v[6:7]
	v_fma_f64 v[4:5], s[12:13], v[2:3], -v[4:5]
	s_waitcnt vmcnt(0)
	v_add_f64 v[2:3], v[48:49], v[6:7]
	v_add_f64 v[4:5], v[50:51], v[4:5]
	flat_store_dwordx4 v[34:35], v[2:5]
	s_branch .LBB1942_4
.LBB1942_17:
	s_endpgm
	.section	.rodata,"a",@progbits
	.p2align	6, 0x0
	.amdhsa_kernel _ZL26rocblas_syr2k_her2k_kernelIiLb1ELb1ELb0ELi32EPK19rocblas_complex_numIdEPKS3_PKPS1_EvbiT_T4_T5_S9_lSB_S9_lT6_S9_li
		.amdhsa_group_segment_fixed_size 32768
		.amdhsa_private_segment_fixed_size 0
		.amdhsa_kernarg_size 100
		.amdhsa_user_sgpr_count 6
		.amdhsa_user_sgpr_private_segment_buffer 1
		.amdhsa_user_sgpr_dispatch_ptr 0
		.amdhsa_user_sgpr_queue_ptr 0
		.amdhsa_user_sgpr_kernarg_segment_ptr 1
		.amdhsa_user_sgpr_dispatch_id 0
		.amdhsa_user_sgpr_flat_scratch_init 0
		.amdhsa_user_sgpr_private_segment_size 0
		.amdhsa_uses_dynamic_stack 0
		.amdhsa_system_sgpr_private_segment_wavefront_offset 0
		.amdhsa_system_sgpr_workgroup_id_x 1
		.amdhsa_system_sgpr_workgroup_id_y 1
		.amdhsa_system_sgpr_workgroup_id_z 1
		.amdhsa_system_sgpr_workgroup_info 0
		.amdhsa_system_vgpr_workitem_id 1
		.amdhsa_next_free_vgpr 64
		.amdhsa_next_free_sgpr 61
		.amdhsa_reserve_vcc 1
		.amdhsa_reserve_flat_scratch 0
		.amdhsa_float_round_mode_32 0
		.amdhsa_float_round_mode_16_64 0
		.amdhsa_float_denorm_mode_32 3
		.amdhsa_float_denorm_mode_16_64 3
		.amdhsa_dx10_clamp 1
		.amdhsa_ieee_mode 1
		.amdhsa_fp16_overflow 0
		.amdhsa_exception_fp_ieee_invalid_op 0
		.amdhsa_exception_fp_denorm_src 0
		.amdhsa_exception_fp_ieee_div_zero 0
		.amdhsa_exception_fp_ieee_overflow 0
		.amdhsa_exception_fp_ieee_underflow 0
		.amdhsa_exception_fp_ieee_inexact 0
		.amdhsa_exception_int_div_zero 0
	.end_amdhsa_kernel
	.section	.text._ZL26rocblas_syr2k_her2k_kernelIiLb1ELb1ELb0ELi32EPK19rocblas_complex_numIdEPKS3_PKPS1_EvbiT_T4_T5_S9_lSB_S9_lT6_S9_li,"axG",@progbits,_ZL26rocblas_syr2k_her2k_kernelIiLb1ELb1ELb0ELi32EPK19rocblas_complex_numIdEPKS3_PKPS1_EvbiT_T4_T5_S9_lSB_S9_lT6_S9_li,comdat
.Lfunc_end1942:
	.size	_ZL26rocblas_syr2k_her2k_kernelIiLb1ELb1ELb0ELi32EPK19rocblas_complex_numIdEPKS3_PKPS1_EvbiT_T4_T5_S9_lSB_S9_lT6_S9_li, .Lfunc_end1942-_ZL26rocblas_syr2k_her2k_kernelIiLb1ELb1ELb0ELi32EPK19rocblas_complex_numIdEPKS3_PKPS1_EvbiT_T4_T5_S9_lSB_S9_lT6_S9_li
                                        ; -- End function
	.set _ZL26rocblas_syr2k_her2k_kernelIiLb1ELb1ELb0ELi32EPK19rocblas_complex_numIdEPKS3_PKPS1_EvbiT_T4_T5_S9_lSB_S9_lT6_S9_li.num_vgpr, 64
	.set _ZL26rocblas_syr2k_her2k_kernelIiLb1ELb1ELb0ELi32EPK19rocblas_complex_numIdEPKS3_PKPS1_EvbiT_T4_T5_S9_lSB_S9_lT6_S9_li.num_agpr, 0
	.set _ZL26rocblas_syr2k_her2k_kernelIiLb1ELb1ELb0ELi32EPK19rocblas_complex_numIdEPKS3_PKPS1_EvbiT_T4_T5_S9_lSB_S9_lT6_S9_li.numbered_sgpr, 32
	.set _ZL26rocblas_syr2k_her2k_kernelIiLb1ELb1ELb0ELi32EPK19rocblas_complex_numIdEPKS3_PKPS1_EvbiT_T4_T5_S9_lSB_S9_lT6_S9_li.num_named_barrier, 0
	.set _ZL26rocblas_syr2k_her2k_kernelIiLb1ELb1ELb0ELi32EPK19rocblas_complex_numIdEPKS3_PKPS1_EvbiT_T4_T5_S9_lSB_S9_lT6_S9_li.private_seg_size, 0
	.set _ZL26rocblas_syr2k_her2k_kernelIiLb1ELb1ELb0ELi32EPK19rocblas_complex_numIdEPKS3_PKPS1_EvbiT_T4_T5_S9_lSB_S9_lT6_S9_li.uses_vcc, 1
	.set _ZL26rocblas_syr2k_her2k_kernelIiLb1ELb1ELb0ELi32EPK19rocblas_complex_numIdEPKS3_PKPS1_EvbiT_T4_T5_S9_lSB_S9_lT6_S9_li.uses_flat_scratch, 0
	.set _ZL26rocblas_syr2k_her2k_kernelIiLb1ELb1ELb0ELi32EPK19rocblas_complex_numIdEPKS3_PKPS1_EvbiT_T4_T5_S9_lSB_S9_lT6_S9_li.has_dyn_sized_stack, 0
	.set _ZL26rocblas_syr2k_her2k_kernelIiLb1ELb1ELb0ELi32EPK19rocblas_complex_numIdEPKS3_PKPS1_EvbiT_T4_T5_S9_lSB_S9_lT6_S9_li.has_recursion, 0
	.set _ZL26rocblas_syr2k_her2k_kernelIiLb1ELb1ELb0ELi32EPK19rocblas_complex_numIdEPKS3_PKPS1_EvbiT_T4_T5_S9_lSB_S9_lT6_S9_li.has_indirect_call, 0
	.section	.AMDGPU.csdata,"",@progbits
; Kernel info:
; codeLenInByte = 5416
; TotalNumSgprs: 36
; NumVgprs: 64
; ScratchSize: 0
; MemoryBound: 1
; FloatMode: 240
; IeeeMode: 1
; LDSByteSize: 32768 bytes/workgroup (compile time only)
; SGPRBlocks: 8
; VGPRBlocks: 15
; NumSGPRsForWavesPerEU: 65
; NumVGPRsForWavesPerEU: 64
; Occupancy: 4
; WaveLimiterHint : 1
; COMPUTE_PGM_RSRC2:SCRATCH_EN: 0
; COMPUTE_PGM_RSRC2:USER_SGPR: 6
; COMPUTE_PGM_RSRC2:TRAP_HANDLER: 0
; COMPUTE_PGM_RSRC2:TGID_X_EN: 1
; COMPUTE_PGM_RSRC2:TGID_Y_EN: 1
; COMPUTE_PGM_RSRC2:TGID_Z_EN: 1
; COMPUTE_PGM_RSRC2:TIDIG_COMP_CNT: 1
	.section	.text._ZL26rocblas_syr2k_her2k_kernelIiLb1ELb1ELb1ELi32EPK19rocblas_complex_numIdEPKS3_PKPS1_EvbiT_T4_T5_S9_lSB_S9_lT6_S9_li,"axG",@progbits,_ZL26rocblas_syr2k_her2k_kernelIiLb1ELb1ELb1ELi32EPK19rocblas_complex_numIdEPKS3_PKPS1_EvbiT_T4_T5_S9_lSB_S9_lT6_S9_li,comdat
	.globl	_ZL26rocblas_syr2k_her2k_kernelIiLb1ELb1ELb1ELi32EPK19rocblas_complex_numIdEPKS3_PKPS1_EvbiT_T4_T5_S9_lSB_S9_lT6_S9_li ; -- Begin function _ZL26rocblas_syr2k_her2k_kernelIiLb1ELb1ELb1ELi32EPK19rocblas_complex_numIdEPKS3_PKPS1_EvbiT_T4_T5_S9_lSB_S9_lT6_S9_li
	.p2align	8
	.type	_ZL26rocblas_syr2k_her2k_kernelIiLb1ELb1ELb1ELi32EPK19rocblas_complex_numIdEPKS3_PKPS1_EvbiT_T4_T5_S9_lSB_S9_lT6_S9_li,@function
_ZL26rocblas_syr2k_her2k_kernelIiLb1ELb1ELb1ELi32EPK19rocblas_complex_numIdEPKS3_PKPS1_EvbiT_T4_T5_S9_lSB_S9_lT6_S9_li: ; @_ZL26rocblas_syr2k_her2k_kernelIiLb1ELb1ELb1ELi32EPK19rocblas_complex_numIdEPKS3_PKPS1_EvbiT_T4_T5_S9_lSB_S9_lT6_S9_li
; %bb.0:
	s_load_dwordx4 s[0:3], s[4:5], 0x10
	s_waitcnt lgkmcnt(0)
	s_load_dwordx4 s[12:15], s[0:1], 0x0
	s_waitcnt lgkmcnt(0)
	v_cmp_eq_f64_e64 s[0:1], s[12:13], 0
	v_cmp_eq_f64_e64 s[10:11], s[14:15], 0
	s_and_b64 s[0:1], s[0:1], s[10:11]
	s_and_b64 vcc, exec, s[0:1]
	s_cbranch_vccnz .LBB1943_17
; %bb.1:
	s_load_dwordx4 s[16:19], s[4:5], 0x0
	s_lshl_b32 s0, s7, 5
	s_lshl_b32 s1, s6, 5
	s_waitcnt lgkmcnt(0)
	s_and_b32 s6, 1, s16
	s_cmp_eq_u32 s6, 1
	s_cselect_b64 vcc, -1, 0
	s_and_b64 s[6:7], vcc, exec
	s_cselect_b32 s6, s1, s0
	s_cselect_b32 s7, s0, s1
	s_cmp_gt_i32 s6, s7
	s_cbranch_scc1 .LBB1943_17
; %bb.2:
	s_cmp_lt_i32 s18, 1
	s_cbranch_scc1 .LBB1943_17
; %bb.3:
	s_mov_b32 s9, 0
	s_load_dword s16, s[4:5], 0x20
	s_load_dwordx4 s[20:23], s[4:5], 0x28
	s_load_dword s19, s[4:5], 0x38
	s_load_dwordx4 s[24:27], s[4:5], 0x40
	s_load_dword s28, s[4:5], 0x50
	s_load_dwordx2 s[6:7], s[4:5], 0x58
	s_lshl_b64 s[4:5], s[8:9], 3
	s_add_u32 s2, s2, s4
	s_addc_u32 s3, s3, s5
	s_load_dwordx2 s[2:3], s[2:3], 0x0
	v_add_u32_e32 v2, s1, v0
	s_waitcnt lgkmcnt(0)
	s_add_u32 s10, s22, s4
	v_add_u32_e32 v7, s0, v1
	v_mad_i64_i32 v[4:5], s[0:1], s16, v2, 0
	s_addc_u32 s11, s23, s5
	s_add_u32 s4, s26, s4
	s_addc_u32 s5, s27, s5
	s_lshl_b64 s[20:21], s[20:21], 4
	s_add_u32 s8, s2, s20
	v_lshlrev_b64 v[4:5], 4, v[4:5]
	s_load_dwordx2 s[10:11], s[10:11], 0x0
	s_addc_u32 s20, s3, s21
	v_mov_b32_e32 v9, s20
	v_add_co_u32_e64 v36, s[0:1], s8, v4
	s_load_dwordx2 s[4:5], s[4:5], 0x0
	v_addc_co_u32_e64 v37, s[0:1], v9, v5, s[0:1]
	v_mad_i64_i32 v[4:5], s[0:1], s19, v7, 0
	s_lshl_b64 s[2:3], s[24:25], 4
	s_waitcnt lgkmcnt(0)
	s_add_u32 s10, s10, s2
	s_addc_u32 s11, s11, s3
	s_lshl_b64 s[2:3], s[6:7], 4
	v_lshlrev_b64 v[4:5], 4, v[4:5]
	s_add_u32 s6, s4, s2
	s_addc_u32 s7, s5, s3
	v_mov_b32_e32 v10, s11
	v_add_co_u32_e64 v40, s[2:3], s10, v4
	v_addc_co_u32_e64 v41, s[2:3], v10, v5, s[2:3]
	v_mad_i64_i32 v[4:5], s[2:3], s28, v7, 0
	v_cndmask_b32_e32 v6, v2, v7, vcc
	v_cndmask_b32_e32 v8, v7, v2, vcc
	v_cmp_gt_i32_e32 vcc, s17, v2
	v_cmp_gt_i32_e64 s[0:1], s17, v7
	v_lshlrev_b64 v[4:5], 4, v[4:5]
	v_cmp_le_i32_e64 s[2:3], v8, v6
	s_and_b64 s[4:5], s[0:1], vcc
	v_lshlrev_b32_e32 v38, 9, v0
	v_lshlrev_b32_e32 v9, 4, v1
	s_and_b64 s[4:5], s[4:5], s[2:3]
	v_mov_b32_e32 v6, s7
	v_add_co_u32_e64 v8, s[2:3], s6, v4
	v_ashrrev_i32_e32 v3, 31, v2
	v_add_u32_e32 v39, v38, v9
	v_or_b32_e32 v42, 0x4000, v9
	v_addc_co_u32_e64 v9, s[2:3], v6, v5, s[2:3]
	v_mad_i64_i32 v[5:6], s[2:3], s19, v2, 0
	v_lshlrev_b64 v[3:4], 4, v[2:3]
	v_add_u32_e32 v43, v42, v38
	v_add_co_u32_e64 v34, s[2:3], v8, v3
	v_addc_co_u32_e64 v35, s[2:3], v9, v4, s[2:3]
	v_lshlrev_b64 v[2:3], 4, v[5:6]
	v_mad_i64_i32 v[4:5], s[2:3], s16, v7, 0
	v_mov_b32_e32 v6, s11
	v_add_co_u32_e64 v44, s[2:3], s10, v2
	v_addc_co_u32_e64 v45, s[2:3], v6, v3, s[2:3]
	v_lshlrev_b64 v[2:3], 4, v[4:5]
	v_mov_b32_e32 v4, s20
	v_add_co_u32_e64 v46, s[2:3], s8, v2
	v_addc_co_u32_e64 v47, s[2:3], v4, v3, s[2:3]
	s_branch .LBB1943_5
.LBB1943_4:                             ;   in Loop: Header=BB1943_5 Depth=1
	s_or_b64 exec, exec, s[2:3]
	s_add_i32 s9, s9, 32
	s_cmp_lt_i32 s9, s18
	s_waitcnt vmcnt(0) lgkmcnt(0)
	s_barrier
	s_cbranch_scc0 .LBB1943_17
.LBB1943_5:                             ; =>This Inner Loop Header: Depth=1
	v_add_u32_e32 v10, s9, v1
	v_cmp_gt_i32_e64 s[2:3], s18, v10
	v_mov_b32_e32 v2, 0
	v_mov_b32_e32 v4, 0
	;; [unrolled: 1-line block ×6, first 2 shown]
	s_and_b64 s[6:7], vcc, s[2:3]
	s_and_saveexec_b64 s[10:11], s[6:7]
	s_cbranch_execz .LBB1943_7
; %bb.6:                                ;   in Loop: Header=BB1943_5 Depth=1
	v_ashrrev_i32_e32 v11, 31, v10
	v_lshlrev_b64 v[4:5], 4, v[10:11]
	v_add_co_u32_e64 v4, s[2:3], v36, v4
	v_addc_co_u32_e64 v5, s[2:3], v37, v5, s[2:3]
	flat_load_dwordx4 v[4:7], v[4:5]
	s_waitcnt vmcnt(0) lgkmcnt(0)
	v_xor_b32_e32 v7, 0x80000000, v7
.LBB1943_7:                             ;   in Loop: Header=BB1943_5 Depth=1
	s_or_b64 exec, exec, s[10:11]
	v_add_u32_e32 v12, s9, v0
	ds_write_b128 v39, v[4:7]
	v_cmp_gt_i32_e64 s[2:3], s18, v12
	v_mov_b32_e32 v4, 0
	v_mov_b32_e32 v5, 0
	s_and_b64 s[10:11], s[0:1], s[2:3]
	s_and_saveexec_b64 s[16:17], s[10:11]
	s_cbranch_execz .LBB1943_9
; %bb.8:                                ;   in Loop: Header=BB1943_5 Depth=1
	v_ashrrev_i32_e32 v13, 31, v12
	v_lshlrev_b64 v[2:3], 4, v[12:13]
	v_add_co_u32_e64 v2, s[2:3], v40, v2
	v_addc_co_u32_e64 v3, s[2:3], v41, v3, s[2:3]
	flat_load_dwordx4 v[2:5], v[2:3]
.LBB1943_9:                             ;   in Loop: Header=BB1943_5 Depth=1
	s_or_b64 exec, exec, s[16:17]
	s_waitcnt vmcnt(0) lgkmcnt(0)
	ds_write_b128 v43, v[2:5]
	s_waitcnt lgkmcnt(0)
	s_barrier
	s_and_saveexec_b64 s[2:3], s[4:5]
	s_cbranch_execz .LBB1943_11
; %bb.10:                               ;   in Loop: Header=BB1943_5 Depth=1
	ds_read_b128 v[6:9], v42
	ds_read_b128 v[13:16], v38
	ds_read_b128 v[17:20], v38 offset:16
	ds_read_b128 v[21:24], v38 offset:32
	;; [unrolled: 1-line block ×3, first 2 shown]
	s_waitcnt lgkmcnt(3)
	v_mul_f64 v[25:26], v[8:9], v[15:16]
	v_fma_f64 v[25:26], v[6:7], v[13:14], -v[25:26]
	v_mul_f64 v[6:7], v[6:7], v[15:16]
	v_fma_f64 v[6:7], v[8:9], v[13:14], v[6:7]
	v_add_f64 v[13:14], v[25:26], 0
	v_add_f64 v[15:16], v[6:7], 0
	ds_read_b128 v[6:9], v42 offset:512
	s_waitcnt lgkmcnt(0)
	v_mul_f64 v[25:26], v[8:9], v[19:20]
	v_fma_f64 v[25:26], v[6:7], v[17:18], -v[25:26]
	v_mul_f64 v[6:7], v[6:7], v[19:20]
	v_add_f64 v[13:14], v[13:14], v[25:26]
	v_fma_f64 v[6:7], v[8:9], v[17:18], v[6:7]
	v_add_f64 v[15:16], v[15:16], v[6:7]
	ds_read_b128 v[6:9], v42 offset:1024
	s_waitcnt lgkmcnt(0)
	v_mul_f64 v[17:18], v[8:9], v[23:24]
	v_fma_f64 v[17:18], v[6:7], v[21:22], -v[17:18]
	v_mul_f64 v[6:7], v[6:7], v[23:24]
	v_add_f64 v[13:14], v[13:14], v[17:18]
	v_fma_f64 v[6:7], v[8:9], v[21:22], v[6:7]
	v_add_f64 v[15:16], v[15:16], v[6:7]
	ds_read_b128 v[6:9], v42 offset:1536
	s_waitcnt lgkmcnt(0)
	v_mul_f64 v[17:18], v[8:9], v[4:5]
	v_mul_f64 v[4:5], v[6:7], v[4:5]
	v_fma_f64 v[17:18], v[6:7], v[2:3], -v[17:18]
	v_fma_f64 v[2:3], v[8:9], v[2:3], v[4:5]
	v_add_f64 v[13:14], v[13:14], v[17:18]
	v_add_f64 v[15:16], v[15:16], v[2:3]
	ds_read_b128 v[2:5], v42 offset:2048
	ds_read_b128 v[6:9], v38 offset:64
	s_waitcnt lgkmcnt(0)
	v_mul_f64 v[17:18], v[4:5], v[8:9]
	v_fma_f64 v[17:18], v[2:3], v[6:7], -v[17:18]
	v_mul_f64 v[2:3], v[2:3], v[8:9]
	v_add_f64 v[13:14], v[13:14], v[17:18]
	v_fma_f64 v[2:3], v[4:5], v[6:7], v[2:3]
	v_add_f64 v[15:16], v[15:16], v[2:3]
	ds_read_b128 v[2:5], v42 offset:2560
	ds_read_b128 v[6:9], v38 offset:80
	s_waitcnt lgkmcnt(0)
	v_mul_f64 v[17:18], v[4:5], v[8:9]
	v_fma_f64 v[17:18], v[2:3], v[6:7], -v[17:18]
	v_mul_f64 v[2:3], v[2:3], v[8:9]
	v_add_f64 v[13:14], v[13:14], v[17:18]
	v_fma_f64 v[2:3], v[4:5], v[6:7], v[2:3]
	;; [unrolled: 9-line block ×27, first 2 shown]
	v_add_f64 v[15:16], v[15:16], v[2:3]
	ds_read_b128 v[2:5], v42 offset:15872
	ds_read_b128 v[6:9], v38 offset:496
	s_waitcnt lgkmcnt(0)
	v_mul_f64 v[17:18], v[4:5], v[8:9]
	v_fma_f64 v[17:18], v[2:3], v[6:7], -v[17:18]
	v_mul_f64 v[2:3], v[2:3], v[8:9]
	v_fma_f64 v[2:3], v[4:5], v[6:7], v[2:3]
	v_add_f64 v[4:5], v[13:14], v[17:18]
	v_add_f64 v[2:3], v[15:16], v[2:3]
	v_mul_f64 v[6:7], s[14:15], v[2:3]
	v_mul_f64 v[2:3], s[12:13], v[2:3]
	v_fma_f64 v[6:7], s[12:13], v[4:5], -v[6:7]
	v_fma_f64 v[8:9], s[14:15], v[4:5], v[2:3]
	flat_load_dwordx4 v[2:5], v[34:35]
	s_waitcnt vmcnt(0) lgkmcnt(0)
	v_add_f64 v[2:3], v[2:3], v[6:7]
	v_add_f64 v[4:5], v[4:5], v[8:9]
	flat_store_dwordx4 v[34:35], v[2:5]
.LBB1943_11:                            ;   in Loop: Header=BB1943_5 Depth=1
	s_or_b64 exec, exec, s[2:3]
	v_mov_b32_e32 v4, 0
	v_mov_b32_e32 v8, 0
	;; [unrolled: 1-line block ×6, first 2 shown]
	s_waitcnt vmcnt(0) lgkmcnt(0)
	s_barrier
	s_and_saveexec_b64 s[16:17], s[6:7]
	s_cbranch_execz .LBB1943_13
; %bb.12:                               ;   in Loop: Header=BB1943_5 Depth=1
	v_ashrrev_i32_e32 v11, 31, v10
	v_lshlrev_b64 v[2:3], 4, v[10:11]
	v_add_co_u32_e64 v2, s[2:3], v44, v2
	v_addc_co_u32_e64 v3, s[2:3], v45, v3, s[2:3]
	flat_load_dwordx4 v[6:9], v[2:3]
	s_waitcnt vmcnt(0) lgkmcnt(0)
	v_xor_b32_e32 v9, 0x80000000, v9
.LBB1943_13:                            ;   in Loop: Header=BB1943_5 Depth=1
	s_or_b64 exec, exec, s[16:17]
	v_mov_b32_e32 v2, 0
	v_mov_b32_e32 v3, 0
	ds_write_b128 v39, v[6:9]
	s_and_saveexec_b64 s[6:7], s[10:11]
	s_cbranch_execz .LBB1943_15
; %bb.14:                               ;   in Loop: Header=BB1943_5 Depth=1
	v_ashrrev_i32_e32 v13, 31, v12
	v_lshlrev_b64 v[2:3], 4, v[12:13]
	v_add_co_u32_e64 v2, s[2:3], v46, v2
	v_addc_co_u32_e64 v3, s[2:3], v47, v3, s[2:3]
	flat_load_dwordx4 v[2:5], v[2:3]
.LBB1943_15:                            ;   in Loop: Header=BB1943_5 Depth=1
	s_or_b64 exec, exec, s[6:7]
	s_waitcnt vmcnt(0) lgkmcnt(0)
	ds_write_b128 v43, v[2:5]
	s_waitcnt lgkmcnt(0)
	s_barrier
	s_and_saveexec_b64 s[2:3], s[4:5]
	s_cbranch_execz .LBB1943_4
; %bb.16:                               ;   in Loop: Header=BB1943_5 Depth=1
	ds_read_b128 v[4:7], v42
	ds_read_b128 v[8:11], v38
	ds_read_b128 v[12:15], v38 offset:16
	ds_read_b128 v[16:19], v42 offset:512
	;; [unrolled: 1-line block ×3, first 2 shown]
	s_waitcnt lgkmcnt(3)
	v_mul_f64 v[2:3], v[6:7], v[10:11]
	v_mul_f64 v[10:11], v[4:5], v[10:11]
	s_waitcnt lgkmcnt(1)
	v_mul_f64 v[32:33], v[18:19], v[14:15]
	v_mul_f64 v[54:55], v[16:17], v[14:15]
	v_fma_f64 v[52:53], v[4:5], v[8:9], -v[2:3]
	ds_read_b128 v[24:27], v38 offset:32
	ds_read_b128 v[2:5], v38 offset:48
	;; [unrolled: 1-line block ×4, first 2 shown]
	v_fma_f64 v[10:11], v[6:7], v[8:9], v[10:11]
	s_waitcnt lgkmcnt(3)
	v_mul_f64 v[56:57], v[22:23], v[26:27]
	v_fma_f64 v[32:33], v[16:17], v[12:13], -v[32:33]
	v_mul_f64 v[26:27], v[20:21], v[26:27]
	s_waitcnt lgkmcnt(1)
	v_mul_f64 v[58:59], v[30:31], v[4:5]
	v_fma_f64 v[54:55], v[18:19], v[12:13], v[54:55]
	v_add_f64 v[52:53], v[52:53], 0
	ds_read_b128 v[6:9], v42 offset:2048
	ds_read_b128 v[14:17], v42 offset:2560
	v_add_f64 v[60:61], v[10:11], 0
	v_fma_f64 v[56:57], v[20:21], v[24:25], -v[56:57]
	v_mul_f64 v[4:5], v[28:29], v[4:5]
	v_fma_f64 v[62:63], v[22:23], v[24:25], v[26:27]
	v_fma_f64 v[58:59], v[28:29], v[2:3], -v[58:59]
	ds_read_b128 v[10:13], v38 offset:80
	ds_read_b128 v[18:21], v38 offset:96
	v_add_f64 v[32:33], v[52:53], v[32:33]
	s_waitcnt lgkmcnt(3)
	v_mul_f64 v[52:53], v[8:9], v[50:51]
	v_add_f64 v[54:55], v[60:61], v[54:55]
	v_mul_f64 v[50:51], v[6:7], v[50:51]
	v_fma_f64 v[60:61], v[30:31], v[2:3], v[4:5]
	ds_read_b128 v[22:25], v42 offset:3072
	ds_read_b128 v[26:29], v42 offset:3584
	v_add_f64 v[32:33], v[32:33], v[56:57]
	s_waitcnt lgkmcnt(3)
	v_mul_f64 v[56:57], v[16:17], v[12:13]
	v_fma_f64 v[6:7], v[6:7], v[48:49], -v[52:53]
	v_add_f64 v[52:53], v[54:55], v[62:63]
	s_waitcnt lgkmcnt(1)
	v_mul_f64 v[62:63], v[24:25], v[20:21]
	v_fma_f64 v[48:49], v[8:9], v[48:49], v[50:51]
	v_add_f64 v[54:55], v[32:33], v[58:59]
	v_mul_f64 v[58:59], v[14:15], v[12:13]
	v_fma_f64 v[50:51], v[14:15], v[10:11], -v[56:57]
	v_add_f64 v[52:53], v[52:53], v[60:61]
	ds_read_b128 v[2:5], v38 offset:112
	ds_read_b128 v[30:33], v38 offset:128
	v_mul_f64 v[56:57], v[22:23], v[20:21]
	s_waitcnt lgkmcnt(1)
	v_mul_f64 v[60:61], v[28:29], v[4:5]
	v_add_f64 v[54:55], v[54:55], v[6:7]
	v_fma_f64 v[10:11], v[16:17], v[10:11], v[58:59]
	v_fma_f64 v[16:17], v[22:23], v[18:19], -v[62:63]
	v_add_f64 v[52:53], v[52:53], v[48:49]
	ds_read_b128 v[6:9], v42 offset:4096
	ds_read_b128 v[12:15], v42 offset:4608
	v_mul_f64 v[4:5], v[26:27], v[4:5]
	v_fma_f64 v[56:57], v[24:25], v[18:19], v[56:57]
	v_fma_f64 v[60:61], v[26:27], v[2:3], -v[60:61]
	v_add_f64 v[54:55], v[54:55], v[50:51]
	s_waitcnt lgkmcnt(1)
	v_mul_f64 v[58:59], v[8:9], v[32:33]
	ds_read_b128 v[20:23], v38 offset:144
	ds_read_b128 v[48:51], v38 offset:160
	v_add_f64 v[10:11], v[52:53], v[10:11]
	v_mul_f64 v[32:33], v[6:7], v[32:33]
	v_fma_f64 v[28:29], v[28:29], v[2:3], v[4:5]
	s_waitcnt lgkmcnt(1)
	v_mul_f64 v[62:63], v[14:15], v[22:23]
	v_mul_f64 v[22:23], v[12:13], v[22:23]
	v_add_f64 v[52:53], v[54:55], v[16:17]
	v_fma_f64 v[6:7], v[6:7], v[30:31], -v[58:59]
	ds_read_b128 v[16:19], v42 offset:5120
	ds_read_b128 v[24:27], v42 offset:5632
	v_add_f64 v[10:11], v[10:11], v[56:57]
	v_fma_f64 v[30:31], v[8:9], v[30:31], v[32:33]
	s_waitcnt lgkmcnt(1)
	v_mul_f64 v[58:59], v[18:19], v[50:51]
	v_fma_f64 v[32:33], v[12:13], v[20:21], -v[62:63]
	v_add_f64 v[56:57], v[52:53], v[60:61]
	ds_read_b128 v[2:5], v38 offset:176
	ds_read_b128 v[52:55], v38 offset:192
	v_mul_f64 v[50:51], v[16:17], v[50:51]
	v_add_f64 v[28:29], v[10:11], v[28:29]
	v_fma_f64 v[62:63], v[14:15], v[20:21], v[22:23]
	s_waitcnt lgkmcnt(1)
	v_mul_f64 v[60:61], v[26:27], v[4:5]
	v_fma_f64 v[58:59], v[16:17], v[48:49], -v[58:59]
	v_mul_f64 v[4:5], v[24:25], v[4:5]
	v_add_f64 v[56:57], v[56:57], v[6:7]
	ds_read_b128 v[6:9], v42 offset:6144
	ds_read_b128 v[10:13], v42 offset:6656
	v_fma_f64 v[18:19], v[18:19], v[48:49], v[50:51]
	v_add_f64 v[28:29], v[28:29], v[30:31]
	ds_read_b128 v[14:17], v38 offset:208
	ds_read_b128 v[20:23], v38 offset:224
	v_fma_f64 v[24:25], v[24:25], v[2:3], -v[60:61]
	s_waitcnt lgkmcnt(1)
	v_mul_f64 v[60:61], v[12:13], v[16:17]
	v_add_f64 v[30:31], v[56:57], v[32:33]
	v_mul_f64 v[32:33], v[8:9], v[54:55]
	v_add_f64 v[56:57], v[28:29], v[62:63]
	v_mul_f64 v[54:55], v[6:7], v[54:55]
	v_fma_f64 v[62:63], v[26:27], v[2:3], v[4:5]
	v_add_f64 v[58:59], v[30:31], v[58:59]
	v_fma_f64 v[6:7], v[6:7], v[52:53], -v[32:33]
	v_add_f64 v[18:19], v[56:57], v[18:19]
	ds_read_b128 v[28:31], v42 offset:7168
	ds_read_b128 v[48:51], v42 offset:7680
	v_mul_f64 v[56:57], v[10:11], v[16:17]
	v_fma_f64 v[52:53], v[8:9], v[52:53], v[54:55]
	v_fma_f64 v[10:11], v[10:11], v[14:15], -v[60:61]
	v_add_f64 v[32:33], v[58:59], v[24:25]
	s_waitcnt lgkmcnt(1)
	v_mul_f64 v[58:59], v[30:31], v[22:23]
	v_add_f64 v[54:55], v[18:19], v[62:63]
	ds_read_b128 v[2:5], v38 offset:240
	ds_read_b128 v[24:27], v38 offset:256
	v_mul_f64 v[22:23], v[28:29], v[22:23]
	v_fma_f64 v[14:15], v[12:13], v[14:15], v[56:57]
	s_waitcnt lgkmcnt(1)
	v_mul_f64 v[60:61], v[50:51], v[4:5]
	v_add_f64 v[32:33], v[32:33], v[6:7]
	v_fma_f64 v[28:29], v[28:29], v[20:21], -v[58:59]
	v_add_f64 v[56:57], v[54:55], v[52:53]
	ds_read_b128 v[6:9], v42 offset:8192
	ds_read_b128 v[16:19], v42 offset:8704
	v_mul_f64 v[4:5], v[48:49], v[4:5]
	v_fma_f64 v[62:63], v[30:31], v[20:21], v[22:23]
	s_waitcnt lgkmcnt(1)
	v_mul_f64 v[58:59], v[8:9], v[26:27]
	v_add_f64 v[32:33], v[32:33], v[10:11]
	v_fma_f64 v[48:49], v[48:49], v[2:3], -v[60:61]
	;; [unrolled: 9-line block ×9, first 2 shown]
	v_add_f64 v[48:49], v[56:57], v[48:49]
	ds_read_b128 v[10:13], v42 offset:12288
	ds_read_b128 v[6:9], v42 offset:12800
	v_mul_f64 v[32:33], v[52:53], v[32:33]
	v_fma_f64 v[56:57], v[22:23], v[24:25], v[26:27]
	ds_read_b128 v[14:17], v38 offset:400
	ds_read_b128 v[18:21], v38 offset:416
	v_fma_f64 v[52:53], v[52:53], v[30:31], -v[58:59]
	v_add_f64 v[28:29], v[28:29], v[50:51]
	s_waitcnt lgkmcnt(3)
	v_mul_f64 v[50:51], v[12:13], v[4:5]
	v_add_f64 v[48:49], v[48:49], v[62:63]
	v_mul_f64 v[4:5], v[10:11], v[4:5]
	v_fma_f64 v[54:55], v[54:55], v[30:31], v[32:33]
	v_add_f64 v[58:59], v[28:29], v[60:61]
	s_waitcnt lgkmcnt(1)
	v_mul_f64 v[60:61], v[8:9], v[16:17]
	v_fma_f64 v[10:11], v[10:11], v[2:3], -v[50:51]
	v_add_f64 v[56:57], v[48:49], v[56:57]
	ds_read_b128 v[26:29], v42 offset:13312
	ds_read_b128 v[22:25], v42 offset:13824
	flat_load_dwordx4 v[48:51], v[34:35]
	v_mul_f64 v[16:17], v[6:7], v[16:17]
	v_fma_f64 v[62:63], v[12:13], v[2:3], v[4:5]
	v_add_f64 v[52:53], v[58:59], v[52:53]
	s_waitcnt lgkmcnt(0)
	v_mul_f64 v[58:59], v[28:29], v[20:21]
	v_fma_f64 v[6:7], v[6:7], v[14:15], -v[60:61]
	v_add_f64 v[54:55], v[56:57], v[54:55]
	ds_read_b128 v[30:33], v38 offset:432
	v_mul_f64 v[20:21], v[26:27], v[20:21]
	v_fma_f64 v[60:61], v[8:9], v[14:15], v[16:17]
	v_add_f64 v[52:53], v[52:53], v[10:11]
	s_waitcnt lgkmcnt(0)
	v_mul_f64 v[56:57], v[24:25], v[32:33]
	v_fma_f64 v[26:27], v[26:27], v[18:19], -v[58:59]
	v_add_f64 v[54:55], v[54:55], v[62:63]
	ds_read_b128 v[2:5], v38 offset:448
	ds_read_b128 v[10:13], v42 offset:14336
	v_mul_f64 v[32:33], v[22:23], v[32:33]
	v_fma_f64 v[62:63], v[28:29], v[18:19], v[20:21]
	v_add_f64 v[52:53], v[52:53], v[6:7]
	s_waitcnt lgkmcnt(0)
	v_mul_f64 v[58:59], v[12:13], v[4:5]
	v_fma_f64 v[22:23], v[22:23], v[30:31], -v[56:57]
	v_add_f64 v[54:55], v[54:55], v[60:61]
	ds_read_b128 v[6:9], v42 offset:14848
	;; [unrolled: 9-line block ×4, first 2 shown]
	ds_read_b128 v[30:33], v38 offset:496
	v_mul_f64 v[12:13], v[26:27], v[20:21]
	v_fma_f64 v[8:9], v[8:9], v[14:15], v[16:17]
	v_add_f64 v[10:11], v[52:53], v[10:11]
	s_waitcnt lgkmcnt(0)
	v_mul_f64 v[20:21], v[24:25], v[32:33]
	v_fma_f64 v[14:15], v[26:27], v[18:19], -v[58:59]
	v_add_f64 v[2:3], v[6:7], v[2:3]
	v_mul_f64 v[6:7], v[22:23], v[32:33]
	v_add_f64 v[4:5], v[10:11], v[4:5]
	v_fma_f64 v[10:11], v[28:29], v[18:19], v[12:13]
	v_fma_f64 v[12:13], v[22:23], v[30:31], -v[20:21]
	v_add_f64 v[2:3], v[2:3], v[8:9]
	v_fma_f64 v[6:7], v[24:25], v[30:31], v[6:7]
	v_add_f64 v[4:5], v[4:5], v[14:15]
	v_add_f64 v[2:3], v[2:3], v[10:11]
	;; [unrolled: 1-line block ×4, first 2 shown]
	v_mul_f64 v[6:7], s[12:13], v[4:5]
	v_mul_f64 v[4:5], s[14:15], v[4:5]
	v_fma_f64 v[6:7], s[14:15], v[2:3], v[6:7]
	v_fma_f64 v[4:5], s[12:13], v[2:3], -v[4:5]
	s_waitcnt vmcnt(0)
	v_add_f64 v[2:3], v[48:49], v[6:7]
	v_add_f64 v[4:5], v[50:51], v[4:5]
	flat_store_dwordx4 v[34:35], v[2:5]
	s_branch .LBB1943_4
.LBB1943_17:
	s_endpgm
	.section	.rodata,"a",@progbits
	.p2align	6, 0x0
	.amdhsa_kernel _ZL26rocblas_syr2k_her2k_kernelIiLb1ELb1ELb1ELi32EPK19rocblas_complex_numIdEPKS3_PKPS1_EvbiT_T4_T5_S9_lSB_S9_lT6_S9_li
		.amdhsa_group_segment_fixed_size 32768
		.amdhsa_private_segment_fixed_size 0
		.amdhsa_kernarg_size 100
		.amdhsa_user_sgpr_count 6
		.amdhsa_user_sgpr_private_segment_buffer 1
		.amdhsa_user_sgpr_dispatch_ptr 0
		.amdhsa_user_sgpr_queue_ptr 0
		.amdhsa_user_sgpr_kernarg_segment_ptr 1
		.amdhsa_user_sgpr_dispatch_id 0
		.amdhsa_user_sgpr_flat_scratch_init 0
		.amdhsa_user_sgpr_private_segment_size 0
		.amdhsa_uses_dynamic_stack 0
		.amdhsa_system_sgpr_private_segment_wavefront_offset 0
		.amdhsa_system_sgpr_workgroup_id_x 1
		.amdhsa_system_sgpr_workgroup_id_y 1
		.amdhsa_system_sgpr_workgroup_id_z 1
		.amdhsa_system_sgpr_workgroup_info 0
		.amdhsa_system_vgpr_workitem_id 1
		.amdhsa_next_free_vgpr 64
		.amdhsa_next_free_sgpr 61
		.amdhsa_reserve_vcc 1
		.amdhsa_reserve_flat_scratch 0
		.amdhsa_float_round_mode_32 0
		.amdhsa_float_round_mode_16_64 0
		.amdhsa_float_denorm_mode_32 3
		.amdhsa_float_denorm_mode_16_64 3
		.amdhsa_dx10_clamp 1
		.amdhsa_ieee_mode 1
		.amdhsa_fp16_overflow 0
		.amdhsa_exception_fp_ieee_invalid_op 0
		.amdhsa_exception_fp_denorm_src 0
		.amdhsa_exception_fp_ieee_div_zero 0
		.amdhsa_exception_fp_ieee_overflow 0
		.amdhsa_exception_fp_ieee_underflow 0
		.amdhsa_exception_fp_ieee_inexact 0
		.amdhsa_exception_int_div_zero 0
	.end_amdhsa_kernel
	.section	.text._ZL26rocblas_syr2k_her2k_kernelIiLb1ELb1ELb1ELi32EPK19rocblas_complex_numIdEPKS3_PKPS1_EvbiT_T4_T5_S9_lSB_S9_lT6_S9_li,"axG",@progbits,_ZL26rocblas_syr2k_her2k_kernelIiLb1ELb1ELb1ELi32EPK19rocblas_complex_numIdEPKS3_PKPS1_EvbiT_T4_T5_S9_lSB_S9_lT6_S9_li,comdat
.Lfunc_end1943:
	.size	_ZL26rocblas_syr2k_her2k_kernelIiLb1ELb1ELb1ELi32EPK19rocblas_complex_numIdEPKS3_PKPS1_EvbiT_T4_T5_S9_lSB_S9_lT6_S9_li, .Lfunc_end1943-_ZL26rocblas_syr2k_her2k_kernelIiLb1ELb1ELb1ELi32EPK19rocblas_complex_numIdEPKS3_PKPS1_EvbiT_T4_T5_S9_lSB_S9_lT6_S9_li
                                        ; -- End function
	.set _ZL26rocblas_syr2k_her2k_kernelIiLb1ELb1ELb1ELi32EPK19rocblas_complex_numIdEPKS3_PKPS1_EvbiT_T4_T5_S9_lSB_S9_lT6_S9_li.num_vgpr, 64
	.set _ZL26rocblas_syr2k_her2k_kernelIiLb1ELb1ELb1ELi32EPK19rocblas_complex_numIdEPKS3_PKPS1_EvbiT_T4_T5_S9_lSB_S9_lT6_S9_li.num_agpr, 0
	.set _ZL26rocblas_syr2k_her2k_kernelIiLb1ELb1ELb1ELi32EPK19rocblas_complex_numIdEPKS3_PKPS1_EvbiT_T4_T5_S9_lSB_S9_lT6_S9_li.numbered_sgpr, 29
	.set _ZL26rocblas_syr2k_her2k_kernelIiLb1ELb1ELb1ELi32EPK19rocblas_complex_numIdEPKS3_PKPS1_EvbiT_T4_T5_S9_lSB_S9_lT6_S9_li.num_named_barrier, 0
	.set _ZL26rocblas_syr2k_her2k_kernelIiLb1ELb1ELb1ELi32EPK19rocblas_complex_numIdEPKS3_PKPS1_EvbiT_T4_T5_S9_lSB_S9_lT6_S9_li.private_seg_size, 0
	.set _ZL26rocblas_syr2k_her2k_kernelIiLb1ELb1ELb1ELi32EPK19rocblas_complex_numIdEPKS3_PKPS1_EvbiT_T4_T5_S9_lSB_S9_lT6_S9_li.uses_vcc, 1
	.set _ZL26rocblas_syr2k_her2k_kernelIiLb1ELb1ELb1ELi32EPK19rocblas_complex_numIdEPKS3_PKPS1_EvbiT_T4_T5_S9_lSB_S9_lT6_S9_li.uses_flat_scratch, 0
	.set _ZL26rocblas_syr2k_her2k_kernelIiLb1ELb1ELb1ELi32EPK19rocblas_complex_numIdEPKS3_PKPS1_EvbiT_T4_T5_S9_lSB_S9_lT6_S9_li.has_dyn_sized_stack, 0
	.set _ZL26rocblas_syr2k_her2k_kernelIiLb1ELb1ELb1ELi32EPK19rocblas_complex_numIdEPKS3_PKPS1_EvbiT_T4_T5_S9_lSB_S9_lT6_S9_li.has_recursion, 0
	.set _ZL26rocblas_syr2k_her2k_kernelIiLb1ELb1ELb1ELi32EPK19rocblas_complex_numIdEPKS3_PKPS1_EvbiT_T4_T5_S9_lSB_S9_lT6_S9_li.has_indirect_call, 0
	.section	.AMDGPU.csdata,"",@progbits
; Kernel info:
; codeLenInByte = 5452
; TotalNumSgprs: 33
; NumVgprs: 64
; ScratchSize: 0
; MemoryBound: 1
; FloatMode: 240
; IeeeMode: 1
; LDSByteSize: 32768 bytes/workgroup (compile time only)
; SGPRBlocks: 8
; VGPRBlocks: 15
; NumSGPRsForWavesPerEU: 65
; NumVGPRsForWavesPerEU: 64
; Occupancy: 4
; WaveLimiterHint : 1
; COMPUTE_PGM_RSRC2:SCRATCH_EN: 0
; COMPUTE_PGM_RSRC2:USER_SGPR: 6
; COMPUTE_PGM_RSRC2:TRAP_HANDLER: 0
; COMPUTE_PGM_RSRC2:TGID_X_EN: 1
; COMPUTE_PGM_RSRC2:TGID_Y_EN: 1
; COMPUTE_PGM_RSRC2:TGID_Z_EN: 1
; COMPUTE_PGM_RSRC2:TIDIG_COMP_CNT: 1
	.section	.AMDGPU.gpr_maximums,"",@progbits
	.set amdgpu.max_num_vgpr, 0
	.set amdgpu.max_num_agpr, 0
	.set amdgpu.max_num_sgpr, 0
	.section	.AMDGPU.csdata,"",@progbits
	.type	__hip_cuid_22d79df78055d775,@object ; @__hip_cuid_22d79df78055d775
	.section	.bss,"aw",@nobits
	.globl	__hip_cuid_22d79df78055d775
__hip_cuid_22d79df78055d775:
	.byte	0                               ; 0x0
	.size	__hip_cuid_22d79df78055d775, 1

	.ident	"AMD clang version 22.0.0git (https://github.com/RadeonOpenCompute/llvm-project roc-7.2.4 26084 f58b06dce1f9c15707c5f808fd002e18c2accf7e)"
	.section	".note.GNU-stack","",@progbits
	.addrsig
	.addrsig_sym __hip_cuid_22d79df78055d775
	.amdgpu_metadata
---
amdhsa.kernels:
  - .args:
      - .offset:         0
        .size:           1
        .value_kind:     by_value
      - .offset:         4
        .size:           4
        .value_kind:     by_value
      - .offset:         8
        .size:           4
        .value_kind:     by_value
      - .offset:         12
        .size:           4
        .value_kind:     by_value
      - .address_space:  global
        .offset:         16
        .size:           8
        .value_kind:     global_buffer
      - .offset:         24
        .size:           4
        .value_kind:     by_value
      - .offset:         32
        .size:           8
        .value_kind:     by_value
      - .address_space:  global
        .offset:         40
        .size:           8
        .value_kind:     global_buffer
      - .offset:         48
        .size:           4
        .value_kind:     by_value
      - .offset:         56
        .size:           8
        .value_kind:     by_value
      - .address_space:  global
        .offset:         64
        .size:           8
        .value_kind:     global_buffer
      - .offset:         72
        .size:           4
        .value_kind:     by_value
      - .offset:         80
        .size:           8
        .value_kind:     by_value
      - .offset:         88
        .size:           4
        .value_kind:     by_value
    .group_segment_fixed_size: 8192
    .kernarg_segment_align: 8
    .kernarg_segment_size: 92
    .language:       OpenCL C
    .language_version:
      - 2
      - 0
    .max_flat_workgroup_size: 1024
    .name:           _ZL26rocblas_syr2k_her2k_kernelIiLb0ELb0ELb0ELi32EfPKfPfEvbiT_T4_T5_S3_lS5_S3_lT6_S3_li
    .private_segment_fixed_size: 0
    .sgpr_count:     28
    .sgpr_spill_count: 0
    .symbol:         _ZL26rocblas_syr2k_her2k_kernelIiLb0ELb0ELb0ELi32EfPKfPfEvbiT_T4_T5_S3_lS5_S3_lT6_S3_li.kd
    .uniform_work_group_size: 1
    .uses_dynamic_stack: false
    .vgpr_count:     29
    .vgpr_spill_count: 0
    .wavefront_size: 64
  - .args:
      - .offset:         0
        .size:           1
        .value_kind:     by_value
      - .offset:         4
        .size:           4
        .value_kind:     by_value
      - .offset:         8
        .size:           4
        .value_kind:     by_value
      - .offset:         12
        .size:           4
        .value_kind:     by_value
      - .address_space:  global
        .offset:         16
        .size:           8
        .value_kind:     global_buffer
      - .offset:         24
        .size:           4
        .value_kind:     by_value
      - .offset:         32
        .size:           8
        .value_kind:     by_value
      - .address_space:  global
        .offset:         40
        .size:           8
        .value_kind:     global_buffer
      - .offset:         48
        .size:           4
        .value_kind:     by_value
      - .offset:         56
        .size:           8
        .value_kind:     by_value
      - .address_space:  global
        .offset:         64
        .size:           8
        .value_kind:     global_buffer
      - .offset:         72
        .size:           4
        .value_kind:     by_value
      - .offset:         80
        .size:           8
        .value_kind:     by_value
      - .offset:         88
        .size:           4
        .value_kind:     by_value
    .group_segment_fixed_size: 8192
    .kernarg_segment_align: 8
    .kernarg_segment_size: 92
    .language:       OpenCL C
    .language_version:
      - 2
      - 0
    .max_flat_workgroup_size: 1024
    .name:           _ZL26rocblas_syr2k_her2k_kernelIiLb0ELb0ELb1ELi32EfPKfPfEvbiT_T4_T5_S3_lS5_S3_lT6_S3_li
    .private_segment_fixed_size: 0
    .sgpr_count:     28
    .sgpr_spill_count: 0
    .symbol:         _ZL26rocblas_syr2k_her2k_kernelIiLb0ELb0ELb1ELi32EfPKfPfEvbiT_T4_T5_S3_lS5_S3_lT6_S3_li.kd
    .uniform_work_group_size: 1
    .uses_dynamic_stack: false
    .vgpr_count:     29
    .vgpr_spill_count: 0
    .wavefront_size: 64
  - .args:
      - .offset:         0
        .size:           4
        .value_kind:     by_value
      - .offset:         4
        .size:           4
        .value_kind:     by_value
      - .address_space:  global
        .offset:         8
        .size:           8
        .value_kind:     global_buffer
      - .offset:         16
        .size:           4
        .value_kind:     by_value
      - .offset:         24
        .size:           8
        .value_kind:     by_value
      - .address_space:  global
        .offset:         32
        .size:           8
        .value_kind:     global_buffer
      - .offset:         40
        .size:           4
        .value_kind:     by_value
      - .offset:         48
        .size:           8
        .value_kind:     by_value
      - .address_space:  global
        .offset:         56
        .size:           8
        .value_kind:     global_buffer
      - .offset:         64
        .size:           4
        .value_kind:     by_value
      - .offset:         72
        .size:           8
        .value_kind:     by_value
      - .offset:         80
        .size:           4
        .value_kind:     by_value
    .group_segment_fixed_size: 2048
    .kernarg_segment_align: 8
    .kernarg_segment_size: 84
    .language:       OpenCL C
    .language_version:
      - 2
      - 0
    .max_flat_workgroup_size: 256
    .name:           _ZL37rocblas_syrkx_herkx_restricted_kernelIifLi16ELi32ELi8ELi1ELi1ELb0ELc84ELc76EKffEviT_PT9_S1_lS3_S1_lPT10_S1_li
    .private_segment_fixed_size: 0
    .sgpr_count:     26
    .sgpr_spill_count: 0
    .symbol:         _ZL37rocblas_syrkx_herkx_restricted_kernelIifLi16ELi32ELi8ELi1ELi1ELb0ELc84ELc76EKffEviT_PT9_S1_lS3_S1_lPT10_S1_li.kd
    .uniform_work_group_size: 1
    .uses_dynamic_stack: false
    .vgpr_count:     26
    .vgpr_spill_count: 0
    .wavefront_size: 64
  - .args:
      - .offset:         0
        .size:           4
        .value_kind:     by_value
      - .offset:         4
        .size:           4
        .value_kind:     by_value
      - .address_space:  global
        .offset:         8
        .size:           8
        .value_kind:     global_buffer
      - .offset:         16
        .size:           4
        .value_kind:     by_value
      - .offset:         24
        .size:           8
        .value_kind:     by_value
      - .address_space:  global
        .offset:         32
        .size:           8
        .value_kind:     global_buffer
      - .offset:         40
        .size:           4
        .value_kind:     by_value
      - .offset:         48
        .size:           8
        .value_kind:     by_value
      - .address_space:  global
        .offset:         56
        .size:           8
        .value_kind:     global_buffer
      - .offset:         64
        .size:           4
        .value_kind:     by_value
      - .offset:         72
        .size:           8
        .value_kind:     by_value
      - .offset:         80
        .size:           4
        .value_kind:     by_value
    .group_segment_fixed_size: 2048
    .kernarg_segment_align: 8
    .kernarg_segment_size: 84
    .language:       OpenCL C
    .language_version:
      - 2
      - 0
    .max_flat_workgroup_size: 256
    .name:           _ZL37rocblas_syrkx_herkx_restricted_kernelIifLi16ELi32ELi8ELi1ELi1ELb0ELc67ELc76EKffEviT_PT9_S1_lS3_S1_lPT10_S1_li
    .private_segment_fixed_size: 0
    .sgpr_count:     26
    .sgpr_spill_count: 0
    .symbol:         _ZL37rocblas_syrkx_herkx_restricted_kernelIifLi16ELi32ELi8ELi1ELi1ELb0ELc67ELc76EKffEviT_PT9_S1_lS3_S1_lPT10_S1_li.kd
    .uniform_work_group_size: 1
    .uses_dynamic_stack: false
    .vgpr_count:     26
    .vgpr_spill_count: 0
    .wavefront_size: 64
  - .args:
      - .offset:         0
        .size:           4
        .value_kind:     by_value
      - .offset:         4
        .size:           4
        .value_kind:     by_value
      - .address_space:  global
        .offset:         8
        .size:           8
        .value_kind:     global_buffer
      - .offset:         16
        .size:           4
        .value_kind:     by_value
      - .offset:         24
        .size:           8
        .value_kind:     by_value
      - .address_space:  global
        .offset:         32
        .size:           8
        .value_kind:     global_buffer
      - .offset:         40
        .size:           4
        .value_kind:     by_value
      - .offset:         48
        .size:           8
        .value_kind:     by_value
      - .address_space:  global
        .offset:         56
        .size:           8
        .value_kind:     global_buffer
      - .offset:         64
        .size:           4
        .value_kind:     by_value
      - .offset:         72
        .size:           8
        .value_kind:     by_value
      - .offset:         80
        .size:           4
        .value_kind:     by_value
    .group_segment_fixed_size: 2048
    .kernarg_segment_align: 8
    .kernarg_segment_size: 84
    .language:       OpenCL C
    .language_version:
      - 2
      - 0
    .max_flat_workgroup_size: 256
    .name:           _ZL37rocblas_syrkx_herkx_restricted_kernelIifLi16ELi32ELi8ELi1ELi1ELb0ELc78ELc76EKffEviT_PT9_S1_lS3_S1_lPT10_S1_li
    .private_segment_fixed_size: 0
    .sgpr_count:     29
    .sgpr_spill_count: 0
    .symbol:         _ZL37rocblas_syrkx_herkx_restricted_kernelIifLi16ELi32ELi8ELi1ELi1ELb0ELc78ELc76EKffEviT_PT9_S1_lS3_S1_lPT10_S1_li.kd
    .uniform_work_group_size: 1
    .uses_dynamic_stack: false
    .vgpr_count:     28
    .vgpr_spill_count: 0
    .wavefront_size: 64
  - .args:
      - .offset:         0
        .size:           4
        .value_kind:     by_value
      - .offset:         4
        .size:           4
        .value_kind:     by_value
      - .address_space:  global
        .offset:         8
        .size:           8
        .value_kind:     global_buffer
      - .offset:         16
        .size:           4
        .value_kind:     by_value
      - .offset:         24
        .size:           8
        .value_kind:     by_value
      - .address_space:  global
        .offset:         32
        .size:           8
        .value_kind:     global_buffer
      - .offset:         40
        .size:           4
        .value_kind:     by_value
      - .offset:         48
        .size:           8
        .value_kind:     by_value
      - .address_space:  global
        .offset:         56
        .size:           8
        .value_kind:     global_buffer
      - .offset:         64
        .size:           4
        .value_kind:     by_value
      - .offset:         72
        .size:           8
        .value_kind:     by_value
      - .offset:         80
        .size:           4
        .value_kind:     by_value
    .group_segment_fixed_size: 2048
    .kernarg_segment_align: 8
    .kernarg_segment_size: 84
    .language:       OpenCL C
    .language_version:
      - 2
      - 0
    .max_flat_workgroup_size: 256
    .name:           _ZL37rocblas_syrkx_herkx_restricted_kernelIifLi16ELi32ELi8ELi1ELi1ELb0ELc84ELc85EKffEviT_PT9_S1_lS3_S1_lPT10_S1_li
    .private_segment_fixed_size: 0
    .sgpr_count:     26
    .sgpr_spill_count: 0
    .symbol:         _ZL37rocblas_syrkx_herkx_restricted_kernelIifLi16ELi32ELi8ELi1ELi1ELb0ELc84ELc85EKffEviT_PT9_S1_lS3_S1_lPT10_S1_li.kd
    .uniform_work_group_size: 1
    .uses_dynamic_stack: false
    .vgpr_count:     26
    .vgpr_spill_count: 0
    .wavefront_size: 64
  - .args:
      - .offset:         0
        .size:           4
        .value_kind:     by_value
      - .offset:         4
        .size:           4
        .value_kind:     by_value
      - .address_space:  global
        .offset:         8
        .size:           8
        .value_kind:     global_buffer
      - .offset:         16
        .size:           4
        .value_kind:     by_value
      - .offset:         24
        .size:           8
        .value_kind:     by_value
      - .address_space:  global
        .offset:         32
        .size:           8
        .value_kind:     global_buffer
      - .offset:         40
        .size:           4
        .value_kind:     by_value
      - .offset:         48
        .size:           8
        .value_kind:     by_value
      - .address_space:  global
        .offset:         56
        .size:           8
        .value_kind:     global_buffer
      - .offset:         64
        .size:           4
        .value_kind:     by_value
      - .offset:         72
        .size:           8
        .value_kind:     by_value
      - .offset:         80
        .size:           4
        .value_kind:     by_value
    .group_segment_fixed_size: 2048
    .kernarg_segment_align: 8
    .kernarg_segment_size: 84
    .language:       OpenCL C
    .language_version:
      - 2
      - 0
    .max_flat_workgroup_size: 256
    .name:           _ZL37rocblas_syrkx_herkx_restricted_kernelIifLi16ELi32ELi8ELi1ELi1ELb0ELc67ELc85EKffEviT_PT9_S1_lS3_S1_lPT10_S1_li
    .private_segment_fixed_size: 0
    .sgpr_count:     26
    .sgpr_spill_count: 0
    .symbol:         _ZL37rocblas_syrkx_herkx_restricted_kernelIifLi16ELi32ELi8ELi1ELi1ELb0ELc67ELc85EKffEviT_PT9_S1_lS3_S1_lPT10_S1_li.kd
    .uniform_work_group_size: 1
    .uses_dynamic_stack: false
    .vgpr_count:     26
    .vgpr_spill_count: 0
    .wavefront_size: 64
  - .args:
      - .offset:         0
        .size:           4
        .value_kind:     by_value
      - .offset:         4
        .size:           4
        .value_kind:     by_value
      - .address_space:  global
        .offset:         8
        .size:           8
        .value_kind:     global_buffer
      - .offset:         16
        .size:           4
        .value_kind:     by_value
      - .offset:         24
        .size:           8
        .value_kind:     by_value
      - .address_space:  global
        .offset:         32
        .size:           8
        .value_kind:     global_buffer
      - .offset:         40
        .size:           4
        .value_kind:     by_value
      - .offset:         48
        .size:           8
        .value_kind:     by_value
      - .address_space:  global
        .offset:         56
        .size:           8
        .value_kind:     global_buffer
      - .offset:         64
        .size:           4
        .value_kind:     by_value
      - .offset:         72
        .size:           8
        .value_kind:     by_value
      - .offset:         80
        .size:           4
        .value_kind:     by_value
    .group_segment_fixed_size: 2048
    .kernarg_segment_align: 8
    .kernarg_segment_size: 84
    .language:       OpenCL C
    .language_version:
      - 2
      - 0
    .max_flat_workgroup_size: 256
    .name:           _ZL37rocblas_syrkx_herkx_restricted_kernelIifLi16ELi32ELi8ELi1ELi1ELb0ELc78ELc85EKffEviT_PT9_S1_lS3_S1_lPT10_S1_li
    .private_segment_fixed_size: 0
    .sgpr_count:     29
    .sgpr_spill_count: 0
    .symbol:         _ZL37rocblas_syrkx_herkx_restricted_kernelIifLi16ELi32ELi8ELi1ELi1ELb0ELc78ELc85EKffEviT_PT9_S1_lS3_S1_lPT10_S1_li.kd
    .uniform_work_group_size: 1
    .uses_dynamic_stack: false
    .vgpr_count:     28
    .vgpr_spill_count: 0
    .wavefront_size: 64
  - .args:
      - .offset:         0
        .size:           4
        .value_kind:     by_value
      - .offset:         4
        .size:           4
        .value_kind:     by_value
      - .address_space:  global
        .offset:         8
        .size:           8
        .value_kind:     global_buffer
      - .offset:         16
        .size:           4
        .value_kind:     by_value
      - .offset:         24
        .size:           8
        .value_kind:     by_value
      - .address_space:  global
        .offset:         32
        .size:           8
        .value_kind:     global_buffer
      - .offset:         40
        .size:           4
        .value_kind:     by_value
      - .offset:         48
        .size:           8
        .value_kind:     by_value
      - .address_space:  global
        .offset:         56
        .size:           8
        .value_kind:     global_buffer
      - .offset:         64
        .size:           4
        .value_kind:     by_value
      - .offset:         72
        .size:           8
        .value_kind:     by_value
      - .offset:         80
        .size:           4
        .value_kind:     by_value
    .group_segment_fixed_size: 2048
    .kernarg_segment_align: 8
    .kernarg_segment_size: 84
    .language:       OpenCL C
    .language_version:
      - 2
      - 0
    .max_flat_workgroup_size: 256
    .name:           _ZL37rocblas_syrkx_herkx_restricted_kernelIifLi16ELi32ELi8ELi1ELin1ELb0ELc84ELc76EKffEviT_PT9_S1_lS3_S1_lPT10_S1_li
    .private_segment_fixed_size: 0
    .sgpr_count:     26
    .sgpr_spill_count: 0
    .symbol:         _ZL37rocblas_syrkx_herkx_restricted_kernelIifLi16ELi32ELi8ELi1ELin1ELb0ELc84ELc76EKffEviT_PT9_S1_lS3_S1_lPT10_S1_li.kd
    .uniform_work_group_size: 1
    .uses_dynamic_stack: false
    .vgpr_count:     26
    .vgpr_spill_count: 0
    .wavefront_size: 64
  - .args:
      - .offset:         0
        .size:           4
        .value_kind:     by_value
      - .offset:         4
        .size:           4
        .value_kind:     by_value
      - .address_space:  global
        .offset:         8
        .size:           8
        .value_kind:     global_buffer
      - .offset:         16
        .size:           4
        .value_kind:     by_value
      - .offset:         24
        .size:           8
        .value_kind:     by_value
      - .address_space:  global
        .offset:         32
        .size:           8
        .value_kind:     global_buffer
      - .offset:         40
        .size:           4
        .value_kind:     by_value
      - .offset:         48
        .size:           8
        .value_kind:     by_value
      - .address_space:  global
        .offset:         56
        .size:           8
        .value_kind:     global_buffer
      - .offset:         64
        .size:           4
        .value_kind:     by_value
      - .offset:         72
        .size:           8
        .value_kind:     by_value
      - .offset:         80
        .size:           4
        .value_kind:     by_value
    .group_segment_fixed_size: 2048
    .kernarg_segment_align: 8
    .kernarg_segment_size: 84
    .language:       OpenCL C
    .language_version:
      - 2
      - 0
    .max_flat_workgroup_size: 256
    .name:           _ZL37rocblas_syrkx_herkx_restricted_kernelIifLi16ELi32ELi8ELi1ELin1ELb0ELc67ELc76EKffEviT_PT9_S1_lS3_S1_lPT10_S1_li
    .private_segment_fixed_size: 0
    .sgpr_count:     26
    .sgpr_spill_count: 0
    .symbol:         _ZL37rocblas_syrkx_herkx_restricted_kernelIifLi16ELi32ELi8ELi1ELin1ELb0ELc67ELc76EKffEviT_PT9_S1_lS3_S1_lPT10_S1_li.kd
    .uniform_work_group_size: 1
    .uses_dynamic_stack: false
    .vgpr_count:     26
    .vgpr_spill_count: 0
    .wavefront_size: 64
  - .args:
      - .offset:         0
        .size:           4
        .value_kind:     by_value
      - .offset:         4
        .size:           4
        .value_kind:     by_value
      - .address_space:  global
        .offset:         8
        .size:           8
        .value_kind:     global_buffer
      - .offset:         16
        .size:           4
        .value_kind:     by_value
      - .offset:         24
        .size:           8
        .value_kind:     by_value
      - .address_space:  global
        .offset:         32
        .size:           8
        .value_kind:     global_buffer
      - .offset:         40
        .size:           4
        .value_kind:     by_value
      - .offset:         48
        .size:           8
        .value_kind:     by_value
      - .address_space:  global
        .offset:         56
        .size:           8
        .value_kind:     global_buffer
      - .offset:         64
        .size:           4
        .value_kind:     by_value
      - .offset:         72
        .size:           8
        .value_kind:     by_value
      - .offset:         80
        .size:           4
        .value_kind:     by_value
    .group_segment_fixed_size: 2048
    .kernarg_segment_align: 8
    .kernarg_segment_size: 84
    .language:       OpenCL C
    .language_version:
      - 2
      - 0
    .max_flat_workgroup_size: 256
    .name:           _ZL37rocblas_syrkx_herkx_restricted_kernelIifLi16ELi32ELi8ELi1ELin1ELb0ELc78ELc76EKffEviT_PT9_S1_lS3_S1_lPT10_S1_li
    .private_segment_fixed_size: 0
    .sgpr_count:     29
    .sgpr_spill_count: 0
    .symbol:         _ZL37rocblas_syrkx_herkx_restricted_kernelIifLi16ELi32ELi8ELi1ELin1ELb0ELc78ELc76EKffEviT_PT9_S1_lS3_S1_lPT10_S1_li.kd
    .uniform_work_group_size: 1
    .uses_dynamic_stack: false
    .vgpr_count:     28
    .vgpr_spill_count: 0
    .wavefront_size: 64
  - .args:
      - .offset:         0
        .size:           4
        .value_kind:     by_value
      - .offset:         4
        .size:           4
        .value_kind:     by_value
      - .address_space:  global
        .offset:         8
        .size:           8
        .value_kind:     global_buffer
      - .offset:         16
        .size:           4
        .value_kind:     by_value
      - .offset:         24
        .size:           8
        .value_kind:     by_value
      - .address_space:  global
        .offset:         32
        .size:           8
        .value_kind:     global_buffer
      - .offset:         40
        .size:           4
        .value_kind:     by_value
      - .offset:         48
        .size:           8
        .value_kind:     by_value
      - .address_space:  global
        .offset:         56
        .size:           8
        .value_kind:     global_buffer
      - .offset:         64
        .size:           4
        .value_kind:     by_value
      - .offset:         72
        .size:           8
        .value_kind:     by_value
      - .offset:         80
        .size:           4
        .value_kind:     by_value
    .group_segment_fixed_size: 2048
    .kernarg_segment_align: 8
    .kernarg_segment_size: 84
    .language:       OpenCL C
    .language_version:
      - 2
      - 0
    .max_flat_workgroup_size: 256
    .name:           _ZL37rocblas_syrkx_herkx_restricted_kernelIifLi16ELi32ELi8ELi1ELin1ELb0ELc84ELc85EKffEviT_PT9_S1_lS3_S1_lPT10_S1_li
    .private_segment_fixed_size: 0
    .sgpr_count:     26
    .sgpr_spill_count: 0
    .symbol:         _ZL37rocblas_syrkx_herkx_restricted_kernelIifLi16ELi32ELi8ELi1ELin1ELb0ELc84ELc85EKffEviT_PT9_S1_lS3_S1_lPT10_S1_li.kd
    .uniform_work_group_size: 1
    .uses_dynamic_stack: false
    .vgpr_count:     26
    .vgpr_spill_count: 0
    .wavefront_size: 64
  - .args:
      - .offset:         0
        .size:           4
        .value_kind:     by_value
      - .offset:         4
        .size:           4
        .value_kind:     by_value
      - .address_space:  global
        .offset:         8
        .size:           8
        .value_kind:     global_buffer
      - .offset:         16
        .size:           4
        .value_kind:     by_value
      - .offset:         24
        .size:           8
        .value_kind:     by_value
      - .address_space:  global
        .offset:         32
        .size:           8
        .value_kind:     global_buffer
      - .offset:         40
        .size:           4
        .value_kind:     by_value
      - .offset:         48
        .size:           8
        .value_kind:     by_value
      - .address_space:  global
        .offset:         56
        .size:           8
        .value_kind:     global_buffer
      - .offset:         64
        .size:           4
        .value_kind:     by_value
      - .offset:         72
        .size:           8
        .value_kind:     by_value
      - .offset:         80
        .size:           4
        .value_kind:     by_value
    .group_segment_fixed_size: 2048
    .kernarg_segment_align: 8
    .kernarg_segment_size: 84
    .language:       OpenCL C
    .language_version:
      - 2
      - 0
    .max_flat_workgroup_size: 256
    .name:           _ZL37rocblas_syrkx_herkx_restricted_kernelIifLi16ELi32ELi8ELi1ELin1ELb0ELc67ELc85EKffEviT_PT9_S1_lS3_S1_lPT10_S1_li
    .private_segment_fixed_size: 0
    .sgpr_count:     26
    .sgpr_spill_count: 0
    .symbol:         _ZL37rocblas_syrkx_herkx_restricted_kernelIifLi16ELi32ELi8ELi1ELin1ELb0ELc67ELc85EKffEviT_PT9_S1_lS3_S1_lPT10_S1_li.kd
    .uniform_work_group_size: 1
    .uses_dynamic_stack: false
    .vgpr_count:     26
    .vgpr_spill_count: 0
    .wavefront_size: 64
  - .args:
      - .offset:         0
        .size:           4
        .value_kind:     by_value
      - .offset:         4
        .size:           4
        .value_kind:     by_value
      - .address_space:  global
        .offset:         8
        .size:           8
        .value_kind:     global_buffer
      - .offset:         16
        .size:           4
        .value_kind:     by_value
      - .offset:         24
        .size:           8
        .value_kind:     by_value
      - .address_space:  global
        .offset:         32
        .size:           8
        .value_kind:     global_buffer
      - .offset:         40
        .size:           4
        .value_kind:     by_value
      - .offset:         48
        .size:           8
        .value_kind:     by_value
      - .address_space:  global
        .offset:         56
        .size:           8
        .value_kind:     global_buffer
      - .offset:         64
        .size:           4
        .value_kind:     by_value
      - .offset:         72
        .size:           8
        .value_kind:     by_value
      - .offset:         80
        .size:           4
        .value_kind:     by_value
    .group_segment_fixed_size: 2048
    .kernarg_segment_align: 8
    .kernarg_segment_size: 84
    .language:       OpenCL C
    .language_version:
      - 2
      - 0
    .max_flat_workgroup_size: 256
    .name:           _ZL37rocblas_syrkx_herkx_restricted_kernelIifLi16ELi32ELi8ELi1ELin1ELb0ELc78ELc85EKffEviT_PT9_S1_lS3_S1_lPT10_S1_li
    .private_segment_fixed_size: 0
    .sgpr_count:     29
    .sgpr_spill_count: 0
    .symbol:         _ZL37rocblas_syrkx_herkx_restricted_kernelIifLi16ELi32ELi8ELi1ELin1ELb0ELc78ELc85EKffEviT_PT9_S1_lS3_S1_lPT10_S1_li.kd
    .uniform_work_group_size: 1
    .uses_dynamic_stack: false
    .vgpr_count:     28
    .vgpr_spill_count: 0
    .wavefront_size: 64
  - .args:
      - .offset:         0
        .size:           4
        .value_kind:     by_value
      - .offset:         4
        .size:           4
        .value_kind:     by_value
      - .address_space:  global
        .offset:         8
        .size:           8
        .value_kind:     global_buffer
      - .offset:         16
        .size:           4
        .value_kind:     by_value
      - .offset:         24
        .size:           8
        .value_kind:     by_value
      - .address_space:  global
        .offset:         32
        .size:           8
        .value_kind:     global_buffer
      - .offset:         40
        .size:           4
        .value_kind:     by_value
      - .offset:         48
        .size:           8
        .value_kind:     by_value
      - .address_space:  global
        .offset:         56
        .size:           8
        .value_kind:     global_buffer
      - .offset:         64
        .size:           4
        .value_kind:     by_value
      - .offset:         72
        .size:           8
        .value_kind:     by_value
      - .offset:         80
        .size:           4
        .value_kind:     by_value
    .group_segment_fixed_size: 2048
    .kernarg_segment_align: 8
    .kernarg_segment_size: 84
    .language:       OpenCL C
    .language_version:
      - 2
      - 0
    .max_flat_workgroup_size: 256
    .name:           _ZL37rocblas_syrkx_herkx_restricted_kernelIifLi16ELi32ELi8ELi1ELi0ELb0ELc84ELc76EKffEviT_PT9_S1_lS3_S1_lPT10_S1_li
    .private_segment_fixed_size: 0
    .sgpr_count:     26
    .sgpr_spill_count: 0
    .symbol:         _ZL37rocblas_syrkx_herkx_restricted_kernelIifLi16ELi32ELi8ELi1ELi0ELb0ELc84ELc76EKffEviT_PT9_S1_lS3_S1_lPT10_S1_li.kd
    .uniform_work_group_size: 1
    .uses_dynamic_stack: false
    .vgpr_count:     26
    .vgpr_spill_count: 0
    .wavefront_size: 64
  - .args:
      - .offset:         0
        .size:           4
        .value_kind:     by_value
      - .offset:         4
        .size:           4
        .value_kind:     by_value
      - .address_space:  global
        .offset:         8
        .size:           8
        .value_kind:     global_buffer
      - .offset:         16
        .size:           4
        .value_kind:     by_value
      - .offset:         24
        .size:           8
        .value_kind:     by_value
      - .address_space:  global
        .offset:         32
        .size:           8
        .value_kind:     global_buffer
      - .offset:         40
        .size:           4
        .value_kind:     by_value
      - .offset:         48
        .size:           8
        .value_kind:     by_value
      - .address_space:  global
        .offset:         56
        .size:           8
        .value_kind:     global_buffer
      - .offset:         64
        .size:           4
        .value_kind:     by_value
      - .offset:         72
        .size:           8
        .value_kind:     by_value
      - .offset:         80
        .size:           4
        .value_kind:     by_value
    .group_segment_fixed_size: 2048
    .kernarg_segment_align: 8
    .kernarg_segment_size: 84
    .language:       OpenCL C
    .language_version:
      - 2
      - 0
    .max_flat_workgroup_size: 256
    .name:           _ZL37rocblas_syrkx_herkx_restricted_kernelIifLi16ELi32ELi8ELi1ELi0ELb0ELc67ELc76EKffEviT_PT9_S1_lS3_S1_lPT10_S1_li
    .private_segment_fixed_size: 0
    .sgpr_count:     26
    .sgpr_spill_count: 0
    .symbol:         _ZL37rocblas_syrkx_herkx_restricted_kernelIifLi16ELi32ELi8ELi1ELi0ELb0ELc67ELc76EKffEviT_PT9_S1_lS3_S1_lPT10_S1_li.kd
    .uniform_work_group_size: 1
    .uses_dynamic_stack: false
    .vgpr_count:     26
    .vgpr_spill_count: 0
    .wavefront_size: 64
  - .args:
      - .offset:         0
        .size:           4
        .value_kind:     by_value
      - .offset:         4
        .size:           4
        .value_kind:     by_value
      - .address_space:  global
        .offset:         8
        .size:           8
        .value_kind:     global_buffer
      - .offset:         16
        .size:           4
        .value_kind:     by_value
      - .offset:         24
        .size:           8
        .value_kind:     by_value
      - .address_space:  global
        .offset:         32
        .size:           8
        .value_kind:     global_buffer
      - .offset:         40
        .size:           4
        .value_kind:     by_value
      - .offset:         48
        .size:           8
        .value_kind:     by_value
      - .address_space:  global
        .offset:         56
        .size:           8
        .value_kind:     global_buffer
      - .offset:         64
        .size:           4
        .value_kind:     by_value
      - .offset:         72
        .size:           8
        .value_kind:     by_value
      - .offset:         80
        .size:           4
        .value_kind:     by_value
    .group_segment_fixed_size: 2048
    .kernarg_segment_align: 8
    .kernarg_segment_size: 84
    .language:       OpenCL C
    .language_version:
      - 2
      - 0
    .max_flat_workgroup_size: 256
    .name:           _ZL37rocblas_syrkx_herkx_restricted_kernelIifLi16ELi32ELi8ELi1ELi0ELb0ELc78ELc76EKffEviT_PT9_S1_lS3_S1_lPT10_S1_li
    .private_segment_fixed_size: 0
    .sgpr_count:     29
    .sgpr_spill_count: 0
    .symbol:         _ZL37rocblas_syrkx_herkx_restricted_kernelIifLi16ELi32ELi8ELi1ELi0ELb0ELc78ELc76EKffEviT_PT9_S1_lS3_S1_lPT10_S1_li.kd
    .uniform_work_group_size: 1
    .uses_dynamic_stack: false
    .vgpr_count:     28
    .vgpr_spill_count: 0
    .wavefront_size: 64
  - .args:
      - .offset:         0
        .size:           4
        .value_kind:     by_value
      - .offset:         4
        .size:           4
        .value_kind:     by_value
      - .address_space:  global
        .offset:         8
        .size:           8
        .value_kind:     global_buffer
      - .offset:         16
        .size:           4
        .value_kind:     by_value
      - .offset:         24
        .size:           8
        .value_kind:     by_value
      - .address_space:  global
        .offset:         32
        .size:           8
        .value_kind:     global_buffer
      - .offset:         40
        .size:           4
        .value_kind:     by_value
      - .offset:         48
        .size:           8
        .value_kind:     by_value
      - .address_space:  global
        .offset:         56
        .size:           8
        .value_kind:     global_buffer
      - .offset:         64
        .size:           4
        .value_kind:     by_value
      - .offset:         72
        .size:           8
        .value_kind:     by_value
      - .offset:         80
        .size:           4
        .value_kind:     by_value
    .group_segment_fixed_size: 2048
    .kernarg_segment_align: 8
    .kernarg_segment_size: 84
    .language:       OpenCL C
    .language_version:
      - 2
      - 0
    .max_flat_workgroup_size: 256
    .name:           _ZL37rocblas_syrkx_herkx_restricted_kernelIifLi16ELi32ELi8ELi1ELi0ELb0ELc84ELc85EKffEviT_PT9_S1_lS3_S1_lPT10_S1_li
    .private_segment_fixed_size: 0
    .sgpr_count:     26
    .sgpr_spill_count: 0
    .symbol:         _ZL37rocblas_syrkx_herkx_restricted_kernelIifLi16ELi32ELi8ELi1ELi0ELb0ELc84ELc85EKffEviT_PT9_S1_lS3_S1_lPT10_S1_li.kd
    .uniform_work_group_size: 1
    .uses_dynamic_stack: false
    .vgpr_count:     26
    .vgpr_spill_count: 0
    .wavefront_size: 64
  - .args:
      - .offset:         0
        .size:           4
        .value_kind:     by_value
      - .offset:         4
        .size:           4
        .value_kind:     by_value
      - .address_space:  global
        .offset:         8
        .size:           8
        .value_kind:     global_buffer
      - .offset:         16
        .size:           4
        .value_kind:     by_value
      - .offset:         24
        .size:           8
        .value_kind:     by_value
      - .address_space:  global
        .offset:         32
        .size:           8
        .value_kind:     global_buffer
      - .offset:         40
        .size:           4
        .value_kind:     by_value
      - .offset:         48
        .size:           8
        .value_kind:     by_value
      - .address_space:  global
        .offset:         56
        .size:           8
        .value_kind:     global_buffer
      - .offset:         64
        .size:           4
        .value_kind:     by_value
      - .offset:         72
        .size:           8
        .value_kind:     by_value
      - .offset:         80
        .size:           4
        .value_kind:     by_value
    .group_segment_fixed_size: 2048
    .kernarg_segment_align: 8
    .kernarg_segment_size: 84
    .language:       OpenCL C
    .language_version:
      - 2
      - 0
    .max_flat_workgroup_size: 256
    .name:           _ZL37rocblas_syrkx_herkx_restricted_kernelIifLi16ELi32ELi8ELi1ELi0ELb0ELc67ELc85EKffEviT_PT9_S1_lS3_S1_lPT10_S1_li
    .private_segment_fixed_size: 0
    .sgpr_count:     26
    .sgpr_spill_count: 0
    .symbol:         _ZL37rocblas_syrkx_herkx_restricted_kernelIifLi16ELi32ELi8ELi1ELi0ELb0ELc67ELc85EKffEviT_PT9_S1_lS3_S1_lPT10_S1_li.kd
    .uniform_work_group_size: 1
    .uses_dynamic_stack: false
    .vgpr_count:     26
    .vgpr_spill_count: 0
    .wavefront_size: 64
  - .args:
      - .offset:         0
        .size:           4
        .value_kind:     by_value
      - .offset:         4
        .size:           4
        .value_kind:     by_value
      - .address_space:  global
        .offset:         8
        .size:           8
        .value_kind:     global_buffer
      - .offset:         16
        .size:           4
        .value_kind:     by_value
      - .offset:         24
        .size:           8
        .value_kind:     by_value
      - .address_space:  global
        .offset:         32
        .size:           8
        .value_kind:     global_buffer
      - .offset:         40
        .size:           4
        .value_kind:     by_value
      - .offset:         48
        .size:           8
        .value_kind:     by_value
      - .address_space:  global
        .offset:         56
        .size:           8
        .value_kind:     global_buffer
      - .offset:         64
        .size:           4
        .value_kind:     by_value
      - .offset:         72
        .size:           8
        .value_kind:     by_value
      - .offset:         80
        .size:           4
        .value_kind:     by_value
    .group_segment_fixed_size: 2048
    .kernarg_segment_align: 8
    .kernarg_segment_size: 84
    .language:       OpenCL C
    .language_version:
      - 2
      - 0
    .max_flat_workgroup_size: 256
    .name:           _ZL37rocblas_syrkx_herkx_restricted_kernelIifLi16ELi32ELi8ELi1ELi0ELb0ELc78ELc85EKffEviT_PT9_S1_lS3_S1_lPT10_S1_li
    .private_segment_fixed_size: 0
    .sgpr_count:     29
    .sgpr_spill_count: 0
    .symbol:         _ZL37rocblas_syrkx_herkx_restricted_kernelIifLi16ELi32ELi8ELi1ELi0ELb0ELc78ELc85EKffEviT_PT9_S1_lS3_S1_lPT10_S1_li.kd
    .uniform_work_group_size: 1
    .uses_dynamic_stack: false
    .vgpr_count:     28
    .vgpr_spill_count: 0
    .wavefront_size: 64
  - .args:
      - .offset:         0
        .size:           4
        .value_kind:     by_value
      - .offset:         4
        .size:           4
        .value_kind:     by_value
      - .address_space:  global
        .offset:         8
        .size:           8
        .value_kind:     global_buffer
      - .offset:         16
        .size:           4
        .value_kind:     by_value
      - .offset:         24
        .size:           8
        .value_kind:     by_value
      - .address_space:  global
        .offset:         32
        .size:           8
        .value_kind:     global_buffer
      - .offset:         40
        .size:           4
        .value_kind:     by_value
      - .offset:         48
        .size:           8
        .value_kind:     by_value
      - .address_space:  global
        .offset:         56
        .size:           8
        .value_kind:     global_buffer
      - .offset:         64
        .size:           4
        .value_kind:     by_value
      - .offset:         72
        .size:           8
        .value_kind:     by_value
      - .offset:         80
        .size:           4
        .value_kind:     by_value
    .group_segment_fixed_size: 2048
    .kernarg_segment_align: 8
    .kernarg_segment_size: 84
    .language:       OpenCL C
    .language_version:
      - 2
      - 0
    .max_flat_workgroup_size: 256
    .name:           _ZL37rocblas_syrkx_herkx_restricted_kernelIifLi16ELi32ELi8ELin1ELi0ELb0ELc84ELc76EKffEviT_PT9_S1_lS3_S1_lPT10_S1_li
    .private_segment_fixed_size: 0
    .sgpr_count:     26
    .sgpr_spill_count: 0
    .symbol:         _ZL37rocblas_syrkx_herkx_restricted_kernelIifLi16ELi32ELi8ELin1ELi0ELb0ELc84ELc76EKffEviT_PT9_S1_lS3_S1_lPT10_S1_li.kd
    .uniform_work_group_size: 1
    .uses_dynamic_stack: false
    .vgpr_count:     26
    .vgpr_spill_count: 0
    .wavefront_size: 64
  - .args:
      - .offset:         0
        .size:           4
        .value_kind:     by_value
      - .offset:         4
        .size:           4
        .value_kind:     by_value
      - .address_space:  global
        .offset:         8
        .size:           8
        .value_kind:     global_buffer
      - .offset:         16
        .size:           4
        .value_kind:     by_value
      - .offset:         24
        .size:           8
        .value_kind:     by_value
      - .address_space:  global
        .offset:         32
        .size:           8
        .value_kind:     global_buffer
      - .offset:         40
        .size:           4
        .value_kind:     by_value
      - .offset:         48
        .size:           8
        .value_kind:     by_value
      - .address_space:  global
        .offset:         56
        .size:           8
        .value_kind:     global_buffer
      - .offset:         64
        .size:           4
        .value_kind:     by_value
      - .offset:         72
        .size:           8
        .value_kind:     by_value
      - .offset:         80
        .size:           4
        .value_kind:     by_value
    .group_segment_fixed_size: 2048
    .kernarg_segment_align: 8
    .kernarg_segment_size: 84
    .language:       OpenCL C
    .language_version:
      - 2
      - 0
    .max_flat_workgroup_size: 256
    .name:           _ZL37rocblas_syrkx_herkx_restricted_kernelIifLi16ELi32ELi8ELin1ELi0ELb0ELc67ELc76EKffEviT_PT9_S1_lS3_S1_lPT10_S1_li
    .private_segment_fixed_size: 0
    .sgpr_count:     26
    .sgpr_spill_count: 0
    .symbol:         _ZL37rocblas_syrkx_herkx_restricted_kernelIifLi16ELi32ELi8ELin1ELi0ELb0ELc67ELc76EKffEviT_PT9_S1_lS3_S1_lPT10_S1_li.kd
    .uniform_work_group_size: 1
    .uses_dynamic_stack: false
    .vgpr_count:     26
    .vgpr_spill_count: 0
    .wavefront_size: 64
  - .args:
      - .offset:         0
        .size:           4
        .value_kind:     by_value
      - .offset:         4
        .size:           4
        .value_kind:     by_value
      - .address_space:  global
        .offset:         8
        .size:           8
        .value_kind:     global_buffer
      - .offset:         16
        .size:           4
        .value_kind:     by_value
      - .offset:         24
        .size:           8
        .value_kind:     by_value
      - .address_space:  global
        .offset:         32
        .size:           8
        .value_kind:     global_buffer
      - .offset:         40
        .size:           4
        .value_kind:     by_value
      - .offset:         48
        .size:           8
        .value_kind:     by_value
      - .address_space:  global
        .offset:         56
        .size:           8
        .value_kind:     global_buffer
      - .offset:         64
        .size:           4
        .value_kind:     by_value
      - .offset:         72
        .size:           8
        .value_kind:     by_value
      - .offset:         80
        .size:           4
        .value_kind:     by_value
    .group_segment_fixed_size: 2048
    .kernarg_segment_align: 8
    .kernarg_segment_size: 84
    .language:       OpenCL C
    .language_version:
      - 2
      - 0
    .max_flat_workgroup_size: 256
    .name:           _ZL37rocblas_syrkx_herkx_restricted_kernelIifLi16ELi32ELi8ELin1ELi0ELb0ELc78ELc76EKffEviT_PT9_S1_lS3_S1_lPT10_S1_li
    .private_segment_fixed_size: 0
    .sgpr_count:     29
    .sgpr_spill_count: 0
    .symbol:         _ZL37rocblas_syrkx_herkx_restricted_kernelIifLi16ELi32ELi8ELin1ELi0ELb0ELc78ELc76EKffEviT_PT9_S1_lS3_S1_lPT10_S1_li.kd
    .uniform_work_group_size: 1
    .uses_dynamic_stack: false
    .vgpr_count:     28
    .vgpr_spill_count: 0
    .wavefront_size: 64
  - .args:
      - .offset:         0
        .size:           4
        .value_kind:     by_value
      - .offset:         4
        .size:           4
        .value_kind:     by_value
      - .address_space:  global
        .offset:         8
        .size:           8
        .value_kind:     global_buffer
      - .offset:         16
        .size:           4
        .value_kind:     by_value
      - .offset:         24
        .size:           8
        .value_kind:     by_value
      - .address_space:  global
        .offset:         32
        .size:           8
        .value_kind:     global_buffer
      - .offset:         40
        .size:           4
        .value_kind:     by_value
      - .offset:         48
        .size:           8
        .value_kind:     by_value
      - .address_space:  global
        .offset:         56
        .size:           8
        .value_kind:     global_buffer
      - .offset:         64
        .size:           4
        .value_kind:     by_value
      - .offset:         72
        .size:           8
        .value_kind:     by_value
      - .offset:         80
        .size:           4
        .value_kind:     by_value
    .group_segment_fixed_size: 2048
    .kernarg_segment_align: 8
    .kernarg_segment_size: 84
    .language:       OpenCL C
    .language_version:
      - 2
      - 0
    .max_flat_workgroup_size: 256
    .name:           _ZL37rocblas_syrkx_herkx_restricted_kernelIifLi16ELi32ELi8ELin1ELi0ELb0ELc84ELc85EKffEviT_PT9_S1_lS3_S1_lPT10_S1_li
    .private_segment_fixed_size: 0
    .sgpr_count:     26
    .sgpr_spill_count: 0
    .symbol:         _ZL37rocblas_syrkx_herkx_restricted_kernelIifLi16ELi32ELi8ELin1ELi0ELb0ELc84ELc85EKffEviT_PT9_S1_lS3_S1_lPT10_S1_li.kd
    .uniform_work_group_size: 1
    .uses_dynamic_stack: false
    .vgpr_count:     26
    .vgpr_spill_count: 0
    .wavefront_size: 64
  - .args:
      - .offset:         0
        .size:           4
        .value_kind:     by_value
      - .offset:         4
        .size:           4
        .value_kind:     by_value
      - .address_space:  global
        .offset:         8
        .size:           8
        .value_kind:     global_buffer
      - .offset:         16
        .size:           4
        .value_kind:     by_value
      - .offset:         24
        .size:           8
        .value_kind:     by_value
      - .address_space:  global
        .offset:         32
        .size:           8
        .value_kind:     global_buffer
      - .offset:         40
        .size:           4
        .value_kind:     by_value
      - .offset:         48
        .size:           8
        .value_kind:     by_value
      - .address_space:  global
        .offset:         56
        .size:           8
        .value_kind:     global_buffer
      - .offset:         64
        .size:           4
        .value_kind:     by_value
      - .offset:         72
        .size:           8
        .value_kind:     by_value
      - .offset:         80
        .size:           4
        .value_kind:     by_value
    .group_segment_fixed_size: 2048
    .kernarg_segment_align: 8
    .kernarg_segment_size: 84
    .language:       OpenCL C
    .language_version:
      - 2
      - 0
    .max_flat_workgroup_size: 256
    .name:           _ZL37rocblas_syrkx_herkx_restricted_kernelIifLi16ELi32ELi8ELin1ELi0ELb0ELc67ELc85EKffEviT_PT9_S1_lS3_S1_lPT10_S1_li
    .private_segment_fixed_size: 0
    .sgpr_count:     26
    .sgpr_spill_count: 0
    .symbol:         _ZL37rocblas_syrkx_herkx_restricted_kernelIifLi16ELi32ELi8ELin1ELi0ELb0ELc67ELc85EKffEviT_PT9_S1_lS3_S1_lPT10_S1_li.kd
    .uniform_work_group_size: 1
    .uses_dynamic_stack: false
    .vgpr_count:     26
    .vgpr_spill_count: 0
    .wavefront_size: 64
  - .args:
      - .offset:         0
        .size:           4
        .value_kind:     by_value
      - .offset:         4
        .size:           4
        .value_kind:     by_value
      - .address_space:  global
        .offset:         8
        .size:           8
        .value_kind:     global_buffer
      - .offset:         16
        .size:           4
        .value_kind:     by_value
      - .offset:         24
        .size:           8
        .value_kind:     by_value
      - .address_space:  global
        .offset:         32
        .size:           8
        .value_kind:     global_buffer
      - .offset:         40
        .size:           4
        .value_kind:     by_value
      - .offset:         48
        .size:           8
        .value_kind:     by_value
      - .address_space:  global
        .offset:         56
        .size:           8
        .value_kind:     global_buffer
      - .offset:         64
        .size:           4
        .value_kind:     by_value
      - .offset:         72
        .size:           8
        .value_kind:     by_value
      - .offset:         80
        .size:           4
        .value_kind:     by_value
    .group_segment_fixed_size: 2048
    .kernarg_segment_align: 8
    .kernarg_segment_size: 84
    .language:       OpenCL C
    .language_version:
      - 2
      - 0
    .max_flat_workgroup_size: 256
    .name:           _ZL37rocblas_syrkx_herkx_restricted_kernelIifLi16ELi32ELi8ELin1ELi0ELb0ELc78ELc85EKffEviT_PT9_S1_lS3_S1_lPT10_S1_li
    .private_segment_fixed_size: 0
    .sgpr_count:     29
    .sgpr_spill_count: 0
    .symbol:         _ZL37rocblas_syrkx_herkx_restricted_kernelIifLi16ELi32ELi8ELin1ELi0ELb0ELc78ELc85EKffEviT_PT9_S1_lS3_S1_lPT10_S1_li.kd
    .uniform_work_group_size: 1
    .uses_dynamic_stack: false
    .vgpr_count:     28
    .vgpr_spill_count: 0
    .wavefront_size: 64
  - .args:
      - .offset:         0
        .size:           4
        .value_kind:     by_value
      - .offset:         4
        .size:           4
        .value_kind:     by_value
      - .offset:         8
        .size:           4
        .value_kind:     by_value
      - .address_space:  global
        .offset:         16
        .size:           8
        .value_kind:     global_buffer
      - .offset:         24
        .size:           4
        .value_kind:     by_value
      - .offset:         32
        .size:           8
        .value_kind:     by_value
      - .address_space:  global
        .offset:         40
        .size:           8
        .value_kind:     global_buffer
      - .offset:         48
        .size:           4
        .value_kind:     by_value
      - .offset:         56
        .size:           8
        .value_kind:     by_value
      - .offset:         64
        .size:           4
        .value_kind:     by_value
      - .address_space:  global
        .offset:         72
        .size:           8
        .value_kind:     global_buffer
      - .offset:         80
        .size:           4
        .value_kind:     by_value
      - .offset:         88
        .size:           8
        .value_kind:     by_value
      - .offset:         96
        .size:           4
        .value_kind:     by_value
    .group_segment_fixed_size: 2048
    .kernarg_segment_align: 8
    .kernarg_segment_size: 100
    .language:       OpenCL C
    .language_version:
      - 2
      - 0
    .max_flat_workgroup_size: 256
    .name:           _ZL37rocblas_syrkx_herkx_restricted_kernelIifLi16ELi32ELi8ELb1ELb0ELc84ELc76EKffEviT_T0_PT8_S1_lS4_S1_lS2_PT9_S1_li
    .private_segment_fixed_size: 0
    .sgpr_count:     25
    .sgpr_spill_count: 0
    .symbol:         _ZL37rocblas_syrkx_herkx_restricted_kernelIifLi16ELi32ELi8ELb1ELb0ELc84ELc76EKffEviT_T0_PT8_S1_lS4_S1_lS2_PT9_S1_li.kd
    .uniform_work_group_size: 1
    .uses_dynamic_stack: false
    .vgpr_count:     26
    .vgpr_spill_count: 0
    .wavefront_size: 64
  - .args:
      - .offset:         0
        .size:           4
        .value_kind:     by_value
      - .offset:         4
        .size:           4
        .value_kind:     by_value
      - .offset:         8
        .size:           4
        .value_kind:     by_value
      - .address_space:  global
        .offset:         16
        .size:           8
        .value_kind:     global_buffer
      - .offset:         24
        .size:           4
        .value_kind:     by_value
      - .offset:         32
        .size:           8
        .value_kind:     by_value
      - .address_space:  global
        .offset:         40
        .size:           8
        .value_kind:     global_buffer
      - .offset:         48
        .size:           4
        .value_kind:     by_value
      - .offset:         56
        .size:           8
        .value_kind:     by_value
      - .offset:         64
        .size:           4
        .value_kind:     by_value
      - .address_space:  global
        .offset:         72
        .size:           8
        .value_kind:     global_buffer
      - .offset:         80
        .size:           4
        .value_kind:     by_value
      - .offset:         88
        .size:           8
        .value_kind:     by_value
      - .offset:         96
        .size:           4
        .value_kind:     by_value
    .group_segment_fixed_size: 2048
    .kernarg_segment_align: 8
    .kernarg_segment_size: 100
    .language:       OpenCL C
    .language_version:
      - 2
      - 0
    .max_flat_workgroup_size: 256
    .name:           _ZL37rocblas_syrkx_herkx_restricted_kernelIifLi16ELi32ELi8ELb1ELb0ELc67ELc76EKffEviT_T0_PT8_S1_lS4_S1_lS2_PT9_S1_li
    .private_segment_fixed_size: 0
    .sgpr_count:     25
    .sgpr_spill_count: 0
    .symbol:         _ZL37rocblas_syrkx_herkx_restricted_kernelIifLi16ELi32ELi8ELb1ELb0ELc67ELc76EKffEviT_T0_PT8_S1_lS4_S1_lS2_PT9_S1_li.kd
    .uniform_work_group_size: 1
    .uses_dynamic_stack: false
    .vgpr_count:     26
    .vgpr_spill_count: 0
    .wavefront_size: 64
  - .args:
      - .offset:         0
        .size:           4
        .value_kind:     by_value
      - .offset:         4
        .size:           4
        .value_kind:     by_value
      - .offset:         8
        .size:           4
        .value_kind:     by_value
      - .address_space:  global
        .offset:         16
        .size:           8
        .value_kind:     global_buffer
      - .offset:         24
        .size:           4
        .value_kind:     by_value
      - .offset:         32
        .size:           8
        .value_kind:     by_value
      - .address_space:  global
        .offset:         40
        .size:           8
        .value_kind:     global_buffer
      - .offset:         48
        .size:           4
        .value_kind:     by_value
      - .offset:         56
        .size:           8
        .value_kind:     by_value
      - .offset:         64
        .size:           4
        .value_kind:     by_value
      - .address_space:  global
        .offset:         72
        .size:           8
        .value_kind:     global_buffer
      - .offset:         80
        .size:           4
        .value_kind:     by_value
      - .offset:         88
        .size:           8
        .value_kind:     by_value
      - .offset:         96
        .size:           4
        .value_kind:     by_value
    .group_segment_fixed_size: 2048
    .kernarg_segment_align: 8
    .kernarg_segment_size: 100
    .language:       OpenCL C
    .language_version:
      - 2
      - 0
    .max_flat_workgroup_size: 256
    .name:           _ZL37rocblas_syrkx_herkx_restricted_kernelIifLi16ELi32ELi8ELb1ELb0ELc78ELc76EKffEviT_T0_PT8_S1_lS4_S1_lS2_PT9_S1_li
    .private_segment_fixed_size: 0
    .sgpr_count:     28
    .sgpr_spill_count: 0
    .symbol:         _ZL37rocblas_syrkx_herkx_restricted_kernelIifLi16ELi32ELi8ELb1ELb0ELc78ELc76EKffEviT_T0_PT8_S1_lS4_S1_lS2_PT9_S1_li.kd
    .uniform_work_group_size: 1
    .uses_dynamic_stack: false
    .vgpr_count:     28
    .vgpr_spill_count: 0
    .wavefront_size: 64
  - .args:
      - .offset:         0
        .size:           4
        .value_kind:     by_value
      - .offset:         4
        .size:           4
        .value_kind:     by_value
      - .offset:         8
        .size:           4
        .value_kind:     by_value
      - .address_space:  global
        .offset:         16
        .size:           8
        .value_kind:     global_buffer
      - .offset:         24
        .size:           4
        .value_kind:     by_value
      - .offset:         32
        .size:           8
        .value_kind:     by_value
      - .address_space:  global
        .offset:         40
        .size:           8
        .value_kind:     global_buffer
      - .offset:         48
        .size:           4
        .value_kind:     by_value
      - .offset:         56
        .size:           8
        .value_kind:     by_value
      - .offset:         64
        .size:           4
        .value_kind:     by_value
      - .address_space:  global
        .offset:         72
        .size:           8
        .value_kind:     global_buffer
      - .offset:         80
        .size:           4
        .value_kind:     by_value
      - .offset:         88
        .size:           8
        .value_kind:     by_value
      - .offset:         96
        .size:           4
        .value_kind:     by_value
    .group_segment_fixed_size: 2048
    .kernarg_segment_align: 8
    .kernarg_segment_size: 100
    .language:       OpenCL C
    .language_version:
      - 2
      - 0
    .max_flat_workgroup_size: 256
    .name:           _ZL37rocblas_syrkx_herkx_restricted_kernelIifLi16ELi32ELi8ELb1ELb0ELc84ELc85EKffEviT_T0_PT8_S1_lS4_S1_lS2_PT9_S1_li
    .private_segment_fixed_size: 0
    .sgpr_count:     25
    .sgpr_spill_count: 0
    .symbol:         _ZL37rocblas_syrkx_herkx_restricted_kernelIifLi16ELi32ELi8ELb1ELb0ELc84ELc85EKffEviT_T0_PT8_S1_lS4_S1_lS2_PT9_S1_li.kd
    .uniform_work_group_size: 1
    .uses_dynamic_stack: false
    .vgpr_count:     26
    .vgpr_spill_count: 0
    .wavefront_size: 64
  - .args:
      - .offset:         0
        .size:           4
        .value_kind:     by_value
      - .offset:         4
        .size:           4
        .value_kind:     by_value
      - .offset:         8
        .size:           4
        .value_kind:     by_value
      - .address_space:  global
        .offset:         16
        .size:           8
        .value_kind:     global_buffer
      - .offset:         24
        .size:           4
        .value_kind:     by_value
      - .offset:         32
        .size:           8
        .value_kind:     by_value
      - .address_space:  global
        .offset:         40
        .size:           8
        .value_kind:     global_buffer
      - .offset:         48
        .size:           4
        .value_kind:     by_value
      - .offset:         56
        .size:           8
        .value_kind:     by_value
      - .offset:         64
        .size:           4
        .value_kind:     by_value
      - .address_space:  global
        .offset:         72
        .size:           8
        .value_kind:     global_buffer
      - .offset:         80
        .size:           4
        .value_kind:     by_value
      - .offset:         88
        .size:           8
        .value_kind:     by_value
      - .offset:         96
        .size:           4
        .value_kind:     by_value
    .group_segment_fixed_size: 2048
    .kernarg_segment_align: 8
    .kernarg_segment_size: 100
    .language:       OpenCL C
    .language_version:
      - 2
      - 0
    .max_flat_workgroup_size: 256
    .name:           _ZL37rocblas_syrkx_herkx_restricted_kernelIifLi16ELi32ELi8ELb1ELb0ELc67ELc85EKffEviT_T0_PT8_S1_lS4_S1_lS2_PT9_S1_li
    .private_segment_fixed_size: 0
    .sgpr_count:     25
    .sgpr_spill_count: 0
    .symbol:         _ZL37rocblas_syrkx_herkx_restricted_kernelIifLi16ELi32ELi8ELb1ELb0ELc67ELc85EKffEviT_T0_PT8_S1_lS4_S1_lS2_PT9_S1_li.kd
    .uniform_work_group_size: 1
    .uses_dynamic_stack: false
    .vgpr_count:     26
    .vgpr_spill_count: 0
    .wavefront_size: 64
  - .args:
      - .offset:         0
        .size:           4
        .value_kind:     by_value
      - .offset:         4
        .size:           4
        .value_kind:     by_value
      - .offset:         8
        .size:           4
        .value_kind:     by_value
      - .address_space:  global
        .offset:         16
        .size:           8
        .value_kind:     global_buffer
      - .offset:         24
        .size:           4
        .value_kind:     by_value
      - .offset:         32
        .size:           8
        .value_kind:     by_value
      - .address_space:  global
        .offset:         40
        .size:           8
        .value_kind:     global_buffer
      - .offset:         48
        .size:           4
        .value_kind:     by_value
      - .offset:         56
        .size:           8
        .value_kind:     by_value
      - .offset:         64
        .size:           4
        .value_kind:     by_value
      - .address_space:  global
        .offset:         72
        .size:           8
        .value_kind:     global_buffer
      - .offset:         80
        .size:           4
        .value_kind:     by_value
      - .offset:         88
        .size:           8
        .value_kind:     by_value
      - .offset:         96
        .size:           4
        .value_kind:     by_value
    .group_segment_fixed_size: 2048
    .kernarg_segment_align: 8
    .kernarg_segment_size: 100
    .language:       OpenCL C
    .language_version:
      - 2
      - 0
    .max_flat_workgroup_size: 256
    .name:           _ZL37rocblas_syrkx_herkx_restricted_kernelIifLi16ELi32ELi8ELb1ELb0ELc78ELc85EKffEviT_T0_PT8_S1_lS4_S1_lS2_PT9_S1_li
    .private_segment_fixed_size: 0
    .sgpr_count:     28
    .sgpr_spill_count: 0
    .symbol:         _ZL37rocblas_syrkx_herkx_restricted_kernelIifLi16ELi32ELi8ELb1ELb0ELc78ELc85EKffEviT_T0_PT8_S1_lS4_S1_lS2_PT9_S1_li.kd
    .uniform_work_group_size: 1
    .uses_dynamic_stack: false
    .vgpr_count:     28
    .vgpr_spill_count: 0
    .wavefront_size: 64
  - .args:
      - .offset:         0
        .size:           4
        .value_kind:     by_value
      - .offset:         4
        .size:           4
        .value_kind:     by_value
      - .offset:         8
        .size:           4
        .value_kind:     by_value
      - .address_space:  global
        .offset:         16
        .size:           8
        .value_kind:     global_buffer
      - .offset:         24
        .size:           4
        .value_kind:     by_value
      - .offset:         32
        .size:           8
        .value_kind:     by_value
      - .address_space:  global
        .offset:         40
        .size:           8
        .value_kind:     global_buffer
      - .offset:         48
        .size:           4
        .value_kind:     by_value
      - .offset:         56
        .size:           8
        .value_kind:     by_value
      - .offset:         64
        .size:           4
        .value_kind:     by_value
      - .address_space:  global
        .offset:         72
        .size:           8
        .value_kind:     global_buffer
      - .offset:         80
        .size:           4
        .value_kind:     by_value
      - .offset:         88
        .size:           8
        .value_kind:     by_value
      - .offset:         96
        .size:           4
        .value_kind:     by_value
    .group_segment_fixed_size: 2048
    .kernarg_segment_align: 8
    .kernarg_segment_size: 100
    .language:       OpenCL C
    .language_version:
      - 2
      - 0
    .max_flat_workgroup_size: 256
    .name:           _ZL37rocblas_syrkx_herkx_restricted_kernelIifLi16ELi32ELi8ELb0ELb0ELc84ELc76EKffEviT_T0_PT8_S1_lS4_S1_lS2_PT9_S1_li
    .private_segment_fixed_size: 0
    .sgpr_count:     25
    .sgpr_spill_count: 0
    .symbol:         _ZL37rocblas_syrkx_herkx_restricted_kernelIifLi16ELi32ELi8ELb0ELb0ELc84ELc76EKffEviT_T0_PT8_S1_lS4_S1_lS2_PT9_S1_li.kd
    .uniform_work_group_size: 1
    .uses_dynamic_stack: false
    .vgpr_count:     26
    .vgpr_spill_count: 0
    .wavefront_size: 64
  - .args:
      - .offset:         0
        .size:           4
        .value_kind:     by_value
      - .offset:         4
        .size:           4
        .value_kind:     by_value
      - .offset:         8
        .size:           4
        .value_kind:     by_value
      - .address_space:  global
        .offset:         16
        .size:           8
        .value_kind:     global_buffer
      - .offset:         24
        .size:           4
        .value_kind:     by_value
      - .offset:         32
        .size:           8
        .value_kind:     by_value
      - .address_space:  global
        .offset:         40
        .size:           8
        .value_kind:     global_buffer
      - .offset:         48
        .size:           4
        .value_kind:     by_value
      - .offset:         56
        .size:           8
        .value_kind:     by_value
      - .offset:         64
        .size:           4
        .value_kind:     by_value
      - .address_space:  global
        .offset:         72
        .size:           8
        .value_kind:     global_buffer
      - .offset:         80
        .size:           4
        .value_kind:     by_value
      - .offset:         88
        .size:           8
        .value_kind:     by_value
      - .offset:         96
        .size:           4
        .value_kind:     by_value
    .group_segment_fixed_size: 2048
    .kernarg_segment_align: 8
    .kernarg_segment_size: 100
    .language:       OpenCL C
    .language_version:
      - 2
      - 0
    .max_flat_workgroup_size: 256
    .name:           _ZL37rocblas_syrkx_herkx_restricted_kernelIifLi16ELi32ELi8ELb0ELb0ELc67ELc76EKffEviT_T0_PT8_S1_lS4_S1_lS2_PT9_S1_li
    .private_segment_fixed_size: 0
    .sgpr_count:     25
    .sgpr_spill_count: 0
    .symbol:         _ZL37rocblas_syrkx_herkx_restricted_kernelIifLi16ELi32ELi8ELb0ELb0ELc67ELc76EKffEviT_T0_PT8_S1_lS4_S1_lS2_PT9_S1_li.kd
    .uniform_work_group_size: 1
    .uses_dynamic_stack: false
    .vgpr_count:     26
    .vgpr_spill_count: 0
    .wavefront_size: 64
  - .args:
      - .offset:         0
        .size:           4
        .value_kind:     by_value
      - .offset:         4
        .size:           4
        .value_kind:     by_value
      - .offset:         8
        .size:           4
        .value_kind:     by_value
      - .address_space:  global
        .offset:         16
        .size:           8
        .value_kind:     global_buffer
      - .offset:         24
        .size:           4
        .value_kind:     by_value
      - .offset:         32
        .size:           8
        .value_kind:     by_value
      - .address_space:  global
        .offset:         40
        .size:           8
        .value_kind:     global_buffer
      - .offset:         48
        .size:           4
        .value_kind:     by_value
      - .offset:         56
        .size:           8
        .value_kind:     by_value
      - .offset:         64
        .size:           4
        .value_kind:     by_value
      - .address_space:  global
        .offset:         72
        .size:           8
        .value_kind:     global_buffer
      - .offset:         80
        .size:           4
        .value_kind:     by_value
      - .offset:         88
        .size:           8
        .value_kind:     by_value
      - .offset:         96
        .size:           4
        .value_kind:     by_value
    .group_segment_fixed_size: 2048
    .kernarg_segment_align: 8
    .kernarg_segment_size: 100
    .language:       OpenCL C
    .language_version:
      - 2
      - 0
    .max_flat_workgroup_size: 256
    .name:           _ZL37rocblas_syrkx_herkx_restricted_kernelIifLi16ELi32ELi8ELb0ELb0ELc78ELc76EKffEviT_T0_PT8_S1_lS4_S1_lS2_PT9_S1_li
    .private_segment_fixed_size: 0
    .sgpr_count:     28
    .sgpr_spill_count: 0
    .symbol:         _ZL37rocblas_syrkx_herkx_restricted_kernelIifLi16ELi32ELi8ELb0ELb0ELc78ELc76EKffEviT_T0_PT8_S1_lS4_S1_lS2_PT9_S1_li.kd
    .uniform_work_group_size: 1
    .uses_dynamic_stack: false
    .vgpr_count:     28
    .vgpr_spill_count: 0
    .wavefront_size: 64
  - .args:
      - .offset:         0
        .size:           4
        .value_kind:     by_value
      - .offset:         4
        .size:           4
        .value_kind:     by_value
      - .offset:         8
        .size:           4
        .value_kind:     by_value
      - .address_space:  global
        .offset:         16
        .size:           8
        .value_kind:     global_buffer
      - .offset:         24
        .size:           4
        .value_kind:     by_value
      - .offset:         32
        .size:           8
        .value_kind:     by_value
      - .address_space:  global
        .offset:         40
        .size:           8
        .value_kind:     global_buffer
      - .offset:         48
        .size:           4
        .value_kind:     by_value
      - .offset:         56
        .size:           8
        .value_kind:     by_value
      - .offset:         64
        .size:           4
        .value_kind:     by_value
      - .address_space:  global
        .offset:         72
        .size:           8
        .value_kind:     global_buffer
      - .offset:         80
        .size:           4
        .value_kind:     by_value
      - .offset:         88
        .size:           8
        .value_kind:     by_value
      - .offset:         96
        .size:           4
        .value_kind:     by_value
    .group_segment_fixed_size: 2048
    .kernarg_segment_align: 8
    .kernarg_segment_size: 100
    .language:       OpenCL C
    .language_version:
      - 2
      - 0
    .max_flat_workgroup_size: 256
    .name:           _ZL37rocblas_syrkx_herkx_restricted_kernelIifLi16ELi32ELi8ELb0ELb0ELc84ELc85EKffEviT_T0_PT8_S1_lS4_S1_lS2_PT9_S1_li
    .private_segment_fixed_size: 0
    .sgpr_count:     25
    .sgpr_spill_count: 0
    .symbol:         _ZL37rocblas_syrkx_herkx_restricted_kernelIifLi16ELi32ELi8ELb0ELb0ELc84ELc85EKffEviT_T0_PT8_S1_lS4_S1_lS2_PT9_S1_li.kd
    .uniform_work_group_size: 1
    .uses_dynamic_stack: false
    .vgpr_count:     26
    .vgpr_spill_count: 0
    .wavefront_size: 64
  - .args:
      - .offset:         0
        .size:           4
        .value_kind:     by_value
      - .offset:         4
        .size:           4
        .value_kind:     by_value
      - .offset:         8
        .size:           4
        .value_kind:     by_value
      - .address_space:  global
        .offset:         16
        .size:           8
        .value_kind:     global_buffer
      - .offset:         24
        .size:           4
        .value_kind:     by_value
      - .offset:         32
        .size:           8
        .value_kind:     by_value
      - .address_space:  global
        .offset:         40
        .size:           8
        .value_kind:     global_buffer
      - .offset:         48
        .size:           4
        .value_kind:     by_value
      - .offset:         56
        .size:           8
        .value_kind:     by_value
      - .offset:         64
        .size:           4
        .value_kind:     by_value
      - .address_space:  global
        .offset:         72
        .size:           8
        .value_kind:     global_buffer
      - .offset:         80
        .size:           4
        .value_kind:     by_value
      - .offset:         88
        .size:           8
        .value_kind:     by_value
      - .offset:         96
        .size:           4
        .value_kind:     by_value
    .group_segment_fixed_size: 2048
    .kernarg_segment_align: 8
    .kernarg_segment_size: 100
    .language:       OpenCL C
    .language_version:
      - 2
      - 0
    .max_flat_workgroup_size: 256
    .name:           _ZL37rocblas_syrkx_herkx_restricted_kernelIifLi16ELi32ELi8ELb0ELb0ELc67ELc85EKffEviT_T0_PT8_S1_lS4_S1_lS2_PT9_S1_li
    .private_segment_fixed_size: 0
    .sgpr_count:     25
    .sgpr_spill_count: 0
    .symbol:         _ZL37rocblas_syrkx_herkx_restricted_kernelIifLi16ELi32ELi8ELb0ELb0ELc67ELc85EKffEviT_T0_PT8_S1_lS4_S1_lS2_PT9_S1_li.kd
    .uniform_work_group_size: 1
    .uses_dynamic_stack: false
    .vgpr_count:     26
    .vgpr_spill_count: 0
    .wavefront_size: 64
  - .args:
      - .offset:         0
        .size:           4
        .value_kind:     by_value
      - .offset:         4
        .size:           4
        .value_kind:     by_value
      - .offset:         8
        .size:           4
        .value_kind:     by_value
      - .address_space:  global
        .offset:         16
        .size:           8
        .value_kind:     global_buffer
      - .offset:         24
        .size:           4
        .value_kind:     by_value
      - .offset:         32
        .size:           8
        .value_kind:     by_value
      - .address_space:  global
        .offset:         40
        .size:           8
        .value_kind:     global_buffer
      - .offset:         48
        .size:           4
        .value_kind:     by_value
      - .offset:         56
        .size:           8
        .value_kind:     by_value
      - .offset:         64
        .size:           4
        .value_kind:     by_value
      - .address_space:  global
        .offset:         72
        .size:           8
        .value_kind:     global_buffer
      - .offset:         80
        .size:           4
        .value_kind:     by_value
      - .offset:         88
        .size:           8
        .value_kind:     by_value
      - .offset:         96
        .size:           4
        .value_kind:     by_value
    .group_segment_fixed_size: 2048
    .kernarg_segment_align: 8
    .kernarg_segment_size: 100
    .language:       OpenCL C
    .language_version:
      - 2
      - 0
    .max_flat_workgroup_size: 256
    .name:           _ZL37rocblas_syrkx_herkx_restricted_kernelIifLi16ELi32ELi8ELb0ELb0ELc78ELc85EKffEviT_T0_PT8_S1_lS4_S1_lS2_PT9_S1_li
    .private_segment_fixed_size: 0
    .sgpr_count:     28
    .sgpr_spill_count: 0
    .symbol:         _ZL37rocblas_syrkx_herkx_restricted_kernelIifLi16ELi32ELi8ELb0ELb0ELc78ELc85EKffEviT_T0_PT8_S1_lS4_S1_lS2_PT9_S1_li.kd
    .uniform_work_group_size: 1
    .uses_dynamic_stack: false
    .vgpr_count:     28
    .vgpr_spill_count: 0
    .wavefront_size: 64
  - .args:
      - .offset:         0
        .size:           4
        .value_kind:     by_value
      - .offset:         4
        .size:           4
        .value_kind:     by_value
      - .offset:         8
        .size:           4
        .value_kind:     by_value
      - .address_space:  global
        .offset:         16
        .size:           8
        .value_kind:     global_buffer
      - .offset:         24
        .size:           4
        .value_kind:     by_value
      - .offset:         32
        .size:           8
        .value_kind:     by_value
      - .address_space:  global
        .offset:         40
        .size:           8
        .value_kind:     global_buffer
      - .offset:         48
        .size:           4
        .value_kind:     by_value
      - .offset:         56
        .size:           8
        .value_kind:     by_value
      - .offset:         64
        .size:           4
        .value_kind:     by_value
      - .address_space:  global
        .offset:         72
        .size:           8
        .value_kind:     global_buffer
      - .offset:         80
        .size:           4
        .value_kind:     by_value
      - .offset:         88
        .size:           8
        .value_kind:     by_value
      - .offset:         96
        .size:           4
        .value_kind:     by_value
    .group_segment_fixed_size: 2048
    .kernarg_segment_align: 8
    .kernarg_segment_size: 100
    .language:       OpenCL C
    .language_version:
      - 2
      - 0
    .max_flat_workgroup_size: 256
    .name:           _ZL41rocblas_syrkx_herkx_small_restrict_kernelIifLi16ELb1ELb0ELc84ELc76EKffEviT_T0_PT6_S1_lS4_S1_lS2_PT7_S1_li
    .private_segment_fixed_size: 0
    .sgpr_count:     22
    .sgpr_spill_count: 0
    .symbol:         _ZL41rocblas_syrkx_herkx_small_restrict_kernelIifLi16ELb1ELb0ELc84ELc76EKffEviT_T0_PT6_S1_lS4_S1_lS2_PT7_S1_li.kd
    .uniform_work_group_size: 1
    .uses_dynamic_stack: false
    .vgpr_count:     21
    .vgpr_spill_count: 0
    .wavefront_size: 64
  - .args:
      - .offset:         0
        .size:           4
        .value_kind:     by_value
      - .offset:         4
        .size:           4
        .value_kind:     by_value
      - .offset:         8
        .size:           4
        .value_kind:     by_value
      - .address_space:  global
        .offset:         16
        .size:           8
        .value_kind:     global_buffer
      - .offset:         24
        .size:           4
        .value_kind:     by_value
      - .offset:         32
        .size:           8
        .value_kind:     by_value
      - .address_space:  global
        .offset:         40
        .size:           8
        .value_kind:     global_buffer
      - .offset:         48
        .size:           4
        .value_kind:     by_value
      - .offset:         56
        .size:           8
        .value_kind:     by_value
      - .offset:         64
        .size:           4
        .value_kind:     by_value
      - .address_space:  global
        .offset:         72
        .size:           8
        .value_kind:     global_buffer
      - .offset:         80
        .size:           4
        .value_kind:     by_value
      - .offset:         88
        .size:           8
        .value_kind:     by_value
      - .offset:         96
        .size:           4
        .value_kind:     by_value
    .group_segment_fixed_size: 2048
    .kernarg_segment_align: 8
    .kernarg_segment_size: 100
    .language:       OpenCL C
    .language_version:
      - 2
      - 0
    .max_flat_workgroup_size: 256
    .name:           _ZL41rocblas_syrkx_herkx_small_restrict_kernelIifLi16ELb1ELb0ELc67ELc76EKffEviT_T0_PT6_S1_lS4_S1_lS2_PT7_S1_li
    .private_segment_fixed_size: 0
    .sgpr_count:     22
    .sgpr_spill_count: 0
    .symbol:         _ZL41rocblas_syrkx_herkx_small_restrict_kernelIifLi16ELb1ELb0ELc67ELc76EKffEviT_T0_PT6_S1_lS4_S1_lS2_PT7_S1_li.kd
    .uniform_work_group_size: 1
    .uses_dynamic_stack: false
    .vgpr_count:     21
    .vgpr_spill_count: 0
    .wavefront_size: 64
  - .args:
      - .offset:         0
        .size:           4
        .value_kind:     by_value
      - .offset:         4
        .size:           4
        .value_kind:     by_value
      - .offset:         8
        .size:           4
        .value_kind:     by_value
      - .address_space:  global
        .offset:         16
        .size:           8
        .value_kind:     global_buffer
      - .offset:         24
        .size:           4
        .value_kind:     by_value
      - .offset:         32
        .size:           8
        .value_kind:     by_value
      - .address_space:  global
        .offset:         40
        .size:           8
        .value_kind:     global_buffer
      - .offset:         48
        .size:           4
        .value_kind:     by_value
      - .offset:         56
        .size:           8
        .value_kind:     by_value
      - .offset:         64
        .size:           4
        .value_kind:     by_value
      - .address_space:  global
        .offset:         72
        .size:           8
        .value_kind:     global_buffer
      - .offset:         80
        .size:           4
        .value_kind:     by_value
      - .offset:         88
        .size:           8
        .value_kind:     by_value
      - .offset:         96
        .size:           4
        .value_kind:     by_value
    .group_segment_fixed_size: 2048
    .kernarg_segment_align: 8
    .kernarg_segment_size: 100
    .language:       OpenCL C
    .language_version:
      - 2
      - 0
    .max_flat_workgroup_size: 256
    .name:           _ZL41rocblas_syrkx_herkx_small_restrict_kernelIifLi16ELb1ELb0ELc78ELc76EKffEviT_T0_PT6_S1_lS4_S1_lS2_PT7_S1_li
    .private_segment_fixed_size: 0
    .sgpr_count:     25
    .sgpr_spill_count: 0
    .symbol:         _ZL41rocblas_syrkx_herkx_small_restrict_kernelIifLi16ELb1ELb0ELc78ELc76EKffEviT_T0_PT6_S1_lS4_S1_lS2_PT7_S1_li.kd
    .uniform_work_group_size: 1
    .uses_dynamic_stack: false
    .vgpr_count:     23
    .vgpr_spill_count: 0
    .wavefront_size: 64
  - .args:
      - .offset:         0
        .size:           4
        .value_kind:     by_value
      - .offset:         4
        .size:           4
        .value_kind:     by_value
      - .offset:         8
        .size:           4
        .value_kind:     by_value
      - .address_space:  global
        .offset:         16
        .size:           8
        .value_kind:     global_buffer
      - .offset:         24
        .size:           4
        .value_kind:     by_value
      - .offset:         32
        .size:           8
        .value_kind:     by_value
      - .address_space:  global
        .offset:         40
        .size:           8
        .value_kind:     global_buffer
      - .offset:         48
        .size:           4
        .value_kind:     by_value
      - .offset:         56
        .size:           8
        .value_kind:     by_value
      - .offset:         64
        .size:           4
        .value_kind:     by_value
      - .address_space:  global
        .offset:         72
        .size:           8
        .value_kind:     global_buffer
      - .offset:         80
        .size:           4
        .value_kind:     by_value
      - .offset:         88
        .size:           8
        .value_kind:     by_value
      - .offset:         96
        .size:           4
        .value_kind:     by_value
    .group_segment_fixed_size: 2048
    .kernarg_segment_align: 8
    .kernarg_segment_size: 100
    .language:       OpenCL C
    .language_version:
      - 2
      - 0
    .max_flat_workgroup_size: 256
    .name:           _ZL41rocblas_syrkx_herkx_small_restrict_kernelIifLi16ELb1ELb0ELc84ELc85EKffEviT_T0_PT6_S1_lS4_S1_lS2_PT7_S1_li
    .private_segment_fixed_size: 0
    .sgpr_count:     22
    .sgpr_spill_count: 0
    .symbol:         _ZL41rocblas_syrkx_herkx_small_restrict_kernelIifLi16ELb1ELb0ELc84ELc85EKffEviT_T0_PT6_S1_lS4_S1_lS2_PT7_S1_li.kd
    .uniform_work_group_size: 1
    .uses_dynamic_stack: false
    .vgpr_count:     21
    .vgpr_spill_count: 0
    .wavefront_size: 64
  - .args:
      - .offset:         0
        .size:           4
        .value_kind:     by_value
      - .offset:         4
        .size:           4
        .value_kind:     by_value
      - .offset:         8
        .size:           4
        .value_kind:     by_value
      - .address_space:  global
        .offset:         16
        .size:           8
        .value_kind:     global_buffer
      - .offset:         24
        .size:           4
        .value_kind:     by_value
      - .offset:         32
        .size:           8
        .value_kind:     by_value
      - .address_space:  global
        .offset:         40
        .size:           8
        .value_kind:     global_buffer
      - .offset:         48
        .size:           4
        .value_kind:     by_value
      - .offset:         56
        .size:           8
        .value_kind:     by_value
      - .offset:         64
        .size:           4
        .value_kind:     by_value
      - .address_space:  global
        .offset:         72
        .size:           8
        .value_kind:     global_buffer
      - .offset:         80
        .size:           4
        .value_kind:     by_value
      - .offset:         88
        .size:           8
        .value_kind:     by_value
      - .offset:         96
        .size:           4
        .value_kind:     by_value
    .group_segment_fixed_size: 2048
    .kernarg_segment_align: 8
    .kernarg_segment_size: 100
    .language:       OpenCL C
    .language_version:
      - 2
      - 0
    .max_flat_workgroup_size: 256
    .name:           _ZL41rocblas_syrkx_herkx_small_restrict_kernelIifLi16ELb1ELb0ELc67ELc85EKffEviT_T0_PT6_S1_lS4_S1_lS2_PT7_S1_li
    .private_segment_fixed_size: 0
    .sgpr_count:     22
    .sgpr_spill_count: 0
    .symbol:         _ZL41rocblas_syrkx_herkx_small_restrict_kernelIifLi16ELb1ELb0ELc67ELc85EKffEviT_T0_PT6_S1_lS4_S1_lS2_PT7_S1_li.kd
    .uniform_work_group_size: 1
    .uses_dynamic_stack: false
    .vgpr_count:     21
    .vgpr_spill_count: 0
    .wavefront_size: 64
  - .args:
      - .offset:         0
        .size:           4
        .value_kind:     by_value
      - .offset:         4
        .size:           4
        .value_kind:     by_value
      - .offset:         8
        .size:           4
        .value_kind:     by_value
      - .address_space:  global
        .offset:         16
        .size:           8
        .value_kind:     global_buffer
      - .offset:         24
        .size:           4
        .value_kind:     by_value
      - .offset:         32
        .size:           8
        .value_kind:     by_value
      - .address_space:  global
        .offset:         40
        .size:           8
        .value_kind:     global_buffer
      - .offset:         48
        .size:           4
        .value_kind:     by_value
      - .offset:         56
        .size:           8
        .value_kind:     by_value
      - .offset:         64
        .size:           4
        .value_kind:     by_value
      - .address_space:  global
        .offset:         72
        .size:           8
        .value_kind:     global_buffer
      - .offset:         80
        .size:           4
        .value_kind:     by_value
      - .offset:         88
        .size:           8
        .value_kind:     by_value
      - .offset:         96
        .size:           4
        .value_kind:     by_value
    .group_segment_fixed_size: 2048
    .kernarg_segment_align: 8
    .kernarg_segment_size: 100
    .language:       OpenCL C
    .language_version:
      - 2
      - 0
    .max_flat_workgroup_size: 256
    .name:           _ZL41rocblas_syrkx_herkx_small_restrict_kernelIifLi16ELb1ELb0ELc78ELc85EKffEviT_T0_PT6_S1_lS4_S1_lS2_PT7_S1_li
    .private_segment_fixed_size: 0
    .sgpr_count:     25
    .sgpr_spill_count: 0
    .symbol:         _ZL41rocblas_syrkx_herkx_small_restrict_kernelIifLi16ELb1ELb0ELc78ELc85EKffEviT_T0_PT6_S1_lS4_S1_lS2_PT7_S1_li.kd
    .uniform_work_group_size: 1
    .uses_dynamic_stack: false
    .vgpr_count:     23
    .vgpr_spill_count: 0
    .wavefront_size: 64
  - .args:
      - .offset:         0
        .size:           4
        .value_kind:     by_value
      - .offset:         4
        .size:           4
        .value_kind:     by_value
      - .offset:         8
        .size:           4
        .value_kind:     by_value
      - .address_space:  global
        .offset:         16
        .size:           8
        .value_kind:     global_buffer
      - .offset:         24
        .size:           4
        .value_kind:     by_value
      - .offset:         32
        .size:           8
        .value_kind:     by_value
      - .address_space:  global
        .offset:         40
        .size:           8
        .value_kind:     global_buffer
      - .offset:         48
        .size:           4
        .value_kind:     by_value
      - .offset:         56
        .size:           8
        .value_kind:     by_value
      - .offset:         64
        .size:           4
        .value_kind:     by_value
      - .address_space:  global
        .offset:         72
        .size:           8
        .value_kind:     global_buffer
      - .offset:         80
        .size:           4
        .value_kind:     by_value
      - .offset:         88
        .size:           8
        .value_kind:     by_value
      - .offset:         96
        .size:           4
        .value_kind:     by_value
    .group_segment_fixed_size: 2048
    .kernarg_segment_align: 8
    .kernarg_segment_size: 100
    .language:       OpenCL C
    .language_version:
      - 2
      - 0
    .max_flat_workgroup_size: 256
    .name:           _ZL41rocblas_syrkx_herkx_small_restrict_kernelIifLi16ELb0ELb0ELc84ELc76EKffEviT_T0_PT6_S1_lS4_S1_lS2_PT7_S1_li
    .private_segment_fixed_size: 0
    .sgpr_count:     22
    .sgpr_spill_count: 0
    .symbol:         _ZL41rocblas_syrkx_herkx_small_restrict_kernelIifLi16ELb0ELb0ELc84ELc76EKffEviT_T0_PT6_S1_lS4_S1_lS2_PT7_S1_li.kd
    .uniform_work_group_size: 1
    .uses_dynamic_stack: false
    .vgpr_count:     21
    .vgpr_spill_count: 0
    .wavefront_size: 64
  - .args:
      - .offset:         0
        .size:           4
        .value_kind:     by_value
      - .offset:         4
        .size:           4
        .value_kind:     by_value
      - .offset:         8
        .size:           4
        .value_kind:     by_value
      - .address_space:  global
        .offset:         16
        .size:           8
        .value_kind:     global_buffer
      - .offset:         24
        .size:           4
        .value_kind:     by_value
      - .offset:         32
        .size:           8
        .value_kind:     by_value
      - .address_space:  global
        .offset:         40
        .size:           8
        .value_kind:     global_buffer
      - .offset:         48
        .size:           4
        .value_kind:     by_value
      - .offset:         56
        .size:           8
        .value_kind:     by_value
      - .offset:         64
        .size:           4
        .value_kind:     by_value
      - .address_space:  global
        .offset:         72
        .size:           8
        .value_kind:     global_buffer
      - .offset:         80
        .size:           4
        .value_kind:     by_value
      - .offset:         88
        .size:           8
        .value_kind:     by_value
      - .offset:         96
        .size:           4
        .value_kind:     by_value
    .group_segment_fixed_size: 2048
    .kernarg_segment_align: 8
    .kernarg_segment_size: 100
    .language:       OpenCL C
    .language_version:
      - 2
      - 0
    .max_flat_workgroup_size: 256
    .name:           _ZL41rocblas_syrkx_herkx_small_restrict_kernelIifLi16ELb0ELb0ELc67ELc76EKffEviT_T0_PT6_S1_lS4_S1_lS2_PT7_S1_li
    .private_segment_fixed_size: 0
    .sgpr_count:     22
    .sgpr_spill_count: 0
    .symbol:         _ZL41rocblas_syrkx_herkx_small_restrict_kernelIifLi16ELb0ELb0ELc67ELc76EKffEviT_T0_PT6_S1_lS4_S1_lS2_PT7_S1_li.kd
    .uniform_work_group_size: 1
    .uses_dynamic_stack: false
    .vgpr_count:     21
    .vgpr_spill_count: 0
    .wavefront_size: 64
  - .args:
      - .offset:         0
        .size:           4
        .value_kind:     by_value
      - .offset:         4
        .size:           4
        .value_kind:     by_value
      - .offset:         8
        .size:           4
        .value_kind:     by_value
      - .address_space:  global
        .offset:         16
        .size:           8
        .value_kind:     global_buffer
      - .offset:         24
        .size:           4
        .value_kind:     by_value
      - .offset:         32
        .size:           8
        .value_kind:     by_value
      - .address_space:  global
        .offset:         40
        .size:           8
        .value_kind:     global_buffer
      - .offset:         48
        .size:           4
        .value_kind:     by_value
      - .offset:         56
        .size:           8
        .value_kind:     by_value
      - .offset:         64
        .size:           4
        .value_kind:     by_value
      - .address_space:  global
        .offset:         72
        .size:           8
        .value_kind:     global_buffer
      - .offset:         80
        .size:           4
        .value_kind:     by_value
      - .offset:         88
        .size:           8
        .value_kind:     by_value
      - .offset:         96
        .size:           4
        .value_kind:     by_value
    .group_segment_fixed_size: 2048
    .kernarg_segment_align: 8
    .kernarg_segment_size: 100
    .language:       OpenCL C
    .language_version:
      - 2
      - 0
    .max_flat_workgroup_size: 256
    .name:           _ZL41rocblas_syrkx_herkx_small_restrict_kernelIifLi16ELb0ELb0ELc78ELc76EKffEviT_T0_PT6_S1_lS4_S1_lS2_PT7_S1_li
    .private_segment_fixed_size: 0
    .sgpr_count:     25
    .sgpr_spill_count: 0
    .symbol:         _ZL41rocblas_syrkx_herkx_small_restrict_kernelIifLi16ELb0ELb0ELc78ELc76EKffEviT_T0_PT6_S1_lS4_S1_lS2_PT7_S1_li.kd
    .uniform_work_group_size: 1
    .uses_dynamic_stack: false
    .vgpr_count:     23
    .vgpr_spill_count: 0
    .wavefront_size: 64
  - .args:
      - .offset:         0
        .size:           4
        .value_kind:     by_value
      - .offset:         4
        .size:           4
        .value_kind:     by_value
      - .offset:         8
        .size:           4
        .value_kind:     by_value
      - .address_space:  global
        .offset:         16
        .size:           8
        .value_kind:     global_buffer
      - .offset:         24
        .size:           4
        .value_kind:     by_value
      - .offset:         32
        .size:           8
        .value_kind:     by_value
      - .address_space:  global
        .offset:         40
        .size:           8
        .value_kind:     global_buffer
      - .offset:         48
        .size:           4
        .value_kind:     by_value
      - .offset:         56
        .size:           8
        .value_kind:     by_value
      - .offset:         64
        .size:           4
        .value_kind:     by_value
      - .address_space:  global
        .offset:         72
        .size:           8
        .value_kind:     global_buffer
      - .offset:         80
        .size:           4
        .value_kind:     by_value
      - .offset:         88
        .size:           8
        .value_kind:     by_value
      - .offset:         96
        .size:           4
        .value_kind:     by_value
    .group_segment_fixed_size: 2048
    .kernarg_segment_align: 8
    .kernarg_segment_size: 100
    .language:       OpenCL C
    .language_version:
      - 2
      - 0
    .max_flat_workgroup_size: 256
    .name:           _ZL41rocblas_syrkx_herkx_small_restrict_kernelIifLi16ELb0ELb0ELc84ELc85EKffEviT_T0_PT6_S1_lS4_S1_lS2_PT7_S1_li
    .private_segment_fixed_size: 0
    .sgpr_count:     22
    .sgpr_spill_count: 0
    .symbol:         _ZL41rocblas_syrkx_herkx_small_restrict_kernelIifLi16ELb0ELb0ELc84ELc85EKffEviT_T0_PT6_S1_lS4_S1_lS2_PT7_S1_li.kd
    .uniform_work_group_size: 1
    .uses_dynamic_stack: false
    .vgpr_count:     21
    .vgpr_spill_count: 0
    .wavefront_size: 64
  - .args:
      - .offset:         0
        .size:           4
        .value_kind:     by_value
      - .offset:         4
        .size:           4
        .value_kind:     by_value
      - .offset:         8
        .size:           4
        .value_kind:     by_value
      - .address_space:  global
        .offset:         16
        .size:           8
        .value_kind:     global_buffer
      - .offset:         24
        .size:           4
        .value_kind:     by_value
      - .offset:         32
        .size:           8
        .value_kind:     by_value
      - .address_space:  global
        .offset:         40
        .size:           8
        .value_kind:     global_buffer
      - .offset:         48
        .size:           4
        .value_kind:     by_value
      - .offset:         56
        .size:           8
        .value_kind:     by_value
      - .offset:         64
        .size:           4
        .value_kind:     by_value
      - .address_space:  global
        .offset:         72
        .size:           8
        .value_kind:     global_buffer
      - .offset:         80
        .size:           4
        .value_kind:     by_value
      - .offset:         88
        .size:           8
        .value_kind:     by_value
      - .offset:         96
        .size:           4
        .value_kind:     by_value
    .group_segment_fixed_size: 2048
    .kernarg_segment_align: 8
    .kernarg_segment_size: 100
    .language:       OpenCL C
    .language_version:
      - 2
      - 0
    .max_flat_workgroup_size: 256
    .name:           _ZL41rocblas_syrkx_herkx_small_restrict_kernelIifLi16ELb0ELb0ELc67ELc85EKffEviT_T0_PT6_S1_lS4_S1_lS2_PT7_S1_li
    .private_segment_fixed_size: 0
    .sgpr_count:     22
    .sgpr_spill_count: 0
    .symbol:         _ZL41rocblas_syrkx_herkx_small_restrict_kernelIifLi16ELb0ELb0ELc67ELc85EKffEviT_T0_PT6_S1_lS4_S1_lS2_PT7_S1_li.kd
    .uniform_work_group_size: 1
    .uses_dynamic_stack: false
    .vgpr_count:     21
    .vgpr_spill_count: 0
    .wavefront_size: 64
  - .args:
      - .offset:         0
        .size:           4
        .value_kind:     by_value
      - .offset:         4
        .size:           4
        .value_kind:     by_value
      - .offset:         8
        .size:           4
        .value_kind:     by_value
      - .address_space:  global
        .offset:         16
        .size:           8
        .value_kind:     global_buffer
      - .offset:         24
        .size:           4
        .value_kind:     by_value
      - .offset:         32
        .size:           8
        .value_kind:     by_value
      - .address_space:  global
        .offset:         40
        .size:           8
        .value_kind:     global_buffer
      - .offset:         48
        .size:           4
        .value_kind:     by_value
      - .offset:         56
        .size:           8
        .value_kind:     by_value
      - .offset:         64
        .size:           4
        .value_kind:     by_value
      - .address_space:  global
        .offset:         72
        .size:           8
        .value_kind:     global_buffer
      - .offset:         80
        .size:           4
        .value_kind:     by_value
      - .offset:         88
        .size:           8
        .value_kind:     by_value
      - .offset:         96
        .size:           4
        .value_kind:     by_value
    .group_segment_fixed_size: 2048
    .kernarg_segment_align: 8
    .kernarg_segment_size: 100
    .language:       OpenCL C
    .language_version:
      - 2
      - 0
    .max_flat_workgroup_size: 256
    .name:           _ZL41rocblas_syrkx_herkx_small_restrict_kernelIifLi16ELb0ELb0ELc78ELc85EKffEviT_T0_PT6_S1_lS4_S1_lS2_PT7_S1_li
    .private_segment_fixed_size: 0
    .sgpr_count:     25
    .sgpr_spill_count: 0
    .symbol:         _ZL41rocblas_syrkx_herkx_small_restrict_kernelIifLi16ELb0ELb0ELc78ELc85EKffEviT_T0_PT6_S1_lS4_S1_lS2_PT7_S1_li.kd
    .uniform_work_group_size: 1
    .uses_dynamic_stack: false
    .vgpr_count:     23
    .vgpr_spill_count: 0
    .wavefront_size: 64
  - .args:
      - .offset:         0
        .size:           4
        .value_kind:     by_value
      - .offset:         4
        .size:           4
        .value_kind:     by_value
      - .offset:         8
        .size:           4
        .value_kind:     by_value
      - .address_space:  global
        .offset:         16
        .size:           8
        .value_kind:     global_buffer
      - .offset:         24
        .size:           4
        .value_kind:     by_value
      - .offset:         32
        .size:           8
        .value_kind:     by_value
      - .address_space:  global
        .offset:         40
        .size:           8
        .value_kind:     global_buffer
      - .offset:         48
        .size:           4
        .value_kind:     by_value
      - .offset:         56
        .size:           8
        .value_kind:     by_value
      - .offset:         64
        .size:           4
        .value_kind:     by_value
      - .address_space:  global
        .offset:         72
        .size:           8
        .value_kind:     global_buffer
      - .offset:         80
        .size:           4
        .value_kind:     by_value
      - .offset:         88
        .size:           8
        .value_kind:     by_value
      - .offset:         96
        .size:           4
        .value_kind:     by_value
    .group_segment_fixed_size: 2048
    .kernarg_segment_align: 8
    .kernarg_segment_size: 100
    .language:       OpenCL C
    .language_version:
      - 2
      - 0
    .max_flat_workgroup_size: 256
    .name:           _ZL32rocblas_syrkx_herkx_small_kernelIifLi16ELb1ELb0ELc84ELc76EKffEviT_T0_PT6_S1_lS4_S1_lS2_PT7_S1_li
    .private_segment_fixed_size: 0
    .sgpr_count:     24
    .sgpr_spill_count: 0
    .symbol:         _ZL32rocblas_syrkx_herkx_small_kernelIifLi16ELb1ELb0ELc84ELc76EKffEviT_T0_PT6_S1_lS4_S1_lS2_PT7_S1_li.kd
    .uniform_work_group_size: 1
    .uses_dynamic_stack: false
    .vgpr_count:     25
    .vgpr_spill_count: 0
    .wavefront_size: 64
  - .args:
      - .offset:         0
        .size:           4
        .value_kind:     by_value
      - .offset:         4
        .size:           4
        .value_kind:     by_value
      - .offset:         8
        .size:           4
        .value_kind:     by_value
      - .address_space:  global
        .offset:         16
        .size:           8
        .value_kind:     global_buffer
      - .offset:         24
        .size:           4
        .value_kind:     by_value
      - .offset:         32
        .size:           8
        .value_kind:     by_value
      - .address_space:  global
        .offset:         40
        .size:           8
        .value_kind:     global_buffer
      - .offset:         48
        .size:           4
        .value_kind:     by_value
      - .offset:         56
        .size:           8
        .value_kind:     by_value
      - .offset:         64
        .size:           4
        .value_kind:     by_value
      - .address_space:  global
        .offset:         72
        .size:           8
        .value_kind:     global_buffer
      - .offset:         80
        .size:           4
        .value_kind:     by_value
      - .offset:         88
        .size:           8
        .value_kind:     by_value
      - .offset:         96
        .size:           4
        .value_kind:     by_value
    .group_segment_fixed_size: 2048
    .kernarg_segment_align: 8
    .kernarg_segment_size: 100
    .language:       OpenCL C
    .language_version:
      - 2
      - 0
    .max_flat_workgroup_size: 256
    .name:           _ZL32rocblas_syrkx_herkx_small_kernelIifLi16ELb1ELb0ELc67ELc76EKffEviT_T0_PT6_S1_lS4_S1_lS2_PT7_S1_li
    .private_segment_fixed_size: 0
    .sgpr_count:     24
    .sgpr_spill_count: 0
    .symbol:         _ZL32rocblas_syrkx_herkx_small_kernelIifLi16ELb1ELb0ELc67ELc76EKffEviT_T0_PT6_S1_lS4_S1_lS2_PT7_S1_li.kd
    .uniform_work_group_size: 1
    .uses_dynamic_stack: false
    .vgpr_count:     25
    .vgpr_spill_count: 0
    .wavefront_size: 64
  - .args:
      - .offset:         0
        .size:           4
        .value_kind:     by_value
      - .offset:         4
        .size:           4
        .value_kind:     by_value
      - .offset:         8
        .size:           4
        .value_kind:     by_value
      - .address_space:  global
        .offset:         16
        .size:           8
        .value_kind:     global_buffer
      - .offset:         24
        .size:           4
        .value_kind:     by_value
      - .offset:         32
        .size:           8
        .value_kind:     by_value
      - .address_space:  global
        .offset:         40
        .size:           8
        .value_kind:     global_buffer
      - .offset:         48
        .size:           4
        .value_kind:     by_value
      - .offset:         56
        .size:           8
        .value_kind:     by_value
      - .offset:         64
        .size:           4
        .value_kind:     by_value
      - .address_space:  global
        .offset:         72
        .size:           8
        .value_kind:     global_buffer
      - .offset:         80
        .size:           4
        .value_kind:     by_value
      - .offset:         88
        .size:           8
        .value_kind:     by_value
      - .offset:         96
        .size:           4
        .value_kind:     by_value
    .group_segment_fixed_size: 2048
    .kernarg_segment_align: 8
    .kernarg_segment_size: 100
    .language:       OpenCL C
    .language_version:
      - 2
      - 0
    .max_flat_workgroup_size: 256
    .name:           _ZL32rocblas_syrkx_herkx_small_kernelIifLi16ELb1ELb0ELc78ELc76EKffEviT_T0_PT6_S1_lS4_S1_lS2_PT7_S1_li
    .private_segment_fixed_size: 0
    .sgpr_count:     28
    .sgpr_spill_count: 0
    .symbol:         _ZL32rocblas_syrkx_herkx_small_kernelIifLi16ELb1ELb0ELc78ELc76EKffEviT_T0_PT6_S1_lS4_S1_lS2_PT7_S1_li.kd
    .uniform_work_group_size: 1
    .uses_dynamic_stack: false
    .vgpr_count:     26
    .vgpr_spill_count: 0
    .wavefront_size: 64
  - .args:
      - .offset:         0
        .size:           4
        .value_kind:     by_value
      - .offset:         4
        .size:           4
        .value_kind:     by_value
      - .offset:         8
        .size:           4
        .value_kind:     by_value
      - .address_space:  global
        .offset:         16
        .size:           8
        .value_kind:     global_buffer
      - .offset:         24
        .size:           4
        .value_kind:     by_value
      - .offset:         32
        .size:           8
        .value_kind:     by_value
      - .address_space:  global
        .offset:         40
        .size:           8
        .value_kind:     global_buffer
      - .offset:         48
        .size:           4
        .value_kind:     by_value
      - .offset:         56
        .size:           8
        .value_kind:     by_value
      - .offset:         64
        .size:           4
        .value_kind:     by_value
      - .address_space:  global
        .offset:         72
        .size:           8
        .value_kind:     global_buffer
      - .offset:         80
        .size:           4
        .value_kind:     by_value
      - .offset:         88
        .size:           8
        .value_kind:     by_value
      - .offset:         96
        .size:           4
        .value_kind:     by_value
    .group_segment_fixed_size: 2048
    .kernarg_segment_align: 8
    .kernarg_segment_size: 100
    .language:       OpenCL C
    .language_version:
      - 2
      - 0
    .max_flat_workgroup_size: 256
    .name:           _ZL32rocblas_syrkx_herkx_small_kernelIifLi16ELb1ELb0ELc84ELc85EKffEviT_T0_PT6_S1_lS4_S1_lS2_PT7_S1_li
    .private_segment_fixed_size: 0
    .sgpr_count:     24
    .sgpr_spill_count: 0
    .symbol:         _ZL32rocblas_syrkx_herkx_small_kernelIifLi16ELb1ELb0ELc84ELc85EKffEviT_T0_PT6_S1_lS4_S1_lS2_PT7_S1_li.kd
    .uniform_work_group_size: 1
    .uses_dynamic_stack: false
    .vgpr_count:     25
    .vgpr_spill_count: 0
    .wavefront_size: 64
  - .args:
      - .offset:         0
        .size:           4
        .value_kind:     by_value
      - .offset:         4
        .size:           4
        .value_kind:     by_value
      - .offset:         8
        .size:           4
        .value_kind:     by_value
      - .address_space:  global
        .offset:         16
        .size:           8
        .value_kind:     global_buffer
      - .offset:         24
        .size:           4
        .value_kind:     by_value
      - .offset:         32
        .size:           8
        .value_kind:     by_value
      - .address_space:  global
        .offset:         40
        .size:           8
        .value_kind:     global_buffer
      - .offset:         48
        .size:           4
        .value_kind:     by_value
      - .offset:         56
        .size:           8
        .value_kind:     by_value
      - .offset:         64
        .size:           4
        .value_kind:     by_value
      - .address_space:  global
        .offset:         72
        .size:           8
        .value_kind:     global_buffer
      - .offset:         80
        .size:           4
        .value_kind:     by_value
      - .offset:         88
        .size:           8
        .value_kind:     by_value
      - .offset:         96
        .size:           4
        .value_kind:     by_value
    .group_segment_fixed_size: 2048
    .kernarg_segment_align: 8
    .kernarg_segment_size: 100
    .language:       OpenCL C
    .language_version:
      - 2
      - 0
    .max_flat_workgroup_size: 256
    .name:           _ZL32rocblas_syrkx_herkx_small_kernelIifLi16ELb1ELb0ELc67ELc85EKffEviT_T0_PT6_S1_lS4_S1_lS2_PT7_S1_li
    .private_segment_fixed_size: 0
    .sgpr_count:     24
    .sgpr_spill_count: 0
    .symbol:         _ZL32rocblas_syrkx_herkx_small_kernelIifLi16ELb1ELb0ELc67ELc85EKffEviT_T0_PT6_S1_lS4_S1_lS2_PT7_S1_li.kd
    .uniform_work_group_size: 1
    .uses_dynamic_stack: false
    .vgpr_count:     25
    .vgpr_spill_count: 0
    .wavefront_size: 64
  - .args:
      - .offset:         0
        .size:           4
        .value_kind:     by_value
      - .offset:         4
        .size:           4
        .value_kind:     by_value
      - .offset:         8
        .size:           4
        .value_kind:     by_value
      - .address_space:  global
        .offset:         16
        .size:           8
        .value_kind:     global_buffer
      - .offset:         24
        .size:           4
        .value_kind:     by_value
      - .offset:         32
        .size:           8
        .value_kind:     by_value
      - .address_space:  global
        .offset:         40
        .size:           8
        .value_kind:     global_buffer
      - .offset:         48
        .size:           4
        .value_kind:     by_value
      - .offset:         56
        .size:           8
        .value_kind:     by_value
      - .offset:         64
        .size:           4
        .value_kind:     by_value
      - .address_space:  global
        .offset:         72
        .size:           8
        .value_kind:     global_buffer
      - .offset:         80
        .size:           4
        .value_kind:     by_value
      - .offset:         88
        .size:           8
        .value_kind:     by_value
      - .offset:         96
        .size:           4
        .value_kind:     by_value
    .group_segment_fixed_size: 2048
    .kernarg_segment_align: 8
    .kernarg_segment_size: 100
    .language:       OpenCL C
    .language_version:
      - 2
      - 0
    .max_flat_workgroup_size: 256
    .name:           _ZL32rocblas_syrkx_herkx_small_kernelIifLi16ELb1ELb0ELc78ELc85EKffEviT_T0_PT6_S1_lS4_S1_lS2_PT7_S1_li
    .private_segment_fixed_size: 0
    .sgpr_count:     28
    .sgpr_spill_count: 0
    .symbol:         _ZL32rocblas_syrkx_herkx_small_kernelIifLi16ELb1ELb0ELc78ELc85EKffEviT_T0_PT6_S1_lS4_S1_lS2_PT7_S1_li.kd
    .uniform_work_group_size: 1
    .uses_dynamic_stack: false
    .vgpr_count:     26
    .vgpr_spill_count: 0
    .wavefront_size: 64
  - .args:
      - .offset:         0
        .size:           4
        .value_kind:     by_value
      - .offset:         4
        .size:           4
        .value_kind:     by_value
      - .offset:         8
        .size:           4
        .value_kind:     by_value
      - .address_space:  global
        .offset:         16
        .size:           8
        .value_kind:     global_buffer
      - .offset:         24
        .size:           4
        .value_kind:     by_value
      - .offset:         32
        .size:           8
        .value_kind:     by_value
      - .address_space:  global
        .offset:         40
        .size:           8
        .value_kind:     global_buffer
      - .offset:         48
        .size:           4
        .value_kind:     by_value
      - .offset:         56
        .size:           8
        .value_kind:     by_value
      - .offset:         64
        .size:           4
        .value_kind:     by_value
      - .address_space:  global
        .offset:         72
        .size:           8
        .value_kind:     global_buffer
      - .offset:         80
        .size:           4
        .value_kind:     by_value
      - .offset:         88
        .size:           8
        .value_kind:     by_value
      - .offset:         96
        .size:           4
        .value_kind:     by_value
    .group_segment_fixed_size: 2048
    .kernarg_segment_align: 8
    .kernarg_segment_size: 100
    .language:       OpenCL C
    .language_version:
      - 2
      - 0
    .max_flat_workgroup_size: 256
    .name:           _ZL32rocblas_syrkx_herkx_small_kernelIifLi16ELb0ELb0ELc84ELc76EKffEviT_T0_PT6_S1_lS4_S1_lS2_PT7_S1_li
    .private_segment_fixed_size: 0
    .sgpr_count:     24
    .sgpr_spill_count: 0
    .symbol:         _ZL32rocblas_syrkx_herkx_small_kernelIifLi16ELb0ELb0ELc84ELc76EKffEviT_T0_PT6_S1_lS4_S1_lS2_PT7_S1_li.kd
    .uniform_work_group_size: 1
    .uses_dynamic_stack: false
    .vgpr_count:     25
    .vgpr_spill_count: 0
    .wavefront_size: 64
  - .args:
      - .offset:         0
        .size:           4
        .value_kind:     by_value
      - .offset:         4
        .size:           4
        .value_kind:     by_value
      - .offset:         8
        .size:           4
        .value_kind:     by_value
      - .address_space:  global
        .offset:         16
        .size:           8
        .value_kind:     global_buffer
      - .offset:         24
        .size:           4
        .value_kind:     by_value
      - .offset:         32
        .size:           8
        .value_kind:     by_value
      - .address_space:  global
        .offset:         40
        .size:           8
        .value_kind:     global_buffer
      - .offset:         48
        .size:           4
        .value_kind:     by_value
      - .offset:         56
        .size:           8
        .value_kind:     by_value
      - .offset:         64
        .size:           4
        .value_kind:     by_value
      - .address_space:  global
        .offset:         72
        .size:           8
        .value_kind:     global_buffer
      - .offset:         80
        .size:           4
        .value_kind:     by_value
      - .offset:         88
        .size:           8
        .value_kind:     by_value
      - .offset:         96
        .size:           4
        .value_kind:     by_value
    .group_segment_fixed_size: 2048
    .kernarg_segment_align: 8
    .kernarg_segment_size: 100
    .language:       OpenCL C
    .language_version:
      - 2
      - 0
    .max_flat_workgroup_size: 256
    .name:           _ZL32rocblas_syrkx_herkx_small_kernelIifLi16ELb0ELb0ELc67ELc76EKffEviT_T0_PT6_S1_lS4_S1_lS2_PT7_S1_li
    .private_segment_fixed_size: 0
    .sgpr_count:     24
    .sgpr_spill_count: 0
    .symbol:         _ZL32rocblas_syrkx_herkx_small_kernelIifLi16ELb0ELb0ELc67ELc76EKffEviT_T0_PT6_S1_lS4_S1_lS2_PT7_S1_li.kd
    .uniform_work_group_size: 1
    .uses_dynamic_stack: false
    .vgpr_count:     25
    .vgpr_spill_count: 0
    .wavefront_size: 64
  - .args:
      - .offset:         0
        .size:           4
        .value_kind:     by_value
      - .offset:         4
        .size:           4
        .value_kind:     by_value
      - .offset:         8
        .size:           4
        .value_kind:     by_value
      - .address_space:  global
        .offset:         16
        .size:           8
        .value_kind:     global_buffer
      - .offset:         24
        .size:           4
        .value_kind:     by_value
      - .offset:         32
        .size:           8
        .value_kind:     by_value
      - .address_space:  global
        .offset:         40
        .size:           8
        .value_kind:     global_buffer
      - .offset:         48
        .size:           4
        .value_kind:     by_value
      - .offset:         56
        .size:           8
        .value_kind:     by_value
      - .offset:         64
        .size:           4
        .value_kind:     by_value
      - .address_space:  global
        .offset:         72
        .size:           8
        .value_kind:     global_buffer
      - .offset:         80
        .size:           4
        .value_kind:     by_value
      - .offset:         88
        .size:           8
        .value_kind:     by_value
      - .offset:         96
        .size:           4
        .value_kind:     by_value
    .group_segment_fixed_size: 2048
    .kernarg_segment_align: 8
    .kernarg_segment_size: 100
    .language:       OpenCL C
    .language_version:
      - 2
      - 0
    .max_flat_workgroup_size: 256
    .name:           _ZL32rocblas_syrkx_herkx_small_kernelIifLi16ELb0ELb0ELc78ELc76EKffEviT_T0_PT6_S1_lS4_S1_lS2_PT7_S1_li
    .private_segment_fixed_size: 0
    .sgpr_count:     28
    .sgpr_spill_count: 0
    .symbol:         _ZL32rocblas_syrkx_herkx_small_kernelIifLi16ELb0ELb0ELc78ELc76EKffEviT_T0_PT6_S1_lS4_S1_lS2_PT7_S1_li.kd
    .uniform_work_group_size: 1
    .uses_dynamic_stack: false
    .vgpr_count:     26
    .vgpr_spill_count: 0
    .wavefront_size: 64
  - .args:
      - .offset:         0
        .size:           4
        .value_kind:     by_value
      - .offset:         4
        .size:           4
        .value_kind:     by_value
      - .offset:         8
        .size:           4
        .value_kind:     by_value
      - .address_space:  global
        .offset:         16
        .size:           8
        .value_kind:     global_buffer
      - .offset:         24
        .size:           4
        .value_kind:     by_value
      - .offset:         32
        .size:           8
        .value_kind:     by_value
      - .address_space:  global
        .offset:         40
        .size:           8
        .value_kind:     global_buffer
      - .offset:         48
        .size:           4
        .value_kind:     by_value
      - .offset:         56
        .size:           8
        .value_kind:     by_value
      - .offset:         64
        .size:           4
        .value_kind:     by_value
      - .address_space:  global
        .offset:         72
        .size:           8
        .value_kind:     global_buffer
      - .offset:         80
        .size:           4
        .value_kind:     by_value
      - .offset:         88
        .size:           8
        .value_kind:     by_value
      - .offset:         96
        .size:           4
        .value_kind:     by_value
    .group_segment_fixed_size: 2048
    .kernarg_segment_align: 8
    .kernarg_segment_size: 100
    .language:       OpenCL C
    .language_version:
      - 2
      - 0
    .max_flat_workgroup_size: 256
    .name:           _ZL32rocblas_syrkx_herkx_small_kernelIifLi16ELb0ELb0ELc84ELc85EKffEviT_T0_PT6_S1_lS4_S1_lS2_PT7_S1_li
    .private_segment_fixed_size: 0
    .sgpr_count:     24
    .sgpr_spill_count: 0
    .symbol:         _ZL32rocblas_syrkx_herkx_small_kernelIifLi16ELb0ELb0ELc84ELc85EKffEviT_T0_PT6_S1_lS4_S1_lS2_PT7_S1_li.kd
    .uniform_work_group_size: 1
    .uses_dynamic_stack: false
    .vgpr_count:     25
    .vgpr_spill_count: 0
    .wavefront_size: 64
  - .args:
      - .offset:         0
        .size:           4
        .value_kind:     by_value
      - .offset:         4
        .size:           4
        .value_kind:     by_value
      - .offset:         8
        .size:           4
        .value_kind:     by_value
      - .address_space:  global
        .offset:         16
        .size:           8
        .value_kind:     global_buffer
      - .offset:         24
        .size:           4
        .value_kind:     by_value
      - .offset:         32
        .size:           8
        .value_kind:     by_value
      - .address_space:  global
        .offset:         40
        .size:           8
        .value_kind:     global_buffer
      - .offset:         48
        .size:           4
        .value_kind:     by_value
      - .offset:         56
        .size:           8
        .value_kind:     by_value
      - .offset:         64
        .size:           4
        .value_kind:     by_value
      - .address_space:  global
        .offset:         72
        .size:           8
        .value_kind:     global_buffer
      - .offset:         80
        .size:           4
        .value_kind:     by_value
      - .offset:         88
        .size:           8
        .value_kind:     by_value
      - .offset:         96
        .size:           4
        .value_kind:     by_value
    .group_segment_fixed_size: 2048
    .kernarg_segment_align: 8
    .kernarg_segment_size: 100
    .language:       OpenCL C
    .language_version:
      - 2
      - 0
    .max_flat_workgroup_size: 256
    .name:           _ZL32rocblas_syrkx_herkx_small_kernelIifLi16ELb0ELb0ELc67ELc85EKffEviT_T0_PT6_S1_lS4_S1_lS2_PT7_S1_li
    .private_segment_fixed_size: 0
    .sgpr_count:     24
    .sgpr_spill_count: 0
    .symbol:         _ZL32rocblas_syrkx_herkx_small_kernelIifLi16ELb0ELb0ELc67ELc85EKffEviT_T0_PT6_S1_lS4_S1_lS2_PT7_S1_li.kd
    .uniform_work_group_size: 1
    .uses_dynamic_stack: false
    .vgpr_count:     25
    .vgpr_spill_count: 0
    .wavefront_size: 64
  - .args:
      - .offset:         0
        .size:           4
        .value_kind:     by_value
      - .offset:         4
        .size:           4
        .value_kind:     by_value
      - .offset:         8
        .size:           4
        .value_kind:     by_value
      - .address_space:  global
        .offset:         16
        .size:           8
        .value_kind:     global_buffer
      - .offset:         24
        .size:           4
        .value_kind:     by_value
      - .offset:         32
        .size:           8
        .value_kind:     by_value
      - .address_space:  global
        .offset:         40
        .size:           8
        .value_kind:     global_buffer
      - .offset:         48
        .size:           4
        .value_kind:     by_value
      - .offset:         56
        .size:           8
        .value_kind:     by_value
      - .offset:         64
        .size:           4
        .value_kind:     by_value
      - .address_space:  global
        .offset:         72
        .size:           8
        .value_kind:     global_buffer
      - .offset:         80
        .size:           4
        .value_kind:     by_value
      - .offset:         88
        .size:           8
        .value_kind:     by_value
      - .offset:         96
        .size:           4
        .value_kind:     by_value
    .group_segment_fixed_size: 2048
    .kernarg_segment_align: 8
    .kernarg_segment_size: 100
    .language:       OpenCL C
    .language_version:
      - 2
      - 0
    .max_flat_workgroup_size: 256
    .name:           _ZL32rocblas_syrkx_herkx_small_kernelIifLi16ELb0ELb0ELc78ELc85EKffEviT_T0_PT6_S1_lS4_S1_lS2_PT7_S1_li
    .private_segment_fixed_size: 0
    .sgpr_count:     28
    .sgpr_spill_count: 0
    .symbol:         _ZL32rocblas_syrkx_herkx_small_kernelIifLi16ELb0ELb0ELc78ELc85EKffEviT_T0_PT6_S1_lS4_S1_lS2_PT7_S1_li.kd
    .uniform_work_group_size: 1
    .uses_dynamic_stack: false
    .vgpr_count:     26
    .vgpr_spill_count: 0
    .wavefront_size: 64
  - .args:
      - .offset:         0
        .size:           4
        .value_kind:     by_value
      - .offset:         4
        .size:           4
        .value_kind:     by_value
      - .offset:         8
        .size:           4
        .value_kind:     by_value
      - .address_space:  global
        .offset:         16
        .size:           8
        .value_kind:     global_buffer
      - .offset:         24
        .size:           4
        .value_kind:     by_value
      - .offset:         32
        .size:           8
        .value_kind:     by_value
      - .address_space:  global
        .offset:         40
        .size:           8
        .value_kind:     global_buffer
      - .offset:         48
        .size:           4
        .value_kind:     by_value
      - .offset:         56
        .size:           8
        .value_kind:     by_value
      - .offset:         64
        .size:           4
        .value_kind:     by_value
      - .address_space:  global
        .offset:         72
        .size:           8
        .value_kind:     global_buffer
      - .offset:         80
        .size:           4
        .value_kind:     by_value
      - .offset:         88
        .size:           8
        .value_kind:     by_value
      - .offset:         96
        .size:           4
        .value_kind:     by_value
    .group_segment_fixed_size: 2048
    .kernarg_segment_align: 8
    .kernarg_segment_size: 100
    .language:       OpenCL C
    .language_version:
      - 2
      - 0
    .max_flat_workgroup_size: 256
    .name:           _ZL34rocblas_syrkx_herkx_general_kernelIifLi16ELi32ELi8ELb1ELb0ELc84ELc76EKffEviT_T0_PT8_S1_lS4_S1_lS2_PT9_S1_li
    .private_segment_fixed_size: 0
    .sgpr_count:     26
    .sgpr_spill_count: 0
    .symbol:         _ZL34rocblas_syrkx_herkx_general_kernelIifLi16ELi32ELi8ELb1ELb0ELc84ELc76EKffEviT_T0_PT8_S1_lS4_S1_lS2_PT9_S1_li.kd
    .uniform_work_group_size: 1
    .uses_dynamic_stack: false
    .vgpr_count:     28
    .vgpr_spill_count: 0
    .wavefront_size: 64
  - .args:
      - .offset:         0
        .size:           4
        .value_kind:     by_value
      - .offset:         4
        .size:           4
        .value_kind:     by_value
      - .offset:         8
        .size:           4
        .value_kind:     by_value
      - .address_space:  global
        .offset:         16
        .size:           8
        .value_kind:     global_buffer
      - .offset:         24
        .size:           4
        .value_kind:     by_value
      - .offset:         32
        .size:           8
        .value_kind:     by_value
      - .address_space:  global
        .offset:         40
        .size:           8
        .value_kind:     global_buffer
      - .offset:         48
        .size:           4
        .value_kind:     by_value
      - .offset:         56
        .size:           8
        .value_kind:     by_value
      - .offset:         64
        .size:           4
        .value_kind:     by_value
      - .address_space:  global
        .offset:         72
        .size:           8
        .value_kind:     global_buffer
      - .offset:         80
        .size:           4
        .value_kind:     by_value
      - .offset:         88
        .size:           8
        .value_kind:     by_value
      - .offset:         96
        .size:           4
        .value_kind:     by_value
    .group_segment_fixed_size: 2048
    .kernarg_segment_align: 8
    .kernarg_segment_size: 100
    .language:       OpenCL C
    .language_version:
      - 2
      - 0
    .max_flat_workgroup_size: 256
    .name:           _ZL34rocblas_syrkx_herkx_general_kernelIifLi16ELi32ELi8ELb1ELb0ELc67ELc76EKffEviT_T0_PT8_S1_lS4_S1_lS2_PT9_S1_li
    .private_segment_fixed_size: 0
    .sgpr_count:     26
    .sgpr_spill_count: 0
    .symbol:         _ZL34rocblas_syrkx_herkx_general_kernelIifLi16ELi32ELi8ELb1ELb0ELc67ELc76EKffEviT_T0_PT8_S1_lS4_S1_lS2_PT9_S1_li.kd
    .uniform_work_group_size: 1
    .uses_dynamic_stack: false
    .vgpr_count:     28
    .vgpr_spill_count: 0
    .wavefront_size: 64
  - .args:
      - .offset:         0
        .size:           4
        .value_kind:     by_value
      - .offset:         4
        .size:           4
        .value_kind:     by_value
      - .offset:         8
        .size:           4
        .value_kind:     by_value
      - .address_space:  global
        .offset:         16
        .size:           8
        .value_kind:     global_buffer
      - .offset:         24
        .size:           4
        .value_kind:     by_value
      - .offset:         32
        .size:           8
        .value_kind:     by_value
      - .address_space:  global
        .offset:         40
        .size:           8
        .value_kind:     global_buffer
      - .offset:         48
        .size:           4
        .value_kind:     by_value
      - .offset:         56
        .size:           8
        .value_kind:     by_value
      - .offset:         64
        .size:           4
        .value_kind:     by_value
      - .address_space:  global
        .offset:         72
        .size:           8
        .value_kind:     global_buffer
      - .offset:         80
        .size:           4
        .value_kind:     by_value
      - .offset:         88
        .size:           8
        .value_kind:     by_value
      - .offset:         96
        .size:           4
        .value_kind:     by_value
    .group_segment_fixed_size: 2048
    .kernarg_segment_align: 8
    .kernarg_segment_size: 100
    .language:       OpenCL C
    .language_version:
      - 2
      - 0
    .max_flat_workgroup_size: 256
    .name:           _ZL34rocblas_syrkx_herkx_general_kernelIifLi16ELi32ELi8ELb1ELb0ELc78ELc76EKffEviT_T0_PT8_S1_lS4_S1_lS2_PT9_S1_li
    .private_segment_fixed_size: 0
    .sgpr_count:     30
    .sgpr_spill_count: 0
    .symbol:         _ZL34rocblas_syrkx_herkx_general_kernelIifLi16ELi32ELi8ELb1ELb0ELc78ELc76EKffEviT_T0_PT8_S1_lS4_S1_lS2_PT9_S1_li.kd
    .uniform_work_group_size: 1
    .uses_dynamic_stack: false
    .vgpr_count:     28
    .vgpr_spill_count: 0
    .wavefront_size: 64
  - .args:
      - .offset:         0
        .size:           4
        .value_kind:     by_value
      - .offset:         4
        .size:           4
        .value_kind:     by_value
      - .offset:         8
        .size:           4
        .value_kind:     by_value
      - .address_space:  global
        .offset:         16
        .size:           8
        .value_kind:     global_buffer
      - .offset:         24
        .size:           4
        .value_kind:     by_value
      - .offset:         32
        .size:           8
        .value_kind:     by_value
      - .address_space:  global
        .offset:         40
        .size:           8
        .value_kind:     global_buffer
      - .offset:         48
        .size:           4
        .value_kind:     by_value
      - .offset:         56
        .size:           8
        .value_kind:     by_value
      - .offset:         64
        .size:           4
        .value_kind:     by_value
      - .address_space:  global
        .offset:         72
        .size:           8
        .value_kind:     global_buffer
      - .offset:         80
        .size:           4
        .value_kind:     by_value
      - .offset:         88
        .size:           8
        .value_kind:     by_value
      - .offset:         96
        .size:           4
        .value_kind:     by_value
    .group_segment_fixed_size: 2048
    .kernarg_segment_align: 8
    .kernarg_segment_size: 100
    .language:       OpenCL C
    .language_version:
      - 2
      - 0
    .max_flat_workgroup_size: 256
    .name:           _ZL34rocblas_syrkx_herkx_general_kernelIifLi16ELi32ELi8ELb1ELb0ELc84ELc85EKffEviT_T0_PT8_S1_lS4_S1_lS2_PT9_S1_li
    .private_segment_fixed_size: 0
    .sgpr_count:     26
    .sgpr_spill_count: 0
    .symbol:         _ZL34rocblas_syrkx_herkx_general_kernelIifLi16ELi32ELi8ELb1ELb0ELc84ELc85EKffEviT_T0_PT8_S1_lS4_S1_lS2_PT9_S1_li.kd
    .uniform_work_group_size: 1
    .uses_dynamic_stack: false
    .vgpr_count:     28
    .vgpr_spill_count: 0
    .wavefront_size: 64
  - .args:
      - .offset:         0
        .size:           4
        .value_kind:     by_value
      - .offset:         4
        .size:           4
        .value_kind:     by_value
      - .offset:         8
        .size:           4
        .value_kind:     by_value
      - .address_space:  global
        .offset:         16
        .size:           8
        .value_kind:     global_buffer
      - .offset:         24
        .size:           4
        .value_kind:     by_value
      - .offset:         32
        .size:           8
        .value_kind:     by_value
      - .address_space:  global
        .offset:         40
        .size:           8
        .value_kind:     global_buffer
      - .offset:         48
        .size:           4
        .value_kind:     by_value
      - .offset:         56
        .size:           8
        .value_kind:     by_value
      - .offset:         64
        .size:           4
        .value_kind:     by_value
      - .address_space:  global
        .offset:         72
        .size:           8
        .value_kind:     global_buffer
      - .offset:         80
        .size:           4
        .value_kind:     by_value
      - .offset:         88
        .size:           8
        .value_kind:     by_value
      - .offset:         96
        .size:           4
        .value_kind:     by_value
    .group_segment_fixed_size: 2048
    .kernarg_segment_align: 8
    .kernarg_segment_size: 100
    .language:       OpenCL C
    .language_version:
      - 2
      - 0
    .max_flat_workgroup_size: 256
    .name:           _ZL34rocblas_syrkx_herkx_general_kernelIifLi16ELi32ELi8ELb1ELb0ELc67ELc85EKffEviT_T0_PT8_S1_lS4_S1_lS2_PT9_S1_li
    .private_segment_fixed_size: 0
    .sgpr_count:     26
    .sgpr_spill_count: 0
    .symbol:         _ZL34rocblas_syrkx_herkx_general_kernelIifLi16ELi32ELi8ELb1ELb0ELc67ELc85EKffEviT_T0_PT8_S1_lS4_S1_lS2_PT9_S1_li.kd
    .uniform_work_group_size: 1
    .uses_dynamic_stack: false
    .vgpr_count:     28
    .vgpr_spill_count: 0
    .wavefront_size: 64
  - .args:
      - .offset:         0
        .size:           4
        .value_kind:     by_value
      - .offset:         4
        .size:           4
        .value_kind:     by_value
      - .offset:         8
        .size:           4
        .value_kind:     by_value
      - .address_space:  global
        .offset:         16
        .size:           8
        .value_kind:     global_buffer
      - .offset:         24
        .size:           4
        .value_kind:     by_value
      - .offset:         32
        .size:           8
        .value_kind:     by_value
      - .address_space:  global
        .offset:         40
        .size:           8
        .value_kind:     global_buffer
      - .offset:         48
        .size:           4
        .value_kind:     by_value
      - .offset:         56
        .size:           8
        .value_kind:     by_value
      - .offset:         64
        .size:           4
        .value_kind:     by_value
      - .address_space:  global
        .offset:         72
        .size:           8
        .value_kind:     global_buffer
      - .offset:         80
        .size:           4
        .value_kind:     by_value
      - .offset:         88
        .size:           8
        .value_kind:     by_value
      - .offset:         96
        .size:           4
        .value_kind:     by_value
    .group_segment_fixed_size: 2048
    .kernarg_segment_align: 8
    .kernarg_segment_size: 100
    .language:       OpenCL C
    .language_version:
      - 2
      - 0
    .max_flat_workgroup_size: 256
    .name:           _ZL34rocblas_syrkx_herkx_general_kernelIifLi16ELi32ELi8ELb1ELb0ELc78ELc85EKffEviT_T0_PT8_S1_lS4_S1_lS2_PT9_S1_li
    .private_segment_fixed_size: 0
    .sgpr_count:     30
    .sgpr_spill_count: 0
    .symbol:         _ZL34rocblas_syrkx_herkx_general_kernelIifLi16ELi32ELi8ELb1ELb0ELc78ELc85EKffEviT_T0_PT8_S1_lS4_S1_lS2_PT9_S1_li.kd
    .uniform_work_group_size: 1
    .uses_dynamic_stack: false
    .vgpr_count:     28
    .vgpr_spill_count: 0
    .wavefront_size: 64
  - .args:
      - .offset:         0
        .size:           4
        .value_kind:     by_value
      - .offset:         4
        .size:           4
        .value_kind:     by_value
      - .offset:         8
        .size:           4
        .value_kind:     by_value
      - .address_space:  global
        .offset:         16
        .size:           8
        .value_kind:     global_buffer
      - .offset:         24
        .size:           4
        .value_kind:     by_value
      - .offset:         32
        .size:           8
        .value_kind:     by_value
      - .address_space:  global
        .offset:         40
        .size:           8
        .value_kind:     global_buffer
      - .offset:         48
        .size:           4
        .value_kind:     by_value
      - .offset:         56
        .size:           8
        .value_kind:     by_value
      - .offset:         64
        .size:           4
        .value_kind:     by_value
      - .address_space:  global
        .offset:         72
        .size:           8
        .value_kind:     global_buffer
      - .offset:         80
        .size:           4
        .value_kind:     by_value
      - .offset:         88
        .size:           8
        .value_kind:     by_value
      - .offset:         96
        .size:           4
        .value_kind:     by_value
    .group_segment_fixed_size: 2048
    .kernarg_segment_align: 8
    .kernarg_segment_size: 100
    .language:       OpenCL C
    .language_version:
      - 2
      - 0
    .max_flat_workgroup_size: 256
    .name:           _ZL34rocblas_syrkx_herkx_general_kernelIifLi16ELi32ELi8ELb0ELb0ELc84ELc76EKffEviT_T0_PT8_S1_lS4_S1_lS2_PT9_S1_li
    .private_segment_fixed_size: 0
    .sgpr_count:     26
    .sgpr_spill_count: 0
    .symbol:         _ZL34rocblas_syrkx_herkx_general_kernelIifLi16ELi32ELi8ELb0ELb0ELc84ELc76EKffEviT_T0_PT8_S1_lS4_S1_lS2_PT9_S1_li.kd
    .uniform_work_group_size: 1
    .uses_dynamic_stack: false
    .vgpr_count:     28
    .vgpr_spill_count: 0
    .wavefront_size: 64
  - .args:
      - .offset:         0
        .size:           4
        .value_kind:     by_value
      - .offset:         4
        .size:           4
        .value_kind:     by_value
      - .offset:         8
        .size:           4
        .value_kind:     by_value
      - .address_space:  global
        .offset:         16
        .size:           8
        .value_kind:     global_buffer
      - .offset:         24
        .size:           4
        .value_kind:     by_value
      - .offset:         32
        .size:           8
        .value_kind:     by_value
      - .address_space:  global
        .offset:         40
        .size:           8
        .value_kind:     global_buffer
      - .offset:         48
        .size:           4
        .value_kind:     by_value
      - .offset:         56
        .size:           8
        .value_kind:     by_value
      - .offset:         64
        .size:           4
        .value_kind:     by_value
      - .address_space:  global
        .offset:         72
        .size:           8
        .value_kind:     global_buffer
      - .offset:         80
        .size:           4
        .value_kind:     by_value
      - .offset:         88
        .size:           8
        .value_kind:     by_value
      - .offset:         96
        .size:           4
        .value_kind:     by_value
    .group_segment_fixed_size: 2048
    .kernarg_segment_align: 8
    .kernarg_segment_size: 100
    .language:       OpenCL C
    .language_version:
      - 2
      - 0
    .max_flat_workgroup_size: 256
    .name:           _ZL34rocblas_syrkx_herkx_general_kernelIifLi16ELi32ELi8ELb0ELb0ELc67ELc76EKffEviT_T0_PT8_S1_lS4_S1_lS2_PT9_S1_li
    .private_segment_fixed_size: 0
    .sgpr_count:     26
    .sgpr_spill_count: 0
    .symbol:         _ZL34rocblas_syrkx_herkx_general_kernelIifLi16ELi32ELi8ELb0ELb0ELc67ELc76EKffEviT_T0_PT8_S1_lS4_S1_lS2_PT9_S1_li.kd
    .uniform_work_group_size: 1
    .uses_dynamic_stack: false
    .vgpr_count:     28
    .vgpr_spill_count: 0
    .wavefront_size: 64
  - .args:
      - .offset:         0
        .size:           4
        .value_kind:     by_value
      - .offset:         4
        .size:           4
        .value_kind:     by_value
      - .offset:         8
        .size:           4
        .value_kind:     by_value
      - .address_space:  global
        .offset:         16
        .size:           8
        .value_kind:     global_buffer
      - .offset:         24
        .size:           4
        .value_kind:     by_value
      - .offset:         32
        .size:           8
        .value_kind:     by_value
      - .address_space:  global
        .offset:         40
        .size:           8
        .value_kind:     global_buffer
      - .offset:         48
        .size:           4
        .value_kind:     by_value
      - .offset:         56
        .size:           8
        .value_kind:     by_value
      - .offset:         64
        .size:           4
        .value_kind:     by_value
      - .address_space:  global
        .offset:         72
        .size:           8
        .value_kind:     global_buffer
      - .offset:         80
        .size:           4
        .value_kind:     by_value
      - .offset:         88
        .size:           8
        .value_kind:     by_value
      - .offset:         96
        .size:           4
        .value_kind:     by_value
    .group_segment_fixed_size: 2048
    .kernarg_segment_align: 8
    .kernarg_segment_size: 100
    .language:       OpenCL C
    .language_version:
      - 2
      - 0
    .max_flat_workgroup_size: 256
    .name:           _ZL34rocblas_syrkx_herkx_general_kernelIifLi16ELi32ELi8ELb0ELb0ELc78ELc76EKffEviT_T0_PT8_S1_lS4_S1_lS2_PT9_S1_li
    .private_segment_fixed_size: 0
    .sgpr_count:     30
    .sgpr_spill_count: 0
    .symbol:         _ZL34rocblas_syrkx_herkx_general_kernelIifLi16ELi32ELi8ELb0ELb0ELc78ELc76EKffEviT_T0_PT8_S1_lS4_S1_lS2_PT9_S1_li.kd
    .uniform_work_group_size: 1
    .uses_dynamic_stack: false
    .vgpr_count:     28
    .vgpr_spill_count: 0
    .wavefront_size: 64
  - .args:
      - .offset:         0
        .size:           4
        .value_kind:     by_value
      - .offset:         4
        .size:           4
        .value_kind:     by_value
      - .offset:         8
        .size:           4
        .value_kind:     by_value
      - .address_space:  global
        .offset:         16
        .size:           8
        .value_kind:     global_buffer
      - .offset:         24
        .size:           4
        .value_kind:     by_value
      - .offset:         32
        .size:           8
        .value_kind:     by_value
      - .address_space:  global
        .offset:         40
        .size:           8
        .value_kind:     global_buffer
      - .offset:         48
        .size:           4
        .value_kind:     by_value
      - .offset:         56
        .size:           8
        .value_kind:     by_value
      - .offset:         64
        .size:           4
        .value_kind:     by_value
      - .address_space:  global
        .offset:         72
        .size:           8
        .value_kind:     global_buffer
      - .offset:         80
        .size:           4
        .value_kind:     by_value
      - .offset:         88
        .size:           8
        .value_kind:     by_value
      - .offset:         96
        .size:           4
        .value_kind:     by_value
    .group_segment_fixed_size: 2048
    .kernarg_segment_align: 8
    .kernarg_segment_size: 100
    .language:       OpenCL C
    .language_version:
      - 2
      - 0
    .max_flat_workgroup_size: 256
    .name:           _ZL34rocblas_syrkx_herkx_general_kernelIifLi16ELi32ELi8ELb0ELb0ELc84ELc85EKffEviT_T0_PT8_S1_lS4_S1_lS2_PT9_S1_li
    .private_segment_fixed_size: 0
    .sgpr_count:     26
    .sgpr_spill_count: 0
    .symbol:         _ZL34rocblas_syrkx_herkx_general_kernelIifLi16ELi32ELi8ELb0ELb0ELc84ELc85EKffEviT_T0_PT8_S1_lS4_S1_lS2_PT9_S1_li.kd
    .uniform_work_group_size: 1
    .uses_dynamic_stack: false
    .vgpr_count:     28
    .vgpr_spill_count: 0
    .wavefront_size: 64
  - .args:
      - .offset:         0
        .size:           4
        .value_kind:     by_value
      - .offset:         4
        .size:           4
        .value_kind:     by_value
      - .offset:         8
        .size:           4
        .value_kind:     by_value
      - .address_space:  global
        .offset:         16
        .size:           8
        .value_kind:     global_buffer
      - .offset:         24
        .size:           4
        .value_kind:     by_value
      - .offset:         32
        .size:           8
        .value_kind:     by_value
      - .address_space:  global
        .offset:         40
        .size:           8
        .value_kind:     global_buffer
      - .offset:         48
        .size:           4
        .value_kind:     by_value
      - .offset:         56
        .size:           8
        .value_kind:     by_value
      - .offset:         64
        .size:           4
        .value_kind:     by_value
      - .address_space:  global
        .offset:         72
        .size:           8
        .value_kind:     global_buffer
      - .offset:         80
        .size:           4
        .value_kind:     by_value
      - .offset:         88
        .size:           8
        .value_kind:     by_value
      - .offset:         96
        .size:           4
        .value_kind:     by_value
    .group_segment_fixed_size: 2048
    .kernarg_segment_align: 8
    .kernarg_segment_size: 100
    .language:       OpenCL C
    .language_version:
      - 2
      - 0
    .max_flat_workgroup_size: 256
    .name:           _ZL34rocblas_syrkx_herkx_general_kernelIifLi16ELi32ELi8ELb0ELb0ELc67ELc85EKffEviT_T0_PT8_S1_lS4_S1_lS2_PT9_S1_li
    .private_segment_fixed_size: 0
    .sgpr_count:     26
    .sgpr_spill_count: 0
    .symbol:         _ZL34rocblas_syrkx_herkx_general_kernelIifLi16ELi32ELi8ELb0ELb0ELc67ELc85EKffEviT_T0_PT8_S1_lS4_S1_lS2_PT9_S1_li.kd
    .uniform_work_group_size: 1
    .uses_dynamic_stack: false
    .vgpr_count:     28
    .vgpr_spill_count: 0
    .wavefront_size: 64
  - .args:
      - .offset:         0
        .size:           4
        .value_kind:     by_value
      - .offset:         4
        .size:           4
        .value_kind:     by_value
      - .offset:         8
        .size:           4
        .value_kind:     by_value
      - .address_space:  global
        .offset:         16
        .size:           8
        .value_kind:     global_buffer
      - .offset:         24
        .size:           4
        .value_kind:     by_value
      - .offset:         32
        .size:           8
        .value_kind:     by_value
      - .address_space:  global
        .offset:         40
        .size:           8
        .value_kind:     global_buffer
      - .offset:         48
        .size:           4
        .value_kind:     by_value
      - .offset:         56
        .size:           8
        .value_kind:     by_value
      - .offset:         64
        .size:           4
        .value_kind:     by_value
      - .address_space:  global
        .offset:         72
        .size:           8
        .value_kind:     global_buffer
      - .offset:         80
        .size:           4
        .value_kind:     by_value
      - .offset:         88
        .size:           8
        .value_kind:     by_value
      - .offset:         96
        .size:           4
        .value_kind:     by_value
    .group_segment_fixed_size: 2048
    .kernarg_segment_align: 8
    .kernarg_segment_size: 100
    .language:       OpenCL C
    .language_version:
      - 2
      - 0
    .max_flat_workgroup_size: 256
    .name:           _ZL34rocblas_syrkx_herkx_general_kernelIifLi16ELi32ELi8ELb0ELb0ELc78ELc85EKffEviT_T0_PT8_S1_lS4_S1_lS2_PT9_S1_li
    .private_segment_fixed_size: 0
    .sgpr_count:     30
    .sgpr_spill_count: 0
    .symbol:         _ZL34rocblas_syrkx_herkx_general_kernelIifLi16ELi32ELi8ELb0ELb0ELc78ELc85EKffEviT_T0_PT8_S1_lS4_S1_lS2_PT9_S1_li.kd
    .uniform_work_group_size: 1
    .uses_dynamic_stack: false
    .vgpr_count:     28
    .vgpr_spill_count: 0
    .wavefront_size: 64
  - .args:
      - .offset:         0
        .size:           1
        .value_kind:     by_value
      - .offset:         4
        .size:           4
        .value_kind:     by_value
      - .offset:         8
        .size:           4
        .value_kind:     by_value
      - .offset:         12
        .size:           4
        .value_kind:     by_value
      - .offset:         16
        .size:           4
        .value_kind:     by_value
      - .address_space:  global
        .offset:         24
        .size:           8
        .value_kind:     global_buffer
      - .offset:         32
        .size:           4
        .value_kind:     by_value
      - .offset:         40
        .size:           8
        .value_kind:     by_value
      - .offset:         48
        .size:           4
        .value_kind:     by_value
      - .offset:         56
        .size:           4
        .value_kind:     hidden_block_count_x
      - .offset:         60
        .size:           4
        .value_kind:     hidden_block_count_y
      - .offset:         64
        .size:           4
        .value_kind:     hidden_block_count_z
      - .offset:         68
        .size:           2
        .value_kind:     hidden_group_size_x
      - .offset:         70
        .size:           2
        .value_kind:     hidden_group_size_y
      - .offset:         72
        .size:           2
        .value_kind:     hidden_group_size_z
      - .offset:         74
        .size:           2
        .value_kind:     hidden_remainder_x
      - .offset:         76
        .size:           2
        .value_kind:     hidden_remainder_y
      - .offset:         78
        .size:           2
        .value_kind:     hidden_remainder_z
      - .offset:         96
        .size:           8
        .value_kind:     hidden_global_offset_x
      - .offset:         104
        .size:           8
        .value_kind:     hidden_global_offset_y
      - .offset:         112
        .size:           8
        .value_kind:     hidden_global_offset_z
      - .offset:         120
        .size:           2
        .value_kind:     hidden_grid_dims
    .group_segment_fixed_size: 0
    .kernarg_segment_align: 8
    .kernarg_segment_size: 312
    .language:       OpenCL C
    .language_version:
      - 2
      - 0
    .max_flat_workgroup_size: 1024
    .name:           _ZL26rocblas_syr2k_scale_kernelIiLi128ELi8ELb0EffPfEvbiT_T3_T4_T5_S1_li
    .private_segment_fixed_size: 0
    .sgpr_count:     14
    .sgpr_spill_count: 0
    .symbol:         _ZL26rocblas_syr2k_scale_kernelIiLi128ELi8ELb0EffPfEvbiT_T3_T4_T5_S1_li.kd
    .uniform_work_group_size: 1
    .uses_dynamic_stack: false
    .vgpr_count:     6
    .vgpr_spill_count: 0
    .wavefront_size: 64
  - .args:
      - .offset:         0
        .size:           1
        .value_kind:     by_value
      - .offset:         4
        .size:           4
        .value_kind:     by_value
      - .offset:         8
        .size:           4
        .value_kind:     by_value
      - .address_space:  global
        .offset:         16
        .size:           8
        .value_kind:     global_buffer
      - .address_space:  global
        .offset:         24
        .size:           8
        .value_kind:     global_buffer
      - .offset:         32
        .size:           4
        .value_kind:     by_value
      - .offset:         40
        .size:           8
        .value_kind:     by_value
      - .address_space:  global
        .offset:         48
        .size:           8
        .value_kind:     global_buffer
      - .offset:         56
        .size:           4
        .value_kind:     by_value
      - .offset:         64
        .size:           8
        .value_kind:     by_value
      - .address_space:  global
        .offset:         72
        .size:           8
        .value_kind:     global_buffer
      - .offset:         80
        .size:           4
        .value_kind:     by_value
      - .offset:         88
        .size:           8
        .value_kind:     by_value
      - .offset:         96
        .size:           4
        .value_kind:     by_value
    .group_segment_fixed_size: 8192
    .kernarg_segment_align: 8
    .kernarg_segment_size: 100
    .language:       OpenCL C
    .language_version:
      - 2
      - 0
    .max_flat_workgroup_size: 1024
    .name:           _ZL26rocblas_syr2k_her2k_kernelIiLb0ELb0ELb0ELi32EPKfS1_PfEvbiT_T4_T5_S3_lS5_S3_lT6_S3_li
    .private_segment_fixed_size: 0
    .sgpr_count:     28
    .sgpr_spill_count: 0
    .symbol:         _ZL26rocblas_syr2k_her2k_kernelIiLb0ELb0ELb0ELi32EPKfS1_PfEvbiT_T4_T5_S3_lS5_S3_lT6_S3_li.kd
    .uniform_work_group_size: 1
    .uses_dynamic_stack: false
    .vgpr_count:     29
    .vgpr_spill_count: 0
    .wavefront_size: 64
  - .args:
      - .offset:         0
        .size:           1
        .value_kind:     by_value
      - .offset:         4
        .size:           4
        .value_kind:     by_value
      - .offset:         8
        .size:           4
        .value_kind:     by_value
      - .address_space:  global
        .offset:         16
        .size:           8
        .value_kind:     global_buffer
      - .address_space:  global
        .offset:         24
        .size:           8
        .value_kind:     global_buffer
      - .offset:         32
        .size:           4
        .value_kind:     by_value
      - .offset:         40
        .size:           8
        .value_kind:     by_value
      - .address_space:  global
        .offset:         48
        .size:           8
        .value_kind:     global_buffer
      - .offset:         56
        .size:           4
        .value_kind:     by_value
      - .offset:         64
        .size:           8
        .value_kind:     by_value
      - .address_space:  global
        .offset:         72
        .size:           8
        .value_kind:     global_buffer
      - .offset:         80
        .size:           4
        .value_kind:     by_value
      - .offset:         88
        .size:           8
        .value_kind:     by_value
      - .offset:         96
        .size:           4
        .value_kind:     by_value
    .group_segment_fixed_size: 8192
    .kernarg_segment_align: 8
    .kernarg_segment_size: 100
    .language:       OpenCL C
    .language_version:
      - 2
      - 0
    .max_flat_workgroup_size: 1024
    .name:           _ZL26rocblas_syr2k_her2k_kernelIiLb0ELb0ELb1ELi32EPKfS1_PfEvbiT_T4_T5_S3_lS5_S3_lT6_S3_li
    .private_segment_fixed_size: 0
    .sgpr_count:     28
    .sgpr_spill_count: 0
    .symbol:         _ZL26rocblas_syr2k_her2k_kernelIiLb0ELb0ELb1ELi32EPKfS1_PfEvbiT_T4_T5_S3_lS5_S3_lT6_S3_li.kd
    .uniform_work_group_size: 1
    .uses_dynamic_stack: false
    .vgpr_count:     29
    .vgpr_spill_count: 0
    .wavefront_size: 64
  - .args:
      - .offset:         0
        .size:           1
        .value_kind:     by_value
      - .offset:         4
        .size:           4
        .value_kind:     by_value
      - .offset:         8
        .size:           4
        .value_kind:     by_value
      - .offset:         16
        .size:           8
        .value_kind:     by_value
      - .address_space:  global
        .offset:         24
        .size:           8
        .value_kind:     global_buffer
      - .offset:         32
        .size:           4
        .value_kind:     by_value
      - .offset:         40
        .size:           8
        .value_kind:     by_value
      - .address_space:  global
        .offset:         48
        .size:           8
        .value_kind:     global_buffer
      - .offset:         56
        .size:           4
        .value_kind:     by_value
      - .offset:         64
        .size:           8
        .value_kind:     by_value
      - .address_space:  global
        .offset:         72
        .size:           8
        .value_kind:     global_buffer
      - .offset:         80
        .size:           4
        .value_kind:     by_value
      - .offset:         88
        .size:           8
        .value_kind:     by_value
      - .offset:         96
        .size:           4
        .value_kind:     by_value
    .group_segment_fixed_size: 16384
    .kernarg_segment_align: 8
    .kernarg_segment_size: 100
    .language:       OpenCL C
    .language_version:
      - 2
      - 0
    .max_flat_workgroup_size: 1024
    .name:           _ZL26rocblas_syr2k_her2k_kernelIiLb0ELb0ELb0ELi32EdPKdPdEvbiT_T4_T5_S3_lS5_S3_lT6_S3_li
    .private_segment_fixed_size: 0
    .sgpr_count:     32
    .sgpr_spill_count: 0
    .symbol:         _ZL26rocblas_syr2k_her2k_kernelIiLb0ELb0ELb0ELi32EdPKdPdEvbiT_T4_T5_S3_lS5_S3_lT6_S3_li.kd
    .uniform_work_group_size: 1
    .uses_dynamic_stack: false
    .vgpr_count:     27
    .vgpr_spill_count: 0
    .wavefront_size: 64
  - .args:
      - .offset:         0
        .size:           1
        .value_kind:     by_value
      - .offset:         4
        .size:           4
        .value_kind:     by_value
      - .offset:         8
        .size:           4
        .value_kind:     by_value
      - .offset:         16
        .size:           8
        .value_kind:     by_value
      - .address_space:  global
        .offset:         24
        .size:           8
        .value_kind:     global_buffer
      - .offset:         32
        .size:           4
        .value_kind:     by_value
      - .offset:         40
        .size:           8
        .value_kind:     by_value
      - .address_space:  global
        .offset:         48
        .size:           8
        .value_kind:     global_buffer
      - .offset:         56
        .size:           4
        .value_kind:     by_value
      - .offset:         64
        .size:           8
        .value_kind:     by_value
      - .address_space:  global
        .offset:         72
        .size:           8
        .value_kind:     global_buffer
      - .offset:         80
        .size:           4
        .value_kind:     by_value
      - .offset:         88
        .size:           8
        .value_kind:     by_value
      - .offset:         96
        .size:           4
        .value_kind:     by_value
    .group_segment_fixed_size: 16384
    .kernarg_segment_align: 8
    .kernarg_segment_size: 100
    .language:       OpenCL C
    .language_version:
      - 2
      - 0
    .max_flat_workgroup_size: 1024
    .name:           _ZL26rocblas_syr2k_her2k_kernelIiLb0ELb0ELb1ELi32EdPKdPdEvbiT_T4_T5_S3_lS5_S3_lT6_S3_li
    .private_segment_fixed_size: 0
    .sgpr_count:     32
    .sgpr_spill_count: 0
    .symbol:         _ZL26rocblas_syr2k_her2k_kernelIiLb0ELb0ELb1ELi32EdPKdPdEvbiT_T4_T5_S3_lS5_S3_lT6_S3_li.kd
    .uniform_work_group_size: 1
    .uses_dynamic_stack: false
    .vgpr_count:     28
    .vgpr_spill_count: 0
    .wavefront_size: 64
  - .args:
      - .offset:         0
        .size:           4
        .value_kind:     by_value
      - .offset:         4
        .size:           4
        .value_kind:     by_value
      - .address_space:  global
        .offset:         8
        .size:           8
        .value_kind:     global_buffer
      - .offset:         16
        .size:           4
        .value_kind:     by_value
      - .offset:         24
        .size:           8
        .value_kind:     by_value
      - .address_space:  global
        .offset:         32
        .size:           8
        .value_kind:     global_buffer
      - .offset:         40
        .size:           4
        .value_kind:     by_value
      - .offset:         48
        .size:           8
        .value_kind:     by_value
      - .address_space:  global
        .offset:         56
        .size:           8
        .value_kind:     global_buffer
      - .offset:         64
        .size:           4
        .value_kind:     by_value
      - .offset:         72
        .size:           8
        .value_kind:     by_value
      - .offset:         80
        .size:           4
        .value_kind:     by_value
    .group_segment_fixed_size: 4096
    .kernarg_segment_align: 8
    .kernarg_segment_size: 84
    .language:       OpenCL C
    .language_version:
      - 2
      - 0
    .max_flat_workgroup_size: 256
    .name:           _ZL37rocblas_syrkx_herkx_restricted_kernelIidLi16ELi32ELi8ELi1ELi1ELb0ELc84ELc76EKddEviT_PT9_S1_lS3_S1_lPT10_S1_li
    .private_segment_fixed_size: 0
    .sgpr_count:     26
    .sgpr_spill_count: 0
    .symbol:         _ZL37rocblas_syrkx_herkx_restricted_kernelIidLi16ELi32ELi8ELi1ELi1ELb0ELc84ELc76EKddEviT_PT9_S1_lS3_S1_lPT10_S1_li.kd
    .uniform_work_group_size: 1
    .uses_dynamic_stack: false
    .vgpr_count:     32
    .vgpr_spill_count: 0
    .wavefront_size: 64
  - .args:
      - .offset:         0
        .size:           4
        .value_kind:     by_value
      - .offset:         4
        .size:           4
        .value_kind:     by_value
      - .address_space:  global
        .offset:         8
        .size:           8
        .value_kind:     global_buffer
      - .offset:         16
        .size:           4
        .value_kind:     by_value
      - .offset:         24
        .size:           8
        .value_kind:     by_value
      - .address_space:  global
        .offset:         32
        .size:           8
        .value_kind:     global_buffer
      - .offset:         40
        .size:           4
        .value_kind:     by_value
      - .offset:         48
        .size:           8
        .value_kind:     by_value
      - .address_space:  global
        .offset:         56
        .size:           8
        .value_kind:     global_buffer
      - .offset:         64
        .size:           4
        .value_kind:     by_value
      - .offset:         72
        .size:           8
        .value_kind:     by_value
      - .offset:         80
        .size:           4
        .value_kind:     by_value
    .group_segment_fixed_size: 4096
    .kernarg_segment_align: 8
    .kernarg_segment_size: 84
    .language:       OpenCL C
    .language_version:
      - 2
      - 0
    .max_flat_workgroup_size: 256
    .name:           _ZL37rocblas_syrkx_herkx_restricted_kernelIidLi16ELi32ELi8ELi1ELi1ELb0ELc67ELc76EKddEviT_PT9_S1_lS3_S1_lPT10_S1_li
    .private_segment_fixed_size: 0
    .sgpr_count:     26
    .sgpr_spill_count: 0
    .symbol:         _ZL37rocblas_syrkx_herkx_restricted_kernelIidLi16ELi32ELi8ELi1ELi1ELb0ELc67ELc76EKddEviT_PT9_S1_lS3_S1_lPT10_S1_li.kd
    .uniform_work_group_size: 1
    .uses_dynamic_stack: false
    .vgpr_count:     32
    .vgpr_spill_count: 0
    .wavefront_size: 64
  - .args:
      - .offset:         0
        .size:           4
        .value_kind:     by_value
      - .offset:         4
        .size:           4
        .value_kind:     by_value
      - .address_space:  global
        .offset:         8
        .size:           8
        .value_kind:     global_buffer
      - .offset:         16
        .size:           4
        .value_kind:     by_value
      - .offset:         24
        .size:           8
        .value_kind:     by_value
      - .address_space:  global
        .offset:         32
        .size:           8
        .value_kind:     global_buffer
      - .offset:         40
        .size:           4
        .value_kind:     by_value
      - .offset:         48
        .size:           8
        .value_kind:     by_value
      - .address_space:  global
        .offset:         56
        .size:           8
        .value_kind:     global_buffer
      - .offset:         64
        .size:           4
        .value_kind:     by_value
      - .offset:         72
        .size:           8
        .value_kind:     by_value
      - .offset:         80
        .size:           4
        .value_kind:     by_value
    .group_segment_fixed_size: 4096
    .kernarg_segment_align: 8
    .kernarg_segment_size: 84
    .language:       OpenCL C
    .language_version:
      - 2
      - 0
    .max_flat_workgroup_size: 256
    .name:           _ZL37rocblas_syrkx_herkx_restricted_kernelIidLi16ELi32ELi8ELi1ELi1ELb0ELc78ELc76EKddEviT_PT9_S1_lS3_S1_lPT10_S1_li
    .private_segment_fixed_size: 0
    .sgpr_count:     29
    .sgpr_spill_count: 0
    .symbol:         _ZL37rocblas_syrkx_herkx_restricted_kernelIidLi16ELi32ELi8ELi1ELi1ELb0ELc78ELc76EKddEviT_PT9_S1_lS3_S1_lPT10_S1_li.kd
    .uniform_work_group_size: 1
    .uses_dynamic_stack: false
    .vgpr_count:     32
    .vgpr_spill_count: 0
    .wavefront_size: 64
  - .args:
      - .offset:         0
        .size:           4
        .value_kind:     by_value
      - .offset:         4
        .size:           4
        .value_kind:     by_value
      - .address_space:  global
        .offset:         8
        .size:           8
        .value_kind:     global_buffer
      - .offset:         16
        .size:           4
        .value_kind:     by_value
      - .offset:         24
        .size:           8
        .value_kind:     by_value
      - .address_space:  global
        .offset:         32
        .size:           8
        .value_kind:     global_buffer
      - .offset:         40
        .size:           4
        .value_kind:     by_value
      - .offset:         48
        .size:           8
        .value_kind:     by_value
      - .address_space:  global
        .offset:         56
        .size:           8
        .value_kind:     global_buffer
      - .offset:         64
        .size:           4
        .value_kind:     by_value
      - .offset:         72
        .size:           8
        .value_kind:     by_value
      - .offset:         80
        .size:           4
        .value_kind:     by_value
    .group_segment_fixed_size: 4096
    .kernarg_segment_align: 8
    .kernarg_segment_size: 84
    .language:       OpenCL C
    .language_version:
      - 2
      - 0
    .max_flat_workgroup_size: 256
    .name:           _ZL37rocblas_syrkx_herkx_restricted_kernelIidLi16ELi32ELi8ELi1ELi1ELb0ELc84ELc85EKddEviT_PT9_S1_lS3_S1_lPT10_S1_li
    .private_segment_fixed_size: 0
    .sgpr_count:     26
    .sgpr_spill_count: 0
    .symbol:         _ZL37rocblas_syrkx_herkx_restricted_kernelIidLi16ELi32ELi8ELi1ELi1ELb0ELc84ELc85EKddEviT_PT9_S1_lS3_S1_lPT10_S1_li.kd
    .uniform_work_group_size: 1
    .uses_dynamic_stack: false
    .vgpr_count:     32
    .vgpr_spill_count: 0
    .wavefront_size: 64
  - .args:
      - .offset:         0
        .size:           4
        .value_kind:     by_value
      - .offset:         4
        .size:           4
        .value_kind:     by_value
      - .address_space:  global
        .offset:         8
        .size:           8
        .value_kind:     global_buffer
      - .offset:         16
        .size:           4
        .value_kind:     by_value
      - .offset:         24
        .size:           8
        .value_kind:     by_value
      - .address_space:  global
        .offset:         32
        .size:           8
        .value_kind:     global_buffer
      - .offset:         40
        .size:           4
        .value_kind:     by_value
      - .offset:         48
        .size:           8
        .value_kind:     by_value
      - .address_space:  global
        .offset:         56
        .size:           8
        .value_kind:     global_buffer
      - .offset:         64
        .size:           4
        .value_kind:     by_value
      - .offset:         72
        .size:           8
        .value_kind:     by_value
      - .offset:         80
        .size:           4
        .value_kind:     by_value
    .group_segment_fixed_size: 4096
    .kernarg_segment_align: 8
    .kernarg_segment_size: 84
    .language:       OpenCL C
    .language_version:
      - 2
      - 0
    .max_flat_workgroup_size: 256
    .name:           _ZL37rocblas_syrkx_herkx_restricted_kernelIidLi16ELi32ELi8ELi1ELi1ELb0ELc67ELc85EKddEviT_PT9_S1_lS3_S1_lPT10_S1_li
    .private_segment_fixed_size: 0
    .sgpr_count:     26
    .sgpr_spill_count: 0
    .symbol:         _ZL37rocblas_syrkx_herkx_restricted_kernelIidLi16ELi32ELi8ELi1ELi1ELb0ELc67ELc85EKddEviT_PT9_S1_lS3_S1_lPT10_S1_li.kd
    .uniform_work_group_size: 1
    .uses_dynamic_stack: false
    .vgpr_count:     32
    .vgpr_spill_count: 0
    .wavefront_size: 64
  - .args:
      - .offset:         0
        .size:           4
        .value_kind:     by_value
      - .offset:         4
        .size:           4
        .value_kind:     by_value
      - .address_space:  global
        .offset:         8
        .size:           8
        .value_kind:     global_buffer
      - .offset:         16
        .size:           4
        .value_kind:     by_value
      - .offset:         24
        .size:           8
        .value_kind:     by_value
      - .address_space:  global
        .offset:         32
        .size:           8
        .value_kind:     global_buffer
      - .offset:         40
        .size:           4
        .value_kind:     by_value
      - .offset:         48
        .size:           8
        .value_kind:     by_value
      - .address_space:  global
        .offset:         56
        .size:           8
        .value_kind:     global_buffer
      - .offset:         64
        .size:           4
        .value_kind:     by_value
      - .offset:         72
        .size:           8
        .value_kind:     by_value
      - .offset:         80
        .size:           4
        .value_kind:     by_value
    .group_segment_fixed_size: 4096
    .kernarg_segment_align: 8
    .kernarg_segment_size: 84
    .language:       OpenCL C
    .language_version:
      - 2
      - 0
    .max_flat_workgroup_size: 256
    .name:           _ZL37rocblas_syrkx_herkx_restricted_kernelIidLi16ELi32ELi8ELi1ELi1ELb0ELc78ELc85EKddEviT_PT9_S1_lS3_S1_lPT10_S1_li
    .private_segment_fixed_size: 0
    .sgpr_count:     29
    .sgpr_spill_count: 0
    .symbol:         _ZL37rocblas_syrkx_herkx_restricted_kernelIidLi16ELi32ELi8ELi1ELi1ELb0ELc78ELc85EKddEviT_PT9_S1_lS3_S1_lPT10_S1_li.kd
    .uniform_work_group_size: 1
    .uses_dynamic_stack: false
    .vgpr_count:     32
    .vgpr_spill_count: 0
    .wavefront_size: 64
  - .args:
      - .offset:         0
        .size:           4
        .value_kind:     by_value
      - .offset:         4
        .size:           4
        .value_kind:     by_value
      - .address_space:  global
        .offset:         8
        .size:           8
        .value_kind:     global_buffer
      - .offset:         16
        .size:           4
        .value_kind:     by_value
      - .offset:         24
        .size:           8
        .value_kind:     by_value
      - .address_space:  global
        .offset:         32
        .size:           8
        .value_kind:     global_buffer
      - .offset:         40
        .size:           4
        .value_kind:     by_value
      - .offset:         48
        .size:           8
        .value_kind:     by_value
      - .address_space:  global
        .offset:         56
        .size:           8
        .value_kind:     global_buffer
      - .offset:         64
        .size:           4
        .value_kind:     by_value
      - .offset:         72
        .size:           8
        .value_kind:     by_value
      - .offset:         80
        .size:           4
        .value_kind:     by_value
    .group_segment_fixed_size: 4096
    .kernarg_segment_align: 8
    .kernarg_segment_size: 84
    .language:       OpenCL C
    .language_version:
      - 2
      - 0
    .max_flat_workgroup_size: 256
    .name:           _ZL37rocblas_syrkx_herkx_restricted_kernelIidLi16ELi32ELi8ELi1ELin1ELb0ELc84ELc76EKddEviT_PT9_S1_lS3_S1_lPT10_S1_li
    .private_segment_fixed_size: 0
    .sgpr_count:     26
    .sgpr_spill_count: 0
    .symbol:         _ZL37rocblas_syrkx_herkx_restricted_kernelIidLi16ELi32ELi8ELi1ELin1ELb0ELc84ELc76EKddEviT_PT9_S1_lS3_S1_lPT10_S1_li.kd
    .uniform_work_group_size: 1
    .uses_dynamic_stack: false
    .vgpr_count:     32
    .vgpr_spill_count: 0
    .wavefront_size: 64
  - .args:
      - .offset:         0
        .size:           4
        .value_kind:     by_value
      - .offset:         4
        .size:           4
        .value_kind:     by_value
      - .address_space:  global
        .offset:         8
        .size:           8
        .value_kind:     global_buffer
      - .offset:         16
        .size:           4
        .value_kind:     by_value
      - .offset:         24
        .size:           8
        .value_kind:     by_value
      - .address_space:  global
        .offset:         32
        .size:           8
        .value_kind:     global_buffer
      - .offset:         40
        .size:           4
        .value_kind:     by_value
      - .offset:         48
        .size:           8
        .value_kind:     by_value
      - .address_space:  global
        .offset:         56
        .size:           8
        .value_kind:     global_buffer
      - .offset:         64
        .size:           4
        .value_kind:     by_value
      - .offset:         72
        .size:           8
        .value_kind:     by_value
      - .offset:         80
        .size:           4
        .value_kind:     by_value
    .group_segment_fixed_size: 4096
    .kernarg_segment_align: 8
    .kernarg_segment_size: 84
    .language:       OpenCL C
    .language_version:
      - 2
      - 0
    .max_flat_workgroup_size: 256
    .name:           _ZL37rocblas_syrkx_herkx_restricted_kernelIidLi16ELi32ELi8ELi1ELin1ELb0ELc67ELc76EKddEviT_PT9_S1_lS3_S1_lPT10_S1_li
    .private_segment_fixed_size: 0
    .sgpr_count:     26
    .sgpr_spill_count: 0
    .symbol:         _ZL37rocblas_syrkx_herkx_restricted_kernelIidLi16ELi32ELi8ELi1ELin1ELb0ELc67ELc76EKddEviT_PT9_S1_lS3_S1_lPT10_S1_li.kd
    .uniform_work_group_size: 1
    .uses_dynamic_stack: false
    .vgpr_count:     32
    .vgpr_spill_count: 0
    .wavefront_size: 64
  - .args:
      - .offset:         0
        .size:           4
        .value_kind:     by_value
      - .offset:         4
        .size:           4
        .value_kind:     by_value
      - .address_space:  global
        .offset:         8
        .size:           8
        .value_kind:     global_buffer
      - .offset:         16
        .size:           4
        .value_kind:     by_value
      - .offset:         24
        .size:           8
        .value_kind:     by_value
      - .address_space:  global
        .offset:         32
        .size:           8
        .value_kind:     global_buffer
      - .offset:         40
        .size:           4
        .value_kind:     by_value
      - .offset:         48
        .size:           8
        .value_kind:     by_value
      - .address_space:  global
        .offset:         56
        .size:           8
        .value_kind:     global_buffer
      - .offset:         64
        .size:           4
        .value_kind:     by_value
      - .offset:         72
        .size:           8
        .value_kind:     by_value
      - .offset:         80
        .size:           4
        .value_kind:     by_value
    .group_segment_fixed_size: 4096
    .kernarg_segment_align: 8
    .kernarg_segment_size: 84
    .language:       OpenCL C
    .language_version:
      - 2
      - 0
    .max_flat_workgroup_size: 256
    .name:           _ZL37rocblas_syrkx_herkx_restricted_kernelIidLi16ELi32ELi8ELi1ELin1ELb0ELc78ELc76EKddEviT_PT9_S1_lS3_S1_lPT10_S1_li
    .private_segment_fixed_size: 0
    .sgpr_count:     29
    .sgpr_spill_count: 0
    .symbol:         _ZL37rocblas_syrkx_herkx_restricted_kernelIidLi16ELi32ELi8ELi1ELin1ELb0ELc78ELc76EKddEviT_PT9_S1_lS3_S1_lPT10_S1_li.kd
    .uniform_work_group_size: 1
    .uses_dynamic_stack: false
    .vgpr_count:     32
    .vgpr_spill_count: 0
    .wavefront_size: 64
  - .args:
      - .offset:         0
        .size:           4
        .value_kind:     by_value
      - .offset:         4
        .size:           4
        .value_kind:     by_value
      - .address_space:  global
        .offset:         8
        .size:           8
        .value_kind:     global_buffer
      - .offset:         16
        .size:           4
        .value_kind:     by_value
      - .offset:         24
        .size:           8
        .value_kind:     by_value
      - .address_space:  global
        .offset:         32
        .size:           8
        .value_kind:     global_buffer
      - .offset:         40
        .size:           4
        .value_kind:     by_value
      - .offset:         48
        .size:           8
        .value_kind:     by_value
      - .address_space:  global
        .offset:         56
        .size:           8
        .value_kind:     global_buffer
      - .offset:         64
        .size:           4
        .value_kind:     by_value
      - .offset:         72
        .size:           8
        .value_kind:     by_value
      - .offset:         80
        .size:           4
        .value_kind:     by_value
    .group_segment_fixed_size: 4096
    .kernarg_segment_align: 8
    .kernarg_segment_size: 84
    .language:       OpenCL C
    .language_version:
      - 2
      - 0
    .max_flat_workgroup_size: 256
    .name:           _ZL37rocblas_syrkx_herkx_restricted_kernelIidLi16ELi32ELi8ELi1ELin1ELb0ELc84ELc85EKddEviT_PT9_S1_lS3_S1_lPT10_S1_li
    .private_segment_fixed_size: 0
    .sgpr_count:     26
    .sgpr_spill_count: 0
    .symbol:         _ZL37rocblas_syrkx_herkx_restricted_kernelIidLi16ELi32ELi8ELi1ELin1ELb0ELc84ELc85EKddEviT_PT9_S1_lS3_S1_lPT10_S1_li.kd
    .uniform_work_group_size: 1
    .uses_dynamic_stack: false
    .vgpr_count:     32
    .vgpr_spill_count: 0
    .wavefront_size: 64
  - .args:
      - .offset:         0
        .size:           4
        .value_kind:     by_value
      - .offset:         4
        .size:           4
        .value_kind:     by_value
      - .address_space:  global
        .offset:         8
        .size:           8
        .value_kind:     global_buffer
      - .offset:         16
        .size:           4
        .value_kind:     by_value
      - .offset:         24
        .size:           8
        .value_kind:     by_value
      - .address_space:  global
        .offset:         32
        .size:           8
        .value_kind:     global_buffer
      - .offset:         40
        .size:           4
        .value_kind:     by_value
      - .offset:         48
        .size:           8
        .value_kind:     by_value
      - .address_space:  global
        .offset:         56
        .size:           8
        .value_kind:     global_buffer
      - .offset:         64
        .size:           4
        .value_kind:     by_value
      - .offset:         72
        .size:           8
        .value_kind:     by_value
      - .offset:         80
        .size:           4
        .value_kind:     by_value
    .group_segment_fixed_size: 4096
    .kernarg_segment_align: 8
    .kernarg_segment_size: 84
    .language:       OpenCL C
    .language_version:
      - 2
      - 0
    .max_flat_workgroup_size: 256
    .name:           _ZL37rocblas_syrkx_herkx_restricted_kernelIidLi16ELi32ELi8ELi1ELin1ELb0ELc67ELc85EKddEviT_PT9_S1_lS3_S1_lPT10_S1_li
    .private_segment_fixed_size: 0
    .sgpr_count:     26
    .sgpr_spill_count: 0
    .symbol:         _ZL37rocblas_syrkx_herkx_restricted_kernelIidLi16ELi32ELi8ELi1ELin1ELb0ELc67ELc85EKddEviT_PT9_S1_lS3_S1_lPT10_S1_li.kd
    .uniform_work_group_size: 1
    .uses_dynamic_stack: false
    .vgpr_count:     32
    .vgpr_spill_count: 0
    .wavefront_size: 64
  - .args:
      - .offset:         0
        .size:           4
        .value_kind:     by_value
      - .offset:         4
        .size:           4
        .value_kind:     by_value
      - .address_space:  global
        .offset:         8
        .size:           8
        .value_kind:     global_buffer
      - .offset:         16
        .size:           4
        .value_kind:     by_value
      - .offset:         24
        .size:           8
        .value_kind:     by_value
      - .address_space:  global
        .offset:         32
        .size:           8
        .value_kind:     global_buffer
      - .offset:         40
        .size:           4
        .value_kind:     by_value
      - .offset:         48
        .size:           8
        .value_kind:     by_value
      - .address_space:  global
        .offset:         56
        .size:           8
        .value_kind:     global_buffer
      - .offset:         64
        .size:           4
        .value_kind:     by_value
      - .offset:         72
        .size:           8
        .value_kind:     by_value
      - .offset:         80
        .size:           4
        .value_kind:     by_value
    .group_segment_fixed_size: 4096
    .kernarg_segment_align: 8
    .kernarg_segment_size: 84
    .language:       OpenCL C
    .language_version:
      - 2
      - 0
    .max_flat_workgroup_size: 256
    .name:           _ZL37rocblas_syrkx_herkx_restricted_kernelIidLi16ELi32ELi8ELi1ELin1ELb0ELc78ELc85EKddEviT_PT9_S1_lS3_S1_lPT10_S1_li
    .private_segment_fixed_size: 0
    .sgpr_count:     29
    .sgpr_spill_count: 0
    .symbol:         _ZL37rocblas_syrkx_herkx_restricted_kernelIidLi16ELi32ELi8ELi1ELin1ELb0ELc78ELc85EKddEviT_PT9_S1_lS3_S1_lPT10_S1_li.kd
    .uniform_work_group_size: 1
    .uses_dynamic_stack: false
    .vgpr_count:     32
    .vgpr_spill_count: 0
    .wavefront_size: 64
  - .args:
      - .offset:         0
        .size:           4
        .value_kind:     by_value
      - .offset:         4
        .size:           4
        .value_kind:     by_value
      - .address_space:  global
        .offset:         8
        .size:           8
        .value_kind:     global_buffer
      - .offset:         16
        .size:           4
        .value_kind:     by_value
      - .offset:         24
        .size:           8
        .value_kind:     by_value
      - .address_space:  global
        .offset:         32
        .size:           8
        .value_kind:     global_buffer
      - .offset:         40
        .size:           4
        .value_kind:     by_value
      - .offset:         48
        .size:           8
        .value_kind:     by_value
      - .address_space:  global
        .offset:         56
        .size:           8
        .value_kind:     global_buffer
      - .offset:         64
        .size:           4
        .value_kind:     by_value
      - .offset:         72
        .size:           8
        .value_kind:     by_value
      - .offset:         80
        .size:           4
        .value_kind:     by_value
    .group_segment_fixed_size: 4096
    .kernarg_segment_align: 8
    .kernarg_segment_size: 84
    .language:       OpenCL C
    .language_version:
      - 2
      - 0
    .max_flat_workgroup_size: 256
    .name:           _ZL37rocblas_syrkx_herkx_restricted_kernelIidLi16ELi32ELi8ELi1ELi0ELb0ELc84ELc76EKddEviT_PT9_S1_lS3_S1_lPT10_S1_li
    .private_segment_fixed_size: 0
    .sgpr_count:     26
    .sgpr_spill_count: 0
    .symbol:         _ZL37rocblas_syrkx_herkx_restricted_kernelIidLi16ELi32ELi8ELi1ELi0ELb0ELc84ELc76EKddEviT_PT9_S1_lS3_S1_lPT10_S1_li.kd
    .uniform_work_group_size: 1
    .uses_dynamic_stack: false
    .vgpr_count:     32
    .vgpr_spill_count: 0
    .wavefront_size: 64
  - .args:
      - .offset:         0
        .size:           4
        .value_kind:     by_value
      - .offset:         4
        .size:           4
        .value_kind:     by_value
      - .address_space:  global
        .offset:         8
        .size:           8
        .value_kind:     global_buffer
      - .offset:         16
        .size:           4
        .value_kind:     by_value
      - .offset:         24
        .size:           8
        .value_kind:     by_value
      - .address_space:  global
        .offset:         32
        .size:           8
        .value_kind:     global_buffer
      - .offset:         40
        .size:           4
        .value_kind:     by_value
      - .offset:         48
        .size:           8
        .value_kind:     by_value
      - .address_space:  global
        .offset:         56
        .size:           8
        .value_kind:     global_buffer
      - .offset:         64
        .size:           4
        .value_kind:     by_value
      - .offset:         72
        .size:           8
        .value_kind:     by_value
      - .offset:         80
        .size:           4
        .value_kind:     by_value
    .group_segment_fixed_size: 4096
    .kernarg_segment_align: 8
    .kernarg_segment_size: 84
    .language:       OpenCL C
    .language_version:
      - 2
      - 0
    .max_flat_workgroup_size: 256
    .name:           _ZL37rocblas_syrkx_herkx_restricted_kernelIidLi16ELi32ELi8ELi1ELi0ELb0ELc67ELc76EKddEviT_PT9_S1_lS3_S1_lPT10_S1_li
    .private_segment_fixed_size: 0
    .sgpr_count:     26
    .sgpr_spill_count: 0
    .symbol:         _ZL37rocblas_syrkx_herkx_restricted_kernelIidLi16ELi32ELi8ELi1ELi0ELb0ELc67ELc76EKddEviT_PT9_S1_lS3_S1_lPT10_S1_li.kd
    .uniform_work_group_size: 1
    .uses_dynamic_stack: false
    .vgpr_count:     32
    .vgpr_spill_count: 0
    .wavefront_size: 64
  - .args:
      - .offset:         0
        .size:           4
        .value_kind:     by_value
      - .offset:         4
        .size:           4
        .value_kind:     by_value
      - .address_space:  global
        .offset:         8
        .size:           8
        .value_kind:     global_buffer
      - .offset:         16
        .size:           4
        .value_kind:     by_value
      - .offset:         24
        .size:           8
        .value_kind:     by_value
      - .address_space:  global
        .offset:         32
        .size:           8
        .value_kind:     global_buffer
      - .offset:         40
        .size:           4
        .value_kind:     by_value
      - .offset:         48
        .size:           8
        .value_kind:     by_value
      - .address_space:  global
        .offset:         56
        .size:           8
        .value_kind:     global_buffer
      - .offset:         64
        .size:           4
        .value_kind:     by_value
      - .offset:         72
        .size:           8
        .value_kind:     by_value
      - .offset:         80
        .size:           4
        .value_kind:     by_value
    .group_segment_fixed_size: 4096
    .kernarg_segment_align: 8
    .kernarg_segment_size: 84
    .language:       OpenCL C
    .language_version:
      - 2
      - 0
    .max_flat_workgroup_size: 256
    .name:           _ZL37rocblas_syrkx_herkx_restricted_kernelIidLi16ELi32ELi8ELi1ELi0ELb0ELc78ELc76EKddEviT_PT9_S1_lS3_S1_lPT10_S1_li
    .private_segment_fixed_size: 0
    .sgpr_count:     29
    .sgpr_spill_count: 0
    .symbol:         _ZL37rocblas_syrkx_herkx_restricted_kernelIidLi16ELi32ELi8ELi1ELi0ELb0ELc78ELc76EKddEviT_PT9_S1_lS3_S1_lPT10_S1_li.kd
    .uniform_work_group_size: 1
    .uses_dynamic_stack: false
    .vgpr_count:     34
    .vgpr_spill_count: 0
    .wavefront_size: 64
  - .args:
      - .offset:         0
        .size:           4
        .value_kind:     by_value
      - .offset:         4
        .size:           4
        .value_kind:     by_value
      - .address_space:  global
        .offset:         8
        .size:           8
        .value_kind:     global_buffer
      - .offset:         16
        .size:           4
        .value_kind:     by_value
      - .offset:         24
        .size:           8
        .value_kind:     by_value
      - .address_space:  global
        .offset:         32
        .size:           8
        .value_kind:     global_buffer
      - .offset:         40
        .size:           4
        .value_kind:     by_value
      - .offset:         48
        .size:           8
        .value_kind:     by_value
      - .address_space:  global
        .offset:         56
        .size:           8
        .value_kind:     global_buffer
      - .offset:         64
        .size:           4
        .value_kind:     by_value
      - .offset:         72
        .size:           8
        .value_kind:     by_value
      - .offset:         80
        .size:           4
        .value_kind:     by_value
    .group_segment_fixed_size: 4096
    .kernarg_segment_align: 8
    .kernarg_segment_size: 84
    .language:       OpenCL C
    .language_version:
      - 2
      - 0
    .max_flat_workgroup_size: 256
    .name:           _ZL37rocblas_syrkx_herkx_restricted_kernelIidLi16ELi32ELi8ELi1ELi0ELb0ELc84ELc85EKddEviT_PT9_S1_lS3_S1_lPT10_S1_li
    .private_segment_fixed_size: 0
    .sgpr_count:     26
    .sgpr_spill_count: 0
    .symbol:         _ZL37rocblas_syrkx_herkx_restricted_kernelIidLi16ELi32ELi8ELi1ELi0ELb0ELc84ELc85EKddEviT_PT9_S1_lS3_S1_lPT10_S1_li.kd
    .uniform_work_group_size: 1
    .uses_dynamic_stack: false
    .vgpr_count:     32
    .vgpr_spill_count: 0
    .wavefront_size: 64
  - .args:
      - .offset:         0
        .size:           4
        .value_kind:     by_value
      - .offset:         4
        .size:           4
        .value_kind:     by_value
      - .address_space:  global
        .offset:         8
        .size:           8
        .value_kind:     global_buffer
      - .offset:         16
        .size:           4
        .value_kind:     by_value
      - .offset:         24
        .size:           8
        .value_kind:     by_value
      - .address_space:  global
        .offset:         32
        .size:           8
        .value_kind:     global_buffer
      - .offset:         40
        .size:           4
        .value_kind:     by_value
      - .offset:         48
        .size:           8
        .value_kind:     by_value
      - .address_space:  global
        .offset:         56
        .size:           8
        .value_kind:     global_buffer
      - .offset:         64
        .size:           4
        .value_kind:     by_value
      - .offset:         72
        .size:           8
        .value_kind:     by_value
      - .offset:         80
        .size:           4
        .value_kind:     by_value
    .group_segment_fixed_size: 4096
    .kernarg_segment_align: 8
    .kernarg_segment_size: 84
    .language:       OpenCL C
    .language_version:
      - 2
      - 0
    .max_flat_workgroup_size: 256
    .name:           _ZL37rocblas_syrkx_herkx_restricted_kernelIidLi16ELi32ELi8ELi1ELi0ELb0ELc67ELc85EKddEviT_PT9_S1_lS3_S1_lPT10_S1_li
    .private_segment_fixed_size: 0
    .sgpr_count:     26
    .sgpr_spill_count: 0
    .symbol:         _ZL37rocblas_syrkx_herkx_restricted_kernelIidLi16ELi32ELi8ELi1ELi0ELb0ELc67ELc85EKddEviT_PT9_S1_lS3_S1_lPT10_S1_li.kd
    .uniform_work_group_size: 1
    .uses_dynamic_stack: false
    .vgpr_count:     32
    .vgpr_spill_count: 0
    .wavefront_size: 64
  - .args:
      - .offset:         0
        .size:           4
        .value_kind:     by_value
      - .offset:         4
        .size:           4
        .value_kind:     by_value
      - .address_space:  global
        .offset:         8
        .size:           8
        .value_kind:     global_buffer
      - .offset:         16
        .size:           4
        .value_kind:     by_value
      - .offset:         24
        .size:           8
        .value_kind:     by_value
      - .address_space:  global
        .offset:         32
        .size:           8
        .value_kind:     global_buffer
      - .offset:         40
        .size:           4
        .value_kind:     by_value
      - .offset:         48
        .size:           8
        .value_kind:     by_value
      - .address_space:  global
        .offset:         56
        .size:           8
        .value_kind:     global_buffer
      - .offset:         64
        .size:           4
        .value_kind:     by_value
      - .offset:         72
        .size:           8
        .value_kind:     by_value
      - .offset:         80
        .size:           4
        .value_kind:     by_value
    .group_segment_fixed_size: 4096
    .kernarg_segment_align: 8
    .kernarg_segment_size: 84
    .language:       OpenCL C
    .language_version:
      - 2
      - 0
    .max_flat_workgroup_size: 256
    .name:           _ZL37rocblas_syrkx_herkx_restricted_kernelIidLi16ELi32ELi8ELi1ELi0ELb0ELc78ELc85EKddEviT_PT9_S1_lS3_S1_lPT10_S1_li
    .private_segment_fixed_size: 0
    .sgpr_count:     29
    .sgpr_spill_count: 0
    .symbol:         _ZL37rocblas_syrkx_herkx_restricted_kernelIidLi16ELi32ELi8ELi1ELi0ELb0ELc78ELc85EKddEviT_PT9_S1_lS3_S1_lPT10_S1_li.kd
    .uniform_work_group_size: 1
    .uses_dynamic_stack: false
    .vgpr_count:     34
    .vgpr_spill_count: 0
    .wavefront_size: 64
  - .args:
      - .offset:         0
        .size:           4
        .value_kind:     by_value
      - .offset:         4
        .size:           4
        .value_kind:     by_value
      - .address_space:  global
        .offset:         8
        .size:           8
        .value_kind:     global_buffer
      - .offset:         16
        .size:           4
        .value_kind:     by_value
      - .offset:         24
        .size:           8
        .value_kind:     by_value
      - .address_space:  global
        .offset:         32
        .size:           8
        .value_kind:     global_buffer
      - .offset:         40
        .size:           4
        .value_kind:     by_value
      - .offset:         48
        .size:           8
        .value_kind:     by_value
      - .address_space:  global
        .offset:         56
        .size:           8
        .value_kind:     global_buffer
      - .offset:         64
        .size:           4
        .value_kind:     by_value
      - .offset:         72
        .size:           8
        .value_kind:     by_value
      - .offset:         80
        .size:           4
        .value_kind:     by_value
    .group_segment_fixed_size: 4096
    .kernarg_segment_align: 8
    .kernarg_segment_size: 84
    .language:       OpenCL C
    .language_version:
      - 2
      - 0
    .max_flat_workgroup_size: 256
    .name:           _ZL37rocblas_syrkx_herkx_restricted_kernelIidLi16ELi32ELi8ELin1ELi0ELb0ELc84ELc76EKddEviT_PT9_S1_lS3_S1_lPT10_S1_li
    .private_segment_fixed_size: 0
    .sgpr_count:     26
    .sgpr_spill_count: 0
    .symbol:         _ZL37rocblas_syrkx_herkx_restricted_kernelIidLi16ELi32ELi8ELin1ELi0ELb0ELc84ELc76EKddEviT_PT9_S1_lS3_S1_lPT10_S1_li.kd
    .uniform_work_group_size: 1
    .uses_dynamic_stack: false
    .vgpr_count:     32
    .vgpr_spill_count: 0
    .wavefront_size: 64
  - .args:
      - .offset:         0
        .size:           4
        .value_kind:     by_value
      - .offset:         4
        .size:           4
        .value_kind:     by_value
      - .address_space:  global
        .offset:         8
        .size:           8
        .value_kind:     global_buffer
      - .offset:         16
        .size:           4
        .value_kind:     by_value
      - .offset:         24
        .size:           8
        .value_kind:     by_value
      - .address_space:  global
        .offset:         32
        .size:           8
        .value_kind:     global_buffer
      - .offset:         40
        .size:           4
        .value_kind:     by_value
      - .offset:         48
        .size:           8
        .value_kind:     by_value
      - .address_space:  global
        .offset:         56
        .size:           8
        .value_kind:     global_buffer
      - .offset:         64
        .size:           4
        .value_kind:     by_value
      - .offset:         72
        .size:           8
        .value_kind:     by_value
      - .offset:         80
        .size:           4
        .value_kind:     by_value
    .group_segment_fixed_size: 4096
    .kernarg_segment_align: 8
    .kernarg_segment_size: 84
    .language:       OpenCL C
    .language_version:
      - 2
      - 0
    .max_flat_workgroup_size: 256
    .name:           _ZL37rocblas_syrkx_herkx_restricted_kernelIidLi16ELi32ELi8ELin1ELi0ELb0ELc67ELc76EKddEviT_PT9_S1_lS3_S1_lPT10_S1_li
    .private_segment_fixed_size: 0
    .sgpr_count:     26
    .sgpr_spill_count: 0
    .symbol:         _ZL37rocblas_syrkx_herkx_restricted_kernelIidLi16ELi32ELi8ELin1ELi0ELb0ELc67ELc76EKddEviT_PT9_S1_lS3_S1_lPT10_S1_li.kd
    .uniform_work_group_size: 1
    .uses_dynamic_stack: false
    .vgpr_count:     32
    .vgpr_spill_count: 0
    .wavefront_size: 64
  - .args:
      - .offset:         0
        .size:           4
        .value_kind:     by_value
      - .offset:         4
        .size:           4
        .value_kind:     by_value
      - .address_space:  global
        .offset:         8
        .size:           8
        .value_kind:     global_buffer
      - .offset:         16
        .size:           4
        .value_kind:     by_value
      - .offset:         24
        .size:           8
        .value_kind:     by_value
      - .address_space:  global
        .offset:         32
        .size:           8
        .value_kind:     global_buffer
      - .offset:         40
        .size:           4
        .value_kind:     by_value
      - .offset:         48
        .size:           8
        .value_kind:     by_value
      - .address_space:  global
        .offset:         56
        .size:           8
        .value_kind:     global_buffer
      - .offset:         64
        .size:           4
        .value_kind:     by_value
      - .offset:         72
        .size:           8
        .value_kind:     by_value
      - .offset:         80
        .size:           4
        .value_kind:     by_value
    .group_segment_fixed_size: 4096
    .kernarg_segment_align: 8
    .kernarg_segment_size: 84
    .language:       OpenCL C
    .language_version:
      - 2
      - 0
    .max_flat_workgroup_size: 256
    .name:           _ZL37rocblas_syrkx_herkx_restricted_kernelIidLi16ELi32ELi8ELin1ELi0ELb0ELc78ELc76EKddEviT_PT9_S1_lS3_S1_lPT10_S1_li
    .private_segment_fixed_size: 0
    .sgpr_count:     29
    .sgpr_spill_count: 0
    .symbol:         _ZL37rocblas_syrkx_herkx_restricted_kernelIidLi16ELi32ELi8ELin1ELi0ELb0ELc78ELc76EKddEviT_PT9_S1_lS3_S1_lPT10_S1_li.kd
    .uniform_work_group_size: 1
    .uses_dynamic_stack: false
    .vgpr_count:     32
    .vgpr_spill_count: 0
    .wavefront_size: 64
  - .args:
      - .offset:         0
        .size:           4
        .value_kind:     by_value
      - .offset:         4
        .size:           4
        .value_kind:     by_value
      - .address_space:  global
        .offset:         8
        .size:           8
        .value_kind:     global_buffer
      - .offset:         16
        .size:           4
        .value_kind:     by_value
      - .offset:         24
        .size:           8
        .value_kind:     by_value
      - .address_space:  global
        .offset:         32
        .size:           8
        .value_kind:     global_buffer
      - .offset:         40
        .size:           4
        .value_kind:     by_value
      - .offset:         48
        .size:           8
        .value_kind:     by_value
      - .address_space:  global
        .offset:         56
        .size:           8
        .value_kind:     global_buffer
      - .offset:         64
        .size:           4
        .value_kind:     by_value
      - .offset:         72
        .size:           8
        .value_kind:     by_value
      - .offset:         80
        .size:           4
        .value_kind:     by_value
    .group_segment_fixed_size: 4096
    .kernarg_segment_align: 8
    .kernarg_segment_size: 84
    .language:       OpenCL C
    .language_version:
      - 2
      - 0
    .max_flat_workgroup_size: 256
    .name:           _ZL37rocblas_syrkx_herkx_restricted_kernelIidLi16ELi32ELi8ELin1ELi0ELb0ELc84ELc85EKddEviT_PT9_S1_lS3_S1_lPT10_S1_li
    .private_segment_fixed_size: 0
    .sgpr_count:     26
    .sgpr_spill_count: 0
    .symbol:         _ZL37rocblas_syrkx_herkx_restricted_kernelIidLi16ELi32ELi8ELin1ELi0ELb0ELc84ELc85EKddEviT_PT9_S1_lS3_S1_lPT10_S1_li.kd
    .uniform_work_group_size: 1
    .uses_dynamic_stack: false
    .vgpr_count:     32
    .vgpr_spill_count: 0
    .wavefront_size: 64
  - .args:
      - .offset:         0
        .size:           4
        .value_kind:     by_value
      - .offset:         4
        .size:           4
        .value_kind:     by_value
      - .address_space:  global
        .offset:         8
        .size:           8
        .value_kind:     global_buffer
      - .offset:         16
        .size:           4
        .value_kind:     by_value
      - .offset:         24
        .size:           8
        .value_kind:     by_value
      - .address_space:  global
        .offset:         32
        .size:           8
        .value_kind:     global_buffer
      - .offset:         40
        .size:           4
        .value_kind:     by_value
      - .offset:         48
        .size:           8
        .value_kind:     by_value
      - .address_space:  global
        .offset:         56
        .size:           8
        .value_kind:     global_buffer
      - .offset:         64
        .size:           4
        .value_kind:     by_value
      - .offset:         72
        .size:           8
        .value_kind:     by_value
      - .offset:         80
        .size:           4
        .value_kind:     by_value
    .group_segment_fixed_size: 4096
    .kernarg_segment_align: 8
    .kernarg_segment_size: 84
    .language:       OpenCL C
    .language_version:
      - 2
      - 0
    .max_flat_workgroup_size: 256
    .name:           _ZL37rocblas_syrkx_herkx_restricted_kernelIidLi16ELi32ELi8ELin1ELi0ELb0ELc67ELc85EKddEviT_PT9_S1_lS3_S1_lPT10_S1_li
    .private_segment_fixed_size: 0
    .sgpr_count:     26
    .sgpr_spill_count: 0
    .symbol:         _ZL37rocblas_syrkx_herkx_restricted_kernelIidLi16ELi32ELi8ELin1ELi0ELb0ELc67ELc85EKddEviT_PT9_S1_lS3_S1_lPT10_S1_li.kd
    .uniform_work_group_size: 1
    .uses_dynamic_stack: false
    .vgpr_count:     32
    .vgpr_spill_count: 0
    .wavefront_size: 64
  - .args:
      - .offset:         0
        .size:           4
        .value_kind:     by_value
      - .offset:         4
        .size:           4
        .value_kind:     by_value
      - .address_space:  global
        .offset:         8
        .size:           8
        .value_kind:     global_buffer
      - .offset:         16
        .size:           4
        .value_kind:     by_value
      - .offset:         24
        .size:           8
        .value_kind:     by_value
      - .address_space:  global
        .offset:         32
        .size:           8
        .value_kind:     global_buffer
      - .offset:         40
        .size:           4
        .value_kind:     by_value
      - .offset:         48
        .size:           8
        .value_kind:     by_value
      - .address_space:  global
        .offset:         56
        .size:           8
        .value_kind:     global_buffer
      - .offset:         64
        .size:           4
        .value_kind:     by_value
      - .offset:         72
        .size:           8
        .value_kind:     by_value
      - .offset:         80
        .size:           4
        .value_kind:     by_value
    .group_segment_fixed_size: 4096
    .kernarg_segment_align: 8
    .kernarg_segment_size: 84
    .language:       OpenCL C
    .language_version:
      - 2
      - 0
    .max_flat_workgroup_size: 256
    .name:           _ZL37rocblas_syrkx_herkx_restricted_kernelIidLi16ELi32ELi8ELin1ELi0ELb0ELc78ELc85EKddEviT_PT9_S1_lS3_S1_lPT10_S1_li
    .private_segment_fixed_size: 0
    .sgpr_count:     29
    .sgpr_spill_count: 0
    .symbol:         _ZL37rocblas_syrkx_herkx_restricted_kernelIidLi16ELi32ELi8ELin1ELi0ELb0ELc78ELc85EKddEviT_PT9_S1_lS3_S1_lPT10_S1_li.kd
    .uniform_work_group_size: 1
    .uses_dynamic_stack: false
    .vgpr_count:     32
    .vgpr_spill_count: 0
    .wavefront_size: 64
  - .args:
      - .offset:         0
        .size:           4
        .value_kind:     by_value
      - .offset:         4
        .size:           4
        .value_kind:     by_value
      - .offset:         8
        .size:           8
        .value_kind:     by_value
      - .address_space:  global
        .offset:         16
        .size:           8
        .value_kind:     global_buffer
      - .offset:         24
        .size:           4
        .value_kind:     by_value
      - .offset:         32
        .size:           8
        .value_kind:     by_value
      - .address_space:  global
        .offset:         40
        .size:           8
        .value_kind:     global_buffer
      - .offset:         48
        .size:           4
        .value_kind:     by_value
      - .offset:         56
        .size:           8
        .value_kind:     by_value
      - .offset:         64
        .size:           8
        .value_kind:     by_value
      - .address_space:  global
        .offset:         72
        .size:           8
        .value_kind:     global_buffer
      - .offset:         80
        .size:           4
        .value_kind:     by_value
      - .offset:         88
        .size:           8
        .value_kind:     by_value
      - .offset:         96
        .size:           4
        .value_kind:     by_value
    .group_segment_fixed_size: 4096
    .kernarg_segment_align: 8
    .kernarg_segment_size: 100
    .language:       OpenCL C
    .language_version:
      - 2
      - 0
    .max_flat_workgroup_size: 256
    .name:           _ZL37rocblas_syrkx_herkx_restricted_kernelIidLi16ELi32ELi8ELb1ELb0ELc84ELc76EKddEviT_T0_PT8_S1_lS4_S1_lS2_PT9_S1_li
    .private_segment_fixed_size: 0
    .sgpr_count:     26
    .sgpr_spill_count: 0
    .symbol:         _ZL37rocblas_syrkx_herkx_restricted_kernelIidLi16ELi32ELi8ELb1ELb0ELc84ELc76EKddEviT_T0_PT8_S1_lS4_S1_lS2_PT9_S1_li.kd
    .uniform_work_group_size: 1
    .uses_dynamic_stack: false
    .vgpr_count:     32
    .vgpr_spill_count: 0
    .wavefront_size: 64
  - .args:
      - .offset:         0
        .size:           4
        .value_kind:     by_value
      - .offset:         4
        .size:           4
        .value_kind:     by_value
      - .offset:         8
        .size:           8
        .value_kind:     by_value
      - .address_space:  global
        .offset:         16
        .size:           8
        .value_kind:     global_buffer
      - .offset:         24
        .size:           4
        .value_kind:     by_value
      - .offset:         32
        .size:           8
        .value_kind:     by_value
      - .address_space:  global
        .offset:         40
        .size:           8
        .value_kind:     global_buffer
      - .offset:         48
        .size:           4
        .value_kind:     by_value
      - .offset:         56
        .size:           8
        .value_kind:     by_value
      - .offset:         64
        .size:           8
        .value_kind:     by_value
      - .address_space:  global
        .offset:         72
        .size:           8
        .value_kind:     global_buffer
      - .offset:         80
        .size:           4
        .value_kind:     by_value
      - .offset:         88
        .size:           8
        .value_kind:     by_value
      - .offset:         96
        .size:           4
        .value_kind:     by_value
    .group_segment_fixed_size: 4096
    .kernarg_segment_align: 8
    .kernarg_segment_size: 100
    .language:       OpenCL C
    .language_version:
      - 2
      - 0
    .max_flat_workgroup_size: 256
    .name:           _ZL37rocblas_syrkx_herkx_restricted_kernelIidLi16ELi32ELi8ELb1ELb0ELc67ELc76EKddEviT_T0_PT8_S1_lS4_S1_lS2_PT9_S1_li
    .private_segment_fixed_size: 0
    .sgpr_count:     26
    .sgpr_spill_count: 0
    .symbol:         _ZL37rocblas_syrkx_herkx_restricted_kernelIidLi16ELi32ELi8ELb1ELb0ELc67ELc76EKddEviT_T0_PT8_S1_lS4_S1_lS2_PT9_S1_li.kd
    .uniform_work_group_size: 1
    .uses_dynamic_stack: false
    .vgpr_count:     32
    .vgpr_spill_count: 0
    .wavefront_size: 64
  - .args:
      - .offset:         0
        .size:           4
        .value_kind:     by_value
      - .offset:         4
        .size:           4
        .value_kind:     by_value
      - .offset:         8
        .size:           8
        .value_kind:     by_value
      - .address_space:  global
        .offset:         16
        .size:           8
        .value_kind:     global_buffer
      - .offset:         24
        .size:           4
        .value_kind:     by_value
      - .offset:         32
        .size:           8
        .value_kind:     by_value
      - .address_space:  global
        .offset:         40
        .size:           8
        .value_kind:     global_buffer
      - .offset:         48
        .size:           4
        .value_kind:     by_value
      - .offset:         56
        .size:           8
        .value_kind:     by_value
      - .offset:         64
        .size:           8
        .value_kind:     by_value
      - .address_space:  global
        .offset:         72
        .size:           8
        .value_kind:     global_buffer
      - .offset:         80
        .size:           4
        .value_kind:     by_value
      - .offset:         88
        .size:           8
        .value_kind:     by_value
      - .offset:         96
        .size:           4
        .value_kind:     by_value
    .group_segment_fixed_size: 4096
    .kernarg_segment_align: 8
    .kernarg_segment_size: 100
    .language:       OpenCL C
    .language_version:
      - 2
      - 0
    .max_flat_workgroup_size: 256
    .name:           _ZL37rocblas_syrkx_herkx_restricted_kernelIidLi16ELi32ELi8ELb1ELb0ELc78ELc76EKddEviT_T0_PT8_S1_lS4_S1_lS2_PT9_S1_li
    .private_segment_fixed_size: 0
    .sgpr_count:     29
    .sgpr_spill_count: 0
    .symbol:         _ZL37rocblas_syrkx_herkx_restricted_kernelIidLi16ELi32ELi8ELb1ELb0ELc78ELc76EKddEviT_T0_PT8_S1_lS4_S1_lS2_PT9_S1_li.kd
    .uniform_work_group_size: 1
    .uses_dynamic_stack: false
    .vgpr_count:     34
    .vgpr_spill_count: 0
    .wavefront_size: 64
  - .args:
      - .offset:         0
        .size:           4
        .value_kind:     by_value
      - .offset:         4
        .size:           4
        .value_kind:     by_value
      - .offset:         8
        .size:           8
        .value_kind:     by_value
      - .address_space:  global
        .offset:         16
        .size:           8
        .value_kind:     global_buffer
      - .offset:         24
        .size:           4
        .value_kind:     by_value
      - .offset:         32
        .size:           8
        .value_kind:     by_value
      - .address_space:  global
        .offset:         40
        .size:           8
        .value_kind:     global_buffer
      - .offset:         48
        .size:           4
        .value_kind:     by_value
      - .offset:         56
        .size:           8
        .value_kind:     by_value
      - .offset:         64
        .size:           8
        .value_kind:     by_value
      - .address_space:  global
        .offset:         72
        .size:           8
        .value_kind:     global_buffer
      - .offset:         80
        .size:           4
        .value_kind:     by_value
      - .offset:         88
        .size:           8
        .value_kind:     by_value
      - .offset:         96
        .size:           4
        .value_kind:     by_value
    .group_segment_fixed_size: 4096
    .kernarg_segment_align: 8
    .kernarg_segment_size: 100
    .language:       OpenCL C
    .language_version:
      - 2
      - 0
    .max_flat_workgroup_size: 256
    .name:           _ZL37rocblas_syrkx_herkx_restricted_kernelIidLi16ELi32ELi8ELb1ELb0ELc84ELc85EKddEviT_T0_PT8_S1_lS4_S1_lS2_PT9_S1_li
    .private_segment_fixed_size: 0
    .sgpr_count:     26
    .sgpr_spill_count: 0
    .symbol:         _ZL37rocblas_syrkx_herkx_restricted_kernelIidLi16ELi32ELi8ELb1ELb0ELc84ELc85EKddEviT_T0_PT8_S1_lS4_S1_lS2_PT9_S1_li.kd
    .uniform_work_group_size: 1
    .uses_dynamic_stack: false
    .vgpr_count:     32
    .vgpr_spill_count: 0
    .wavefront_size: 64
  - .args:
      - .offset:         0
        .size:           4
        .value_kind:     by_value
      - .offset:         4
        .size:           4
        .value_kind:     by_value
      - .offset:         8
        .size:           8
        .value_kind:     by_value
      - .address_space:  global
        .offset:         16
        .size:           8
        .value_kind:     global_buffer
      - .offset:         24
        .size:           4
        .value_kind:     by_value
      - .offset:         32
        .size:           8
        .value_kind:     by_value
      - .address_space:  global
        .offset:         40
        .size:           8
        .value_kind:     global_buffer
      - .offset:         48
        .size:           4
        .value_kind:     by_value
      - .offset:         56
        .size:           8
        .value_kind:     by_value
      - .offset:         64
        .size:           8
        .value_kind:     by_value
      - .address_space:  global
        .offset:         72
        .size:           8
        .value_kind:     global_buffer
      - .offset:         80
        .size:           4
        .value_kind:     by_value
      - .offset:         88
        .size:           8
        .value_kind:     by_value
      - .offset:         96
        .size:           4
        .value_kind:     by_value
    .group_segment_fixed_size: 4096
    .kernarg_segment_align: 8
    .kernarg_segment_size: 100
    .language:       OpenCL C
    .language_version:
      - 2
      - 0
    .max_flat_workgroup_size: 256
    .name:           _ZL37rocblas_syrkx_herkx_restricted_kernelIidLi16ELi32ELi8ELb1ELb0ELc67ELc85EKddEviT_T0_PT8_S1_lS4_S1_lS2_PT9_S1_li
    .private_segment_fixed_size: 0
    .sgpr_count:     26
    .sgpr_spill_count: 0
    .symbol:         _ZL37rocblas_syrkx_herkx_restricted_kernelIidLi16ELi32ELi8ELb1ELb0ELc67ELc85EKddEviT_T0_PT8_S1_lS4_S1_lS2_PT9_S1_li.kd
    .uniform_work_group_size: 1
    .uses_dynamic_stack: false
    .vgpr_count:     32
    .vgpr_spill_count: 0
    .wavefront_size: 64
  - .args:
      - .offset:         0
        .size:           4
        .value_kind:     by_value
      - .offset:         4
        .size:           4
        .value_kind:     by_value
      - .offset:         8
        .size:           8
        .value_kind:     by_value
      - .address_space:  global
        .offset:         16
        .size:           8
        .value_kind:     global_buffer
      - .offset:         24
        .size:           4
        .value_kind:     by_value
      - .offset:         32
        .size:           8
        .value_kind:     by_value
      - .address_space:  global
        .offset:         40
        .size:           8
        .value_kind:     global_buffer
      - .offset:         48
        .size:           4
        .value_kind:     by_value
      - .offset:         56
        .size:           8
        .value_kind:     by_value
      - .offset:         64
        .size:           8
        .value_kind:     by_value
      - .address_space:  global
        .offset:         72
        .size:           8
        .value_kind:     global_buffer
      - .offset:         80
        .size:           4
        .value_kind:     by_value
      - .offset:         88
        .size:           8
        .value_kind:     by_value
      - .offset:         96
        .size:           4
        .value_kind:     by_value
    .group_segment_fixed_size: 4096
    .kernarg_segment_align: 8
    .kernarg_segment_size: 100
    .language:       OpenCL C
    .language_version:
      - 2
      - 0
    .max_flat_workgroup_size: 256
    .name:           _ZL37rocblas_syrkx_herkx_restricted_kernelIidLi16ELi32ELi8ELb1ELb0ELc78ELc85EKddEviT_T0_PT8_S1_lS4_S1_lS2_PT9_S1_li
    .private_segment_fixed_size: 0
    .sgpr_count:     29
    .sgpr_spill_count: 0
    .symbol:         _ZL37rocblas_syrkx_herkx_restricted_kernelIidLi16ELi32ELi8ELb1ELb0ELc78ELc85EKddEviT_T0_PT8_S1_lS4_S1_lS2_PT9_S1_li.kd
    .uniform_work_group_size: 1
    .uses_dynamic_stack: false
    .vgpr_count:     34
    .vgpr_spill_count: 0
    .wavefront_size: 64
  - .args:
      - .offset:         0
        .size:           4
        .value_kind:     by_value
      - .offset:         4
        .size:           4
        .value_kind:     by_value
      - .offset:         8
        .size:           8
        .value_kind:     by_value
      - .address_space:  global
        .offset:         16
        .size:           8
        .value_kind:     global_buffer
      - .offset:         24
        .size:           4
        .value_kind:     by_value
      - .offset:         32
        .size:           8
        .value_kind:     by_value
      - .address_space:  global
        .offset:         40
        .size:           8
        .value_kind:     global_buffer
      - .offset:         48
        .size:           4
        .value_kind:     by_value
      - .offset:         56
        .size:           8
        .value_kind:     by_value
      - .offset:         64
        .size:           8
        .value_kind:     by_value
      - .address_space:  global
        .offset:         72
        .size:           8
        .value_kind:     global_buffer
      - .offset:         80
        .size:           4
        .value_kind:     by_value
      - .offset:         88
        .size:           8
        .value_kind:     by_value
      - .offset:         96
        .size:           4
        .value_kind:     by_value
    .group_segment_fixed_size: 4096
    .kernarg_segment_align: 8
    .kernarg_segment_size: 100
    .language:       OpenCL C
    .language_version:
      - 2
      - 0
    .max_flat_workgroup_size: 256
    .name:           _ZL37rocblas_syrkx_herkx_restricted_kernelIidLi16ELi32ELi8ELb0ELb0ELc84ELc76EKddEviT_T0_PT8_S1_lS4_S1_lS2_PT9_S1_li
    .private_segment_fixed_size: 0
    .sgpr_count:     30
    .sgpr_spill_count: 0
    .symbol:         _ZL37rocblas_syrkx_herkx_restricted_kernelIidLi16ELi32ELi8ELb0ELb0ELc84ELc76EKddEviT_T0_PT8_S1_lS4_S1_lS2_PT9_S1_li.kd
    .uniform_work_group_size: 1
    .uses_dynamic_stack: false
    .vgpr_count:     32
    .vgpr_spill_count: 0
    .wavefront_size: 64
  - .args:
      - .offset:         0
        .size:           4
        .value_kind:     by_value
      - .offset:         4
        .size:           4
        .value_kind:     by_value
      - .offset:         8
        .size:           8
        .value_kind:     by_value
      - .address_space:  global
        .offset:         16
        .size:           8
        .value_kind:     global_buffer
      - .offset:         24
        .size:           4
        .value_kind:     by_value
      - .offset:         32
        .size:           8
        .value_kind:     by_value
      - .address_space:  global
        .offset:         40
        .size:           8
        .value_kind:     global_buffer
      - .offset:         48
        .size:           4
        .value_kind:     by_value
      - .offset:         56
        .size:           8
        .value_kind:     by_value
      - .offset:         64
        .size:           8
        .value_kind:     by_value
      - .address_space:  global
        .offset:         72
        .size:           8
        .value_kind:     global_buffer
      - .offset:         80
        .size:           4
        .value_kind:     by_value
      - .offset:         88
        .size:           8
        .value_kind:     by_value
      - .offset:         96
        .size:           4
        .value_kind:     by_value
    .group_segment_fixed_size: 4096
    .kernarg_segment_align: 8
    .kernarg_segment_size: 100
    .language:       OpenCL C
    .language_version:
      - 2
      - 0
    .max_flat_workgroup_size: 256
    .name:           _ZL37rocblas_syrkx_herkx_restricted_kernelIidLi16ELi32ELi8ELb0ELb0ELc67ELc76EKddEviT_T0_PT8_S1_lS4_S1_lS2_PT9_S1_li
    .private_segment_fixed_size: 0
    .sgpr_count:     30
    .sgpr_spill_count: 0
    .symbol:         _ZL37rocblas_syrkx_herkx_restricted_kernelIidLi16ELi32ELi8ELb0ELb0ELc67ELc76EKddEviT_T0_PT8_S1_lS4_S1_lS2_PT9_S1_li.kd
    .uniform_work_group_size: 1
    .uses_dynamic_stack: false
    .vgpr_count:     32
    .vgpr_spill_count: 0
    .wavefront_size: 64
  - .args:
      - .offset:         0
        .size:           4
        .value_kind:     by_value
      - .offset:         4
        .size:           4
        .value_kind:     by_value
      - .offset:         8
        .size:           8
        .value_kind:     by_value
      - .address_space:  global
        .offset:         16
        .size:           8
        .value_kind:     global_buffer
      - .offset:         24
        .size:           4
        .value_kind:     by_value
      - .offset:         32
        .size:           8
        .value_kind:     by_value
      - .address_space:  global
        .offset:         40
        .size:           8
        .value_kind:     global_buffer
      - .offset:         48
        .size:           4
        .value_kind:     by_value
      - .offset:         56
        .size:           8
        .value_kind:     by_value
      - .offset:         64
        .size:           8
        .value_kind:     by_value
      - .address_space:  global
        .offset:         72
        .size:           8
        .value_kind:     global_buffer
      - .offset:         80
        .size:           4
        .value_kind:     by_value
      - .offset:         88
        .size:           8
        .value_kind:     by_value
      - .offset:         96
        .size:           4
        .value_kind:     by_value
    .group_segment_fixed_size: 4096
    .kernarg_segment_align: 8
    .kernarg_segment_size: 100
    .language:       OpenCL C
    .language_version:
      - 2
      - 0
    .max_flat_workgroup_size: 256
    .name:           _ZL37rocblas_syrkx_herkx_restricted_kernelIidLi16ELi32ELi8ELb0ELb0ELc78ELc76EKddEviT_T0_PT8_S1_lS4_S1_lS2_PT9_S1_li
    .private_segment_fixed_size: 0
    .sgpr_count:     33
    .sgpr_spill_count: 0
    .symbol:         _ZL37rocblas_syrkx_herkx_restricted_kernelIidLi16ELi32ELi8ELb0ELb0ELc78ELc76EKddEviT_T0_PT8_S1_lS4_S1_lS2_PT9_S1_li.kd
    .uniform_work_group_size: 1
    .uses_dynamic_stack: false
    .vgpr_count:     32
    .vgpr_spill_count: 0
    .wavefront_size: 64
  - .args:
      - .offset:         0
        .size:           4
        .value_kind:     by_value
      - .offset:         4
        .size:           4
        .value_kind:     by_value
      - .offset:         8
        .size:           8
        .value_kind:     by_value
      - .address_space:  global
        .offset:         16
        .size:           8
        .value_kind:     global_buffer
      - .offset:         24
        .size:           4
        .value_kind:     by_value
      - .offset:         32
        .size:           8
        .value_kind:     by_value
      - .address_space:  global
        .offset:         40
        .size:           8
        .value_kind:     global_buffer
      - .offset:         48
        .size:           4
        .value_kind:     by_value
      - .offset:         56
        .size:           8
        .value_kind:     by_value
      - .offset:         64
        .size:           8
        .value_kind:     by_value
      - .address_space:  global
        .offset:         72
        .size:           8
        .value_kind:     global_buffer
      - .offset:         80
        .size:           4
        .value_kind:     by_value
      - .offset:         88
        .size:           8
        .value_kind:     by_value
      - .offset:         96
        .size:           4
        .value_kind:     by_value
    .group_segment_fixed_size: 4096
    .kernarg_segment_align: 8
    .kernarg_segment_size: 100
    .language:       OpenCL C
    .language_version:
      - 2
      - 0
    .max_flat_workgroup_size: 256
    .name:           _ZL37rocblas_syrkx_herkx_restricted_kernelIidLi16ELi32ELi8ELb0ELb0ELc84ELc85EKddEviT_T0_PT8_S1_lS4_S1_lS2_PT9_S1_li
    .private_segment_fixed_size: 0
    .sgpr_count:     30
    .sgpr_spill_count: 0
    .symbol:         _ZL37rocblas_syrkx_herkx_restricted_kernelIidLi16ELi32ELi8ELb0ELb0ELc84ELc85EKddEviT_T0_PT8_S1_lS4_S1_lS2_PT9_S1_li.kd
    .uniform_work_group_size: 1
    .uses_dynamic_stack: false
    .vgpr_count:     32
    .vgpr_spill_count: 0
    .wavefront_size: 64
  - .args:
      - .offset:         0
        .size:           4
        .value_kind:     by_value
      - .offset:         4
        .size:           4
        .value_kind:     by_value
      - .offset:         8
        .size:           8
        .value_kind:     by_value
      - .address_space:  global
        .offset:         16
        .size:           8
        .value_kind:     global_buffer
      - .offset:         24
        .size:           4
        .value_kind:     by_value
      - .offset:         32
        .size:           8
        .value_kind:     by_value
      - .address_space:  global
        .offset:         40
        .size:           8
        .value_kind:     global_buffer
      - .offset:         48
        .size:           4
        .value_kind:     by_value
      - .offset:         56
        .size:           8
        .value_kind:     by_value
      - .offset:         64
        .size:           8
        .value_kind:     by_value
      - .address_space:  global
        .offset:         72
        .size:           8
        .value_kind:     global_buffer
      - .offset:         80
        .size:           4
        .value_kind:     by_value
      - .offset:         88
        .size:           8
        .value_kind:     by_value
      - .offset:         96
        .size:           4
        .value_kind:     by_value
    .group_segment_fixed_size: 4096
    .kernarg_segment_align: 8
    .kernarg_segment_size: 100
    .language:       OpenCL C
    .language_version:
      - 2
      - 0
    .max_flat_workgroup_size: 256
    .name:           _ZL37rocblas_syrkx_herkx_restricted_kernelIidLi16ELi32ELi8ELb0ELb0ELc67ELc85EKddEviT_T0_PT8_S1_lS4_S1_lS2_PT9_S1_li
    .private_segment_fixed_size: 0
    .sgpr_count:     30
    .sgpr_spill_count: 0
    .symbol:         _ZL37rocblas_syrkx_herkx_restricted_kernelIidLi16ELi32ELi8ELb0ELb0ELc67ELc85EKddEviT_T0_PT8_S1_lS4_S1_lS2_PT9_S1_li.kd
    .uniform_work_group_size: 1
    .uses_dynamic_stack: false
    .vgpr_count:     32
    .vgpr_spill_count: 0
    .wavefront_size: 64
  - .args:
      - .offset:         0
        .size:           4
        .value_kind:     by_value
      - .offset:         4
        .size:           4
        .value_kind:     by_value
      - .offset:         8
        .size:           8
        .value_kind:     by_value
      - .address_space:  global
        .offset:         16
        .size:           8
        .value_kind:     global_buffer
      - .offset:         24
        .size:           4
        .value_kind:     by_value
      - .offset:         32
        .size:           8
        .value_kind:     by_value
      - .address_space:  global
        .offset:         40
        .size:           8
        .value_kind:     global_buffer
      - .offset:         48
        .size:           4
        .value_kind:     by_value
      - .offset:         56
        .size:           8
        .value_kind:     by_value
      - .offset:         64
        .size:           8
        .value_kind:     by_value
      - .address_space:  global
        .offset:         72
        .size:           8
        .value_kind:     global_buffer
      - .offset:         80
        .size:           4
        .value_kind:     by_value
      - .offset:         88
        .size:           8
        .value_kind:     by_value
      - .offset:         96
        .size:           4
        .value_kind:     by_value
    .group_segment_fixed_size: 4096
    .kernarg_segment_align: 8
    .kernarg_segment_size: 100
    .language:       OpenCL C
    .language_version:
      - 2
      - 0
    .max_flat_workgroup_size: 256
    .name:           _ZL37rocblas_syrkx_herkx_restricted_kernelIidLi16ELi32ELi8ELb0ELb0ELc78ELc85EKddEviT_T0_PT8_S1_lS4_S1_lS2_PT9_S1_li
    .private_segment_fixed_size: 0
    .sgpr_count:     33
    .sgpr_spill_count: 0
    .symbol:         _ZL37rocblas_syrkx_herkx_restricted_kernelIidLi16ELi32ELi8ELb0ELb0ELc78ELc85EKddEviT_T0_PT8_S1_lS4_S1_lS2_PT9_S1_li.kd
    .uniform_work_group_size: 1
    .uses_dynamic_stack: false
    .vgpr_count:     32
    .vgpr_spill_count: 0
    .wavefront_size: 64
  - .args:
      - .offset:         0
        .size:           4
        .value_kind:     by_value
      - .offset:         4
        .size:           4
        .value_kind:     by_value
      - .offset:         8
        .size:           8
        .value_kind:     by_value
      - .address_space:  global
        .offset:         16
        .size:           8
        .value_kind:     global_buffer
      - .offset:         24
        .size:           4
        .value_kind:     by_value
      - .offset:         32
        .size:           8
        .value_kind:     by_value
      - .address_space:  global
        .offset:         40
        .size:           8
        .value_kind:     global_buffer
      - .offset:         48
        .size:           4
        .value_kind:     by_value
      - .offset:         56
        .size:           8
        .value_kind:     by_value
      - .offset:         64
        .size:           8
        .value_kind:     by_value
      - .address_space:  global
        .offset:         72
        .size:           8
        .value_kind:     global_buffer
      - .offset:         80
        .size:           4
        .value_kind:     by_value
      - .offset:         88
        .size:           8
        .value_kind:     by_value
      - .offset:         96
        .size:           4
        .value_kind:     by_value
    .group_segment_fixed_size: 4096
    .kernarg_segment_align: 8
    .kernarg_segment_size: 100
    .language:       OpenCL C
    .language_version:
      - 2
      - 0
    .max_flat_workgroup_size: 256
    .name:           _ZL41rocblas_syrkx_herkx_small_restrict_kernelIidLi16ELb1ELb0ELc84ELc76EKddEviT_T0_PT6_S1_lS4_S1_lS2_PT7_S1_li
    .private_segment_fixed_size: 0
    .sgpr_count:     24
    .sgpr_spill_count: 0
    .symbol:         _ZL41rocblas_syrkx_herkx_small_restrict_kernelIidLi16ELb1ELb0ELc84ELc76EKddEviT_T0_PT6_S1_lS4_S1_lS2_PT7_S1_li.kd
    .uniform_work_group_size: 1
    .uses_dynamic_stack: false
    .vgpr_count:     20
    .vgpr_spill_count: 0
    .wavefront_size: 64
  - .args:
      - .offset:         0
        .size:           4
        .value_kind:     by_value
      - .offset:         4
        .size:           4
        .value_kind:     by_value
      - .offset:         8
        .size:           8
        .value_kind:     by_value
      - .address_space:  global
        .offset:         16
        .size:           8
        .value_kind:     global_buffer
      - .offset:         24
        .size:           4
        .value_kind:     by_value
      - .offset:         32
        .size:           8
        .value_kind:     by_value
      - .address_space:  global
        .offset:         40
        .size:           8
        .value_kind:     global_buffer
      - .offset:         48
        .size:           4
        .value_kind:     by_value
      - .offset:         56
        .size:           8
        .value_kind:     by_value
      - .offset:         64
        .size:           8
        .value_kind:     by_value
      - .address_space:  global
        .offset:         72
        .size:           8
        .value_kind:     global_buffer
      - .offset:         80
        .size:           4
        .value_kind:     by_value
      - .offset:         88
        .size:           8
        .value_kind:     by_value
      - .offset:         96
        .size:           4
        .value_kind:     by_value
    .group_segment_fixed_size: 4096
    .kernarg_segment_align: 8
    .kernarg_segment_size: 100
    .language:       OpenCL C
    .language_version:
      - 2
      - 0
    .max_flat_workgroup_size: 256
    .name:           _ZL41rocblas_syrkx_herkx_small_restrict_kernelIidLi16ELb1ELb0ELc67ELc76EKddEviT_T0_PT6_S1_lS4_S1_lS2_PT7_S1_li
    .private_segment_fixed_size: 0
    .sgpr_count:     24
    .sgpr_spill_count: 0
    .symbol:         _ZL41rocblas_syrkx_herkx_small_restrict_kernelIidLi16ELb1ELb0ELc67ELc76EKddEviT_T0_PT6_S1_lS4_S1_lS2_PT7_S1_li.kd
    .uniform_work_group_size: 1
    .uses_dynamic_stack: false
    .vgpr_count:     20
    .vgpr_spill_count: 0
    .wavefront_size: 64
  - .args:
      - .offset:         0
        .size:           4
        .value_kind:     by_value
      - .offset:         4
        .size:           4
        .value_kind:     by_value
      - .offset:         8
        .size:           8
        .value_kind:     by_value
      - .address_space:  global
        .offset:         16
        .size:           8
        .value_kind:     global_buffer
      - .offset:         24
        .size:           4
        .value_kind:     by_value
      - .offset:         32
        .size:           8
        .value_kind:     by_value
      - .address_space:  global
        .offset:         40
        .size:           8
        .value_kind:     global_buffer
      - .offset:         48
        .size:           4
        .value_kind:     by_value
      - .offset:         56
        .size:           8
        .value_kind:     by_value
      - .offset:         64
        .size:           8
        .value_kind:     by_value
      - .address_space:  global
        .offset:         72
        .size:           8
        .value_kind:     global_buffer
      - .offset:         80
        .size:           4
        .value_kind:     by_value
      - .offset:         88
        .size:           8
        .value_kind:     by_value
      - .offset:         96
        .size:           4
        .value_kind:     by_value
    .group_segment_fixed_size: 4096
    .kernarg_segment_align: 8
    .kernarg_segment_size: 100
    .language:       OpenCL C
    .language_version:
      - 2
      - 0
    .max_flat_workgroup_size: 256
    .name:           _ZL41rocblas_syrkx_herkx_small_restrict_kernelIidLi16ELb1ELb0ELc78ELc76EKddEviT_T0_PT6_S1_lS4_S1_lS2_PT7_S1_li
    .private_segment_fixed_size: 0
    .sgpr_count:     26
    .sgpr_spill_count: 0
    .symbol:         _ZL41rocblas_syrkx_herkx_small_restrict_kernelIidLi16ELb1ELb0ELc78ELc76EKddEviT_T0_PT6_S1_lS4_S1_lS2_PT7_S1_li.kd
    .uniform_work_group_size: 1
    .uses_dynamic_stack: false
    .vgpr_count:     22
    .vgpr_spill_count: 0
    .wavefront_size: 64
  - .args:
      - .offset:         0
        .size:           4
        .value_kind:     by_value
      - .offset:         4
        .size:           4
        .value_kind:     by_value
      - .offset:         8
        .size:           8
        .value_kind:     by_value
      - .address_space:  global
        .offset:         16
        .size:           8
        .value_kind:     global_buffer
      - .offset:         24
        .size:           4
        .value_kind:     by_value
      - .offset:         32
        .size:           8
        .value_kind:     by_value
      - .address_space:  global
        .offset:         40
        .size:           8
        .value_kind:     global_buffer
      - .offset:         48
        .size:           4
        .value_kind:     by_value
      - .offset:         56
        .size:           8
        .value_kind:     by_value
      - .offset:         64
        .size:           8
        .value_kind:     by_value
      - .address_space:  global
        .offset:         72
        .size:           8
        .value_kind:     global_buffer
      - .offset:         80
        .size:           4
        .value_kind:     by_value
      - .offset:         88
        .size:           8
        .value_kind:     by_value
      - .offset:         96
        .size:           4
        .value_kind:     by_value
    .group_segment_fixed_size: 4096
    .kernarg_segment_align: 8
    .kernarg_segment_size: 100
    .language:       OpenCL C
    .language_version:
      - 2
      - 0
    .max_flat_workgroup_size: 256
    .name:           _ZL41rocblas_syrkx_herkx_small_restrict_kernelIidLi16ELb1ELb0ELc84ELc85EKddEviT_T0_PT6_S1_lS4_S1_lS2_PT7_S1_li
    .private_segment_fixed_size: 0
    .sgpr_count:     24
    .sgpr_spill_count: 0
    .symbol:         _ZL41rocblas_syrkx_herkx_small_restrict_kernelIidLi16ELb1ELb0ELc84ELc85EKddEviT_T0_PT6_S1_lS4_S1_lS2_PT7_S1_li.kd
    .uniform_work_group_size: 1
    .uses_dynamic_stack: false
    .vgpr_count:     20
    .vgpr_spill_count: 0
    .wavefront_size: 64
  - .args:
      - .offset:         0
        .size:           4
        .value_kind:     by_value
      - .offset:         4
        .size:           4
        .value_kind:     by_value
      - .offset:         8
        .size:           8
        .value_kind:     by_value
      - .address_space:  global
        .offset:         16
        .size:           8
        .value_kind:     global_buffer
      - .offset:         24
        .size:           4
        .value_kind:     by_value
      - .offset:         32
        .size:           8
        .value_kind:     by_value
      - .address_space:  global
        .offset:         40
        .size:           8
        .value_kind:     global_buffer
      - .offset:         48
        .size:           4
        .value_kind:     by_value
      - .offset:         56
        .size:           8
        .value_kind:     by_value
      - .offset:         64
        .size:           8
        .value_kind:     by_value
      - .address_space:  global
        .offset:         72
        .size:           8
        .value_kind:     global_buffer
      - .offset:         80
        .size:           4
        .value_kind:     by_value
      - .offset:         88
        .size:           8
        .value_kind:     by_value
      - .offset:         96
        .size:           4
        .value_kind:     by_value
    .group_segment_fixed_size: 4096
    .kernarg_segment_align: 8
    .kernarg_segment_size: 100
    .language:       OpenCL C
    .language_version:
      - 2
      - 0
    .max_flat_workgroup_size: 256
    .name:           _ZL41rocblas_syrkx_herkx_small_restrict_kernelIidLi16ELb1ELb0ELc67ELc85EKddEviT_T0_PT6_S1_lS4_S1_lS2_PT7_S1_li
    .private_segment_fixed_size: 0
    .sgpr_count:     24
    .sgpr_spill_count: 0
    .symbol:         _ZL41rocblas_syrkx_herkx_small_restrict_kernelIidLi16ELb1ELb0ELc67ELc85EKddEviT_T0_PT6_S1_lS4_S1_lS2_PT7_S1_li.kd
    .uniform_work_group_size: 1
    .uses_dynamic_stack: false
    .vgpr_count:     20
    .vgpr_spill_count: 0
    .wavefront_size: 64
  - .args:
      - .offset:         0
        .size:           4
        .value_kind:     by_value
      - .offset:         4
        .size:           4
        .value_kind:     by_value
      - .offset:         8
        .size:           8
        .value_kind:     by_value
      - .address_space:  global
        .offset:         16
        .size:           8
        .value_kind:     global_buffer
      - .offset:         24
        .size:           4
        .value_kind:     by_value
      - .offset:         32
        .size:           8
        .value_kind:     by_value
      - .address_space:  global
        .offset:         40
        .size:           8
        .value_kind:     global_buffer
      - .offset:         48
        .size:           4
        .value_kind:     by_value
      - .offset:         56
        .size:           8
        .value_kind:     by_value
      - .offset:         64
        .size:           8
        .value_kind:     by_value
      - .address_space:  global
        .offset:         72
        .size:           8
        .value_kind:     global_buffer
      - .offset:         80
        .size:           4
        .value_kind:     by_value
      - .offset:         88
        .size:           8
        .value_kind:     by_value
      - .offset:         96
        .size:           4
        .value_kind:     by_value
    .group_segment_fixed_size: 4096
    .kernarg_segment_align: 8
    .kernarg_segment_size: 100
    .language:       OpenCL C
    .language_version:
      - 2
      - 0
    .max_flat_workgroup_size: 256
    .name:           _ZL41rocblas_syrkx_herkx_small_restrict_kernelIidLi16ELb1ELb0ELc78ELc85EKddEviT_T0_PT6_S1_lS4_S1_lS2_PT7_S1_li
    .private_segment_fixed_size: 0
    .sgpr_count:     26
    .sgpr_spill_count: 0
    .symbol:         _ZL41rocblas_syrkx_herkx_small_restrict_kernelIidLi16ELb1ELb0ELc78ELc85EKddEviT_T0_PT6_S1_lS4_S1_lS2_PT7_S1_li.kd
    .uniform_work_group_size: 1
    .uses_dynamic_stack: false
    .vgpr_count:     22
    .vgpr_spill_count: 0
    .wavefront_size: 64
  - .args:
      - .offset:         0
        .size:           4
        .value_kind:     by_value
      - .offset:         4
        .size:           4
        .value_kind:     by_value
      - .offset:         8
        .size:           8
        .value_kind:     by_value
      - .address_space:  global
        .offset:         16
        .size:           8
        .value_kind:     global_buffer
      - .offset:         24
        .size:           4
        .value_kind:     by_value
      - .offset:         32
        .size:           8
        .value_kind:     by_value
      - .address_space:  global
        .offset:         40
        .size:           8
        .value_kind:     global_buffer
      - .offset:         48
        .size:           4
        .value_kind:     by_value
      - .offset:         56
        .size:           8
        .value_kind:     by_value
      - .offset:         64
        .size:           8
        .value_kind:     by_value
      - .address_space:  global
        .offset:         72
        .size:           8
        .value_kind:     global_buffer
      - .offset:         80
        .size:           4
        .value_kind:     by_value
      - .offset:         88
        .size:           8
        .value_kind:     by_value
      - .offset:         96
        .size:           4
        .value_kind:     by_value
    .group_segment_fixed_size: 4096
    .kernarg_segment_align: 8
    .kernarg_segment_size: 100
    .language:       OpenCL C
    .language_version:
      - 2
      - 0
    .max_flat_workgroup_size: 256
    .name:           _ZL41rocblas_syrkx_herkx_small_restrict_kernelIidLi16ELb0ELb0ELc84ELc76EKddEviT_T0_PT6_S1_lS4_S1_lS2_PT7_S1_li
    .private_segment_fixed_size: 0
    .sgpr_count:     28
    .sgpr_spill_count: 0
    .symbol:         _ZL41rocblas_syrkx_herkx_small_restrict_kernelIidLi16ELb0ELb0ELc84ELc76EKddEviT_T0_PT6_S1_lS4_S1_lS2_PT7_S1_li.kd
    .uniform_work_group_size: 1
    .uses_dynamic_stack: false
    .vgpr_count:     20
    .vgpr_spill_count: 0
    .wavefront_size: 64
  - .args:
      - .offset:         0
        .size:           4
        .value_kind:     by_value
      - .offset:         4
        .size:           4
        .value_kind:     by_value
      - .offset:         8
        .size:           8
        .value_kind:     by_value
      - .address_space:  global
        .offset:         16
        .size:           8
        .value_kind:     global_buffer
      - .offset:         24
        .size:           4
        .value_kind:     by_value
      - .offset:         32
        .size:           8
        .value_kind:     by_value
      - .address_space:  global
        .offset:         40
        .size:           8
        .value_kind:     global_buffer
      - .offset:         48
        .size:           4
        .value_kind:     by_value
      - .offset:         56
        .size:           8
        .value_kind:     by_value
      - .offset:         64
        .size:           8
        .value_kind:     by_value
      - .address_space:  global
        .offset:         72
        .size:           8
        .value_kind:     global_buffer
      - .offset:         80
        .size:           4
        .value_kind:     by_value
      - .offset:         88
        .size:           8
        .value_kind:     by_value
      - .offset:         96
        .size:           4
        .value_kind:     by_value
    .group_segment_fixed_size: 4096
    .kernarg_segment_align: 8
    .kernarg_segment_size: 100
    .language:       OpenCL C
    .language_version:
      - 2
      - 0
    .max_flat_workgroup_size: 256
    .name:           _ZL41rocblas_syrkx_herkx_small_restrict_kernelIidLi16ELb0ELb0ELc67ELc76EKddEviT_T0_PT6_S1_lS4_S1_lS2_PT7_S1_li
    .private_segment_fixed_size: 0
    .sgpr_count:     28
    .sgpr_spill_count: 0
    .symbol:         _ZL41rocblas_syrkx_herkx_small_restrict_kernelIidLi16ELb0ELb0ELc67ELc76EKddEviT_T0_PT6_S1_lS4_S1_lS2_PT7_S1_li.kd
    .uniform_work_group_size: 1
    .uses_dynamic_stack: false
    .vgpr_count:     20
    .vgpr_spill_count: 0
    .wavefront_size: 64
  - .args:
      - .offset:         0
        .size:           4
        .value_kind:     by_value
      - .offset:         4
        .size:           4
        .value_kind:     by_value
      - .offset:         8
        .size:           8
        .value_kind:     by_value
      - .address_space:  global
        .offset:         16
        .size:           8
        .value_kind:     global_buffer
      - .offset:         24
        .size:           4
        .value_kind:     by_value
      - .offset:         32
        .size:           8
        .value_kind:     by_value
      - .address_space:  global
        .offset:         40
        .size:           8
        .value_kind:     global_buffer
      - .offset:         48
        .size:           4
        .value_kind:     by_value
      - .offset:         56
        .size:           8
        .value_kind:     by_value
      - .offset:         64
        .size:           8
        .value_kind:     by_value
      - .address_space:  global
        .offset:         72
        .size:           8
        .value_kind:     global_buffer
      - .offset:         80
        .size:           4
        .value_kind:     by_value
      - .offset:         88
        .size:           8
        .value_kind:     by_value
      - .offset:         96
        .size:           4
        .value_kind:     by_value
    .group_segment_fixed_size: 4096
    .kernarg_segment_align: 8
    .kernarg_segment_size: 100
    .language:       OpenCL C
    .language_version:
      - 2
      - 0
    .max_flat_workgroup_size: 256
    .name:           _ZL41rocblas_syrkx_herkx_small_restrict_kernelIidLi16ELb0ELb0ELc78ELc76EKddEviT_T0_PT6_S1_lS4_S1_lS2_PT7_S1_li
    .private_segment_fixed_size: 0
    .sgpr_count:     30
    .sgpr_spill_count: 0
    .symbol:         _ZL41rocblas_syrkx_herkx_small_restrict_kernelIidLi16ELb0ELb0ELc78ELc76EKddEviT_T0_PT6_S1_lS4_S1_lS2_PT7_S1_li.kd
    .uniform_work_group_size: 1
    .uses_dynamic_stack: false
    .vgpr_count:     22
    .vgpr_spill_count: 0
    .wavefront_size: 64
  - .args:
      - .offset:         0
        .size:           4
        .value_kind:     by_value
      - .offset:         4
        .size:           4
        .value_kind:     by_value
      - .offset:         8
        .size:           8
        .value_kind:     by_value
      - .address_space:  global
        .offset:         16
        .size:           8
        .value_kind:     global_buffer
      - .offset:         24
        .size:           4
        .value_kind:     by_value
      - .offset:         32
        .size:           8
        .value_kind:     by_value
      - .address_space:  global
        .offset:         40
        .size:           8
        .value_kind:     global_buffer
      - .offset:         48
        .size:           4
        .value_kind:     by_value
      - .offset:         56
        .size:           8
        .value_kind:     by_value
      - .offset:         64
        .size:           8
        .value_kind:     by_value
      - .address_space:  global
        .offset:         72
        .size:           8
        .value_kind:     global_buffer
      - .offset:         80
        .size:           4
        .value_kind:     by_value
      - .offset:         88
        .size:           8
        .value_kind:     by_value
      - .offset:         96
        .size:           4
        .value_kind:     by_value
    .group_segment_fixed_size: 4096
    .kernarg_segment_align: 8
    .kernarg_segment_size: 100
    .language:       OpenCL C
    .language_version:
      - 2
      - 0
    .max_flat_workgroup_size: 256
    .name:           _ZL41rocblas_syrkx_herkx_small_restrict_kernelIidLi16ELb0ELb0ELc84ELc85EKddEviT_T0_PT6_S1_lS4_S1_lS2_PT7_S1_li
    .private_segment_fixed_size: 0
    .sgpr_count:     28
    .sgpr_spill_count: 0
    .symbol:         _ZL41rocblas_syrkx_herkx_small_restrict_kernelIidLi16ELb0ELb0ELc84ELc85EKddEviT_T0_PT6_S1_lS4_S1_lS2_PT7_S1_li.kd
    .uniform_work_group_size: 1
    .uses_dynamic_stack: false
    .vgpr_count:     20
    .vgpr_spill_count: 0
    .wavefront_size: 64
  - .args:
      - .offset:         0
        .size:           4
        .value_kind:     by_value
      - .offset:         4
        .size:           4
        .value_kind:     by_value
      - .offset:         8
        .size:           8
        .value_kind:     by_value
      - .address_space:  global
        .offset:         16
        .size:           8
        .value_kind:     global_buffer
      - .offset:         24
        .size:           4
        .value_kind:     by_value
      - .offset:         32
        .size:           8
        .value_kind:     by_value
      - .address_space:  global
        .offset:         40
        .size:           8
        .value_kind:     global_buffer
      - .offset:         48
        .size:           4
        .value_kind:     by_value
      - .offset:         56
        .size:           8
        .value_kind:     by_value
      - .offset:         64
        .size:           8
        .value_kind:     by_value
      - .address_space:  global
        .offset:         72
        .size:           8
        .value_kind:     global_buffer
      - .offset:         80
        .size:           4
        .value_kind:     by_value
      - .offset:         88
        .size:           8
        .value_kind:     by_value
      - .offset:         96
        .size:           4
        .value_kind:     by_value
    .group_segment_fixed_size: 4096
    .kernarg_segment_align: 8
    .kernarg_segment_size: 100
    .language:       OpenCL C
    .language_version:
      - 2
      - 0
    .max_flat_workgroup_size: 256
    .name:           _ZL41rocblas_syrkx_herkx_small_restrict_kernelIidLi16ELb0ELb0ELc67ELc85EKddEviT_T0_PT6_S1_lS4_S1_lS2_PT7_S1_li
    .private_segment_fixed_size: 0
    .sgpr_count:     28
    .sgpr_spill_count: 0
    .symbol:         _ZL41rocblas_syrkx_herkx_small_restrict_kernelIidLi16ELb0ELb0ELc67ELc85EKddEviT_T0_PT6_S1_lS4_S1_lS2_PT7_S1_li.kd
    .uniform_work_group_size: 1
    .uses_dynamic_stack: false
    .vgpr_count:     20
    .vgpr_spill_count: 0
    .wavefront_size: 64
  - .args:
      - .offset:         0
        .size:           4
        .value_kind:     by_value
      - .offset:         4
        .size:           4
        .value_kind:     by_value
      - .offset:         8
        .size:           8
        .value_kind:     by_value
      - .address_space:  global
        .offset:         16
        .size:           8
        .value_kind:     global_buffer
      - .offset:         24
        .size:           4
        .value_kind:     by_value
      - .offset:         32
        .size:           8
        .value_kind:     by_value
      - .address_space:  global
        .offset:         40
        .size:           8
        .value_kind:     global_buffer
      - .offset:         48
        .size:           4
        .value_kind:     by_value
      - .offset:         56
        .size:           8
        .value_kind:     by_value
      - .offset:         64
        .size:           8
        .value_kind:     by_value
      - .address_space:  global
        .offset:         72
        .size:           8
        .value_kind:     global_buffer
      - .offset:         80
        .size:           4
        .value_kind:     by_value
      - .offset:         88
        .size:           8
        .value_kind:     by_value
      - .offset:         96
        .size:           4
        .value_kind:     by_value
    .group_segment_fixed_size: 4096
    .kernarg_segment_align: 8
    .kernarg_segment_size: 100
    .language:       OpenCL C
    .language_version:
      - 2
      - 0
    .max_flat_workgroup_size: 256
    .name:           _ZL41rocblas_syrkx_herkx_small_restrict_kernelIidLi16ELb0ELb0ELc78ELc85EKddEviT_T0_PT6_S1_lS4_S1_lS2_PT7_S1_li
    .private_segment_fixed_size: 0
    .sgpr_count:     30
    .sgpr_spill_count: 0
    .symbol:         _ZL41rocblas_syrkx_herkx_small_restrict_kernelIidLi16ELb0ELb0ELc78ELc85EKddEviT_T0_PT6_S1_lS4_S1_lS2_PT7_S1_li.kd
    .uniform_work_group_size: 1
    .uses_dynamic_stack: false
    .vgpr_count:     22
    .vgpr_spill_count: 0
    .wavefront_size: 64
  - .args:
      - .offset:         0
        .size:           4
        .value_kind:     by_value
      - .offset:         4
        .size:           4
        .value_kind:     by_value
      - .offset:         8
        .size:           8
        .value_kind:     by_value
      - .address_space:  global
        .offset:         16
        .size:           8
        .value_kind:     global_buffer
      - .offset:         24
        .size:           4
        .value_kind:     by_value
      - .offset:         32
        .size:           8
        .value_kind:     by_value
      - .address_space:  global
        .offset:         40
        .size:           8
        .value_kind:     global_buffer
      - .offset:         48
        .size:           4
        .value_kind:     by_value
      - .offset:         56
        .size:           8
        .value_kind:     by_value
      - .offset:         64
        .size:           8
        .value_kind:     by_value
      - .address_space:  global
        .offset:         72
        .size:           8
        .value_kind:     global_buffer
      - .offset:         80
        .size:           4
        .value_kind:     by_value
      - .offset:         88
        .size:           8
        .value_kind:     by_value
      - .offset:         96
        .size:           4
        .value_kind:     by_value
    .group_segment_fixed_size: 4096
    .kernarg_segment_align: 8
    .kernarg_segment_size: 100
    .language:       OpenCL C
    .language_version:
      - 2
      - 0
    .max_flat_workgroup_size: 256
    .name:           _ZL32rocblas_syrkx_herkx_small_kernelIidLi16ELb1ELb0ELc84ELc76EKddEviT_T0_PT6_S1_lS4_S1_lS2_PT7_S1_li
    .private_segment_fixed_size: 0
    .sgpr_count:     26
    .sgpr_spill_count: 0
    .symbol:         _ZL32rocblas_syrkx_herkx_small_kernelIidLi16ELb1ELb0ELc84ELc76EKddEviT_T0_PT6_S1_lS4_S1_lS2_PT7_S1_li.kd
    .uniform_work_group_size: 1
    .uses_dynamic_stack: false
    .vgpr_count:     24
    .vgpr_spill_count: 0
    .wavefront_size: 64
  - .args:
      - .offset:         0
        .size:           4
        .value_kind:     by_value
      - .offset:         4
        .size:           4
        .value_kind:     by_value
      - .offset:         8
        .size:           8
        .value_kind:     by_value
      - .address_space:  global
        .offset:         16
        .size:           8
        .value_kind:     global_buffer
      - .offset:         24
        .size:           4
        .value_kind:     by_value
      - .offset:         32
        .size:           8
        .value_kind:     by_value
      - .address_space:  global
        .offset:         40
        .size:           8
        .value_kind:     global_buffer
      - .offset:         48
        .size:           4
        .value_kind:     by_value
      - .offset:         56
        .size:           8
        .value_kind:     by_value
      - .offset:         64
        .size:           8
        .value_kind:     by_value
      - .address_space:  global
        .offset:         72
        .size:           8
        .value_kind:     global_buffer
      - .offset:         80
        .size:           4
        .value_kind:     by_value
      - .offset:         88
        .size:           8
        .value_kind:     by_value
      - .offset:         96
        .size:           4
        .value_kind:     by_value
    .group_segment_fixed_size: 4096
    .kernarg_segment_align: 8
    .kernarg_segment_size: 100
    .language:       OpenCL C
    .language_version:
      - 2
      - 0
    .max_flat_workgroup_size: 256
    .name:           _ZL32rocblas_syrkx_herkx_small_kernelIidLi16ELb1ELb0ELc67ELc76EKddEviT_T0_PT6_S1_lS4_S1_lS2_PT7_S1_li
    .private_segment_fixed_size: 0
    .sgpr_count:     26
    .sgpr_spill_count: 0
    .symbol:         _ZL32rocblas_syrkx_herkx_small_kernelIidLi16ELb1ELb0ELc67ELc76EKddEviT_T0_PT6_S1_lS4_S1_lS2_PT7_S1_li.kd
    .uniform_work_group_size: 1
    .uses_dynamic_stack: false
    .vgpr_count:     24
    .vgpr_spill_count: 0
    .wavefront_size: 64
  - .args:
      - .offset:         0
        .size:           4
        .value_kind:     by_value
      - .offset:         4
        .size:           4
        .value_kind:     by_value
      - .offset:         8
        .size:           8
        .value_kind:     by_value
      - .address_space:  global
        .offset:         16
        .size:           8
        .value_kind:     global_buffer
      - .offset:         24
        .size:           4
        .value_kind:     by_value
      - .offset:         32
        .size:           8
        .value_kind:     by_value
      - .address_space:  global
        .offset:         40
        .size:           8
        .value_kind:     global_buffer
      - .offset:         48
        .size:           4
        .value_kind:     by_value
      - .offset:         56
        .size:           8
        .value_kind:     by_value
      - .offset:         64
        .size:           8
        .value_kind:     by_value
      - .address_space:  global
        .offset:         72
        .size:           8
        .value_kind:     global_buffer
      - .offset:         80
        .size:           4
        .value_kind:     by_value
      - .offset:         88
        .size:           8
        .value_kind:     by_value
      - .offset:         96
        .size:           4
        .value_kind:     by_value
    .group_segment_fixed_size: 4096
    .kernarg_segment_align: 8
    .kernarg_segment_size: 100
    .language:       OpenCL C
    .language_version:
      - 2
      - 0
    .max_flat_workgroup_size: 256
    .name:           _ZL32rocblas_syrkx_herkx_small_kernelIidLi16ELb1ELb0ELc78ELc76EKddEviT_T0_PT6_S1_lS4_S1_lS2_PT7_S1_li
    .private_segment_fixed_size: 0
    .sgpr_count:     29
    .sgpr_spill_count: 0
    .symbol:         _ZL32rocblas_syrkx_herkx_small_kernelIidLi16ELb1ELb0ELc78ELc76EKddEviT_T0_PT6_S1_lS4_S1_lS2_PT7_S1_li.kd
    .uniform_work_group_size: 1
    .uses_dynamic_stack: false
    .vgpr_count:     27
    .vgpr_spill_count: 0
    .wavefront_size: 64
  - .args:
      - .offset:         0
        .size:           4
        .value_kind:     by_value
      - .offset:         4
        .size:           4
        .value_kind:     by_value
      - .offset:         8
        .size:           8
        .value_kind:     by_value
      - .address_space:  global
        .offset:         16
        .size:           8
        .value_kind:     global_buffer
      - .offset:         24
        .size:           4
        .value_kind:     by_value
      - .offset:         32
        .size:           8
        .value_kind:     by_value
      - .address_space:  global
        .offset:         40
        .size:           8
        .value_kind:     global_buffer
      - .offset:         48
        .size:           4
        .value_kind:     by_value
      - .offset:         56
        .size:           8
        .value_kind:     by_value
      - .offset:         64
        .size:           8
        .value_kind:     by_value
      - .address_space:  global
        .offset:         72
        .size:           8
        .value_kind:     global_buffer
      - .offset:         80
        .size:           4
        .value_kind:     by_value
      - .offset:         88
        .size:           8
        .value_kind:     by_value
      - .offset:         96
        .size:           4
        .value_kind:     by_value
    .group_segment_fixed_size: 4096
    .kernarg_segment_align: 8
    .kernarg_segment_size: 100
    .language:       OpenCL C
    .language_version:
      - 2
      - 0
    .max_flat_workgroup_size: 256
    .name:           _ZL32rocblas_syrkx_herkx_small_kernelIidLi16ELb1ELb0ELc84ELc85EKddEviT_T0_PT6_S1_lS4_S1_lS2_PT7_S1_li
    .private_segment_fixed_size: 0
    .sgpr_count:     27
    .sgpr_spill_count: 0
    .symbol:         _ZL32rocblas_syrkx_herkx_small_kernelIidLi16ELb1ELb0ELc84ELc85EKddEviT_T0_PT6_S1_lS4_S1_lS2_PT7_S1_li.kd
    .uniform_work_group_size: 1
    .uses_dynamic_stack: false
    .vgpr_count:     24
    .vgpr_spill_count: 0
    .wavefront_size: 64
  - .args:
      - .offset:         0
        .size:           4
        .value_kind:     by_value
      - .offset:         4
        .size:           4
        .value_kind:     by_value
      - .offset:         8
        .size:           8
        .value_kind:     by_value
      - .address_space:  global
        .offset:         16
        .size:           8
        .value_kind:     global_buffer
      - .offset:         24
        .size:           4
        .value_kind:     by_value
      - .offset:         32
        .size:           8
        .value_kind:     by_value
      - .address_space:  global
        .offset:         40
        .size:           8
        .value_kind:     global_buffer
      - .offset:         48
        .size:           4
        .value_kind:     by_value
      - .offset:         56
        .size:           8
        .value_kind:     by_value
      - .offset:         64
        .size:           8
        .value_kind:     by_value
      - .address_space:  global
        .offset:         72
        .size:           8
        .value_kind:     global_buffer
      - .offset:         80
        .size:           4
        .value_kind:     by_value
      - .offset:         88
        .size:           8
        .value_kind:     by_value
      - .offset:         96
        .size:           4
        .value_kind:     by_value
    .group_segment_fixed_size: 4096
    .kernarg_segment_align: 8
    .kernarg_segment_size: 100
    .language:       OpenCL C
    .language_version:
      - 2
      - 0
    .max_flat_workgroup_size: 256
    .name:           _ZL32rocblas_syrkx_herkx_small_kernelIidLi16ELb1ELb0ELc67ELc85EKddEviT_T0_PT6_S1_lS4_S1_lS2_PT7_S1_li
    .private_segment_fixed_size: 0
    .sgpr_count:     27
    .sgpr_spill_count: 0
    .symbol:         _ZL32rocblas_syrkx_herkx_small_kernelIidLi16ELb1ELb0ELc67ELc85EKddEviT_T0_PT6_S1_lS4_S1_lS2_PT7_S1_li.kd
    .uniform_work_group_size: 1
    .uses_dynamic_stack: false
    .vgpr_count:     24
    .vgpr_spill_count: 0
    .wavefront_size: 64
  - .args:
      - .offset:         0
        .size:           4
        .value_kind:     by_value
      - .offset:         4
        .size:           4
        .value_kind:     by_value
      - .offset:         8
        .size:           8
        .value_kind:     by_value
      - .address_space:  global
        .offset:         16
        .size:           8
        .value_kind:     global_buffer
      - .offset:         24
        .size:           4
        .value_kind:     by_value
      - .offset:         32
        .size:           8
        .value_kind:     by_value
      - .address_space:  global
        .offset:         40
        .size:           8
        .value_kind:     global_buffer
      - .offset:         48
        .size:           4
        .value_kind:     by_value
      - .offset:         56
        .size:           8
        .value_kind:     by_value
      - .offset:         64
        .size:           8
        .value_kind:     by_value
      - .address_space:  global
        .offset:         72
        .size:           8
        .value_kind:     global_buffer
      - .offset:         80
        .size:           4
        .value_kind:     by_value
      - .offset:         88
        .size:           8
        .value_kind:     by_value
      - .offset:         96
        .size:           4
        .value_kind:     by_value
    .group_segment_fixed_size: 4096
    .kernarg_segment_align: 8
    .kernarg_segment_size: 100
    .language:       OpenCL C
    .language_version:
      - 2
      - 0
    .max_flat_workgroup_size: 256
    .name:           _ZL32rocblas_syrkx_herkx_small_kernelIidLi16ELb1ELb0ELc78ELc85EKddEviT_T0_PT6_S1_lS4_S1_lS2_PT7_S1_li
    .private_segment_fixed_size: 0
    .sgpr_count:     29
    .sgpr_spill_count: 0
    .symbol:         _ZL32rocblas_syrkx_herkx_small_kernelIidLi16ELb1ELb0ELc78ELc85EKddEviT_T0_PT6_S1_lS4_S1_lS2_PT7_S1_li.kd
    .uniform_work_group_size: 1
    .uses_dynamic_stack: false
    .vgpr_count:     27
    .vgpr_spill_count: 0
    .wavefront_size: 64
  - .args:
      - .offset:         0
        .size:           4
        .value_kind:     by_value
      - .offset:         4
        .size:           4
        .value_kind:     by_value
      - .offset:         8
        .size:           8
        .value_kind:     by_value
      - .address_space:  global
        .offset:         16
        .size:           8
        .value_kind:     global_buffer
      - .offset:         24
        .size:           4
        .value_kind:     by_value
      - .offset:         32
        .size:           8
        .value_kind:     by_value
      - .address_space:  global
        .offset:         40
        .size:           8
        .value_kind:     global_buffer
      - .offset:         48
        .size:           4
        .value_kind:     by_value
      - .offset:         56
        .size:           8
        .value_kind:     by_value
      - .offset:         64
        .size:           8
        .value_kind:     by_value
      - .address_space:  global
        .offset:         72
        .size:           8
        .value_kind:     global_buffer
      - .offset:         80
        .size:           4
        .value_kind:     by_value
      - .offset:         88
        .size:           8
        .value_kind:     by_value
      - .offset:         96
        .size:           4
        .value_kind:     by_value
    .group_segment_fixed_size: 4096
    .kernarg_segment_align: 8
    .kernarg_segment_size: 100
    .language:       OpenCL C
    .language_version:
      - 2
      - 0
    .max_flat_workgroup_size: 256
    .name:           _ZL32rocblas_syrkx_herkx_small_kernelIidLi16ELb0ELb0ELc84ELc76EKddEviT_T0_PT6_S1_lS4_S1_lS2_PT7_S1_li
    .private_segment_fixed_size: 0
    .sgpr_count:     32
    .sgpr_spill_count: 0
    .symbol:         _ZL32rocblas_syrkx_herkx_small_kernelIidLi16ELb0ELb0ELc84ELc76EKddEviT_T0_PT6_S1_lS4_S1_lS2_PT7_S1_li.kd
    .uniform_work_group_size: 1
    .uses_dynamic_stack: false
    .vgpr_count:     24
    .vgpr_spill_count: 0
    .wavefront_size: 64
  - .args:
      - .offset:         0
        .size:           4
        .value_kind:     by_value
      - .offset:         4
        .size:           4
        .value_kind:     by_value
      - .offset:         8
        .size:           8
        .value_kind:     by_value
      - .address_space:  global
        .offset:         16
        .size:           8
        .value_kind:     global_buffer
      - .offset:         24
        .size:           4
        .value_kind:     by_value
      - .offset:         32
        .size:           8
        .value_kind:     by_value
      - .address_space:  global
        .offset:         40
        .size:           8
        .value_kind:     global_buffer
      - .offset:         48
        .size:           4
        .value_kind:     by_value
      - .offset:         56
        .size:           8
        .value_kind:     by_value
      - .offset:         64
        .size:           8
        .value_kind:     by_value
      - .address_space:  global
        .offset:         72
        .size:           8
        .value_kind:     global_buffer
      - .offset:         80
        .size:           4
        .value_kind:     by_value
      - .offset:         88
        .size:           8
        .value_kind:     by_value
      - .offset:         96
        .size:           4
        .value_kind:     by_value
    .group_segment_fixed_size: 4096
    .kernarg_segment_align: 8
    .kernarg_segment_size: 100
    .language:       OpenCL C
    .language_version:
      - 2
      - 0
    .max_flat_workgroup_size: 256
    .name:           _ZL32rocblas_syrkx_herkx_small_kernelIidLi16ELb0ELb0ELc67ELc76EKddEviT_T0_PT6_S1_lS4_S1_lS2_PT7_S1_li
    .private_segment_fixed_size: 0
    .sgpr_count:     32
    .sgpr_spill_count: 0
    .symbol:         _ZL32rocblas_syrkx_herkx_small_kernelIidLi16ELb0ELb0ELc67ELc76EKddEviT_T0_PT6_S1_lS4_S1_lS2_PT7_S1_li.kd
    .uniform_work_group_size: 1
    .uses_dynamic_stack: false
    .vgpr_count:     24
    .vgpr_spill_count: 0
    .wavefront_size: 64
  - .args:
      - .offset:         0
        .size:           4
        .value_kind:     by_value
      - .offset:         4
        .size:           4
        .value_kind:     by_value
      - .offset:         8
        .size:           8
        .value_kind:     by_value
      - .address_space:  global
        .offset:         16
        .size:           8
        .value_kind:     global_buffer
      - .offset:         24
        .size:           4
        .value_kind:     by_value
      - .offset:         32
        .size:           8
        .value_kind:     by_value
      - .address_space:  global
        .offset:         40
        .size:           8
        .value_kind:     global_buffer
      - .offset:         48
        .size:           4
        .value_kind:     by_value
      - .offset:         56
        .size:           8
        .value_kind:     by_value
      - .offset:         64
        .size:           8
        .value_kind:     by_value
      - .address_space:  global
        .offset:         72
        .size:           8
        .value_kind:     global_buffer
      - .offset:         80
        .size:           4
        .value_kind:     by_value
      - .offset:         88
        .size:           8
        .value_kind:     by_value
      - .offset:         96
        .size:           4
        .value_kind:     by_value
    .group_segment_fixed_size: 4096
    .kernarg_segment_align: 8
    .kernarg_segment_size: 100
    .language:       OpenCL C
    .language_version:
      - 2
      - 0
    .max_flat_workgroup_size: 256
    .name:           _ZL32rocblas_syrkx_herkx_small_kernelIidLi16ELb0ELb0ELc78ELc76EKddEviT_T0_PT6_S1_lS4_S1_lS2_PT7_S1_li
    .private_segment_fixed_size: 0
    .sgpr_count:     33
    .sgpr_spill_count: 0
    .symbol:         _ZL32rocblas_syrkx_herkx_small_kernelIidLi16ELb0ELb0ELc78ELc76EKddEviT_T0_PT6_S1_lS4_S1_lS2_PT7_S1_li.kd
    .uniform_work_group_size: 1
    .uses_dynamic_stack: false
    .vgpr_count:     27
    .vgpr_spill_count: 0
    .wavefront_size: 64
  - .args:
      - .offset:         0
        .size:           4
        .value_kind:     by_value
      - .offset:         4
        .size:           4
        .value_kind:     by_value
      - .offset:         8
        .size:           8
        .value_kind:     by_value
      - .address_space:  global
        .offset:         16
        .size:           8
        .value_kind:     global_buffer
      - .offset:         24
        .size:           4
        .value_kind:     by_value
      - .offset:         32
        .size:           8
        .value_kind:     by_value
      - .address_space:  global
        .offset:         40
        .size:           8
        .value_kind:     global_buffer
      - .offset:         48
        .size:           4
        .value_kind:     by_value
      - .offset:         56
        .size:           8
        .value_kind:     by_value
      - .offset:         64
        .size:           8
        .value_kind:     by_value
      - .address_space:  global
        .offset:         72
        .size:           8
        .value_kind:     global_buffer
      - .offset:         80
        .size:           4
        .value_kind:     by_value
      - .offset:         88
        .size:           8
        .value_kind:     by_value
      - .offset:         96
        .size:           4
        .value_kind:     by_value
    .group_segment_fixed_size: 4096
    .kernarg_segment_align: 8
    .kernarg_segment_size: 100
    .language:       OpenCL C
    .language_version:
      - 2
      - 0
    .max_flat_workgroup_size: 256
    .name:           _ZL32rocblas_syrkx_herkx_small_kernelIidLi16ELb0ELb0ELc84ELc85EKddEviT_T0_PT6_S1_lS4_S1_lS2_PT7_S1_li
    .private_segment_fixed_size: 0
    .sgpr_count:     32
    .sgpr_spill_count: 0
    .symbol:         _ZL32rocblas_syrkx_herkx_small_kernelIidLi16ELb0ELb0ELc84ELc85EKddEviT_T0_PT6_S1_lS4_S1_lS2_PT7_S1_li.kd
    .uniform_work_group_size: 1
    .uses_dynamic_stack: false
    .vgpr_count:     24
    .vgpr_spill_count: 0
    .wavefront_size: 64
  - .args:
      - .offset:         0
        .size:           4
        .value_kind:     by_value
      - .offset:         4
        .size:           4
        .value_kind:     by_value
      - .offset:         8
        .size:           8
        .value_kind:     by_value
      - .address_space:  global
        .offset:         16
        .size:           8
        .value_kind:     global_buffer
      - .offset:         24
        .size:           4
        .value_kind:     by_value
      - .offset:         32
        .size:           8
        .value_kind:     by_value
      - .address_space:  global
        .offset:         40
        .size:           8
        .value_kind:     global_buffer
      - .offset:         48
        .size:           4
        .value_kind:     by_value
      - .offset:         56
        .size:           8
        .value_kind:     by_value
      - .offset:         64
        .size:           8
        .value_kind:     by_value
      - .address_space:  global
        .offset:         72
        .size:           8
        .value_kind:     global_buffer
      - .offset:         80
        .size:           4
        .value_kind:     by_value
      - .offset:         88
        .size:           8
        .value_kind:     by_value
      - .offset:         96
        .size:           4
        .value_kind:     by_value
    .group_segment_fixed_size: 4096
    .kernarg_segment_align: 8
    .kernarg_segment_size: 100
    .language:       OpenCL C
    .language_version:
      - 2
      - 0
    .max_flat_workgroup_size: 256
    .name:           _ZL32rocblas_syrkx_herkx_small_kernelIidLi16ELb0ELb0ELc67ELc85EKddEviT_T0_PT6_S1_lS4_S1_lS2_PT7_S1_li
    .private_segment_fixed_size: 0
    .sgpr_count:     32
    .sgpr_spill_count: 0
    .symbol:         _ZL32rocblas_syrkx_herkx_small_kernelIidLi16ELb0ELb0ELc67ELc85EKddEviT_T0_PT6_S1_lS4_S1_lS2_PT7_S1_li.kd
    .uniform_work_group_size: 1
    .uses_dynamic_stack: false
    .vgpr_count:     24
    .vgpr_spill_count: 0
    .wavefront_size: 64
  - .args:
      - .offset:         0
        .size:           4
        .value_kind:     by_value
      - .offset:         4
        .size:           4
        .value_kind:     by_value
      - .offset:         8
        .size:           8
        .value_kind:     by_value
      - .address_space:  global
        .offset:         16
        .size:           8
        .value_kind:     global_buffer
      - .offset:         24
        .size:           4
        .value_kind:     by_value
      - .offset:         32
        .size:           8
        .value_kind:     by_value
      - .address_space:  global
        .offset:         40
        .size:           8
        .value_kind:     global_buffer
      - .offset:         48
        .size:           4
        .value_kind:     by_value
      - .offset:         56
        .size:           8
        .value_kind:     by_value
      - .offset:         64
        .size:           8
        .value_kind:     by_value
      - .address_space:  global
        .offset:         72
        .size:           8
        .value_kind:     global_buffer
      - .offset:         80
        .size:           4
        .value_kind:     by_value
      - .offset:         88
        .size:           8
        .value_kind:     by_value
      - .offset:         96
        .size:           4
        .value_kind:     by_value
    .group_segment_fixed_size: 4096
    .kernarg_segment_align: 8
    .kernarg_segment_size: 100
    .language:       OpenCL C
    .language_version:
      - 2
      - 0
    .max_flat_workgroup_size: 256
    .name:           _ZL32rocblas_syrkx_herkx_small_kernelIidLi16ELb0ELb0ELc78ELc85EKddEviT_T0_PT6_S1_lS4_S1_lS2_PT7_S1_li
    .private_segment_fixed_size: 0
    .sgpr_count:     33
    .sgpr_spill_count: 0
    .symbol:         _ZL32rocblas_syrkx_herkx_small_kernelIidLi16ELb0ELb0ELc78ELc85EKddEviT_T0_PT6_S1_lS4_S1_lS2_PT7_S1_li.kd
    .uniform_work_group_size: 1
    .uses_dynamic_stack: false
    .vgpr_count:     27
    .vgpr_spill_count: 0
    .wavefront_size: 64
  - .args:
      - .offset:         0
        .size:           4
        .value_kind:     by_value
      - .offset:         4
        .size:           4
        .value_kind:     by_value
      - .offset:         8
        .size:           8
        .value_kind:     by_value
      - .address_space:  global
        .offset:         16
        .size:           8
        .value_kind:     global_buffer
      - .offset:         24
        .size:           4
        .value_kind:     by_value
      - .offset:         32
        .size:           8
        .value_kind:     by_value
      - .address_space:  global
        .offset:         40
        .size:           8
        .value_kind:     global_buffer
      - .offset:         48
        .size:           4
        .value_kind:     by_value
      - .offset:         56
        .size:           8
        .value_kind:     by_value
      - .offset:         64
        .size:           8
        .value_kind:     by_value
      - .address_space:  global
        .offset:         72
        .size:           8
        .value_kind:     global_buffer
      - .offset:         80
        .size:           4
        .value_kind:     by_value
      - .offset:         88
        .size:           8
        .value_kind:     by_value
      - .offset:         96
        .size:           4
        .value_kind:     by_value
    .group_segment_fixed_size: 4096
    .kernarg_segment_align: 8
    .kernarg_segment_size: 100
    .language:       OpenCL C
    .language_version:
      - 2
      - 0
    .max_flat_workgroup_size: 256
    .name:           _ZL34rocblas_syrkx_herkx_general_kernelIidLi16ELi32ELi8ELb1ELb0ELc84ELc76EKddEviT_T0_PT8_S1_lS4_S1_lS2_PT9_S1_li
    .private_segment_fixed_size: 0
    .sgpr_count:     27
    .sgpr_spill_count: 0
    .symbol:         _ZL34rocblas_syrkx_herkx_general_kernelIidLi16ELi32ELi8ELb1ELb0ELc84ELc76EKddEviT_T0_PT8_S1_lS4_S1_lS2_PT9_S1_li.kd
    .uniform_work_group_size: 1
    .uses_dynamic_stack: false
    .vgpr_count:     34
    .vgpr_spill_count: 0
    .wavefront_size: 64
  - .args:
      - .offset:         0
        .size:           4
        .value_kind:     by_value
      - .offset:         4
        .size:           4
        .value_kind:     by_value
      - .offset:         8
        .size:           8
        .value_kind:     by_value
      - .address_space:  global
        .offset:         16
        .size:           8
        .value_kind:     global_buffer
      - .offset:         24
        .size:           4
        .value_kind:     by_value
      - .offset:         32
        .size:           8
        .value_kind:     by_value
      - .address_space:  global
        .offset:         40
        .size:           8
        .value_kind:     global_buffer
      - .offset:         48
        .size:           4
        .value_kind:     by_value
      - .offset:         56
        .size:           8
        .value_kind:     by_value
      - .offset:         64
        .size:           8
        .value_kind:     by_value
      - .address_space:  global
        .offset:         72
        .size:           8
        .value_kind:     global_buffer
      - .offset:         80
        .size:           4
        .value_kind:     by_value
      - .offset:         88
        .size:           8
        .value_kind:     by_value
      - .offset:         96
        .size:           4
        .value_kind:     by_value
    .group_segment_fixed_size: 4096
    .kernarg_segment_align: 8
    .kernarg_segment_size: 100
    .language:       OpenCL C
    .language_version:
      - 2
      - 0
    .max_flat_workgroup_size: 256
    .name:           _ZL34rocblas_syrkx_herkx_general_kernelIidLi16ELi32ELi8ELb1ELb0ELc67ELc76EKddEviT_T0_PT8_S1_lS4_S1_lS2_PT9_S1_li
    .private_segment_fixed_size: 0
    .sgpr_count:     27
    .sgpr_spill_count: 0
    .symbol:         _ZL34rocblas_syrkx_herkx_general_kernelIidLi16ELi32ELi8ELb1ELb0ELc67ELc76EKddEviT_T0_PT8_S1_lS4_S1_lS2_PT9_S1_li.kd
    .uniform_work_group_size: 1
    .uses_dynamic_stack: false
    .vgpr_count:     34
    .vgpr_spill_count: 0
    .wavefront_size: 64
  - .args:
      - .offset:         0
        .size:           4
        .value_kind:     by_value
      - .offset:         4
        .size:           4
        .value_kind:     by_value
      - .offset:         8
        .size:           8
        .value_kind:     by_value
      - .address_space:  global
        .offset:         16
        .size:           8
        .value_kind:     global_buffer
      - .offset:         24
        .size:           4
        .value_kind:     by_value
      - .offset:         32
        .size:           8
        .value_kind:     by_value
      - .address_space:  global
        .offset:         40
        .size:           8
        .value_kind:     global_buffer
      - .offset:         48
        .size:           4
        .value_kind:     by_value
      - .offset:         56
        .size:           8
        .value_kind:     by_value
      - .offset:         64
        .size:           8
        .value_kind:     by_value
      - .address_space:  global
        .offset:         72
        .size:           8
        .value_kind:     global_buffer
      - .offset:         80
        .size:           4
        .value_kind:     by_value
      - .offset:         88
        .size:           8
        .value_kind:     by_value
      - .offset:         96
        .size:           4
        .value_kind:     by_value
    .group_segment_fixed_size: 4096
    .kernarg_segment_align: 8
    .kernarg_segment_size: 100
    .language:       OpenCL C
    .language_version:
      - 2
      - 0
    .max_flat_workgroup_size: 256
    .name:           _ZL34rocblas_syrkx_herkx_general_kernelIidLi16ELi32ELi8ELb1ELb0ELc78ELc76EKddEviT_T0_PT8_S1_lS4_S1_lS2_PT9_S1_li
    .private_segment_fixed_size: 0
    .sgpr_count:     30
    .sgpr_spill_count: 0
    .symbol:         _ZL34rocblas_syrkx_herkx_general_kernelIidLi16ELi32ELi8ELb1ELb0ELc78ELc76EKddEviT_T0_PT8_S1_lS4_S1_lS2_PT9_S1_li.kd
    .uniform_work_group_size: 1
    .uses_dynamic_stack: false
    .vgpr_count:     36
    .vgpr_spill_count: 0
    .wavefront_size: 64
  - .args:
      - .offset:         0
        .size:           4
        .value_kind:     by_value
      - .offset:         4
        .size:           4
        .value_kind:     by_value
      - .offset:         8
        .size:           8
        .value_kind:     by_value
      - .address_space:  global
        .offset:         16
        .size:           8
        .value_kind:     global_buffer
      - .offset:         24
        .size:           4
        .value_kind:     by_value
      - .offset:         32
        .size:           8
        .value_kind:     by_value
      - .address_space:  global
        .offset:         40
        .size:           8
        .value_kind:     global_buffer
      - .offset:         48
        .size:           4
        .value_kind:     by_value
      - .offset:         56
        .size:           8
        .value_kind:     by_value
      - .offset:         64
        .size:           8
        .value_kind:     by_value
      - .address_space:  global
        .offset:         72
        .size:           8
        .value_kind:     global_buffer
      - .offset:         80
        .size:           4
        .value_kind:     by_value
      - .offset:         88
        .size:           8
        .value_kind:     by_value
      - .offset:         96
        .size:           4
        .value_kind:     by_value
    .group_segment_fixed_size: 4096
    .kernarg_segment_align: 8
    .kernarg_segment_size: 100
    .language:       OpenCL C
    .language_version:
      - 2
      - 0
    .max_flat_workgroup_size: 256
    .name:           _ZL34rocblas_syrkx_herkx_general_kernelIidLi16ELi32ELi8ELb1ELb0ELc84ELc85EKddEviT_T0_PT8_S1_lS4_S1_lS2_PT9_S1_li
    .private_segment_fixed_size: 0
    .sgpr_count:     27
    .sgpr_spill_count: 0
    .symbol:         _ZL34rocblas_syrkx_herkx_general_kernelIidLi16ELi32ELi8ELb1ELb0ELc84ELc85EKddEviT_T0_PT8_S1_lS4_S1_lS2_PT9_S1_li.kd
    .uniform_work_group_size: 1
    .uses_dynamic_stack: false
    .vgpr_count:     34
    .vgpr_spill_count: 0
    .wavefront_size: 64
  - .args:
      - .offset:         0
        .size:           4
        .value_kind:     by_value
      - .offset:         4
        .size:           4
        .value_kind:     by_value
      - .offset:         8
        .size:           8
        .value_kind:     by_value
      - .address_space:  global
        .offset:         16
        .size:           8
        .value_kind:     global_buffer
      - .offset:         24
        .size:           4
        .value_kind:     by_value
      - .offset:         32
        .size:           8
        .value_kind:     by_value
      - .address_space:  global
        .offset:         40
        .size:           8
        .value_kind:     global_buffer
      - .offset:         48
        .size:           4
        .value_kind:     by_value
      - .offset:         56
        .size:           8
        .value_kind:     by_value
      - .offset:         64
        .size:           8
        .value_kind:     by_value
      - .address_space:  global
        .offset:         72
        .size:           8
        .value_kind:     global_buffer
      - .offset:         80
        .size:           4
        .value_kind:     by_value
      - .offset:         88
        .size:           8
        .value_kind:     by_value
      - .offset:         96
        .size:           4
        .value_kind:     by_value
    .group_segment_fixed_size: 4096
    .kernarg_segment_align: 8
    .kernarg_segment_size: 100
    .language:       OpenCL C
    .language_version:
      - 2
      - 0
    .max_flat_workgroup_size: 256
    .name:           _ZL34rocblas_syrkx_herkx_general_kernelIidLi16ELi32ELi8ELb1ELb0ELc67ELc85EKddEviT_T0_PT8_S1_lS4_S1_lS2_PT9_S1_li
    .private_segment_fixed_size: 0
    .sgpr_count:     27
    .sgpr_spill_count: 0
    .symbol:         _ZL34rocblas_syrkx_herkx_general_kernelIidLi16ELi32ELi8ELb1ELb0ELc67ELc85EKddEviT_T0_PT8_S1_lS4_S1_lS2_PT9_S1_li.kd
    .uniform_work_group_size: 1
    .uses_dynamic_stack: false
    .vgpr_count:     34
    .vgpr_spill_count: 0
    .wavefront_size: 64
  - .args:
      - .offset:         0
        .size:           4
        .value_kind:     by_value
      - .offset:         4
        .size:           4
        .value_kind:     by_value
      - .offset:         8
        .size:           8
        .value_kind:     by_value
      - .address_space:  global
        .offset:         16
        .size:           8
        .value_kind:     global_buffer
      - .offset:         24
        .size:           4
        .value_kind:     by_value
      - .offset:         32
        .size:           8
        .value_kind:     by_value
      - .address_space:  global
        .offset:         40
        .size:           8
        .value_kind:     global_buffer
      - .offset:         48
        .size:           4
        .value_kind:     by_value
      - .offset:         56
        .size:           8
        .value_kind:     by_value
      - .offset:         64
        .size:           8
        .value_kind:     by_value
      - .address_space:  global
        .offset:         72
        .size:           8
        .value_kind:     global_buffer
      - .offset:         80
        .size:           4
        .value_kind:     by_value
      - .offset:         88
        .size:           8
        .value_kind:     by_value
      - .offset:         96
        .size:           4
        .value_kind:     by_value
    .group_segment_fixed_size: 4096
    .kernarg_segment_align: 8
    .kernarg_segment_size: 100
    .language:       OpenCL C
    .language_version:
      - 2
      - 0
    .max_flat_workgroup_size: 256
    .name:           _ZL34rocblas_syrkx_herkx_general_kernelIidLi16ELi32ELi8ELb1ELb0ELc78ELc85EKddEviT_T0_PT8_S1_lS4_S1_lS2_PT9_S1_li
    .private_segment_fixed_size: 0
    .sgpr_count:     30
    .sgpr_spill_count: 0
    .symbol:         _ZL34rocblas_syrkx_herkx_general_kernelIidLi16ELi32ELi8ELb1ELb0ELc78ELc85EKddEviT_T0_PT8_S1_lS4_S1_lS2_PT9_S1_li.kd
    .uniform_work_group_size: 1
    .uses_dynamic_stack: false
    .vgpr_count:     36
    .vgpr_spill_count: 0
    .wavefront_size: 64
  - .args:
      - .offset:         0
        .size:           4
        .value_kind:     by_value
      - .offset:         4
        .size:           4
        .value_kind:     by_value
      - .offset:         8
        .size:           8
        .value_kind:     by_value
      - .address_space:  global
        .offset:         16
        .size:           8
        .value_kind:     global_buffer
      - .offset:         24
        .size:           4
        .value_kind:     by_value
      - .offset:         32
        .size:           8
        .value_kind:     by_value
      - .address_space:  global
        .offset:         40
        .size:           8
        .value_kind:     global_buffer
      - .offset:         48
        .size:           4
        .value_kind:     by_value
      - .offset:         56
        .size:           8
        .value_kind:     by_value
      - .offset:         64
        .size:           8
        .value_kind:     by_value
      - .address_space:  global
        .offset:         72
        .size:           8
        .value_kind:     global_buffer
      - .offset:         80
        .size:           4
        .value_kind:     by_value
      - .offset:         88
        .size:           8
        .value_kind:     by_value
      - .offset:         96
        .size:           4
        .value_kind:     by_value
    .group_segment_fixed_size: 4096
    .kernarg_segment_align: 8
    .kernarg_segment_size: 100
    .language:       OpenCL C
    .language_version:
      - 2
      - 0
    .max_flat_workgroup_size: 256
    .name:           _ZL34rocblas_syrkx_herkx_general_kernelIidLi16ELi32ELi8ELb0ELb0ELc84ELc76EKddEviT_T0_PT8_S1_lS4_S1_lS2_PT9_S1_li
    .private_segment_fixed_size: 0
    .sgpr_count:     31
    .sgpr_spill_count: 0
    .symbol:         _ZL34rocblas_syrkx_herkx_general_kernelIidLi16ELi32ELi8ELb0ELb0ELc84ELc76EKddEviT_T0_PT8_S1_lS4_S1_lS2_PT9_S1_li.kd
    .uniform_work_group_size: 1
    .uses_dynamic_stack: false
    .vgpr_count:     34
    .vgpr_spill_count: 0
    .wavefront_size: 64
  - .args:
      - .offset:         0
        .size:           4
        .value_kind:     by_value
      - .offset:         4
        .size:           4
        .value_kind:     by_value
      - .offset:         8
        .size:           8
        .value_kind:     by_value
      - .address_space:  global
        .offset:         16
        .size:           8
        .value_kind:     global_buffer
      - .offset:         24
        .size:           4
        .value_kind:     by_value
      - .offset:         32
        .size:           8
        .value_kind:     by_value
      - .address_space:  global
        .offset:         40
        .size:           8
        .value_kind:     global_buffer
      - .offset:         48
        .size:           4
        .value_kind:     by_value
      - .offset:         56
        .size:           8
        .value_kind:     by_value
      - .offset:         64
        .size:           8
        .value_kind:     by_value
      - .address_space:  global
        .offset:         72
        .size:           8
        .value_kind:     global_buffer
      - .offset:         80
        .size:           4
        .value_kind:     by_value
      - .offset:         88
        .size:           8
        .value_kind:     by_value
      - .offset:         96
        .size:           4
        .value_kind:     by_value
    .group_segment_fixed_size: 4096
    .kernarg_segment_align: 8
    .kernarg_segment_size: 100
    .language:       OpenCL C
    .language_version:
      - 2
      - 0
    .max_flat_workgroup_size: 256
    .name:           _ZL34rocblas_syrkx_herkx_general_kernelIidLi16ELi32ELi8ELb0ELb0ELc67ELc76EKddEviT_T0_PT8_S1_lS4_S1_lS2_PT9_S1_li
    .private_segment_fixed_size: 0
    .sgpr_count:     31
    .sgpr_spill_count: 0
    .symbol:         _ZL34rocblas_syrkx_herkx_general_kernelIidLi16ELi32ELi8ELb0ELb0ELc67ELc76EKddEviT_T0_PT8_S1_lS4_S1_lS2_PT9_S1_li.kd
    .uniform_work_group_size: 1
    .uses_dynamic_stack: false
    .vgpr_count:     34
    .vgpr_spill_count: 0
    .wavefront_size: 64
  - .args:
      - .offset:         0
        .size:           4
        .value_kind:     by_value
      - .offset:         4
        .size:           4
        .value_kind:     by_value
      - .offset:         8
        .size:           8
        .value_kind:     by_value
      - .address_space:  global
        .offset:         16
        .size:           8
        .value_kind:     global_buffer
      - .offset:         24
        .size:           4
        .value_kind:     by_value
      - .offset:         32
        .size:           8
        .value_kind:     by_value
      - .address_space:  global
        .offset:         40
        .size:           8
        .value_kind:     global_buffer
      - .offset:         48
        .size:           4
        .value_kind:     by_value
      - .offset:         56
        .size:           8
        .value_kind:     by_value
      - .offset:         64
        .size:           8
        .value_kind:     by_value
      - .address_space:  global
        .offset:         72
        .size:           8
        .value_kind:     global_buffer
      - .offset:         80
        .size:           4
        .value_kind:     by_value
      - .offset:         88
        .size:           8
        .value_kind:     by_value
      - .offset:         96
        .size:           4
        .value_kind:     by_value
    .group_segment_fixed_size: 4096
    .kernarg_segment_align: 8
    .kernarg_segment_size: 100
    .language:       OpenCL C
    .language_version:
      - 2
      - 0
    .max_flat_workgroup_size: 256
    .name:           _ZL34rocblas_syrkx_herkx_general_kernelIidLi16ELi32ELi8ELb0ELb0ELc78ELc76EKddEviT_T0_PT8_S1_lS4_S1_lS2_PT9_S1_li
    .private_segment_fixed_size: 0
    .sgpr_count:     34
    .sgpr_spill_count: 0
    .symbol:         _ZL34rocblas_syrkx_herkx_general_kernelIidLi16ELi32ELi8ELb0ELb0ELc78ELc76EKddEviT_T0_PT8_S1_lS4_S1_lS2_PT9_S1_li.kd
    .uniform_work_group_size: 1
    .uses_dynamic_stack: false
    .vgpr_count:     36
    .vgpr_spill_count: 0
    .wavefront_size: 64
  - .args:
      - .offset:         0
        .size:           4
        .value_kind:     by_value
      - .offset:         4
        .size:           4
        .value_kind:     by_value
      - .offset:         8
        .size:           8
        .value_kind:     by_value
      - .address_space:  global
        .offset:         16
        .size:           8
        .value_kind:     global_buffer
      - .offset:         24
        .size:           4
        .value_kind:     by_value
      - .offset:         32
        .size:           8
        .value_kind:     by_value
      - .address_space:  global
        .offset:         40
        .size:           8
        .value_kind:     global_buffer
      - .offset:         48
        .size:           4
        .value_kind:     by_value
      - .offset:         56
        .size:           8
        .value_kind:     by_value
      - .offset:         64
        .size:           8
        .value_kind:     by_value
      - .address_space:  global
        .offset:         72
        .size:           8
        .value_kind:     global_buffer
      - .offset:         80
        .size:           4
        .value_kind:     by_value
      - .offset:         88
        .size:           8
        .value_kind:     by_value
      - .offset:         96
        .size:           4
        .value_kind:     by_value
    .group_segment_fixed_size: 4096
    .kernarg_segment_align: 8
    .kernarg_segment_size: 100
    .language:       OpenCL C
    .language_version:
      - 2
      - 0
    .max_flat_workgroup_size: 256
    .name:           _ZL34rocblas_syrkx_herkx_general_kernelIidLi16ELi32ELi8ELb0ELb0ELc84ELc85EKddEviT_T0_PT8_S1_lS4_S1_lS2_PT9_S1_li
    .private_segment_fixed_size: 0
    .sgpr_count:     31
    .sgpr_spill_count: 0
    .symbol:         _ZL34rocblas_syrkx_herkx_general_kernelIidLi16ELi32ELi8ELb0ELb0ELc84ELc85EKddEviT_T0_PT8_S1_lS4_S1_lS2_PT9_S1_li.kd
    .uniform_work_group_size: 1
    .uses_dynamic_stack: false
    .vgpr_count:     34
    .vgpr_spill_count: 0
    .wavefront_size: 64
  - .args:
      - .offset:         0
        .size:           4
        .value_kind:     by_value
      - .offset:         4
        .size:           4
        .value_kind:     by_value
      - .offset:         8
        .size:           8
        .value_kind:     by_value
      - .address_space:  global
        .offset:         16
        .size:           8
        .value_kind:     global_buffer
      - .offset:         24
        .size:           4
        .value_kind:     by_value
      - .offset:         32
        .size:           8
        .value_kind:     by_value
      - .address_space:  global
        .offset:         40
        .size:           8
        .value_kind:     global_buffer
      - .offset:         48
        .size:           4
        .value_kind:     by_value
      - .offset:         56
        .size:           8
        .value_kind:     by_value
      - .offset:         64
        .size:           8
        .value_kind:     by_value
      - .address_space:  global
        .offset:         72
        .size:           8
        .value_kind:     global_buffer
      - .offset:         80
        .size:           4
        .value_kind:     by_value
      - .offset:         88
        .size:           8
        .value_kind:     by_value
      - .offset:         96
        .size:           4
        .value_kind:     by_value
    .group_segment_fixed_size: 4096
    .kernarg_segment_align: 8
    .kernarg_segment_size: 100
    .language:       OpenCL C
    .language_version:
      - 2
      - 0
    .max_flat_workgroup_size: 256
    .name:           _ZL34rocblas_syrkx_herkx_general_kernelIidLi16ELi32ELi8ELb0ELb0ELc67ELc85EKddEviT_T0_PT8_S1_lS4_S1_lS2_PT9_S1_li
    .private_segment_fixed_size: 0
    .sgpr_count:     31
    .sgpr_spill_count: 0
    .symbol:         _ZL34rocblas_syrkx_herkx_general_kernelIidLi16ELi32ELi8ELb0ELb0ELc67ELc85EKddEviT_T0_PT8_S1_lS4_S1_lS2_PT9_S1_li.kd
    .uniform_work_group_size: 1
    .uses_dynamic_stack: false
    .vgpr_count:     34
    .vgpr_spill_count: 0
    .wavefront_size: 64
  - .args:
      - .offset:         0
        .size:           4
        .value_kind:     by_value
      - .offset:         4
        .size:           4
        .value_kind:     by_value
      - .offset:         8
        .size:           8
        .value_kind:     by_value
      - .address_space:  global
        .offset:         16
        .size:           8
        .value_kind:     global_buffer
      - .offset:         24
        .size:           4
        .value_kind:     by_value
      - .offset:         32
        .size:           8
        .value_kind:     by_value
      - .address_space:  global
        .offset:         40
        .size:           8
        .value_kind:     global_buffer
      - .offset:         48
        .size:           4
        .value_kind:     by_value
      - .offset:         56
        .size:           8
        .value_kind:     by_value
      - .offset:         64
        .size:           8
        .value_kind:     by_value
      - .address_space:  global
        .offset:         72
        .size:           8
        .value_kind:     global_buffer
      - .offset:         80
        .size:           4
        .value_kind:     by_value
      - .offset:         88
        .size:           8
        .value_kind:     by_value
      - .offset:         96
        .size:           4
        .value_kind:     by_value
    .group_segment_fixed_size: 4096
    .kernarg_segment_align: 8
    .kernarg_segment_size: 100
    .language:       OpenCL C
    .language_version:
      - 2
      - 0
    .max_flat_workgroup_size: 256
    .name:           _ZL34rocblas_syrkx_herkx_general_kernelIidLi16ELi32ELi8ELb0ELb0ELc78ELc85EKddEviT_T0_PT8_S1_lS4_S1_lS2_PT9_S1_li
    .private_segment_fixed_size: 0
    .sgpr_count:     34
    .sgpr_spill_count: 0
    .symbol:         _ZL34rocblas_syrkx_herkx_general_kernelIidLi16ELi32ELi8ELb0ELb0ELc78ELc85EKddEviT_T0_PT8_S1_lS4_S1_lS2_PT9_S1_li.kd
    .uniform_work_group_size: 1
    .uses_dynamic_stack: false
    .vgpr_count:     36
    .vgpr_spill_count: 0
    .wavefront_size: 64
  - .args:
      - .offset:         0
        .size:           1
        .value_kind:     by_value
      - .offset:         4
        .size:           4
        .value_kind:     by_value
      - .offset:         8
        .size:           4
        .value_kind:     by_value
      - .offset:         16
        .size:           8
        .value_kind:     by_value
      - .offset:         24
        .size:           8
        .value_kind:     by_value
      - .address_space:  global
        .offset:         32
        .size:           8
        .value_kind:     global_buffer
      - .offset:         40
        .size:           4
        .value_kind:     by_value
      - .offset:         48
        .size:           8
        .value_kind:     by_value
      - .offset:         56
        .size:           4
        .value_kind:     by_value
      - .offset:         64
        .size:           4
        .value_kind:     hidden_block_count_x
      - .offset:         68
        .size:           4
        .value_kind:     hidden_block_count_y
      - .offset:         72
        .size:           4
        .value_kind:     hidden_block_count_z
      - .offset:         76
        .size:           2
        .value_kind:     hidden_group_size_x
      - .offset:         78
        .size:           2
        .value_kind:     hidden_group_size_y
      - .offset:         80
        .size:           2
        .value_kind:     hidden_group_size_z
      - .offset:         82
        .size:           2
        .value_kind:     hidden_remainder_x
      - .offset:         84
        .size:           2
        .value_kind:     hidden_remainder_y
      - .offset:         86
        .size:           2
        .value_kind:     hidden_remainder_z
      - .offset:         104
        .size:           8
        .value_kind:     hidden_global_offset_x
      - .offset:         112
        .size:           8
        .value_kind:     hidden_global_offset_y
      - .offset:         120
        .size:           8
        .value_kind:     hidden_global_offset_z
      - .offset:         128
        .size:           2
        .value_kind:     hidden_grid_dims
    .group_segment_fixed_size: 0
    .kernarg_segment_align: 8
    .kernarg_segment_size: 320
    .language:       OpenCL C
    .language_version:
      - 2
      - 0
    .max_flat_workgroup_size: 1024
    .name:           _ZL26rocblas_syr2k_scale_kernelIiLi128ELi8ELb0EddPdEvbiT_T3_T4_T5_S1_li
    .private_segment_fixed_size: 0
    .sgpr_count:     20
    .sgpr_spill_count: 0
    .symbol:         _ZL26rocblas_syr2k_scale_kernelIiLi128ELi8ELb0EddPdEvbiT_T3_T4_T5_S1_li.kd
    .uniform_work_group_size: 1
    .uses_dynamic_stack: false
    .vgpr_count:     5
    .vgpr_spill_count: 0
    .wavefront_size: 64
  - .args:
      - .offset:         0
        .size:           1
        .value_kind:     by_value
      - .offset:         4
        .size:           4
        .value_kind:     by_value
      - .offset:         8
        .size:           4
        .value_kind:     by_value
      - .address_space:  global
        .offset:         16
        .size:           8
        .value_kind:     global_buffer
      - .address_space:  global
        .offset:         24
        .size:           8
        .value_kind:     global_buffer
      - .offset:         32
        .size:           4
        .value_kind:     by_value
      - .offset:         40
        .size:           8
        .value_kind:     by_value
      - .address_space:  global
        .offset:         48
        .size:           8
        .value_kind:     global_buffer
      - .offset:         56
        .size:           4
        .value_kind:     by_value
      - .offset:         64
        .size:           8
        .value_kind:     by_value
      - .address_space:  global
        .offset:         72
        .size:           8
        .value_kind:     global_buffer
      - .offset:         80
        .size:           4
        .value_kind:     by_value
      - .offset:         88
        .size:           8
        .value_kind:     by_value
      - .offset:         96
        .size:           4
        .value_kind:     by_value
    .group_segment_fixed_size: 16384
    .kernarg_segment_align: 8
    .kernarg_segment_size: 100
    .language:       OpenCL C
    .language_version:
      - 2
      - 0
    .max_flat_workgroup_size: 1024
    .name:           _ZL26rocblas_syr2k_her2k_kernelIiLb0ELb0ELb0ELi32EPKdS1_PdEvbiT_T4_T5_S3_lS5_S3_lT6_S3_li
    .private_segment_fixed_size: 0
    .sgpr_count:     28
    .sgpr_spill_count: 0
    .symbol:         _ZL26rocblas_syr2k_her2k_kernelIiLb0ELb0ELb0ELi32EPKdS1_PdEvbiT_T4_T5_S3_lS5_S3_lT6_S3_li.kd
    .uniform_work_group_size: 1
    .uses_dynamic_stack: false
    .vgpr_count:     27
    .vgpr_spill_count: 0
    .wavefront_size: 64
  - .args:
      - .offset:         0
        .size:           1
        .value_kind:     by_value
      - .offset:         4
        .size:           4
        .value_kind:     by_value
      - .offset:         8
        .size:           4
        .value_kind:     by_value
      - .address_space:  global
        .offset:         16
        .size:           8
        .value_kind:     global_buffer
      - .address_space:  global
        .offset:         24
        .size:           8
        .value_kind:     global_buffer
      - .offset:         32
        .size:           4
        .value_kind:     by_value
      - .offset:         40
        .size:           8
        .value_kind:     by_value
      - .address_space:  global
        .offset:         48
        .size:           8
        .value_kind:     global_buffer
      - .offset:         56
        .size:           4
        .value_kind:     by_value
      - .offset:         64
        .size:           8
        .value_kind:     by_value
      - .address_space:  global
        .offset:         72
        .size:           8
        .value_kind:     global_buffer
      - .offset:         80
        .size:           4
        .value_kind:     by_value
      - .offset:         88
        .size:           8
        .value_kind:     by_value
      - .offset:         96
        .size:           4
        .value_kind:     by_value
    .group_segment_fixed_size: 16384
    .kernarg_segment_align: 8
    .kernarg_segment_size: 100
    .language:       OpenCL C
    .language_version:
      - 2
      - 0
    .max_flat_workgroup_size: 1024
    .name:           _ZL26rocblas_syr2k_her2k_kernelIiLb0ELb0ELb1ELi32EPKdS1_PdEvbiT_T4_T5_S3_lS5_S3_lT6_S3_li
    .private_segment_fixed_size: 0
    .sgpr_count:     28
    .sgpr_spill_count: 0
    .symbol:         _ZL26rocblas_syr2k_her2k_kernelIiLb0ELb0ELb1ELi32EPKdS1_PdEvbiT_T4_T5_S3_lS5_S3_lT6_S3_li.kd
    .uniform_work_group_size: 1
    .uses_dynamic_stack: false
    .vgpr_count:     28
    .vgpr_spill_count: 0
    .wavefront_size: 64
  - .args:
      - .offset:         0
        .size:           1
        .value_kind:     by_value
      - .offset:         4
        .size:           4
        .value_kind:     by_value
      - .offset:         8
        .size:           4
        .value_kind:     by_value
      - .offset:         12
        .size:           8
        .value_kind:     by_value
      - .address_space:  global
        .offset:         24
        .size:           8
        .value_kind:     global_buffer
      - .offset:         32
        .size:           4
        .value_kind:     by_value
      - .offset:         40
        .size:           8
        .value_kind:     by_value
      - .address_space:  global
        .offset:         48
        .size:           8
        .value_kind:     global_buffer
      - .offset:         56
        .size:           4
        .value_kind:     by_value
      - .offset:         64
        .size:           8
        .value_kind:     by_value
      - .address_space:  global
        .offset:         72
        .size:           8
        .value_kind:     global_buffer
      - .offset:         80
        .size:           4
        .value_kind:     by_value
      - .offset:         88
        .size:           8
        .value_kind:     by_value
      - .offset:         96
        .size:           4
        .value_kind:     by_value
    .group_segment_fixed_size: 16384
    .kernarg_segment_align: 8
    .kernarg_segment_size: 100
    .language:       OpenCL C
    .language_version:
      - 2
      - 0
    .max_flat_workgroup_size: 1024
    .name:           _ZL26rocblas_syr2k_her2k_kernelIiLb0ELb0ELb0ELi32E19rocblas_complex_numIfEPKS1_PS1_EvbiT_T4_T5_S5_lS7_S5_lT6_S5_li
    .private_segment_fixed_size: 0
    .sgpr_count:     28
    .sgpr_spill_count: 0
    .symbol:         _ZL26rocblas_syr2k_her2k_kernelIiLb0ELb0ELb0ELi32E19rocblas_complex_numIfEPKS1_PS1_EvbiT_T4_T5_S5_lS7_S5_lT6_S5_li.kd
    .uniform_work_group_size: 1
    .uses_dynamic_stack: false
    .vgpr_count:     36
    .vgpr_spill_count: 0
    .wavefront_size: 64
  - .args:
      - .offset:         0
        .size:           1
        .value_kind:     by_value
      - .offset:         4
        .size:           4
        .value_kind:     by_value
      - .offset:         8
        .size:           4
        .value_kind:     by_value
      - .offset:         12
        .size:           8
        .value_kind:     by_value
      - .address_space:  global
        .offset:         24
        .size:           8
        .value_kind:     global_buffer
      - .offset:         32
        .size:           4
        .value_kind:     by_value
      - .offset:         40
        .size:           8
        .value_kind:     by_value
      - .address_space:  global
        .offset:         48
        .size:           8
        .value_kind:     global_buffer
      - .offset:         56
        .size:           4
        .value_kind:     by_value
      - .offset:         64
        .size:           8
        .value_kind:     by_value
      - .address_space:  global
        .offset:         72
        .size:           8
        .value_kind:     global_buffer
      - .offset:         80
        .size:           4
        .value_kind:     by_value
      - .offset:         88
        .size:           8
        .value_kind:     by_value
      - .offset:         96
        .size:           4
        .value_kind:     by_value
    .group_segment_fixed_size: 16384
    .kernarg_segment_align: 8
    .kernarg_segment_size: 100
    .language:       OpenCL C
    .language_version:
      - 2
      - 0
    .max_flat_workgroup_size: 1024
    .name:           _ZL26rocblas_syr2k_her2k_kernelIiLb0ELb0ELb1ELi32E19rocblas_complex_numIfEPKS1_PS1_EvbiT_T4_T5_S5_lS7_S5_lT6_S5_li
    .private_segment_fixed_size: 0
    .sgpr_count:     28
    .sgpr_spill_count: 0
    .symbol:         _ZL26rocblas_syr2k_her2k_kernelIiLb0ELb0ELb1ELi32E19rocblas_complex_numIfEPKS1_PS1_EvbiT_T4_T5_S5_lS7_S5_lT6_S5_li.kd
    .uniform_work_group_size: 1
    .uses_dynamic_stack: false
    .vgpr_count:     36
    .vgpr_spill_count: 0
    .wavefront_size: 64
  - .args:
      - .offset:         0
        .size:           4
        .value_kind:     by_value
      - .offset:         4
        .size:           4
        .value_kind:     by_value
      - .address_space:  global
        .offset:         8
        .size:           8
        .value_kind:     global_buffer
      - .offset:         16
        .size:           4
        .value_kind:     by_value
      - .offset:         24
        .size:           8
        .value_kind:     by_value
      - .address_space:  global
        .offset:         32
        .size:           8
        .value_kind:     global_buffer
      - .offset:         40
        .size:           4
        .value_kind:     by_value
      - .offset:         48
        .size:           8
        .value_kind:     by_value
      - .address_space:  global
        .offset:         56
        .size:           8
        .value_kind:     global_buffer
      - .offset:         64
        .size:           4
        .value_kind:     by_value
      - .offset:         72
        .size:           8
        .value_kind:     by_value
      - .offset:         80
        .size:           4
        .value_kind:     by_value
    .group_segment_fixed_size: 4096
    .kernarg_segment_align: 8
    .kernarg_segment_size: 84
    .language:       OpenCL C
    .language_version:
      - 2
      - 0
    .max_flat_workgroup_size: 256
    .name:           _ZL37rocblas_syrkx_herkx_restricted_kernelIi19rocblas_complex_numIfELi16ELi32ELi8ELi1ELi1ELb0ELc84ELc76EKS1_S1_EviT_PT9_S3_lS5_S3_lPT10_S3_li
    .private_segment_fixed_size: 0
    .sgpr_count:     26
    .sgpr_spill_count: 0
    .symbol:         _ZL37rocblas_syrkx_herkx_restricted_kernelIi19rocblas_complex_numIfELi16ELi32ELi8ELi1ELi1ELb0ELc84ELc76EKS1_S1_EviT_PT9_S3_lS5_S3_lPT10_S3_li.kd
    .uniform_work_group_size: 1
    .uses_dynamic_stack: false
    .vgpr_count:     41
    .vgpr_spill_count: 0
    .wavefront_size: 64
  - .args:
      - .offset:         0
        .size:           4
        .value_kind:     by_value
      - .offset:         4
        .size:           4
        .value_kind:     by_value
      - .address_space:  global
        .offset:         8
        .size:           8
        .value_kind:     global_buffer
      - .offset:         16
        .size:           4
        .value_kind:     by_value
      - .offset:         24
        .size:           8
        .value_kind:     by_value
      - .address_space:  global
        .offset:         32
        .size:           8
        .value_kind:     global_buffer
      - .offset:         40
        .size:           4
        .value_kind:     by_value
      - .offset:         48
        .size:           8
        .value_kind:     by_value
      - .address_space:  global
        .offset:         56
        .size:           8
        .value_kind:     global_buffer
      - .offset:         64
        .size:           4
        .value_kind:     by_value
      - .offset:         72
        .size:           8
        .value_kind:     by_value
      - .offset:         80
        .size:           4
        .value_kind:     by_value
    .group_segment_fixed_size: 4096
    .kernarg_segment_align: 8
    .kernarg_segment_size: 84
    .language:       OpenCL C
    .language_version:
      - 2
      - 0
    .max_flat_workgroup_size: 256
    .name:           _ZL37rocblas_syrkx_herkx_restricted_kernelIi19rocblas_complex_numIfELi16ELi32ELi8ELi1ELi1ELb0ELc67ELc76EKS1_S1_EviT_PT9_S3_lS5_S3_lPT10_S3_li
    .private_segment_fixed_size: 0
    .sgpr_count:     26
    .sgpr_spill_count: 0
    .symbol:         _ZL37rocblas_syrkx_herkx_restricted_kernelIi19rocblas_complex_numIfELi16ELi32ELi8ELi1ELi1ELb0ELc67ELc76EKS1_S1_EviT_PT9_S3_lS5_S3_lPT10_S3_li.kd
    .uniform_work_group_size: 1
    .uses_dynamic_stack: false
    .vgpr_count:     41
    .vgpr_spill_count: 0
    .wavefront_size: 64
  - .args:
      - .offset:         0
        .size:           4
        .value_kind:     by_value
      - .offset:         4
        .size:           4
        .value_kind:     by_value
      - .address_space:  global
        .offset:         8
        .size:           8
        .value_kind:     global_buffer
      - .offset:         16
        .size:           4
        .value_kind:     by_value
      - .offset:         24
        .size:           8
        .value_kind:     by_value
      - .address_space:  global
        .offset:         32
        .size:           8
        .value_kind:     global_buffer
      - .offset:         40
        .size:           4
        .value_kind:     by_value
      - .offset:         48
        .size:           8
        .value_kind:     by_value
      - .address_space:  global
        .offset:         56
        .size:           8
        .value_kind:     global_buffer
      - .offset:         64
        .size:           4
        .value_kind:     by_value
      - .offset:         72
        .size:           8
        .value_kind:     by_value
      - .offset:         80
        .size:           4
        .value_kind:     by_value
    .group_segment_fixed_size: 4096
    .kernarg_segment_align: 8
    .kernarg_segment_size: 84
    .language:       OpenCL C
    .language_version:
      - 2
      - 0
    .max_flat_workgroup_size: 256
    .name:           _ZL37rocblas_syrkx_herkx_restricted_kernelIi19rocblas_complex_numIfELi16ELi32ELi8ELi1ELi1ELb0ELc78ELc76EKS1_S1_EviT_PT9_S3_lS5_S3_lPT10_S3_li
    .private_segment_fixed_size: 0
    .sgpr_count:     29
    .sgpr_spill_count: 0
    .symbol:         _ZL37rocblas_syrkx_herkx_restricted_kernelIi19rocblas_complex_numIfELi16ELi32ELi8ELi1ELi1ELb0ELc78ELc76EKS1_S1_EviT_PT9_S3_lS5_S3_lPT10_S3_li.kd
    .uniform_work_group_size: 1
    .uses_dynamic_stack: false
    .vgpr_count:     43
    .vgpr_spill_count: 0
    .wavefront_size: 64
  - .args:
      - .offset:         0
        .size:           4
        .value_kind:     by_value
      - .offset:         4
        .size:           4
        .value_kind:     by_value
      - .address_space:  global
        .offset:         8
        .size:           8
        .value_kind:     global_buffer
      - .offset:         16
        .size:           4
        .value_kind:     by_value
      - .offset:         24
        .size:           8
        .value_kind:     by_value
      - .address_space:  global
        .offset:         32
        .size:           8
        .value_kind:     global_buffer
      - .offset:         40
        .size:           4
        .value_kind:     by_value
      - .offset:         48
        .size:           8
        .value_kind:     by_value
      - .address_space:  global
        .offset:         56
        .size:           8
        .value_kind:     global_buffer
      - .offset:         64
        .size:           4
        .value_kind:     by_value
      - .offset:         72
        .size:           8
        .value_kind:     by_value
      - .offset:         80
        .size:           4
        .value_kind:     by_value
    .group_segment_fixed_size: 4096
    .kernarg_segment_align: 8
    .kernarg_segment_size: 84
    .language:       OpenCL C
    .language_version:
      - 2
      - 0
    .max_flat_workgroup_size: 256
    .name:           _ZL37rocblas_syrkx_herkx_restricted_kernelIi19rocblas_complex_numIfELi16ELi32ELi8ELi1ELi1ELb0ELc84ELc85EKS1_S1_EviT_PT9_S3_lS5_S3_lPT10_S3_li
    .private_segment_fixed_size: 0
    .sgpr_count:     26
    .sgpr_spill_count: 0
    .symbol:         _ZL37rocblas_syrkx_herkx_restricted_kernelIi19rocblas_complex_numIfELi16ELi32ELi8ELi1ELi1ELb0ELc84ELc85EKS1_S1_EviT_PT9_S3_lS5_S3_lPT10_S3_li.kd
    .uniform_work_group_size: 1
    .uses_dynamic_stack: false
    .vgpr_count:     41
    .vgpr_spill_count: 0
    .wavefront_size: 64
  - .args:
      - .offset:         0
        .size:           4
        .value_kind:     by_value
      - .offset:         4
        .size:           4
        .value_kind:     by_value
      - .address_space:  global
        .offset:         8
        .size:           8
        .value_kind:     global_buffer
      - .offset:         16
        .size:           4
        .value_kind:     by_value
      - .offset:         24
        .size:           8
        .value_kind:     by_value
      - .address_space:  global
        .offset:         32
        .size:           8
        .value_kind:     global_buffer
      - .offset:         40
        .size:           4
        .value_kind:     by_value
      - .offset:         48
        .size:           8
        .value_kind:     by_value
      - .address_space:  global
        .offset:         56
        .size:           8
        .value_kind:     global_buffer
      - .offset:         64
        .size:           4
        .value_kind:     by_value
      - .offset:         72
        .size:           8
        .value_kind:     by_value
      - .offset:         80
        .size:           4
        .value_kind:     by_value
    .group_segment_fixed_size: 4096
    .kernarg_segment_align: 8
    .kernarg_segment_size: 84
    .language:       OpenCL C
    .language_version:
      - 2
      - 0
    .max_flat_workgroup_size: 256
    .name:           _ZL37rocblas_syrkx_herkx_restricted_kernelIi19rocblas_complex_numIfELi16ELi32ELi8ELi1ELi1ELb0ELc67ELc85EKS1_S1_EviT_PT9_S3_lS5_S3_lPT10_S3_li
    .private_segment_fixed_size: 0
    .sgpr_count:     26
    .sgpr_spill_count: 0
    .symbol:         _ZL37rocblas_syrkx_herkx_restricted_kernelIi19rocblas_complex_numIfELi16ELi32ELi8ELi1ELi1ELb0ELc67ELc85EKS1_S1_EviT_PT9_S3_lS5_S3_lPT10_S3_li.kd
    .uniform_work_group_size: 1
    .uses_dynamic_stack: false
    .vgpr_count:     41
    .vgpr_spill_count: 0
    .wavefront_size: 64
  - .args:
      - .offset:         0
        .size:           4
        .value_kind:     by_value
      - .offset:         4
        .size:           4
        .value_kind:     by_value
      - .address_space:  global
        .offset:         8
        .size:           8
        .value_kind:     global_buffer
      - .offset:         16
        .size:           4
        .value_kind:     by_value
      - .offset:         24
        .size:           8
        .value_kind:     by_value
      - .address_space:  global
        .offset:         32
        .size:           8
        .value_kind:     global_buffer
      - .offset:         40
        .size:           4
        .value_kind:     by_value
      - .offset:         48
        .size:           8
        .value_kind:     by_value
      - .address_space:  global
        .offset:         56
        .size:           8
        .value_kind:     global_buffer
      - .offset:         64
        .size:           4
        .value_kind:     by_value
      - .offset:         72
        .size:           8
        .value_kind:     by_value
      - .offset:         80
        .size:           4
        .value_kind:     by_value
    .group_segment_fixed_size: 4096
    .kernarg_segment_align: 8
    .kernarg_segment_size: 84
    .language:       OpenCL C
    .language_version:
      - 2
      - 0
    .max_flat_workgroup_size: 256
    .name:           _ZL37rocblas_syrkx_herkx_restricted_kernelIi19rocblas_complex_numIfELi16ELi32ELi8ELi1ELi1ELb0ELc78ELc85EKS1_S1_EviT_PT9_S3_lS5_S3_lPT10_S3_li
    .private_segment_fixed_size: 0
    .sgpr_count:     29
    .sgpr_spill_count: 0
    .symbol:         _ZL37rocblas_syrkx_herkx_restricted_kernelIi19rocblas_complex_numIfELi16ELi32ELi8ELi1ELi1ELb0ELc78ELc85EKS1_S1_EviT_PT9_S3_lS5_S3_lPT10_S3_li.kd
    .uniform_work_group_size: 1
    .uses_dynamic_stack: false
    .vgpr_count:     43
    .vgpr_spill_count: 0
    .wavefront_size: 64
  - .args:
      - .offset:         0
        .size:           4
        .value_kind:     by_value
      - .offset:         4
        .size:           4
        .value_kind:     by_value
      - .address_space:  global
        .offset:         8
        .size:           8
        .value_kind:     global_buffer
      - .offset:         16
        .size:           4
        .value_kind:     by_value
      - .offset:         24
        .size:           8
        .value_kind:     by_value
      - .address_space:  global
        .offset:         32
        .size:           8
        .value_kind:     global_buffer
      - .offset:         40
        .size:           4
        .value_kind:     by_value
      - .offset:         48
        .size:           8
        .value_kind:     by_value
      - .address_space:  global
        .offset:         56
        .size:           8
        .value_kind:     global_buffer
      - .offset:         64
        .size:           4
        .value_kind:     by_value
      - .offset:         72
        .size:           8
        .value_kind:     by_value
      - .offset:         80
        .size:           4
        .value_kind:     by_value
    .group_segment_fixed_size: 4096
    .kernarg_segment_align: 8
    .kernarg_segment_size: 84
    .language:       OpenCL C
    .language_version:
      - 2
      - 0
    .max_flat_workgroup_size: 256
    .name:           _ZL37rocblas_syrkx_herkx_restricted_kernelIi19rocblas_complex_numIfELi16ELi32ELi8ELi1ELin1ELb0ELc84ELc76EKS1_S1_EviT_PT9_S3_lS5_S3_lPT10_S3_li
    .private_segment_fixed_size: 0
    .sgpr_count:     26
    .sgpr_spill_count: 0
    .symbol:         _ZL37rocblas_syrkx_herkx_restricted_kernelIi19rocblas_complex_numIfELi16ELi32ELi8ELi1ELin1ELb0ELc84ELc76EKS1_S1_EviT_PT9_S3_lS5_S3_lPT10_S3_li.kd
    .uniform_work_group_size: 1
    .uses_dynamic_stack: false
    .vgpr_count:     41
    .vgpr_spill_count: 0
    .wavefront_size: 64
  - .args:
      - .offset:         0
        .size:           4
        .value_kind:     by_value
      - .offset:         4
        .size:           4
        .value_kind:     by_value
      - .address_space:  global
        .offset:         8
        .size:           8
        .value_kind:     global_buffer
      - .offset:         16
        .size:           4
        .value_kind:     by_value
      - .offset:         24
        .size:           8
        .value_kind:     by_value
      - .address_space:  global
        .offset:         32
        .size:           8
        .value_kind:     global_buffer
      - .offset:         40
        .size:           4
        .value_kind:     by_value
      - .offset:         48
        .size:           8
        .value_kind:     by_value
      - .address_space:  global
        .offset:         56
        .size:           8
        .value_kind:     global_buffer
      - .offset:         64
        .size:           4
        .value_kind:     by_value
      - .offset:         72
        .size:           8
        .value_kind:     by_value
      - .offset:         80
        .size:           4
        .value_kind:     by_value
    .group_segment_fixed_size: 4096
    .kernarg_segment_align: 8
    .kernarg_segment_size: 84
    .language:       OpenCL C
    .language_version:
      - 2
      - 0
    .max_flat_workgroup_size: 256
    .name:           _ZL37rocblas_syrkx_herkx_restricted_kernelIi19rocblas_complex_numIfELi16ELi32ELi8ELi1ELin1ELb0ELc67ELc76EKS1_S1_EviT_PT9_S3_lS5_S3_lPT10_S3_li
    .private_segment_fixed_size: 0
    .sgpr_count:     26
    .sgpr_spill_count: 0
    .symbol:         _ZL37rocblas_syrkx_herkx_restricted_kernelIi19rocblas_complex_numIfELi16ELi32ELi8ELi1ELin1ELb0ELc67ELc76EKS1_S1_EviT_PT9_S3_lS5_S3_lPT10_S3_li.kd
    .uniform_work_group_size: 1
    .uses_dynamic_stack: false
    .vgpr_count:     41
    .vgpr_spill_count: 0
    .wavefront_size: 64
  - .args:
      - .offset:         0
        .size:           4
        .value_kind:     by_value
      - .offset:         4
        .size:           4
        .value_kind:     by_value
      - .address_space:  global
        .offset:         8
        .size:           8
        .value_kind:     global_buffer
      - .offset:         16
        .size:           4
        .value_kind:     by_value
      - .offset:         24
        .size:           8
        .value_kind:     by_value
      - .address_space:  global
        .offset:         32
        .size:           8
        .value_kind:     global_buffer
      - .offset:         40
        .size:           4
        .value_kind:     by_value
      - .offset:         48
        .size:           8
        .value_kind:     by_value
      - .address_space:  global
        .offset:         56
        .size:           8
        .value_kind:     global_buffer
      - .offset:         64
        .size:           4
        .value_kind:     by_value
      - .offset:         72
        .size:           8
        .value_kind:     by_value
      - .offset:         80
        .size:           4
        .value_kind:     by_value
    .group_segment_fixed_size: 4096
    .kernarg_segment_align: 8
    .kernarg_segment_size: 84
    .language:       OpenCL C
    .language_version:
      - 2
      - 0
    .max_flat_workgroup_size: 256
    .name:           _ZL37rocblas_syrkx_herkx_restricted_kernelIi19rocblas_complex_numIfELi16ELi32ELi8ELi1ELin1ELb0ELc78ELc76EKS1_S1_EviT_PT9_S3_lS5_S3_lPT10_S3_li
    .private_segment_fixed_size: 0
    .sgpr_count:     29
    .sgpr_spill_count: 0
    .symbol:         _ZL37rocblas_syrkx_herkx_restricted_kernelIi19rocblas_complex_numIfELi16ELi32ELi8ELi1ELin1ELb0ELc78ELc76EKS1_S1_EviT_PT9_S3_lS5_S3_lPT10_S3_li.kd
    .uniform_work_group_size: 1
    .uses_dynamic_stack: false
    .vgpr_count:     43
    .vgpr_spill_count: 0
    .wavefront_size: 64
  - .args:
      - .offset:         0
        .size:           4
        .value_kind:     by_value
      - .offset:         4
        .size:           4
        .value_kind:     by_value
      - .address_space:  global
        .offset:         8
        .size:           8
        .value_kind:     global_buffer
      - .offset:         16
        .size:           4
        .value_kind:     by_value
      - .offset:         24
        .size:           8
        .value_kind:     by_value
      - .address_space:  global
        .offset:         32
        .size:           8
        .value_kind:     global_buffer
      - .offset:         40
        .size:           4
        .value_kind:     by_value
      - .offset:         48
        .size:           8
        .value_kind:     by_value
      - .address_space:  global
        .offset:         56
        .size:           8
        .value_kind:     global_buffer
      - .offset:         64
        .size:           4
        .value_kind:     by_value
      - .offset:         72
        .size:           8
        .value_kind:     by_value
      - .offset:         80
        .size:           4
        .value_kind:     by_value
    .group_segment_fixed_size: 4096
    .kernarg_segment_align: 8
    .kernarg_segment_size: 84
    .language:       OpenCL C
    .language_version:
      - 2
      - 0
    .max_flat_workgroup_size: 256
    .name:           _ZL37rocblas_syrkx_herkx_restricted_kernelIi19rocblas_complex_numIfELi16ELi32ELi8ELi1ELin1ELb0ELc84ELc85EKS1_S1_EviT_PT9_S3_lS5_S3_lPT10_S3_li
    .private_segment_fixed_size: 0
    .sgpr_count:     26
    .sgpr_spill_count: 0
    .symbol:         _ZL37rocblas_syrkx_herkx_restricted_kernelIi19rocblas_complex_numIfELi16ELi32ELi8ELi1ELin1ELb0ELc84ELc85EKS1_S1_EviT_PT9_S3_lS5_S3_lPT10_S3_li.kd
    .uniform_work_group_size: 1
    .uses_dynamic_stack: false
    .vgpr_count:     41
    .vgpr_spill_count: 0
    .wavefront_size: 64
  - .args:
      - .offset:         0
        .size:           4
        .value_kind:     by_value
      - .offset:         4
        .size:           4
        .value_kind:     by_value
      - .address_space:  global
        .offset:         8
        .size:           8
        .value_kind:     global_buffer
      - .offset:         16
        .size:           4
        .value_kind:     by_value
      - .offset:         24
        .size:           8
        .value_kind:     by_value
      - .address_space:  global
        .offset:         32
        .size:           8
        .value_kind:     global_buffer
      - .offset:         40
        .size:           4
        .value_kind:     by_value
      - .offset:         48
        .size:           8
        .value_kind:     by_value
      - .address_space:  global
        .offset:         56
        .size:           8
        .value_kind:     global_buffer
      - .offset:         64
        .size:           4
        .value_kind:     by_value
      - .offset:         72
        .size:           8
        .value_kind:     by_value
      - .offset:         80
        .size:           4
        .value_kind:     by_value
    .group_segment_fixed_size: 4096
    .kernarg_segment_align: 8
    .kernarg_segment_size: 84
    .language:       OpenCL C
    .language_version:
      - 2
      - 0
    .max_flat_workgroup_size: 256
    .name:           _ZL37rocblas_syrkx_herkx_restricted_kernelIi19rocblas_complex_numIfELi16ELi32ELi8ELi1ELin1ELb0ELc67ELc85EKS1_S1_EviT_PT9_S3_lS5_S3_lPT10_S3_li
    .private_segment_fixed_size: 0
    .sgpr_count:     26
    .sgpr_spill_count: 0
    .symbol:         _ZL37rocblas_syrkx_herkx_restricted_kernelIi19rocblas_complex_numIfELi16ELi32ELi8ELi1ELin1ELb0ELc67ELc85EKS1_S1_EviT_PT9_S3_lS5_S3_lPT10_S3_li.kd
    .uniform_work_group_size: 1
    .uses_dynamic_stack: false
    .vgpr_count:     41
    .vgpr_spill_count: 0
    .wavefront_size: 64
  - .args:
      - .offset:         0
        .size:           4
        .value_kind:     by_value
      - .offset:         4
        .size:           4
        .value_kind:     by_value
      - .address_space:  global
        .offset:         8
        .size:           8
        .value_kind:     global_buffer
      - .offset:         16
        .size:           4
        .value_kind:     by_value
      - .offset:         24
        .size:           8
        .value_kind:     by_value
      - .address_space:  global
        .offset:         32
        .size:           8
        .value_kind:     global_buffer
      - .offset:         40
        .size:           4
        .value_kind:     by_value
      - .offset:         48
        .size:           8
        .value_kind:     by_value
      - .address_space:  global
        .offset:         56
        .size:           8
        .value_kind:     global_buffer
      - .offset:         64
        .size:           4
        .value_kind:     by_value
      - .offset:         72
        .size:           8
        .value_kind:     by_value
      - .offset:         80
        .size:           4
        .value_kind:     by_value
    .group_segment_fixed_size: 4096
    .kernarg_segment_align: 8
    .kernarg_segment_size: 84
    .language:       OpenCL C
    .language_version:
      - 2
      - 0
    .max_flat_workgroup_size: 256
    .name:           _ZL37rocblas_syrkx_herkx_restricted_kernelIi19rocblas_complex_numIfELi16ELi32ELi8ELi1ELin1ELb0ELc78ELc85EKS1_S1_EviT_PT9_S3_lS5_S3_lPT10_S3_li
    .private_segment_fixed_size: 0
    .sgpr_count:     29
    .sgpr_spill_count: 0
    .symbol:         _ZL37rocblas_syrkx_herkx_restricted_kernelIi19rocblas_complex_numIfELi16ELi32ELi8ELi1ELin1ELb0ELc78ELc85EKS1_S1_EviT_PT9_S3_lS5_S3_lPT10_S3_li.kd
    .uniform_work_group_size: 1
    .uses_dynamic_stack: false
    .vgpr_count:     43
    .vgpr_spill_count: 0
    .wavefront_size: 64
  - .args:
      - .offset:         0
        .size:           4
        .value_kind:     by_value
      - .offset:         4
        .size:           4
        .value_kind:     by_value
      - .address_space:  global
        .offset:         8
        .size:           8
        .value_kind:     global_buffer
      - .offset:         16
        .size:           4
        .value_kind:     by_value
      - .offset:         24
        .size:           8
        .value_kind:     by_value
      - .address_space:  global
        .offset:         32
        .size:           8
        .value_kind:     global_buffer
      - .offset:         40
        .size:           4
        .value_kind:     by_value
      - .offset:         48
        .size:           8
        .value_kind:     by_value
      - .address_space:  global
        .offset:         56
        .size:           8
        .value_kind:     global_buffer
      - .offset:         64
        .size:           4
        .value_kind:     by_value
      - .offset:         72
        .size:           8
        .value_kind:     by_value
      - .offset:         80
        .size:           4
        .value_kind:     by_value
    .group_segment_fixed_size: 4096
    .kernarg_segment_align: 8
    .kernarg_segment_size: 84
    .language:       OpenCL C
    .language_version:
      - 2
      - 0
    .max_flat_workgroup_size: 256
    .name:           _ZL37rocblas_syrkx_herkx_restricted_kernelIi19rocblas_complex_numIfELi16ELi32ELi8ELi1ELi0ELb0ELc84ELc76EKS1_S1_EviT_PT9_S3_lS5_S3_lPT10_S3_li
    .private_segment_fixed_size: 0
    .sgpr_count:     26
    .sgpr_spill_count: 0
    .symbol:         _ZL37rocblas_syrkx_herkx_restricted_kernelIi19rocblas_complex_numIfELi16ELi32ELi8ELi1ELi0ELb0ELc84ELc76EKS1_S1_EviT_PT9_S3_lS5_S3_lPT10_S3_li.kd
    .uniform_work_group_size: 1
    .uses_dynamic_stack: false
    .vgpr_count:     41
    .vgpr_spill_count: 0
    .wavefront_size: 64
  - .args:
      - .offset:         0
        .size:           4
        .value_kind:     by_value
      - .offset:         4
        .size:           4
        .value_kind:     by_value
      - .address_space:  global
        .offset:         8
        .size:           8
        .value_kind:     global_buffer
      - .offset:         16
        .size:           4
        .value_kind:     by_value
      - .offset:         24
        .size:           8
        .value_kind:     by_value
      - .address_space:  global
        .offset:         32
        .size:           8
        .value_kind:     global_buffer
      - .offset:         40
        .size:           4
        .value_kind:     by_value
      - .offset:         48
        .size:           8
        .value_kind:     by_value
      - .address_space:  global
        .offset:         56
        .size:           8
        .value_kind:     global_buffer
      - .offset:         64
        .size:           4
        .value_kind:     by_value
      - .offset:         72
        .size:           8
        .value_kind:     by_value
      - .offset:         80
        .size:           4
        .value_kind:     by_value
    .group_segment_fixed_size: 4096
    .kernarg_segment_align: 8
    .kernarg_segment_size: 84
    .language:       OpenCL C
    .language_version:
      - 2
      - 0
    .max_flat_workgroup_size: 256
    .name:           _ZL37rocblas_syrkx_herkx_restricted_kernelIi19rocblas_complex_numIfELi16ELi32ELi8ELi1ELi0ELb0ELc67ELc76EKS1_S1_EviT_PT9_S3_lS5_S3_lPT10_S3_li
    .private_segment_fixed_size: 0
    .sgpr_count:     26
    .sgpr_spill_count: 0
    .symbol:         _ZL37rocblas_syrkx_herkx_restricted_kernelIi19rocblas_complex_numIfELi16ELi32ELi8ELi1ELi0ELb0ELc67ELc76EKS1_S1_EviT_PT9_S3_lS5_S3_lPT10_S3_li.kd
    .uniform_work_group_size: 1
    .uses_dynamic_stack: false
    .vgpr_count:     41
    .vgpr_spill_count: 0
    .wavefront_size: 64
  - .args:
      - .offset:         0
        .size:           4
        .value_kind:     by_value
      - .offset:         4
        .size:           4
        .value_kind:     by_value
      - .address_space:  global
        .offset:         8
        .size:           8
        .value_kind:     global_buffer
      - .offset:         16
        .size:           4
        .value_kind:     by_value
      - .offset:         24
        .size:           8
        .value_kind:     by_value
      - .address_space:  global
        .offset:         32
        .size:           8
        .value_kind:     global_buffer
      - .offset:         40
        .size:           4
        .value_kind:     by_value
      - .offset:         48
        .size:           8
        .value_kind:     by_value
      - .address_space:  global
        .offset:         56
        .size:           8
        .value_kind:     global_buffer
      - .offset:         64
        .size:           4
        .value_kind:     by_value
      - .offset:         72
        .size:           8
        .value_kind:     by_value
      - .offset:         80
        .size:           4
        .value_kind:     by_value
    .group_segment_fixed_size: 4096
    .kernarg_segment_align: 8
    .kernarg_segment_size: 84
    .language:       OpenCL C
    .language_version:
      - 2
      - 0
    .max_flat_workgroup_size: 256
    .name:           _ZL37rocblas_syrkx_herkx_restricted_kernelIi19rocblas_complex_numIfELi16ELi32ELi8ELi1ELi0ELb0ELc78ELc76EKS1_S1_EviT_PT9_S3_lS5_S3_lPT10_S3_li
    .private_segment_fixed_size: 0
    .sgpr_count:     29
    .sgpr_spill_count: 0
    .symbol:         _ZL37rocblas_syrkx_herkx_restricted_kernelIi19rocblas_complex_numIfELi16ELi32ELi8ELi1ELi0ELb0ELc78ELc76EKS1_S1_EviT_PT9_S3_lS5_S3_lPT10_S3_li.kd
    .uniform_work_group_size: 1
    .uses_dynamic_stack: false
    .vgpr_count:     43
    .vgpr_spill_count: 0
    .wavefront_size: 64
  - .args:
      - .offset:         0
        .size:           4
        .value_kind:     by_value
      - .offset:         4
        .size:           4
        .value_kind:     by_value
      - .address_space:  global
        .offset:         8
        .size:           8
        .value_kind:     global_buffer
      - .offset:         16
        .size:           4
        .value_kind:     by_value
      - .offset:         24
        .size:           8
        .value_kind:     by_value
      - .address_space:  global
        .offset:         32
        .size:           8
        .value_kind:     global_buffer
      - .offset:         40
        .size:           4
        .value_kind:     by_value
      - .offset:         48
        .size:           8
        .value_kind:     by_value
      - .address_space:  global
        .offset:         56
        .size:           8
        .value_kind:     global_buffer
      - .offset:         64
        .size:           4
        .value_kind:     by_value
      - .offset:         72
        .size:           8
        .value_kind:     by_value
      - .offset:         80
        .size:           4
        .value_kind:     by_value
    .group_segment_fixed_size: 4096
    .kernarg_segment_align: 8
    .kernarg_segment_size: 84
    .language:       OpenCL C
    .language_version:
      - 2
      - 0
    .max_flat_workgroup_size: 256
    .name:           _ZL37rocblas_syrkx_herkx_restricted_kernelIi19rocblas_complex_numIfELi16ELi32ELi8ELi1ELi0ELb0ELc84ELc85EKS1_S1_EviT_PT9_S3_lS5_S3_lPT10_S3_li
    .private_segment_fixed_size: 0
    .sgpr_count:     26
    .sgpr_spill_count: 0
    .symbol:         _ZL37rocblas_syrkx_herkx_restricted_kernelIi19rocblas_complex_numIfELi16ELi32ELi8ELi1ELi0ELb0ELc84ELc85EKS1_S1_EviT_PT9_S3_lS5_S3_lPT10_S3_li.kd
    .uniform_work_group_size: 1
    .uses_dynamic_stack: false
    .vgpr_count:     41
    .vgpr_spill_count: 0
    .wavefront_size: 64
  - .args:
      - .offset:         0
        .size:           4
        .value_kind:     by_value
      - .offset:         4
        .size:           4
        .value_kind:     by_value
      - .address_space:  global
        .offset:         8
        .size:           8
        .value_kind:     global_buffer
      - .offset:         16
        .size:           4
        .value_kind:     by_value
      - .offset:         24
        .size:           8
        .value_kind:     by_value
      - .address_space:  global
        .offset:         32
        .size:           8
        .value_kind:     global_buffer
      - .offset:         40
        .size:           4
        .value_kind:     by_value
      - .offset:         48
        .size:           8
        .value_kind:     by_value
      - .address_space:  global
        .offset:         56
        .size:           8
        .value_kind:     global_buffer
      - .offset:         64
        .size:           4
        .value_kind:     by_value
      - .offset:         72
        .size:           8
        .value_kind:     by_value
      - .offset:         80
        .size:           4
        .value_kind:     by_value
    .group_segment_fixed_size: 4096
    .kernarg_segment_align: 8
    .kernarg_segment_size: 84
    .language:       OpenCL C
    .language_version:
      - 2
      - 0
    .max_flat_workgroup_size: 256
    .name:           _ZL37rocblas_syrkx_herkx_restricted_kernelIi19rocblas_complex_numIfELi16ELi32ELi8ELi1ELi0ELb0ELc67ELc85EKS1_S1_EviT_PT9_S3_lS5_S3_lPT10_S3_li
    .private_segment_fixed_size: 0
    .sgpr_count:     26
    .sgpr_spill_count: 0
    .symbol:         _ZL37rocblas_syrkx_herkx_restricted_kernelIi19rocblas_complex_numIfELi16ELi32ELi8ELi1ELi0ELb0ELc67ELc85EKS1_S1_EviT_PT9_S3_lS5_S3_lPT10_S3_li.kd
    .uniform_work_group_size: 1
    .uses_dynamic_stack: false
    .vgpr_count:     41
    .vgpr_spill_count: 0
    .wavefront_size: 64
  - .args:
      - .offset:         0
        .size:           4
        .value_kind:     by_value
      - .offset:         4
        .size:           4
        .value_kind:     by_value
      - .address_space:  global
        .offset:         8
        .size:           8
        .value_kind:     global_buffer
      - .offset:         16
        .size:           4
        .value_kind:     by_value
      - .offset:         24
        .size:           8
        .value_kind:     by_value
      - .address_space:  global
        .offset:         32
        .size:           8
        .value_kind:     global_buffer
      - .offset:         40
        .size:           4
        .value_kind:     by_value
      - .offset:         48
        .size:           8
        .value_kind:     by_value
      - .address_space:  global
        .offset:         56
        .size:           8
        .value_kind:     global_buffer
      - .offset:         64
        .size:           4
        .value_kind:     by_value
      - .offset:         72
        .size:           8
        .value_kind:     by_value
      - .offset:         80
        .size:           4
        .value_kind:     by_value
    .group_segment_fixed_size: 4096
    .kernarg_segment_align: 8
    .kernarg_segment_size: 84
    .language:       OpenCL C
    .language_version:
      - 2
      - 0
    .max_flat_workgroup_size: 256
    .name:           _ZL37rocblas_syrkx_herkx_restricted_kernelIi19rocblas_complex_numIfELi16ELi32ELi8ELi1ELi0ELb0ELc78ELc85EKS1_S1_EviT_PT9_S3_lS5_S3_lPT10_S3_li
    .private_segment_fixed_size: 0
    .sgpr_count:     29
    .sgpr_spill_count: 0
    .symbol:         _ZL37rocblas_syrkx_herkx_restricted_kernelIi19rocblas_complex_numIfELi16ELi32ELi8ELi1ELi0ELb0ELc78ELc85EKS1_S1_EviT_PT9_S3_lS5_S3_lPT10_S3_li.kd
    .uniform_work_group_size: 1
    .uses_dynamic_stack: false
    .vgpr_count:     43
    .vgpr_spill_count: 0
    .wavefront_size: 64
  - .args:
      - .offset:         0
        .size:           4
        .value_kind:     by_value
      - .offset:         4
        .size:           4
        .value_kind:     by_value
      - .address_space:  global
        .offset:         8
        .size:           8
        .value_kind:     global_buffer
      - .offset:         16
        .size:           4
        .value_kind:     by_value
      - .offset:         24
        .size:           8
        .value_kind:     by_value
      - .address_space:  global
        .offset:         32
        .size:           8
        .value_kind:     global_buffer
      - .offset:         40
        .size:           4
        .value_kind:     by_value
      - .offset:         48
        .size:           8
        .value_kind:     by_value
      - .address_space:  global
        .offset:         56
        .size:           8
        .value_kind:     global_buffer
      - .offset:         64
        .size:           4
        .value_kind:     by_value
      - .offset:         72
        .size:           8
        .value_kind:     by_value
      - .offset:         80
        .size:           4
        .value_kind:     by_value
    .group_segment_fixed_size: 4096
    .kernarg_segment_align: 8
    .kernarg_segment_size: 84
    .language:       OpenCL C
    .language_version:
      - 2
      - 0
    .max_flat_workgroup_size: 256
    .name:           _ZL37rocblas_syrkx_herkx_restricted_kernelIi19rocblas_complex_numIfELi16ELi32ELi8ELin1ELi0ELb0ELc84ELc76EKS1_S1_EviT_PT9_S3_lS5_S3_lPT10_S3_li
    .private_segment_fixed_size: 0
    .sgpr_count:     26
    .sgpr_spill_count: 0
    .symbol:         _ZL37rocblas_syrkx_herkx_restricted_kernelIi19rocblas_complex_numIfELi16ELi32ELi8ELin1ELi0ELb0ELc84ELc76EKS1_S1_EviT_PT9_S3_lS5_S3_lPT10_S3_li.kd
    .uniform_work_group_size: 1
    .uses_dynamic_stack: false
    .vgpr_count:     41
    .vgpr_spill_count: 0
    .wavefront_size: 64
  - .args:
      - .offset:         0
        .size:           4
        .value_kind:     by_value
      - .offset:         4
        .size:           4
        .value_kind:     by_value
      - .address_space:  global
        .offset:         8
        .size:           8
        .value_kind:     global_buffer
      - .offset:         16
        .size:           4
        .value_kind:     by_value
      - .offset:         24
        .size:           8
        .value_kind:     by_value
      - .address_space:  global
        .offset:         32
        .size:           8
        .value_kind:     global_buffer
      - .offset:         40
        .size:           4
        .value_kind:     by_value
      - .offset:         48
        .size:           8
        .value_kind:     by_value
      - .address_space:  global
        .offset:         56
        .size:           8
        .value_kind:     global_buffer
      - .offset:         64
        .size:           4
        .value_kind:     by_value
      - .offset:         72
        .size:           8
        .value_kind:     by_value
      - .offset:         80
        .size:           4
        .value_kind:     by_value
    .group_segment_fixed_size: 4096
    .kernarg_segment_align: 8
    .kernarg_segment_size: 84
    .language:       OpenCL C
    .language_version:
      - 2
      - 0
    .max_flat_workgroup_size: 256
    .name:           _ZL37rocblas_syrkx_herkx_restricted_kernelIi19rocblas_complex_numIfELi16ELi32ELi8ELin1ELi0ELb0ELc67ELc76EKS1_S1_EviT_PT9_S3_lS5_S3_lPT10_S3_li
    .private_segment_fixed_size: 0
    .sgpr_count:     26
    .sgpr_spill_count: 0
    .symbol:         _ZL37rocblas_syrkx_herkx_restricted_kernelIi19rocblas_complex_numIfELi16ELi32ELi8ELin1ELi0ELb0ELc67ELc76EKS1_S1_EviT_PT9_S3_lS5_S3_lPT10_S3_li.kd
    .uniform_work_group_size: 1
    .uses_dynamic_stack: false
    .vgpr_count:     41
    .vgpr_spill_count: 0
    .wavefront_size: 64
  - .args:
      - .offset:         0
        .size:           4
        .value_kind:     by_value
      - .offset:         4
        .size:           4
        .value_kind:     by_value
      - .address_space:  global
        .offset:         8
        .size:           8
        .value_kind:     global_buffer
      - .offset:         16
        .size:           4
        .value_kind:     by_value
      - .offset:         24
        .size:           8
        .value_kind:     by_value
      - .address_space:  global
        .offset:         32
        .size:           8
        .value_kind:     global_buffer
      - .offset:         40
        .size:           4
        .value_kind:     by_value
      - .offset:         48
        .size:           8
        .value_kind:     by_value
      - .address_space:  global
        .offset:         56
        .size:           8
        .value_kind:     global_buffer
      - .offset:         64
        .size:           4
        .value_kind:     by_value
      - .offset:         72
        .size:           8
        .value_kind:     by_value
      - .offset:         80
        .size:           4
        .value_kind:     by_value
    .group_segment_fixed_size: 4096
    .kernarg_segment_align: 8
    .kernarg_segment_size: 84
    .language:       OpenCL C
    .language_version:
      - 2
      - 0
    .max_flat_workgroup_size: 256
    .name:           _ZL37rocblas_syrkx_herkx_restricted_kernelIi19rocblas_complex_numIfELi16ELi32ELi8ELin1ELi0ELb0ELc78ELc76EKS1_S1_EviT_PT9_S3_lS5_S3_lPT10_S3_li
    .private_segment_fixed_size: 0
    .sgpr_count:     29
    .sgpr_spill_count: 0
    .symbol:         _ZL37rocblas_syrkx_herkx_restricted_kernelIi19rocblas_complex_numIfELi16ELi32ELi8ELin1ELi0ELb0ELc78ELc76EKS1_S1_EviT_PT9_S3_lS5_S3_lPT10_S3_li.kd
    .uniform_work_group_size: 1
    .uses_dynamic_stack: false
    .vgpr_count:     43
    .vgpr_spill_count: 0
    .wavefront_size: 64
  - .args:
      - .offset:         0
        .size:           4
        .value_kind:     by_value
      - .offset:         4
        .size:           4
        .value_kind:     by_value
      - .address_space:  global
        .offset:         8
        .size:           8
        .value_kind:     global_buffer
      - .offset:         16
        .size:           4
        .value_kind:     by_value
      - .offset:         24
        .size:           8
        .value_kind:     by_value
      - .address_space:  global
        .offset:         32
        .size:           8
        .value_kind:     global_buffer
      - .offset:         40
        .size:           4
        .value_kind:     by_value
      - .offset:         48
        .size:           8
        .value_kind:     by_value
      - .address_space:  global
        .offset:         56
        .size:           8
        .value_kind:     global_buffer
      - .offset:         64
        .size:           4
        .value_kind:     by_value
      - .offset:         72
        .size:           8
        .value_kind:     by_value
      - .offset:         80
        .size:           4
        .value_kind:     by_value
    .group_segment_fixed_size: 4096
    .kernarg_segment_align: 8
    .kernarg_segment_size: 84
    .language:       OpenCL C
    .language_version:
      - 2
      - 0
    .max_flat_workgroup_size: 256
    .name:           _ZL37rocblas_syrkx_herkx_restricted_kernelIi19rocblas_complex_numIfELi16ELi32ELi8ELin1ELi0ELb0ELc84ELc85EKS1_S1_EviT_PT9_S3_lS5_S3_lPT10_S3_li
    .private_segment_fixed_size: 0
    .sgpr_count:     26
    .sgpr_spill_count: 0
    .symbol:         _ZL37rocblas_syrkx_herkx_restricted_kernelIi19rocblas_complex_numIfELi16ELi32ELi8ELin1ELi0ELb0ELc84ELc85EKS1_S1_EviT_PT9_S3_lS5_S3_lPT10_S3_li.kd
    .uniform_work_group_size: 1
    .uses_dynamic_stack: false
    .vgpr_count:     41
    .vgpr_spill_count: 0
    .wavefront_size: 64
  - .args:
      - .offset:         0
        .size:           4
        .value_kind:     by_value
      - .offset:         4
        .size:           4
        .value_kind:     by_value
      - .address_space:  global
        .offset:         8
        .size:           8
        .value_kind:     global_buffer
      - .offset:         16
        .size:           4
        .value_kind:     by_value
      - .offset:         24
        .size:           8
        .value_kind:     by_value
      - .address_space:  global
        .offset:         32
        .size:           8
        .value_kind:     global_buffer
      - .offset:         40
        .size:           4
        .value_kind:     by_value
      - .offset:         48
        .size:           8
        .value_kind:     by_value
      - .address_space:  global
        .offset:         56
        .size:           8
        .value_kind:     global_buffer
      - .offset:         64
        .size:           4
        .value_kind:     by_value
      - .offset:         72
        .size:           8
        .value_kind:     by_value
      - .offset:         80
        .size:           4
        .value_kind:     by_value
    .group_segment_fixed_size: 4096
    .kernarg_segment_align: 8
    .kernarg_segment_size: 84
    .language:       OpenCL C
    .language_version:
      - 2
      - 0
    .max_flat_workgroup_size: 256
    .name:           _ZL37rocblas_syrkx_herkx_restricted_kernelIi19rocblas_complex_numIfELi16ELi32ELi8ELin1ELi0ELb0ELc67ELc85EKS1_S1_EviT_PT9_S3_lS5_S3_lPT10_S3_li
    .private_segment_fixed_size: 0
    .sgpr_count:     26
    .sgpr_spill_count: 0
    .symbol:         _ZL37rocblas_syrkx_herkx_restricted_kernelIi19rocblas_complex_numIfELi16ELi32ELi8ELin1ELi0ELb0ELc67ELc85EKS1_S1_EviT_PT9_S3_lS5_S3_lPT10_S3_li.kd
    .uniform_work_group_size: 1
    .uses_dynamic_stack: false
    .vgpr_count:     41
    .vgpr_spill_count: 0
    .wavefront_size: 64
  - .args:
      - .offset:         0
        .size:           4
        .value_kind:     by_value
      - .offset:         4
        .size:           4
        .value_kind:     by_value
      - .address_space:  global
        .offset:         8
        .size:           8
        .value_kind:     global_buffer
      - .offset:         16
        .size:           4
        .value_kind:     by_value
      - .offset:         24
        .size:           8
        .value_kind:     by_value
      - .address_space:  global
        .offset:         32
        .size:           8
        .value_kind:     global_buffer
      - .offset:         40
        .size:           4
        .value_kind:     by_value
      - .offset:         48
        .size:           8
        .value_kind:     by_value
      - .address_space:  global
        .offset:         56
        .size:           8
        .value_kind:     global_buffer
      - .offset:         64
        .size:           4
        .value_kind:     by_value
      - .offset:         72
        .size:           8
        .value_kind:     by_value
      - .offset:         80
        .size:           4
        .value_kind:     by_value
    .group_segment_fixed_size: 4096
    .kernarg_segment_align: 8
    .kernarg_segment_size: 84
    .language:       OpenCL C
    .language_version:
      - 2
      - 0
    .max_flat_workgroup_size: 256
    .name:           _ZL37rocblas_syrkx_herkx_restricted_kernelIi19rocblas_complex_numIfELi16ELi32ELi8ELin1ELi0ELb0ELc78ELc85EKS1_S1_EviT_PT9_S3_lS5_S3_lPT10_S3_li
    .private_segment_fixed_size: 0
    .sgpr_count:     29
    .sgpr_spill_count: 0
    .symbol:         _ZL37rocblas_syrkx_herkx_restricted_kernelIi19rocblas_complex_numIfELi16ELi32ELi8ELin1ELi0ELb0ELc78ELc85EKS1_S1_EviT_PT9_S3_lS5_S3_lPT10_S3_li.kd
    .uniform_work_group_size: 1
    .uses_dynamic_stack: false
    .vgpr_count:     43
    .vgpr_spill_count: 0
    .wavefront_size: 64
  - .args:
      - .offset:         0
        .size:           4
        .value_kind:     by_value
      - .offset:         4
        .size:           4
        .value_kind:     by_value
      - .offset:         8
        .size:           8
        .value_kind:     by_value
      - .address_space:  global
        .offset:         16
        .size:           8
        .value_kind:     global_buffer
      - .offset:         24
        .size:           4
        .value_kind:     by_value
      - .offset:         32
        .size:           8
        .value_kind:     by_value
      - .address_space:  global
        .offset:         40
        .size:           8
        .value_kind:     global_buffer
      - .offset:         48
        .size:           4
        .value_kind:     by_value
      - .offset:         56
        .size:           8
        .value_kind:     by_value
      - .offset:         64
        .size:           8
        .value_kind:     by_value
      - .address_space:  global
        .offset:         72
        .size:           8
        .value_kind:     global_buffer
      - .offset:         80
        .size:           4
        .value_kind:     by_value
      - .offset:         88
        .size:           8
        .value_kind:     by_value
      - .offset:         96
        .size:           4
        .value_kind:     by_value
    .group_segment_fixed_size: 4096
    .kernarg_segment_align: 8
    .kernarg_segment_size: 100
    .language:       OpenCL C
    .language_version:
      - 2
      - 0
    .max_flat_workgroup_size: 256
    .name:           _ZL37rocblas_syrkx_herkx_restricted_kernelIi19rocblas_complex_numIfELi16ELi32ELi8ELb1ELb0ELc84ELc76EKS1_S1_EviT_T0_PT8_S3_lS6_S3_lS4_PT9_S3_li
    .private_segment_fixed_size: 0
    .sgpr_count:     26
    .sgpr_spill_count: 0
    .symbol:         _ZL37rocblas_syrkx_herkx_restricted_kernelIi19rocblas_complex_numIfELi16ELi32ELi8ELb1ELb0ELc84ELc76EKS1_S1_EviT_T0_PT8_S3_lS6_S3_lS4_PT9_S3_li.kd
    .uniform_work_group_size: 1
    .uses_dynamic_stack: false
    .vgpr_count:     41
    .vgpr_spill_count: 0
    .wavefront_size: 64
  - .args:
      - .offset:         0
        .size:           4
        .value_kind:     by_value
      - .offset:         4
        .size:           4
        .value_kind:     by_value
      - .offset:         8
        .size:           8
        .value_kind:     by_value
      - .address_space:  global
        .offset:         16
        .size:           8
        .value_kind:     global_buffer
      - .offset:         24
        .size:           4
        .value_kind:     by_value
      - .offset:         32
        .size:           8
        .value_kind:     by_value
      - .address_space:  global
        .offset:         40
        .size:           8
        .value_kind:     global_buffer
      - .offset:         48
        .size:           4
        .value_kind:     by_value
      - .offset:         56
        .size:           8
        .value_kind:     by_value
      - .offset:         64
        .size:           8
        .value_kind:     by_value
      - .address_space:  global
        .offset:         72
        .size:           8
        .value_kind:     global_buffer
      - .offset:         80
        .size:           4
        .value_kind:     by_value
      - .offset:         88
        .size:           8
        .value_kind:     by_value
      - .offset:         96
        .size:           4
        .value_kind:     by_value
    .group_segment_fixed_size: 4096
    .kernarg_segment_align: 8
    .kernarg_segment_size: 100
    .language:       OpenCL C
    .language_version:
      - 2
      - 0
    .max_flat_workgroup_size: 256
    .name:           _ZL37rocblas_syrkx_herkx_restricted_kernelIi19rocblas_complex_numIfELi16ELi32ELi8ELb1ELb0ELc67ELc76EKS1_S1_EviT_T0_PT8_S3_lS6_S3_lS4_PT9_S3_li
    .private_segment_fixed_size: 0
    .sgpr_count:     26
    .sgpr_spill_count: 0
    .symbol:         _ZL37rocblas_syrkx_herkx_restricted_kernelIi19rocblas_complex_numIfELi16ELi32ELi8ELb1ELb0ELc67ELc76EKS1_S1_EviT_T0_PT8_S3_lS6_S3_lS4_PT9_S3_li.kd
    .uniform_work_group_size: 1
    .uses_dynamic_stack: false
    .vgpr_count:     41
    .vgpr_spill_count: 0
    .wavefront_size: 64
  - .args:
      - .offset:         0
        .size:           4
        .value_kind:     by_value
      - .offset:         4
        .size:           4
        .value_kind:     by_value
      - .offset:         8
        .size:           8
        .value_kind:     by_value
      - .address_space:  global
        .offset:         16
        .size:           8
        .value_kind:     global_buffer
      - .offset:         24
        .size:           4
        .value_kind:     by_value
      - .offset:         32
        .size:           8
        .value_kind:     by_value
      - .address_space:  global
        .offset:         40
        .size:           8
        .value_kind:     global_buffer
      - .offset:         48
        .size:           4
        .value_kind:     by_value
      - .offset:         56
        .size:           8
        .value_kind:     by_value
      - .offset:         64
        .size:           8
        .value_kind:     by_value
      - .address_space:  global
        .offset:         72
        .size:           8
        .value_kind:     global_buffer
      - .offset:         80
        .size:           4
        .value_kind:     by_value
      - .offset:         88
        .size:           8
        .value_kind:     by_value
      - .offset:         96
        .size:           4
        .value_kind:     by_value
    .group_segment_fixed_size: 4096
    .kernarg_segment_align: 8
    .kernarg_segment_size: 100
    .language:       OpenCL C
    .language_version:
      - 2
      - 0
    .max_flat_workgroup_size: 256
    .name:           _ZL37rocblas_syrkx_herkx_restricted_kernelIi19rocblas_complex_numIfELi16ELi32ELi8ELb1ELb0ELc78ELc76EKS1_S1_EviT_T0_PT8_S3_lS6_S3_lS4_PT9_S3_li
    .private_segment_fixed_size: 0
    .sgpr_count:     29
    .sgpr_spill_count: 0
    .symbol:         _ZL37rocblas_syrkx_herkx_restricted_kernelIi19rocblas_complex_numIfELi16ELi32ELi8ELb1ELb0ELc78ELc76EKS1_S1_EviT_T0_PT8_S3_lS6_S3_lS4_PT9_S3_li.kd
    .uniform_work_group_size: 1
    .uses_dynamic_stack: false
    .vgpr_count:     43
    .vgpr_spill_count: 0
    .wavefront_size: 64
  - .args:
      - .offset:         0
        .size:           4
        .value_kind:     by_value
      - .offset:         4
        .size:           4
        .value_kind:     by_value
      - .offset:         8
        .size:           8
        .value_kind:     by_value
      - .address_space:  global
        .offset:         16
        .size:           8
        .value_kind:     global_buffer
      - .offset:         24
        .size:           4
        .value_kind:     by_value
      - .offset:         32
        .size:           8
        .value_kind:     by_value
      - .address_space:  global
        .offset:         40
        .size:           8
        .value_kind:     global_buffer
      - .offset:         48
        .size:           4
        .value_kind:     by_value
      - .offset:         56
        .size:           8
        .value_kind:     by_value
      - .offset:         64
        .size:           8
        .value_kind:     by_value
      - .address_space:  global
        .offset:         72
        .size:           8
        .value_kind:     global_buffer
      - .offset:         80
        .size:           4
        .value_kind:     by_value
      - .offset:         88
        .size:           8
        .value_kind:     by_value
      - .offset:         96
        .size:           4
        .value_kind:     by_value
    .group_segment_fixed_size: 4096
    .kernarg_segment_align: 8
    .kernarg_segment_size: 100
    .language:       OpenCL C
    .language_version:
      - 2
      - 0
    .max_flat_workgroup_size: 256
    .name:           _ZL37rocblas_syrkx_herkx_restricted_kernelIi19rocblas_complex_numIfELi16ELi32ELi8ELb1ELb0ELc84ELc85EKS1_S1_EviT_T0_PT8_S3_lS6_S3_lS4_PT9_S3_li
    .private_segment_fixed_size: 0
    .sgpr_count:     26
    .sgpr_spill_count: 0
    .symbol:         _ZL37rocblas_syrkx_herkx_restricted_kernelIi19rocblas_complex_numIfELi16ELi32ELi8ELb1ELb0ELc84ELc85EKS1_S1_EviT_T0_PT8_S3_lS6_S3_lS4_PT9_S3_li.kd
    .uniform_work_group_size: 1
    .uses_dynamic_stack: false
    .vgpr_count:     41
    .vgpr_spill_count: 0
    .wavefront_size: 64
  - .args:
      - .offset:         0
        .size:           4
        .value_kind:     by_value
      - .offset:         4
        .size:           4
        .value_kind:     by_value
      - .offset:         8
        .size:           8
        .value_kind:     by_value
      - .address_space:  global
        .offset:         16
        .size:           8
        .value_kind:     global_buffer
      - .offset:         24
        .size:           4
        .value_kind:     by_value
      - .offset:         32
        .size:           8
        .value_kind:     by_value
      - .address_space:  global
        .offset:         40
        .size:           8
        .value_kind:     global_buffer
      - .offset:         48
        .size:           4
        .value_kind:     by_value
      - .offset:         56
        .size:           8
        .value_kind:     by_value
      - .offset:         64
        .size:           8
        .value_kind:     by_value
      - .address_space:  global
        .offset:         72
        .size:           8
        .value_kind:     global_buffer
      - .offset:         80
        .size:           4
        .value_kind:     by_value
      - .offset:         88
        .size:           8
        .value_kind:     by_value
      - .offset:         96
        .size:           4
        .value_kind:     by_value
    .group_segment_fixed_size: 4096
    .kernarg_segment_align: 8
    .kernarg_segment_size: 100
    .language:       OpenCL C
    .language_version:
      - 2
      - 0
    .max_flat_workgroup_size: 256
    .name:           _ZL37rocblas_syrkx_herkx_restricted_kernelIi19rocblas_complex_numIfELi16ELi32ELi8ELb1ELb0ELc67ELc85EKS1_S1_EviT_T0_PT8_S3_lS6_S3_lS4_PT9_S3_li
    .private_segment_fixed_size: 0
    .sgpr_count:     26
    .sgpr_spill_count: 0
    .symbol:         _ZL37rocblas_syrkx_herkx_restricted_kernelIi19rocblas_complex_numIfELi16ELi32ELi8ELb1ELb0ELc67ELc85EKS1_S1_EviT_T0_PT8_S3_lS6_S3_lS4_PT9_S3_li.kd
    .uniform_work_group_size: 1
    .uses_dynamic_stack: false
    .vgpr_count:     41
    .vgpr_spill_count: 0
    .wavefront_size: 64
  - .args:
      - .offset:         0
        .size:           4
        .value_kind:     by_value
      - .offset:         4
        .size:           4
        .value_kind:     by_value
      - .offset:         8
        .size:           8
        .value_kind:     by_value
      - .address_space:  global
        .offset:         16
        .size:           8
        .value_kind:     global_buffer
      - .offset:         24
        .size:           4
        .value_kind:     by_value
      - .offset:         32
        .size:           8
        .value_kind:     by_value
      - .address_space:  global
        .offset:         40
        .size:           8
        .value_kind:     global_buffer
      - .offset:         48
        .size:           4
        .value_kind:     by_value
      - .offset:         56
        .size:           8
        .value_kind:     by_value
      - .offset:         64
        .size:           8
        .value_kind:     by_value
      - .address_space:  global
        .offset:         72
        .size:           8
        .value_kind:     global_buffer
      - .offset:         80
        .size:           4
        .value_kind:     by_value
      - .offset:         88
        .size:           8
        .value_kind:     by_value
      - .offset:         96
        .size:           4
        .value_kind:     by_value
    .group_segment_fixed_size: 4096
    .kernarg_segment_align: 8
    .kernarg_segment_size: 100
    .language:       OpenCL C
    .language_version:
      - 2
      - 0
    .max_flat_workgroup_size: 256
    .name:           _ZL37rocblas_syrkx_herkx_restricted_kernelIi19rocblas_complex_numIfELi16ELi32ELi8ELb1ELb0ELc78ELc85EKS1_S1_EviT_T0_PT8_S3_lS6_S3_lS4_PT9_S3_li
    .private_segment_fixed_size: 0
    .sgpr_count:     29
    .sgpr_spill_count: 0
    .symbol:         _ZL37rocblas_syrkx_herkx_restricted_kernelIi19rocblas_complex_numIfELi16ELi32ELi8ELb1ELb0ELc78ELc85EKS1_S1_EviT_T0_PT8_S3_lS6_S3_lS4_PT9_S3_li.kd
    .uniform_work_group_size: 1
    .uses_dynamic_stack: false
    .vgpr_count:     43
    .vgpr_spill_count: 0
    .wavefront_size: 64
  - .args:
      - .offset:         0
        .size:           4
        .value_kind:     by_value
      - .offset:         4
        .size:           4
        .value_kind:     by_value
      - .offset:         8
        .size:           8
        .value_kind:     by_value
      - .address_space:  global
        .offset:         16
        .size:           8
        .value_kind:     global_buffer
      - .offset:         24
        .size:           4
        .value_kind:     by_value
      - .offset:         32
        .size:           8
        .value_kind:     by_value
      - .address_space:  global
        .offset:         40
        .size:           8
        .value_kind:     global_buffer
      - .offset:         48
        .size:           4
        .value_kind:     by_value
      - .offset:         56
        .size:           8
        .value_kind:     by_value
      - .offset:         64
        .size:           8
        .value_kind:     by_value
      - .address_space:  global
        .offset:         72
        .size:           8
        .value_kind:     global_buffer
      - .offset:         80
        .size:           4
        .value_kind:     by_value
      - .offset:         88
        .size:           8
        .value_kind:     by_value
      - .offset:         96
        .size:           4
        .value_kind:     by_value
    .group_segment_fixed_size: 4096
    .kernarg_segment_align: 8
    .kernarg_segment_size: 100
    .language:       OpenCL C
    .language_version:
      - 2
      - 0
    .max_flat_workgroup_size: 256
    .name:           _ZL37rocblas_syrkx_herkx_restricted_kernelIi19rocblas_complex_numIfELi16ELi32ELi8ELb0ELb0ELc84ELc76EKS1_S1_EviT_T0_PT8_S3_lS6_S3_lS4_PT9_S3_li
    .private_segment_fixed_size: 0
    .sgpr_count:     30
    .sgpr_spill_count: 0
    .symbol:         _ZL37rocblas_syrkx_herkx_restricted_kernelIi19rocblas_complex_numIfELi16ELi32ELi8ELb0ELb0ELc84ELc76EKS1_S1_EviT_T0_PT8_S3_lS6_S3_lS4_PT9_S3_li.kd
    .uniform_work_group_size: 1
    .uses_dynamic_stack: false
    .vgpr_count:     41
    .vgpr_spill_count: 0
    .wavefront_size: 64
  - .args:
      - .offset:         0
        .size:           4
        .value_kind:     by_value
      - .offset:         4
        .size:           4
        .value_kind:     by_value
      - .offset:         8
        .size:           8
        .value_kind:     by_value
      - .address_space:  global
        .offset:         16
        .size:           8
        .value_kind:     global_buffer
      - .offset:         24
        .size:           4
        .value_kind:     by_value
      - .offset:         32
        .size:           8
        .value_kind:     by_value
      - .address_space:  global
        .offset:         40
        .size:           8
        .value_kind:     global_buffer
      - .offset:         48
        .size:           4
        .value_kind:     by_value
      - .offset:         56
        .size:           8
        .value_kind:     by_value
      - .offset:         64
        .size:           8
        .value_kind:     by_value
      - .address_space:  global
        .offset:         72
        .size:           8
        .value_kind:     global_buffer
      - .offset:         80
        .size:           4
        .value_kind:     by_value
      - .offset:         88
        .size:           8
        .value_kind:     by_value
      - .offset:         96
        .size:           4
        .value_kind:     by_value
    .group_segment_fixed_size: 4096
    .kernarg_segment_align: 8
    .kernarg_segment_size: 100
    .language:       OpenCL C
    .language_version:
      - 2
      - 0
    .max_flat_workgroup_size: 256
    .name:           _ZL37rocblas_syrkx_herkx_restricted_kernelIi19rocblas_complex_numIfELi16ELi32ELi8ELb0ELb0ELc67ELc76EKS1_S1_EviT_T0_PT8_S3_lS6_S3_lS4_PT9_S3_li
    .private_segment_fixed_size: 0
    .sgpr_count:     30
    .sgpr_spill_count: 0
    .symbol:         _ZL37rocblas_syrkx_herkx_restricted_kernelIi19rocblas_complex_numIfELi16ELi32ELi8ELb0ELb0ELc67ELc76EKS1_S1_EviT_T0_PT8_S3_lS6_S3_lS4_PT9_S3_li.kd
    .uniform_work_group_size: 1
    .uses_dynamic_stack: false
    .vgpr_count:     41
    .vgpr_spill_count: 0
    .wavefront_size: 64
  - .args:
      - .offset:         0
        .size:           4
        .value_kind:     by_value
      - .offset:         4
        .size:           4
        .value_kind:     by_value
      - .offset:         8
        .size:           8
        .value_kind:     by_value
      - .address_space:  global
        .offset:         16
        .size:           8
        .value_kind:     global_buffer
      - .offset:         24
        .size:           4
        .value_kind:     by_value
      - .offset:         32
        .size:           8
        .value_kind:     by_value
      - .address_space:  global
        .offset:         40
        .size:           8
        .value_kind:     global_buffer
      - .offset:         48
        .size:           4
        .value_kind:     by_value
      - .offset:         56
        .size:           8
        .value_kind:     by_value
      - .offset:         64
        .size:           8
        .value_kind:     by_value
      - .address_space:  global
        .offset:         72
        .size:           8
        .value_kind:     global_buffer
      - .offset:         80
        .size:           4
        .value_kind:     by_value
      - .offset:         88
        .size:           8
        .value_kind:     by_value
      - .offset:         96
        .size:           4
        .value_kind:     by_value
    .group_segment_fixed_size: 4096
    .kernarg_segment_align: 8
    .kernarg_segment_size: 100
    .language:       OpenCL C
    .language_version:
      - 2
      - 0
    .max_flat_workgroup_size: 256
    .name:           _ZL37rocblas_syrkx_herkx_restricted_kernelIi19rocblas_complex_numIfELi16ELi32ELi8ELb0ELb0ELc78ELc76EKS1_S1_EviT_T0_PT8_S3_lS6_S3_lS4_PT9_S3_li
    .private_segment_fixed_size: 0
    .sgpr_count:     33
    .sgpr_spill_count: 0
    .symbol:         _ZL37rocblas_syrkx_herkx_restricted_kernelIi19rocblas_complex_numIfELi16ELi32ELi8ELb0ELb0ELc78ELc76EKS1_S1_EviT_T0_PT8_S3_lS6_S3_lS4_PT9_S3_li.kd
    .uniform_work_group_size: 1
    .uses_dynamic_stack: false
    .vgpr_count:     43
    .vgpr_spill_count: 0
    .wavefront_size: 64
  - .args:
      - .offset:         0
        .size:           4
        .value_kind:     by_value
      - .offset:         4
        .size:           4
        .value_kind:     by_value
      - .offset:         8
        .size:           8
        .value_kind:     by_value
      - .address_space:  global
        .offset:         16
        .size:           8
        .value_kind:     global_buffer
      - .offset:         24
        .size:           4
        .value_kind:     by_value
      - .offset:         32
        .size:           8
        .value_kind:     by_value
      - .address_space:  global
        .offset:         40
        .size:           8
        .value_kind:     global_buffer
      - .offset:         48
        .size:           4
        .value_kind:     by_value
      - .offset:         56
        .size:           8
        .value_kind:     by_value
      - .offset:         64
        .size:           8
        .value_kind:     by_value
      - .address_space:  global
        .offset:         72
        .size:           8
        .value_kind:     global_buffer
      - .offset:         80
        .size:           4
        .value_kind:     by_value
      - .offset:         88
        .size:           8
        .value_kind:     by_value
      - .offset:         96
        .size:           4
        .value_kind:     by_value
    .group_segment_fixed_size: 4096
    .kernarg_segment_align: 8
    .kernarg_segment_size: 100
    .language:       OpenCL C
    .language_version:
      - 2
      - 0
    .max_flat_workgroup_size: 256
    .name:           _ZL37rocblas_syrkx_herkx_restricted_kernelIi19rocblas_complex_numIfELi16ELi32ELi8ELb0ELb0ELc84ELc85EKS1_S1_EviT_T0_PT8_S3_lS6_S3_lS4_PT9_S3_li
    .private_segment_fixed_size: 0
    .sgpr_count:     30
    .sgpr_spill_count: 0
    .symbol:         _ZL37rocblas_syrkx_herkx_restricted_kernelIi19rocblas_complex_numIfELi16ELi32ELi8ELb0ELb0ELc84ELc85EKS1_S1_EviT_T0_PT8_S3_lS6_S3_lS4_PT9_S3_li.kd
    .uniform_work_group_size: 1
    .uses_dynamic_stack: false
    .vgpr_count:     41
    .vgpr_spill_count: 0
    .wavefront_size: 64
  - .args:
      - .offset:         0
        .size:           4
        .value_kind:     by_value
      - .offset:         4
        .size:           4
        .value_kind:     by_value
      - .offset:         8
        .size:           8
        .value_kind:     by_value
      - .address_space:  global
        .offset:         16
        .size:           8
        .value_kind:     global_buffer
      - .offset:         24
        .size:           4
        .value_kind:     by_value
      - .offset:         32
        .size:           8
        .value_kind:     by_value
      - .address_space:  global
        .offset:         40
        .size:           8
        .value_kind:     global_buffer
      - .offset:         48
        .size:           4
        .value_kind:     by_value
      - .offset:         56
        .size:           8
        .value_kind:     by_value
      - .offset:         64
        .size:           8
        .value_kind:     by_value
      - .address_space:  global
        .offset:         72
        .size:           8
        .value_kind:     global_buffer
      - .offset:         80
        .size:           4
        .value_kind:     by_value
      - .offset:         88
        .size:           8
        .value_kind:     by_value
      - .offset:         96
        .size:           4
        .value_kind:     by_value
    .group_segment_fixed_size: 4096
    .kernarg_segment_align: 8
    .kernarg_segment_size: 100
    .language:       OpenCL C
    .language_version:
      - 2
      - 0
    .max_flat_workgroup_size: 256
    .name:           _ZL37rocblas_syrkx_herkx_restricted_kernelIi19rocblas_complex_numIfELi16ELi32ELi8ELb0ELb0ELc67ELc85EKS1_S1_EviT_T0_PT8_S3_lS6_S3_lS4_PT9_S3_li
    .private_segment_fixed_size: 0
    .sgpr_count:     30
    .sgpr_spill_count: 0
    .symbol:         _ZL37rocblas_syrkx_herkx_restricted_kernelIi19rocblas_complex_numIfELi16ELi32ELi8ELb0ELb0ELc67ELc85EKS1_S1_EviT_T0_PT8_S3_lS6_S3_lS4_PT9_S3_li.kd
    .uniform_work_group_size: 1
    .uses_dynamic_stack: false
    .vgpr_count:     41
    .vgpr_spill_count: 0
    .wavefront_size: 64
  - .args:
      - .offset:         0
        .size:           4
        .value_kind:     by_value
      - .offset:         4
        .size:           4
        .value_kind:     by_value
      - .offset:         8
        .size:           8
        .value_kind:     by_value
      - .address_space:  global
        .offset:         16
        .size:           8
        .value_kind:     global_buffer
      - .offset:         24
        .size:           4
        .value_kind:     by_value
      - .offset:         32
        .size:           8
        .value_kind:     by_value
      - .address_space:  global
        .offset:         40
        .size:           8
        .value_kind:     global_buffer
      - .offset:         48
        .size:           4
        .value_kind:     by_value
      - .offset:         56
        .size:           8
        .value_kind:     by_value
      - .offset:         64
        .size:           8
        .value_kind:     by_value
      - .address_space:  global
        .offset:         72
        .size:           8
        .value_kind:     global_buffer
      - .offset:         80
        .size:           4
        .value_kind:     by_value
      - .offset:         88
        .size:           8
        .value_kind:     by_value
      - .offset:         96
        .size:           4
        .value_kind:     by_value
    .group_segment_fixed_size: 4096
    .kernarg_segment_align: 8
    .kernarg_segment_size: 100
    .language:       OpenCL C
    .language_version:
      - 2
      - 0
    .max_flat_workgroup_size: 256
    .name:           _ZL37rocblas_syrkx_herkx_restricted_kernelIi19rocblas_complex_numIfELi16ELi32ELi8ELb0ELb0ELc78ELc85EKS1_S1_EviT_T0_PT8_S3_lS6_S3_lS4_PT9_S3_li
    .private_segment_fixed_size: 0
    .sgpr_count:     33
    .sgpr_spill_count: 0
    .symbol:         _ZL37rocblas_syrkx_herkx_restricted_kernelIi19rocblas_complex_numIfELi16ELi32ELi8ELb0ELb0ELc78ELc85EKS1_S1_EviT_T0_PT8_S3_lS6_S3_lS4_PT9_S3_li.kd
    .uniform_work_group_size: 1
    .uses_dynamic_stack: false
    .vgpr_count:     43
    .vgpr_spill_count: 0
    .wavefront_size: 64
  - .args:
      - .offset:         0
        .size:           4
        .value_kind:     by_value
      - .offset:         4
        .size:           4
        .value_kind:     by_value
      - .offset:         8
        .size:           8
        .value_kind:     by_value
      - .address_space:  global
        .offset:         16
        .size:           8
        .value_kind:     global_buffer
      - .offset:         24
        .size:           4
        .value_kind:     by_value
      - .offset:         32
        .size:           8
        .value_kind:     by_value
      - .address_space:  global
        .offset:         40
        .size:           8
        .value_kind:     global_buffer
      - .offset:         48
        .size:           4
        .value_kind:     by_value
      - .offset:         56
        .size:           8
        .value_kind:     by_value
      - .offset:         64
        .size:           8
        .value_kind:     by_value
      - .address_space:  global
        .offset:         72
        .size:           8
        .value_kind:     global_buffer
      - .offset:         80
        .size:           4
        .value_kind:     by_value
      - .offset:         88
        .size:           8
        .value_kind:     by_value
      - .offset:         96
        .size:           4
        .value_kind:     by_value
    .group_segment_fixed_size: 4096
    .kernarg_segment_align: 8
    .kernarg_segment_size: 100
    .language:       OpenCL C
    .language_version:
      - 2
      - 0
    .max_flat_workgroup_size: 256
    .name:           _ZL41rocblas_syrkx_herkx_small_restrict_kernelIi19rocblas_complex_numIfELi16ELb1ELb0ELc84ELc76EKS1_S1_EviT_T0_PT6_S3_lS6_S3_lS4_PT7_S3_li
    .private_segment_fixed_size: 0
    .sgpr_count:     22
    .sgpr_spill_count: 0
    .symbol:         _ZL41rocblas_syrkx_herkx_small_restrict_kernelIi19rocblas_complex_numIfELi16ELb1ELb0ELc84ELc76EKS1_S1_EviT_T0_PT6_S3_lS6_S3_lS4_PT7_S3_li.kd
    .uniform_work_group_size: 1
    .uses_dynamic_stack: false
    .vgpr_count:     33
    .vgpr_spill_count: 0
    .wavefront_size: 64
  - .args:
      - .offset:         0
        .size:           4
        .value_kind:     by_value
      - .offset:         4
        .size:           4
        .value_kind:     by_value
      - .offset:         8
        .size:           8
        .value_kind:     by_value
      - .address_space:  global
        .offset:         16
        .size:           8
        .value_kind:     global_buffer
      - .offset:         24
        .size:           4
        .value_kind:     by_value
      - .offset:         32
        .size:           8
        .value_kind:     by_value
      - .address_space:  global
        .offset:         40
        .size:           8
        .value_kind:     global_buffer
      - .offset:         48
        .size:           4
        .value_kind:     by_value
      - .offset:         56
        .size:           8
        .value_kind:     by_value
      - .offset:         64
        .size:           8
        .value_kind:     by_value
      - .address_space:  global
        .offset:         72
        .size:           8
        .value_kind:     global_buffer
      - .offset:         80
        .size:           4
        .value_kind:     by_value
      - .offset:         88
        .size:           8
        .value_kind:     by_value
      - .offset:         96
        .size:           4
        .value_kind:     by_value
    .group_segment_fixed_size: 4096
    .kernarg_segment_align: 8
    .kernarg_segment_size: 100
    .language:       OpenCL C
    .language_version:
      - 2
      - 0
    .max_flat_workgroup_size: 256
    .name:           _ZL41rocblas_syrkx_herkx_small_restrict_kernelIi19rocblas_complex_numIfELi16ELb1ELb0ELc67ELc76EKS1_S1_EviT_T0_PT6_S3_lS6_S3_lS4_PT7_S3_li
    .private_segment_fixed_size: 0
    .sgpr_count:     22
    .sgpr_spill_count: 0
    .symbol:         _ZL41rocblas_syrkx_herkx_small_restrict_kernelIi19rocblas_complex_numIfELi16ELb1ELb0ELc67ELc76EKS1_S1_EviT_T0_PT6_S3_lS6_S3_lS4_PT7_S3_li.kd
    .uniform_work_group_size: 1
    .uses_dynamic_stack: false
    .vgpr_count:     33
    .vgpr_spill_count: 0
    .wavefront_size: 64
  - .args:
      - .offset:         0
        .size:           4
        .value_kind:     by_value
      - .offset:         4
        .size:           4
        .value_kind:     by_value
      - .offset:         8
        .size:           8
        .value_kind:     by_value
      - .address_space:  global
        .offset:         16
        .size:           8
        .value_kind:     global_buffer
      - .offset:         24
        .size:           4
        .value_kind:     by_value
      - .offset:         32
        .size:           8
        .value_kind:     by_value
      - .address_space:  global
        .offset:         40
        .size:           8
        .value_kind:     global_buffer
      - .offset:         48
        .size:           4
        .value_kind:     by_value
      - .offset:         56
        .size:           8
        .value_kind:     by_value
      - .offset:         64
        .size:           8
        .value_kind:     by_value
      - .address_space:  global
        .offset:         72
        .size:           8
        .value_kind:     global_buffer
      - .offset:         80
        .size:           4
        .value_kind:     by_value
      - .offset:         88
        .size:           8
        .value_kind:     by_value
      - .offset:         96
        .size:           4
        .value_kind:     by_value
    .group_segment_fixed_size: 4096
    .kernarg_segment_align: 8
    .kernarg_segment_size: 100
    .language:       OpenCL C
    .language_version:
      - 2
      - 0
    .max_flat_workgroup_size: 256
    .name:           _ZL41rocblas_syrkx_herkx_small_restrict_kernelIi19rocblas_complex_numIfELi16ELb1ELb0ELc78ELc76EKS1_S1_EviT_T0_PT6_S3_lS6_S3_lS4_PT7_S3_li
    .private_segment_fixed_size: 0
    .sgpr_count:     26
    .sgpr_spill_count: 0
    .symbol:         _ZL41rocblas_syrkx_herkx_small_restrict_kernelIi19rocblas_complex_numIfELi16ELb1ELb0ELc78ELc76EKS1_S1_EviT_T0_PT6_S3_lS6_S3_lS4_PT7_S3_li.kd
    .uniform_work_group_size: 1
    .uses_dynamic_stack: false
    .vgpr_count:     35
    .vgpr_spill_count: 0
    .wavefront_size: 64
  - .args:
      - .offset:         0
        .size:           4
        .value_kind:     by_value
      - .offset:         4
        .size:           4
        .value_kind:     by_value
      - .offset:         8
        .size:           8
        .value_kind:     by_value
      - .address_space:  global
        .offset:         16
        .size:           8
        .value_kind:     global_buffer
      - .offset:         24
        .size:           4
        .value_kind:     by_value
      - .offset:         32
        .size:           8
        .value_kind:     by_value
      - .address_space:  global
        .offset:         40
        .size:           8
        .value_kind:     global_buffer
      - .offset:         48
        .size:           4
        .value_kind:     by_value
      - .offset:         56
        .size:           8
        .value_kind:     by_value
      - .offset:         64
        .size:           8
        .value_kind:     by_value
      - .address_space:  global
        .offset:         72
        .size:           8
        .value_kind:     global_buffer
      - .offset:         80
        .size:           4
        .value_kind:     by_value
      - .offset:         88
        .size:           8
        .value_kind:     by_value
      - .offset:         96
        .size:           4
        .value_kind:     by_value
    .group_segment_fixed_size: 4096
    .kernarg_segment_align: 8
    .kernarg_segment_size: 100
    .language:       OpenCL C
    .language_version:
      - 2
      - 0
    .max_flat_workgroup_size: 256
    .name:           _ZL41rocblas_syrkx_herkx_small_restrict_kernelIi19rocblas_complex_numIfELi16ELb1ELb0ELc84ELc85EKS1_S1_EviT_T0_PT6_S3_lS6_S3_lS4_PT7_S3_li
    .private_segment_fixed_size: 0
    .sgpr_count:     22
    .sgpr_spill_count: 0
    .symbol:         _ZL41rocblas_syrkx_herkx_small_restrict_kernelIi19rocblas_complex_numIfELi16ELb1ELb0ELc84ELc85EKS1_S1_EviT_T0_PT6_S3_lS6_S3_lS4_PT7_S3_li.kd
    .uniform_work_group_size: 1
    .uses_dynamic_stack: false
    .vgpr_count:     33
    .vgpr_spill_count: 0
    .wavefront_size: 64
  - .args:
      - .offset:         0
        .size:           4
        .value_kind:     by_value
      - .offset:         4
        .size:           4
        .value_kind:     by_value
      - .offset:         8
        .size:           8
        .value_kind:     by_value
      - .address_space:  global
        .offset:         16
        .size:           8
        .value_kind:     global_buffer
      - .offset:         24
        .size:           4
        .value_kind:     by_value
      - .offset:         32
        .size:           8
        .value_kind:     by_value
      - .address_space:  global
        .offset:         40
        .size:           8
        .value_kind:     global_buffer
      - .offset:         48
        .size:           4
        .value_kind:     by_value
      - .offset:         56
        .size:           8
        .value_kind:     by_value
      - .offset:         64
        .size:           8
        .value_kind:     by_value
      - .address_space:  global
        .offset:         72
        .size:           8
        .value_kind:     global_buffer
      - .offset:         80
        .size:           4
        .value_kind:     by_value
      - .offset:         88
        .size:           8
        .value_kind:     by_value
      - .offset:         96
        .size:           4
        .value_kind:     by_value
    .group_segment_fixed_size: 4096
    .kernarg_segment_align: 8
    .kernarg_segment_size: 100
    .language:       OpenCL C
    .language_version:
      - 2
      - 0
    .max_flat_workgroup_size: 256
    .name:           _ZL41rocblas_syrkx_herkx_small_restrict_kernelIi19rocblas_complex_numIfELi16ELb1ELb0ELc67ELc85EKS1_S1_EviT_T0_PT6_S3_lS6_S3_lS4_PT7_S3_li
    .private_segment_fixed_size: 0
    .sgpr_count:     22
    .sgpr_spill_count: 0
    .symbol:         _ZL41rocblas_syrkx_herkx_small_restrict_kernelIi19rocblas_complex_numIfELi16ELb1ELb0ELc67ELc85EKS1_S1_EviT_T0_PT6_S3_lS6_S3_lS4_PT7_S3_li.kd
    .uniform_work_group_size: 1
    .uses_dynamic_stack: false
    .vgpr_count:     33
    .vgpr_spill_count: 0
    .wavefront_size: 64
  - .args:
      - .offset:         0
        .size:           4
        .value_kind:     by_value
      - .offset:         4
        .size:           4
        .value_kind:     by_value
      - .offset:         8
        .size:           8
        .value_kind:     by_value
      - .address_space:  global
        .offset:         16
        .size:           8
        .value_kind:     global_buffer
      - .offset:         24
        .size:           4
        .value_kind:     by_value
      - .offset:         32
        .size:           8
        .value_kind:     by_value
      - .address_space:  global
        .offset:         40
        .size:           8
        .value_kind:     global_buffer
      - .offset:         48
        .size:           4
        .value_kind:     by_value
      - .offset:         56
        .size:           8
        .value_kind:     by_value
      - .offset:         64
        .size:           8
        .value_kind:     by_value
      - .address_space:  global
        .offset:         72
        .size:           8
        .value_kind:     global_buffer
      - .offset:         80
        .size:           4
        .value_kind:     by_value
      - .offset:         88
        .size:           8
        .value_kind:     by_value
      - .offset:         96
        .size:           4
        .value_kind:     by_value
    .group_segment_fixed_size: 4096
    .kernarg_segment_align: 8
    .kernarg_segment_size: 100
    .language:       OpenCL C
    .language_version:
      - 2
      - 0
    .max_flat_workgroup_size: 256
    .name:           _ZL41rocblas_syrkx_herkx_small_restrict_kernelIi19rocblas_complex_numIfELi16ELb1ELb0ELc78ELc85EKS1_S1_EviT_T0_PT6_S3_lS6_S3_lS4_PT7_S3_li
    .private_segment_fixed_size: 0
    .sgpr_count:     26
    .sgpr_spill_count: 0
    .symbol:         _ZL41rocblas_syrkx_herkx_small_restrict_kernelIi19rocblas_complex_numIfELi16ELb1ELb0ELc78ELc85EKS1_S1_EviT_T0_PT6_S3_lS6_S3_lS4_PT7_S3_li.kd
    .uniform_work_group_size: 1
    .uses_dynamic_stack: false
    .vgpr_count:     35
    .vgpr_spill_count: 0
    .wavefront_size: 64
  - .args:
      - .offset:         0
        .size:           4
        .value_kind:     by_value
      - .offset:         4
        .size:           4
        .value_kind:     by_value
      - .offset:         8
        .size:           8
        .value_kind:     by_value
      - .address_space:  global
        .offset:         16
        .size:           8
        .value_kind:     global_buffer
      - .offset:         24
        .size:           4
        .value_kind:     by_value
      - .offset:         32
        .size:           8
        .value_kind:     by_value
      - .address_space:  global
        .offset:         40
        .size:           8
        .value_kind:     global_buffer
      - .offset:         48
        .size:           4
        .value_kind:     by_value
      - .offset:         56
        .size:           8
        .value_kind:     by_value
      - .offset:         64
        .size:           8
        .value_kind:     by_value
      - .address_space:  global
        .offset:         72
        .size:           8
        .value_kind:     global_buffer
      - .offset:         80
        .size:           4
        .value_kind:     by_value
      - .offset:         88
        .size:           8
        .value_kind:     by_value
      - .offset:         96
        .size:           4
        .value_kind:     by_value
    .group_segment_fixed_size: 4096
    .kernarg_segment_align: 8
    .kernarg_segment_size: 100
    .language:       OpenCL C
    .language_version:
      - 2
      - 0
    .max_flat_workgroup_size: 256
    .name:           _ZL41rocblas_syrkx_herkx_small_restrict_kernelIi19rocblas_complex_numIfELi16ELb0ELb0ELc84ELc76EKS1_S1_EviT_T0_PT6_S3_lS6_S3_lS4_PT7_S3_li
    .private_segment_fixed_size: 0
    .sgpr_count:     28
    .sgpr_spill_count: 0
    .symbol:         _ZL41rocblas_syrkx_herkx_small_restrict_kernelIi19rocblas_complex_numIfELi16ELb0ELb0ELc84ELc76EKS1_S1_EviT_T0_PT6_S3_lS6_S3_lS4_PT7_S3_li.kd
    .uniform_work_group_size: 1
    .uses_dynamic_stack: false
    .vgpr_count:     33
    .vgpr_spill_count: 0
    .wavefront_size: 64
  - .args:
      - .offset:         0
        .size:           4
        .value_kind:     by_value
      - .offset:         4
        .size:           4
        .value_kind:     by_value
      - .offset:         8
        .size:           8
        .value_kind:     by_value
      - .address_space:  global
        .offset:         16
        .size:           8
        .value_kind:     global_buffer
      - .offset:         24
        .size:           4
        .value_kind:     by_value
      - .offset:         32
        .size:           8
        .value_kind:     by_value
      - .address_space:  global
        .offset:         40
        .size:           8
        .value_kind:     global_buffer
      - .offset:         48
        .size:           4
        .value_kind:     by_value
      - .offset:         56
        .size:           8
        .value_kind:     by_value
      - .offset:         64
        .size:           8
        .value_kind:     by_value
      - .address_space:  global
        .offset:         72
        .size:           8
        .value_kind:     global_buffer
      - .offset:         80
        .size:           4
        .value_kind:     by_value
      - .offset:         88
        .size:           8
        .value_kind:     by_value
      - .offset:         96
        .size:           4
        .value_kind:     by_value
    .group_segment_fixed_size: 4096
    .kernarg_segment_align: 8
    .kernarg_segment_size: 100
    .language:       OpenCL C
    .language_version:
      - 2
      - 0
    .max_flat_workgroup_size: 256
    .name:           _ZL41rocblas_syrkx_herkx_small_restrict_kernelIi19rocblas_complex_numIfELi16ELb0ELb0ELc67ELc76EKS1_S1_EviT_T0_PT6_S3_lS6_S3_lS4_PT7_S3_li
    .private_segment_fixed_size: 0
    .sgpr_count:     28
    .sgpr_spill_count: 0
    .symbol:         _ZL41rocblas_syrkx_herkx_small_restrict_kernelIi19rocblas_complex_numIfELi16ELb0ELb0ELc67ELc76EKS1_S1_EviT_T0_PT6_S3_lS6_S3_lS4_PT7_S3_li.kd
    .uniform_work_group_size: 1
    .uses_dynamic_stack: false
    .vgpr_count:     33
    .vgpr_spill_count: 0
    .wavefront_size: 64
  - .args:
      - .offset:         0
        .size:           4
        .value_kind:     by_value
      - .offset:         4
        .size:           4
        .value_kind:     by_value
      - .offset:         8
        .size:           8
        .value_kind:     by_value
      - .address_space:  global
        .offset:         16
        .size:           8
        .value_kind:     global_buffer
      - .offset:         24
        .size:           4
        .value_kind:     by_value
      - .offset:         32
        .size:           8
        .value_kind:     by_value
      - .address_space:  global
        .offset:         40
        .size:           8
        .value_kind:     global_buffer
      - .offset:         48
        .size:           4
        .value_kind:     by_value
      - .offset:         56
        .size:           8
        .value_kind:     by_value
      - .offset:         64
        .size:           8
        .value_kind:     by_value
      - .address_space:  global
        .offset:         72
        .size:           8
        .value_kind:     global_buffer
      - .offset:         80
        .size:           4
        .value_kind:     by_value
      - .offset:         88
        .size:           8
        .value_kind:     by_value
      - .offset:         96
        .size:           4
        .value_kind:     by_value
    .group_segment_fixed_size: 4096
    .kernarg_segment_align: 8
    .kernarg_segment_size: 100
    .language:       OpenCL C
    .language_version:
      - 2
      - 0
    .max_flat_workgroup_size: 256
    .name:           _ZL41rocblas_syrkx_herkx_small_restrict_kernelIi19rocblas_complex_numIfELi16ELb0ELb0ELc78ELc76EKS1_S1_EviT_T0_PT6_S3_lS6_S3_lS4_PT7_S3_li
    .private_segment_fixed_size: 0
    .sgpr_count:     30
    .sgpr_spill_count: 0
    .symbol:         _ZL41rocblas_syrkx_herkx_small_restrict_kernelIi19rocblas_complex_numIfELi16ELb0ELb0ELc78ELc76EKS1_S1_EviT_T0_PT6_S3_lS6_S3_lS4_PT7_S3_li.kd
    .uniform_work_group_size: 1
    .uses_dynamic_stack: false
    .vgpr_count:     35
    .vgpr_spill_count: 0
    .wavefront_size: 64
  - .args:
      - .offset:         0
        .size:           4
        .value_kind:     by_value
      - .offset:         4
        .size:           4
        .value_kind:     by_value
      - .offset:         8
        .size:           8
        .value_kind:     by_value
      - .address_space:  global
        .offset:         16
        .size:           8
        .value_kind:     global_buffer
      - .offset:         24
        .size:           4
        .value_kind:     by_value
      - .offset:         32
        .size:           8
        .value_kind:     by_value
      - .address_space:  global
        .offset:         40
        .size:           8
        .value_kind:     global_buffer
      - .offset:         48
        .size:           4
        .value_kind:     by_value
      - .offset:         56
        .size:           8
        .value_kind:     by_value
      - .offset:         64
        .size:           8
        .value_kind:     by_value
      - .address_space:  global
        .offset:         72
        .size:           8
        .value_kind:     global_buffer
      - .offset:         80
        .size:           4
        .value_kind:     by_value
      - .offset:         88
        .size:           8
        .value_kind:     by_value
      - .offset:         96
        .size:           4
        .value_kind:     by_value
    .group_segment_fixed_size: 4096
    .kernarg_segment_align: 8
    .kernarg_segment_size: 100
    .language:       OpenCL C
    .language_version:
      - 2
      - 0
    .max_flat_workgroup_size: 256
    .name:           _ZL41rocblas_syrkx_herkx_small_restrict_kernelIi19rocblas_complex_numIfELi16ELb0ELb0ELc84ELc85EKS1_S1_EviT_T0_PT6_S3_lS6_S3_lS4_PT7_S3_li
    .private_segment_fixed_size: 0
    .sgpr_count:     28
    .sgpr_spill_count: 0
    .symbol:         _ZL41rocblas_syrkx_herkx_small_restrict_kernelIi19rocblas_complex_numIfELi16ELb0ELb0ELc84ELc85EKS1_S1_EviT_T0_PT6_S3_lS6_S3_lS4_PT7_S3_li.kd
    .uniform_work_group_size: 1
    .uses_dynamic_stack: false
    .vgpr_count:     33
    .vgpr_spill_count: 0
    .wavefront_size: 64
  - .args:
      - .offset:         0
        .size:           4
        .value_kind:     by_value
      - .offset:         4
        .size:           4
        .value_kind:     by_value
      - .offset:         8
        .size:           8
        .value_kind:     by_value
      - .address_space:  global
        .offset:         16
        .size:           8
        .value_kind:     global_buffer
      - .offset:         24
        .size:           4
        .value_kind:     by_value
      - .offset:         32
        .size:           8
        .value_kind:     by_value
      - .address_space:  global
        .offset:         40
        .size:           8
        .value_kind:     global_buffer
      - .offset:         48
        .size:           4
        .value_kind:     by_value
      - .offset:         56
        .size:           8
        .value_kind:     by_value
      - .offset:         64
        .size:           8
        .value_kind:     by_value
      - .address_space:  global
        .offset:         72
        .size:           8
        .value_kind:     global_buffer
      - .offset:         80
        .size:           4
        .value_kind:     by_value
      - .offset:         88
        .size:           8
        .value_kind:     by_value
      - .offset:         96
        .size:           4
        .value_kind:     by_value
    .group_segment_fixed_size: 4096
    .kernarg_segment_align: 8
    .kernarg_segment_size: 100
    .language:       OpenCL C
    .language_version:
      - 2
      - 0
    .max_flat_workgroup_size: 256
    .name:           _ZL41rocblas_syrkx_herkx_small_restrict_kernelIi19rocblas_complex_numIfELi16ELb0ELb0ELc67ELc85EKS1_S1_EviT_T0_PT6_S3_lS6_S3_lS4_PT7_S3_li
    .private_segment_fixed_size: 0
    .sgpr_count:     28
    .sgpr_spill_count: 0
    .symbol:         _ZL41rocblas_syrkx_herkx_small_restrict_kernelIi19rocblas_complex_numIfELi16ELb0ELb0ELc67ELc85EKS1_S1_EviT_T0_PT6_S3_lS6_S3_lS4_PT7_S3_li.kd
    .uniform_work_group_size: 1
    .uses_dynamic_stack: false
    .vgpr_count:     33
    .vgpr_spill_count: 0
    .wavefront_size: 64
  - .args:
      - .offset:         0
        .size:           4
        .value_kind:     by_value
      - .offset:         4
        .size:           4
        .value_kind:     by_value
      - .offset:         8
        .size:           8
        .value_kind:     by_value
      - .address_space:  global
        .offset:         16
        .size:           8
        .value_kind:     global_buffer
      - .offset:         24
        .size:           4
        .value_kind:     by_value
      - .offset:         32
        .size:           8
        .value_kind:     by_value
      - .address_space:  global
        .offset:         40
        .size:           8
        .value_kind:     global_buffer
      - .offset:         48
        .size:           4
        .value_kind:     by_value
      - .offset:         56
        .size:           8
        .value_kind:     by_value
      - .offset:         64
        .size:           8
        .value_kind:     by_value
      - .address_space:  global
        .offset:         72
        .size:           8
        .value_kind:     global_buffer
      - .offset:         80
        .size:           4
        .value_kind:     by_value
      - .offset:         88
        .size:           8
        .value_kind:     by_value
      - .offset:         96
        .size:           4
        .value_kind:     by_value
    .group_segment_fixed_size: 4096
    .kernarg_segment_align: 8
    .kernarg_segment_size: 100
    .language:       OpenCL C
    .language_version:
      - 2
      - 0
    .max_flat_workgroup_size: 256
    .name:           _ZL41rocblas_syrkx_herkx_small_restrict_kernelIi19rocblas_complex_numIfELi16ELb0ELb0ELc78ELc85EKS1_S1_EviT_T0_PT6_S3_lS6_S3_lS4_PT7_S3_li
    .private_segment_fixed_size: 0
    .sgpr_count:     30
    .sgpr_spill_count: 0
    .symbol:         _ZL41rocblas_syrkx_herkx_small_restrict_kernelIi19rocblas_complex_numIfELi16ELb0ELb0ELc78ELc85EKS1_S1_EviT_T0_PT6_S3_lS6_S3_lS4_PT7_S3_li.kd
    .uniform_work_group_size: 1
    .uses_dynamic_stack: false
    .vgpr_count:     35
    .vgpr_spill_count: 0
    .wavefront_size: 64
  - .args:
      - .offset:         0
        .size:           4
        .value_kind:     by_value
      - .offset:         4
        .size:           4
        .value_kind:     by_value
      - .offset:         8
        .size:           8
        .value_kind:     by_value
      - .address_space:  global
        .offset:         16
        .size:           8
        .value_kind:     global_buffer
      - .offset:         24
        .size:           4
        .value_kind:     by_value
      - .offset:         32
        .size:           8
        .value_kind:     by_value
      - .address_space:  global
        .offset:         40
        .size:           8
        .value_kind:     global_buffer
      - .offset:         48
        .size:           4
        .value_kind:     by_value
      - .offset:         56
        .size:           8
        .value_kind:     by_value
      - .offset:         64
        .size:           8
        .value_kind:     by_value
      - .address_space:  global
        .offset:         72
        .size:           8
        .value_kind:     global_buffer
      - .offset:         80
        .size:           4
        .value_kind:     by_value
      - .offset:         88
        .size:           8
        .value_kind:     by_value
      - .offset:         96
        .size:           4
        .value_kind:     by_value
    .group_segment_fixed_size: 4096
    .kernarg_segment_align: 8
    .kernarg_segment_size: 100
    .language:       OpenCL C
    .language_version:
      - 2
      - 0
    .max_flat_workgroup_size: 256
    .name:           _ZL32rocblas_syrkx_herkx_small_kernelIi19rocblas_complex_numIfELi16ELb1ELb0ELc84ELc76EKS1_S1_EviT_T0_PT6_S3_lS6_S3_lS4_PT7_S3_li
    .private_segment_fixed_size: 0
    .sgpr_count:     24
    .sgpr_spill_count: 0
    .symbol:         _ZL32rocblas_syrkx_herkx_small_kernelIi19rocblas_complex_numIfELi16ELb1ELb0ELc84ELc76EKS1_S1_EviT_T0_PT6_S3_lS6_S3_lS4_PT7_S3_li.kd
    .uniform_work_group_size: 1
    .uses_dynamic_stack: false
    .vgpr_count:     52
    .vgpr_spill_count: 0
    .wavefront_size: 64
  - .args:
      - .offset:         0
        .size:           4
        .value_kind:     by_value
      - .offset:         4
        .size:           4
        .value_kind:     by_value
      - .offset:         8
        .size:           8
        .value_kind:     by_value
      - .address_space:  global
        .offset:         16
        .size:           8
        .value_kind:     global_buffer
      - .offset:         24
        .size:           4
        .value_kind:     by_value
      - .offset:         32
        .size:           8
        .value_kind:     by_value
      - .address_space:  global
        .offset:         40
        .size:           8
        .value_kind:     global_buffer
      - .offset:         48
        .size:           4
        .value_kind:     by_value
      - .offset:         56
        .size:           8
        .value_kind:     by_value
      - .offset:         64
        .size:           8
        .value_kind:     by_value
      - .address_space:  global
        .offset:         72
        .size:           8
        .value_kind:     global_buffer
      - .offset:         80
        .size:           4
        .value_kind:     by_value
      - .offset:         88
        .size:           8
        .value_kind:     by_value
      - .offset:         96
        .size:           4
        .value_kind:     by_value
    .group_segment_fixed_size: 4096
    .kernarg_segment_align: 8
    .kernarg_segment_size: 100
    .language:       OpenCL C
    .language_version:
      - 2
      - 0
    .max_flat_workgroup_size: 256
    .name:           _ZL32rocblas_syrkx_herkx_small_kernelIi19rocblas_complex_numIfELi16ELb1ELb0ELc67ELc76EKS1_S1_EviT_T0_PT6_S3_lS6_S3_lS4_PT7_S3_li
    .private_segment_fixed_size: 0
    .sgpr_count:     25
    .sgpr_spill_count: 0
    .symbol:         _ZL32rocblas_syrkx_herkx_small_kernelIi19rocblas_complex_numIfELi16ELb1ELb0ELc67ELc76EKS1_S1_EviT_T0_PT6_S3_lS6_S3_lS4_PT7_S3_li.kd
    .uniform_work_group_size: 1
    .uses_dynamic_stack: false
    .vgpr_count:     52
    .vgpr_spill_count: 0
    .wavefront_size: 64
  - .args:
      - .offset:         0
        .size:           4
        .value_kind:     by_value
      - .offset:         4
        .size:           4
        .value_kind:     by_value
      - .offset:         8
        .size:           8
        .value_kind:     by_value
      - .address_space:  global
        .offset:         16
        .size:           8
        .value_kind:     global_buffer
      - .offset:         24
        .size:           4
        .value_kind:     by_value
      - .offset:         32
        .size:           8
        .value_kind:     by_value
      - .address_space:  global
        .offset:         40
        .size:           8
        .value_kind:     global_buffer
      - .offset:         48
        .size:           4
        .value_kind:     by_value
      - .offset:         56
        .size:           8
        .value_kind:     by_value
      - .offset:         64
        .size:           8
        .value_kind:     by_value
      - .address_space:  global
        .offset:         72
        .size:           8
        .value_kind:     global_buffer
      - .offset:         80
        .size:           4
        .value_kind:     by_value
      - .offset:         88
        .size:           8
        .value_kind:     by_value
      - .offset:         96
        .size:           4
        .value_kind:     by_value
    .group_segment_fixed_size: 4096
    .kernarg_segment_align: 8
    .kernarg_segment_size: 100
    .language:       OpenCL C
    .language_version:
      - 2
      - 0
    .max_flat_workgroup_size: 256
    .name:           _ZL32rocblas_syrkx_herkx_small_kernelIi19rocblas_complex_numIfELi16ELb1ELb0ELc78ELc76EKS1_S1_EviT_T0_PT6_S3_lS6_S3_lS4_PT7_S3_li
    .private_segment_fixed_size: 0
    .sgpr_count:     29
    .sgpr_spill_count: 0
    .symbol:         _ZL32rocblas_syrkx_herkx_small_kernelIi19rocblas_complex_numIfELi16ELb1ELb0ELc78ELc76EKS1_S1_EviT_T0_PT6_S3_lS6_S3_lS4_PT7_S3_li.kd
    .uniform_work_group_size: 1
    .uses_dynamic_stack: false
    .vgpr_count:     59
    .vgpr_spill_count: 0
    .wavefront_size: 64
  - .args:
      - .offset:         0
        .size:           4
        .value_kind:     by_value
      - .offset:         4
        .size:           4
        .value_kind:     by_value
      - .offset:         8
        .size:           8
        .value_kind:     by_value
      - .address_space:  global
        .offset:         16
        .size:           8
        .value_kind:     global_buffer
      - .offset:         24
        .size:           4
        .value_kind:     by_value
      - .offset:         32
        .size:           8
        .value_kind:     by_value
      - .address_space:  global
        .offset:         40
        .size:           8
        .value_kind:     global_buffer
      - .offset:         48
        .size:           4
        .value_kind:     by_value
      - .offset:         56
        .size:           8
        .value_kind:     by_value
      - .offset:         64
        .size:           8
        .value_kind:     by_value
      - .address_space:  global
        .offset:         72
        .size:           8
        .value_kind:     global_buffer
      - .offset:         80
        .size:           4
        .value_kind:     by_value
      - .offset:         88
        .size:           8
        .value_kind:     by_value
      - .offset:         96
        .size:           4
        .value_kind:     by_value
    .group_segment_fixed_size: 4096
    .kernarg_segment_align: 8
    .kernarg_segment_size: 100
    .language:       OpenCL C
    .language_version:
      - 2
      - 0
    .max_flat_workgroup_size: 256
    .name:           _ZL32rocblas_syrkx_herkx_small_kernelIi19rocblas_complex_numIfELi16ELb1ELb0ELc84ELc85EKS1_S1_EviT_T0_PT6_S3_lS6_S3_lS4_PT7_S3_li
    .private_segment_fixed_size: 0
    .sgpr_count:     25
    .sgpr_spill_count: 0
    .symbol:         _ZL32rocblas_syrkx_herkx_small_kernelIi19rocblas_complex_numIfELi16ELb1ELb0ELc84ELc85EKS1_S1_EviT_T0_PT6_S3_lS6_S3_lS4_PT7_S3_li.kd
    .uniform_work_group_size: 1
    .uses_dynamic_stack: false
    .vgpr_count:     52
    .vgpr_spill_count: 0
    .wavefront_size: 64
  - .args:
      - .offset:         0
        .size:           4
        .value_kind:     by_value
      - .offset:         4
        .size:           4
        .value_kind:     by_value
      - .offset:         8
        .size:           8
        .value_kind:     by_value
      - .address_space:  global
        .offset:         16
        .size:           8
        .value_kind:     global_buffer
      - .offset:         24
        .size:           4
        .value_kind:     by_value
      - .offset:         32
        .size:           8
        .value_kind:     by_value
      - .address_space:  global
        .offset:         40
        .size:           8
        .value_kind:     global_buffer
      - .offset:         48
        .size:           4
        .value_kind:     by_value
      - .offset:         56
        .size:           8
        .value_kind:     by_value
      - .offset:         64
        .size:           8
        .value_kind:     by_value
      - .address_space:  global
        .offset:         72
        .size:           8
        .value_kind:     global_buffer
      - .offset:         80
        .size:           4
        .value_kind:     by_value
      - .offset:         88
        .size:           8
        .value_kind:     by_value
      - .offset:         96
        .size:           4
        .value_kind:     by_value
    .group_segment_fixed_size: 4096
    .kernarg_segment_align: 8
    .kernarg_segment_size: 100
    .language:       OpenCL C
    .language_version:
      - 2
      - 0
    .max_flat_workgroup_size: 256
    .name:           _ZL32rocblas_syrkx_herkx_small_kernelIi19rocblas_complex_numIfELi16ELb1ELb0ELc67ELc85EKS1_S1_EviT_T0_PT6_S3_lS6_S3_lS4_PT7_S3_li
    .private_segment_fixed_size: 0
    .sgpr_count:     25
    .sgpr_spill_count: 0
    .symbol:         _ZL32rocblas_syrkx_herkx_small_kernelIi19rocblas_complex_numIfELi16ELb1ELb0ELc67ELc85EKS1_S1_EviT_T0_PT6_S3_lS6_S3_lS4_PT7_S3_li.kd
    .uniform_work_group_size: 1
    .uses_dynamic_stack: false
    .vgpr_count:     52
    .vgpr_spill_count: 0
    .wavefront_size: 64
  - .args:
      - .offset:         0
        .size:           4
        .value_kind:     by_value
      - .offset:         4
        .size:           4
        .value_kind:     by_value
      - .offset:         8
        .size:           8
        .value_kind:     by_value
      - .address_space:  global
        .offset:         16
        .size:           8
        .value_kind:     global_buffer
      - .offset:         24
        .size:           4
        .value_kind:     by_value
      - .offset:         32
        .size:           8
        .value_kind:     by_value
      - .address_space:  global
        .offset:         40
        .size:           8
        .value_kind:     global_buffer
      - .offset:         48
        .size:           4
        .value_kind:     by_value
      - .offset:         56
        .size:           8
        .value_kind:     by_value
      - .offset:         64
        .size:           8
        .value_kind:     by_value
      - .address_space:  global
        .offset:         72
        .size:           8
        .value_kind:     global_buffer
      - .offset:         80
        .size:           4
        .value_kind:     by_value
      - .offset:         88
        .size:           8
        .value_kind:     by_value
      - .offset:         96
        .size:           4
        .value_kind:     by_value
    .group_segment_fixed_size: 4096
    .kernarg_segment_align: 8
    .kernarg_segment_size: 100
    .language:       OpenCL C
    .language_version:
      - 2
      - 0
    .max_flat_workgroup_size: 256
    .name:           _ZL32rocblas_syrkx_herkx_small_kernelIi19rocblas_complex_numIfELi16ELb1ELb0ELc78ELc85EKS1_S1_EviT_T0_PT6_S3_lS6_S3_lS4_PT7_S3_li
    .private_segment_fixed_size: 0
    .sgpr_count:     29
    .sgpr_spill_count: 0
    .symbol:         _ZL32rocblas_syrkx_herkx_small_kernelIi19rocblas_complex_numIfELi16ELb1ELb0ELc78ELc85EKS1_S1_EviT_T0_PT6_S3_lS6_S3_lS4_PT7_S3_li.kd
    .uniform_work_group_size: 1
    .uses_dynamic_stack: false
    .vgpr_count:     59
    .vgpr_spill_count: 0
    .wavefront_size: 64
  - .args:
      - .offset:         0
        .size:           4
        .value_kind:     by_value
      - .offset:         4
        .size:           4
        .value_kind:     by_value
      - .offset:         8
        .size:           8
        .value_kind:     by_value
      - .address_space:  global
        .offset:         16
        .size:           8
        .value_kind:     global_buffer
      - .offset:         24
        .size:           4
        .value_kind:     by_value
      - .offset:         32
        .size:           8
        .value_kind:     by_value
      - .address_space:  global
        .offset:         40
        .size:           8
        .value_kind:     global_buffer
      - .offset:         48
        .size:           4
        .value_kind:     by_value
      - .offset:         56
        .size:           8
        .value_kind:     by_value
      - .offset:         64
        .size:           8
        .value_kind:     by_value
      - .address_space:  global
        .offset:         72
        .size:           8
        .value_kind:     global_buffer
      - .offset:         80
        .size:           4
        .value_kind:     by_value
      - .offset:         88
        .size:           8
        .value_kind:     by_value
      - .offset:         96
        .size:           4
        .value_kind:     by_value
    .group_segment_fixed_size: 4096
    .kernarg_segment_align: 8
    .kernarg_segment_size: 100
    .language:       OpenCL C
    .language_version:
      - 2
      - 0
    .max_flat_workgroup_size: 256
    .name:           _ZL32rocblas_syrkx_herkx_small_kernelIi19rocblas_complex_numIfELi16ELb0ELb0ELc84ELc76EKS1_S1_EviT_T0_PT6_S3_lS6_S3_lS4_PT7_S3_li
    .private_segment_fixed_size: 0
    .sgpr_count:     32
    .sgpr_spill_count: 0
    .symbol:         _ZL32rocblas_syrkx_herkx_small_kernelIi19rocblas_complex_numIfELi16ELb0ELb0ELc84ELc76EKS1_S1_EviT_T0_PT6_S3_lS6_S3_lS4_PT7_S3_li.kd
    .uniform_work_group_size: 1
    .uses_dynamic_stack: false
    .vgpr_count:     52
    .vgpr_spill_count: 0
    .wavefront_size: 64
  - .args:
      - .offset:         0
        .size:           4
        .value_kind:     by_value
      - .offset:         4
        .size:           4
        .value_kind:     by_value
      - .offset:         8
        .size:           8
        .value_kind:     by_value
      - .address_space:  global
        .offset:         16
        .size:           8
        .value_kind:     global_buffer
      - .offset:         24
        .size:           4
        .value_kind:     by_value
      - .offset:         32
        .size:           8
        .value_kind:     by_value
      - .address_space:  global
        .offset:         40
        .size:           8
        .value_kind:     global_buffer
      - .offset:         48
        .size:           4
        .value_kind:     by_value
      - .offset:         56
        .size:           8
        .value_kind:     by_value
      - .offset:         64
        .size:           8
        .value_kind:     by_value
      - .address_space:  global
        .offset:         72
        .size:           8
        .value_kind:     global_buffer
      - .offset:         80
        .size:           4
        .value_kind:     by_value
      - .offset:         88
        .size:           8
        .value_kind:     by_value
      - .offset:         96
        .size:           4
        .value_kind:     by_value
    .group_segment_fixed_size: 4096
    .kernarg_segment_align: 8
    .kernarg_segment_size: 100
    .language:       OpenCL C
    .language_version:
      - 2
      - 0
    .max_flat_workgroup_size: 256
    .name:           _ZL32rocblas_syrkx_herkx_small_kernelIi19rocblas_complex_numIfELi16ELb0ELb0ELc67ELc76EKS1_S1_EviT_T0_PT6_S3_lS6_S3_lS4_PT7_S3_li
    .private_segment_fixed_size: 0
    .sgpr_count:     32
    .sgpr_spill_count: 0
    .symbol:         _ZL32rocblas_syrkx_herkx_small_kernelIi19rocblas_complex_numIfELi16ELb0ELb0ELc67ELc76EKS1_S1_EviT_T0_PT6_S3_lS6_S3_lS4_PT7_S3_li.kd
    .uniform_work_group_size: 1
    .uses_dynamic_stack: false
    .vgpr_count:     52
    .vgpr_spill_count: 0
    .wavefront_size: 64
  - .args:
      - .offset:         0
        .size:           4
        .value_kind:     by_value
      - .offset:         4
        .size:           4
        .value_kind:     by_value
      - .offset:         8
        .size:           8
        .value_kind:     by_value
      - .address_space:  global
        .offset:         16
        .size:           8
        .value_kind:     global_buffer
      - .offset:         24
        .size:           4
        .value_kind:     by_value
      - .offset:         32
        .size:           8
        .value_kind:     by_value
      - .address_space:  global
        .offset:         40
        .size:           8
        .value_kind:     global_buffer
      - .offset:         48
        .size:           4
        .value_kind:     by_value
      - .offset:         56
        .size:           8
        .value_kind:     by_value
      - .offset:         64
        .size:           8
        .value_kind:     by_value
      - .address_space:  global
        .offset:         72
        .size:           8
        .value_kind:     global_buffer
      - .offset:         80
        .size:           4
        .value_kind:     by_value
      - .offset:         88
        .size:           8
        .value_kind:     by_value
      - .offset:         96
        .size:           4
        .value_kind:     by_value
    .group_segment_fixed_size: 4096
    .kernarg_segment_align: 8
    .kernarg_segment_size: 100
    .language:       OpenCL C
    .language_version:
      - 2
      - 0
    .max_flat_workgroup_size: 256
    .name:           _ZL32rocblas_syrkx_herkx_small_kernelIi19rocblas_complex_numIfELi16ELb0ELb0ELc78ELc76EKS1_S1_EviT_T0_PT6_S3_lS6_S3_lS4_PT7_S3_li
    .private_segment_fixed_size: 0
    .sgpr_count:     33
    .sgpr_spill_count: 0
    .symbol:         _ZL32rocblas_syrkx_herkx_small_kernelIi19rocblas_complex_numIfELi16ELb0ELb0ELc78ELc76EKS1_S1_EviT_T0_PT6_S3_lS6_S3_lS4_PT7_S3_li.kd
    .uniform_work_group_size: 1
    .uses_dynamic_stack: false
    .vgpr_count:     59
    .vgpr_spill_count: 0
    .wavefront_size: 64
  - .args:
      - .offset:         0
        .size:           4
        .value_kind:     by_value
      - .offset:         4
        .size:           4
        .value_kind:     by_value
      - .offset:         8
        .size:           8
        .value_kind:     by_value
      - .address_space:  global
        .offset:         16
        .size:           8
        .value_kind:     global_buffer
      - .offset:         24
        .size:           4
        .value_kind:     by_value
      - .offset:         32
        .size:           8
        .value_kind:     by_value
      - .address_space:  global
        .offset:         40
        .size:           8
        .value_kind:     global_buffer
      - .offset:         48
        .size:           4
        .value_kind:     by_value
      - .offset:         56
        .size:           8
        .value_kind:     by_value
      - .offset:         64
        .size:           8
        .value_kind:     by_value
      - .address_space:  global
        .offset:         72
        .size:           8
        .value_kind:     global_buffer
      - .offset:         80
        .size:           4
        .value_kind:     by_value
      - .offset:         88
        .size:           8
        .value_kind:     by_value
      - .offset:         96
        .size:           4
        .value_kind:     by_value
    .group_segment_fixed_size: 4096
    .kernarg_segment_align: 8
    .kernarg_segment_size: 100
    .language:       OpenCL C
    .language_version:
      - 2
      - 0
    .max_flat_workgroup_size: 256
    .name:           _ZL32rocblas_syrkx_herkx_small_kernelIi19rocblas_complex_numIfELi16ELb0ELb0ELc84ELc85EKS1_S1_EviT_T0_PT6_S3_lS6_S3_lS4_PT7_S3_li
    .private_segment_fixed_size: 0
    .sgpr_count:     32
    .sgpr_spill_count: 0
    .symbol:         _ZL32rocblas_syrkx_herkx_small_kernelIi19rocblas_complex_numIfELi16ELb0ELb0ELc84ELc85EKS1_S1_EviT_T0_PT6_S3_lS6_S3_lS4_PT7_S3_li.kd
    .uniform_work_group_size: 1
    .uses_dynamic_stack: false
    .vgpr_count:     52
    .vgpr_spill_count: 0
    .wavefront_size: 64
  - .args:
      - .offset:         0
        .size:           4
        .value_kind:     by_value
      - .offset:         4
        .size:           4
        .value_kind:     by_value
      - .offset:         8
        .size:           8
        .value_kind:     by_value
      - .address_space:  global
        .offset:         16
        .size:           8
        .value_kind:     global_buffer
      - .offset:         24
        .size:           4
        .value_kind:     by_value
      - .offset:         32
        .size:           8
        .value_kind:     by_value
      - .address_space:  global
        .offset:         40
        .size:           8
        .value_kind:     global_buffer
      - .offset:         48
        .size:           4
        .value_kind:     by_value
      - .offset:         56
        .size:           8
        .value_kind:     by_value
      - .offset:         64
        .size:           8
        .value_kind:     by_value
      - .address_space:  global
        .offset:         72
        .size:           8
        .value_kind:     global_buffer
      - .offset:         80
        .size:           4
        .value_kind:     by_value
      - .offset:         88
        .size:           8
        .value_kind:     by_value
      - .offset:         96
        .size:           4
        .value_kind:     by_value
    .group_segment_fixed_size: 4096
    .kernarg_segment_align: 8
    .kernarg_segment_size: 100
    .language:       OpenCL C
    .language_version:
      - 2
      - 0
    .max_flat_workgroup_size: 256
    .name:           _ZL32rocblas_syrkx_herkx_small_kernelIi19rocblas_complex_numIfELi16ELb0ELb0ELc67ELc85EKS1_S1_EviT_T0_PT6_S3_lS6_S3_lS4_PT7_S3_li
    .private_segment_fixed_size: 0
    .sgpr_count:     32
    .sgpr_spill_count: 0
    .symbol:         _ZL32rocblas_syrkx_herkx_small_kernelIi19rocblas_complex_numIfELi16ELb0ELb0ELc67ELc85EKS1_S1_EviT_T0_PT6_S3_lS6_S3_lS4_PT7_S3_li.kd
    .uniform_work_group_size: 1
    .uses_dynamic_stack: false
    .vgpr_count:     52
    .vgpr_spill_count: 0
    .wavefront_size: 64
  - .args:
      - .offset:         0
        .size:           4
        .value_kind:     by_value
      - .offset:         4
        .size:           4
        .value_kind:     by_value
      - .offset:         8
        .size:           8
        .value_kind:     by_value
      - .address_space:  global
        .offset:         16
        .size:           8
        .value_kind:     global_buffer
      - .offset:         24
        .size:           4
        .value_kind:     by_value
      - .offset:         32
        .size:           8
        .value_kind:     by_value
      - .address_space:  global
        .offset:         40
        .size:           8
        .value_kind:     global_buffer
      - .offset:         48
        .size:           4
        .value_kind:     by_value
      - .offset:         56
        .size:           8
        .value_kind:     by_value
      - .offset:         64
        .size:           8
        .value_kind:     by_value
      - .address_space:  global
        .offset:         72
        .size:           8
        .value_kind:     global_buffer
      - .offset:         80
        .size:           4
        .value_kind:     by_value
      - .offset:         88
        .size:           8
        .value_kind:     by_value
      - .offset:         96
        .size:           4
        .value_kind:     by_value
    .group_segment_fixed_size: 4096
    .kernarg_segment_align: 8
    .kernarg_segment_size: 100
    .language:       OpenCL C
    .language_version:
      - 2
      - 0
    .max_flat_workgroup_size: 256
    .name:           _ZL32rocblas_syrkx_herkx_small_kernelIi19rocblas_complex_numIfELi16ELb0ELb0ELc78ELc85EKS1_S1_EviT_T0_PT6_S3_lS6_S3_lS4_PT7_S3_li
    .private_segment_fixed_size: 0
    .sgpr_count:     33
    .sgpr_spill_count: 0
    .symbol:         _ZL32rocblas_syrkx_herkx_small_kernelIi19rocblas_complex_numIfELi16ELb0ELb0ELc78ELc85EKS1_S1_EviT_T0_PT6_S3_lS6_S3_lS4_PT7_S3_li.kd
    .uniform_work_group_size: 1
    .uses_dynamic_stack: false
    .vgpr_count:     59
    .vgpr_spill_count: 0
    .wavefront_size: 64
  - .args:
      - .offset:         0
        .size:           4
        .value_kind:     by_value
      - .offset:         4
        .size:           4
        .value_kind:     by_value
      - .offset:         8
        .size:           8
        .value_kind:     by_value
      - .address_space:  global
        .offset:         16
        .size:           8
        .value_kind:     global_buffer
      - .offset:         24
        .size:           4
        .value_kind:     by_value
      - .offset:         32
        .size:           8
        .value_kind:     by_value
      - .address_space:  global
        .offset:         40
        .size:           8
        .value_kind:     global_buffer
      - .offset:         48
        .size:           4
        .value_kind:     by_value
      - .offset:         56
        .size:           8
        .value_kind:     by_value
      - .offset:         64
        .size:           8
        .value_kind:     by_value
      - .address_space:  global
        .offset:         72
        .size:           8
        .value_kind:     global_buffer
      - .offset:         80
        .size:           4
        .value_kind:     by_value
      - .offset:         88
        .size:           8
        .value_kind:     by_value
      - .offset:         96
        .size:           4
        .value_kind:     by_value
    .group_segment_fixed_size: 4096
    .kernarg_segment_align: 8
    .kernarg_segment_size: 100
    .language:       OpenCL C
    .language_version:
      - 2
      - 0
    .max_flat_workgroup_size: 256
    .name:           _ZL34rocblas_syrkx_herkx_general_kernelIi19rocblas_complex_numIfELi16ELi32ELi8ELb1ELb0ELc84ELc76EKS1_S1_EviT_T0_PT8_S3_lS6_S3_lS4_PT9_S3_li
    .private_segment_fixed_size: 0
    .sgpr_count:     27
    .sgpr_spill_count: 0
    .symbol:         _ZL34rocblas_syrkx_herkx_general_kernelIi19rocblas_complex_numIfELi16ELi32ELi8ELb1ELb0ELc84ELc76EKS1_S1_EviT_T0_PT8_S3_lS6_S3_lS4_PT9_S3_li.kd
    .uniform_work_group_size: 1
    .uses_dynamic_stack: false
    .vgpr_count:     48
    .vgpr_spill_count: 0
    .wavefront_size: 64
  - .args:
      - .offset:         0
        .size:           4
        .value_kind:     by_value
      - .offset:         4
        .size:           4
        .value_kind:     by_value
      - .offset:         8
        .size:           8
        .value_kind:     by_value
      - .address_space:  global
        .offset:         16
        .size:           8
        .value_kind:     global_buffer
      - .offset:         24
        .size:           4
        .value_kind:     by_value
      - .offset:         32
        .size:           8
        .value_kind:     by_value
      - .address_space:  global
        .offset:         40
        .size:           8
        .value_kind:     global_buffer
      - .offset:         48
        .size:           4
        .value_kind:     by_value
      - .offset:         56
        .size:           8
        .value_kind:     by_value
      - .offset:         64
        .size:           8
        .value_kind:     by_value
      - .address_space:  global
        .offset:         72
        .size:           8
        .value_kind:     global_buffer
      - .offset:         80
        .size:           4
        .value_kind:     by_value
      - .offset:         88
        .size:           8
        .value_kind:     by_value
      - .offset:         96
        .size:           4
        .value_kind:     by_value
    .group_segment_fixed_size: 4096
    .kernarg_segment_align: 8
    .kernarg_segment_size: 100
    .language:       OpenCL C
    .language_version:
      - 2
      - 0
    .max_flat_workgroup_size: 256
    .name:           _ZL34rocblas_syrkx_herkx_general_kernelIi19rocblas_complex_numIfELi16ELi32ELi8ELb1ELb0ELc67ELc76EKS1_S1_EviT_T0_PT8_S3_lS6_S3_lS4_PT9_S3_li
    .private_segment_fixed_size: 0
    .sgpr_count:     27
    .sgpr_spill_count: 0
    .symbol:         _ZL34rocblas_syrkx_herkx_general_kernelIi19rocblas_complex_numIfELi16ELi32ELi8ELb1ELb0ELc67ELc76EKS1_S1_EviT_T0_PT8_S3_lS6_S3_lS4_PT9_S3_li.kd
    .uniform_work_group_size: 1
    .uses_dynamic_stack: false
    .vgpr_count:     48
    .vgpr_spill_count: 0
    .wavefront_size: 64
  - .args:
      - .offset:         0
        .size:           4
        .value_kind:     by_value
      - .offset:         4
        .size:           4
        .value_kind:     by_value
      - .offset:         8
        .size:           8
        .value_kind:     by_value
      - .address_space:  global
        .offset:         16
        .size:           8
        .value_kind:     global_buffer
      - .offset:         24
        .size:           4
        .value_kind:     by_value
      - .offset:         32
        .size:           8
        .value_kind:     by_value
      - .address_space:  global
        .offset:         40
        .size:           8
        .value_kind:     global_buffer
      - .offset:         48
        .size:           4
        .value_kind:     by_value
      - .offset:         56
        .size:           8
        .value_kind:     by_value
      - .offset:         64
        .size:           8
        .value_kind:     by_value
      - .address_space:  global
        .offset:         72
        .size:           8
        .value_kind:     global_buffer
      - .offset:         80
        .size:           4
        .value_kind:     by_value
      - .offset:         88
        .size:           8
        .value_kind:     by_value
      - .offset:         96
        .size:           4
        .value_kind:     by_value
    .group_segment_fixed_size: 4096
    .kernarg_segment_align: 8
    .kernarg_segment_size: 100
    .language:       OpenCL C
    .language_version:
      - 2
      - 0
    .max_flat_workgroup_size: 256
    .name:           _ZL34rocblas_syrkx_herkx_general_kernelIi19rocblas_complex_numIfELi16ELi32ELi8ELb1ELb0ELc78ELc76EKS1_S1_EviT_T0_PT8_S3_lS6_S3_lS4_PT9_S3_li
    .private_segment_fixed_size: 0
    .sgpr_count:     30
    .sgpr_spill_count: 0
    .symbol:         _ZL34rocblas_syrkx_herkx_general_kernelIi19rocblas_complex_numIfELi16ELi32ELi8ELb1ELb0ELc78ELc76EKS1_S1_EviT_T0_PT8_S3_lS6_S3_lS4_PT9_S3_li.kd
    .uniform_work_group_size: 1
    .uses_dynamic_stack: false
    .vgpr_count:     53
    .vgpr_spill_count: 0
    .wavefront_size: 64
  - .args:
      - .offset:         0
        .size:           4
        .value_kind:     by_value
      - .offset:         4
        .size:           4
        .value_kind:     by_value
      - .offset:         8
        .size:           8
        .value_kind:     by_value
      - .address_space:  global
        .offset:         16
        .size:           8
        .value_kind:     global_buffer
      - .offset:         24
        .size:           4
        .value_kind:     by_value
      - .offset:         32
        .size:           8
        .value_kind:     by_value
      - .address_space:  global
        .offset:         40
        .size:           8
        .value_kind:     global_buffer
      - .offset:         48
        .size:           4
        .value_kind:     by_value
      - .offset:         56
        .size:           8
        .value_kind:     by_value
      - .offset:         64
        .size:           8
        .value_kind:     by_value
      - .address_space:  global
        .offset:         72
        .size:           8
        .value_kind:     global_buffer
      - .offset:         80
        .size:           4
        .value_kind:     by_value
      - .offset:         88
        .size:           8
        .value_kind:     by_value
      - .offset:         96
        .size:           4
        .value_kind:     by_value
    .group_segment_fixed_size: 4096
    .kernarg_segment_align: 8
    .kernarg_segment_size: 100
    .language:       OpenCL C
    .language_version:
      - 2
      - 0
    .max_flat_workgroup_size: 256
    .name:           _ZL34rocblas_syrkx_herkx_general_kernelIi19rocblas_complex_numIfELi16ELi32ELi8ELb1ELb0ELc84ELc85EKS1_S1_EviT_T0_PT8_S3_lS6_S3_lS4_PT9_S3_li
    .private_segment_fixed_size: 0
    .sgpr_count:     27
    .sgpr_spill_count: 0
    .symbol:         _ZL34rocblas_syrkx_herkx_general_kernelIi19rocblas_complex_numIfELi16ELi32ELi8ELb1ELb0ELc84ELc85EKS1_S1_EviT_T0_PT8_S3_lS6_S3_lS4_PT9_S3_li.kd
    .uniform_work_group_size: 1
    .uses_dynamic_stack: false
    .vgpr_count:     48
    .vgpr_spill_count: 0
    .wavefront_size: 64
  - .args:
      - .offset:         0
        .size:           4
        .value_kind:     by_value
      - .offset:         4
        .size:           4
        .value_kind:     by_value
      - .offset:         8
        .size:           8
        .value_kind:     by_value
      - .address_space:  global
        .offset:         16
        .size:           8
        .value_kind:     global_buffer
      - .offset:         24
        .size:           4
        .value_kind:     by_value
      - .offset:         32
        .size:           8
        .value_kind:     by_value
      - .address_space:  global
        .offset:         40
        .size:           8
        .value_kind:     global_buffer
      - .offset:         48
        .size:           4
        .value_kind:     by_value
      - .offset:         56
        .size:           8
        .value_kind:     by_value
      - .offset:         64
        .size:           8
        .value_kind:     by_value
      - .address_space:  global
        .offset:         72
        .size:           8
        .value_kind:     global_buffer
      - .offset:         80
        .size:           4
        .value_kind:     by_value
      - .offset:         88
        .size:           8
        .value_kind:     by_value
      - .offset:         96
        .size:           4
        .value_kind:     by_value
    .group_segment_fixed_size: 4096
    .kernarg_segment_align: 8
    .kernarg_segment_size: 100
    .language:       OpenCL C
    .language_version:
      - 2
      - 0
    .max_flat_workgroup_size: 256
    .name:           _ZL34rocblas_syrkx_herkx_general_kernelIi19rocblas_complex_numIfELi16ELi32ELi8ELb1ELb0ELc67ELc85EKS1_S1_EviT_T0_PT8_S3_lS6_S3_lS4_PT9_S3_li
    .private_segment_fixed_size: 0
    .sgpr_count:     27
    .sgpr_spill_count: 0
    .symbol:         _ZL34rocblas_syrkx_herkx_general_kernelIi19rocblas_complex_numIfELi16ELi32ELi8ELb1ELb0ELc67ELc85EKS1_S1_EviT_T0_PT8_S3_lS6_S3_lS4_PT9_S3_li.kd
    .uniform_work_group_size: 1
    .uses_dynamic_stack: false
    .vgpr_count:     48
    .vgpr_spill_count: 0
    .wavefront_size: 64
  - .args:
      - .offset:         0
        .size:           4
        .value_kind:     by_value
      - .offset:         4
        .size:           4
        .value_kind:     by_value
      - .offset:         8
        .size:           8
        .value_kind:     by_value
      - .address_space:  global
        .offset:         16
        .size:           8
        .value_kind:     global_buffer
      - .offset:         24
        .size:           4
        .value_kind:     by_value
      - .offset:         32
        .size:           8
        .value_kind:     by_value
      - .address_space:  global
        .offset:         40
        .size:           8
        .value_kind:     global_buffer
      - .offset:         48
        .size:           4
        .value_kind:     by_value
      - .offset:         56
        .size:           8
        .value_kind:     by_value
      - .offset:         64
        .size:           8
        .value_kind:     by_value
      - .address_space:  global
        .offset:         72
        .size:           8
        .value_kind:     global_buffer
      - .offset:         80
        .size:           4
        .value_kind:     by_value
      - .offset:         88
        .size:           8
        .value_kind:     by_value
      - .offset:         96
        .size:           4
        .value_kind:     by_value
    .group_segment_fixed_size: 4096
    .kernarg_segment_align: 8
    .kernarg_segment_size: 100
    .language:       OpenCL C
    .language_version:
      - 2
      - 0
    .max_flat_workgroup_size: 256
    .name:           _ZL34rocblas_syrkx_herkx_general_kernelIi19rocblas_complex_numIfELi16ELi32ELi8ELb1ELb0ELc78ELc85EKS1_S1_EviT_T0_PT8_S3_lS6_S3_lS4_PT9_S3_li
    .private_segment_fixed_size: 0
    .sgpr_count:     30
    .sgpr_spill_count: 0
    .symbol:         _ZL34rocblas_syrkx_herkx_general_kernelIi19rocblas_complex_numIfELi16ELi32ELi8ELb1ELb0ELc78ELc85EKS1_S1_EviT_T0_PT8_S3_lS6_S3_lS4_PT9_S3_li.kd
    .uniform_work_group_size: 1
    .uses_dynamic_stack: false
    .vgpr_count:     53
    .vgpr_spill_count: 0
    .wavefront_size: 64
  - .args:
      - .offset:         0
        .size:           4
        .value_kind:     by_value
      - .offset:         4
        .size:           4
        .value_kind:     by_value
      - .offset:         8
        .size:           8
        .value_kind:     by_value
      - .address_space:  global
        .offset:         16
        .size:           8
        .value_kind:     global_buffer
      - .offset:         24
        .size:           4
        .value_kind:     by_value
      - .offset:         32
        .size:           8
        .value_kind:     by_value
      - .address_space:  global
        .offset:         40
        .size:           8
        .value_kind:     global_buffer
      - .offset:         48
        .size:           4
        .value_kind:     by_value
      - .offset:         56
        .size:           8
        .value_kind:     by_value
      - .offset:         64
        .size:           8
        .value_kind:     by_value
      - .address_space:  global
        .offset:         72
        .size:           8
        .value_kind:     global_buffer
      - .offset:         80
        .size:           4
        .value_kind:     by_value
      - .offset:         88
        .size:           8
        .value_kind:     by_value
      - .offset:         96
        .size:           4
        .value_kind:     by_value
    .group_segment_fixed_size: 4096
    .kernarg_segment_align: 8
    .kernarg_segment_size: 100
    .language:       OpenCL C
    .language_version:
      - 2
      - 0
    .max_flat_workgroup_size: 256
    .name:           _ZL34rocblas_syrkx_herkx_general_kernelIi19rocblas_complex_numIfELi16ELi32ELi8ELb0ELb0ELc84ELc76EKS1_S1_EviT_T0_PT8_S3_lS6_S3_lS4_PT9_S3_li
    .private_segment_fixed_size: 0
    .sgpr_count:     32
    .sgpr_spill_count: 0
    .symbol:         _ZL34rocblas_syrkx_herkx_general_kernelIi19rocblas_complex_numIfELi16ELi32ELi8ELb0ELb0ELc84ELc76EKS1_S1_EviT_T0_PT8_S3_lS6_S3_lS4_PT9_S3_li.kd
    .uniform_work_group_size: 1
    .uses_dynamic_stack: false
    .vgpr_count:     48
    .vgpr_spill_count: 0
    .wavefront_size: 64
  - .args:
      - .offset:         0
        .size:           4
        .value_kind:     by_value
      - .offset:         4
        .size:           4
        .value_kind:     by_value
      - .offset:         8
        .size:           8
        .value_kind:     by_value
      - .address_space:  global
        .offset:         16
        .size:           8
        .value_kind:     global_buffer
      - .offset:         24
        .size:           4
        .value_kind:     by_value
      - .offset:         32
        .size:           8
        .value_kind:     by_value
      - .address_space:  global
        .offset:         40
        .size:           8
        .value_kind:     global_buffer
      - .offset:         48
        .size:           4
        .value_kind:     by_value
      - .offset:         56
        .size:           8
        .value_kind:     by_value
      - .offset:         64
        .size:           8
        .value_kind:     by_value
      - .address_space:  global
        .offset:         72
        .size:           8
        .value_kind:     global_buffer
      - .offset:         80
        .size:           4
        .value_kind:     by_value
      - .offset:         88
        .size:           8
        .value_kind:     by_value
      - .offset:         96
        .size:           4
        .value_kind:     by_value
    .group_segment_fixed_size: 4096
    .kernarg_segment_align: 8
    .kernarg_segment_size: 100
    .language:       OpenCL C
    .language_version:
      - 2
      - 0
    .max_flat_workgroup_size: 256
    .name:           _ZL34rocblas_syrkx_herkx_general_kernelIi19rocblas_complex_numIfELi16ELi32ELi8ELb0ELb0ELc67ELc76EKS1_S1_EviT_T0_PT8_S3_lS6_S3_lS4_PT9_S3_li
    .private_segment_fixed_size: 0
    .sgpr_count:     31
    .sgpr_spill_count: 0
    .symbol:         _ZL34rocblas_syrkx_herkx_general_kernelIi19rocblas_complex_numIfELi16ELi32ELi8ELb0ELb0ELc67ELc76EKS1_S1_EviT_T0_PT8_S3_lS6_S3_lS4_PT9_S3_li.kd
    .uniform_work_group_size: 1
    .uses_dynamic_stack: false
    .vgpr_count:     48
    .vgpr_spill_count: 0
    .wavefront_size: 64
  - .args:
      - .offset:         0
        .size:           4
        .value_kind:     by_value
      - .offset:         4
        .size:           4
        .value_kind:     by_value
      - .offset:         8
        .size:           8
        .value_kind:     by_value
      - .address_space:  global
        .offset:         16
        .size:           8
        .value_kind:     global_buffer
      - .offset:         24
        .size:           4
        .value_kind:     by_value
      - .offset:         32
        .size:           8
        .value_kind:     by_value
      - .address_space:  global
        .offset:         40
        .size:           8
        .value_kind:     global_buffer
      - .offset:         48
        .size:           4
        .value_kind:     by_value
      - .offset:         56
        .size:           8
        .value_kind:     by_value
      - .offset:         64
        .size:           8
        .value_kind:     by_value
      - .address_space:  global
        .offset:         72
        .size:           8
        .value_kind:     global_buffer
      - .offset:         80
        .size:           4
        .value_kind:     by_value
      - .offset:         88
        .size:           8
        .value_kind:     by_value
      - .offset:         96
        .size:           4
        .value_kind:     by_value
    .group_segment_fixed_size: 4096
    .kernarg_segment_align: 8
    .kernarg_segment_size: 100
    .language:       OpenCL C
    .language_version:
      - 2
      - 0
    .max_flat_workgroup_size: 256
    .name:           _ZL34rocblas_syrkx_herkx_general_kernelIi19rocblas_complex_numIfELi16ELi32ELi8ELb0ELb0ELc78ELc76EKS1_S1_EviT_T0_PT8_S3_lS6_S3_lS4_PT9_S3_li
    .private_segment_fixed_size: 0
    .sgpr_count:     34
    .sgpr_spill_count: 0
    .symbol:         _ZL34rocblas_syrkx_herkx_general_kernelIi19rocblas_complex_numIfELi16ELi32ELi8ELb0ELb0ELc78ELc76EKS1_S1_EviT_T0_PT8_S3_lS6_S3_lS4_PT9_S3_li.kd
    .uniform_work_group_size: 1
    .uses_dynamic_stack: false
    .vgpr_count:     53
    .vgpr_spill_count: 0
    .wavefront_size: 64
  - .args:
      - .offset:         0
        .size:           4
        .value_kind:     by_value
      - .offset:         4
        .size:           4
        .value_kind:     by_value
      - .offset:         8
        .size:           8
        .value_kind:     by_value
      - .address_space:  global
        .offset:         16
        .size:           8
        .value_kind:     global_buffer
      - .offset:         24
        .size:           4
        .value_kind:     by_value
      - .offset:         32
        .size:           8
        .value_kind:     by_value
      - .address_space:  global
        .offset:         40
        .size:           8
        .value_kind:     global_buffer
      - .offset:         48
        .size:           4
        .value_kind:     by_value
      - .offset:         56
        .size:           8
        .value_kind:     by_value
      - .offset:         64
        .size:           8
        .value_kind:     by_value
      - .address_space:  global
        .offset:         72
        .size:           8
        .value_kind:     global_buffer
      - .offset:         80
        .size:           4
        .value_kind:     by_value
      - .offset:         88
        .size:           8
        .value_kind:     by_value
      - .offset:         96
        .size:           4
        .value_kind:     by_value
    .group_segment_fixed_size: 4096
    .kernarg_segment_align: 8
    .kernarg_segment_size: 100
    .language:       OpenCL C
    .language_version:
      - 2
      - 0
    .max_flat_workgroup_size: 256
    .name:           _ZL34rocblas_syrkx_herkx_general_kernelIi19rocblas_complex_numIfELi16ELi32ELi8ELb0ELb0ELc84ELc85EKS1_S1_EviT_T0_PT8_S3_lS6_S3_lS4_PT9_S3_li
    .private_segment_fixed_size: 0
    .sgpr_count:     32
    .sgpr_spill_count: 0
    .symbol:         _ZL34rocblas_syrkx_herkx_general_kernelIi19rocblas_complex_numIfELi16ELi32ELi8ELb0ELb0ELc84ELc85EKS1_S1_EviT_T0_PT8_S3_lS6_S3_lS4_PT9_S3_li.kd
    .uniform_work_group_size: 1
    .uses_dynamic_stack: false
    .vgpr_count:     48
    .vgpr_spill_count: 0
    .wavefront_size: 64
  - .args:
      - .offset:         0
        .size:           4
        .value_kind:     by_value
      - .offset:         4
        .size:           4
        .value_kind:     by_value
      - .offset:         8
        .size:           8
        .value_kind:     by_value
      - .address_space:  global
        .offset:         16
        .size:           8
        .value_kind:     global_buffer
      - .offset:         24
        .size:           4
        .value_kind:     by_value
      - .offset:         32
        .size:           8
        .value_kind:     by_value
      - .address_space:  global
        .offset:         40
        .size:           8
        .value_kind:     global_buffer
      - .offset:         48
        .size:           4
        .value_kind:     by_value
      - .offset:         56
        .size:           8
        .value_kind:     by_value
      - .offset:         64
        .size:           8
        .value_kind:     by_value
      - .address_space:  global
        .offset:         72
        .size:           8
        .value_kind:     global_buffer
      - .offset:         80
        .size:           4
        .value_kind:     by_value
      - .offset:         88
        .size:           8
        .value_kind:     by_value
      - .offset:         96
        .size:           4
        .value_kind:     by_value
    .group_segment_fixed_size: 4096
    .kernarg_segment_align: 8
    .kernarg_segment_size: 100
    .language:       OpenCL C
    .language_version:
      - 2
      - 0
    .max_flat_workgroup_size: 256
    .name:           _ZL34rocblas_syrkx_herkx_general_kernelIi19rocblas_complex_numIfELi16ELi32ELi8ELb0ELb0ELc67ELc85EKS1_S1_EviT_T0_PT8_S3_lS6_S3_lS4_PT9_S3_li
    .private_segment_fixed_size: 0
    .sgpr_count:     31
    .sgpr_spill_count: 0
    .symbol:         _ZL34rocblas_syrkx_herkx_general_kernelIi19rocblas_complex_numIfELi16ELi32ELi8ELb0ELb0ELc67ELc85EKS1_S1_EviT_T0_PT8_S3_lS6_S3_lS4_PT9_S3_li.kd
    .uniform_work_group_size: 1
    .uses_dynamic_stack: false
    .vgpr_count:     48
    .vgpr_spill_count: 0
    .wavefront_size: 64
  - .args:
      - .offset:         0
        .size:           4
        .value_kind:     by_value
      - .offset:         4
        .size:           4
        .value_kind:     by_value
      - .offset:         8
        .size:           8
        .value_kind:     by_value
      - .address_space:  global
        .offset:         16
        .size:           8
        .value_kind:     global_buffer
      - .offset:         24
        .size:           4
        .value_kind:     by_value
      - .offset:         32
        .size:           8
        .value_kind:     by_value
      - .address_space:  global
        .offset:         40
        .size:           8
        .value_kind:     global_buffer
      - .offset:         48
        .size:           4
        .value_kind:     by_value
      - .offset:         56
        .size:           8
        .value_kind:     by_value
      - .offset:         64
        .size:           8
        .value_kind:     by_value
      - .address_space:  global
        .offset:         72
        .size:           8
        .value_kind:     global_buffer
      - .offset:         80
        .size:           4
        .value_kind:     by_value
      - .offset:         88
        .size:           8
        .value_kind:     by_value
      - .offset:         96
        .size:           4
        .value_kind:     by_value
    .group_segment_fixed_size: 4096
    .kernarg_segment_align: 8
    .kernarg_segment_size: 100
    .language:       OpenCL C
    .language_version:
      - 2
      - 0
    .max_flat_workgroup_size: 256
    .name:           _ZL34rocblas_syrkx_herkx_general_kernelIi19rocblas_complex_numIfELi16ELi32ELi8ELb0ELb0ELc78ELc85EKS1_S1_EviT_T0_PT8_S3_lS6_S3_lS4_PT9_S3_li
    .private_segment_fixed_size: 0
    .sgpr_count:     34
    .sgpr_spill_count: 0
    .symbol:         _ZL34rocblas_syrkx_herkx_general_kernelIi19rocblas_complex_numIfELi16ELi32ELi8ELb0ELb0ELc78ELc85EKS1_S1_EviT_T0_PT8_S3_lS6_S3_lS4_PT9_S3_li.kd
    .uniform_work_group_size: 1
    .uses_dynamic_stack: false
    .vgpr_count:     53
    .vgpr_spill_count: 0
    .wavefront_size: 64
  - .args:
      - .offset:         0
        .size:           1
        .value_kind:     by_value
      - .offset:         4
        .size:           4
        .value_kind:     by_value
      - .offset:         8
        .size:           4
        .value_kind:     by_value
      - .offset:         12
        .size:           8
        .value_kind:     by_value
      - .offset:         20
        .size:           8
        .value_kind:     by_value
      - .address_space:  global
        .offset:         32
        .size:           8
        .value_kind:     global_buffer
      - .offset:         40
        .size:           4
        .value_kind:     by_value
      - .offset:         48
        .size:           8
        .value_kind:     by_value
      - .offset:         56
        .size:           4
        .value_kind:     by_value
      - .offset:         64
        .size:           4
        .value_kind:     hidden_block_count_x
      - .offset:         68
        .size:           4
        .value_kind:     hidden_block_count_y
      - .offset:         72
        .size:           4
        .value_kind:     hidden_block_count_z
      - .offset:         76
        .size:           2
        .value_kind:     hidden_group_size_x
      - .offset:         78
        .size:           2
        .value_kind:     hidden_group_size_y
      - .offset:         80
        .size:           2
        .value_kind:     hidden_group_size_z
      - .offset:         82
        .size:           2
        .value_kind:     hidden_remainder_x
      - .offset:         84
        .size:           2
        .value_kind:     hidden_remainder_y
      - .offset:         86
        .size:           2
        .value_kind:     hidden_remainder_z
      - .offset:         104
        .size:           8
        .value_kind:     hidden_global_offset_x
      - .offset:         112
        .size:           8
        .value_kind:     hidden_global_offset_y
      - .offset:         120
        .size:           8
        .value_kind:     hidden_global_offset_z
      - .offset:         128
        .size:           2
        .value_kind:     hidden_grid_dims
    .group_segment_fixed_size: 0
    .kernarg_segment_align: 8
    .kernarg_segment_size: 320
    .language:       OpenCL C
    .language_version:
      - 2
      - 0
    .max_flat_workgroup_size: 1024
    .name:           _ZL26rocblas_syr2k_scale_kernelIiLi128ELi8ELb0E19rocblas_complex_numIfES1_PS1_EvbiT_T3_T4_T5_S3_li
    .private_segment_fixed_size: 0
    .sgpr_count:     16
    .sgpr_spill_count: 0
    .symbol:         _ZL26rocblas_syr2k_scale_kernelIiLi128ELi8ELb0E19rocblas_complex_numIfES1_PS1_EvbiT_T3_T4_T5_S3_li.kd
    .uniform_work_group_size: 1
    .uses_dynamic_stack: false
    .vgpr_count:     6
    .vgpr_spill_count: 0
    .wavefront_size: 64
  - .args:
      - .offset:         0
        .size:           1
        .value_kind:     by_value
      - .offset:         4
        .size:           4
        .value_kind:     by_value
      - .offset:         8
        .size:           4
        .value_kind:     by_value
      - .address_space:  global
        .offset:         16
        .size:           8
        .value_kind:     global_buffer
      - .address_space:  global
        .offset:         24
        .size:           8
        .value_kind:     global_buffer
      - .offset:         32
        .size:           4
        .value_kind:     by_value
      - .offset:         40
        .size:           8
        .value_kind:     by_value
      - .address_space:  global
        .offset:         48
        .size:           8
        .value_kind:     global_buffer
      - .offset:         56
        .size:           4
        .value_kind:     by_value
      - .offset:         64
        .size:           8
        .value_kind:     by_value
      - .address_space:  global
        .offset:         72
        .size:           8
        .value_kind:     global_buffer
      - .offset:         80
        .size:           4
        .value_kind:     by_value
      - .offset:         88
        .size:           8
        .value_kind:     by_value
      - .offset:         96
        .size:           4
        .value_kind:     by_value
    .group_segment_fixed_size: 16384
    .kernarg_segment_align: 8
    .kernarg_segment_size: 100
    .language:       OpenCL C
    .language_version:
      - 2
      - 0
    .max_flat_workgroup_size: 1024
    .name:           _ZL26rocblas_syr2k_her2k_kernelIiLb0ELb0ELb0ELi32EPK19rocblas_complex_numIfES3_PS1_EvbiT_T4_T5_S5_lS7_S5_lT6_S5_li
    .private_segment_fixed_size: 0
    .sgpr_count:     28
    .sgpr_spill_count: 0
    .symbol:         _ZL26rocblas_syr2k_her2k_kernelIiLb0ELb0ELb0ELi32EPK19rocblas_complex_numIfES3_PS1_EvbiT_T4_T5_S5_lS7_S5_lT6_S5_li.kd
    .uniform_work_group_size: 1
    .uses_dynamic_stack: false
    .vgpr_count:     36
    .vgpr_spill_count: 0
    .wavefront_size: 64
  - .args:
      - .offset:         0
        .size:           1
        .value_kind:     by_value
      - .offset:         4
        .size:           4
        .value_kind:     by_value
      - .offset:         8
        .size:           4
        .value_kind:     by_value
      - .address_space:  global
        .offset:         16
        .size:           8
        .value_kind:     global_buffer
      - .address_space:  global
        .offset:         24
        .size:           8
        .value_kind:     global_buffer
      - .offset:         32
        .size:           4
        .value_kind:     by_value
      - .offset:         40
        .size:           8
        .value_kind:     by_value
      - .address_space:  global
        .offset:         48
        .size:           8
        .value_kind:     global_buffer
      - .offset:         56
        .size:           4
        .value_kind:     by_value
      - .offset:         64
        .size:           8
        .value_kind:     by_value
      - .address_space:  global
        .offset:         72
        .size:           8
        .value_kind:     global_buffer
      - .offset:         80
        .size:           4
        .value_kind:     by_value
      - .offset:         88
        .size:           8
        .value_kind:     by_value
      - .offset:         96
        .size:           4
        .value_kind:     by_value
    .group_segment_fixed_size: 16384
    .kernarg_segment_align: 8
    .kernarg_segment_size: 100
    .language:       OpenCL C
    .language_version:
      - 2
      - 0
    .max_flat_workgroup_size: 1024
    .name:           _ZL26rocblas_syr2k_her2k_kernelIiLb0ELb0ELb1ELi32EPK19rocblas_complex_numIfES3_PS1_EvbiT_T4_T5_S5_lS7_S5_lT6_S5_li
    .private_segment_fixed_size: 0
    .sgpr_count:     28
    .sgpr_spill_count: 0
    .symbol:         _ZL26rocblas_syr2k_her2k_kernelIiLb0ELb0ELb1ELi32EPK19rocblas_complex_numIfES3_PS1_EvbiT_T4_T5_S5_lS7_S5_lT6_S5_li.kd
    .uniform_work_group_size: 1
    .uses_dynamic_stack: false
    .vgpr_count:     36
    .vgpr_spill_count: 0
    .wavefront_size: 64
  - .args:
      - .offset:         0
        .size:           1
        .value_kind:     by_value
      - .offset:         4
        .size:           4
        .value_kind:     by_value
      - .offset:         8
        .size:           4
        .value_kind:     by_value
      - .offset:         16
        .size:           16
        .value_kind:     by_value
      - .address_space:  global
        .offset:         32
        .size:           8
        .value_kind:     global_buffer
      - .offset:         40
        .size:           4
        .value_kind:     by_value
      - .offset:         48
        .size:           8
        .value_kind:     by_value
      - .address_space:  global
        .offset:         56
        .size:           8
        .value_kind:     global_buffer
      - .offset:         64
        .size:           4
        .value_kind:     by_value
      - .offset:         72
        .size:           8
        .value_kind:     by_value
      - .address_space:  global
        .offset:         80
        .size:           8
        .value_kind:     global_buffer
      - .offset:         88
        .size:           4
        .value_kind:     by_value
      - .offset:         96
        .size:           8
        .value_kind:     by_value
      - .offset:         104
        .size:           4
        .value_kind:     by_value
    .group_segment_fixed_size: 32768
    .kernarg_segment_align: 8
    .kernarg_segment_size: 108
    .language:       OpenCL C
    .language_version:
      - 2
      - 0
    .max_flat_workgroup_size: 1024
    .name:           _ZL26rocblas_syr2k_her2k_kernelIiLb0ELb0ELb0ELi32E19rocblas_complex_numIdEPKS1_PS1_EvbiT_T4_T5_S5_lS7_S5_lT6_S5_li
    .private_segment_fixed_size: 0
    .sgpr_count:     32
    .sgpr_spill_count: 0
    .symbol:         _ZL26rocblas_syr2k_her2k_kernelIiLb0ELb0ELb0ELi32E19rocblas_complex_numIdEPKS1_PS1_EvbiT_T4_T5_S5_lS7_S5_lT6_S5_li.kd
    .uniform_work_group_size: 1
    .uses_dynamic_stack: false
    .vgpr_count:     34
    .vgpr_spill_count: 0
    .wavefront_size: 64
  - .args:
      - .offset:         0
        .size:           1
        .value_kind:     by_value
      - .offset:         4
        .size:           4
        .value_kind:     by_value
      - .offset:         8
        .size:           4
        .value_kind:     by_value
      - .offset:         16
        .size:           16
        .value_kind:     by_value
      - .address_space:  global
        .offset:         32
        .size:           8
        .value_kind:     global_buffer
      - .offset:         40
        .size:           4
        .value_kind:     by_value
      - .offset:         48
        .size:           8
        .value_kind:     by_value
      - .address_space:  global
        .offset:         56
        .size:           8
        .value_kind:     global_buffer
      - .offset:         64
        .size:           4
        .value_kind:     by_value
      - .offset:         72
        .size:           8
        .value_kind:     by_value
      - .address_space:  global
        .offset:         80
        .size:           8
        .value_kind:     global_buffer
      - .offset:         88
        .size:           4
        .value_kind:     by_value
      - .offset:         96
        .size:           8
        .value_kind:     by_value
      - .offset:         104
        .size:           4
        .value_kind:     by_value
    .group_segment_fixed_size: 32768
    .kernarg_segment_align: 8
    .kernarg_segment_size: 108
    .language:       OpenCL C
    .language_version:
      - 2
      - 0
    .max_flat_workgroup_size: 1024
    .name:           _ZL26rocblas_syr2k_her2k_kernelIiLb0ELb0ELb1ELi32E19rocblas_complex_numIdEPKS1_PS1_EvbiT_T4_T5_S5_lS7_S5_lT6_S5_li
    .private_segment_fixed_size: 0
    .sgpr_count:     32
    .sgpr_spill_count: 0
    .symbol:         _ZL26rocblas_syr2k_her2k_kernelIiLb0ELb0ELb1ELi32E19rocblas_complex_numIdEPKS1_PS1_EvbiT_T4_T5_S5_lS7_S5_lT6_S5_li.kd
    .uniform_work_group_size: 1
    .uses_dynamic_stack: false
    .vgpr_count:     36
    .vgpr_spill_count: 0
    .wavefront_size: 64
  - .args:
      - .offset:         0
        .size:           4
        .value_kind:     by_value
      - .offset:         4
        .size:           4
        .value_kind:     by_value
      - .address_space:  global
        .offset:         8
        .size:           8
        .value_kind:     global_buffer
      - .offset:         16
        .size:           4
        .value_kind:     by_value
      - .offset:         24
        .size:           8
        .value_kind:     by_value
      - .address_space:  global
        .offset:         32
        .size:           8
        .value_kind:     global_buffer
      - .offset:         40
        .size:           4
        .value_kind:     by_value
      - .offset:         48
        .size:           8
        .value_kind:     by_value
      - .address_space:  global
        .offset:         56
        .size:           8
        .value_kind:     global_buffer
      - .offset:         64
        .size:           4
        .value_kind:     by_value
      - .offset:         72
        .size:           8
        .value_kind:     by_value
      - .offset:         80
        .size:           4
        .value_kind:     by_value
    .group_segment_fixed_size: 8192
    .kernarg_segment_align: 8
    .kernarg_segment_size: 84
    .language:       OpenCL C
    .language_version:
      - 2
      - 0
    .max_flat_workgroup_size: 256
    .name:           _ZL37rocblas_syrkx_herkx_restricted_kernelIi19rocblas_complex_numIdELi16ELi32ELi8ELi1ELi1ELb0ELc84ELc76EKS1_S1_EviT_PT9_S3_lS5_S3_lPT10_S3_li
    .private_segment_fixed_size: 0
    .sgpr_count:     26
    .sgpr_spill_count: 0
    .symbol:         _ZL37rocblas_syrkx_herkx_restricted_kernelIi19rocblas_complex_numIdELi16ELi32ELi8ELi1ELi1ELb0ELc84ELc76EKS1_S1_EviT_PT9_S3_lS5_S3_lPT10_S3_li.kd
    .uniform_work_group_size: 1
    .uses_dynamic_stack: false
    .vgpr_count:     52
    .vgpr_spill_count: 0
    .wavefront_size: 64
  - .args:
      - .offset:         0
        .size:           4
        .value_kind:     by_value
      - .offset:         4
        .size:           4
        .value_kind:     by_value
      - .address_space:  global
        .offset:         8
        .size:           8
        .value_kind:     global_buffer
      - .offset:         16
        .size:           4
        .value_kind:     by_value
      - .offset:         24
        .size:           8
        .value_kind:     by_value
      - .address_space:  global
        .offset:         32
        .size:           8
        .value_kind:     global_buffer
      - .offset:         40
        .size:           4
        .value_kind:     by_value
      - .offset:         48
        .size:           8
        .value_kind:     by_value
      - .address_space:  global
        .offset:         56
        .size:           8
        .value_kind:     global_buffer
      - .offset:         64
        .size:           4
        .value_kind:     by_value
      - .offset:         72
        .size:           8
        .value_kind:     by_value
      - .offset:         80
        .size:           4
        .value_kind:     by_value
    .group_segment_fixed_size: 8192
    .kernarg_segment_align: 8
    .kernarg_segment_size: 84
    .language:       OpenCL C
    .language_version:
      - 2
      - 0
    .max_flat_workgroup_size: 256
    .name:           _ZL37rocblas_syrkx_herkx_restricted_kernelIi19rocblas_complex_numIdELi16ELi32ELi8ELi1ELi1ELb0ELc67ELc76EKS1_S1_EviT_PT9_S3_lS5_S3_lPT10_S3_li
    .private_segment_fixed_size: 0
    .sgpr_count:     26
    .sgpr_spill_count: 0
    .symbol:         _ZL37rocblas_syrkx_herkx_restricted_kernelIi19rocblas_complex_numIdELi16ELi32ELi8ELi1ELi1ELb0ELc67ELc76EKS1_S1_EviT_PT9_S3_lS5_S3_lPT10_S3_li.kd
    .uniform_work_group_size: 1
    .uses_dynamic_stack: false
    .vgpr_count:     52
    .vgpr_spill_count: 0
    .wavefront_size: 64
  - .args:
      - .offset:         0
        .size:           4
        .value_kind:     by_value
      - .offset:         4
        .size:           4
        .value_kind:     by_value
      - .address_space:  global
        .offset:         8
        .size:           8
        .value_kind:     global_buffer
      - .offset:         16
        .size:           4
        .value_kind:     by_value
      - .offset:         24
        .size:           8
        .value_kind:     by_value
      - .address_space:  global
        .offset:         32
        .size:           8
        .value_kind:     global_buffer
      - .offset:         40
        .size:           4
        .value_kind:     by_value
      - .offset:         48
        .size:           8
        .value_kind:     by_value
      - .address_space:  global
        .offset:         56
        .size:           8
        .value_kind:     global_buffer
      - .offset:         64
        .size:           4
        .value_kind:     by_value
      - .offset:         72
        .size:           8
        .value_kind:     by_value
      - .offset:         80
        .size:           4
        .value_kind:     by_value
    .group_segment_fixed_size: 8192
    .kernarg_segment_align: 8
    .kernarg_segment_size: 84
    .language:       OpenCL C
    .language_version:
      - 2
      - 0
    .max_flat_workgroup_size: 256
    .name:           _ZL37rocblas_syrkx_herkx_restricted_kernelIi19rocblas_complex_numIdELi16ELi32ELi8ELi1ELi1ELb0ELc78ELc76EKS1_S1_EviT_PT9_S3_lS5_S3_lPT10_S3_li
    .private_segment_fixed_size: 0
    .sgpr_count:     29
    .sgpr_spill_count: 0
    .symbol:         _ZL37rocblas_syrkx_herkx_restricted_kernelIi19rocblas_complex_numIdELi16ELi32ELi8ELi1ELi1ELb0ELc78ELc76EKS1_S1_EviT_PT9_S3_lS5_S3_lPT10_S3_li.kd
    .uniform_work_group_size: 1
    .uses_dynamic_stack: false
    .vgpr_count:     54
    .vgpr_spill_count: 0
    .wavefront_size: 64
  - .args:
      - .offset:         0
        .size:           4
        .value_kind:     by_value
      - .offset:         4
        .size:           4
        .value_kind:     by_value
      - .address_space:  global
        .offset:         8
        .size:           8
        .value_kind:     global_buffer
      - .offset:         16
        .size:           4
        .value_kind:     by_value
      - .offset:         24
        .size:           8
        .value_kind:     by_value
      - .address_space:  global
        .offset:         32
        .size:           8
        .value_kind:     global_buffer
      - .offset:         40
        .size:           4
        .value_kind:     by_value
      - .offset:         48
        .size:           8
        .value_kind:     by_value
      - .address_space:  global
        .offset:         56
        .size:           8
        .value_kind:     global_buffer
      - .offset:         64
        .size:           4
        .value_kind:     by_value
      - .offset:         72
        .size:           8
        .value_kind:     by_value
      - .offset:         80
        .size:           4
        .value_kind:     by_value
    .group_segment_fixed_size: 8192
    .kernarg_segment_align: 8
    .kernarg_segment_size: 84
    .language:       OpenCL C
    .language_version:
      - 2
      - 0
    .max_flat_workgroup_size: 256
    .name:           _ZL37rocblas_syrkx_herkx_restricted_kernelIi19rocblas_complex_numIdELi16ELi32ELi8ELi1ELi1ELb0ELc84ELc85EKS1_S1_EviT_PT9_S3_lS5_S3_lPT10_S3_li
    .private_segment_fixed_size: 0
    .sgpr_count:     26
    .sgpr_spill_count: 0
    .symbol:         _ZL37rocblas_syrkx_herkx_restricted_kernelIi19rocblas_complex_numIdELi16ELi32ELi8ELi1ELi1ELb0ELc84ELc85EKS1_S1_EviT_PT9_S3_lS5_S3_lPT10_S3_li.kd
    .uniform_work_group_size: 1
    .uses_dynamic_stack: false
    .vgpr_count:     52
    .vgpr_spill_count: 0
    .wavefront_size: 64
  - .args:
      - .offset:         0
        .size:           4
        .value_kind:     by_value
      - .offset:         4
        .size:           4
        .value_kind:     by_value
      - .address_space:  global
        .offset:         8
        .size:           8
        .value_kind:     global_buffer
      - .offset:         16
        .size:           4
        .value_kind:     by_value
      - .offset:         24
        .size:           8
        .value_kind:     by_value
      - .address_space:  global
        .offset:         32
        .size:           8
        .value_kind:     global_buffer
      - .offset:         40
        .size:           4
        .value_kind:     by_value
      - .offset:         48
        .size:           8
        .value_kind:     by_value
      - .address_space:  global
        .offset:         56
        .size:           8
        .value_kind:     global_buffer
      - .offset:         64
        .size:           4
        .value_kind:     by_value
      - .offset:         72
        .size:           8
        .value_kind:     by_value
      - .offset:         80
        .size:           4
        .value_kind:     by_value
    .group_segment_fixed_size: 8192
    .kernarg_segment_align: 8
    .kernarg_segment_size: 84
    .language:       OpenCL C
    .language_version:
      - 2
      - 0
    .max_flat_workgroup_size: 256
    .name:           _ZL37rocblas_syrkx_herkx_restricted_kernelIi19rocblas_complex_numIdELi16ELi32ELi8ELi1ELi1ELb0ELc67ELc85EKS1_S1_EviT_PT9_S3_lS5_S3_lPT10_S3_li
    .private_segment_fixed_size: 0
    .sgpr_count:     26
    .sgpr_spill_count: 0
    .symbol:         _ZL37rocblas_syrkx_herkx_restricted_kernelIi19rocblas_complex_numIdELi16ELi32ELi8ELi1ELi1ELb0ELc67ELc85EKS1_S1_EviT_PT9_S3_lS5_S3_lPT10_S3_li.kd
    .uniform_work_group_size: 1
    .uses_dynamic_stack: false
    .vgpr_count:     52
    .vgpr_spill_count: 0
    .wavefront_size: 64
  - .args:
      - .offset:         0
        .size:           4
        .value_kind:     by_value
      - .offset:         4
        .size:           4
        .value_kind:     by_value
      - .address_space:  global
        .offset:         8
        .size:           8
        .value_kind:     global_buffer
      - .offset:         16
        .size:           4
        .value_kind:     by_value
      - .offset:         24
        .size:           8
        .value_kind:     by_value
      - .address_space:  global
        .offset:         32
        .size:           8
        .value_kind:     global_buffer
      - .offset:         40
        .size:           4
        .value_kind:     by_value
      - .offset:         48
        .size:           8
        .value_kind:     by_value
      - .address_space:  global
        .offset:         56
        .size:           8
        .value_kind:     global_buffer
      - .offset:         64
        .size:           4
        .value_kind:     by_value
      - .offset:         72
        .size:           8
        .value_kind:     by_value
      - .offset:         80
        .size:           4
        .value_kind:     by_value
    .group_segment_fixed_size: 8192
    .kernarg_segment_align: 8
    .kernarg_segment_size: 84
    .language:       OpenCL C
    .language_version:
      - 2
      - 0
    .max_flat_workgroup_size: 256
    .name:           _ZL37rocblas_syrkx_herkx_restricted_kernelIi19rocblas_complex_numIdELi16ELi32ELi8ELi1ELi1ELb0ELc78ELc85EKS1_S1_EviT_PT9_S3_lS5_S3_lPT10_S3_li
    .private_segment_fixed_size: 0
    .sgpr_count:     29
    .sgpr_spill_count: 0
    .symbol:         _ZL37rocblas_syrkx_herkx_restricted_kernelIi19rocblas_complex_numIdELi16ELi32ELi8ELi1ELi1ELb0ELc78ELc85EKS1_S1_EviT_PT9_S3_lS5_S3_lPT10_S3_li.kd
    .uniform_work_group_size: 1
    .uses_dynamic_stack: false
    .vgpr_count:     54
    .vgpr_spill_count: 0
    .wavefront_size: 64
  - .args:
      - .offset:         0
        .size:           4
        .value_kind:     by_value
      - .offset:         4
        .size:           4
        .value_kind:     by_value
      - .address_space:  global
        .offset:         8
        .size:           8
        .value_kind:     global_buffer
      - .offset:         16
        .size:           4
        .value_kind:     by_value
      - .offset:         24
        .size:           8
        .value_kind:     by_value
      - .address_space:  global
        .offset:         32
        .size:           8
        .value_kind:     global_buffer
      - .offset:         40
        .size:           4
        .value_kind:     by_value
      - .offset:         48
        .size:           8
        .value_kind:     by_value
      - .address_space:  global
        .offset:         56
        .size:           8
        .value_kind:     global_buffer
      - .offset:         64
        .size:           4
        .value_kind:     by_value
      - .offset:         72
        .size:           8
        .value_kind:     by_value
      - .offset:         80
        .size:           4
        .value_kind:     by_value
    .group_segment_fixed_size: 8192
    .kernarg_segment_align: 8
    .kernarg_segment_size: 84
    .language:       OpenCL C
    .language_version:
      - 2
      - 0
    .max_flat_workgroup_size: 256
    .name:           _ZL37rocblas_syrkx_herkx_restricted_kernelIi19rocblas_complex_numIdELi16ELi32ELi8ELi1ELin1ELb0ELc84ELc76EKS1_S1_EviT_PT9_S3_lS5_S3_lPT10_S3_li
    .private_segment_fixed_size: 0
    .sgpr_count:     26
    .sgpr_spill_count: 0
    .symbol:         _ZL37rocblas_syrkx_herkx_restricted_kernelIi19rocblas_complex_numIdELi16ELi32ELi8ELi1ELin1ELb0ELc84ELc76EKS1_S1_EviT_PT9_S3_lS5_S3_lPT10_S3_li.kd
    .uniform_work_group_size: 1
    .uses_dynamic_stack: false
    .vgpr_count:     52
    .vgpr_spill_count: 0
    .wavefront_size: 64
  - .args:
      - .offset:         0
        .size:           4
        .value_kind:     by_value
      - .offset:         4
        .size:           4
        .value_kind:     by_value
      - .address_space:  global
        .offset:         8
        .size:           8
        .value_kind:     global_buffer
      - .offset:         16
        .size:           4
        .value_kind:     by_value
      - .offset:         24
        .size:           8
        .value_kind:     by_value
      - .address_space:  global
        .offset:         32
        .size:           8
        .value_kind:     global_buffer
      - .offset:         40
        .size:           4
        .value_kind:     by_value
      - .offset:         48
        .size:           8
        .value_kind:     by_value
      - .address_space:  global
        .offset:         56
        .size:           8
        .value_kind:     global_buffer
      - .offset:         64
        .size:           4
        .value_kind:     by_value
      - .offset:         72
        .size:           8
        .value_kind:     by_value
      - .offset:         80
        .size:           4
        .value_kind:     by_value
    .group_segment_fixed_size: 8192
    .kernarg_segment_align: 8
    .kernarg_segment_size: 84
    .language:       OpenCL C
    .language_version:
      - 2
      - 0
    .max_flat_workgroup_size: 256
    .name:           _ZL37rocblas_syrkx_herkx_restricted_kernelIi19rocblas_complex_numIdELi16ELi32ELi8ELi1ELin1ELb0ELc67ELc76EKS1_S1_EviT_PT9_S3_lS5_S3_lPT10_S3_li
    .private_segment_fixed_size: 0
    .sgpr_count:     26
    .sgpr_spill_count: 0
    .symbol:         _ZL37rocblas_syrkx_herkx_restricted_kernelIi19rocblas_complex_numIdELi16ELi32ELi8ELi1ELin1ELb0ELc67ELc76EKS1_S1_EviT_PT9_S3_lS5_S3_lPT10_S3_li.kd
    .uniform_work_group_size: 1
    .uses_dynamic_stack: false
    .vgpr_count:     52
    .vgpr_spill_count: 0
    .wavefront_size: 64
  - .args:
      - .offset:         0
        .size:           4
        .value_kind:     by_value
      - .offset:         4
        .size:           4
        .value_kind:     by_value
      - .address_space:  global
        .offset:         8
        .size:           8
        .value_kind:     global_buffer
      - .offset:         16
        .size:           4
        .value_kind:     by_value
      - .offset:         24
        .size:           8
        .value_kind:     by_value
      - .address_space:  global
        .offset:         32
        .size:           8
        .value_kind:     global_buffer
      - .offset:         40
        .size:           4
        .value_kind:     by_value
      - .offset:         48
        .size:           8
        .value_kind:     by_value
      - .address_space:  global
        .offset:         56
        .size:           8
        .value_kind:     global_buffer
      - .offset:         64
        .size:           4
        .value_kind:     by_value
      - .offset:         72
        .size:           8
        .value_kind:     by_value
      - .offset:         80
        .size:           4
        .value_kind:     by_value
    .group_segment_fixed_size: 8192
    .kernarg_segment_align: 8
    .kernarg_segment_size: 84
    .language:       OpenCL C
    .language_version:
      - 2
      - 0
    .max_flat_workgroup_size: 256
    .name:           _ZL37rocblas_syrkx_herkx_restricted_kernelIi19rocblas_complex_numIdELi16ELi32ELi8ELi1ELin1ELb0ELc78ELc76EKS1_S1_EviT_PT9_S3_lS5_S3_lPT10_S3_li
    .private_segment_fixed_size: 0
    .sgpr_count:     29
    .sgpr_spill_count: 0
    .symbol:         _ZL37rocblas_syrkx_herkx_restricted_kernelIi19rocblas_complex_numIdELi16ELi32ELi8ELi1ELin1ELb0ELc78ELc76EKS1_S1_EviT_PT9_S3_lS5_S3_lPT10_S3_li.kd
    .uniform_work_group_size: 1
    .uses_dynamic_stack: false
    .vgpr_count:     54
    .vgpr_spill_count: 0
    .wavefront_size: 64
  - .args:
      - .offset:         0
        .size:           4
        .value_kind:     by_value
      - .offset:         4
        .size:           4
        .value_kind:     by_value
      - .address_space:  global
        .offset:         8
        .size:           8
        .value_kind:     global_buffer
      - .offset:         16
        .size:           4
        .value_kind:     by_value
      - .offset:         24
        .size:           8
        .value_kind:     by_value
      - .address_space:  global
        .offset:         32
        .size:           8
        .value_kind:     global_buffer
      - .offset:         40
        .size:           4
        .value_kind:     by_value
      - .offset:         48
        .size:           8
        .value_kind:     by_value
      - .address_space:  global
        .offset:         56
        .size:           8
        .value_kind:     global_buffer
      - .offset:         64
        .size:           4
        .value_kind:     by_value
      - .offset:         72
        .size:           8
        .value_kind:     by_value
      - .offset:         80
        .size:           4
        .value_kind:     by_value
    .group_segment_fixed_size: 8192
    .kernarg_segment_align: 8
    .kernarg_segment_size: 84
    .language:       OpenCL C
    .language_version:
      - 2
      - 0
    .max_flat_workgroup_size: 256
    .name:           _ZL37rocblas_syrkx_herkx_restricted_kernelIi19rocblas_complex_numIdELi16ELi32ELi8ELi1ELin1ELb0ELc84ELc85EKS1_S1_EviT_PT9_S3_lS5_S3_lPT10_S3_li
    .private_segment_fixed_size: 0
    .sgpr_count:     26
    .sgpr_spill_count: 0
    .symbol:         _ZL37rocblas_syrkx_herkx_restricted_kernelIi19rocblas_complex_numIdELi16ELi32ELi8ELi1ELin1ELb0ELc84ELc85EKS1_S1_EviT_PT9_S3_lS5_S3_lPT10_S3_li.kd
    .uniform_work_group_size: 1
    .uses_dynamic_stack: false
    .vgpr_count:     52
    .vgpr_spill_count: 0
    .wavefront_size: 64
  - .args:
      - .offset:         0
        .size:           4
        .value_kind:     by_value
      - .offset:         4
        .size:           4
        .value_kind:     by_value
      - .address_space:  global
        .offset:         8
        .size:           8
        .value_kind:     global_buffer
      - .offset:         16
        .size:           4
        .value_kind:     by_value
      - .offset:         24
        .size:           8
        .value_kind:     by_value
      - .address_space:  global
        .offset:         32
        .size:           8
        .value_kind:     global_buffer
      - .offset:         40
        .size:           4
        .value_kind:     by_value
      - .offset:         48
        .size:           8
        .value_kind:     by_value
      - .address_space:  global
        .offset:         56
        .size:           8
        .value_kind:     global_buffer
      - .offset:         64
        .size:           4
        .value_kind:     by_value
      - .offset:         72
        .size:           8
        .value_kind:     by_value
      - .offset:         80
        .size:           4
        .value_kind:     by_value
    .group_segment_fixed_size: 8192
    .kernarg_segment_align: 8
    .kernarg_segment_size: 84
    .language:       OpenCL C
    .language_version:
      - 2
      - 0
    .max_flat_workgroup_size: 256
    .name:           _ZL37rocblas_syrkx_herkx_restricted_kernelIi19rocblas_complex_numIdELi16ELi32ELi8ELi1ELin1ELb0ELc67ELc85EKS1_S1_EviT_PT9_S3_lS5_S3_lPT10_S3_li
    .private_segment_fixed_size: 0
    .sgpr_count:     26
    .sgpr_spill_count: 0
    .symbol:         _ZL37rocblas_syrkx_herkx_restricted_kernelIi19rocblas_complex_numIdELi16ELi32ELi8ELi1ELin1ELb0ELc67ELc85EKS1_S1_EviT_PT9_S3_lS5_S3_lPT10_S3_li.kd
    .uniform_work_group_size: 1
    .uses_dynamic_stack: false
    .vgpr_count:     52
    .vgpr_spill_count: 0
    .wavefront_size: 64
  - .args:
      - .offset:         0
        .size:           4
        .value_kind:     by_value
      - .offset:         4
        .size:           4
        .value_kind:     by_value
      - .address_space:  global
        .offset:         8
        .size:           8
        .value_kind:     global_buffer
      - .offset:         16
        .size:           4
        .value_kind:     by_value
      - .offset:         24
        .size:           8
        .value_kind:     by_value
      - .address_space:  global
        .offset:         32
        .size:           8
        .value_kind:     global_buffer
      - .offset:         40
        .size:           4
        .value_kind:     by_value
      - .offset:         48
        .size:           8
        .value_kind:     by_value
      - .address_space:  global
        .offset:         56
        .size:           8
        .value_kind:     global_buffer
      - .offset:         64
        .size:           4
        .value_kind:     by_value
      - .offset:         72
        .size:           8
        .value_kind:     by_value
      - .offset:         80
        .size:           4
        .value_kind:     by_value
    .group_segment_fixed_size: 8192
    .kernarg_segment_align: 8
    .kernarg_segment_size: 84
    .language:       OpenCL C
    .language_version:
      - 2
      - 0
    .max_flat_workgroup_size: 256
    .name:           _ZL37rocblas_syrkx_herkx_restricted_kernelIi19rocblas_complex_numIdELi16ELi32ELi8ELi1ELin1ELb0ELc78ELc85EKS1_S1_EviT_PT9_S3_lS5_S3_lPT10_S3_li
    .private_segment_fixed_size: 0
    .sgpr_count:     29
    .sgpr_spill_count: 0
    .symbol:         _ZL37rocblas_syrkx_herkx_restricted_kernelIi19rocblas_complex_numIdELi16ELi32ELi8ELi1ELin1ELb0ELc78ELc85EKS1_S1_EviT_PT9_S3_lS5_S3_lPT10_S3_li.kd
    .uniform_work_group_size: 1
    .uses_dynamic_stack: false
    .vgpr_count:     54
    .vgpr_spill_count: 0
    .wavefront_size: 64
  - .args:
      - .offset:         0
        .size:           4
        .value_kind:     by_value
      - .offset:         4
        .size:           4
        .value_kind:     by_value
      - .address_space:  global
        .offset:         8
        .size:           8
        .value_kind:     global_buffer
      - .offset:         16
        .size:           4
        .value_kind:     by_value
      - .offset:         24
        .size:           8
        .value_kind:     by_value
      - .address_space:  global
        .offset:         32
        .size:           8
        .value_kind:     global_buffer
      - .offset:         40
        .size:           4
        .value_kind:     by_value
      - .offset:         48
        .size:           8
        .value_kind:     by_value
      - .address_space:  global
        .offset:         56
        .size:           8
        .value_kind:     global_buffer
      - .offset:         64
        .size:           4
        .value_kind:     by_value
      - .offset:         72
        .size:           8
        .value_kind:     by_value
      - .offset:         80
        .size:           4
        .value_kind:     by_value
    .group_segment_fixed_size: 8192
    .kernarg_segment_align: 8
    .kernarg_segment_size: 84
    .language:       OpenCL C
    .language_version:
      - 2
      - 0
    .max_flat_workgroup_size: 256
    .name:           _ZL37rocblas_syrkx_herkx_restricted_kernelIi19rocblas_complex_numIdELi16ELi32ELi8ELi1ELi0ELb0ELc84ELc76EKS1_S1_EviT_PT9_S3_lS5_S3_lPT10_S3_li
    .private_segment_fixed_size: 0
    .sgpr_count:     26
    .sgpr_spill_count: 0
    .symbol:         _ZL37rocblas_syrkx_herkx_restricted_kernelIi19rocblas_complex_numIdELi16ELi32ELi8ELi1ELi0ELb0ELc84ELc76EKS1_S1_EviT_PT9_S3_lS5_S3_lPT10_S3_li.kd
    .uniform_work_group_size: 1
    .uses_dynamic_stack: false
    .vgpr_count:     52
    .vgpr_spill_count: 0
    .wavefront_size: 64
  - .args:
      - .offset:         0
        .size:           4
        .value_kind:     by_value
      - .offset:         4
        .size:           4
        .value_kind:     by_value
      - .address_space:  global
        .offset:         8
        .size:           8
        .value_kind:     global_buffer
      - .offset:         16
        .size:           4
        .value_kind:     by_value
      - .offset:         24
        .size:           8
        .value_kind:     by_value
      - .address_space:  global
        .offset:         32
        .size:           8
        .value_kind:     global_buffer
      - .offset:         40
        .size:           4
        .value_kind:     by_value
      - .offset:         48
        .size:           8
        .value_kind:     by_value
      - .address_space:  global
        .offset:         56
        .size:           8
        .value_kind:     global_buffer
      - .offset:         64
        .size:           4
        .value_kind:     by_value
      - .offset:         72
        .size:           8
        .value_kind:     by_value
      - .offset:         80
        .size:           4
        .value_kind:     by_value
    .group_segment_fixed_size: 8192
    .kernarg_segment_align: 8
    .kernarg_segment_size: 84
    .language:       OpenCL C
    .language_version:
      - 2
      - 0
    .max_flat_workgroup_size: 256
    .name:           _ZL37rocblas_syrkx_herkx_restricted_kernelIi19rocblas_complex_numIdELi16ELi32ELi8ELi1ELi0ELb0ELc67ELc76EKS1_S1_EviT_PT9_S3_lS5_S3_lPT10_S3_li
    .private_segment_fixed_size: 0
    .sgpr_count:     26
    .sgpr_spill_count: 0
    .symbol:         _ZL37rocblas_syrkx_herkx_restricted_kernelIi19rocblas_complex_numIdELi16ELi32ELi8ELi1ELi0ELb0ELc67ELc76EKS1_S1_EviT_PT9_S3_lS5_S3_lPT10_S3_li.kd
    .uniform_work_group_size: 1
    .uses_dynamic_stack: false
    .vgpr_count:     52
    .vgpr_spill_count: 0
    .wavefront_size: 64
  - .args:
      - .offset:         0
        .size:           4
        .value_kind:     by_value
      - .offset:         4
        .size:           4
        .value_kind:     by_value
      - .address_space:  global
        .offset:         8
        .size:           8
        .value_kind:     global_buffer
      - .offset:         16
        .size:           4
        .value_kind:     by_value
      - .offset:         24
        .size:           8
        .value_kind:     by_value
      - .address_space:  global
        .offset:         32
        .size:           8
        .value_kind:     global_buffer
      - .offset:         40
        .size:           4
        .value_kind:     by_value
      - .offset:         48
        .size:           8
        .value_kind:     by_value
      - .address_space:  global
        .offset:         56
        .size:           8
        .value_kind:     global_buffer
      - .offset:         64
        .size:           4
        .value_kind:     by_value
      - .offset:         72
        .size:           8
        .value_kind:     by_value
      - .offset:         80
        .size:           4
        .value_kind:     by_value
    .group_segment_fixed_size: 8192
    .kernarg_segment_align: 8
    .kernarg_segment_size: 84
    .language:       OpenCL C
    .language_version:
      - 2
      - 0
    .max_flat_workgroup_size: 256
    .name:           _ZL37rocblas_syrkx_herkx_restricted_kernelIi19rocblas_complex_numIdELi16ELi32ELi8ELi1ELi0ELb0ELc78ELc76EKS1_S1_EviT_PT9_S3_lS5_S3_lPT10_S3_li
    .private_segment_fixed_size: 0
    .sgpr_count:     29
    .sgpr_spill_count: 0
    .symbol:         _ZL37rocblas_syrkx_herkx_restricted_kernelIi19rocblas_complex_numIdELi16ELi32ELi8ELi1ELi0ELb0ELc78ELc76EKS1_S1_EviT_PT9_S3_lS5_S3_lPT10_S3_li.kd
    .uniform_work_group_size: 1
    .uses_dynamic_stack: false
    .vgpr_count:     54
    .vgpr_spill_count: 0
    .wavefront_size: 64
  - .args:
      - .offset:         0
        .size:           4
        .value_kind:     by_value
      - .offset:         4
        .size:           4
        .value_kind:     by_value
      - .address_space:  global
        .offset:         8
        .size:           8
        .value_kind:     global_buffer
      - .offset:         16
        .size:           4
        .value_kind:     by_value
      - .offset:         24
        .size:           8
        .value_kind:     by_value
      - .address_space:  global
        .offset:         32
        .size:           8
        .value_kind:     global_buffer
      - .offset:         40
        .size:           4
        .value_kind:     by_value
      - .offset:         48
        .size:           8
        .value_kind:     by_value
      - .address_space:  global
        .offset:         56
        .size:           8
        .value_kind:     global_buffer
      - .offset:         64
        .size:           4
        .value_kind:     by_value
      - .offset:         72
        .size:           8
        .value_kind:     by_value
      - .offset:         80
        .size:           4
        .value_kind:     by_value
    .group_segment_fixed_size: 8192
    .kernarg_segment_align: 8
    .kernarg_segment_size: 84
    .language:       OpenCL C
    .language_version:
      - 2
      - 0
    .max_flat_workgroup_size: 256
    .name:           _ZL37rocblas_syrkx_herkx_restricted_kernelIi19rocblas_complex_numIdELi16ELi32ELi8ELi1ELi0ELb0ELc84ELc85EKS1_S1_EviT_PT9_S3_lS5_S3_lPT10_S3_li
    .private_segment_fixed_size: 0
    .sgpr_count:     26
    .sgpr_spill_count: 0
    .symbol:         _ZL37rocblas_syrkx_herkx_restricted_kernelIi19rocblas_complex_numIdELi16ELi32ELi8ELi1ELi0ELb0ELc84ELc85EKS1_S1_EviT_PT9_S3_lS5_S3_lPT10_S3_li.kd
    .uniform_work_group_size: 1
    .uses_dynamic_stack: false
    .vgpr_count:     52
    .vgpr_spill_count: 0
    .wavefront_size: 64
  - .args:
      - .offset:         0
        .size:           4
        .value_kind:     by_value
      - .offset:         4
        .size:           4
        .value_kind:     by_value
      - .address_space:  global
        .offset:         8
        .size:           8
        .value_kind:     global_buffer
      - .offset:         16
        .size:           4
        .value_kind:     by_value
      - .offset:         24
        .size:           8
        .value_kind:     by_value
      - .address_space:  global
        .offset:         32
        .size:           8
        .value_kind:     global_buffer
      - .offset:         40
        .size:           4
        .value_kind:     by_value
      - .offset:         48
        .size:           8
        .value_kind:     by_value
      - .address_space:  global
        .offset:         56
        .size:           8
        .value_kind:     global_buffer
      - .offset:         64
        .size:           4
        .value_kind:     by_value
      - .offset:         72
        .size:           8
        .value_kind:     by_value
      - .offset:         80
        .size:           4
        .value_kind:     by_value
    .group_segment_fixed_size: 8192
    .kernarg_segment_align: 8
    .kernarg_segment_size: 84
    .language:       OpenCL C
    .language_version:
      - 2
      - 0
    .max_flat_workgroup_size: 256
    .name:           _ZL37rocblas_syrkx_herkx_restricted_kernelIi19rocblas_complex_numIdELi16ELi32ELi8ELi1ELi0ELb0ELc67ELc85EKS1_S1_EviT_PT9_S3_lS5_S3_lPT10_S3_li
    .private_segment_fixed_size: 0
    .sgpr_count:     26
    .sgpr_spill_count: 0
    .symbol:         _ZL37rocblas_syrkx_herkx_restricted_kernelIi19rocblas_complex_numIdELi16ELi32ELi8ELi1ELi0ELb0ELc67ELc85EKS1_S1_EviT_PT9_S3_lS5_S3_lPT10_S3_li.kd
    .uniform_work_group_size: 1
    .uses_dynamic_stack: false
    .vgpr_count:     52
    .vgpr_spill_count: 0
    .wavefront_size: 64
  - .args:
      - .offset:         0
        .size:           4
        .value_kind:     by_value
      - .offset:         4
        .size:           4
        .value_kind:     by_value
      - .address_space:  global
        .offset:         8
        .size:           8
        .value_kind:     global_buffer
      - .offset:         16
        .size:           4
        .value_kind:     by_value
      - .offset:         24
        .size:           8
        .value_kind:     by_value
      - .address_space:  global
        .offset:         32
        .size:           8
        .value_kind:     global_buffer
      - .offset:         40
        .size:           4
        .value_kind:     by_value
      - .offset:         48
        .size:           8
        .value_kind:     by_value
      - .address_space:  global
        .offset:         56
        .size:           8
        .value_kind:     global_buffer
      - .offset:         64
        .size:           4
        .value_kind:     by_value
      - .offset:         72
        .size:           8
        .value_kind:     by_value
      - .offset:         80
        .size:           4
        .value_kind:     by_value
    .group_segment_fixed_size: 8192
    .kernarg_segment_align: 8
    .kernarg_segment_size: 84
    .language:       OpenCL C
    .language_version:
      - 2
      - 0
    .max_flat_workgroup_size: 256
    .name:           _ZL37rocblas_syrkx_herkx_restricted_kernelIi19rocblas_complex_numIdELi16ELi32ELi8ELi1ELi0ELb0ELc78ELc85EKS1_S1_EviT_PT9_S3_lS5_S3_lPT10_S3_li
    .private_segment_fixed_size: 0
    .sgpr_count:     29
    .sgpr_spill_count: 0
    .symbol:         _ZL37rocblas_syrkx_herkx_restricted_kernelIi19rocblas_complex_numIdELi16ELi32ELi8ELi1ELi0ELb0ELc78ELc85EKS1_S1_EviT_PT9_S3_lS5_S3_lPT10_S3_li.kd
    .uniform_work_group_size: 1
    .uses_dynamic_stack: false
    .vgpr_count:     54
    .vgpr_spill_count: 0
    .wavefront_size: 64
  - .args:
      - .offset:         0
        .size:           4
        .value_kind:     by_value
      - .offset:         4
        .size:           4
        .value_kind:     by_value
      - .address_space:  global
        .offset:         8
        .size:           8
        .value_kind:     global_buffer
      - .offset:         16
        .size:           4
        .value_kind:     by_value
      - .offset:         24
        .size:           8
        .value_kind:     by_value
      - .address_space:  global
        .offset:         32
        .size:           8
        .value_kind:     global_buffer
      - .offset:         40
        .size:           4
        .value_kind:     by_value
      - .offset:         48
        .size:           8
        .value_kind:     by_value
      - .address_space:  global
        .offset:         56
        .size:           8
        .value_kind:     global_buffer
      - .offset:         64
        .size:           4
        .value_kind:     by_value
      - .offset:         72
        .size:           8
        .value_kind:     by_value
      - .offset:         80
        .size:           4
        .value_kind:     by_value
    .group_segment_fixed_size: 8192
    .kernarg_segment_align: 8
    .kernarg_segment_size: 84
    .language:       OpenCL C
    .language_version:
      - 2
      - 0
    .max_flat_workgroup_size: 256
    .name:           _ZL37rocblas_syrkx_herkx_restricted_kernelIi19rocblas_complex_numIdELi16ELi32ELi8ELin1ELi0ELb0ELc84ELc76EKS1_S1_EviT_PT9_S3_lS5_S3_lPT10_S3_li
    .private_segment_fixed_size: 0
    .sgpr_count:     26
    .sgpr_spill_count: 0
    .symbol:         _ZL37rocblas_syrkx_herkx_restricted_kernelIi19rocblas_complex_numIdELi16ELi32ELi8ELin1ELi0ELb0ELc84ELc76EKS1_S1_EviT_PT9_S3_lS5_S3_lPT10_S3_li.kd
    .uniform_work_group_size: 1
    .uses_dynamic_stack: false
    .vgpr_count:     52
    .vgpr_spill_count: 0
    .wavefront_size: 64
  - .args:
      - .offset:         0
        .size:           4
        .value_kind:     by_value
      - .offset:         4
        .size:           4
        .value_kind:     by_value
      - .address_space:  global
        .offset:         8
        .size:           8
        .value_kind:     global_buffer
      - .offset:         16
        .size:           4
        .value_kind:     by_value
      - .offset:         24
        .size:           8
        .value_kind:     by_value
      - .address_space:  global
        .offset:         32
        .size:           8
        .value_kind:     global_buffer
      - .offset:         40
        .size:           4
        .value_kind:     by_value
      - .offset:         48
        .size:           8
        .value_kind:     by_value
      - .address_space:  global
        .offset:         56
        .size:           8
        .value_kind:     global_buffer
      - .offset:         64
        .size:           4
        .value_kind:     by_value
      - .offset:         72
        .size:           8
        .value_kind:     by_value
      - .offset:         80
        .size:           4
        .value_kind:     by_value
    .group_segment_fixed_size: 8192
    .kernarg_segment_align: 8
    .kernarg_segment_size: 84
    .language:       OpenCL C
    .language_version:
      - 2
      - 0
    .max_flat_workgroup_size: 256
    .name:           _ZL37rocblas_syrkx_herkx_restricted_kernelIi19rocblas_complex_numIdELi16ELi32ELi8ELin1ELi0ELb0ELc67ELc76EKS1_S1_EviT_PT9_S3_lS5_S3_lPT10_S3_li
    .private_segment_fixed_size: 0
    .sgpr_count:     26
    .sgpr_spill_count: 0
    .symbol:         _ZL37rocblas_syrkx_herkx_restricted_kernelIi19rocblas_complex_numIdELi16ELi32ELi8ELin1ELi0ELb0ELc67ELc76EKS1_S1_EviT_PT9_S3_lS5_S3_lPT10_S3_li.kd
    .uniform_work_group_size: 1
    .uses_dynamic_stack: false
    .vgpr_count:     52
    .vgpr_spill_count: 0
    .wavefront_size: 64
  - .args:
      - .offset:         0
        .size:           4
        .value_kind:     by_value
      - .offset:         4
        .size:           4
        .value_kind:     by_value
      - .address_space:  global
        .offset:         8
        .size:           8
        .value_kind:     global_buffer
      - .offset:         16
        .size:           4
        .value_kind:     by_value
      - .offset:         24
        .size:           8
        .value_kind:     by_value
      - .address_space:  global
        .offset:         32
        .size:           8
        .value_kind:     global_buffer
      - .offset:         40
        .size:           4
        .value_kind:     by_value
      - .offset:         48
        .size:           8
        .value_kind:     by_value
      - .address_space:  global
        .offset:         56
        .size:           8
        .value_kind:     global_buffer
      - .offset:         64
        .size:           4
        .value_kind:     by_value
      - .offset:         72
        .size:           8
        .value_kind:     by_value
      - .offset:         80
        .size:           4
        .value_kind:     by_value
    .group_segment_fixed_size: 8192
    .kernarg_segment_align: 8
    .kernarg_segment_size: 84
    .language:       OpenCL C
    .language_version:
      - 2
      - 0
    .max_flat_workgroup_size: 256
    .name:           _ZL37rocblas_syrkx_herkx_restricted_kernelIi19rocblas_complex_numIdELi16ELi32ELi8ELin1ELi0ELb0ELc78ELc76EKS1_S1_EviT_PT9_S3_lS5_S3_lPT10_S3_li
    .private_segment_fixed_size: 0
    .sgpr_count:     29
    .sgpr_spill_count: 0
    .symbol:         _ZL37rocblas_syrkx_herkx_restricted_kernelIi19rocblas_complex_numIdELi16ELi32ELi8ELin1ELi0ELb0ELc78ELc76EKS1_S1_EviT_PT9_S3_lS5_S3_lPT10_S3_li.kd
    .uniform_work_group_size: 1
    .uses_dynamic_stack: false
    .vgpr_count:     54
    .vgpr_spill_count: 0
    .wavefront_size: 64
  - .args:
      - .offset:         0
        .size:           4
        .value_kind:     by_value
      - .offset:         4
        .size:           4
        .value_kind:     by_value
      - .address_space:  global
        .offset:         8
        .size:           8
        .value_kind:     global_buffer
      - .offset:         16
        .size:           4
        .value_kind:     by_value
      - .offset:         24
        .size:           8
        .value_kind:     by_value
      - .address_space:  global
        .offset:         32
        .size:           8
        .value_kind:     global_buffer
      - .offset:         40
        .size:           4
        .value_kind:     by_value
      - .offset:         48
        .size:           8
        .value_kind:     by_value
      - .address_space:  global
        .offset:         56
        .size:           8
        .value_kind:     global_buffer
      - .offset:         64
        .size:           4
        .value_kind:     by_value
      - .offset:         72
        .size:           8
        .value_kind:     by_value
      - .offset:         80
        .size:           4
        .value_kind:     by_value
    .group_segment_fixed_size: 8192
    .kernarg_segment_align: 8
    .kernarg_segment_size: 84
    .language:       OpenCL C
    .language_version:
      - 2
      - 0
    .max_flat_workgroup_size: 256
    .name:           _ZL37rocblas_syrkx_herkx_restricted_kernelIi19rocblas_complex_numIdELi16ELi32ELi8ELin1ELi0ELb0ELc84ELc85EKS1_S1_EviT_PT9_S3_lS5_S3_lPT10_S3_li
    .private_segment_fixed_size: 0
    .sgpr_count:     26
    .sgpr_spill_count: 0
    .symbol:         _ZL37rocblas_syrkx_herkx_restricted_kernelIi19rocblas_complex_numIdELi16ELi32ELi8ELin1ELi0ELb0ELc84ELc85EKS1_S1_EviT_PT9_S3_lS5_S3_lPT10_S3_li.kd
    .uniform_work_group_size: 1
    .uses_dynamic_stack: false
    .vgpr_count:     52
    .vgpr_spill_count: 0
    .wavefront_size: 64
  - .args:
      - .offset:         0
        .size:           4
        .value_kind:     by_value
      - .offset:         4
        .size:           4
        .value_kind:     by_value
      - .address_space:  global
        .offset:         8
        .size:           8
        .value_kind:     global_buffer
      - .offset:         16
        .size:           4
        .value_kind:     by_value
      - .offset:         24
        .size:           8
        .value_kind:     by_value
      - .address_space:  global
        .offset:         32
        .size:           8
        .value_kind:     global_buffer
      - .offset:         40
        .size:           4
        .value_kind:     by_value
      - .offset:         48
        .size:           8
        .value_kind:     by_value
      - .address_space:  global
        .offset:         56
        .size:           8
        .value_kind:     global_buffer
      - .offset:         64
        .size:           4
        .value_kind:     by_value
      - .offset:         72
        .size:           8
        .value_kind:     by_value
      - .offset:         80
        .size:           4
        .value_kind:     by_value
    .group_segment_fixed_size: 8192
    .kernarg_segment_align: 8
    .kernarg_segment_size: 84
    .language:       OpenCL C
    .language_version:
      - 2
      - 0
    .max_flat_workgroup_size: 256
    .name:           _ZL37rocblas_syrkx_herkx_restricted_kernelIi19rocblas_complex_numIdELi16ELi32ELi8ELin1ELi0ELb0ELc67ELc85EKS1_S1_EviT_PT9_S3_lS5_S3_lPT10_S3_li
    .private_segment_fixed_size: 0
    .sgpr_count:     26
    .sgpr_spill_count: 0
    .symbol:         _ZL37rocblas_syrkx_herkx_restricted_kernelIi19rocblas_complex_numIdELi16ELi32ELi8ELin1ELi0ELb0ELc67ELc85EKS1_S1_EviT_PT9_S3_lS5_S3_lPT10_S3_li.kd
    .uniform_work_group_size: 1
    .uses_dynamic_stack: false
    .vgpr_count:     52
    .vgpr_spill_count: 0
    .wavefront_size: 64
  - .args:
      - .offset:         0
        .size:           4
        .value_kind:     by_value
      - .offset:         4
        .size:           4
        .value_kind:     by_value
      - .address_space:  global
        .offset:         8
        .size:           8
        .value_kind:     global_buffer
      - .offset:         16
        .size:           4
        .value_kind:     by_value
      - .offset:         24
        .size:           8
        .value_kind:     by_value
      - .address_space:  global
        .offset:         32
        .size:           8
        .value_kind:     global_buffer
      - .offset:         40
        .size:           4
        .value_kind:     by_value
      - .offset:         48
        .size:           8
        .value_kind:     by_value
      - .address_space:  global
        .offset:         56
        .size:           8
        .value_kind:     global_buffer
      - .offset:         64
        .size:           4
        .value_kind:     by_value
      - .offset:         72
        .size:           8
        .value_kind:     by_value
      - .offset:         80
        .size:           4
        .value_kind:     by_value
    .group_segment_fixed_size: 8192
    .kernarg_segment_align: 8
    .kernarg_segment_size: 84
    .language:       OpenCL C
    .language_version:
      - 2
      - 0
    .max_flat_workgroup_size: 256
    .name:           _ZL37rocblas_syrkx_herkx_restricted_kernelIi19rocblas_complex_numIdELi16ELi32ELi8ELin1ELi0ELb0ELc78ELc85EKS1_S1_EviT_PT9_S3_lS5_S3_lPT10_S3_li
    .private_segment_fixed_size: 0
    .sgpr_count:     29
    .sgpr_spill_count: 0
    .symbol:         _ZL37rocblas_syrkx_herkx_restricted_kernelIi19rocblas_complex_numIdELi16ELi32ELi8ELin1ELi0ELb0ELc78ELc85EKS1_S1_EviT_PT9_S3_lS5_S3_lPT10_S3_li.kd
    .uniform_work_group_size: 1
    .uses_dynamic_stack: false
    .vgpr_count:     54
    .vgpr_spill_count: 0
    .wavefront_size: 64
  - .args:
      - .offset:         0
        .size:           4
        .value_kind:     by_value
      - .offset:         4
        .size:           4
        .value_kind:     by_value
      - .offset:         8
        .size:           16
        .value_kind:     by_value
      - .address_space:  global
        .offset:         24
        .size:           8
        .value_kind:     global_buffer
      - .offset:         32
        .size:           4
        .value_kind:     by_value
      - .offset:         40
        .size:           8
        .value_kind:     by_value
      - .address_space:  global
        .offset:         48
        .size:           8
        .value_kind:     global_buffer
      - .offset:         56
        .size:           4
        .value_kind:     by_value
      - .offset:         64
        .size:           8
        .value_kind:     by_value
      - .offset:         72
        .size:           16
        .value_kind:     by_value
      - .address_space:  global
        .offset:         88
        .size:           8
        .value_kind:     global_buffer
      - .offset:         96
        .size:           4
        .value_kind:     by_value
      - .offset:         104
        .size:           8
        .value_kind:     by_value
      - .offset:         112
        .size:           4
        .value_kind:     by_value
    .group_segment_fixed_size: 8192
    .kernarg_segment_align: 8
    .kernarg_segment_size: 116
    .language:       OpenCL C
    .language_version:
      - 2
      - 0
    .max_flat_workgroup_size: 256
    .name:           _ZL37rocblas_syrkx_herkx_restricted_kernelIi19rocblas_complex_numIdELi16ELi32ELi8ELb1ELb0ELc84ELc76EKS1_S1_EviT_T0_PT8_S3_lS6_S3_lS4_PT9_S3_li
    .private_segment_fixed_size: 0
    .sgpr_count:     28
    .sgpr_spill_count: 0
    .symbol:         _ZL37rocblas_syrkx_herkx_restricted_kernelIi19rocblas_complex_numIdELi16ELi32ELi8ELb1ELb0ELc84ELc76EKS1_S1_EviT_T0_PT8_S3_lS6_S3_lS4_PT9_S3_li.kd
    .uniform_work_group_size: 1
    .uses_dynamic_stack: false
    .vgpr_count:     52
    .vgpr_spill_count: 0
    .wavefront_size: 64
  - .args:
      - .offset:         0
        .size:           4
        .value_kind:     by_value
      - .offset:         4
        .size:           4
        .value_kind:     by_value
      - .offset:         8
        .size:           16
        .value_kind:     by_value
      - .address_space:  global
        .offset:         24
        .size:           8
        .value_kind:     global_buffer
      - .offset:         32
        .size:           4
        .value_kind:     by_value
      - .offset:         40
        .size:           8
        .value_kind:     by_value
      - .address_space:  global
        .offset:         48
        .size:           8
        .value_kind:     global_buffer
      - .offset:         56
        .size:           4
        .value_kind:     by_value
      - .offset:         64
        .size:           8
        .value_kind:     by_value
      - .offset:         72
        .size:           16
        .value_kind:     by_value
      - .address_space:  global
        .offset:         88
        .size:           8
        .value_kind:     global_buffer
      - .offset:         96
        .size:           4
        .value_kind:     by_value
      - .offset:         104
        .size:           8
        .value_kind:     by_value
      - .offset:         112
        .size:           4
        .value_kind:     by_value
    .group_segment_fixed_size: 8192
    .kernarg_segment_align: 8
    .kernarg_segment_size: 116
    .language:       OpenCL C
    .language_version:
      - 2
      - 0
    .max_flat_workgroup_size: 256
    .name:           _ZL37rocblas_syrkx_herkx_restricted_kernelIi19rocblas_complex_numIdELi16ELi32ELi8ELb1ELb0ELc67ELc76EKS1_S1_EviT_T0_PT8_S3_lS6_S3_lS4_PT9_S3_li
    .private_segment_fixed_size: 0
    .sgpr_count:     28
    .sgpr_spill_count: 0
    .symbol:         _ZL37rocblas_syrkx_herkx_restricted_kernelIi19rocblas_complex_numIdELi16ELi32ELi8ELb1ELb0ELc67ELc76EKS1_S1_EviT_T0_PT8_S3_lS6_S3_lS4_PT9_S3_li.kd
    .uniform_work_group_size: 1
    .uses_dynamic_stack: false
    .vgpr_count:     52
    .vgpr_spill_count: 0
    .wavefront_size: 64
  - .args:
      - .offset:         0
        .size:           4
        .value_kind:     by_value
      - .offset:         4
        .size:           4
        .value_kind:     by_value
      - .offset:         8
        .size:           16
        .value_kind:     by_value
      - .address_space:  global
        .offset:         24
        .size:           8
        .value_kind:     global_buffer
      - .offset:         32
        .size:           4
        .value_kind:     by_value
      - .offset:         40
        .size:           8
        .value_kind:     by_value
      - .address_space:  global
        .offset:         48
        .size:           8
        .value_kind:     global_buffer
      - .offset:         56
        .size:           4
        .value_kind:     by_value
      - .offset:         64
        .size:           8
        .value_kind:     by_value
      - .offset:         72
        .size:           16
        .value_kind:     by_value
      - .address_space:  global
        .offset:         88
        .size:           8
        .value_kind:     global_buffer
      - .offset:         96
        .size:           4
        .value_kind:     by_value
      - .offset:         104
        .size:           8
        .value_kind:     by_value
      - .offset:         112
        .size:           4
        .value_kind:     by_value
    .group_segment_fixed_size: 8192
    .kernarg_segment_align: 8
    .kernarg_segment_size: 116
    .language:       OpenCL C
    .language_version:
      - 2
      - 0
    .max_flat_workgroup_size: 256
    .name:           _ZL37rocblas_syrkx_herkx_restricted_kernelIi19rocblas_complex_numIdELi16ELi32ELi8ELb1ELb0ELc78ELc76EKS1_S1_EviT_T0_PT8_S3_lS6_S3_lS4_PT9_S3_li
    .private_segment_fixed_size: 0
    .sgpr_count:     31
    .sgpr_spill_count: 0
    .symbol:         _ZL37rocblas_syrkx_herkx_restricted_kernelIi19rocblas_complex_numIdELi16ELi32ELi8ELb1ELb0ELc78ELc76EKS1_S1_EviT_T0_PT8_S3_lS6_S3_lS4_PT9_S3_li.kd
    .uniform_work_group_size: 1
    .uses_dynamic_stack: false
    .vgpr_count:     54
    .vgpr_spill_count: 0
    .wavefront_size: 64
  - .args:
      - .offset:         0
        .size:           4
        .value_kind:     by_value
      - .offset:         4
        .size:           4
        .value_kind:     by_value
      - .offset:         8
        .size:           16
        .value_kind:     by_value
      - .address_space:  global
        .offset:         24
        .size:           8
        .value_kind:     global_buffer
      - .offset:         32
        .size:           4
        .value_kind:     by_value
      - .offset:         40
        .size:           8
        .value_kind:     by_value
      - .address_space:  global
        .offset:         48
        .size:           8
        .value_kind:     global_buffer
      - .offset:         56
        .size:           4
        .value_kind:     by_value
      - .offset:         64
        .size:           8
        .value_kind:     by_value
      - .offset:         72
        .size:           16
        .value_kind:     by_value
      - .address_space:  global
        .offset:         88
        .size:           8
        .value_kind:     global_buffer
      - .offset:         96
        .size:           4
        .value_kind:     by_value
      - .offset:         104
        .size:           8
        .value_kind:     by_value
      - .offset:         112
        .size:           4
        .value_kind:     by_value
    .group_segment_fixed_size: 8192
    .kernarg_segment_align: 8
    .kernarg_segment_size: 116
    .language:       OpenCL C
    .language_version:
      - 2
      - 0
    .max_flat_workgroup_size: 256
    .name:           _ZL37rocblas_syrkx_herkx_restricted_kernelIi19rocblas_complex_numIdELi16ELi32ELi8ELb1ELb0ELc84ELc85EKS1_S1_EviT_T0_PT8_S3_lS6_S3_lS4_PT9_S3_li
    .private_segment_fixed_size: 0
    .sgpr_count:     28
    .sgpr_spill_count: 0
    .symbol:         _ZL37rocblas_syrkx_herkx_restricted_kernelIi19rocblas_complex_numIdELi16ELi32ELi8ELb1ELb0ELc84ELc85EKS1_S1_EviT_T0_PT8_S3_lS6_S3_lS4_PT9_S3_li.kd
    .uniform_work_group_size: 1
    .uses_dynamic_stack: false
    .vgpr_count:     52
    .vgpr_spill_count: 0
    .wavefront_size: 64
  - .args:
      - .offset:         0
        .size:           4
        .value_kind:     by_value
      - .offset:         4
        .size:           4
        .value_kind:     by_value
      - .offset:         8
        .size:           16
        .value_kind:     by_value
      - .address_space:  global
        .offset:         24
        .size:           8
        .value_kind:     global_buffer
      - .offset:         32
        .size:           4
        .value_kind:     by_value
      - .offset:         40
        .size:           8
        .value_kind:     by_value
      - .address_space:  global
        .offset:         48
        .size:           8
        .value_kind:     global_buffer
      - .offset:         56
        .size:           4
        .value_kind:     by_value
      - .offset:         64
        .size:           8
        .value_kind:     by_value
      - .offset:         72
        .size:           16
        .value_kind:     by_value
      - .address_space:  global
        .offset:         88
        .size:           8
        .value_kind:     global_buffer
      - .offset:         96
        .size:           4
        .value_kind:     by_value
      - .offset:         104
        .size:           8
        .value_kind:     by_value
      - .offset:         112
        .size:           4
        .value_kind:     by_value
    .group_segment_fixed_size: 8192
    .kernarg_segment_align: 8
    .kernarg_segment_size: 116
    .language:       OpenCL C
    .language_version:
      - 2
      - 0
    .max_flat_workgroup_size: 256
    .name:           _ZL37rocblas_syrkx_herkx_restricted_kernelIi19rocblas_complex_numIdELi16ELi32ELi8ELb1ELb0ELc67ELc85EKS1_S1_EviT_T0_PT8_S3_lS6_S3_lS4_PT9_S3_li
    .private_segment_fixed_size: 0
    .sgpr_count:     28
    .sgpr_spill_count: 0
    .symbol:         _ZL37rocblas_syrkx_herkx_restricted_kernelIi19rocblas_complex_numIdELi16ELi32ELi8ELb1ELb0ELc67ELc85EKS1_S1_EviT_T0_PT8_S3_lS6_S3_lS4_PT9_S3_li.kd
    .uniform_work_group_size: 1
    .uses_dynamic_stack: false
    .vgpr_count:     52
    .vgpr_spill_count: 0
    .wavefront_size: 64
  - .args:
      - .offset:         0
        .size:           4
        .value_kind:     by_value
      - .offset:         4
        .size:           4
        .value_kind:     by_value
      - .offset:         8
        .size:           16
        .value_kind:     by_value
      - .address_space:  global
        .offset:         24
        .size:           8
        .value_kind:     global_buffer
      - .offset:         32
        .size:           4
        .value_kind:     by_value
      - .offset:         40
        .size:           8
        .value_kind:     by_value
      - .address_space:  global
        .offset:         48
        .size:           8
        .value_kind:     global_buffer
      - .offset:         56
        .size:           4
        .value_kind:     by_value
      - .offset:         64
        .size:           8
        .value_kind:     by_value
      - .offset:         72
        .size:           16
        .value_kind:     by_value
      - .address_space:  global
        .offset:         88
        .size:           8
        .value_kind:     global_buffer
      - .offset:         96
        .size:           4
        .value_kind:     by_value
      - .offset:         104
        .size:           8
        .value_kind:     by_value
      - .offset:         112
        .size:           4
        .value_kind:     by_value
    .group_segment_fixed_size: 8192
    .kernarg_segment_align: 8
    .kernarg_segment_size: 116
    .language:       OpenCL C
    .language_version:
      - 2
      - 0
    .max_flat_workgroup_size: 256
    .name:           _ZL37rocblas_syrkx_herkx_restricted_kernelIi19rocblas_complex_numIdELi16ELi32ELi8ELb1ELb0ELc78ELc85EKS1_S1_EviT_T0_PT8_S3_lS6_S3_lS4_PT9_S3_li
    .private_segment_fixed_size: 0
    .sgpr_count:     31
    .sgpr_spill_count: 0
    .symbol:         _ZL37rocblas_syrkx_herkx_restricted_kernelIi19rocblas_complex_numIdELi16ELi32ELi8ELb1ELb0ELc78ELc85EKS1_S1_EviT_T0_PT8_S3_lS6_S3_lS4_PT9_S3_li.kd
    .uniform_work_group_size: 1
    .uses_dynamic_stack: false
    .vgpr_count:     54
    .vgpr_spill_count: 0
    .wavefront_size: 64
  - .args:
      - .offset:         0
        .size:           4
        .value_kind:     by_value
      - .offset:         4
        .size:           4
        .value_kind:     by_value
      - .offset:         8
        .size:           16
        .value_kind:     by_value
      - .address_space:  global
        .offset:         24
        .size:           8
        .value_kind:     global_buffer
      - .offset:         32
        .size:           4
        .value_kind:     by_value
      - .offset:         40
        .size:           8
        .value_kind:     by_value
      - .address_space:  global
        .offset:         48
        .size:           8
        .value_kind:     global_buffer
      - .offset:         56
        .size:           4
        .value_kind:     by_value
      - .offset:         64
        .size:           8
        .value_kind:     by_value
      - .offset:         72
        .size:           16
        .value_kind:     by_value
      - .address_space:  global
        .offset:         88
        .size:           8
        .value_kind:     global_buffer
      - .offset:         96
        .size:           4
        .value_kind:     by_value
      - .offset:         104
        .size:           8
        .value_kind:     by_value
      - .offset:         112
        .size:           4
        .value_kind:     by_value
    .group_segment_fixed_size: 8192
    .kernarg_segment_align: 8
    .kernarg_segment_size: 116
    .language:       OpenCL C
    .language_version:
      - 2
      - 0
    .max_flat_workgroup_size: 256
    .name:           _ZL37rocblas_syrkx_herkx_restricted_kernelIi19rocblas_complex_numIdELi16ELi32ELi8ELb0ELb0ELc84ELc76EKS1_S1_EviT_T0_PT8_S3_lS6_S3_lS4_PT9_S3_li
    .private_segment_fixed_size: 0
    .sgpr_count:     34
    .sgpr_spill_count: 0
    .symbol:         _ZL37rocblas_syrkx_herkx_restricted_kernelIi19rocblas_complex_numIdELi16ELi32ELi8ELb0ELb0ELc84ELc76EKS1_S1_EviT_T0_PT8_S3_lS6_S3_lS4_PT9_S3_li.kd
    .uniform_work_group_size: 1
    .uses_dynamic_stack: false
    .vgpr_count:     52
    .vgpr_spill_count: 0
    .wavefront_size: 64
  - .args:
      - .offset:         0
        .size:           4
        .value_kind:     by_value
      - .offset:         4
        .size:           4
        .value_kind:     by_value
      - .offset:         8
        .size:           16
        .value_kind:     by_value
      - .address_space:  global
        .offset:         24
        .size:           8
        .value_kind:     global_buffer
      - .offset:         32
        .size:           4
        .value_kind:     by_value
      - .offset:         40
        .size:           8
        .value_kind:     by_value
      - .address_space:  global
        .offset:         48
        .size:           8
        .value_kind:     global_buffer
      - .offset:         56
        .size:           4
        .value_kind:     by_value
      - .offset:         64
        .size:           8
        .value_kind:     by_value
      - .offset:         72
        .size:           16
        .value_kind:     by_value
      - .address_space:  global
        .offset:         88
        .size:           8
        .value_kind:     global_buffer
      - .offset:         96
        .size:           4
        .value_kind:     by_value
      - .offset:         104
        .size:           8
        .value_kind:     by_value
      - .offset:         112
        .size:           4
        .value_kind:     by_value
    .group_segment_fixed_size: 8192
    .kernarg_segment_align: 8
    .kernarg_segment_size: 116
    .language:       OpenCL C
    .language_version:
      - 2
      - 0
    .max_flat_workgroup_size: 256
    .name:           _ZL37rocblas_syrkx_herkx_restricted_kernelIi19rocblas_complex_numIdELi16ELi32ELi8ELb0ELb0ELc67ELc76EKS1_S1_EviT_T0_PT8_S3_lS6_S3_lS4_PT9_S3_li
    .private_segment_fixed_size: 0
    .sgpr_count:     34
    .sgpr_spill_count: 0
    .symbol:         _ZL37rocblas_syrkx_herkx_restricted_kernelIi19rocblas_complex_numIdELi16ELi32ELi8ELb0ELb0ELc67ELc76EKS1_S1_EviT_T0_PT8_S3_lS6_S3_lS4_PT9_S3_li.kd
    .uniform_work_group_size: 1
    .uses_dynamic_stack: false
    .vgpr_count:     52
    .vgpr_spill_count: 0
    .wavefront_size: 64
  - .args:
      - .offset:         0
        .size:           4
        .value_kind:     by_value
      - .offset:         4
        .size:           4
        .value_kind:     by_value
      - .offset:         8
        .size:           16
        .value_kind:     by_value
      - .address_space:  global
        .offset:         24
        .size:           8
        .value_kind:     global_buffer
      - .offset:         32
        .size:           4
        .value_kind:     by_value
      - .offset:         40
        .size:           8
        .value_kind:     by_value
      - .address_space:  global
        .offset:         48
        .size:           8
        .value_kind:     global_buffer
      - .offset:         56
        .size:           4
        .value_kind:     by_value
      - .offset:         64
        .size:           8
        .value_kind:     by_value
      - .offset:         72
        .size:           16
        .value_kind:     by_value
      - .address_space:  global
        .offset:         88
        .size:           8
        .value_kind:     global_buffer
      - .offset:         96
        .size:           4
        .value_kind:     by_value
      - .offset:         104
        .size:           8
        .value_kind:     by_value
      - .offset:         112
        .size:           4
        .value_kind:     by_value
    .group_segment_fixed_size: 8192
    .kernarg_segment_align: 8
    .kernarg_segment_size: 116
    .language:       OpenCL C
    .language_version:
      - 2
      - 0
    .max_flat_workgroup_size: 256
    .name:           _ZL37rocblas_syrkx_herkx_restricted_kernelIi19rocblas_complex_numIdELi16ELi32ELi8ELb0ELb0ELc78ELc76EKS1_S1_EviT_T0_PT8_S3_lS6_S3_lS4_PT9_S3_li
    .private_segment_fixed_size: 0
    .sgpr_count:     38
    .sgpr_spill_count: 0
    .symbol:         _ZL37rocblas_syrkx_herkx_restricted_kernelIi19rocblas_complex_numIdELi16ELi32ELi8ELb0ELb0ELc78ELc76EKS1_S1_EviT_T0_PT8_S3_lS6_S3_lS4_PT9_S3_li.kd
    .uniform_work_group_size: 1
    .uses_dynamic_stack: false
    .vgpr_count:     54
    .vgpr_spill_count: 0
    .wavefront_size: 64
  - .args:
      - .offset:         0
        .size:           4
        .value_kind:     by_value
      - .offset:         4
        .size:           4
        .value_kind:     by_value
      - .offset:         8
        .size:           16
        .value_kind:     by_value
      - .address_space:  global
        .offset:         24
        .size:           8
        .value_kind:     global_buffer
      - .offset:         32
        .size:           4
        .value_kind:     by_value
      - .offset:         40
        .size:           8
        .value_kind:     by_value
      - .address_space:  global
        .offset:         48
        .size:           8
        .value_kind:     global_buffer
      - .offset:         56
        .size:           4
        .value_kind:     by_value
      - .offset:         64
        .size:           8
        .value_kind:     by_value
      - .offset:         72
        .size:           16
        .value_kind:     by_value
      - .address_space:  global
        .offset:         88
        .size:           8
        .value_kind:     global_buffer
      - .offset:         96
        .size:           4
        .value_kind:     by_value
      - .offset:         104
        .size:           8
        .value_kind:     by_value
      - .offset:         112
        .size:           4
        .value_kind:     by_value
    .group_segment_fixed_size: 8192
    .kernarg_segment_align: 8
    .kernarg_segment_size: 116
    .language:       OpenCL C
    .language_version:
      - 2
      - 0
    .max_flat_workgroup_size: 256
    .name:           _ZL37rocblas_syrkx_herkx_restricted_kernelIi19rocblas_complex_numIdELi16ELi32ELi8ELb0ELb0ELc84ELc85EKS1_S1_EviT_T0_PT8_S3_lS6_S3_lS4_PT9_S3_li
    .private_segment_fixed_size: 0
    .sgpr_count:     34
    .sgpr_spill_count: 0
    .symbol:         _ZL37rocblas_syrkx_herkx_restricted_kernelIi19rocblas_complex_numIdELi16ELi32ELi8ELb0ELb0ELc84ELc85EKS1_S1_EviT_T0_PT8_S3_lS6_S3_lS4_PT9_S3_li.kd
    .uniform_work_group_size: 1
    .uses_dynamic_stack: false
    .vgpr_count:     52
    .vgpr_spill_count: 0
    .wavefront_size: 64
  - .args:
      - .offset:         0
        .size:           4
        .value_kind:     by_value
      - .offset:         4
        .size:           4
        .value_kind:     by_value
      - .offset:         8
        .size:           16
        .value_kind:     by_value
      - .address_space:  global
        .offset:         24
        .size:           8
        .value_kind:     global_buffer
      - .offset:         32
        .size:           4
        .value_kind:     by_value
      - .offset:         40
        .size:           8
        .value_kind:     by_value
      - .address_space:  global
        .offset:         48
        .size:           8
        .value_kind:     global_buffer
      - .offset:         56
        .size:           4
        .value_kind:     by_value
      - .offset:         64
        .size:           8
        .value_kind:     by_value
      - .offset:         72
        .size:           16
        .value_kind:     by_value
      - .address_space:  global
        .offset:         88
        .size:           8
        .value_kind:     global_buffer
      - .offset:         96
        .size:           4
        .value_kind:     by_value
      - .offset:         104
        .size:           8
        .value_kind:     by_value
      - .offset:         112
        .size:           4
        .value_kind:     by_value
    .group_segment_fixed_size: 8192
    .kernarg_segment_align: 8
    .kernarg_segment_size: 116
    .language:       OpenCL C
    .language_version:
      - 2
      - 0
    .max_flat_workgroup_size: 256
    .name:           _ZL37rocblas_syrkx_herkx_restricted_kernelIi19rocblas_complex_numIdELi16ELi32ELi8ELb0ELb0ELc67ELc85EKS1_S1_EviT_T0_PT8_S3_lS6_S3_lS4_PT9_S3_li
    .private_segment_fixed_size: 0
    .sgpr_count:     34
    .sgpr_spill_count: 0
    .symbol:         _ZL37rocblas_syrkx_herkx_restricted_kernelIi19rocblas_complex_numIdELi16ELi32ELi8ELb0ELb0ELc67ELc85EKS1_S1_EviT_T0_PT8_S3_lS6_S3_lS4_PT9_S3_li.kd
    .uniform_work_group_size: 1
    .uses_dynamic_stack: false
    .vgpr_count:     52
    .vgpr_spill_count: 0
    .wavefront_size: 64
  - .args:
      - .offset:         0
        .size:           4
        .value_kind:     by_value
      - .offset:         4
        .size:           4
        .value_kind:     by_value
      - .offset:         8
        .size:           16
        .value_kind:     by_value
      - .address_space:  global
        .offset:         24
        .size:           8
        .value_kind:     global_buffer
      - .offset:         32
        .size:           4
        .value_kind:     by_value
      - .offset:         40
        .size:           8
        .value_kind:     by_value
      - .address_space:  global
        .offset:         48
        .size:           8
        .value_kind:     global_buffer
      - .offset:         56
        .size:           4
        .value_kind:     by_value
      - .offset:         64
        .size:           8
        .value_kind:     by_value
      - .offset:         72
        .size:           16
        .value_kind:     by_value
      - .address_space:  global
        .offset:         88
        .size:           8
        .value_kind:     global_buffer
      - .offset:         96
        .size:           4
        .value_kind:     by_value
      - .offset:         104
        .size:           8
        .value_kind:     by_value
      - .offset:         112
        .size:           4
        .value_kind:     by_value
    .group_segment_fixed_size: 8192
    .kernarg_segment_align: 8
    .kernarg_segment_size: 116
    .language:       OpenCL C
    .language_version:
      - 2
      - 0
    .max_flat_workgroup_size: 256
    .name:           _ZL37rocblas_syrkx_herkx_restricted_kernelIi19rocblas_complex_numIdELi16ELi32ELi8ELb0ELb0ELc78ELc85EKS1_S1_EviT_T0_PT8_S3_lS6_S3_lS4_PT9_S3_li
    .private_segment_fixed_size: 0
    .sgpr_count:     38
    .sgpr_spill_count: 0
    .symbol:         _ZL37rocblas_syrkx_herkx_restricted_kernelIi19rocblas_complex_numIdELi16ELi32ELi8ELb0ELb0ELc78ELc85EKS1_S1_EviT_T0_PT8_S3_lS6_S3_lS4_PT9_S3_li.kd
    .uniform_work_group_size: 1
    .uses_dynamic_stack: false
    .vgpr_count:     54
    .vgpr_spill_count: 0
    .wavefront_size: 64
  - .args:
      - .offset:         0
        .size:           4
        .value_kind:     by_value
      - .offset:         4
        .size:           4
        .value_kind:     by_value
      - .offset:         8
        .size:           16
        .value_kind:     by_value
      - .address_space:  global
        .offset:         24
        .size:           8
        .value_kind:     global_buffer
      - .offset:         32
        .size:           4
        .value_kind:     by_value
      - .offset:         40
        .size:           8
        .value_kind:     by_value
      - .address_space:  global
        .offset:         48
        .size:           8
        .value_kind:     global_buffer
      - .offset:         56
        .size:           4
        .value_kind:     by_value
      - .offset:         64
        .size:           8
        .value_kind:     by_value
      - .offset:         72
        .size:           16
        .value_kind:     by_value
      - .address_space:  global
        .offset:         88
        .size:           8
        .value_kind:     global_buffer
      - .offset:         96
        .size:           4
        .value_kind:     by_value
      - .offset:         104
        .size:           8
        .value_kind:     by_value
      - .offset:         112
        .size:           4
        .value_kind:     by_value
    .group_segment_fixed_size: 8192
    .kernarg_segment_align: 8
    .kernarg_segment_size: 116
    .language:       OpenCL C
    .language_version:
      - 2
      - 0
    .max_flat_workgroup_size: 256
    .name:           _ZL41rocblas_syrkx_herkx_small_restrict_kernelIi19rocblas_complex_numIdELi16ELb1ELb0ELc84ELc76EKS1_S1_EviT_T0_PT6_S3_lS6_S3_lS4_PT7_S3_li
    .private_segment_fixed_size: 0
    .sgpr_count:     24
    .sgpr_spill_count: 0
    .symbol:         _ZL41rocblas_syrkx_herkx_small_restrict_kernelIi19rocblas_complex_numIdELi16ELb1ELb0ELc84ELc76EKS1_S1_EviT_T0_PT6_S3_lS6_S3_lS4_PT7_S3_li.kd
    .uniform_work_group_size: 1
    .uses_dynamic_stack: false
    .vgpr_count:     36
    .vgpr_spill_count: 0
    .wavefront_size: 64
  - .args:
      - .offset:         0
        .size:           4
        .value_kind:     by_value
      - .offset:         4
        .size:           4
        .value_kind:     by_value
      - .offset:         8
        .size:           16
        .value_kind:     by_value
      - .address_space:  global
        .offset:         24
        .size:           8
        .value_kind:     global_buffer
      - .offset:         32
        .size:           4
        .value_kind:     by_value
      - .offset:         40
        .size:           8
        .value_kind:     by_value
      - .address_space:  global
        .offset:         48
        .size:           8
        .value_kind:     global_buffer
      - .offset:         56
        .size:           4
        .value_kind:     by_value
      - .offset:         64
        .size:           8
        .value_kind:     by_value
      - .offset:         72
        .size:           16
        .value_kind:     by_value
      - .address_space:  global
        .offset:         88
        .size:           8
        .value_kind:     global_buffer
      - .offset:         96
        .size:           4
        .value_kind:     by_value
      - .offset:         104
        .size:           8
        .value_kind:     by_value
      - .offset:         112
        .size:           4
        .value_kind:     by_value
    .group_segment_fixed_size: 8192
    .kernarg_segment_align: 8
    .kernarg_segment_size: 116
    .language:       OpenCL C
    .language_version:
      - 2
      - 0
    .max_flat_workgroup_size: 256
    .name:           _ZL41rocblas_syrkx_herkx_small_restrict_kernelIi19rocblas_complex_numIdELi16ELb1ELb0ELc67ELc76EKS1_S1_EviT_T0_PT6_S3_lS6_S3_lS4_PT7_S3_li
    .private_segment_fixed_size: 0
    .sgpr_count:     24
    .sgpr_spill_count: 0
    .symbol:         _ZL41rocblas_syrkx_herkx_small_restrict_kernelIi19rocblas_complex_numIdELi16ELb1ELb0ELc67ELc76EKS1_S1_EviT_T0_PT6_S3_lS6_S3_lS4_PT7_S3_li.kd
    .uniform_work_group_size: 1
    .uses_dynamic_stack: false
    .vgpr_count:     36
    .vgpr_spill_count: 0
    .wavefront_size: 64
  - .args:
      - .offset:         0
        .size:           4
        .value_kind:     by_value
      - .offset:         4
        .size:           4
        .value_kind:     by_value
      - .offset:         8
        .size:           16
        .value_kind:     by_value
      - .address_space:  global
        .offset:         24
        .size:           8
        .value_kind:     global_buffer
      - .offset:         32
        .size:           4
        .value_kind:     by_value
      - .offset:         40
        .size:           8
        .value_kind:     by_value
      - .address_space:  global
        .offset:         48
        .size:           8
        .value_kind:     global_buffer
      - .offset:         56
        .size:           4
        .value_kind:     by_value
      - .offset:         64
        .size:           8
        .value_kind:     by_value
      - .offset:         72
        .size:           16
        .value_kind:     by_value
      - .address_space:  global
        .offset:         88
        .size:           8
        .value_kind:     global_buffer
      - .offset:         96
        .size:           4
        .value_kind:     by_value
      - .offset:         104
        .size:           8
        .value_kind:     by_value
      - .offset:         112
        .size:           4
        .value_kind:     by_value
    .group_segment_fixed_size: 8192
    .kernarg_segment_align: 8
    .kernarg_segment_size: 116
    .language:       OpenCL C
    .language_version:
      - 2
      - 0
    .max_flat_workgroup_size: 256
    .name:           _ZL41rocblas_syrkx_herkx_small_restrict_kernelIi19rocblas_complex_numIdELi16ELb1ELb0ELc78ELc76EKS1_S1_EviT_T0_PT6_S3_lS6_S3_lS4_PT7_S3_li
    .private_segment_fixed_size: 0
    .sgpr_count:     28
    .sgpr_spill_count: 0
    .symbol:         _ZL41rocblas_syrkx_herkx_small_restrict_kernelIi19rocblas_complex_numIdELi16ELb1ELb0ELc78ELc76EKS1_S1_EviT_T0_PT6_S3_lS6_S3_lS4_PT7_S3_li.kd
    .uniform_work_group_size: 1
    .uses_dynamic_stack: false
    .vgpr_count:     38
    .vgpr_spill_count: 0
    .wavefront_size: 64
  - .args:
      - .offset:         0
        .size:           4
        .value_kind:     by_value
      - .offset:         4
        .size:           4
        .value_kind:     by_value
      - .offset:         8
        .size:           16
        .value_kind:     by_value
      - .address_space:  global
        .offset:         24
        .size:           8
        .value_kind:     global_buffer
      - .offset:         32
        .size:           4
        .value_kind:     by_value
      - .offset:         40
        .size:           8
        .value_kind:     by_value
      - .address_space:  global
        .offset:         48
        .size:           8
        .value_kind:     global_buffer
      - .offset:         56
        .size:           4
        .value_kind:     by_value
      - .offset:         64
        .size:           8
        .value_kind:     by_value
      - .offset:         72
        .size:           16
        .value_kind:     by_value
      - .address_space:  global
        .offset:         88
        .size:           8
        .value_kind:     global_buffer
      - .offset:         96
        .size:           4
        .value_kind:     by_value
      - .offset:         104
        .size:           8
        .value_kind:     by_value
      - .offset:         112
        .size:           4
        .value_kind:     by_value
    .group_segment_fixed_size: 8192
    .kernarg_segment_align: 8
    .kernarg_segment_size: 116
    .language:       OpenCL C
    .language_version:
      - 2
      - 0
    .max_flat_workgroup_size: 256
    .name:           _ZL41rocblas_syrkx_herkx_small_restrict_kernelIi19rocblas_complex_numIdELi16ELb1ELb0ELc84ELc85EKS1_S1_EviT_T0_PT6_S3_lS6_S3_lS4_PT7_S3_li
    .private_segment_fixed_size: 0
    .sgpr_count:     24
    .sgpr_spill_count: 0
    .symbol:         _ZL41rocblas_syrkx_herkx_small_restrict_kernelIi19rocblas_complex_numIdELi16ELb1ELb0ELc84ELc85EKS1_S1_EviT_T0_PT6_S3_lS6_S3_lS4_PT7_S3_li.kd
    .uniform_work_group_size: 1
    .uses_dynamic_stack: false
    .vgpr_count:     36
    .vgpr_spill_count: 0
    .wavefront_size: 64
  - .args:
      - .offset:         0
        .size:           4
        .value_kind:     by_value
      - .offset:         4
        .size:           4
        .value_kind:     by_value
      - .offset:         8
        .size:           16
        .value_kind:     by_value
      - .address_space:  global
        .offset:         24
        .size:           8
        .value_kind:     global_buffer
      - .offset:         32
        .size:           4
        .value_kind:     by_value
      - .offset:         40
        .size:           8
        .value_kind:     by_value
      - .address_space:  global
        .offset:         48
        .size:           8
        .value_kind:     global_buffer
      - .offset:         56
        .size:           4
        .value_kind:     by_value
      - .offset:         64
        .size:           8
        .value_kind:     by_value
      - .offset:         72
        .size:           16
        .value_kind:     by_value
      - .address_space:  global
        .offset:         88
        .size:           8
        .value_kind:     global_buffer
      - .offset:         96
        .size:           4
        .value_kind:     by_value
      - .offset:         104
        .size:           8
        .value_kind:     by_value
      - .offset:         112
        .size:           4
        .value_kind:     by_value
    .group_segment_fixed_size: 8192
    .kernarg_segment_align: 8
    .kernarg_segment_size: 116
    .language:       OpenCL C
    .language_version:
      - 2
      - 0
    .max_flat_workgroup_size: 256
    .name:           _ZL41rocblas_syrkx_herkx_small_restrict_kernelIi19rocblas_complex_numIdELi16ELb1ELb0ELc67ELc85EKS1_S1_EviT_T0_PT6_S3_lS6_S3_lS4_PT7_S3_li
    .private_segment_fixed_size: 0
    .sgpr_count:     24
    .sgpr_spill_count: 0
    .symbol:         _ZL41rocblas_syrkx_herkx_small_restrict_kernelIi19rocblas_complex_numIdELi16ELb1ELb0ELc67ELc85EKS1_S1_EviT_T0_PT6_S3_lS6_S3_lS4_PT7_S3_li.kd
    .uniform_work_group_size: 1
    .uses_dynamic_stack: false
    .vgpr_count:     36
    .vgpr_spill_count: 0
    .wavefront_size: 64
  - .args:
      - .offset:         0
        .size:           4
        .value_kind:     by_value
      - .offset:         4
        .size:           4
        .value_kind:     by_value
      - .offset:         8
        .size:           16
        .value_kind:     by_value
      - .address_space:  global
        .offset:         24
        .size:           8
        .value_kind:     global_buffer
      - .offset:         32
        .size:           4
        .value_kind:     by_value
      - .offset:         40
        .size:           8
        .value_kind:     by_value
      - .address_space:  global
        .offset:         48
        .size:           8
        .value_kind:     global_buffer
      - .offset:         56
        .size:           4
        .value_kind:     by_value
      - .offset:         64
        .size:           8
        .value_kind:     by_value
      - .offset:         72
        .size:           16
        .value_kind:     by_value
      - .address_space:  global
        .offset:         88
        .size:           8
        .value_kind:     global_buffer
      - .offset:         96
        .size:           4
        .value_kind:     by_value
      - .offset:         104
        .size:           8
        .value_kind:     by_value
      - .offset:         112
        .size:           4
        .value_kind:     by_value
    .group_segment_fixed_size: 8192
    .kernarg_segment_align: 8
    .kernarg_segment_size: 116
    .language:       OpenCL C
    .language_version:
      - 2
      - 0
    .max_flat_workgroup_size: 256
    .name:           _ZL41rocblas_syrkx_herkx_small_restrict_kernelIi19rocblas_complex_numIdELi16ELb1ELb0ELc78ELc85EKS1_S1_EviT_T0_PT6_S3_lS6_S3_lS4_PT7_S3_li
    .private_segment_fixed_size: 0
    .sgpr_count:     28
    .sgpr_spill_count: 0
    .symbol:         _ZL41rocblas_syrkx_herkx_small_restrict_kernelIi19rocblas_complex_numIdELi16ELb1ELb0ELc78ELc85EKS1_S1_EviT_T0_PT6_S3_lS6_S3_lS4_PT7_S3_li.kd
    .uniform_work_group_size: 1
    .uses_dynamic_stack: false
    .vgpr_count:     38
    .vgpr_spill_count: 0
    .wavefront_size: 64
  - .args:
      - .offset:         0
        .size:           4
        .value_kind:     by_value
      - .offset:         4
        .size:           4
        .value_kind:     by_value
      - .offset:         8
        .size:           16
        .value_kind:     by_value
      - .address_space:  global
        .offset:         24
        .size:           8
        .value_kind:     global_buffer
      - .offset:         32
        .size:           4
        .value_kind:     by_value
      - .offset:         40
        .size:           8
        .value_kind:     by_value
      - .address_space:  global
        .offset:         48
        .size:           8
        .value_kind:     global_buffer
      - .offset:         56
        .size:           4
        .value_kind:     by_value
      - .offset:         64
        .size:           8
        .value_kind:     by_value
      - .offset:         72
        .size:           16
        .value_kind:     by_value
      - .address_space:  global
        .offset:         88
        .size:           8
        .value_kind:     global_buffer
      - .offset:         96
        .size:           4
        .value_kind:     by_value
      - .offset:         104
        .size:           8
        .value_kind:     by_value
      - .offset:         112
        .size:           4
        .value_kind:     by_value
    .group_segment_fixed_size: 8192
    .kernarg_segment_align: 8
    .kernarg_segment_size: 116
    .language:       OpenCL C
    .language_version:
      - 2
      - 0
    .max_flat_workgroup_size: 256
    .name:           _ZL41rocblas_syrkx_herkx_small_restrict_kernelIi19rocblas_complex_numIdELi16ELb0ELb0ELc84ELc76EKS1_S1_EviT_T0_PT6_S3_lS6_S3_lS4_PT7_S3_li
    .private_segment_fixed_size: 0
    .sgpr_count:     32
    .sgpr_spill_count: 0
    .symbol:         _ZL41rocblas_syrkx_herkx_small_restrict_kernelIi19rocblas_complex_numIdELi16ELb0ELb0ELc84ELc76EKS1_S1_EviT_T0_PT6_S3_lS6_S3_lS4_PT7_S3_li.kd
    .uniform_work_group_size: 1
    .uses_dynamic_stack: false
    .vgpr_count:     36
    .vgpr_spill_count: 0
    .wavefront_size: 64
  - .args:
      - .offset:         0
        .size:           4
        .value_kind:     by_value
      - .offset:         4
        .size:           4
        .value_kind:     by_value
      - .offset:         8
        .size:           16
        .value_kind:     by_value
      - .address_space:  global
        .offset:         24
        .size:           8
        .value_kind:     global_buffer
      - .offset:         32
        .size:           4
        .value_kind:     by_value
      - .offset:         40
        .size:           8
        .value_kind:     by_value
      - .address_space:  global
        .offset:         48
        .size:           8
        .value_kind:     global_buffer
      - .offset:         56
        .size:           4
        .value_kind:     by_value
      - .offset:         64
        .size:           8
        .value_kind:     by_value
      - .offset:         72
        .size:           16
        .value_kind:     by_value
      - .address_space:  global
        .offset:         88
        .size:           8
        .value_kind:     global_buffer
      - .offset:         96
        .size:           4
        .value_kind:     by_value
      - .offset:         104
        .size:           8
        .value_kind:     by_value
      - .offset:         112
        .size:           4
        .value_kind:     by_value
    .group_segment_fixed_size: 8192
    .kernarg_segment_align: 8
    .kernarg_segment_size: 116
    .language:       OpenCL C
    .language_version:
      - 2
      - 0
    .max_flat_workgroup_size: 256
    .name:           _ZL41rocblas_syrkx_herkx_small_restrict_kernelIi19rocblas_complex_numIdELi16ELb0ELb0ELc67ELc76EKS1_S1_EviT_T0_PT6_S3_lS6_S3_lS4_PT7_S3_li
    .private_segment_fixed_size: 0
    .sgpr_count:     32
    .sgpr_spill_count: 0
    .symbol:         _ZL41rocblas_syrkx_herkx_small_restrict_kernelIi19rocblas_complex_numIdELi16ELb0ELb0ELc67ELc76EKS1_S1_EviT_T0_PT6_S3_lS6_S3_lS4_PT7_S3_li.kd
    .uniform_work_group_size: 1
    .uses_dynamic_stack: false
    .vgpr_count:     36
    .vgpr_spill_count: 0
    .wavefront_size: 64
  - .args:
      - .offset:         0
        .size:           4
        .value_kind:     by_value
      - .offset:         4
        .size:           4
        .value_kind:     by_value
      - .offset:         8
        .size:           16
        .value_kind:     by_value
      - .address_space:  global
        .offset:         24
        .size:           8
        .value_kind:     global_buffer
      - .offset:         32
        .size:           4
        .value_kind:     by_value
      - .offset:         40
        .size:           8
        .value_kind:     by_value
      - .address_space:  global
        .offset:         48
        .size:           8
        .value_kind:     global_buffer
      - .offset:         56
        .size:           4
        .value_kind:     by_value
      - .offset:         64
        .size:           8
        .value_kind:     by_value
      - .offset:         72
        .size:           16
        .value_kind:     by_value
      - .address_space:  global
        .offset:         88
        .size:           8
        .value_kind:     global_buffer
      - .offset:         96
        .size:           4
        .value_kind:     by_value
      - .offset:         104
        .size:           8
        .value_kind:     by_value
      - .offset:         112
        .size:           4
        .value_kind:     by_value
    .group_segment_fixed_size: 8192
    .kernarg_segment_align: 8
    .kernarg_segment_size: 116
    .language:       OpenCL C
    .language_version:
      - 2
      - 0
    .max_flat_workgroup_size: 256
    .name:           _ZL41rocblas_syrkx_herkx_small_restrict_kernelIi19rocblas_complex_numIdELi16ELb0ELb0ELc78ELc76EKS1_S1_EviT_T0_PT6_S3_lS6_S3_lS4_PT7_S3_li
    .private_segment_fixed_size: 0
    .sgpr_count:     34
    .sgpr_spill_count: 0
    .symbol:         _ZL41rocblas_syrkx_herkx_small_restrict_kernelIi19rocblas_complex_numIdELi16ELb0ELb0ELc78ELc76EKS1_S1_EviT_T0_PT6_S3_lS6_S3_lS4_PT7_S3_li.kd
    .uniform_work_group_size: 1
    .uses_dynamic_stack: false
    .vgpr_count:     38
    .vgpr_spill_count: 0
    .wavefront_size: 64
  - .args:
      - .offset:         0
        .size:           4
        .value_kind:     by_value
      - .offset:         4
        .size:           4
        .value_kind:     by_value
      - .offset:         8
        .size:           16
        .value_kind:     by_value
      - .address_space:  global
        .offset:         24
        .size:           8
        .value_kind:     global_buffer
      - .offset:         32
        .size:           4
        .value_kind:     by_value
      - .offset:         40
        .size:           8
        .value_kind:     by_value
      - .address_space:  global
        .offset:         48
        .size:           8
        .value_kind:     global_buffer
      - .offset:         56
        .size:           4
        .value_kind:     by_value
      - .offset:         64
        .size:           8
        .value_kind:     by_value
      - .offset:         72
        .size:           16
        .value_kind:     by_value
      - .address_space:  global
        .offset:         88
        .size:           8
        .value_kind:     global_buffer
      - .offset:         96
        .size:           4
        .value_kind:     by_value
      - .offset:         104
        .size:           8
        .value_kind:     by_value
      - .offset:         112
        .size:           4
        .value_kind:     by_value
    .group_segment_fixed_size: 8192
    .kernarg_segment_align: 8
    .kernarg_segment_size: 116
    .language:       OpenCL C
    .language_version:
      - 2
      - 0
    .max_flat_workgroup_size: 256
    .name:           _ZL41rocblas_syrkx_herkx_small_restrict_kernelIi19rocblas_complex_numIdELi16ELb0ELb0ELc84ELc85EKS1_S1_EviT_T0_PT6_S3_lS6_S3_lS4_PT7_S3_li
    .private_segment_fixed_size: 0
    .sgpr_count:     32
    .sgpr_spill_count: 0
    .symbol:         _ZL41rocblas_syrkx_herkx_small_restrict_kernelIi19rocblas_complex_numIdELi16ELb0ELb0ELc84ELc85EKS1_S1_EviT_T0_PT6_S3_lS6_S3_lS4_PT7_S3_li.kd
    .uniform_work_group_size: 1
    .uses_dynamic_stack: false
    .vgpr_count:     36
    .vgpr_spill_count: 0
    .wavefront_size: 64
  - .args:
      - .offset:         0
        .size:           4
        .value_kind:     by_value
      - .offset:         4
        .size:           4
        .value_kind:     by_value
      - .offset:         8
        .size:           16
        .value_kind:     by_value
      - .address_space:  global
        .offset:         24
        .size:           8
        .value_kind:     global_buffer
      - .offset:         32
        .size:           4
        .value_kind:     by_value
      - .offset:         40
        .size:           8
        .value_kind:     by_value
      - .address_space:  global
        .offset:         48
        .size:           8
        .value_kind:     global_buffer
      - .offset:         56
        .size:           4
        .value_kind:     by_value
      - .offset:         64
        .size:           8
        .value_kind:     by_value
      - .offset:         72
        .size:           16
        .value_kind:     by_value
      - .address_space:  global
        .offset:         88
        .size:           8
        .value_kind:     global_buffer
      - .offset:         96
        .size:           4
        .value_kind:     by_value
      - .offset:         104
        .size:           8
        .value_kind:     by_value
      - .offset:         112
        .size:           4
        .value_kind:     by_value
    .group_segment_fixed_size: 8192
    .kernarg_segment_align: 8
    .kernarg_segment_size: 116
    .language:       OpenCL C
    .language_version:
      - 2
      - 0
    .max_flat_workgroup_size: 256
    .name:           _ZL41rocblas_syrkx_herkx_small_restrict_kernelIi19rocblas_complex_numIdELi16ELb0ELb0ELc67ELc85EKS1_S1_EviT_T0_PT6_S3_lS6_S3_lS4_PT7_S3_li
    .private_segment_fixed_size: 0
    .sgpr_count:     32
    .sgpr_spill_count: 0
    .symbol:         _ZL41rocblas_syrkx_herkx_small_restrict_kernelIi19rocblas_complex_numIdELi16ELb0ELb0ELc67ELc85EKS1_S1_EviT_T0_PT6_S3_lS6_S3_lS4_PT7_S3_li.kd
    .uniform_work_group_size: 1
    .uses_dynamic_stack: false
    .vgpr_count:     36
    .vgpr_spill_count: 0
    .wavefront_size: 64
  - .args:
      - .offset:         0
        .size:           4
        .value_kind:     by_value
      - .offset:         4
        .size:           4
        .value_kind:     by_value
      - .offset:         8
        .size:           16
        .value_kind:     by_value
      - .address_space:  global
        .offset:         24
        .size:           8
        .value_kind:     global_buffer
      - .offset:         32
        .size:           4
        .value_kind:     by_value
      - .offset:         40
        .size:           8
        .value_kind:     by_value
      - .address_space:  global
        .offset:         48
        .size:           8
        .value_kind:     global_buffer
      - .offset:         56
        .size:           4
        .value_kind:     by_value
      - .offset:         64
        .size:           8
        .value_kind:     by_value
      - .offset:         72
        .size:           16
        .value_kind:     by_value
      - .address_space:  global
        .offset:         88
        .size:           8
        .value_kind:     global_buffer
      - .offset:         96
        .size:           4
        .value_kind:     by_value
      - .offset:         104
        .size:           8
        .value_kind:     by_value
      - .offset:         112
        .size:           4
        .value_kind:     by_value
    .group_segment_fixed_size: 8192
    .kernarg_segment_align: 8
    .kernarg_segment_size: 116
    .language:       OpenCL C
    .language_version:
      - 2
      - 0
    .max_flat_workgroup_size: 256
    .name:           _ZL41rocblas_syrkx_herkx_small_restrict_kernelIi19rocblas_complex_numIdELi16ELb0ELb0ELc78ELc85EKS1_S1_EviT_T0_PT6_S3_lS6_S3_lS4_PT7_S3_li
    .private_segment_fixed_size: 0
    .sgpr_count:     34
    .sgpr_spill_count: 0
    .symbol:         _ZL41rocblas_syrkx_herkx_small_restrict_kernelIi19rocblas_complex_numIdELi16ELb0ELb0ELc78ELc85EKS1_S1_EviT_T0_PT6_S3_lS6_S3_lS4_PT7_S3_li.kd
    .uniform_work_group_size: 1
    .uses_dynamic_stack: false
    .vgpr_count:     38
    .vgpr_spill_count: 0
    .wavefront_size: 64
  - .args:
      - .offset:         0
        .size:           4
        .value_kind:     by_value
      - .offset:         4
        .size:           4
        .value_kind:     by_value
      - .offset:         8
        .size:           16
        .value_kind:     by_value
      - .address_space:  global
        .offset:         24
        .size:           8
        .value_kind:     global_buffer
      - .offset:         32
        .size:           4
        .value_kind:     by_value
      - .offset:         40
        .size:           8
        .value_kind:     by_value
      - .address_space:  global
        .offset:         48
        .size:           8
        .value_kind:     global_buffer
      - .offset:         56
        .size:           4
        .value_kind:     by_value
      - .offset:         64
        .size:           8
        .value_kind:     by_value
      - .offset:         72
        .size:           16
        .value_kind:     by_value
      - .address_space:  global
        .offset:         88
        .size:           8
        .value_kind:     global_buffer
      - .offset:         96
        .size:           4
        .value_kind:     by_value
      - .offset:         104
        .size:           8
        .value_kind:     by_value
      - .offset:         112
        .size:           4
        .value_kind:     by_value
    .group_segment_fixed_size: 8192
    .kernarg_segment_align: 8
    .kernarg_segment_size: 116
    .language:       OpenCL C
    .language_version:
      - 2
      - 0
    .max_flat_workgroup_size: 256
    .name:           _ZL32rocblas_syrkx_herkx_small_kernelIi19rocblas_complex_numIdELi16ELb1ELb0ELc84ELc76EKS1_S1_EviT_T0_PT6_S3_lS6_S3_lS4_PT7_S3_li
    .private_segment_fixed_size: 0
    .sgpr_count:     28
    .sgpr_spill_count: 0
    .symbol:         _ZL32rocblas_syrkx_herkx_small_kernelIi19rocblas_complex_numIdELi16ELb1ELb0ELc84ELc76EKS1_S1_EviT_T0_PT6_S3_lS6_S3_lS4_PT7_S3_li.kd
    .uniform_work_group_size: 1
    .uses_dynamic_stack: false
    .vgpr_count:     40
    .vgpr_spill_count: 0
    .wavefront_size: 64
  - .args:
      - .offset:         0
        .size:           4
        .value_kind:     by_value
      - .offset:         4
        .size:           4
        .value_kind:     by_value
      - .offset:         8
        .size:           16
        .value_kind:     by_value
      - .address_space:  global
        .offset:         24
        .size:           8
        .value_kind:     global_buffer
      - .offset:         32
        .size:           4
        .value_kind:     by_value
      - .offset:         40
        .size:           8
        .value_kind:     by_value
      - .address_space:  global
        .offset:         48
        .size:           8
        .value_kind:     global_buffer
      - .offset:         56
        .size:           4
        .value_kind:     by_value
      - .offset:         64
        .size:           8
        .value_kind:     by_value
      - .offset:         72
        .size:           16
        .value_kind:     by_value
      - .address_space:  global
        .offset:         88
        .size:           8
        .value_kind:     global_buffer
      - .offset:         96
        .size:           4
        .value_kind:     by_value
      - .offset:         104
        .size:           8
        .value_kind:     by_value
      - .offset:         112
        .size:           4
        .value_kind:     by_value
    .group_segment_fixed_size: 8192
    .kernarg_segment_align: 8
    .kernarg_segment_size: 116
    .language:       OpenCL C
    .language_version:
      - 2
      - 0
    .max_flat_workgroup_size: 256
    .name:           _ZL32rocblas_syrkx_herkx_small_kernelIi19rocblas_complex_numIdELi16ELb1ELb0ELc67ELc76EKS1_S1_EviT_T0_PT6_S3_lS6_S3_lS4_PT7_S3_li
    .private_segment_fixed_size: 0
    .sgpr_count:     28
    .sgpr_spill_count: 0
    .symbol:         _ZL32rocblas_syrkx_herkx_small_kernelIi19rocblas_complex_numIdELi16ELb1ELb0ELc67ELc76EKS1_S1_EviT_T0_PT6_S3_lS6_S3_lS4_PT7_S3_li.kd
    .uniform_work_group_size: 1
    .uses_dynamic_stack: false
    .vgpr_count:     49
    .vgpr_spill_count: 0
    .wavefront_size: 64
  - .args:
      - .offset:         0
        .size:           4
        .value_kind:     by_value
      - .offset:         4
        .size:           4
        .value_kind:     by_value
      - .offset:         8
        .size:           16
        .value_kind:     by_value
      - .address_space:  global
        .offset:         24
        .size:           8
        .value_kind:     global_buffer
      - .offset:         32
        .size:           4
        .value_kind:     by_value
      - .offset:         40
        .size:           8
        .value_kind:     by_value
      - .address_space:  global
        .offset:         48
        .size:           8
        .value_kind:     global_buffer
      - .offset:         56
        .size:           4
        .value_kind:     by_value
      - .offset:         64
        .size:           8
        .value_kind:     by_value
      - .offset:         72
        .size:           16
        .value_kind:     by_value
      - .address_space:  global
        .offset:         88
        .size:           8
        .value_kind:     global_buffer
      - .offset:         96
        .size:           4
        .value_kind:     by_value
      - .offset:         104
        .size:           8
        .value_kind:     by_value
      - .offset:         112
        .size:           4
        .value_kind:     by_value
    .group_segment_fixed_size: 8192
    .kernarg_segment_align: 8
    .kernarg_segment_size: 116
    .language:       OpenCL C
    .language_version:
      - 2
      - 0
    .max_flat_workgroup_size: 256
    .name:           _ZL32rocblas_syrkx_herkx_small_kernelIi19rocblas_complex_numIdELi16ELb1ELb0ELc78ELc76EKS1_S1_EviT_T0_PT6_S3_lS6_S3_lS4_PT7_S3_li
    .private_segment_fixed_size: 0
    .sgpr_count:     31
    .sgpr_spill_count: 0
    .symbol:         _ZL32rocblas_syrkx_herkx_small_kernelIi19rocblas_complex_numIdELi16ELb1ELb0ELc78ELc76EKS1_S1_EviT_T0_PT6_S3_lS6_S3_lS4_PT7_S3_li.kd
    .uniform_work_group_size: 1
    .uses_dynamic_stack: false
    .vgpr_count:     46
    .vgpr_spill_count: 0
    .wavefront_size: 64
  - .args:
      - .offset:         0
        .size:           4
        .value_kind:     by_value
      - .offset:         4
        .size:           4
        .value_kind:     by_value
      - .offset:         8
        .size:           16
        .value_kind:     by_value
      - .address_space:  global
        .offset:         24
        .size:           8
        .value_kind:     global_buffer
      - .offset:         32
        .size:           4
        .value_kind:     by_value
      - .offset:         40
        .size:           8
        .value_kind:     by_value
      - .address_space:  global
        .offset:         48
        .size:           8
        .value_kind:     global_buffer
      - .offset:         56
        .size:           4
        .value_kind:     by_value
      - .offset:         64
        .size:           8
        .value_kind:     by_value
      - .offset:         72
        .size:           16
        .value_kind:     by_value
      - .address_space:  global
        .offset:         88
        .size:           8
        .value_kind:     global_buffer
      - .offset:         96
        .size:           4
        .value_kind:     by_value
      - .offset:         104
        .size:           8
        .value_kind:     by_value
      - .offset:         112
        .size:           4
        .value_kind:     by_value
    .group_segment_fixed_size: 8192
    .kernarg_segment_align: 8
    .kernarg_segment_size: 116
    .language:       OpenCL C
    .language_version:
      - 2
      - 0
    .max_flat_workgroup_size: 256
    .name:           _ZL32rocblas_syrkx_herkx_small_kernelIi19rocblas_complex_numIdELi16ELb1ELb0ELc84ELc85EKS1_S1_EviT_T0_PT6_S3_lS6_S3_lS4_PT7_S3_li
    .private_segment_fixed_size: 0
    .sgpr_count:     28
    .sgpr_spill_count: 0
    .symbol:         _ZL32rocblas_syrkx_herkx_small_kernelIi19rocblas_complex_numIdELi16ELb1ELb0ELc84ELc85EKS1_S1_EviT_T0_PT6_S3_lS6_S3_lS4_PT7_S3_li.kd
    .uniform_work_group_size: 1
    .uses_dynamic_stack: false
    .vgpr_count:     40
    .vgpr_spill_count: 0
    .wavefront_size: 64
  - .args:
      - .offset:         0
        .size:           4
        .value_kind:     by_value
      - .offset:         4
        .size:           4
        .value_kind:     by_value
      - .offset:         8
        .size:           16
        .value_kind:     by_value
      - .address_space:  global
        .offset:         24
        .size:           8
        .value_kind:     global_buffer
      - .offset:         32
        .size:           4
        .value_kind:     by_value
      - .offset:         40
        .size:           8
        .value_kind:     by_value
      - .address_space:  global
        .offset:         48
        .size:           8
        .value_kind:     global_buffer
      - .offset:         56
        .size:           4
        .value_kind:     by_value
      - .offset:         64
        .size:           8
        .value_kind:     by_value
      - .offset:         72
        .size:           16
        .value_kind:     by_value
      - .address_space:  global
        .offset:         88
        .size:           8
        .value_kind:     global_buffer
      - .offset:         96
        .size:           4
        .value_kind:     by_value
      - .offset:         104
        .size:           8
        .value_kind:     by_value
      - .offset:         112
        .size:           4
        .value_kind:     by_value
    .group_segment_fixed_size: 8192
    .kernarg_segment_align: 8
    .kernarg_segment_size: 116
    .language:       OpenCL C
    .language_version:
      - 2
      - 0
    .max_flat_workgroup_size: 256
    .name:           _ZL32rocblas_syrkx_herkx_small_kernelIi19rocblas_complex_numIdELi16ELb1ELb0ELc67ELc85EKS1_S1_EviT_T0_PT6_S3_lS6_S3_lS4_PT7_S3_li
    .private_segment_fixed_size: 0
    .sgpr_count:     28
    .sgpr_spill_count: 0
    .symbol:         _ZL32rocblas_syrkx_herkx_small_kernelIi19rocblas_complex_numIdELi16ELb1ELb0ELc67ELc85EKS1_S1_EviT_T0_PT6_S3_lS6_S3_lS4_PT7_S3_li.kd
    .uniform_work_group_size: 1
    .uses_dynamic_stack: false
    .vgpr_count:     49
    .vgpr_spill_count: 0
    .wavefront_size: 64
  - .args:
      - .offset:         0
        .size:           4
        .value_kind:     by_value
      - .offset:         4
        .size:           4
        .value_kind:     by_value
      - .offset:         8
        .size:           16
        .value_kind:     by_value
      - .address_space:  global
        .offset:         24
        .size:           8
        .value_kind:     global_buffer
      - .offset:         32
        .size:           4
        .value_kind:     by_value
      - .offset:         40
        .size:           8
        .value_kind:     by_value
      - .address_space:  global
        .offset:         48
        .size:           8
        .value_kind:     global_buffer
      - .offset:         56
        .size:           4
        .value_kind:     by_value
      - .offset:         64
        .size:           8
        .value_kind:     by_value
      - .offset:         72
        .size:           16
        .value_kind:     by_value
      - .address_space:  global
        .offset:         88
        .size:           8
        .value_kind:     global_buffer
      - .offset:         96
        .size:           4
        .value_kind:     by_value
      - .offset:         104
        .size:           8
        .value_kind:     by_value
      - .offset:         112
        .size:           4
        .value_kind:     by_value
    .group_segment_fixed_size: 8192
    .kernarg_segment_align: 8
    .kernarg_segment_size: 116
    .language:       OpenCL C
    .language_version:
      - 2
      - 0
    .max_flat_workgroup_size: 256
    .name:           _ZL32rocblas_syrkx_herkx_small_kernelIi19rocblas_complex_numIdELi16ELb1ELb0ELc78ELc85EKS1_S1_EviT_T0_PT6_S3_lS6_S3_lS4_PT7_S3_li
    .private_segment_fixed_size: 0
    .sgpr_count:     31
    .sgpr_spill_count: 0
    .symbol:         _ZL32rocblas_syrkx_herkx_small_kernelIi19rocblas_complex_numIdELi16ELb1ELb0ELc78ELc85EKS1_S1_EviT_T0_PT6_S3_lS6_S3_lS4_PT7_S3_li.kd
    .uniform_work_group_size: 1
    .uses_dynamic_stack: false
    .vgpr_count:     46
    .vgpr_spill_count: 0
    .wavefront_size: 64
  - .args:
      - .offset:         0
        .size:           4
        .value_kind:     by_value
      - .offset:         4
        .size:           4
        .value_kind:     by_value
      - .offset:         8
        .size:           16
        .value_kind:     by_value
      - .address_space:  global
        .offset:         24
        .size:           8
        .value_kind:     global_buffer
      - .offset:         32
        .size:           4
        .value_kind:     by_value
      - .offset:         40
        .size:           8
        .value_kind:     by_value
      - .address_space:  global
        .offset:         48
        .size:           8
        .value_kind:     global_buffer
      - .offset:         56
        .size:           4
        .value_kind:     by_value
      - .offset:         64
        .size:           8
        .value_kind:     by_value
      - .offset:         72
        .size:           16
        .value_kind:     by_value
      - .address_space:  global
        .offset:         88
        .size:           8
        .value_kind:     global_buffer
      - .offset:         96
        .size:           4
        .value_kind:     by_value
      - .offset:         104
        .size:           8
        .value_kind:     by_value
      - .offset:         112
        .size:           4
        .value_kind:     by_value
    .group_segment_fixed_size: 8192
    .kernarg_segment_align: 8
    .kernarg_segment_size: 116
    .language:       OpenCL C
    .language_version:
      - 2
      - 0
    .max_flat_workgroup_size: 256
    .name:           _ZL32rocblas_syrkx_herkx_small_kernelIi19rocblas_complex_numIdELi16ELb0ELb0ELc84ELc76EKS1_S1_EviT_T0_PT6_S3_lS6_S3_lS4_PT7_S3_li
    .private_segment_fixed_size: 0
    .sgpr_count:     36
    .sgpr_spill_count: 0
    .symbol:         _ZL32rocblas_syrkx_herkx_small_kernelIi19rocblas_complex_numIdELi16ELb0ELb0ELc84ELc76EKS1_S1_EviT_T0_PT6_S3_lS6_S3_lS4_PT7_S3_li.kd
    .uniform_work_group_size: 1
    .uses_dynamic_stack: false
    .vgpr_count:     40
    .vgpr_spill_count: 0
    .wavefront_size: 64
  - .args:
      - .offset:         0
        .size:           4
        .value_kind:     by_value
      - .offset:         4
        .size:           4
        .value_kind:     by_value
      - .offset:         8
        .size:           16
        .value_kind:     by_value
      - .address_space:  global
        .offset:         24
        .size:           8
        .value_kind:     global_buffer
      - .offset:         32
        .size:           4
        .value_kind:     by_value
      - .offset:         40
        .size:           8
        .value_kind:     by_value
      - .address_space:  global
        .offset:         48
        .size:           8
        .value_kind:     global_buffer
      - .offset:         56
        .size:           4
        .value_kind:     by_value
      - .offset:         64
        .size:           8
        .value_kind:     by_value
      - .offset:         72
        .size:           16
        .value_kind:     by_value
      - .address_space:  global
        .offset:         88
        .size:           8
        .value_kind:     global_buffer
      - .offset:         96
        .size:           4
        .value_kind:     by_value
      - .offset:         104
        .size:           8
        .value_kind:     by_value
      - .offset:         112
        .size:           4
        .value_kind:     by_value
    .group_segment_fixed_size: 8192
    .kernarg_segment_align: 8
    .kernarg_segment_size: 116
    .language:       OpenCL C
    .language_version:
      - 2
      - 0
    .max_flat_workgroup_size: 256
    .name:           _ZL32rocblas_syrkx_herkx_small_kernelIi19rocblas_complex_numIdELi16ELb0ELb0ELc67ELc76EKS1_S1_EviT_T0_PT6_S3_lS6_S3_lS4_PT7_S3_li
    .private_segment_fixed_size: 0
    .sgpr_count:     36
    .sgpr_spill_count: 0
    .symbol:         _ZL32rocblas_syrkx_herkx_small_kernelIi19rocblas_complex_numIdELi16ELb0ELb0ELc67ELc76EKS1_S1_EviT_T0_PT6_S3_lS6_S3_lS4_PT7_S3_li.kd
    .uniform_work_group_size: 1
    .uses_dynamic_stack: false
    .vgpr_count:     49
    .vgpr_spill_count: 0
    .wavefront_size: 64
  - .args:
      - .offset:         0
        .size:           4
        .value_kind:     by_value
      - .offset:         4
        .size:           4
        .value_kind:     by_value
      - .offset:         8
        .size:           16
        .value_kind:     by_value
      - .address_space:  global
        .offset:         24
        .size:           8
        .value_kind:     global_buffer
      - .offset:         32
        .size:           4
        .value_kind:     by_value
      - .offset:         40
        .size:           8
        .value_kind:     by_value
      - .address_space:  global
        .offset:         48
        .size:           8
        .value_kind:     global_buffer
      - .offset:         56
        .size:           4
        .value_kind:     by_value
      - .offset:         64
        .size:           8
        .value_kind:     by_value
      - .offset:         72
        .size:           16
        .value_kind:     by_value
      - .address_space:  global
        .offset:         88
        .size:           8
        .value_kind:     global_buffer
      - .offset:         96
        .size:           4
        .value_kind:     by_value
      - .offset:         104
        .size:           8
        .value_kind:     by_value
      - .offset:         112
        .size:           4
        .value_kind:     by_value
    .group_segment_fixed_size: 8192
    .kernarg_segment_align: 8
    .kernarg_segment_size: 116
    .language:       OpenCL C
    .language_version:
      - 2
      - 0
    .max_flat_workgroup_size: 256
    .name:           _ZL32rocblas_syrkx_herkx_small_kernelIi19rocblas_complex_numIdELi16ELb0ELb0ELc78ELc76EKS1_S1_EviT_T0_PT6_S3_lS6_S3_lS4_PT7_S3_li
    .private_segment_fixed_size: 0
    .sgpr_count:     38
    .sgpr_spill_count: 0
    .symbol:         _ZL32rocblas_syrkx_herkx_small_kernelIi19rocblas_complex_numIdELi16ELb0ELb0ELc78ELc76EKS1_S1_EviT_T0_PT6_S3_lS6_S3_lS4_PT7_S3_li.kd
    .uniform_work_group_size: 1
    .uses_dynamic_stack: false
    .vgpr_count:     46
    .vgpr_spill_count: 0
    .wavefront_size: 64
  - .args:
      - .offset:         0
        .size:           4
        .value_kind:     by_value
      - .offset:         4
        .size:           4
        .value_kind:     by_value
      - .offset:         8
        .size:           16
        .value_kind:     by_value
      - .address_space:  global
        .offset:         24
        .size:           8
        .value_kind:     global_buffer
      - .offset:         32
        .size:           4
        .value_kind:     by_value
      - .offset:         40
        .size:           8
        .value_kind:     by_value
      - .address_space:  global
        .offset:         48
        .size:           8
        .value_kind:     global_buffer
      - .offset:         56
        .size:           4
        .value_kind:     by_value
      - .offset:         64
        .size:           8
        .value_kind:     by_value
      - .offset:         72
        .size:           16
        .value_kind:     by_value
      - .address_space:  global
        .offset:         88
        .size:           8
        .value_kind:     global_buffer
      - .offset:         96
        .size:           4
        .value_kind:     by_value
      - .offset:         104
        .size:           8
        .value_kind:     by_value
      - .offset:         112
        .size:           4
        .value_kind:     by_value
    .group_segment_fixed_size: 8192
    .kernarg_segment_align: 8
    .kernarg_segment_size: 116
    .language:       OpenCL C
    .language_version:
      - 2
      - 0
    .max_flat_workgroup_size: 256
    .name:           _ZL32rocblas_syrkx_herkx_small_kernelIi19rocblas_complex_numIdELi16ELb0ELb0ELc84ELc85EKS1_S1_EviT_T0_PT6_S3_lS6_S3_lS4_PT7_S3_li
    .private_segment_fixed_size: 0
    .sgpr_count:     36
    .sgpr_spill_count: 0
    .symbol:         _ZL32rocblas_syrkx_herkx_small_kernelIi19rocblas_complex_numIdELi16ELb0ELb0ELc84ELc85EKS1_S1_EviT_T0_PT6_S3_lS6_S3_lS4_PT7_S3_li.kd
    .uniform_work_group_size: 1
    .uses_dynamic_stack: false
    .vgpr_count:     40
    .vgpr_spill_count: 0
    .wavefront_size: 64
  - .args:
      - .offset:         0
        .size:           4
        .value_kind:     by_value
      - .offset:         4
        .size:           4
        .value_kind:     by_value
      - .offset:         8
        .size:           16
        .value_kind:     by_value
      - .address_space:  global
        .offset:         24
        .size:           8
        .value_kind:     global_buffer
      - .offset:         32
        .size:           4
        .value_kind:     by_value
      - .offset:         40
        .size:           8
        .value_kind:     by_value
      - .address_space:  global
        .offset:         48
        .size:           8
        .value_kind:     global_buffer
      - .offset:         56
        .size:           4
        .value_kind:     by_value
      - .offset:         64
        .size:           8
        .value_kind:     by_value
      - .offset:         72
        .size:           16
        .value_kind:     by_value
      - .address_space:  global
        .offset:         88
        .size:           8
        .value_kind:     global_buffer
      - .offset:         96
        .size:           4
        .value_kind:     by_value
      - .offset:         104
        .size:           8
        .value_kind:     by_value
      - .offset:         112
        .size:           4
        .value_kind:     by_value
    .group_segment_fixed_size: 8192
    .kernarg_segment_align: 8
    .kernarg_segment_size: 116
    .language:       OpenCL C
    .language_version:
      - 2
      - 0
    .max_flat_workgroup_size: 256
    .name:           _ZL32rocblas_syrkx_herkx_small_kernelIi19rocblas_complex_numIdELi16ELb0ELb0ELc67ELc85EKS1_S1_EviT_T0_PT6_S3_lS6_S3_lS4_PT7_S3_li
    .private_segment_fixed_size: 0
    .sgpr_count:     36
    .sgpr_spill_count: 0
    .symbol:         _ZL32rocblas_syrkx_herkx_small_kernelIi19rocblas_complex_numIdELi16ELb0ELb0ELc67ELc85EKS1_S1_EviT_T0_PT6_S3_lS6_S3_lS4_PT7_S3_li.kd
    .uniform_work_group_size: 1
    .uses_dynamic_stack: false
    .vgpr_count:     49
    .vgpr_spill_count: 0
    .wavefront_size: 64
  - .args:
      - .offset:         0
        .size:           4
        .value_kind:     by_value
      - .offset:         4
        .size:           4
        .value_kind:     by_value
      - .offset:         8
        .size:           16
        .value_kind:     by_value
      - .address_space:  global
        .offset:         24
        .size:           8
        .value_kind:     global_buffer
      - .offset:         32
        .size:           4
        .value_kind:     by_value
      - .offset:         40
        .size:           8
        .value_kind:     by_value
      - .address_space:  global
        .offset:         48
        .size:           8
        .value_kind:     global_buffer
      - .offset:         56
        .size:           4
        .value_kind:     by_value
      - .offset:         64
        .size:           8
        .value_kind:     by_value
      - .offset:         72
        .size:           16
        .value_kind:     by_value
      - .address_space:  global
        .offset:         88
        .size:           8
        .value_kind:     global_buffer
      - .offset:         96
        .size:           4
        .value_kind:     by_value
      - .offset:         104
        .size:           8
        .value_kind:     by_value
      - .offset:         112
        .size:           4
        .value_kind:     by_value
    .group_segment_fixed_size: 8192
    .kernarg_segment_align: 8
    .kernarg_segment_size: 116
    .language:       OpenCL C
    .language_version:
      - 2
      - 0
    .max_flat_workgroup_size: 256
    .name:           _ZL32rocblas_syrkx_herkx_small_kernelIi19rocblas_complex_numIdELi16ELb0ELb0ELc78ELc85EKS1_S1_EviT_T0_PT6_S3_lS6_S3_lS4_PT7_S3_li
    .private_segment_fixed_size: 0
    .sgpr_count:     38
    .sgpr_spill_count: 0
    .symbol:         _ZL32rocblas_syrkx_herkx_small_kernelIi19rocblas_complex_numIdELi16ELb0ELb0ELc78ELc85EKS1_S1_EviT_T0_PT6_S3_lS6_S3_lS4_PT7_S3_li.kd
    .uniform_work_group_size: 1
    .uses_dynamic_stack: false
    .vgpr_count:     46
    .vgpr_spill_count: 0
    .wavefront_size: 64
  - .args:
      - .offset:         0
        .size:           4
        .value_kind:     by_value
      - .offset:         4
        .size:           4
        .value_kind:     by_value
      - .offset:         8
        .size:           16
        .value_kind:     by_value
      - .address_space:  global
        .offset:         24
        .size:           8
        .value_kind:     global_buffer
      - .offset:         32
        .size:           4
        .value_kind:     by_value
      - .offset:         40
        .size:           8
        .value_kind:     by_value
      - .address_space:  global
        .offset:         48
        .size:           8
        .value_kind:     global_buffer
      - .offset:         56
        .size:           4
        .value_kind:     by_value
      - .offset:         64
        .size:           8
        .value_kind:     by_value
      - .offset:         72
        .size:           16
        .value_kind:     by_value
      - .address_space:  global
        .offset:         88
        .size:           8
        .value_kind:     global_buffer
      - .offset:         96
        .size:           4
        .value_kind:     by_value
      - .offset:         104
        .size:           8
        .value_kind:     by_value
      - .offset:         112
        .size:           4
        .value_kind:     by_value
    .group_segment_fixed_size: 8192
    .kernarg_segment_align: 8
    .kernarg_segment_size: 116
    .language:       OpenCL C
    .language_version:
      - 2
      - 0
    .max_flat_workgroup_size: 256
    .name:           _ZL34rocblas_syrkx_herkx_general_kernelIi19rocblas_complex_numIdELi16ELi32ELi8ELb1ELb0ELc84ELc76EKS1_S1_EviT_T0_PT8_S3_lS6_S3_lS4_PT9_S3_li
    .private_segment_fixed_size: 0
    .sgpr_count:     29
    .sgpr_spill_count: 0
    .symbol:         _ZL34rocblas_syrkx_herkx_general_kernelIi19rocblas_complex_numIdELi16ELi32ELi8ELb1ELb0ELc84ELc76EKS1_S1_EviT_T0_PT8_S3_lS6_S3_lS4_PT9_S3_li.kd
    .uniform_work_group_size: 1
    .uses_dynamic_stack: false
    .vgpr_count:     56
    .vgpr_spill_count: 0
    .wavefront_size: 64
  - .args:
      - .offset:         0
        .size:           4
        .value_kind:     by_value
      - .offset:         4
        .size:           4
        .value_kind:     by_value
      - .offset:         8
        .size:           16
        .value_kind:     by_value
      - .address_space:  global
        .offset:         24
        .size:           8
        .value_kind:     global_buffer
      - .offset:         32
        .size:           4
        .value_kind:     by_value
      - .offset:         40
        .size:           8
        .value_kind:     by_value
      - .address_space:  global
        .offset:         48
        .size:           8
        .value_kind:     global_buffer
      - .offset:         56
        .size:           4
        .value_kind:     by_value
      - .offset:         64
        .size:           8
        .value_kind:     by_value
      - .offset:         72
        .size:           16
        .value_kind:     by_value
      - .address_space:  global
        .offset:         88
        .size:           8
        .value_kind:     global_buffer
      - .offset:         96
        .size:           4
        .value_kind:     by_value
      - .offset:         104
        .size:           8
        .value_kind:     by_value
      - .offset:         112
        .size:           4
        .value_kind:     by_value
    .group_segment_fixed_size: 8192
    .kernarg_segment_align: 8
    .kernarg_segment_size: 116
    .language:       OpenCL C
    .language_version:
      - 2
      - 0
    .max_flat_workgroup_size: 256
    .name:           _ZL34rocblas_syrkx_herkx_general_kernelIi19rocblas_complex_numIdELi16ELi32ELi8ELb1ELb0ELc67ELc76EKS1_S1_EviT_T0_PT8_S3_lS6_S3_lS4_PT9_S3_li
    .private_segment_fixed_size: 0
    .sgpr_count:     29
    .sgpr_spill_count: 0
    .symbol:         _ZL34rocblas_syrkx_herkx_general_kernelIi19rocblas_complex_numIdELi16ELi32ELi8ELb1ELb0ELc67ELc76EKS1_S1_EviT_T0_PT8_S3_lS6_S3_lS4_PT9_S3_li.kd
    .uniform_work_group_size: 1
    .uses_dynamic_stack: false
    .vgpr_count:     57
    .vgpr_spill_count: 0
    .wavefront_size: 64
  - .args:
      - .offset:         0
        .size:           4
        .value_kind:     by_value
      - .offset:         4
        .size:           4
        .value_kind:     by_value
      - .offset:         8
        .size:           16
        .value_kind:     by_value
      - .address_space:  global
        .offset:         24
        .size:           8
        .value_kind:     global_buffer
      - .offset:         32
        .size:           4
        .value_kind:     by_value
      - .offset:         40
        .size:           8
        .value_kind:     by_value
      - .address_space:  global
        .offset:         48
        .size:           8
        .value_kind:     global_buffer
      - .offset:         56
        .size:           4
        .value_kind:     by_value
      - .offset:         64
        .size:           8
        .value_kind:     by_value
      - .offset:         72
        .size:           16
        .value_kind:     by_value
      - .address_space:  global
        .offset:         88
        .size:           8
        .value_kind:     global_buffer
      - .offset:         96
        .size:           4
        .value_kind:     by_value
      - .offset:         104
        .size:           8
        .value_kind:     by_value
      - .offset:         112
        .size:           4
        .value_kind:     by_value
    .group_segment_fixed_size: 8192
    .kernarg_segment_align: 8
    .kernarg_segment_size: 116
    .language:       OpenCL C
    .language_version:
      - 2
      - 0
    .max_flat_workgroup_size: 256
    .name:           _ZL34rocblas_syrkx_herkx_general_kernelIi19rocblas_complex_numIdELi16ELi32ELi8ELb1ELb0ELc78ELc76EKS1_S1_EviT_T0_PT8_S3_lS6_S3_lS4_PT9_S3_li
    .private_segment_fixed_size: 0
    .sgpr_count:     32
    .sgpr_spill_count: 0
    .symbol:         _ZL34rocblas_syrkx_herkx_general_kernelIi19rocblas_complex_numIdELi16ELi32ELi8ELb1ELb0ELc78ELc76EKS1_S1_EviT_T0_PT8_S3_lS6_S3_lS4_PT9_S3_li.kd
    .uniform_work_group_size: 1
    .uses_dynamic_stack: false
    .vgpr_count:     59
    .vgpr_spill_count: 0
    .wavefront_size: 64
  - .args:
      - .offset:         0
        .size:           4
        .value_kind:     by_value
      - .offset:         4
        .size:           4
        .value_kind:     by_value
      - .offset:         8
        .size:           16
        .value_kind:     by_value
      - .address_space:  global
        .offset:         24
        .size:           8
        .value_kind:     global_buffer
      - .offset:         32
        .size:           4
        .value_kind:     by_value
      - .offset:         40
        .size:           8
        .value_kind:     by_value
      - .address_space:  global
        .offset:         48
        .size:           8
        .value_kind:     global_buffer
      - .offset:         56
        .size:           4
        .value_kind:     by_value
      - .offset:         64
        .size:           8
        .value_kind:     by_value
      - .offset:         72
        .size:           16
        .value_kind:     by_value
      - .address_space:  global
        .offset:         88
        .size:           8
        .value_kind:     global_buffer
      - .offset:         96
        .size:           4
        .value_kind:     by_value
      - .offset:         104
        .size:           8
        .value_kind:     by_value
      - .offset:         112
        .size:           4
        .value_kind:     by_value
    .group_segment_fixed_size: 8192
    .kernarg_segment_align: 8
    .kernarg_segment_size: 116
    .language:       OpenCL C
    .language_version:
      - 2
      - 0
    .max_flat_workgroup_size: 256
    .name:           _ZL34rocblas_syrkx_herkx_general_kernelIi19rocblas_complex_numIdELi16ELi32ELi8ELb1ELb0ELc84ELc85EKS1_S1_EviT_T0_PT8_S3_lS6_S3_lS4_PT9_S3_li
    .private_segment_fixed_size: 0
    .sgpr_count:     29
    .sgpr_spill_count: 0
    .symbol:         _ZL34rocblas_syrkx_herkx_general_kernelIi19rocblas_complex_numIdELi16ELi32ELi8ELb1ELb0ELc84ELc85EKS1_S1_EviT_T0_PT8_S3_lS6_S3_lS4_PT9_S3_li.kd
    .uniform_work_group_size: 1
    .uses_dynamic_stack: false
    .vgpr_count:     56
    .vgpr_spill_count: 0
    .wavefront_size: 64
  - .args:
      - .offset:         0
        .size:           4
        .value_kind:     by_value
      - .offset:         4
        .size:           4
        .value_kind:     by_value
      - .offset:         8
        .size:           16
        .value_kind:     by_value
      - .address_space:  global
        .offset:         24
        .size:           8
        .value_kind:     global_buffer
      - .offset:         32
        .size:           4
        .value_kind:     by_value
      - .offset:         40
        .size:           8
        .value_kind:     by_value
      - .address_space:  global
        .offset:         48
        .size:           8
        .value_kind:     global_buffer
      - .offset:         56
        .size:           4
        .value_kind:     by_value
      - .offset:         64
        .size:           8
        .value_kind:     by_value
      - .offset:         72
        .size:           16
        .value_kind:     by_value
      - .address_space:  global
        .offset:         88
        .size:           8
        .value_kind:     global_buffer
      - .offset:         96
        .size:           4
        .value_kind:     by_value
      - .offset:         104
        .size:           8
        .value_kind:     by_value
      - .offset:         112
        .size:           4
        .value_kind:     by_value
    .group_segment_fixed_size: 8192
    .kernarg_segment_align: 8
    .kernarg_segment_size: 116
    .language:       OpenCL C
    .language_version:
      - 2
      - 0
    .max_flat_workgroup_size: 256
    .name:           _ZL34rocblas_syrkx_herkx_general_kernelIi19rocblas_complex_numIdELi16ELi32ELi8ELb1ELb0ELc67ELc85EKS1_S1_EviT_T0_PT8_S3_lS6_S3_lS4_PT9_S3_li
    .private_segment_fixed_size: 0
    .sgpr_count:     29
    .sgpr_spill_count: 0
    .symbol:         _ZL34rocblas_syrkx_herkx_general_kernelIi19rocblas_complex_numIdELi16ELi32ELi8ELb1ELb0ELc67ELc85EKS1_S1_EviT_T0_PT8_S3_lS6_S3_lS4_PT9_S3_li.kd
    .uniform_work_group_size: 1
    .uses_dynamic_stack: false
    .vgpr_count:     57
    .vgpr_spill_count: 0
    .wavefront_size: 64
  - .args:
      - .offset:         0
        .size:           4
        .value_kind:     by_value
      - .offset:         4
        .size:           4
        .value_kind:     by_value
      - .offset:         8
        .size:           16
        .value_kind:     by_value
      - .address_space:  global
        .offset:         24
        .size:           8
        .value_kind:     global_buffer
      - .offset:         32
        .size:           4
        .value_kind:     by_value
      - .offset:         40
        .size:           8
        .value_kind:     by_value
      - .address_space:  global
        .offset:         48
        .size:           8
        .value_kind:     global_buffer
      - .offset:         56
        .size:           4
        .value_kind:     by_value
      - .offset:         64
        .size:           8
        .value_kind:     by_value
      - .offset:         72
        .size:           16
        .value_kind:     by_value
      - .address_space:  global
        .offset:         88
        .size:           8
        .value_kind:     global_buffer
      - .offset:         96
        .size:           4
        .value_kind:     by_value
      - .offset:         104
        .size:           8
        .value_kind:     by_value
      - .offset:         112
        .size:           4
        .value_kind:     by_value
    .group_segment_fixed_size: 8192
    .kernarg_segment_align: 8
    .kernarg_segment_size: 116
    .language:       OpenCL C
    .language_version:
      - 2
      - 0
    .max_flat_workgroup_size: 256
    .name:           _ZL34rocblas_syrkx_herkx_general_kernelIi19rocblas_complex_numIdELi16ELi32ELi8ELb1ELb0ELc78ELc85EKS1_S1_EviT_T0_PT8_S3_lS6_S3_lS4_PT9_S3_li
    .private_segment_fixed_size: 0
    .sgpr_count:     32
    .sgpr_spill_count: 0
    .symbol:         _ZL34rocblas_syrkx_herkx_general_kernelIi19rocblas_complex_numIdELi16ELi32ELi8ELb1ELb0ELc78ELc85EKS1_S1_EviT_T0_PT8_S3_lS6_S3_lS4_PT9_S3_li.kd
    .uniform_work_group_size: 1
    .uses_dynamic_stack: false
    .vgpr_count:     59
    .vgpr_spill_count: 0
    .wavefront_size: 64
  - .args:
      - .offset:         0
        .size:           4
        .value_kind:     by_value
      - .offset:         4
        .size:           4
        .value_kind:     by_value
      - .offset:         8
        .size:           16
        .value_kind:     by_value
      - .address_space:  global
        .offset:         24
        .size:           8
        .value_kind:     global_buffer
      - .offset:         32
        .size:           4
        .value_kind:     by_value
      - .offset:         40
        .size:           8
        .value_kind:     by_value
      - .address_space:  global
        .offset:         48
        .size:           8
        .value_kind:     global_buffer
      - .offset:         56
        .size:           4
        .value_kind:     by_value
      - .offset:         64
        .size:           8
        .value_kind:     by_value
      - .offset:         72
        .size:           16
        .value_kind:     by_value
      - .address_space:  global
        .offset:         88
        .size:           8
        .value_kind:     global_buffer
      - .offset:         96
        .size:           4
        .value_kind:     by_value
      - .offset:         104
        .size:           8
        .value_kind:     by_value
      - .offset:         112
        .size:           4
        .value_kind:     by_value
    .group_segment_fixed_size: 8192
    .kernarg_segment_align: 8
    .kernarg_segment_size: 116
    .language:       OpenCL C
    .language_version:
      - 2
      - 0
    .max_flat_workgroup_size: 256
    .name:           _ZL34rocblas_syrkx_herkx_general_kernelIi19rocblas_complex_numIdELi16ELi32ELi8ELb0ELb0ELc84ELc76EKS1_S1_EviT_T0_PT8_S3_lS6_S3_lS4_PT9_S3_li
    .private_segment_fixed_size: 0
    .sgpr_count:     36
    .sgpr_spill_count: 0
    .symbol:         _ZL34rocblas_syrkx_herkx_general_kernelIi19rocblas_complex_numIdELi16ELi32ELi8ELb0ELb0ELc84ELc76EKS1_S1_EviT_T0_PT8_S3_lS6_S3_lS4_PT9_S3_li.kd
    .uniform_work_group_size: 1
    .uses_dynamic_stack: false
    .vgpr_count:     56
    .vgpr_spill_count: 0
    .wavefront_size: 64
  - .args:
      - .offset:         0
        .size:           4
        .value_kind:     by_value
      - .offset:         4
        .size:           4
        .value_kind:     by_value
      - .offset:         8
        .size:           16
        .value_kind:     by_value
      - .address_space:  global
        .offset:         24
        .size:           8
        .value_kind:     global_buffer
      - .offset:         32
        .size:           4
        .value_kind:     by_value
      - .offset:         40
        .size:           8
        .value_kind:     by_value
      - .address_space:  global
        .offset:         48
        .size:           8
        .value_kind:     global_buffer
      - .offset:         56
        .size:           4
        .value_kind:     by_value
      - .offset:         64
        .size:           8
        .value_kind:     by_value
      - .offset:         72
        .size:           16
        .value_kind:     by_value
      - .address_space:  global
        .offset:         88
        .size:           8
        .value_kind:     global_buffer
      - .offset:         96
        .size:           4
        .value_kind:     by_value
      - .offset:         104
        .size:           8
        .value_kind:     by_value
      - .offset:         112
        .size:           4
        .value_kind:     by_value
    .group_segment_fixed_size: 8192
    .kernarg_segment_align: 8
    .kernarg_segment_size: 116
    .language:       OpenCL C
    .language_version:
      - 2
      - 0
    .max_flat_workgroup_size: 256
    .name:           _ZL34rocblas_syrkx_herkx_general_kernelIi19rocblas_complex_numIdELi16ELi32ELi8ELb0ELb0ELc67ELc76EKS1_S1_EviT_T0_PT8_S3_lS6_S3_lS4_PT9_S3_li
    .private_segment_fixed_size: 0
    .sgpr_count:     36
    .sgpr_spill_count: 0
    .symbol:         _ZL34rocblas_syrkx_herkx_general_kernelIi19rocblas_complex_numIdELi16ELi32ELi8ELb0ELb0ELc67ELc76EKS1_S1_EviT_T0_PT8_S3_lS6_S3_lS4_PT9_S3_li.kd
    .uniform_work_group_size: 1
    .uses_dynamic_stack: false
    .vgpr_count:     57
    .vgpr_spill_count: 0
    .wavefront_size: 64
  - .args:
      - .offset:         0
        .size:           4
        .value_kind:     by_value
      - .offset:         4
        .size:           4
        .value_kind:     by_value
      - .offset:         8
        .size:           16
        .value_kind:     by_value
      - .address_space:  global
        .offset:         24
        .size:           8
        .value_kind:     global_buffer
      - .offset:         32
        .size:           4
        .value_kind:     by_value
      - .offset:         40
        .size:           8
        .value_kind:     by_value
      - .address_space:  global
        .offset:         48
        .size:           8
        .value_kind:     global_buffer
      - .offset:         56
        .size:           4
        .value_kind:     by_value
      - .offset:         64
        .size:           8
        .value_kind:     by_value
      - .offset:         72
        .size:           16
        .value_kind:     by_value
      - .address_space:  global
        .offset:         88
        .size:           8
        .value_kind:     global_buffer
      - .offset:         96
        .size:           4
        .value_kind:     by_value
      - .offset:         104
        .size:           8
        .value_kind:     by_value
      - .offset:         112
        .size:           4
        .value_kind:     by_value
    .group_segment_fixed_size: 8192
    .kernarg_segment_align: 8
    .kernarg_segment_size: 116
    .language:       OpenCL C
    .language_version:
      - 2
      - 0
    .max_flat_workgroup_size: 256
    .name:           _ZL34rocblas_syrkx_herkx_general_kernelIi19rocblas_complex_numIdELi16ELi32ELi8ELb0ELb0ELc78ELc76EKS1_S1_EviT_T0_PT8_S3_lS6_S3_lS4_PT9_S3_li
    .private_segment_fixed_size: 0
    .sgpr_count:     40
    .sgpr_spill_count: 0
    .symbol:         _ZL34rocblas_syrkx_herkx_general_kernelIi19rocblas_complex_numIdELi16ELi32ELi8ELb0ELb0ELc78ELc76EKS1_S1_EviT_T0_PT8_S3_lS6_S3_lS4_PT9_S3_li.kd
    .uniform_work_group_size: 1
    .uses_dynamic_stack: false
    .vgpr_count:     59
    .vgpr_spill_count: 0
    .wavefront_size: 64
  - .args:
      - .offset:         0
        .size:           4
        .value_kind:     by_value
      - .offset:         4
        .size:           4
        .value_kind:     by_value
      - .offset:         8
        .size:           16
        .value_kind:     by_value
      - .address_space:  global
        .offset:         24
        .size:           8
        .value_kind:     global_buffer
      - .offset:         32
        .size:           4
        .value_kind:     by_value
      - .offset:         40
        .size:           8
        .value_kind:     by_value
      - .address_space:  global
        .offset:         48
        .size:           8
        .value_kind:     global_buffer
      - .offset:         56
        .size:           4
        .value_kind:     by_value
      - .offset:         64
        .size:           8
        .value_kind:     by_value
      - .offset:         72
        .size:           16
        .value_kind:     by_value
      - .address_space:  global
        .offset:         88
        .size:           8
        .value_kind:     global_buffer
      - .offset:         96
        .size:           4
        .value_kind:     by_value
      - .offset:         104
        .size:           8
        .value_kind:     by_value
      - .offset:         112
        .size:           4
        .value_kind:     by_value
    .group_segment_fixed_size: 8192
    .kernarg_segment_align: 8
    .kernarg_segment_size: 116
    .language:       OpenCL C
    .language_version:
      - 2
      - 0
    .max_flat_workgroup_size: 256
    .name:           _ZL34rocblas_syrkx_herkx_general_kernelIi19rocblas_complex_numIdELi16ELi32ELi8ELb0ELb0ELc84ELc85EKS1_S1_EviT_T0_PT8_S3_lS6_S3_lS4_PT9_S3_li
    .private_segment_fixed_size: 0
    .sgpr_count:     36
    .sgpr_spill_count: 0
    .symbol:         _ZL34rocblas_syrkx_herkx_general_kernelIi19rocblas_complex_numIdELi16ELi32ELi8ELb0ELb0ELc84ELc85EKS1_S1_EviT_T0_PT8_S3_lS6_S3_lS4_PT9_S3_li.kd
    .uniform_work_group_size: 1
    .uses_dynamic_stack: false
    .vgpr_count:     56
    .vgpr_spill_count: 0
    .wavefront_size: 64
  - .args:
      - .offset:         0
        .size:           4
        .value_kind:     by_value
      - .offset:         4
        .size:           4
        .value_kind:     by_value
      - .offset:         8
        .size:           16
        .value_kind:     by_value
      - .address_space:  global
        .offset:         24
        .size:           8
        .value_kind:     global_buffer
      - .offset:         32
        .size:           4
        .value_kind:     by_value
      - .offset:         40
        .size:           8
        .value_kind:     by_value
      - .address_space:  global
        .offset:         48
        .size:           8
        .value_kind:     global_buffer
      - .offset:         56
        .size:           4
        .value_kind:     by_value
      - .offset:         64
        .size:           8
        .value_kind:     by_value
      - .offset:         72
        .size:           16
        .value_kind:     by_value
      - .address_space:  global
        .offset:         88
        .size:           8
        .value_kind:     global_buffer
      - .offset:         96
        .size:           4
        .value_kind:     by_value
      - .offset:         104
        .size:           8
        .value_kind:     by_value
      - .offset:         112
        .size:           4
        .value_kind:     by_value
    .group_segment_fixed_size: 8192
    .kernarg_segment_align: 8
    .kernarg_segment_size: 116
    .language:       OpenCL C
    .language_version:
      - 2
      - 0
    .max_flat_workgroup_size: 256
    .name:           _ZL34rocblas_syrkx_herkx_general_kernelIi19rocblas_complex_numIdELi16ELi32ELi8ELb0ELb0ELc67ELc85EKS1_S1_EviT_T0_PT8_S3_lS6_S3_lS4_PT9_S3_li
    .private_segment_fixed_size: 0
    .sgpr_count:     36
    .sgpr_spill_count: 0
    .symbol:         _ZL34rocblas_syrkx_herkx_general_kernelIi19rocblas_complex_numIdELi16ELi32ELi8ELb0ELb0ELc67ELc85EKS1_S1_EviT_T0_PT8_S3_lS6_S3_lS4_PT9_S3_li.kd
    .uniform_work_group_size: 1
    .uses_dynamic_stack: false
    .vgpr_count:     57
    .vgpr_spill_count: 0
    .wavefront_size: 64
  - .args:
      - .offset:         0
        .size:           4
        .value_kind:     by_value
      - .offset:         4
        .size:           4
        .value_kind:     by_value
      - .offset:         8
        .size:           16
        .value_kind:     by_value
      - .address_space:  global
        .offset:         24
        .size:           8
        .value_kind:     global_buffer
      - .offset:         32
        .size:           4
        .value_kind:     by_value
      - .offset:         40
        .size:           8
        .value_kind:     by_value
      - .address_space:  global
        .offset:         48
        .size:           8
        .value_kind:     global_buffer
      - .offset:         56
        .size:           4
        .value_kind:     by_value
      - .offset:         64
        .size:           8
        .value_kind:     by_value
      - .offset:         72
        .size:           16
        .value_kind:     by_value
      - .address_space:  global
        .offset:         88
        .size:           8
        .value_kind:     global_buffer
      - .offset:         96
        .size:           4
        .value_kind:     by_value
      - .offset:         104
        .size:           8
        .value_kind:     by_value
      - .offset:         112
        .size:           4
        .value_kind:     by_value
    .group_segment_fixed_size: 8192
    .kernarg_segment_align: 8
    .kernarg_segment_size: 116
    .language:       OpenCL C
    .language_version:
      - 2
      - 0
    .max_flat_workgroup_size: 256
    .name:           _ZL34rocblas_syrkx_herkx_general_kernelIi19rocblas_complex_numIdELi16ELi32ELi8ELb0ELb0ELc78ELc85EKS1_S1_EviT_T0_PT8_S3_lS6_S3_lS4_PT9_S3_li
    .private_segment_fixed_size: 0
    .sgpr_count:     40
    .sgpr_spill_count: 0
    .symbol:         _ZL34rocblas_syrkx_herkx_general_kernelIi19rocblas_complex_numIdELi16ELi32ELi8ELb0ELb0ELc78ELc85EKS1_S1_EviT_T0_PT8_S3_lS6_S3_lS4_PT9_S3_li.kd
    .uniform_work_group_size: 1
    .uses_dynamic_stack: false
    .vgpr_count:     59
    .vgpr_spill_count: 0
    .wavefront_size: 64
  - .args:
      - .offset:         0
        .size:           1
        .value_kind:     by_value
      - .offset:         4
        .size:           4
        .value_kind:     by_value
      - .offset:         8
        .size:           4
        .value_kind:     by_value
      - .offset:         16
        .size:           16
        .value_kind:     by_value
      - .offset:         32
        .size:           16
        .value_kind:     by_value
      - .address_space:  global
        .offset:         48
        .size:           8
        .value_kind:     global_buffer
      - .offset:         56
        .size:           4
        .value_kind:     by_value
      - .offset:         64
        .size:           8
        .value_kind:     by_value
      - .offset:         72
        .size:           4
        .value_kind:     by_value
      - .offset:         80
        .size:           4
        .value_kind:     hidden_block_count_x
      - .offset:         84
        .size:           4
        .value_kind:     hidden_block_count_y
      - .offset:         88
        .size:           4
        .value_kind:     hidden_block_count_z
      - .offset:         92
        .size:           2
        .value_kind:     hidden_group_size_x
      - .offset:         94
        .size:           2
        .value_kind:     hidden_group_size_y
      - .offset:         96
        .size:           2
        .value_kind:     hidden_group_size_z
      - .offset:         98
        .size:           2
        .value_kind:     hidden_remainder_x
      - .offset:         100
        .size:           2
        .value_kind:     hidden_remainder_y
      - .offset:         102
        .size:           2
        .value_kind:     hidden_remainder_z
      - .offset:         120
        .size:           8
        .value_kind:     hidden_global_offset_x
      - .offset:         128
        .size:           8
        .value_kind:     hidden_global_offset_y
      - .offset:         136
        .size:           8
        .value_kind:     hidden_global_offset_z
      - .offset:         144
        .size:           2
        .value_kind:     hidden_grid_dims
    .group_segment_fixed_size: 0
    .kernarg_segment_align: 8
    .kernarg_segment_size: 336
    .language:       OpenCL C
    .language_version:
      - 2
      - 0
    .max_flat_workgroup_size: 1024
    .name:           _ZL26rocblas_syr2k_scale_kernelIiLi128ELi8ELb0E19rocblas_complex_numIdES1_PS1_EvbiT_T3_T4_T5_S3_li
    .private_segment_fixed_size: 0
    .sgpr_count:     20
    .sgpr_spill_count: 0
    .symbol:         _ZL26rocblas_syr2k_scale_kernelIiLi128ELi8ELb0E19rocblas_complex_numIdES1_PS1_EvbiT_T3_T4_T5_S3_li.kd
    .uniform_work_group_size: 1
    .uses_dynamic_stack: false
    .vgpr_count:     10
    .vgpr_spill_count: 0
    .wavefront_size: 64
  - .args:
      - .offset:         0
        .size:           1
        .value_kind:     by_value
      - .offset:         4
        .size:           4
        .value_kind:     by_value
      - .offset:         8
        .size:           4
        .value_kind:     by_value
      - .address_space:  global
        .offset:         16
        .size:           8
        .value_kind:     global_buffer
      - .address_space:  global
        .offset:         24
        .size:           8
        .value_kind:     global_buffer
      - .offset:         32
        .size:           4
        .value_kind:     by_value
      - .offset:         40
        .size:           8
        .value_kind:     by_value
      - .address_space:  global
        .offset:         48
        .size:           8
        .value_kind:     global_buffer
      - .offset:         56
        .size:           4
        .value_kind:     by_value
      - .offset:         64
        .size:           8
        .value_kind:     by_value
      - .address_space:  global
        .offset:         72
        .size:           8
        .value_kind:     global_buffer
      - .offset:         80
        .size:           4
        .value_kind:     by_value
      - .offset:         88
        .size:           8
        .value_kind:     by_value
      - .offset:         96
        .size:           4
        .value_kind:     by_value
    .group_segment_fixed_size: 32768
    .kernarg_segment_align: 8
    .kernarg_segment_size: 100
    .language:       OpenCL C
    .language_version:
      - 2
      - 0
    .max_flat_workgroup_size: 1024
    .name:           _ZL26rocblas_syr2k_her2k_kernelIiLb0ELb0ELb0ELi32EPK19rocblas_complex_numIdES3_PS1_EvbiT_T4_T5_S5_lS7_S5_lT6_S5_li
    .private_segment_fixed_size: 0
    .sgpr_count:     32
    .sgpr_spill_count: 0
    .symbol:         _ZL26rocblas_syr2k_her2k_kernelIiLb0ELb0ELb0ELi32EPK19rocblas_complex_numIdES3_PS1_EvbiT_T4_T5_S5_lS7_S5_lT6_S5_li.kd
    .uniform_work_group_size: 1
    .uses_dynamic_stack: false
    .vgpr_count:     34
    .vgpr_spill_count: 0
    .wavefront_size: 64
  - .args:
      - .offset:         0
        .size:           1
        .value_kind:     by_value
      - .offset:         4
        .size:           4
        .value_kind:     by_value
      - .offset:         8
        .size:           4
        .value_kind:     by_value
      - .address_space:  global
        .offset:         16
        .size:           8
        .value_kind:     global_buffer
      - .address_space:  global
        .offset:         24
        .size:           8
        .value_kind:     global_buffer
      - .offset:         32
        .size:           4
        .value_kind:     by_value
      - .offset:         40
        .size:           8
        .value_kind:     by_value
      - .address_space:  global
        .offset:         48
        .size:           8
        .value_kind:     global_buffer
      - .offset:         56
        .size:           4
        .value_kind:     by_value
      - .offset:         64
        .size:           8
        .value_kind:     by_value
      - .address_space:  global
        .offset:         72
        .size:           8
        .value_kind:     global_buffer
      - .offset:         80
        .size:           4
        .value_kind:     by_value
      - .offset:         88
        .size:           8
        .value_kind:     by_value
      - .offset:         96
        .size:           4
        .value_kind:     by_value
    .group_segment_fixed_size: 32768
    .kernarg_segment_align: 8
    .kernarg_segment_size: 100
    .language:       OpenCL C
    .language_version:
      - 2
      - 0
    .max_flat_workgroup_size: 1024
    .name:           _ZL26rocblas_syr2k_her2k_kernelIiLb0ELb0ELb1ELi32EPK19rocblas_complex_numIdES3_PS1_EvbiT_T4_T5_S5_lS7_S5_lT6_S5_li
    .private_segment_fixed_size: 0
    .sgpr_count:     32
    .sgpr_spill_count: 0
    .symbol:         _ZL26rocblas_syr2k_her2k_kernelIiLb0ELb0ELb1ELi32EPK19rocblas_complex_numIdES3_PS1_EvbiT_T4_T5_S5_lS7_S5_lT6_S5_li.kd
    .uniform_work_group_size: 1
    .uses_dynamic_stack: false
    .vgpr_count:     36
    .vgpr_spill_count: 0
    .wavefront_size: 64
  - .args:
      - .offset:         0
        .size:           1
        .value_kind:     by_value
      - .offset:         4
        .size:           4
        .value_kind:     by_value
      - .offset:         8
        .size:           4
        .value_kind:     by_value
      - .offset:         12
        .size:           8
        .value_kind:     by_value
      - .address_space:  global
        .offset:         24
        .size:           8
        .value_kind:     global_buffer
      - .offset:         32
        .size:           4
        .value_kind:     by_value
      - .offset:         40
        .size:           8
        .value_kind:     by_value
      - .address_space:  global
        .offset:         48
        .size:           8
        .value_kind:     global_buffer
      - .offset:         56
        .size:           4
        .value_kind:     by_value
      - .offset:         64
        .size:           8
        .value_kind:     by_value
      - .address_space:  global
        .offset:         72
        .size:           8
        .value_kind:     global_buffer
      - .offset:         80
        .size:           4
        .value_kind:     by_value
      - .offset:         88
        .size:           8
        .value_kind:     by_value
      - .offset:         96
        .size:           4
        .value_kind:     by_value
    .group_segment_fixed_size: 16384
    .kernarg_segment_align: 8
    .kernarg_segment_size: 100
    .language:       OpenCL C
    .language_version:
      - 2
      - 0
    .max_flat_workgroup_size: 1024
    .name:           _ZL26rocblas_syr2k_her2k_kernelIiLb0ELb1ELb0ELi32E19rocblas_complex_numIfEPKS1_PS1_EvbiT_T4_T5_S5_lS7_S5_lT6_S5_li
    .private_segment_fixed_size: 0
    .sgpr_count:     32
    .sgpr_spill_count: 0
    .symbol:         _ZL26rocblas_syr2k_her2k_kernelIiLb0ELb1ELb0ELi32E19rocblas_complex_numIfEPKS1_PS1_EvbiT_T4_T5_S5_lS7_S5_lT6_S5_li.kd
    .uniform_work_group_size: 1
    .uses_dynamic_stack: false
    .vgpr_count:     38
    .vgpr_spill_count: 0
    .wavefront_size: 64
  - .args:
      - .offset:         0
        .size:           1
        .value_kind:     by_value
      - .offset:         4
        .size:           4
        .value_kind:     by_value
      - .offset:         8
        .size:           4
        .value_kind:     by_value
      - .offset:         12
        .size:           8
        .value_kind:     by_value
      - .address_space:  global
        .offset:         24
        .size:           8
        .value_kind:     global_buffer
      - .offset:         32
        .size:           4
        .value_kind:     by_value
      - .offset:         40
        .size:           8
        .value_kind:     by_value
      - .address_space:  global
        .offset:         48
        .size:           8
        .value_kind:     global_buffer
      - .offset:         56
        .size:           4
        .value_kind:     by_value
      - .offset:         64
        .size:           8
        .value_kind:     by_value
      - .address_space:  global
        .offset:         72
        .size:           8
        .value_kind:     global_buffer
      - .offset:         80
        .size:           4
        .value_kind:     by_value
      - .offset:         88
        .size:           8
        .value_kind:     by_value
      - .offset:         96
        .size:           4
        .value_kind:     by_value
    .group_segment_fixed_size: 16384
    .kernarg_segment_align: 8
    .kernarg_segment_size: 100
    .language:       OpenCL C
    .language_version:
      - 2
      - 0
    .max_flat_workgroup_size: 1024
    .name:           _ZL26rocblas_syr2k_her2k_kernelIiLb0ELb1ELb1ELi32E19rocblas_complex_numIfEPKS1_PS1_EvbiT_T4_T5_S5_lS7_S5_lT6_S5_li
    .private_segment_fixed_size: 0
    .sgpr_count:     28
    .sgpr_spill_count: 0
    .symbol:         _ZL26rocblas_syr2k_her2k_kernelIiLb0ELb1ELb1ELi32E19rocblas_complex_numIfEPKS1_PS1_EvbiT_T4_T5_S5_lS7_S5_lT6_S5_li.kd
    .uniform_work_group_size: 1
    .uses_dynamic_stack: false
    .vgpr_count:     38
    .vgpr_spill_count: 0
    .wavefront_size: 64
  - .args:
      - .offset:         0
        .size:           4
        .value_kind:     by_value
      - .offset:         4
        .size:           4
        .value_kind:     by_value
      - .address_space:  global
        .offset:         8
        .size:           8
        .value_kind:     global_buffer
      - .offset:         16
        .size:           4
        .value_kind:     by_value
      - .offset:         24
        .size:           8
        .value_kind:     by_value
      - .address_space:  global
        .offset:         32
        .size:           8
        .value_kind:     global_buffer
      - .offset:         40
        .size:           4
        .value_kind:     by_value
      - .offset:         48
        .size:           8
        .value_kind:     by_value
      - .address_space:  global
        .offset:         56
        .size:           8
        .value_kind:     global_buffer
      - .offset:         64
        .size:           4
        .value_kind:     by_value
      - .offset:         72
        .size:           8
        .value_kind:     by_value
      - .offset:         80
        .size:           4
        .value_kind:     by_value
    .group_segment_fixed_size: 4096
    .kernarg_segment_align: 8
    .kernarg_segment_size: 84
    .language:       OpenCL C
    .language_version:
      - 2
      - 0
    .max_flat_workgroup_size: 256
    .name:           _ZL37rocblas_syrkx_herkx_restricted_kernelIi19rocblas_complex_numIfELi16ELi32ELi8ELi1ELi1ELb1ELc84ELc76EKS1_S1_EviT_PT9_S3_lS5_S3_lPT10_S3_li
    .private_segment_fixed_size: 0
    .sgpr_count:     26
    .sgpr_spill_count: 0
    .symbol:         _ZL37rocblas_syrkx_herkx_restricted_kernelIi19rocblas_complex_numIfELi16ELi32ELi8ELi1ELi1ELb1ELc84ELc76EKS1_S1_EviT_PT9_S3_lS5_S3_lPT10_S3_li.kd
    .uniform_work_group_size: 1
    .uses_dynamic_stack: false
    .vgpr_count:     41
    .vgpr_spill_count: 0
    .wavefront_size: 64
  - .args:
      - .offset:         0
        .size:           4
        .value_kind:     by_value
      - .offset:         4
        .size:           4
        .value_kind:     by_value
      - .address_space:  global
        .offset:         8
        .size:           8
        .value_kind:     global_buffer
      - .offset:         16
        .size:           4
        .value_kind:     by_value
      - .offset:         24
        .size:           8
        .value_kind:     by_value
      - .address_space:  global
        .offset:         32
        .size:           8
        .value_kind:     global_buffer
      - .offset:         40
        .size:           4
        .value_kind:     by_value
      - .offset:         48
        .size:           8
        .value_kind:     by_value
      - .address_space:  global
        .offset:         56
        .size:           8
        .value_kind:     global_buffer
      - .offset:         64
        .size:           4
        .value_kind:     by_value
      - .offset:         72
        .size:           8
        .value_kind:     by_value
      - .offset:         80
        .size:           4
        .value_kind:     by_value
    .group_segment_fixed_size: 4096
    .kernarg_segment_align: 8
    .kernarg_segment_size: 84
    .language:       OpenCL C
    .language_version:
      - 2
      - 0
    .max_flat_workgroup_size: 256
    .name:           _ZL37rocblas_syrkx_herkx_restricted_kernelIi19rocblas_complex_numIfELi16ELi32ELi8ELi1ELi1ELb1ELc67ELc76EKS1_S1_EviT_PT9_S3_lS5_S3_lPT10_S3_li
    .private_segment_fixed_size: 0
    .sgpr_count:     26
    .sgpr_spill_count: 0
    .symbol:         _ZL37rocblas_syrkx_herkx_restricted_kernelIi19rocblas_complex_numIfELi16ELi32ELi8ELi1ELi1ELb1ELc67ELc76EKS1_S1_EviT_PT9_S3_lS5_S3_lPT10_S3_li.kd
    .uniform_work_group_size: 1
    .uses_dynamic_stack: false
    .vgpr_count:     41
    .vgpr_spill_count: 0
    .wavefront_size: 64
  - .args:
      - .offset:         0
        .size:           4
        .value_kind:     by_value
      - .offset:         4
        .size:           4
        .value_kind:     by_value
      - .address_space:  global
        .offset:         8
        .size:           8
        .value_kind:     global_buffer
      - .offset:         16
        .size:           4
        .value_kind:     by_value
      - .offset:         24
        .size:           8
        .value_kind:     by_value
      - .address_space:  global
        .offset:         32
        .size:           8
        .value_kind:     global_buffer
      - .offset:         40
        .size:           4
        .value_kind:     by_value
      - .offset:         48
        .size:           8
        .value_kind:     by_value
      - .address_space:  global
        .offset:         56
        .size:           8
        .value_kind:     global_buffer
      - .offset:         64
        .size:           4
        .value_kind:     by_value
      - .offset:         72
        .size:           8
        .value_kind:     by_value
      - .offset:         80
        .size:           4
        .value_kind:     by_value
    .group_segment_fixed_size: 4096
    .kernarg_segment_align: 8
    .kernarg_segment_size: 84
    .language:       OpenCL C
    .language_version:
      - 2
      - 0
    .max_flat_workgroup_size: 256
    .name:           _ZL37rocblas_syrkx_herkx_restricted_kernelIi19rocblas_complex_numIfELi16ELi32ELi8ELi1ELi1ELb1ELc78ELc76EKS1_S1_EviT_PT9_S3_lS5_S3_lPT10_S3_li
    .private_segment_fixed_size: 0
    .sgpr_count:     29
    .sgpr_spill_count: 0
    .symbol:         _ZL37rocblas_syrkx_herkx_restricted_kernelIi19rocblas_complex_numIfELi16ELi32ELi8ELi1ELi1ELb1ELc78ELc76EKS1_S1_EviT_PT9_S3_lS5_S3_lPT10_S3_li.kd
    .uniform_work_group_size: 1
    .uses_dynamic_stack: false
    .vgpr_count:     43
    .vgpr_spill_count: 0
    .wavefront_size: 64
  - .args:
      - .offset:         0
        .size:           4
        .value_kind:     by_value
      - .offset:         4
        .size:           4
        .value_kind:     by_value
      - .address_space:  global
        .offset:         8
        .size:           8
        .value_kind:     global_buffer
      - .offset:         16
        .size:           4
        .value_kind:     by_value
      - .offset:         24
        .size:           8
        .value_kind:     by_value
      - .address_space:  global
        .offset:         32
        .size:           8
        .value_kind:     global_buffer
      - .offset:         40
        .size:           4
        .value_kind:     by_value
      - .offset:         48
        .size:           8
        .value_kind:     by_value
      - .address_space:  global
        .offset:         56
        .size:           8
        .value_kind:     global_buffer
      - .offset:         64
        .size:           4
        .value_kind:     by_value
      - .offset:         72
        .size:           8
        .value_kind:     by_value
      - .offset:         80
        .size:           4
        .value_kind:     by_value
    .group_segment_fixed_size: 4096
    .kernarg_segment_align: 8
    .kernarg_segment_size: 84
    .language:       OpenCL C
    .language_version:
      - 2
      - 0
    .max_flat_workgroup_size: 256
    .name:           _ZL37rocblas_syrkx_herkx_restricted_kernelIi19rocblas_complex_numIfELi16ELi32ELi8ELi1ELi1ELb1ELc84ELc85EKS1_S1_EviT_PT9_S3_lS5_S3_lPT10_S3_li
    .private_segment_fixed_size: 0
    .sgpr_count:     26
    .sgpr_spill_count: 0
    .symbol:         _ZL37rocblas_syrkx_herkx_restricted_kernelIi19rocblas_complex_numIfELi16ELi32ELi8ELi1ELi1ELb1ELc84ELc85EKS1_S1_EviT_PT9_S3_lS5_S3_lPT10_S3_li.kd
    .uniform_work_group_size: 1
    .uses_dynamic_stack: false
    .vgpr_count:     41
    .vgpr_spill_count: 0
    .wavefront_size: 64
  - .args:
      - .offset:         0
        .size:           4
        .value_kind:     by_value
      - .offset:         4
        .size:           4
        .value_kind:     by_value
      - .address_space:  global
        .offset:         8
        .size:           8
        .value_kind:     global_buffer
      - .offset:         16
        .size:           4
        .value_kind:     by_value
      - .offset:         24
        .size:           8
        .value_kind:     by_value
      - .address_space:  global
        .offset:         32
        .size:           8
        .value_kind:     global_buffer
      - .offset:         40
        .size:           4
        .value_kind:     by_value
      - .offset:         48
        .size:           8
        .value_kind:     by_value
      - .address_space:  global
        .offset:         56
        .size:           8
        .value_kind:     global_buffer
      - .offset:         64
        .size:           4
        .value_kind:     by_value
      - .offset:         72
        .size:           8
        .value_kind:     by_value
      - .offset:         80
        .size:           4
        .value_kind:     by_value
    .group_segment_fixed_size: 4096
    .kernarg_segment_align: 8
    .kernarg_segment_size: 84
    .language:       OpenCL C
    .language_version:
      - 2
      - 0
    .max_flat_workgroup_size: 256
    .name:           _ZL37rocblas_syrkx_herkx_restricted_kernelIi19rocblas_complex_numIfELi16ELi32ELi8ELi1ELi1ELb1ELc67ELc85EKS1_S1_EviT_PT9_S3_lS5_S3_lPT10_S3_li
    .private_segment_fixed_size: 0
    .sgpr_count:     26
    .sgpr_spill_count: 0
    .symbol:         _ZL37rocblas_syrkx_herkx_restricted_kernelIi19rocblas_complex_numIfELi16ELi32ELi8ELi1ELi1ELb1ELc67ELc85EKS1_S1_EviT_PT9_S3_lS5_S3_lPT10_S3_li.kd
    .uniform_work_group_size: 1
    .uses_dynamic_stack: false
    .vgpr_count:     41
    .vgpr_spill_count: 0
    .wavefront_size: 64
  - .args:
      - .offset:         0
        .size:           4
        .value_kind:     by_value
      - .offset:         4
        .size:           4
        .value_kind:     by_value
      - .address_space:  global
        .offset:         8
        .size:           8
        .value_kind:     global_buffer
      - .offset:         16
        .size:           4
        .value_kind:     by_value
      - .offset:         24
        .size:           8
        .value_kind:     by_value
      - .address_space:  global
        .offset:         32
        .size:           8
        .value_kind:     global_buffer
      - .offset:         40
        .size:           4
        .value_kind:     by_value
      - .offset:         48
        .size:           8
        .value_kind:     by_value
      - .address_space:  global
        .offset:         56
        .size:           8
        .value_kind:     global_buffer
      - .offset:         64
        .size:           4
        .value_kind:     by_value
      - .offset:         72
        .size:           8
        .value_kind:     by_value
      - .offset:         80
        .size:           4
        .value_kind:     by_value
    .group_segment_fixed_size: 4096
    .kernarg_segment_align: 8
    .kernarg_segment_size: 84
    .language:       OpenCL C
    .language_version:
      - 2
      - 0
    .max_flat_workgroup_size: 256
    .name:           _ZL37rocblas_syrkx_herkx_restricted_kernelIi19rocblas_complex_numIfELi16ELi32ELi8ELi1ELi1ELb1ELc78ELc85EKS1_S1_EviT_PT9_S3_lS5_S3_lPT10_S3_li
    .private_segment_fixed_size: 0
    .sgpr_count:     29
    .sgpr_spill_count: 0
    .symbol:         _ZL37rocblas_syrkx_herkx_restricted_kernelIi19rocblas_complex_numIfELi16ELi32ELi8ELi1ELi1ELb1ELc78ELc85EKS1_S1_EviT_PT9_S3_lS5_S3_lPT10_S3_li.kd
    .uniform_work_group_size: 1
    .uses_dynamic_stack: false
    .vgpr_count:     43
    .vgpr_spill_count: 0
    .wavefront_size: 64
  - .args:
      - .offset:         0
        .size:           4
        .value_kind:     by_value
      - .offset:         4
        .size:           4
        .value_kind:     by_value
      - .address_space:  global
        .offset:         8
        .size:           8
        .value_kind:     global_buffer
      - .offset:         16
        .size:           4
        .value_kind:     by_value
      - .offset:         24
        .size:           8
        .value_kind:     by_value
      - .address_space:  global
        .offset:         32
        .size:           8
        .value_kind:     global_buffer
      - .offset:         40
        .size:           4
        .value_kind:     by_value
      - .offset:         48
        .size:           8
        .value_kind:     by_value
      - .address_space:  global
        .offset:         56
        .size:           8
        .value_kind:     global_buffer
      - .offset:         64
        .size:           4
        .value_kind:     by_value
      - .offset:         72
        .size:           8
        .value_kind:     by_value
      - .offset:         80
        .size:           4
        .value_kind:     by_value
    .group_segment_fixed_size: 4096
    .kernarg_segment_align: 8
    .kernarg_segment_size: 84
    .language:       OpenCL C
    .language_version:
      - 2
      - 0
    .max_flat_workgroup_size: 256
    .name:           _ZL37rocblas_syrkx_herkx_restricted_kernelIi19rocblas_complex_numIfELi16ELi32ELi8ELi1ELin1ELb1ELc84ELc76EKS1_S1_EviT_PT9_S3_lS5_S3_lPT10_S3_li
    .private_segment_fixed_size: 0
    .sgpr_count:     26
    .sgpr_spill_count: 0
    .symbol:         _ZL37rocblas_syrkx_herkx_restricted_kernelIi19rocblas_complex_numIfELi16ELi32ELi8ELi1ELin1ELb1ELc84ELc76EKS1_S1_EviT_PT9_S3_lS5_S3_lPT10_S3_li.kd
    .uniform_work_group_size: 1
    .uses_dynamic_stack: false
    .vgpr_count:     41
    .vgpr_spill_count: 0
    .wavefront_size: 64
  - .args:
      - .offset:         0
        .size:           4
        .value_kind:     by_value
      - .offset:         4
        .size:           4
        .value_kind:     by_value
      - .address_space:  global
        .offset:         8
        .size:           8
        .value_kind:     global_buffer
      - .offset:         16
        .size:           4
        .value_kind:     by_value
      - .offset:         24
        .size:           8
        .value_kind:     by_value
      - .address_space:  global
        .offset:         32
        .size:           8
        .value_kind:     global_buffer
      - .offset:         40
        .size:           4
        .value_kind:     by_value
      - .offset:         48
        .size:           8
        .value_kind:     by_value
      - .address_space:  global
        .offset:         56
        .size:           8
        .value_kind:     global_buffer
      - .offset:         64
        .size:           4
        .value_kind:     by_value
      - .offset:         72
        .size:           8
        .value_kind:     by_value
      - .offset:         80
        .size:           4
        .value_kind:     by_value
    .group_segment_fixed_size: 4096
    .kernarg_segment_align: 8
    .kernarg_segment_size: 84
    .language:       OpenCL C
    .language_version:
      - 2
      - 0
    .max_flat_workgroup_size: 256
    .name:           _ZL37rocblas_syrkx_herkx_restricted_kernelIi19rocblas_complex_numIfELi16ELi32ELi8ELi1ELin1ELb1ELc67ELc76EKS1_S1_EviT_PT9_S3_lS5_S3_lPT10_S3_li
    .private_segment_fixed_size: 0
    .sgpr_count:     26
    .sgpr_spill_count: 0
    .symbol:         _ZL37rocblas_syrkx_herkx_restricted_kernelIi19rocblas_complex_numIfELi16ELi32ELi8ELi1ELin1ELb1ELc67ELc76EKS1_S1_EviT_PT9_S3_lS5_S3_lPT10_S3_li.kd
    .uniform_work_group_size: 1
    .uses_dynamic_stack: false
    .vgpr_count:     41
    .vgpr_spill_count: 0
    .wavefront_size: 64
  - .args:
      - .offset:         0
        .size:           4
        .value_kind:     by_value
      - .offset:         4
        .size:           4
        .value_kind:     by_value
      - .address_space:  global
        .offset:         8
        .size:           8
        .value_kind:     global_buffer
      - .offset:         16
        .size:           4
        .value_kind:     by_value
      - .offset:         24
        .size:           8
        .value_kind:     by_value
      - .address_space:  global
        .offset:         32
        .size:           8
        .value_kind:     global_buffer
      - .offset:         40
        .size:           4
        .value_kind:     by_value
      - .offset:         48
        .size:           8
        .value_kind:     by_value
      - .address_space:  global
        .offset:         56
        .size:           8
        .value_kind:     global_buffer
      - .offset:         64
        .size:           4
        .value_kind:     by_value
      - .offset:         72
        .size:           8
        .value_kind:     by_value
      - .offset:         80
        .size:           4
        .value_kind:     by_value
    .group_segment_fixed_size: 4096
    .kernarg_segment_align: 8
    .kernarg_segment_size: 84
    .language:       OpenCL C
    .language_version:
      - 2
      - 0
    .max_flat_workgroup_size: 256
    .name:           _ZL37rocblas_syrkx_herkx_restricted_kernelIi19rocblas_complex_numIfELi16ELi32ELi8ELi1ELin1ELb1ELc78ELc76EKS1_S1_EviT_PT9_S3_lS5_S3_lPT10_S3_li
    .private_segment_fixed_size: 0
    .sgpr_count:     29
    .sgpr_spill_count: 0
    .symbol:         _ZL37rocblas_syrkx_herkx_restricted_kernelIi19rocblas_complex_numIfELi16ELi32ELi8ELi1ELin1ELb1ELc78ELc76EKS1_S1_EviT_PT9_S3_lS5_S3_lPT10_S3_li.kd
    .uniform_work_group_size: 1
    .uses_dynamic_stack: false
    .vgpr_count:     43
    .vgpr_spill_count: 0
    .wavefront_size: 64
  - .args:
      - .offset:         0
        .size:           4
        .value_kind:     by_value
      - .offset:         4
        .size:           4
        .value_kind:     by_value
      - .address_space:  global
        .offset:         8
        .size:           8
        .value_kind:     global_buffer
      - .offset:         16
        .size:           4
        .value_kind:     by_value
      - .offset:         24
        .size:           8
        .value_kind:     by_value
      - .address_space:  global
        .offset:         32
        .size:           8
        .value_kind:     global_buffer
      - .offset:         40
        .size:           4
        .value_kind:     by_value
      - .offset:         48
        .size:           8
        .value_kind:     by_value
      - .address_space:  global
        .offset:         56
        .size:           8
        .value_kind:     global_buffer
      - .offset:         64
        .size:           4
        .value_kind:     by_value
      - .offset:         72
        .size:           8
        .value_kind:     by_value
      - .offset:         80
        .size:           4
        .value_kind:     by_value
    .group_segment_fixed_size: 4096
    .kernarg_segment_align: 8
    .kernarg_segment_size: 84
    .language:       OpenCL C
    .language_version:
      - 2
      - 0
    .max_flat_workgroup_size: 256
    .name:           _ZL37rocblas_syrkx_herkx_restricted_kernelIi19rocblas_complex_numIfELi16ELi32ELi8ELi1ELin1ELb1ELc84ELc85EKS1_S1_EviT_PT9_S3_lS5_S3_lPT10_S3_li
    .private_segment_fixed_size: 0
    .sgpr_count:     26
    .sgpr_spill_count: 0
    .symbol:         _ZL37rocblas_syrkx_herkx_restricted_kernelIi19rocblas_complex_numIfELi16ELi32ELi8ELi1ELin1ELb1ELc84ELc85EKS1_S1_EviT_PT9_S3_lS5_S3_lPT10_S3_li.kd
    .uniform_work_group_size: 1
    .uses_dynamic_stack: false
    .vgpr_count:     41
    .vgpr_spill_count: 0
    .wavefront_size: 64
  - .args:
      - .offset:         0
        .size:           4
        .value_kind:     by_value
      - .offset:         4
        .size:           4
        .value_kind:     by_value
      - .address_space:  global
        .offset:         8
        .size:           8
        .value_kind:     global_buffer
      - .offset:         16
        .size:           4
        .value_kind:     by_value
      - .offset:         24
        .size:           8
        .value_kind:     by_value
      - .address_space:  global
        .offset:         32
        .size:           8
        .value_kind:     global_buffer
      - .offset:         40
        .size:           4
        .value_kind:     by_value
      - .offset:         48
        .size:           8
        .value_kind:     by_value
      - .address_space:  global
        .offset:         56
        .size:           8
        .value_kind:     global_buffer
      - .offset:         64
        .size:           4
        .value_kind:     by_value
      - .offset:         72
        .size:           8
        .value_kind:     by_value
      - .offset:         80
        .size:           4
        .value_kind:     by_value
    .group_segment_fixed_size: 4096
    .kernarg_segment_align: 8
    .kernarg_segment_size: 84
    .language:       OpenCL C
    .language_version:
      - 2
      - 0
    .max_flat_workgroup_size: 256
    .name:           _ZL37rocblas_syrkx_herkx_restricted_kernelIi19rocblas_complex_numIfELi16ELi32ELi8ELi1ELin1ELb1ELc67ELc85EKS1_S1_EviT_PT9_S3_lS5_S3_lPT10_S3_li
    .private_segment_fixed_size: 0
    .sgpr_count:     26
    .sgpr_spill_count: 0
    .symbol:         _ZL37rocblas_syrkx_herkx_restricted_kernelIi19rocblas_complex_numIfELi16ELi32ELi8ELi1ELin1ELb1ELc67ELc85EKS1_S1_EviT_PT9_S3_lS5_S3_lPT10_S3_li.kd
    .uniform_work_group_size: 1
    .uses_dynamic_stack: false
    .vgpr_count:     41
    .vgpr_spill_count: 0
    .wavefront_size: 64
  - .args:
      - .offset:         0
        .size:           4
        .value_kind:     by_value
      - .offset:         4
        .size:           4
        .value_kind:     by_value
      - .address_space:  global
        .offset:         8
        .size:           8
        .value_kind:     global_buffer
      - .offset:         16
        .size:           4
        .value_kind:     by_value
      - .offset:         24
        .size:           8
        .value_kind:     by_value
      - .address_space:  global
        .offset:         32
        .size:           8
        .value_kind:     global_buffer
      - .offset:         40
        .size:           4
        .value_kind:     by_value
      - .offset:         48
        .size:           8
        .value_kind:     by_value
      - .address_space:  global
        .offset:         56
        .size:           8
        .value_kind:     global_buffer
      - .offset:         64
        .size:           4
        .value_kind:     by_value
      - .offset:         72
        .size:           8
        .value_kind:     by_value
      - .offset:         80
        .size:           4
        .value_kind:     by_value
    .group_segment_fixed_size: 4096
    .kernarg_segment_align: 8
    .kernarg_segment_size: 84
    .language:       OpenCL C
    .language_version:
      - 2
      - 0
    .max_flat_workgroup_size: 256
    .name:           _ZL37rocblas_syrkx_herkx_restricted_kernelIi19rocblas_complex_numIfELi16ELi32ELi8ELi1ELin1ELb1ELc78ELc85EKS1_S1_EviT_PT9_S3_lS5_S3_lPT10_S3_li
    .private_segment_fixed_size: 0
    .sgpr_count:     29
    .sgpr_spill_count: 0
    .symbol:         _ZL37rocblas_syrkx_herkx_restricted_kernelIi19rocblas_complex_numIfELi16ELi32ELi8ELi1ELin1ELb1ELc78ELc85EKS1_S1_EviT_PT9_S3_lS5_S3_lPT10_S3_li.kd
    .uniform_work_group_size: 1
    .uses_dynamic_stack: false
    .vgpr_count:     43
    .vgpr_spill_count: 0
    .wavefront_size: 64
  - .args:
      - .offset:         0
        .size:           4
        .value_kind:     by_value
      - .offset:         4
        .size:           4
        .value_kind:     by_value
      - .address_space:  global
        .offset:         8
        .size:           8
        .value_kind:     global_buffer
      - .offset:         16
        .size:           4
        .value_kind:     by_value
      - .offset:         24
        .size:           8
        .value_kind:     by_value
      - .address_space:  global
        .offset:         32
        .size:           8
        .value_kind:     global_buffer
      - .offset:         40
        .size:           4
        .value_kind:     by_value
      - .offset:         48
        .size:           8
        .value_kind:     by_value
      - .address_space:  global
        .offset:         56
        .size:           8
        .value_kind:     global_buffer
      - .offset:         64
        .size:           4
        .value_kind:     by_value
      - .offset:         72
        .size:           8
        .value_kind:     by_value
      - .offset:         80
        .size:           4
        .value_kind:     by_value
    .group_segment_fixed_size: 4096
    .kernarg_segment_align: 8
    .kernarg_segment_size: 84
    .language:       OpenCL C
    .language_version:
      - 2
      - 0
    .max_flat_workgroup_size: 256
    .name:           _ZL37rocblas_syrkx_herkx_restricted_kernelIi19rocblas_complex_numIfELi16ELi32ELi8ELi1ELi0ELb1ELc84ELc76EKS1_S1_EviT_PT9_S3_lS5_S3_lPT10_S3_li
    .private_segment_fixed_size: 0
    .sgpr_count:     26
    .sgpr_spill_count: 0
    .symbol:         _ZL37rocblas_syrkx_herkx_restricted_kernelIi19rocblas_complex_numIfELi16ELi32ELi8ELi1ELi0ELb1ELc84ELc76EKS1_S1_EviT_PT9_S3_lS5_S3_lPT10_S3_li.kd
    .uniform_work_group_size: 1
    .uses_dynamic_stack: false
    .vgpr_count:     41
    .vgpr_spill_count: 0
    .wavefront_size: 64
  - .args:
      - .offset:         0
        .size:           4
        .value_kind:     by_value
      - .offset:         4
        .size:           4
        .value_kind:     by_value
      - .address_space:  global
        .offset:         8
        .size:           8
        .value_kind:     global_buffer
      - .offset:         16
        .size:           4
        .value_kind:     by_value
      - .offset:         24
        .size:           8
        .value_kind:     by_value
      - .address_space:  global
        .offset:         32
        .size:           8
        .value_kind:     global_buffer
      - .offset:         40
        .size:           4
        .value_kind:     by_value
      - .offset:         48
        .size:           8
        .value_kind:     by_value
      - .address_space:  global
        .offset:         56
        .size:           8
        .value_kind:     global_buffer
      - .offset:         64
        .size:           4
        .value_kind:     by_value
      - .offset:         72
        .size:           8
        .value_kind:     by_value
      - .offset:         80
        .size:           4
        .value_kind:     by_value
    .group_segment_fixed_size: 4096
    .kernarg_segment_align: 8
    .kernarg_segment_size: 84
    .language:       OpenCL C
    .language_version:
      - 2
      - 0
    .max_flat_workgroup_size: 256
    .name:           _ZL37rocblas_syrkx_herkx_restricted_kernelIi19rocblas_complex_numIfELi16ELi32ELi8ELi1ELi0ELb1ELc67ELc76EKS1_S1_EviT_PT9_S3_lS5_S3_lPT10_S3_li
    .private_segment_fixed_size: 0
    .sgpr_count:     26
    .sgpr_spill_count: 0
    .symbol:         _ZL37rocblas_syrkx_herkx_restricted_kernelIi19rocblas_complex_numIfELi16ELi32ELi8ELi1ELi0ELb1ELc67ELc76EKS1_S1_EviT_PT9_S3_lS5_S3_lPT10_S3_li.kd
    .uniform_work_group_size: 1
    .uses_dynamic_stack: false
    .vgpr_count:     41
    .vgpr_spill_count: 0
    .wavefront_size: 64
  - .args:
      - .offset:         0
        .size:           4
        .value_kind:     by_value
      - .offset:         4
        .size:           4
        .value_kind:     by_value
      - .address_space:  global
        .offset:         8
        .size:           8
        .value_kind:     global_buffer
      - .offset:         16
        .size:           4
        .value_kind:     by_value
      - .offset:         24
        .size:           8
        .value_kind:     by_value
      - .address_space:  global
        .offset:         32
        .size:           8
        .value_kind:     global_buffer
      - .offset:         40
        .size:           4
        .value_kind:     by_value
      - .offset:         48
        .size:           8
        .value_kind:     by_value
      - .address_space:  global
        .offset:         56
        .size:           8
        .value_kind:     global_buffer
      - .offset:         64
        .size:           4
        .value_kind:     by_value
      - .offset:         72
        .size:           8
        .value_kind:     by_value
      - .offset:         80
        .size:           4
        .value_kind:     by_value
    .group_segment_fixed_size: 4096
    .kernarg_segment_align: 8
    .kernarg_segment_size: 84
    .language:       OpenCL C
    .language_version:
      - 2
      - 0
    .max_flat_workgroup_size: 256
    .name:           _ZL37rocblas_syrkx_herkx_restricted_kernelIi19rocblas_complex_numIfELi16ELi32ELi8ELi1ELi0ELb1ELc78ELc76EKS1_S1_EviT_PT9_S3_lS5_S3_lPT10_S3_li
    .private_segment_fixed_size: 0
    .sgpr_count:     29
    .sgpr_spill_count: 0
    .symbol:         _ZL37rocblas_syrkx_herkx_restricted_kernelIi19rocblas_complex_numIfELi16ELi32ELi8ELi1ELi0ELb1ELc78ELc76EKS1_S1_EviT_PT9_S3_lS5_S3_lPT10_S3_li.kd
    .uniform_work_group_size: 1
    .uses_dynamic_stack: false
    .vgpr_count:     44
    .vgpr_spill_count: 0
    .wavefront_size: 64
  - .args:
      - .offset:         0
        .size:           4
        .value_kind:     by_value
      - .offset:         4
        .size:           4
        .value_kind:     by_value
      - .address_space:  global
        .offset:         8
        .size:           8
        .value_kind:     global_buffer
      - .offset:         16
        .size:           4
        .value_kind:     by_value
      - .offset:         24
        .size:           8
        .value_kind:     by_value
      - .address_space:  global
        .offset:         32
        .size:           8
        .value_kind:     global_buffer
      - .offset:         40
        .size:           4
        .value_kind:     by_value
      - .offset:         48
        .size:           8
        .value_kind:     by_value
      - .address_space:  global
        .offset:         56
        .size:           8
        .value_kind:     global_buffer
      - .offset:         64
        .size:           4
        .value_kind:     by_value
      - .offset:         72
        .size:           8
        .value_kind:     by_value
      - .offset:         80
        .size:           4
        .value_kind:     by_value
    .group_segment_fixed_size: 4096
    .kernarg_segment_align: 8
    .kernarg_segment_size: 84
    .language:       OpenCL C
    .language_version:
      - 2
      - 0
    .max_flat_workgroup_size: 256
    .name:           _ZL37rocblas_syrkx_herkx_restricted_kernelIi19rocblas_complex_numIfELi16ELi32ELi8ELi1ELi0ELb1ELc84ELc85EKS1_S1_EviT_PT9_S3_lS5_S3_lPT10_S3_li
    .private_segment_fixed_size: 0
    .sgpr_count:     26
    .sgpr_spill_count: 0
    .symbol:         _ZL37rocblas_syrkx_herkx_restricted_kernelIi19rocblas_complex_numIfELi16ELi32ELi8ELi1ELi0ELb1ELc84ELc85EKS1_S1_EviT_PT9_S3_lS5_S3_lPT10_S3_li.kd
    .uniform_work_group_size: 1
    .uses_dynamic_stack: false
    .vgpr_count:     41
    .vgpr_spill_count: 0
    .wavefront_size: 64
  - .args:
      - .offset:         0
        .size:           4
        .value_kind:     by_value
      - .offset:         4
        .size:           4
        .value_kind:     by_value
      - .address_space:  global
        .offset:         8
        .size:           8
        .value_kind:     global_buffer
      - .offset:         16
        .size:           4
        .value_kind:     by_value
      - .offset:         24
        .size:           8
        .value_kind:     by_value
      - .address_space:  global
        .offset:         32
        .size:           8
        .value_kind:     global_buffer
      - .offset:         40
        .size:           4
        .value_kind:     by_value
      - .offset:         48
        .size:           8
        .value_kind:     by_value
      - .address_space:  global
        .offset:         56
        .size:           8
        .value_kind:     global_buffer
      - .offset:         64
        .size:           4
        .value_kind:     by_value
      - .offset:         72
        .size:           8
        .value_kind:     by_value
      - .offset:         80
        .size:           4
        .value_kind:     by_value
    .group_segment_fixed_size: 4096
    .kernarg_segment_align: 8
    .kernarg_segment_size: 84
    .language:       OpenCL C
    .language_version:
      - 2
      - 0
    .max_flat_workgroup_size: 256
    .name:           _ZL37rocblas_syrkx_herkx_restricted_kernelIi19rocblas_complex_numIfELi16ELi32ELi8ELi1ELi0ELb1ELc67ELc85EKS1_S1_EviT_PT9_S3_lS5_S3_lPT10_S3_li
    .private_segment_fixed_size: 0
    .sgpr_count:     26
    .sgpr_spill_count: 0
    .symbol:         _ZL37rocblas_syrkx_herkx_restricted_kernelIi19rocblas_complex_numIfELi16ELi32ELi8ELi1ELi0ELb1ELc67ELc85EKS1_S1_EviT_PT9_S3_lS5_S3_lPT10_S3_li.kd
    .uniform_work_group_size: 1
    .uses_dynamic_stack: false
    .vgpr_count:     41
    .vgpr_spill_count: 0
    .wavefront_size: 64
  - .args:
      - .offset:         0
        .size:           4
        .value_kind:     by_value
      - .offset:         4
        .size:           4
        .value_kind:     by_value
      - .address_space:  global
        .offset:         8
        .size:           8
        .value_kind:     global_buffer
      - .offset:         16
        .size:           4
        .value_kind:     by_value
      - .offset:         24
        .size:           8
        .value_kind:     by_value
      - .address_space:  global
        .offset:         32
        .size:           8
        .value_kind:     global_buffer
      - .offset:         40
        .size:           4
        .value_kind:     by_value
      - .offset:         48
        .size:           8
        .value_kind:     by_value
      - .address_space:  global
        .offset:         56
        .size:           8
        .value_kind:     global_buffer
      - .offset:         64
        .size:           4
        .value_kind:     by_value
      - .offset:         72
        .size:           8
        .value_kind:     by_value
      - .offset:         80
        .size:           4
        .value_kind:     by_value
    .group_segment_fixed_size: 4096
    .kernarg_segment_align: 8
    .kernarg_segment_size: 84
    .language:       OpenCL C
    .language_version:
      - 2
      - 0
    .max_flat_workgroup_size: 256
    .name:           _ZL37rocblas_syrkx_herkx_restricted_kernelIi19rocblas_complex_numIfELi16ELi32ELi8ELi1ELi0ELb1ELc78ELc85EKS1_S1_EviT_PT9_S3_lS5_S3_lPT10_S3_li
    .private_segment_fixed_size: 0
    .sgpr_count:     29
    .sgpr_spill_count: 0
    .symbol:         _ZL37rocblas_syrkx_herkx_restricted_kernelIi19rocblas_complex_numIfELi16ELi32ELi8ELi1ELi0ELb1ELc78ELc85EKS1_S1_EviT_PT9_S3_lS5_S3_lPT10_S3_li.kd
    .uniform_work_group_size: 1
    .uses_dynamic_stack: false
    .vgpr_count:     44
    .vgpr_spill_count: 0
    .wavefront_size: 64
  - .args:
      - .offset:         0
        .size:           4
        .value_kind:     by_value
      - .offset:         4
        .size:           4
        .value_kind:     by_value
      - .address_space:  global
        .offset:         8
        .size:           8
        .value_kind:     global_buffer
      - .offset:         16
        .size:           4
        .value_kind:     by_value
      - .offset:         24
        .size:           8
        .value_kind:     by_value
      - .address_space:  global
        .offset:         32
        .size:           8
        .value_kind:     global_buffer
      - .offset:         40
        .size:           4
        .value_kind:     by_value
      - .offset:         48
        .size:           8
        .value_kind:     by_value
      - .address_space:  global
        .offset:         56
        .size:           8
        .value_kind:     global_buffer
      - .offset:         64
        .size:           4
        .value_kind:     by_value
      - .offset:         72
        .size:           8
        .value_kind:     by_value
      - .offset:         80
        .size:           4
        .value_kind:     by_value
    .group_segment_fixed_size: 4096
    .kernarg_segment_align: 8
    .kernarg_segment_size: 84
    .language:       OpenCL C
    .language_version:
      - 2
      - 0
    .max_flat_workgroup_size: 256
    .name:           _ZL37rocblas_syrkx_herkx_restricted_kernelIi19rocblas_complex_numIfELi16ELi32ELi8ELin1ELi0ELb1ELc84ELc76EKS1_S1_EviT_PT9_S3_lS5_S3_lPT10_S3_li
    .private_segment_fixed_size: 0
    .sgpr_count:     26
    .sgpr_spill_count: 0
    .symbol:         _ZL37rocblas_syrkx_herkx_restricted_kernelIi19rocblas_complex_numIfELi16ELi32ELi8ELin1ELi0ELb1ELc84ELc76EKS1_S1_EviT_PT9_S3_lS5_S3_lPT10_S3_li.kd
    .uniform_work_group_size: 1
    .uses_dynamic_stack: false
    .vgpr_count:     41
    .vgpr_spill_count: 0
    .wavefront_size: 64
  - .args:
      - .offset:         0
        .size:           4
        .value_kind:     by_value
      - .offset:         4
        .size:           4
        .value_kind:     by_value
      - .address_space:  global
        .offset:         8
        .size:           8
        .value_kind:     global_buffer
      - .offset:         16
        .size:           4
        .value_kind:     by_value
      - .offset:         24
        .size:           8
        .value_kind:     by_value
      - .address_space:  global
        .offset:         32
        .size:           8
        .value_kind:     global_buffer
      - .offset:         40
        .size:           4
        .value_kind:     by_value
      - .offset:         48
        .size:           8
        .value_kind:     by_value
      - .address_space:  global
        .offset:         56
        .size:           8
        .value_kind:     global_buffer
      - .offset:         64
        .size:           4
        .value_kind:     by_value
      - .offset:         72
        .size:           8
        .value_kind:     by_value
      - .offset:         80
        .size:           4
        .value_kind:     by_value
    .group_segment_fixed_size: 4096
    .kernarg_segment_align: 8
    .kernarg_segment_size: 84
    .language:       OpenCL C
    .language_version:
      - 2
      - 0
    .max_flat_workgroup_size: 256
    .name:           _ZL37rocblas_syrkx_herkx_restricted_kernelIi19rocblas_complex_numIfELi16ELi32ELi8ELin1ELi0ELb1ELc67ELc76EKS1_S1_EviT_PT9_S3_lS5_S3_lPT10_S3_li
    .private_segment_fixed_size: 0
    .sgpr_count:     26
    .sgpr_spill_count: 0
    .symbol:         _ZL37rocblas_syrkx_herkx_restricted_kernelIi19rocblas_complex_numIfELi16ELi32ELi8ELin1ELi0ELb1ELc67ELc76EKS1_S1_EviT_PT9_S3_lS5_S3_lPT10_S3_li.kd
    .uniform_work_group_size: 1
    .uses_dynamic_stack: false
    .vgpr_count:     41
    .vgpr_spill_count: 0
    .wavefront_size: 64
  - .args:
      - .offset:         0
        .size:           4
        .value_kind:     by_value
      - .offset:         4
        .size:           4
        .value_kind:     by_value
      - .address_space:  global
        .offset:         8
        .size:           8
        .value_kind:     global_buffer
      - .offset:         16
        .size:           4
        .value_kind:     by_value
      - .offset:         24
        .size:           8
        .value_kind:     by_value
      - .address_space:  global
        .offset:         32
        .size:           8
        .value_kind:     global_buffer
      - .offset:         40
        .size:           4
        .value_kind:     by_value
      - .offset:         48
        .size:           8
        .value_kind:     by_value
      - .address_space:  global
        .offset:         56
        .size:           8
        .value_kind:     global_buffer
      - .offset:         64
        .size:           4
        .value_kind:     by_value
      - .offset:         72
        .size:           8
        .value_kind:     by_value
      - .offset:         80
        .size:           4
        .value_kind:     by_value
    .group_segment_fixed_size: 4096
    .kernarg_segment_align: 8
    .kernarg_segment_size: 84
    .language:       OpenCL C
    .language_version:
      - 2
      - 0
    .max_flat_workgroup_size: 256
    .name:           _ZL37rocblas_syrkx_herkx_restricted_kernelIi19rocblas_complex_numIfELi16ELi32ELi8ELin1ELi0ELb1ELc78ELc76EKS1_S1_EviT_PT9_S3_lS5_S3_lPT10_S3_li
    .private_segment_fixed_size: 0
    .sgpr_count:     29
    .sgpr_spill_count: 0
    .symbol:         _ZL37rocblas_syrkx_herkx_restricted_kernelIi19rocblas_complex_numIfELi16ELi32ELi8ELin1ELi0ELb1ELc78ELc76EKS1_S1_EviT_PT9_S3_lS5_S3_lPT10_S3_li.kd
    .uniform_work_group_size: 1
    .uses_dynamic_stack: false
    .vgpr_count:     43
    .vgpr_spill_count: 0
    .wavefront_size: 64
  - .args:
      - .offset:         0
        .size:           4
        .value_kind:     by_value
      - .offset:         4
        .size:           4
        .value_kind:     by_value
      - .address_space:  global
        .offset:         8
        .size:           8
        .value_kind:     global_buffer
      - .offset:         16
        .size:           4
        .value_kind:     by_value
      - .offset:         24
        .size:           8
        .value_kind:     by_value
      - .address_space:  global
        .offset:         32
        .size:           8
        .value_kind:     global_buffer
      - .offset:         40
        .size:           4
        .value_kind:     by_value
      - .offset:         48
        .size:           8
        .value_kind:     by_value
      - .address_space:  global
        .offset:         56
        .size:           8
        .value_kind:     global_buffer
      - .offset:         64
        .size:           4
        .value_kind:     by_value
      - .offset:         72
        .size:           8
        .value_kind:     by_value
      - .offset:         80
        .size:           4
        .value_kind:     by_value
    .group_segment_fixed_size: 4096
    .kernarg_segment_align: 8
    .kernarg_segment_size: 84
    .language:       OpenCL C
    .language_version:
      - 2
      - 0
    .max_flat_workgroup_size: 256
    .name:           _ZL37rocblas_syrkx_herkx_restricted_kernelIi19rocblas_complex_numIfELi16ELi32ELi8ELin1ELi0ELb1ELc84ELc85EKS1_S1_EviT_PT9_S3_lS5_S3_lPT10_S3_li
    .private_segment_fixed_size: 0
    .sgpr_count:     26
    .sgpr_spill_count: 0
    .symbol:         _ZL37rocblas_syrkx_herkx_restricted_kernelIi19rocblas_complex_numIfELi16ELi32ELi8ELin1ELi0ELb1ELc84ELc85EKS1_S1_EviT_PT9_S3_lS5_S3_lPT10_S3_li.kd
    .uniform_work_group_size: 1
    .uses_dynamic_stack: false
    .vgpr_count:     41
    .vgpr_spill_count: 0
    .wavefront_size: 64
  - .args:
      - .offset:         0
        .size:           4
        .value_kind:     by_value
      - .offset:         4
        .size:           4
        .value_kind:     by_value
      - .address_space:  global
        .offset:         8
        .size:           8
        .value_kind:     global_buffer
      - .offset:         16
        .size:           4
        .value_kind:     by_value
      - .offset:         24
        .size:           8
        .value_kind:     by_value
      - .address_space:  global
        .offset:         32
        .size:           8
        .value_kind:     global_buffer
      - .offset:         40
        .size:           4
        .value_kind:     by_value
      - .offset:         48
        .size:           8
        .value_kind:     by_value
      - .address_space:  global
        .offset:         56
        .size:           8
        .value_kind:     global_buffer
      - .offset:         64
        .size:           4
        .value_kind:     by_value
      - .offset:         72
        .size:           8
        .value_kind:     by_value
      - .offset:         80
        .size:           4
        .value_kind:     by_value
    .group_segment_fixed_size: 4096
    .kernarg_segment_align: 8
    .kernarg_segment_size: 84
    .language:       OpenCL C
    .language_version:
      - 2
      - 0
    .max_flat_workgroup_size: 256
    .name:           _ZL37rocblas_syrkx_herkx_restricted_kernelIi19rocblas_complex_numIfELi16ELi32ELi8ELin1ELi0ELb1ELc67ELc85EKS1_S1_EviT_PT9_S3_lS5_S3_lPT10_S3_li
    .private_segment_fixed_size: 0
    .sgpr_count:     26
    .sgpr_spill_count: 0
    .symbol:         _ZL37rocblas_syrkx_herkx_restricted_kernelIi19rocblas_complex_numIfELi16ELi32ELi8ELin1ELi0ELb1ELc67ELc85EKS1_S1_EviT_PT9_S3_lS5_S3_lPT10_S3_li.kd
    .uniform_work_group_size: 1
    .uses_dynamic_stack: false
    .vgpr_count:     41
    .vgpr_spill_count: 0
    .wavefront_size: 64
  - .args:
      - .offset:         0
        .size:           4
        .value_kind:     by_value
      - .offset:         4
        .size:           4
        .value_kind:     by_value
      - .address_space:  global
        .offset:         8
        .size:           8
        .value_kind:     global_buffer
      - .offset:         16
        .size:           4
        .value_kind:     by_value
      - .offset:         24
        .size:           8
        .value_kind:     by_value
      - .address_space:  global
        .offset:         32
        .size:           8
        .value_kind:     global_buffer
      - .offset:         40
        .size:           4
        .value_kind:     by_value
      - .offset:         48
        .size:           8
        .value_kind:     by_value
      - .address_space:  global
        .offset:         56
        .size:           8
        .value_kind:     global_buffer
      - .offset:         64
        .size:           4
        .value_kind:     by_value
      - .offset:         72
        .size:           8
        .value_kind:     by_value
      - .offset:         80
        .size:           4
        .value_kind:     by_value
    .group_segment_fixed_size: 4096
    .kernarg_segment_align: 8
    .kernarg_segment_size: 84
    .language:       OpenCL C
    .language_version:
      - 2
      - 0
    .max_flat_workgroup_size: 256
    .name:           _ZL37rocblas_syrkx_herkx_restricted_kernelIi19rocblas_complex_numIfELi16ELi32ELi8ELin1ELi0ELb1ELc78ELc85EKS1_S1_EviT_PT9_S3_lS5_S3_lPT10_S3_li
    .private_segment_fixed_size: 0
    .sgpr_count:     29
    .sgpr_spill_count: 0
    .symbol:         _ZL37rocblas_syrkx_herkx_restricted_kernelIi19rocblas_complex_numIfELi16ELi32ELi8ELin1ELi0ELb1ELc78ELc85EKS1_S1_EviT_PT9_S3_lS5_S3_lPT10_S3_li.kd
    .uniform_work_group_size: 1
    .uses_dynamic_stack: false
    .vgpr_count:     43
    .vgpr_spill_count: 0
    .wavefront_size: 64
  - .args:
      - .offset:         0
        .size:           4
        .value_kind:     by_value
      - .offset:         4
        .size:           4
        .value_kind:     by_value
      - .offset:         8
        .size:           8
        .value_kind:     by_value
      - .address_space:  global
        .offset:         16
        .size:           8
        .value_kind:     global_buffer
      - .offset:         24
        .size:           4
        .value_kind:     by_value
      - .offset:         32
        .size:           8
        .value_kind:     by_value
      - .address_space:  global
        .offset:         40
        .size:           8
        .value_kind:     global_buffer
      - .offset:         48
        .size:           4
        .value_kind:     by_value
      - .offset:         56
        .size:           8
        .value_kind:     by_value
      - .offset:         64
        .size:           8
        .value_kind:     by_value
      - .address_space:  global
        .offset:         72
        .size:           8
        .value_kind:     global_buffer
      - .offset:         80
        .size:           4
        .value_kind:     by_value
      - .offset:         88
        .size:           8
        .value_kind:     by_value
      - .offset:         96
        .size:           4
        .value_kind:     by_value
    .group_segment_fixed_size: 4096
    .kernarg_segment_align: 8
    .kernarg_segment_size: 100
    .language:       OpenCL C
    .language_version:
      - 2
      - 0
    .max_flat_workgroup_size: 256
    .name:           _ZL37rocblas_syrkx_herkx_restricted_kernelIi19rocblas_complex_numIfELi16ELi32ELi8ELb1ELb1ELc84ELc76EKS1_S1_EviT_T0_PT8_S3_lS6_S3_lS4_PT9_S3_li
    .private_segment_fixed_size: 0
    .sgpr_count:     26
    .sgpr_spill_count: 0
    .symbol:         _ZL37rocblas_syrkx_herkx_restricted_kernelIi19rocblas_complex_numIfELi16ELi32ELi8ELb1ELb1ELc84ELc76EKS1_S1_EviT_T0_PT8_S3_lS6_S3_lS4_PT9_S3_li.kd
    .uniform_work_group_size: 1
    .uses_dynamic_stack: false
    .vgpr_count:     41
    .vgpr_spill_count: 0
    .wavefront_size: 64
  - .args:
      - .offset:         0
        .size:           4
        .value_kind:     by_value
      - .offset:         4
        .size:           4
        .value_kind:     by_value
      - .offset:         8
        .size:           8
        .value_kind:     by_value
      - .address_space:  global
        .offset:         16
        .size:           8
        .value_kind:     global_buffer
      - .offset:         24
        .size:           4
        .value_kind:     by_value
      - .offset:         32
        .size:           8
        .value_kind:     by_value
      - .address_space:  global
        .offset:         40
        .size:           8
        .value_kind:     global_buffer
      - .offset:         48
        .size:           4
        .value_kind:     by_value
      - .offset:         56
        .size:           8
        .value_kind:     by_value
      - .offset:         64
        .size:           8
        .value_kind:     by_value
      - .address_space:  global
        .offset:         72
        .size:           8
        .value_kind:     global_buffer
      - .offset:         80
        .size:           4
        .value_kind:     by_value
      - .offset:         88
        .size:           8
        .value_kind:     by_value
      - .offset:         96
        .size:           4
        .value_kind:     by_value
    .group_segment_fixed_size: 4096
    .kernarg_segment_align: 8
    .kernarg_segment_size: 100
    .language:       OpenCL C
    .language_version:
      - 2
      - 0
    .max_flat_workgroup_size: 256
    .name:           _ZL37rocblas_syrkx_herkx_restricted_kernelIi19rocblas_complex_numIfELi16ELi32ELi8ELb1ELb1ELc67ELc76EKS1_S1_EviT_T0_PT8_S3_lS6_S3_lS4_PT9_S3_li
    .private_segment_fixed_size: 0
    .sgpr_count:     26
    .sgpr_spill_count: 0
    .symbol:         _ZL37rocblas_syrkx_herkx_restricted_kernelIi19rocblas_complex_numIfELi16ELi32ELi8ELb1ELb1ELc67ELc76EKS1_S1_EviT_T0_PT8_S3_lS6_S3_lS4_PT9_S3_li.kd
    .uniform_work_group_size: 1
    .uses_dynamic_stack: false
    .vgpr_count:     41
    .vgpr_spill_count: 0
    .wavefront_size: 64
  - .args:
      - .offset:         0
        .size:           4
        .value_kind:     by_value
      - .offset:         4
        .size:           4
        .value_kind:     by_value
      - .offset:         8
        .size:           8
        .value_kind:     by_value
      - .address_space:  global
        .offset:         16
        .size:           8
        .value_kind:     global_buffer
      - .offset:         24
        .size:           4
        .value_kind:     by_value
      - .offset:         32
        .size:           8
        .value_kind:     by_value
      - .address_space:  global
        .offset:         40
        .size:           8
        .value_kind:     global_buffer
      - .offset:         48
        .size:           4
        .value_kind:     by_value
      - .offset:         56
        .size:           8
        .value_kind:     by_value
      - .offset:         64
        .size:           8
        .value_kind:     by_value
      - .address_space:  global
        .offset:         72
        .size:           8
        .value_kind:     global_buffer
      - .offset:         80
        .size:           4
        .value_kind:     by_value
      - .offset:         88
        .size:           8
        .value_kind:     by_value
      - .offset:         96
        .size:           4
        .value_kind:     by_value
    .group_segment_fixed_size: 4096
    .kernarg_segment_align: 8
    .kernarg_segment_size: 100
    .language:       OpenCL C
    .language_version:
      - 2
      - 0
    .max_flat_workgroup_size: 256
    .name:           _ZL37rocblas_syrkx_herkx_restricted_kernelIi19rocblas_complex_numIfELi16ELi32ELi8ELb1ELb1ELc78ELc76EKS1_S1_EviT_T0_PT8_S3_lS6_S3_lS4_PT9_S3_li
    .private_segment_fixed_size: 0
    .sgpr_count:     29
    .sgpr_spill_count: 0
    .symbol:         _ZL37rocblas_syrkx_herkx_restricted_kernelIi19rocblas_complex_numIfELi16ELi32ELi8ELb1ELb1ELc78ELc76EKS1_S1_EviT_T0_PT8_S3_lS6_S3_lS4_PT9_S3_li.kd
    .uniform_work_group_size: 1
    .uses_dynamic_stack: false
    .vgpr_count:     43
    .vgpr_spill_count: 0
    .wavefront_size: 64
  - .args:
      - .offset:         0
        .size:           4
        .value_kind:     by_value
      - .offset:         4
        .size:           4
        .value_kind:     by_value
      - .offset:         8
        .size:           8
        .value_kind:     by_value
      - .address_space:  global
        .offset:         16
        .size:           8
        .value_kind:     global_buffer
      - .offset:         24
        .size:           4
        .value_kind:     by_value
      - .offset:         32
        .size:           8
        .value_kind:     by_value
      - .address_space:  global
        .offset:         40
        .size:           8
        .value_kind:     global_buffer
      - .offset:         48
        .size:           4
        .value_kind:     by_value
      - .offset:         56
        .size:           8
        .value_kind:     by_value
      - .offset:         64
        .size:           8
        .value_kind:     by_value
      - .address_space:  global
        .offset:         72
        .size:           8
        .value_kind:     global_buffer
      - .offset:         80
        .size:           4
        .value_kind:     by_value
      - .offset:         88
        .size:           8
        .value_kind:     by_value
      - .offset:         96
        .size:           4
        .value_kind:     by_value
    .group_segment_fixed_size: 4096
    .kernarg_segment_align: 8
    .kernarg_segment_size: 100
    .language:       OpenCL C
    .language_version:
      - 2
      - 0
    .max_flat_workgroup_size: 256
    .name:           _ZL37rocblas_syrkx_herkx_restricted_kernelIi19rocblas_complex_numIfELi16ELi32ELi8ELb1ELb1ELc84ELc85EKS1_S1_EviT_T0_PT8_S3_lS6_S3_lS4_PT9_S3_li
    .private_segment_fixed_size: 0
    .sgpr_count:     26
    .sgpr_spill_count: 0
    .symbol:         _ZL37rocblas_syrkx_herkx_restricted_kernelIi19rocblas_complex_numIfELi16ELi32ELi8ELb1ELb1ELc84ELc85EKS1_S1_EviT_T0_PT8_S3_lS6_S3_lS4_PT9_S3_li.kd
    .uniform_work_group_size: 1
    .uses_dynamic_stack: false
    .vgpr_count:     41
    .vgpr_spill_count: 0
    .wavefront_size: 64
  - .args:
      - .offset:         0
        .size:           4
        .value_kind:     by_value
      - .offset:         4
        .size:           4
        .value_kind:     by_value
      - .offset:         8
        .size:           8
        .value_kind:     by_value
      - .address_space:  global
        .offset:         16
        .size:           8
        .value_kind:     global_buffer
      - .offset:         24
        .size:           4
        .value_kind:     by_value
      - .offset:         32
        .size:           8
        .value_kind:     by_value
      - .address_space:  global
        .offset:         40
        .size:           8
        .value_kind:     global_buffer
      - .offset:         48
        .size:           4
        .value_kind:     by_value
      - .offset:         56
        .size:           8
        .value_kind:     by_value
      - .offset:         64
        .size:           8
        .value_kind:     by_value
      - .address_space:  global
        .offset:         72
        .size:           8
        .value_kind:     global_buffer
      - .offset:         80
        .size:           4
        .value_kind:     by_value
      - .offset:         88
        .size:           8
        .value_kind:     by_value
      - .offset:         96
        .size:           4
        .value_kind:     by_value
    .group_segment_fixed_size: 4096
    .kernarg_segment_align: 8
    .kernarg_segment_size: 100
    .language:       OpenCL C
    .language_version:
      - 2
      - 0
    .max_flat_workgroup_size: 256
    .name:           _ZL37rocblas_syrkx_herkx_restricted_kernelIi19rocblas_complex_numIfELi16ELi32ELi8ELb1ELb1ELc67ELc85EKS1_S1_EviT_T0_PT8_S3_lS6_S3_lS4_PT9_S3_li
    .private_segment_fixed_size: 0
    .sgpr_count:     26
    .sgpr_spill_count: 0
    .symbol:         _ZL37rocblas_syrkx_herkx_restricted_kernelIi19rocblas_complex_numIfELi16ELi32ELi8ELb1ELb1ELc67ELc85EKS1_S1_EviT_T0_PT8_S3_lS6_S3_lS4_PT9_S3_li.kd
    .uniform_work_group_size: 1
    .uses_dynamic_stack: false
    .vgpr_count:     41
    .vgpr_spill_count: 0
    .wavefront_size: 64
  - .args:
      - .offset:         0
        .size:           4
        .value_kind:     by_value
      - .offset:         4
        .size:           4
        .value_kind:     by_value
      - .offset:         8
        .size:           8
        .value_kind:     by_value
      - .address_space:  global
        .offset:         16
        .size:           8
        .value_kind:     global_buffer
      - .offset:         24
        .size:           4
        .value_kind:     by_value
      - .offset:         32
        .size:           8
        .value_kind:     by_value
      - .address_space:  global
        .offset:         40
        .size:           8
        .value_kind:     global_buffer
      - .offset:         48
        .size:           4
        .value_kind:     by_value
      - .offset:         56
        .size:           8
        .value_kind:     by_value
      - .offset:         64
        .size:           8
        .value_kind:     by_value
      - .address_space:  global
        .offset:         72
        .size:           8
        .value_kind:     global_buffer
      - .offset:         80
        .size:           4
        .value_kind:     by_value
      - .offset:         88
        .size:           8
        .value_kind:     by_value
      - .offset:         96
        .size:           4
        .value_kind:     by_value
    .group_segment_fixed_size: 4096
    .kernarg_segment_align: 8
    .kernarg_segment_size: 100
    .language:       OpenCL C
    .language_version:
      - 2
      - 0
    .max_flat_workgroup_size: 256
    .name:           _ZL37rocblas_syrkx_herkx_restricted_kernelIi19rocblas_complex_numIfELi16ELi32ELi8ELb1ELb1ELc78ELc85EKS1_S1_EviT_T0_PT8_S3_lS6_S3_lS4_PT9_S3_li
    .private_segment_fixed_size: 0
    .sgpr_count:     29
    .sgpr_spill_count: 0
    .symbol:         _ZL37rocblas_syrkx_herkx_restricted_kernelIi19rocblas_complex_numIfELi16ELi32ELi8ELb1ELb1ELc78ELc85EKS1_S1_EviT_T0_PT8_S3_lS6_S3_lS4_PT9_S3_li.kd
    .uniform_work_group_size: 1
    .uses_dynamic_stack: false
    .vgpr_count:     43
    .vgpr_spill_count: 0
    .wavefront_size: 64
  - .args:
      - .offset:         0
        .size:           4
        .value_kind:     by_value
      - .offset:         4
        .size:           4
        .value_kind:     by_value
      - .offset:         8
        .size:           8
        .value_kind:     by_value
      - .address_space:  global
        .offset:         16
        .size:           8
        .value_kind:     global_buffer
      - .offset:         24
        .size:           4
        .value_kind:     by_value
      - .offset:         32
        .size:           8
        .value_kind:     by_value
      - .address_space:  global
        .offset:         40
        .size:           8
        .value_kind:     global_buffer
      - .offset:         48
        .size:           4
        .value_kind:     by_value
      - .offset:         56
        .size:           8
        .value_kind:     by_value
      - .offset:         64
        .size:           8
        .value_kind:     by_value
      - .address_space:  global
        .offset:         72
        .size:           8
        .value_kind:     global_buffer
      - .offset:         80
        .size:           4
        .value_kind:     by_value
      - .offset:         88
        .size:           8
        .value_kind:     by_value
      - .offset:         96
        .size:           4
        .value_kind:     by_value
    .group_segment_fixed_size: 4096
    .kernarg_segment_align: 8
    .kernarg_segment_size: 100
    .language:       OpenCL C
    .language_version:
      - 2
      - 0
    .max_flat_workgroup_size: 256
    .name:           _ZL37rocblas_syrkx_herkx_restricted_kernelIi19rocblas_complex_numIfELi16ELi32ELi8ELb0ELb1ELc84ELc76EKS1_S1_EviT_T0_PT8_S3_lS6_S3_lS4_PT9_S3_li
    .private_segment_fixed_size: 0
    .sgpr_count:     30
    .sgpr_spill_count: 0
    .symbol:         _ZL37rocblas_syrkx_herkx_restricted_kernelIi19rocblas_complex_numIfELi16ELi32ELi8ELb0ELb1ELc84ELc76EKS1_S1_EviT_T0_PT8_S3_lS6_S3_lS4_PT9_S3_li.kd
    .uniform_work_group_size: 1
    .uses_dynamic_stack: false
    .vgpr_count:     41
    .vgpr_spill_count: 0
    .wavefront_size: 64
  - .args:
      - .offset:         0
        .size:           4
        .value_kind:     by_value
      - .offset:         4
        .size:           4
        .value_kind:     by_value
      - .offset:         8
        .size:           8
        .value_kind:     by_value
      - .address_space:  global
        .offset:         16
        .size:           8
        .value_kind:     global_buffer
      - .offset:         24
        .size:           4
        .value_kind:     by_value
      - .offset:         32
        .size:           8
        .value_kind:     by_value
      - .address_space:  global
        .offset:         40
        .size:           8
        .value_kind:     global_buffer
      - .offset:         48
        .size:           4
        .value_kind:     by_value
      - .offset:         56
        .size:           8
        .value_kind:     by_value
      - .offset:         64
        .size:           8
        .value_kind:     by_value
      - .address_space:  global
        .offset:         72
        .size:           8
        .value_kind:     global_buffer
      - .offset:         80
        .size:           4
        .value_kind:     by_value
      - .offset:         88
        .size:           8
        .value_kind:     by_value
      - .offset:         96
        .size:           4
        .value_kind:     by_value
    .group_segment_fixed_size: 4096
    .kernarg_segment_align: 8
    .kernarg_segment_size: 100
    .language:       OpenCL C
    .language_version:
      - 2
      - 0
    .max_flat_workgroup_size: 256
    .name:           _ZL37rocblas_syrkx_herkx_restricted_kernelIi19rocblas_complex_numIfELi16ELi32ELi8ELb0ELb1ELc67ELc76EKS1_S1_EviT_T0_PT8_S3_lS6_S3_lS4_PT9_S3_li
    .private_segment_fixed_size: 0
    .sgpr_count:     30
    .sgpr_spill_count: 0
    .symbol:         _ZL37rocblas_syrkx_herkx_restricted_kernelIi19rocblas_complex_numIfELi16ELi32ELi8ELb0ELb1ELc67ELc76EKS1_S1_EviT_T0_PT8_S3_lS6_S3_lS4_PT9_S3_li.kd
    .uniform_work_group_size: 1
    .uses_dynamic_stack: false
    .vgpr_count:     41
    .vgpr_spill_count: 0
    .wavefront_size: 64
  - .args:
      - .offset:         0
        .size:           4
        .value_kind:     by_value
      - .offset:         4
        .size:           4
        .value_kind:     by_value
      - .offset:         8
        .size:           8
        .value_kind:     by_value
      - .address_space:  global
        .offset:         16
        .size:           8
        .value_kind:     global_buffer
      - .offset:         24
        .size:           4
        .value_kind:     by_value
      - .offset:         32
        .size:           8
        .value_kind:     by_value
      - .address_space:  global
        .offset:         40
        .size:           8
        .value_kind:     global_buffer
      - .offset:         48
        .size:           4
        .value_kind:     by_value
      - .offset:         56
        .size:           8
        .value_kind:     by_value
      - .offset:         64
        .size:           8
        .value_kind:     by_value
      - .address_space:  global
        .offset:         72
        .size:           8
        .value_kind:     global_buffer
      - .offset:         80
        .size:           4
        .value_kind:     by_value
      - .offset:         88
        .size:           8
        .value_kind:     by_value
      - .offset:         96
        .size:           4
        .value_kind:     by_value
    .group_segment_fixed_size: 4096
    .kernarg_segment_align: 8
    .kernarg_segment_size: 100
    .language:       OpenCL C
    .language_version:
      - 2
      - 0
    .max_flat_workgroup_size: 256
    .name:           _ZL37rocblas_syrkx_herkx_restricted_kernelIi19rocblas_complex_numIfELi16ELi32ELi8ELb0ELb1ELc78ELc76EKS1_S1_EviT_T0_PT8_S3_lS6_S3_lS4_PT9_S3_li
    .private_segment_fixed_size: 0
    .sgpr_count:     33
    .sgpr_spill_count: 0
    .symbol:         _ZL37rocblas_syrkx_herkx_restricted_kernelIi19rocblas_complex_numIfELi16ELi32ELi8ELb0ELb1ELc78ELc76EKS1_S1_EviT_T0_PT8_S3_lS6_S3_lS4_PT9_S3_li.kd
    .uniform_work_group_size: 1
    .uses_dynamic_stack: false
    .vgpr_count:     43
    .vgpr_spill_count: 0
    .wavefront_size: 64
  - .args:
      - .offset:         0
        .size:           4
        .value_kind:     by_value
      - .offset:         4
        .size:           4
        .value_kind:     by_value
      - .offset:         8
        .size:           8
        .value_kind:     by_value
      - .address_space:  global
        .offset:         16
        .size:           8
        .value_kind:     global_buffer
      - .offset:         24
        .size:           4
        .value_kind:     by_value
      - .offset:         32
        .size:           8
        .value_kind:     by_value
      - .address_space:  global
        .offset:         40
        .size:           8
        .value_kind:     global_buffer
      - .offset:         48
        .size:           4
        .value_kind:     by_value
      - .offset:         56
        .size:           8
        .value_kind:     by_value
      - .offset:         64
        .size:           8
        .value_kind:     by_value
      - .address_space:  global
        .offset:         72
        .size:           8
        .value_kind:     global_buffer
      - .offset:         80
        .size:           4
        .value_kind:     by_value
      - .offset:         88
        .size:           8
        .value_kind:     by_value
      - .offset:         96
        .size:           4
        .value_kind:     by_value
    .group_segment_fixed_size: 4096
    .kernarg_segment_align: 8
    .kernarg_segment_size: 100
    .language:       OpenCL C
    .language_version:
      - 2
      - 0
    .max_flat_workgroup_size: 256
    .name:           _ZL37rocblas_syrkx_herkx_restricted_kernelIi19rocblas_complex_numIfELi16ELi32ELi8ELb0ELb1ELc84ELc85EKS1_S1_EviT_T0_PT8_S3_lS6_S3_lS4_PT9_S3_li
    .private_segment_fixed_size: 0
    .sgpr_count:     30
    .sgpr_spill_count: 0
    .symbol:         _ZL37rocblas_syrkx_herkx_restricted_kernelIi19rocblas_complex_numIfELi16ELi32ELi8ELb0ELb1ELc84ELc85EKS1_S1_EviT_T0_PT8_S3_lS6_S3_lS4_PT9_S3_li.kd
    .uniform_work_group_size: 1
    .uses_dynamic_stack: false
    .vgpr_count:     41
    .vgpr_spill_count: 0
    .wavefront_size: 64
  - .args:
      - .offset:         0
        .size:           4
        .value_kind:     by_value
      - .offset:         4
        .size:           4
        .value_kind:     by_value
      - .offset:         8
        .size:           8
        .value_kind:     by_value
      - .address_space:  global
        .offset:         16
        .size:           8
        .value_kind:     global_buffer
      - .offset:         24
        .size:           4
        .value_kind:     by_value
      - .offset:         32
        .size:           8
        .value_kind:     by_value
      - .address_space:  global
        .offset:         40
        .size:           8
        .value_kind:     global_buffer
      - .offset:         48
        .size:           4
        .value_kind:     by_value
      - .offset:         56
        .size:           8
        .value_kind:     by_value
      - .offset:         64
        .size:           8
        .value_kind:     by_value
      - .address_space:  global
        .offset:         72
        .size:           8
        .value_kind:     global_buffer
      - .offset:         80
        .size:           4
        .value_kind:     by_value
      - .offset:         88
        .size:           8
        .value_kind:     by_value
      - .offset:         96
        .size:           4
        .value_kind:     by_value
    .group_segment_fixed_size: 4096
    .kernarg_segment_align: 8
    .kernarg_segment_size: 100
    .language:       OpenCL C
    .language_version:
      - 2
      - 0
    .max_flat_workgroup_size: 256
    .name:           _ZL37rocblas_syrkx_herkx_restricted_kernelIi19rocblas_complex_numIfELi16ELi32ELi8ELb0ELb1ELc67ELc85EKS1_S1_EviT_T0_PT8_S3_lS6_S3_lS4_PT9_S3_li
    .private_segment_fixed_size: 0
    .sgpr_count:     30
    .sgpr_spill_count: 0
    .symbol:         _ZL37rocblas_syrkx_herkx_restricted_kernelIi19rocblas_complex_numIfELi16ELi32ELi8ELb0ELb1ELc67ELc85EKS1_S1_EviT_T0_PT8_S3_lS6_S3_lS4_PT9_S3_li.kd
    .uniform_work_group_size: 1
    .uses_dynamic_stack: false
    .vgpr_count:     41
    .vgpr_spill_count: 0
    .wavefront_size: 64
  - .args:
      - .offset:         0
        .size:           4
        .value_kind:     by_value
      - .offset:         4
        .size:           4
        .value_kind:     by_value
      - .offset:         8
        .size:           8
        .value_kind:     by_value
      - .address_space:  global
        .offset:         16
        .size:           8
        .value_kind:     global_buffer
      - .offset:         24
        .size:           4
        .value_kind:     by_value
      - .offset:         32
        .size:           8
        .value_kind:     by_value
      - .address_space:  global
        .offset:         40
        .size:           8
        .value_kind:     global_buffer
      - .offset:         48
        .size:           4
        .value_kind:     by_value
      - .offset:         56
        .size:           8
        .value_kind:     by_value
      - .offset:         64
        .size:           8
        .value_kind:     by_value
      - .address_space:  global
        .offset:         72
        .size:           8
        .value_kind:     global_buffer
      - .offset:         80
        .size:           4
        .value_kind:     by_value
      - .offset:         88
        .size:           8
        .value_kind:     by_value
      - .offset:         96
        .size:           4
        .value_kind:     by_value
    .group_segment_fixed_size: 4096
    .kernarg_segment_align: 8
    .kernarg_segment_size: 100
    .language:       OpenCL C
    .language_version:
      - 2
      - 0
    .max_flat_workgroup_size: 256
    .name:           _ZL37rocblas_syrkx_herkx_restricted_kernelIi19rocblas_complex_numIfELi16ELi32ELi8ELb0ELb1ELc78ELc85EKS1_S1_EviT_T0_PT8_S3_lS6_S3_lS4_PT9_S3_li
    .private_segment_fixed_size: 0
    .sgpr_count:     33
    .sgpr_spill_count: 0
    .symbol:         _ZL37rocblas_syrkx_herkx_restricted_kernelIi19rocblas_complex_numIfELi16ELi32ELi8ELb0ELb1ELc78ELc85EKS1_S1_EviT_T0_PT8_S3_lS6_S3_lS4_PT9_S3_li.kd
    .uniform_work_group_size: 1
    .uses_dynamic_stack: false
    .vgpr_count:     43
    .vgpr_spill_count: 0
    .wavefront_size: 64
  - .args:
      - .offset:         0
        .size:           4
        .value_kind:     by_value
      - .offset:         4
        .size:           4
        .value_kind:     by_value
      - .offset:         8
        .size:           8
        .value_kind:     by_value
      - .address_space:  global
        .offset:         16
        .size:           8
        .value_kind:     global_buffer
      - .offset:         24
        .size:           4
        .value_kind:     by_value
      - .offset:         32
        .size:           8
        .value_kind:     by_value
      - .address_space:  global
        .offset:         40
        .size:           8
        .value_kind:     global_buffer
      - .offset:         48
        .size:           4
        .value_kind:     by_value
      - .offset:         56
        .size:           8
        .value_kind:     by_value
      - .offset:         64
        .size:           8
        .value_kind:     by_value
      - .address_space:  global
        .offset:         72
        .size:           8
        .value_kind:     global_buffer
      - .offset:         80
        .size:           4
        .value_kind:     by_value
      - .offset:         88
        .size:           8
        .value_kind:     by_value
      - .offset:         96
        .size:           4
        .value_kind:     by_value
    .group_segment_fixed_size: 4096
    .kernarg_segment_align: 8
    .kernarg_segment_size: 100
    .language:       OpenCL C
    .language_version:
      - 2
      - 0
    .max_flat_workgroup_size: 256
    .name:           _ZL41rocblas_syrkx_herkx_small_restrict_kernelIi19rocblas_complex_numIfELi16ELb1ELb1ELc84ELc76EKS1_S1_EviT_T0_PT6_S3_lS6_S3_lS4_PT7_S3_li
    .private_segment_fixed_size: 0
    .sgpr_count:     22
    .sgpr_spill_count: 0
    .symbol:         _ZL41rocblas_syrkx_herkx_small_restrict_kernelIi19rocblas_complex_numIfELi16ELb1ELb1ELc84ELc76EKS1_S1_EviT_T0_PT6_S3_lS6_S3_lS4_PT7_S3_li.kd
    .uniform_work_group_size: 1
    .uses_dynamic_stack: false
    .vgpr_count:     33
    .vgpr_spill_count: 0
    .wavefront_size: 64
  - .args:
      - .offset:         0
        .size:           4
        .value_kind:     by_value
      - .offset:         4
        .size:           4
        .value_kind:     by_value
      - .offset:         8
        .size:           8
        .value_kind:     by_value
      - .address_space:  global
        .offset:         16
        .size:           8
        .value_kind:     global_buffer
      - .offset:         24
        .size:           4
        .value_kind:     by_value
      - .offset:         32
        .size:           8
        .value_kind:     by_value
      - .address_space:  global
        .offset:         40
        .size:           8
        .value_kind:     global_buffer
      - .offset:         48
        .size:           4
        .value_kind:     by_value
      - .offset:         56
        .size:           8
        .value_kind:     by_value
      - .offset:         64
        .size:           8
        .value_kind:     by_value
      - .address_space:  global
        .offset:         72
        .size:           8
        .value_kind:     global_buffer
      - .offset:         80
        .size:           4
        .value_kind:     by_value
      - .offset:         88
        .size:           8
        .value_kind:     by_value
      - .offset:         96
        .size:           4
        .value_kind:     by_value
    .group_segment_fixed_size: 4096
    .kernarg_segment_align: 8
    .kernarg_segment_size: 100
    .language:       OpenCL C
    .language_version:
      - 2
      - 0
    .max_flat_workgroup_size: 256
    .name:           _ZL41rocblas_syrkx_herkx_small_restrict_kernelIi19rocblas_complex_numIfELi16ELb1ELb1ELc67ELc76EKS1_S1_EviT_T0_PT6_S3_lS6_S3_lS4_PT7_S3_li
    .private_segment_fixed_size: 0
    .sgpr_count:     22
    .sgpr_spill_count: 0
    .symbol:         _ZL41rocblas_syrkx_herkx_small_restrict_kernelIi19rocblas_complex_numIfELi16ELb1ELb1ELc67ELc76EKS1_S1_EviT_T0_PT6_S3_lS6_S3_lS4_PT7_S3_li.kd
    .uniform_work_group_size: 1
    .uses_dynamic_stack: false
    .vgpr_count:     33
    .vgpr_spill_count: 0
    .wavefront_size: 64
  - .args:
      - .offset:         0
        .size:           4
        .value_kind:     by_value
      - .offset:         4
        .size:           4
        .value_kind:     by_value
      - .offset:         8
        .size:           8
        .value_kind:     by_value
      - .address_space:  global
        .offset:         16
        .size:           8
        .value_kind:     global_buffer
      - .offset:         24
        .size:           4
        .value_kind:     by_value
      - .offset:         32
        .size:           8
        .value_kind:     by_value
      - .address_space:  global
        .offset:         40
        .size:           8
        .value_kind:     global_buffer
      - .offset:         48
        .size:           4
        .value_kind:     by_value
      - .offset:         56
        .size:           8
        .value_kind:     by_value
      - .offset:         64
        .size:           8
        .value_kind:     by_value
      - .address_space:  global
        .offset:         72
        .size:           8
        .value_kind:     global_buffer
      - .offset:         80
        .size:           4
        .value_kind:     by_value
      - .offset:         88
        .size:           8
        .value_kind:     by_value
      - .offset:         96
        .size:           4
        .value_kind:     by_value
    .group_segment_fixed_size: 4096
    .kernarg_segment_align: 8
    .kernarg_segment_size: 100
    .language:       OpenCL C
    .language_version:
      - 2
      - 0
    .max_flat_workgroup_size: 256
    .name:           _ZL41rocblas_syrkx_herkx_small_restrict_kernelIi19rocblas_complex_numIfELi16ELb1ELb1ELc78ELc76EKS1_S1_EviT_T0_PT6_S3_lS6_S3_lS4_PT7_S3_li
    .private_segment_fixed_size: 0
    .sgpr_count:     26
    .sgpr_spill_count: 0
    .symbol:         _ZL41rocblas_syrkx_herkx_small_restrict_kernelIi19rocblas_complex_numIfELi16ELb1ELb1ELc78ELc76EKS1_S1_EviT_T0_PT6_S3_lS6_S3_lS4_PT7_S3_li.kd
    .uniform_work_group_size: 1
    .uses_dynamic_stack: false
    .vgpr_count:     35
    .vgpr_spill_count: 0
    .wavefront_size: 64
  - .args:
      - .offset:         0
        .size:           4
        .value_kind:     by_value
      - .offset:         4
        .size:           4
        .value_kind:     by_value
      - .offset:         8
        .size:           8
        .value_kind:     by_value
      - .address_space:  global
        .offset:         16
        .size:           8
        .value_kind:     global_buffer
      - .offset:         24
        .size:           4
        .value_kind:     by_value
      - .offset:         32
        .size:           8
        .value_kind:     by_value
      - .address_space:  global
        .offset:         40
        .size:           8
        .value_kind:     global_buffer
      - .offset:         48
        .size:           4
        .value_kind:     by_value
      - .offset:         56
        .size:           8
        .value_kind:     by_value
      - .offset:         64
        .size:           8
        .value_kind:     by_value
      - .address_space:  global
        .offset:         72
        .size:           8
        .value_kind:     global_buffer
      - .offset:         80
        .size:           4
        .value_kind:     by_value
      - .offset:         88
        .size:           8
        .value_kind:     by_value
      - .offset:         96
        .size:           4
        .value_kind:     by_value
    .group_segment_fixed_size: 4096
    .kernarg_segment_align: 8
    .kernarg_segment_size: 100
    .language:       OpenCL C
    .language_version:
      - 2
      - 0
    .max_flat_workgroup_size: 256
    .name:           _ZL41rocblas_syrkx_herkx_small_restrict_kernelIi19rocblas_complex_numIfELi16ELb1ELb1ELc84ELc85EKS1_S1_EviT_T0_PT6_S3_lS6_S3_lS4_PT7_S3_li
    .private_segment_fixed_size: 0
    .sgpr_count:     22
    .sgpr_spill_count: 0
    .symbol:         _ZL41rocblas_syrkx_herkx_small_restrict_kernelIi19rocblas_complex_numIfELi16ELb1ELb1ELc84ELc85EKS1_S1_EviT_T0_PT6_S3_lS6_S3_lS4_PT7_S3_li.kd
    .uniform_work_group_size: 1
    .uses_dynamic_stack: false
    .vgpr_count:     33
    .vgpr_spill_count: 0
    .wavefront_size: 64
  - .args:
      - .offset:         0
        .size:           4
        .value_kind:     by_value
      - .offset:         4
        .size:           4
        .value_kind:     by_value
      - .offset:         8
        .size:           8
        .value_kind:     by_value
      - .address_space:  global
        .offset:         16
        .size:           8
        .value_kind:     global_buffer
      - .offset:         24
        .size:           4
        .value_kind:     by_value
      - .offset:         32
        .size:           8
        .value_kind:     by_value
      - .address_space:  global
        .offset:         40
        .size:           8
        .value_kind:     global_buffer
      - .offset:         48
        .size:           4
        .value_kind:     by_value
      - .offset:         56
        .size:           8
        .value_kind:     by_value
      - .offset:         64
        .size:           8
        .value_kind:     by_value
      - .address_space:  global
        .offset:         72
        .size:           8
        .value_kind:     global_buffer
      - .offset:         80
        .size:           4
        .value_kind:     by_value
      - .offset:         88
        .size:           8
        .value_kind:     by_value
      - .offset:         96
        .size:           4
        .value_kind:     by_value
    .group_segment_fixed_size: 4096
    .kernarg_segment_align: 8
    .kernarg_segment_size: 100
    .language:       OpenCL C
    .language_version:
      - 2
      - 0
    .max_flat_workgroup_size: 256
    .name:           _ZL41rocblas_syrkx_herkx_small_restrict_kernelIi19rocblas_complex_numIfELi16ELb1ELb1ELc67ELc85EKS1_S1_EviT_T0_PT6_S3_lS6_S3_lS4_PT7_S3_li
    .private_segment_fixed_size: 0
    .sgpr_count:     22
    .sgpr_spill_count: 0
    .symbol:         _ZL41rocblas_syrkx_herkx_small_restrict_kernelIi19rocblas_complex_numIfELi16ELb1ELb1ELc67ELc85EKS1_S1_EviT_T0_PT6_S3_lS6_S3_lS4_PT7_S3_li.kd
    .uniform_work_group_size: 1
    .uses_dynamic_stack: false
    .vgpr_count:     33
    .vgpr_spill_count: 0
    .wavefront_size: 64
  - .args:
      - .offset:         0
        .size:           4
        .value_kind:     by_value
      - .offset:         4
        .size:           4
        .value_kind:     by_value
      - .offset:         8
        .size:           8
        .value_kind:     by_value
      - .address_space:  global
        .offset:         16
        .size:           8
        .value_kind:     global_buffer
      - .offset:         24
        .size:           4
        .value_kind:     by_value
      - .offset:         32
        .size:           8
        .value_kind:     by_value
      - .address_space:  global
        .offset:         40
        .size:           8
        .value_kind:     global_buffer
      - .offset:         48
        .size:           4
        .value_kind:     by_value
      - .offset:         56
        .size:           8
        .value_kind:     by_value
      - .offset:         64
        .size:           8
        .value_kind:     by_value
      - .address_space:  global
        .offset:         72
        .size:           8
        .value_kind:     global_buffer
      - .offset:         80
        .size:           4
        .value_kind:     by_value
      - .offset:         88
        .size:           8
        .value_kind:     by_value
      - .offset:         96
        .size:           4
        .value_kind:     by_value
    .group_segment_fixed_size: 4096
    .kernarg_segment_align: 8
    .kernarg_segment_size: 100
    .language:       OpenCL C
    .language_version:
      - 2
      - 0
    .max_flat_workgroup_size: 256
    .name:           _ZL41rocblas_syrkx_herkx_small_restrict_kernelIi19rocblas_complex_numIfELi16ELb1ELb1ELc78ELc85EKS1_S1_EviT_T0_PT6_S3_lS6_S3_lS4_PT7_S3_li
    .private_segment_fixed_size: 0
    .sgpr_count:     26
    .sgpr_spill_count: 0
    .symbol:         _ZL41rocblas_syrkx_herkx_small_restrict_kernelIi19rocblas_complex_numIfELi16ELb1ELb1ELc78ELc85EKS1_S1_EviT_T0_PT6_S3_lS6_S3_lS4_PT7_S3_li.kd
    .uniform_work_group_size: 1
    .uses_dynamic_stack: false
    .vgpr_count:     35
    .vgpr_spill_count: 0
    .wavefront_size: 64
  - .args:
      - .offset:         0
        .size:           4
        .value_kind:     by_value
      - .offset:         4
        .size:           4
        .value_kind:     by_value
      - .offset:         8
        .size:           8
        .value_kind:     by_value
      - .address_space:  global
        .offset:         16
        .size:           8
        .value_kind:     global_buffer
      - .offset:         24
        .size:           4
        .value_kind:     by_value
      - .offset:         32
        .size:           8
        .value_kind:     by_value
      - .address_space:  global
        .offset:         40
        .size:           8
        .value_kind:     global_buffer
      - .offset:         48
        .size:           4
        .value_kind:     by_value
      - .offset:         56
        .size:           8
        .value_kind:     by_value
      - .offset:         64
        .size:           8
        .value_kind:     by_value
      - .address_space:  global
        .offset:         72
        .size:           8
        .value_kind:     global_buffer
      - .offset:         80
        .size:           4
        .value_kind:     by_value
      - .offset:         88
        .size:           8
        .value_kind:     by_value
      - .offset:         96
        .size:           4
        .value_kind:     by_value
    .group_segment_fixed_size: 4096
    .kernarg_segment_align: 8
    .kernarg_segment_size: 100
    .language:       OpenCL C
    .language_version:
      - 2
      - 0
    .max_flat_workgroup_size: 256
    .name:           _ZL41rocblas_syrkx_herkx_small_restrict_kernelIi19rocblas_complex_numIfELi16ELb0ELb1ELc84ELc76EKS1_S1_EviT_T0_PT6_S3_lS6_S3_lS4_PT7_S3_li
    .private_segment_fixed_size: 0
    .sgpr_count:     28
    .sgpr_spill_count: 0
    .symbol:         _ZL41rocblas_syrkx_herkx_small_restrict_kernelIi19rocblas_complex_numIfELi16ELb0ELb1ELc84ELc76EKS1_S1_EviT_T0_PT6_S3_lS6_S3_lS4_PT7_S3_li.kd
    .uniform_work_group_size: 1
    .uses_dynamic_stack: false
    .vgpr_count:     33
    .vgpr_spill_count: 0
    .wavefront_size: 64
  - .args:
      - .offset:         0
        .size:           4
        .value_kind:     by_value
      - .offset:         4
        .size:           4
        .value_kind:     by_value
      - .offset:         8
        .size:           8
        .value_kind:     by_value
      - .address_space:  global
        .offset:         16
        .size:           8
        .value_kind:     global_buffer
      - .offset:         24
        .size:           4
        .value_kind:     by_value
      - .offset:         32
        .size:           8
        .value_kind:     by_value
      - .address_space:  global
        .offset:         40
        .size:           8
        .value_kind:     global_buffer
      - .offset:         48
        .size:           4
        .value_kind:     by_value
      - .offset:         56
        .size:           8
        .value_kind:     by_value
      - .offset:         64
        .size:           8
        .value_kind:     by_value
      - .address_space:  global
        .offset:         72
        .size:           8
        .value_kind:     global_buffer
      - .offset:         80
        .size:           4
        .value_kind:     by_value
      - .offset:         88
        .size:           8
        .value_kind:     by_value
      - .offset:         96
        .size:           4
        .value_kind:     by_value
    .group_segment_fixed_size: 4096
    .kernarg_segment_align: 8
    .kernarg_segment_size: 100
    .language:       OpenCL C
    .language_version:
      - 2
      - 0
    .max_flat_workgroup_size: 256
    .name:           _ZL41rocblas_syrkx_herkx_small_restrict_kernelIi19rocblas_complex_numIfELi16ELb0ELb1ELc67ELc76EKS1_S1_EviT_T0_PT6_S3_lS6_S3_lS4_PT7_S3_li
    .private_segment_fixed_size: 0
    .sgpr_count:     28
    .sgpr_spill_count: 0
    .symbol:         _ZL41rocblas_syrkx_herkx_small_restrict_kernelIi19rocblas_complex_numIfELi16ELb0ELb1ELc67ELc76EKS1_S1_EviT_T0_PT6_S3_lS6_S3_lS4_PT7_S3_li.kd
    .uniform_work_group_size: 1
    .uses_dynamic_stack: false
    .vgpr_count:     33
    .vgpr_spill_count: 0
    .wavefront_size: 64
  - .args:
      - .offset:         0
        .size:           4
        .value_kind:     by_value
      - .offset:         4
        .size:           4
        .value_kind:     by_value
      - .offset:         8
        .size:           8
        .value_kind:     by_value
      - .address_space:  global
        .offset:         16
        .size:           8
        .value_kind:     global_buffer
      - .offset:         24
        .size:           4
        .value_kind:     by_value
      - .offset:         32
        .size:           8
        .value_kind:     by_value
      - .address_space:  global
        .offset:         40
        .size:           8
        .value_kind:     global_buffer
      - .offset:         48
        .size:           4
        .value_kind:     by_value
      - .offset:         56
        .size:           8
        .value_kind:     by_value
      - .offset:         64
        .size:           8
        .value_kind:     by_value
      - .address_space:  global
        .offset:         72
        .size:           8
        .value_kind:     global_buffer
      - .offset:         80
        .size:           4
        .value_kind:     by_value
      - .offset:         88
        .size:           8
        .value_kind:     by_value
      - .offset:         96
        .size:           4
        .value_kind:     by_value
    .group_segment_fixed_size: 4096
    .kernarg_segment_align: 8
    .kernarg_segment_size: 100
    .language:       OpenCL C
    .language_version:
      - 2
      - 0
    .max_flat_workgroup_size: 256
    .name:           _ZL41rocblas_syrkx_herkx_small_restrict_kernelIi19rocblas_complex_numIfELi16ELb0ELb1ELc78ELc76EKS1_S1_EviT_T0_PT6_S3_lS6_S3_lS4_PT7_S3_li
    .private_segment_fixed_size: 0
    .sgpr_count:     30
    .sgpr_spill_count: 0
    .symbol:         _ZL41rocblas_syrkx_herkx_small_restrict_kernelIi19rocblas_complex_numIfELi16ELb0ELb1ELc78ELc76EKS1_S1_EviT_T0_PT6_S3_lS6_S3_lS4_PT7_S3_li.kd
    .uniform_work_group_size: 1
    .uses_dynamic_stack: false
    .vgpr_count:     35
    .vgpr_spill_count: 0
    .wavefront_size: 64
  - .args:
      - .offset:         0
        .size:           4
        .value_kind:     by_value
      - .offset:         4
        .size:           4
        .value_kind:     by_value
      - .offset:         8
        .size:           8
        .value_kind:     by_value
      - .address_space:  global
        .offset:         16
        .size:           8
        .value_kind:     global_buffer
      - .offset:         24
        .size:           4
        .value_kind:     by_value
      - .offset:         32
        .size:           8
        .value_kind:     by_value
      - .address_space:  global
        .offset:         40
        .size:           8
        .value_kind:     global_buffer
      - .offset:         48
        .size:           4
        .value_kind:     by_value
      - .offset:         56
        .size:           8
        .value_kind:     by_value
      - .offset:         64
        .size:           8
        .value_kind:     by_value
      - .address_space:  global
        .offset:         72
        .size:           8
        .value_kind:     global_buffer
      - .offset:         80
        .size:           4
        .value_kind:     by_value
      - .offset:         88
        .size:           8
        .value_kind:     by_value
      - .offset:         96
        .size:           4
        .value_kind:     by_value
    .group_segment_fixed_size: 4096
    .kernarg_segment_align: 8
    .kernarg_segment_size: 100
    .language:       OpenCL C
    .language_version:
      - 2
      - 0
    .max_flat_workgroup_size: 256
    .name:           _ZL41rocblas_syrkx_herkx_small_restrict_kernelIi19rocblas_complex_numIfELi16ELb0ELb1ELc84ELc85EKS1_S1_EviT_T0_PT6_S3_lS6_S3_lS4_PT7_S3_li
    .private_segment_fixed_size: 0
    .sgpr_count:     28
    .sgpr_spill_count: 0
    .symbol:         _ZL41rocblas_syrkx_herkx_small_restrict_kernelIi19rocblas_complex_numIfELi16ELb0ELb1ELc84ELc85EKS1_S1_EviT_T0_PT6_S3_lS6_S3_lS4_PT7_S3_li.kd
    .uniform_work_group_size: 1
    .uses_dynamic_stack: false
    .vgpr_count:     33
    .vgpr_spill_count: 0
    .wavefront_size: 64
  - .args:
      - .offset:         0
        .size:           4
        .value_kind:     by_value
      - .offset:         4
        .size:           4
        .value_kind:     by_value
      - .offset:         8
        .size:           8
        .value_kind:     by_value
      - .address_space:  global
        .offset:         16
        .size:           8
        .value_kind:     global_buffer
      - .offset:         24
        .size:           4
        .value_kind:     by_value
      - .offset:         32
        .size:           8
        .value_kind:     by_value
      - .address_space:  global
        .offset:         40
        .size:           8
        .value_kind:     global_buffer
      - .offset:         48
        .size:           4
        .value_kind:     by_value
      - .offset:         56
        .size:           8
        .value_kind:     by_value
      - .offset:         64
        .size:           8
        .value_kind:     by_value
      - .address_space:  global
        .offset:         72
        .size:           8
        .value_kind:     global_buffer
      - .offset:         80
        .size:           4
        .value_kind:     by_value
      - .offset:         88
        .size:           8
        .value_kind:     by_value
      - .offset:         96
        .size:           4
        .value_kind:     by_value
    .group_segment_fixed_size: 4096
    .kernarg_segment_align: 8
    .kernarg_segment_size: 100
    .language:       OpenCL C
    .language_version:
      - 2
      - 0
    .max_flat_workgroup_size: 256
    .name:           _ZL41rocblas_syrkx_herkx_small_restrict_kernelIi19rocblas_complex_numIfELi16ELb0ELb1ELc67ELc85EKS1_S1_EviT_T0_PT6_S3_lS6_S3_lS4_PT7_S3_li
    .private_segment_fixed_size: 0
    .sgpr_count:     28
    .sgpr_spill_count: 0
    .symbol:         _ZL41rocblas_syrkx_herkx_small_restrict_kernelIi19rocblas_complex_numIfELi16ELb0ELb1ELc67ELc85EKS1_S1_EviT_T0_PT6_S3_lS6_S3_lS4_PT7_S3_li.kd
    .uniform_work_group_size: 1
    .uses_dynamic_stack: false
    .vgpr_count:     33
    .vgpr_spill_count: 0
    .wavefront_size: 64
  - .args:
      - .offset:         0
        .size:           4
        .value_kind:     by_value
      - .offset:         4
        .size:           4
        .value_kind:     by_value
      - .offset:         8
        .size:           8
        .value_kind:     by_value
      - .address_space:  global
        .offset:         16
        .size:           8
        .value_kind:     global_buffer
      - .offset:         24
        .size:           4
        .value_kind:     by_value
      - .offset:         32
        .size:           8
        .value_kind:     by_value
      - .address_space:  global
        .offset:         40
        .size:           8
        .value_kind:     global_buffer
      - .offset:         48
        .size:           4
        .value_kind:     by_value
      - .offset:         56
        .size:           8
        .value_kind:     by_value
      - .offset:         64
        .size:           8
        .value_kind:     by_value
      - .address_space:  global
        .offset:         72
        .size:           8
        .value_kind:     global_buffer
      - .offset:         80
        .size:           4
        .value_kind:     by_value
      - .offset:         88
        .size:           8
        .value_kind:     by_value
      - .offset:         96
        .size:           4
        .value_kind:     by_value
    .group_segment_fixed_size: 4096
    .kernarg_segment_align: 8
    .kernarg_segment_size: 100
    .language:       OpenCL C
    .language_version:
      - 2
      - 0
    .max_flat_workgroup_size: 256
    .name:           _ZL41rocblas_syrkx_herkx_small_restrict_kernelIi19rocblas_complex_numIfELi16ELb0ELb1ELc78ELc85EKS1_S1_EviT_T0_PT6_S3_lS6_S3_lS4_PT7_S3_li
    .private_segment_fixed_size: 0
    .sgpr_count:     30
    .sgpr_spill_count: 0
    .symbol:         _ZL41rocblas_syrkx_herkx_small_restrict_kernelIi19rocblas_complex_numIfELi16ELb0ELb1ELc78ELc85EKS1_S1_EviT_T0_PT6_S3_lS6_S3_lS4_PT7_S3_li.kd
    .uniform_work_group_size: 1
    .uses_dynamic_stack: false
    .vgpr_count:     35
    .vgpr_spill_count: 0
    .wavefront_size: 64
  - .args:
      - .offset:         0
        .size:           4
        .value_kind:     by_value
      - .offset:         4
        .size:           4
        .value_kind:     by_value
      - .offset:         8
        .size:           8
        .value_kind:     by_value
      - .address_space:  global
        .offset:         16
        .size:           8
        .value_kind:     global_buffer
      - .offset:         24
        .size:           4
        .value_kind:     by_value
      - .offset:         32
        .size:           8
        .value_kind:     by_value
      - .address_space:  global
        .offset:         40
        .size:           8
        .value_kind:     global_buffer
      - .offset:         48
        .size:           4
        .value_kind:     by_value
      - .offset:         56
        .size:           8
        .value_kind:     by_value
      - .offset:         64
        .size:           8
        .value_kind:     by_value
      - .address_space:  global
        .offset:         72
        .size:           8
        .value_kind:     global_buffer
      - .offset:         80
        .size:           4
        .value_kind:     by_value
      - .offset:         88
        .size:           8
        .value_kind:     by_value
      - .offset:         96
        .size:           4
        .value_kind:     by_value
    .group_segment_fixed_size: 4096
    .kernarg_segment_align: 8
    .kernarg_segment_size: 100
    .language:       OpenCL C
    .language_version:
      - 2
      - 0
    .max_flat_workgroup_size: 256
    .name:           _ZL32rocblas_syrkx_herkx_small_kernelIi19rocblas_complex_numIfELi16ELb1ELb1ELc84ELc76EKS1_S1_EviT_T0_PT6_S3_lS6_S3_lS4_PT7_S3_li
    .private_segment_fixed_size: 0
    .sgpr_count:     24
    .sgpr_spill_count: 0
    .symbol:         _ZL32rocblas_syrkx_herkx_small_kernelIi19rocblas_complex_numIfELi16ELb1ELb1ELc84ELc76EKS1_S1_EviT_T0_PT6_S3_lS6_S3_lS4_PT7_S3_li.kd
    .uniform_work_group_size: 1
    .uses_dynamic_stack: false
    .vgpr_count:     52
    .vgpr_spill_count: 0
    .wavefront_size: 64
  - .args:
      - .offset:         0
        .size:           4
        .value_kind:     by_value
      - .offset:         4
        .size:           4
        .value_kind:     by_value
      - .offset:         8
        .size:           8
        .value_kind:     by_value
      - .address_space:  global
        .offset:         16
        .size:           8
        .value_kind:     global_buffer
      - .offset:         24
        .size:           4
        .value_kind:     by_value
      - .offset:         32
        .size:           8
        .value_kind:     by_value
      - .address_space:  global
        .offset:         40
        .size:           8
        .value_kind:     global_buffer
      - .offset:         48
        .size:           4
        .value_kind:     by_value
      - .offset:         56
        .size:           8
        .value_kind:     by_value
      - .offset:         64
        .size:           8
        .value_kind:     by_value
      - .address_space:  global
        .offset:         72
        .size:           8
        .value_kind:     global_buffer
      - .offset:         80
        .size:           4
        .value_kind:     by_value
      - .offset:         88
        .size:           8
        .value_kind:     by_value
      - .offset:         96
        .size:           4
        .value_kind:     by_value
    .group_segment_fixed_size: 4096
    .kernarg_segment_align: 8
    .kernarg_segment_size: 100
    .language:       OpenCL C
    .language_version:
      - 2
      - 0
    .max_flat_workgroup_size: 256
    .name:           _ZL32rocblas_syrkx_herkx_small_kernelIi19rocblas_complex_numIfELi16ELb1ELb1ELc67ELc76EKS1_S1_EviT_T0_PT6_S3_lS6_S3_lS4_PT7_S3_li
    .private_segment_fixed_size: 0
    .sgpr_count:     24
    .sgpr_spill_count: 0
    .symbol:         _ZL32rocblas_syrkx_herkx_small_kernelIi19rocblas_complex_numIfELi16ELb1ELb1ELc67ELc76EKS1_S1_EviT_T0_PT6_S3_lS6_S3_lS4_PT7_S3_li.kd
    .uniform_work_group_size: 1
    .uses_dynamic_stack: false
    .vgpr_count:     52
    .vgpr_spill_count: 0
    .wavefront_size: 64
  - .args:
      - .offset:         0
        .size:           4
        .value_kind:     by_value
      - .offset:         4
        .size:           4
        .value_kind:     by_value
      - .offset:         8
        .size:           8
        .value_kind:     by_value
      - .address_space:  global
        .offset:         16
        .size:           8
        .value_kind:     global_buffer
      - .offset:         24
        .size:           4
        .value_kind:     by_value
      - .offset:         32
        .size:           8
        .value_kind:     by_value
      - .address_space:  global
        .offset:         40
        .size:           8
        .value_kind:     global_buffer
      - .offset:         48
        .size:           4
        .value_kind:     by_value
      - .offset:         56
        .size:           8
        .value_kind:     by_value
      - .offset:         64
        .size:           8
        .value_kind:     by_value
      - .address_space:  global
        .offset:         72
        .size:           8
        .value_kind:     global_buffer
      - .offset:         80
        .size:           4
        .value_kind:     by_value
      - .offset:         88
        .size:           8
        .value_kind:     by_value
      - .offset:         96
        .size:           4
        .value_kind:     by_value
    .group_segment_fixed_size: 4096
    .kernarg_segment_align: 8
    .kernarg_segment_size: 100
    .language:       OpenCL C
    .language_version:
      - 2
      - 0
    .max_flat_workgroup_size: 256
    .name:           _ZL32rocblas_syrkx_herkx_small_kernelIi19rocblas_complex_numIfELi16ELb1ELb1ELc78ELc76EKS1_S1_EviT_T0_PT6_S3_lS6_S3_lS4_PT7_S3_li
    .private_segment_fixed_size: 0
    .sgpr_count:     29
    .sgpr_spill_count: 0
    .symbol:         _ZL32rocblas_syrkx_herkx_small_kernelIi19rocblas_complex_numIfELi16ELb1ELb1ELc78ELc76EKS1_S1_EviT_T0_PT6_S3_lS6_S3_lS4_PT7_S3_li.kd
    .uniform_work_group_size: 1
    .uses_dynamic_stack: false
    .vgpr_count:     59
    .vgpr_spill_count: 0
    .wavefront_size: 64
  - .args:
      - .offset:         0
        .size:           4
        .value_kind:     by_value
      - .offset:         4
        .size:           4
        .value_kind:     by_value
      - .offset:         8
        .size:           8
        .value_kind:     by_value
      - .address_space:  global
        .offset:         16
        .size:           8
        .value_kind:     global_buffer
      - .offset:         24
        .size:           4
        .value_kind:     by_value
      - .offset:         32
        .size:           8
        .value_kind:     by_value
      - .address_space:  global
        .offset:         40
        .size:           8
        .value_kind:     global_buffer
      - .offset:         48
        .size:           4
        .value_kind:     by_value
      - .offset:         56
        .size:           8
        .value_kind:     by_value
      - .offset:         64
        .size:           8
        .value_kind:     by_value
      - .address_space:  global
        .offset:         72
        .size:           8
        .value_kind:     global_buffer
      - .offset:         80
        .size:           4
        .value_kind:     by_value
      - .offset:         88
        .size:           8
        .value_kind:     by_value
      - .offset:         96
        .size:           4
        .value_kind:     by_value
    .group_segment_fixed_size: 4096
    .kernarg_segment_align: 8
    .kernarg_segment_size: 100
    .language:       OpenCL C
    .language_version:
      - 2
      - 0
    .max_flat_workgroup_size: 256
    .name:           _ZL32rocblas_syrkx_herkx_small_kernelIi19rocblas_complex_numIfELi16ELb1ELb1ELc84ELc85EKS1_S1_EviT_T0_PT6_S3_lS6_S3_lS4_PT7_S3_li
    .private_segment_fixed_size: 0
    .sgpr_count:     25
    .sgpr_spill_count: 0
    .symbol:         _ZL32rocblas_syrkx_herkx_small_kernelIi19rocblas_complex_numIfELi16ELb1ELb1ELc84ELc85EKS1_S1_EviT_T0_PT6_S3_lS6_S3_lS4_PT7_S3_li.kd
    .uniform_work_group_size: 1
    .uses_dynamic_stack: false
    .vgpr_count:     52
    .vgpr_spill_count: 0
    .wavefront_size: 64
  - .args:
      - .offset:         0
        .size:           4
        .value_kind:     by_value
      - .offset:         4
        .size:           4
        .value_kind:     by_value
      - .offset:         8
        .size:           8
        .value_kind:     by_value
      - .address_space:  global
        .offset:         16
        .size:           8
        .value_kind:     global_buffer
      - .offset:         24
        .size:           4
        .value_kind:     by_value
      - .offset:         32
        .size:           8
        .value_kind:     by_value
      - .address_space:  global
        .offset:         40
        .size:           8
        .value_kind:     global_buffer
      - .offset:         48
        .size:           4
        .value_kind:     by_value
      - .offset:         56
        .size:           8
        .value_kind:     by_value
      - .offset:         64
        .size:           8
        .value_kind:     by_value
      - .address_space:  global
        .offset:         72
        .size:           8
        .value_kind:     global_buffer
      - .offset:         80
        .size:           4
        .value_kind:     by_value
      - .offset:         88
        .size:           8
        .value_kind:     by_value
      - .offset:         96
        .size:           4
        .value_kind:     by_value
    .group_segment_fixed_size: 4096
    .kernarg_segment_align: 8
    .kernarg_segment_size: 100
    .language:       OpenCL C
    .language_version:
      - 2
      - 0
    .max_flat_workgroup_size: 256
    .name:           _ZL32rocblas_syrkx_herkx_small_kernelIi19rocblas_complex_numIfELi16ELb1ELb1ELc67ELc85EKS1_S1_EviT_T0_PT6_S3_lS6_S3_lS4_PT7_S3_li
    .private_segment_fixed_size: 0
    .sgpr_count:     25
    .sgpr_spill_count: 0
    .symbol:         _ZL32rocblas_syrkx_herkx_small_kernelIi19rocblas_complex_numIfELi16ELb1ELb1ELc67ELc85EKS1_S1_EviT_T0_PT6_S3_lS6_S3_lS4_PT7_S3_li.kd
    .uniform_work_group_size: 1
    .uses_dynamic_stack: false
    .vgpr_count:     52
    .vgpr_spill_count: 0
    .wavefront_size: 64
  - .args:
      - .offset:         0
        .size:           4
        .value_kind:     by_value
      - .offset:         4
        .size:           4
        .value_kind:     by_value
      - .offset:         8
        .size:           8
        .value_kind:     by_value
      - .address_space:  global
        .offset:         16
        .size:           8
        .value_kind:     global_buffer
      - .offset:         24
        .size:           4
        .value_kind:     by_value
      - .offset:         32
        .size:           8
        .value_kind:     by_value
      - .address_space:  global
        .offset:         40
        .size:           8
        .value_kind:     global_buffer
      - .offset:         48
        .size:           4
        .value_kind:     by_value
      - .offset:         56
        .size:           8
        .value_kind:     by_value
      - .offset:         64
        .size:           8
        .value_kind:     by_value
      - .address_space:  global
        .offset:         72
        .size:           8
        .value_kind:     global_buffer
      - .offset:         80
        .size:           4
        .value_kind:     by_value
      - .offset:         88
        .size:           8
        .value_kind:     by_value
      - .offset:         96
        .size:           4
        .value_kind:     by_value
    .group_segment_fixed_size: 4096
    .kernarg_segment_align: 8
    .kernarg_segment_size: 100
    .language:       OpenCL C
    .language_version:
      - 2
      - 0
    .max_flat_workgroup_size: 256
    .name:           _ZL32rocblas_syrkx_herkx_small_kernelIi19rocblas_complex_numIfELi16ELb1ELb1ELc78ELc85EKS1_S1_EviT_T0_PT6_S3_lS6_S3_lS4_PT7_S3_li
    .private_segment_fixed_size: 0
    .sgpr_count:     29
    .sgpr_spill_count: 0
    .symbol:         _ZL32rocblas_syrkx_herkx_small_kernelIi19rocblas_complex_numIfELi16ELb1ELb1ELc78ELc85EKS1_S1_EviT_T0_PT6_S3_lS6_S3_lS4_PT7_S3_li.kd
    .uniform_work_group_size: 1
    .uses_dynamic_stack: false
    .vgpr_count:     59
    .vgpr_spill_count: 0
    .wavefront_size: 64
  - .args:
      - .offset:         0
        .size:           4
        .value_kind:     by_value
      - .offset:         4
        .size:           4
        .value_kind:     by_value
      - .offset:         8
        .size:           8
        .value_kind:     by_value
      - .address_space:  global
        .offset:         16
        .size:           8
        .value_kind:     global_buffer
      - .offset:         24
        .size:           4
        .value_kind:     by_value
      - .offset:         32
        .size:           8
        .value_kind:     by_value
      - .address_space:  global
        .offset:         40
        .size:           8
        .value_kind:     global_buffer
      - .offset:         48
        .size:           4
        .value_kind:     by_value
      - .offset:         56
        .size:           8
        .value_kind:     by_value
      - .offset:         64
        .size:           8
        .value_kind:     by_value
      - .address_space:  global
        .offset:         72
        .size:           8
        .value_kind:     global_buffer
      - .offset:         80
        .size:           4
        .value_kind:     by_value
      - .offset:         88
        .size:           8
        .value_kind:     by_value
      - .offset:         96
        .size:           4
        .value_kind:     by_value
    .group_segment_fixed_size: 4096
    .kernarg_segment_align: 8
    .kernarg_segment_size: 100
    .language:       OpenCL C
    .language_version:
      - 2
      - 0
    .max_flat_workgroup_size: 256
    .name:           _ZL32rocblas_syrkx_herkx_small_kernelIi19rocblas_complex_numIfELi16ELb0ELb1ELc84ELc76EKS1_S1_EviT_T0_PT6_S3_lS6_S3_lS4_PT7_S3_li
    .private_segment_fixed_size: 0
    .sgpr_count:     32
    .sgpr_spill_count: 0
    .symbol:         _ZL32rocblas_syrkx_herkx_small_kernelIi19rocblas_complex_numIfELi16ELb0ELb1ELc84ELc76EKS1_S1_EviT_T0_PT6_S3_lS6_S3_lS4_PT7_S3_li.kd
    .uniform_work_group_size: 1
    .uses_dynamic_stack: false
    .vgpr_count:     52
    .vgpr_spill_count: 0
    .wavefront_size: 64
  - .args:
      - .offset:         0
        .size:           4
        .value_kind:     by_value
      - .offset:         4
        .size:           4
        .value_kind:     by_value
      - .offset:         8
        .size:           8
        .value_kind:     by_value
      - .address_space:  global
        .offset:         16
        .size:           8
        .value_kind:     global_buffer
      - .offset:         24
        .size:           4
        .value_kind:     by_value
      - .offset:         32
        .size:           8
        .value_kind:     by_value
      - .address_space:  global
        .offset:         40
        .size:           8
        .value_kind:     global_buffer
      - .offset:         48
        .size:           4
        .value_kind:     by_value
      - .offset:         56
        .size:           8
        .value_kind:     by_value
      - .offset:         64
        .size:           8
        .value_kind:     by_value
      - .address_space:  global
        .offset:         72
        .size:           8
        .value_kind:     global_buffer
      - .offset:         80
        .size:           4
        .value_kind:     by_value
      - .offset:         88
        .size:           8
        .value_kind:     by_value
      - .offset:         96
        .size:           4
        .value_kind:     by_value
    .group_segment_fixed_size: 4096
    .kernarg_segment_align: 8
    .kernarg_segment_size: 100
    .language:       OpenCL C
    .language_version:
      - 2
      - 0
    .max_flat_workgroup_size: 256
    .name:           _ZL32rocblas_syrkx_herkx_small_kernelIi19rocblas_complex_numIfELi16ELb0ELb1ELc67ELc76EKS1_S1_EviT_T0_PT6_S3_lS6_S3_lS4_PT7_S3_li
    .private_segment_fixed_size: 0
    .sgpr_count:     32
    .sgpr_spill_count: 0
    .symbol:         _ZL32rocblas_syrkx_herkx_small_kernelIi19rocblas_complex_numIfELi16ELb0ELb1ELc67ELc76EKS1_S1_EviT_T0_PT6_S3_lS6_S3_lS4_PT7_S3_li.kd
    .uniform_work_group_size: 1
    .uses_dynamic_stack: false
    .vgpr_count:     52
    .vgpr_spill_count: 0
    .wavefront_size: 64
  - .args:
      - .offset:         0
        .size:           4
        .value_kind:     by_value
      - .offset:         4
        .size:           4
        .value_kind:     by_value
      - .offset:         8
        .size:           8
        .value_kind:     by_value
      - .address_space:  global
        .offset:         16
        .size:           8
        .value_kind:     global_buffer
      - .offset:         24
        .size:           4
        .value_kind:     by_value
      - .offset:         32
        .size:           8
        .value_kind:     by_value
      - .address_space:  global
        .offset:         40
        .size:           8
        .value_kind:     global_buffer
      - .offset:         48
        .size:           4
        .value_kind:     by_value
      - .offset:         56
        .size:           8
        .value_kind:     by_value
      - .offset:         64
        .size:           8
        .value_kind:     by_value
      - .address_space:  global
        .offset:         72
        .size:           8
        .value_kind:     global_buffer
      - .offset:         80
        .size:           4
        .value_kind:     by_value
      - .offset:         88
        .size:           8
        .value_kind:     by_value
      - .offset:         96
        .size:           4
        .value_kind:     by_value
    .group_segment_fixed_size: 4096
    .kernarg_segment_align: 8
    .kernarg_segment_size: 100
    .language:       OpenCL C
    .language_version:
      - 2
      - 0
    .max_flat_workgroup_size: 256
    .name:           _ZL32rocblas_syrkx_herkx_small_kernelIi19rocblas_complex_numIfELi16ELb0ELb1ELc78ELc76EKS1_S1_EviT_T0_PT6_S3_lS6_S3_lS4_PT7_S3_li
    .private_segment_fixed_size: 0
    .sgpr_count:     33
    .sgpr_spill_count: 0
    .symbol:         _ZL32rocblas_syrkx_herkx_small_kernelIi19rocblas_complex_numIfELi16ELb0ELb1ELc78ELc76EKS1_S1_EviT_T0_PT6_S3_lS6_S3_lS4_PT7_S3_li.kd
    .uniform_work_group_size: 1
    .uses_dynamic_stack: false
    .vgpr_count:     59
    .vgpr_spill_count: 0
    .wavefront_size: 64
  - .args:
      - .offset:         0
        .size:           4
        .value_kind:     by_value
      - .offset:         4
        .size:           4
        .value_kind:     by_value
      - .offset:         8
        .size:           8
        .value_kind:     by_value
      - .address_space:  global
        .offset:         16
        .size:           8
        .value_kind:     global_buffer
      - .offset:         24
        .size:           4
        .value_kind:     by_value
      - .offset:         32
        .size:           8
        .value_kind:     by_value
      - .address_space:  global
        .offset:         40
        .size:           8
        .value_kind:     global_buffer
      - .offset:         48
        .size:           4
        .value_kind:     by_value
      - .offset:         56
        .size:           8
        .value_kind:     by_value
      - .offset:         64
        .size:           8
        .value_kind:     by_value
      - .address_space:  global
        .offset:         72
        .size:           8
        .value_kind:     global_buffer
      - .offset:         80
        .size:           4
        .value_kind:     by_value
      - .offset:         88
        .size:           8
        .value_kind:     by_value
      - .offset:         96
        .size:           4
        .value_kind:     by_value
    .group_segment_fixed_size: 4096
    .kernarg_segment_align: 8
    .kernarg_segment_size: 100
    .language:       OpenCL C
    .language_version:
      - 2
      - 0
    .max_flat_workgroup_size: 256
    .name:           _ZL32rocblas_syrkx_herkx_small_kernelIi19rocblas_complex_numIfELi16ELb0ELb1ELc84ELc85EKS1_S1_EviT_T0_PT6_S3_lS6_S3_lS4_PT7_S3_li
    .private_segment_fixed_size: 0
    .sgpr_count:     32
    .sgpr_spill_count: 0
    .symbol:         _ZL32rocblas_syrkx_herkx_small_kernelIi19rocblas_complex_numIfELi16ELb0ELb1ELc84ELc85EKS1_S1_EviT_T0_PT6_S3_lS6_S3_lS4_PT7_S3_li.kd
    .uniform_work_group_size: 1
    .uses_dynamic_stack: false
    .vgpr_count:     52
    .vgpr_spill_count: 0
    .wavefront_size: 64
  - .args:
      - .offset:         0
        .size:           4
        .value_kind:     by_value
      - .offset:         4
        .size:           4
        .value_kind:     by_value
      - .offset:         8
        .size:           8
        .value_kind:     by_value
      - .address_space:  global
        .offset:         16
        .size:           8
        .value_kind:     global_buffer
      - .offset:         24
        .size:           4
        .value_kind:     by_value
      - .offset:         32
        .size:           8
        .value_kind:     by_value
      - .address_space:  global
        .offset:         40
        .size:           8
        .value_kind:     global_buffer
      - .offset:         48
        .size:           4
        .value_kind:     by_value
      - .offset:         56
        .size:           8
        .value_kind:     by_value
      - .offset:         64
        .size:           8
        .value_kind:     by_value
      - .address_space:  global
        .offset:         72
        .size:           8
        .value_kind:     global_buffer
      - .offset:         80
        .size:           4
        .value_kind:     by_value
      - .offset:         88
        .size:           8
        .value_kind:     by_value
      - .offset:         96
        .size:           4
        .value_kind:     by_value
    .group_segment_fixed_size: 4096
    .kernarg_segment_align: 8
    .kernarg_segment_size: 100
    .language:       OpenCL C
    .language_version:
      - 2
      - 0
    .max_flat_workgroup_size: 256
    .name:           _ZL32rocblas_syrkx_herkx_small_kernelIi19rocblas_complex_numIfELi16ELb0ELb1ELc67ELc85EKS1_S1_EviT_T0_PT6_S3_lS6_S3_lS4_PT7_S3_li
    .private_segment_fixed_size: 0
    .sgpr_count:     32
    .sgpr_spill_count: 0
    .symbol:         _ZL32rocblas_syrkx_herkx_small_kernelIi19rocblas_complex_numIfELi16ELb0ELb1ELc67ELc85EKS1_S1_EviT_T0_PT6_S3_lS6_S3_lS4_PT7_S3_li.kd
    .uniform_work_group_size: 1
    .uses_dynamic_stack: false
    .vgpr_count:     52
    .vgpr_spill_count: 0
    .wavefront_size: 64
  - .args:
      - .offset:         0
        .size:           4
        .value_kind:     by_value
      - .offset:         4
        .size:           4
        .value_kind:     by_value
      - .offset:         8
        .size:           8
        .value_kind:     by_value
      - .address_space:  global
        .offset:         16
        .size:           8
        .value_kind:     global_buffer
      - .offset:         24
        .size:           4
        .value_kind:     by_value
      - .offset:         32
        .size:           8
        .value_kind:     by_value
      - .address_space:  global
        .offset:         40
        .size:           8
        .value_kind:     global_buffer
      - .offset:         48
        .size:           4
        .value_kind:     by_value
      - .offset:         56
        .size:           8
        .value_kind:     by_value
      - .offset:         64
        .size:           8
        .value_kind:     by_value
      - .address_space:  global
        .offset:         72
        .size:           8
        .value_kind:     global_buffer
      - .offset:         80
        .size:           4
        .value_kind:     by_value
      - .offset:         88
        .size:           8
        .value_kind:     by_value
      - .offset:         96
        .size:           4
        .value_kind:     by_value
    .group_segment_fixed_size: 4096
    .kernarg_segment_align: 8
    .kernarg_segment_size: 100
    .language:       OpenCL C
    .language_version:
      - 2
      - 0
    .max_flat_workgroup_size: 256
    .name:           _ZL32rocblas_syrkx_herkx_small_kernelIi19rocblas_complex_numIfELi16ELb0ELb1ELc78ELc85EKS1_S1_EviT_T0_PT6_S3_lS6_S3_lS4_PT7_S3_li
    .private_segment_fixed_size: 0
    .sgpr_count:     33
    .sgpr_spill_count: 0
    .symbol:         _ZL32rocblas_syrkx_herkx_small_kernelIi19rocblas_complex_numIfELi16ELb0ELb1ELc78ELc85EKS1_S1_EviT_T0_PT6_S3_lS6_S3_lS4_PT7_S3_li.kd
    .uniform_work_group_size: 1
    .uses_dynamic_stack: false
    .vgpr_count:     59
    .vgpr_spill_count: 0
    .wavefront_size: 64
  - .args:
      - .offset:         0
        .size:           4
        .value_kind:     by_value
      - .offset:         4
        .size:           4
        .value_kind:     by_value
      - .offset:         8
        .size:           8
        .value_kind:     by_value
      - .address_space:  global
        .offset:         16
        .size:           8
        .value_kind:     global_buffer
      - .offset:         24
        .size:           4
        .value_kind:     by_value
      - .offset:         32
        .size:           8
        .value_kind:     by_value
      - .address_space:  global
        .offset:         40
        .size:           8
        .value_kind:     global_buffer
      - .offset:         48
        .size:           4
        .value_kind:     by_value
      - .offset:         56
        .size:           8
        .value_kind:     by_value
      - .offset:         64
        .size:           8
        .value_kind:     by_value
      - .address_space:  global
        .offset:         72
        .size:           8
        .value_kind:     global_buffer
      - .offset:         80
        .size:           4
        .value_kind:     by_value
      - .offset:         88
        .size:           8
        .value_kind:     by_value
      - .offset:         96
        .size:           4
        .value_kind:     by_value
    .group_segment_fixed_size: 4096
    .kernarg_segment_align: 8
    .kernarg_segment_size: 100
    .language:       OpenCL C
    .language_version:
      - 2
      - 0
    .max_flat_workgroup_size: 256
    .name:           _ZL34rocblas_syrkx_herkx_general_kernelIi19rocblas_complex_numIfELi16ELi32ELi8ELb1ELb1ELc84ELc76EKS1_S1_EviT_T0_PT8_S3_lS6_S3_lS4_PT9_S3_li
    .private_segment_fixed_size: 0
    .sgpr_count:     27
    .sgpr_spill_count: 0
    .symbol:         _ZL34rocblas_syrkx_herkx_general_kernelIi19rocblas_complex_numIfELi16ELi32ELi8ELb1ELb1ELc84ELc76EKS1_S1_EviT_T0_PT8_S3_lS6_S3_lS4_PT9_S3_li.kd
    .uniform_work_group_size: 1
    .uses_dynamic_stack: false
    .vgpr_count:     48
    .vgpr_spill_count: 0
    .wavefront_size: 64
  - .args:
      - .offset:         0
        .size:           4
        .value_kind:     by_value
      - .offset:         4
        .size:           4
        .value_kind:     by_value
      - .offset:         8
        .size:           8
        .value_kind:     by_value
      - .address_space:  global
        .offset:         16
        .size:           8
        .value_kind:     global_buffer
      - .offset:         24
        .size:           4
        .value_kind:     by_value
      - .offset:         32
        .size:           8
        .value_kind:     by_value
      - .address_space:  global
        .offset:         40
        .size:           8
        .value_kind:     global_buffer
      - .offset:         48
        .size:           4
        .value_kind:     by_value
      - .offset:         56
        .size:           8
        .value_kind:     by_value
      - .offset:         64
        .size:           8
        .value_kind:     by_value
      - .address_space:  global
        .offset:         72
        .size:           8
        .value_kind:     global_buffer
      - .offset:         80
        .size:           4
        .value_kind:     by_value
      - .offset:         88
        .size:           8
        .value_kind:     by_value
      - .offset:         96
        .size:           4
        .value_kind:     by_value
    .group_segment_fixed_size: 4096
    .kernarg_segment_align: 8
    .kernarg_segment_size: 100
    .language:       OpenCL C
    .language_version:
      - 2
      - 0
    .max_flat_workgroup_size: 256
    .name:           _ZL34rocblas_syrkx_herkx_general_kernelIi19rocblas_complex_numIfELi16ELi32ELi8ELb1ELb1ELc67ELc76EKS1_S1_EviT_T0_PT8_S3_lS6_S3_lS4_PT9_S3_li
    .private_segment_fixed_size: 0
    .sgpr_count:     27
    .sgpr_spill_count: 0
    .symbol:         _ZL34rocblas_syrkx_herkx_general_kernelIi19rocblas_complex_numIfELi16ELi32ELi8ELb1ELb1ELc67ELc76EKS1_S1_EviT_T0_PT8_S3_lS6_S3_lS4_PT9_S3_li.kd
    .uniform_work_group_size: 1
    .uses_dynamic_stack: false
    .vgpr_count:     48
    .vgpr_spill_count: 0
    .wavefront_size: 64
  - .args:
      - .offset:         0
        .size:           4
        .value_kind:     by_value
      - .offset:         4
        .size:           4
        .value_kind:     by_value
      - .offset:         8
        .size:           8
        .value_kind:     by_value
      - .address_space:  global
        .offset:         16
        .size:           8
        .value_kind:     global_buffer
      - .offset:         24
        .size:           4
        .value_kind:     by_value
      - .offset:         32
        .size:           8
        .value_kind:     by_value
      - .address_space:  global
        .offset:         40
        .size:           8
        .value_kind:     global_buffer
      - .offset:         48
        .size:           4
        .value_kind:     by_value
      - .offset:         56
        .size:           8
        .value_kind:     by_value
      - .offset:         64
        .size:           8
        .value_kind:     by_value
      - .address_space:  global
        .offset:         72
        .size:           8
        .value_kind:     global_buffer
      - .offset:         80
        .size:           4
        .value_kind:     by_value
      - .offset:         88
        .size:           8
        .value_kind:     by_value
      - .offset:         96
        .size:           4
        .value_kind:     by_value
    .group_segment_fixed_size: 4096
    .kernarg_segment_align: 8
    .kernarg_segment_size: 100
    .language:       OpenCL C
    .language_version:
      - 2
      - 0
    .max_flat_workgroup_size: 256
    .name:           _ZL34rocblas_syrkx_herkx_general_kernelIi19rocblas_complex_numIfELi16ELi32ELi8ELb1ELb1ELc78ELc76EKS1_S1_EviT_T0_PT8_S3_lS6_S3_lS4_PT9_S3_li
    .private_segment_fixed_size: 0
    .sgpr_count:     30
    .sgpr_spill_count: 0
    .symbol:         _ZL34rocblas_syrkx_herkx_general_kernelIi19rocblas_complex_numIfELi16ELi32ELi8ELb1ELb1ELc78ELc76EKS1_S1_EviT_T0_PT8_S3_lS6_S3_lS4_PT9_S3_li.kd
    .uniform_work_group_size: 1
    .uses_dynamic_stack: false
    .vgpr_count:     53
    .vgpr_spill_count: 0
    .wavefront_size: 64
  - .args:
      - .offset:         0
        .size:           4
        .value_kind:     by_value
      - .offset:         4
        .size:           4
        .value_kind:     by_value
      - .offset:         8
        .size:           8
        .value_kind:     by_value
      - .address_space:  global
        .offset:         16
        .size:           8
        .value_kind:     global_buffer
      - .offset:         24
        .size:           4
        .value_kind:     by_value
      - .offset:         32
        .size:           8
        .value_kind:     by_value
      - .address_space:  global
        .offset:         40
        .size:           8
        .value_kind:     global_buffer
      - .offset:         48
        .size:           4
        .value_kind:     by_value
      - .offset:         56
        .size:           8
        .value_kind:     by_value
      - .offset:         64
        .size:           8
        .value_kind:     by_value
      - .address_space:  global
        .offset:         72
        .size:           8
        .value_kind:     global_buffer
      - .offset:         80
        .size:           4
        .value_kind:     by_value
      - .offset:         88
        .size:           8
        .value_kind:     by_value
      - .offset:         96
        .size:           4
        .value_kind:     by_value
    .group_segment_fixed_size: 4096
    .kernarg_segment_align: 8
    .kernarg_segment_size: 100
    .language:       OpenCL C
    .language_version:
      - 2
      - 0
    .max_flat_workgroup_size: 256
    .name:           _ZL34rocblas_syrkx_herkx_general_kernelIi19rocblas_complex_numIfELi16ELi32ELi8ELb1ELb1ELc84ELc85EKS1_S1_EviT_T0_PT8_S3_lS6_S3_lS4_PT9_S3_li
    .private_segment_fixed_size: 0
    .sgpr_count:     27
    .sgpr_spill_count: 0
    .symbol:         _ZL34rocblas_syrkx_herkx_general_kernelIi19rocblas_complex_numIfELi16ELi32ELi8ELb1ELb1ELc84ELc85EKS1_S1_EviT_T0_PT8_S3_lS6_S3_lS4_PT9_S3_li.kd
    .uniform_work_group_size: 1
    .uses_dynamic_stack: false
    .vgpr_count:     48
    .vgpr_spill_count: 0
    .wavefront_size: 64
  - .args:
      - .offset:         0
        .size:           4
        .value_kind:     by_value
      - .offset:         4
        .size:           4
        .value_kind:     by_value
      - .offset:         8
        .size:           8
        .value_kind:     by_value
      - .address_space:  global
        .offset:         16
        .size:           8
        .value_kind:     global_buffer
      - .offset:         24
        .size:           4
        .value_kind:     by_value
      - .offset:         32
        .size:           8
        .value_kind:     by_value
      - .address_space:  global
        .offset:         40
        .size:           8
        .value_kind:     global_buffer
      - .offset:         48
        .size:           4
        .value_kind:     by_value
      - .offset:         56
        .size:           8
        .value_kind:     by_value
      - .offset:         64
        .size:           8
        .value_kind:     by_value
      - .address_space:  global
        .offset:         72
        .size:           8
        .value_kind:     global_buffer
      - .offset:         80
        .size:           4
        .value_kind:     by_value
      - .offset:         88
        .size:           8
        .value_kind:     by_value
      - .offset:         96
        .size:           4
        .value_kind:     by_value
    .group_segment_fixed_size: 4096
    .kernarg_segment_align: 8
    .kernarg_segment_size: 100
    .language:       OpenCL C
    .language_version:
      - 2
      - 0
    .max_flat_workgroup_size: 256
    .name:           _ZL34rocblas_syrkx_herkx_general_kernelIi19rocblas_complex_numIfELi16ELi32ELi8ELb1ELb1ELc67ELc85EKS1_S1_EviT_T0_PT8_S3_lS6_S3_lS4_PT9_S3_li
    .private_segment_fixed_size: 0
    .sgpr_count:     27
    .sgpr_spill_count: 0
    .symbol:         _ZL34rocblas_syrkx_herkx_general_kernelIi19rocblas_complex_numIfELi16ELi32ELi8ELb1ELb1ELc67ELc85EKS1_S1_EviT_T0_PT8_S3_lS6_S3_lS4_PT9_S3_li.kd
    .uniform_work_group_size: 1
    .uses_dynamic_stack: false
    .vgpr_count:     48
    .vgpr_spill_count: 0
    .wavefront_size: 64
  - .args:
      - .offset:         0
        .size:           4
        .value_kind:     by_value
      - .offset:         4
        .size:           4
        .value_kind:     by_value
      - .offset:         8
        .size:           8
        .value_kind:     by_value
      - .address_space:  global
        .offset:         16
        .size:           8
        .value_kind:     global_buffer
      - .offset:         24
        .size:           4
        .value_kind:     by_value
      - .offset:         32
        .size:           8
        .value_kind:     by_value
      - .address_space:  global
        .offset:         40
        .size:           8
        .value_kind:     global_buffer
      - .offset:         48
        .size:           4
        .value_kind:     by_value
      - .offset:         56
        .size:           8
        .value_kind:     by_value
      - .offset:         64
        .size:           8
        .value_kind:     by_value
      - .address_space:  global
        .offset:         72
        .size:           8
        .value_kind:     global_buffer
      - .offset:         80
        .size:           4
        .value_kind:     by_value
      - .offset:         88
        .size:           8
        .value_kind:     by_value
      - .offset:         96
        .size:           4
        .value_kind:     by_value
    .group_segment_fixed_size: 4096
    .kernarg_segment_align: 8
    .kernarg_segment_size: 100
    .language:       OpenCL C
    .language_version:
      - 2
      - 0
    .max_flat_workgroup_size: 256
    .name:           _ZL34rocblas_syrkx_herkx_general_kernelIi19rocblas_complex_numIfELi16ELi32ELi8ELb1ELb1ELc78ELc85EKS1_S1_EviT_T0_PT8_S3_lS6_S3_lS4_PT9_S3_li
    .private_segment_fixed_size: 0
    .sgpr_count:     30
    .sgpr_spill_count: 0
    .symbol:         _ZL34rocblas_syrkx_herkx_general_kernelIi19rocblas_complex_numIfELi16ELi32ELi8ELb1ELb1ELc78ELc85EKS1_S1_EviT_T0_PT8_S3_lS6_S3_lS4_PT9_S3_li.kd
    .uniform_work_group_size: 1
    .uses_dynamic_stack: false
    .vgpr_count:     53
    .vgpr_spill_count: 0
    .wavefront_size: 64
  - .args:
      - .offset:         0
        .size:           4
        .value_kind:     by_value
      - .offset:         4
        .size:           4
        .value_kind:     by_value
      - .offset:         8
        .size:           8
        .value_kind:     by_value
      - .address_space:  global
        .offset:         16
        .size:           8
        .value_kind:     global_buffer
      - .offset:         24
        .size:           4
        .value_kind:     by_value
      - .offset:         32
        .size:           8
        .value_kind:     by_value
      - .address_space:  global
        .offset:         40
        .size:           8
        .value_kind:     global_buffer
      - .offset:         48
        .size:           4
        .value_kind:     by_value
      - .offset:         56
        .size:           8
        .value_kind:     by_value
      - .offset:         64
        .size:           8
        .value_kind:     by_value
      - .address_space:  global
        .offset:         72
        .size:           8
        .value_kind:     global_buffer
      - .offset:         80
        .size:           4
        .value_kind:     by_value
      - .offset:         88
        .size:           8
        .value_kind:     by_value
      - .offset:         96
        .size:           4
        .value_kind:     by_value
    .group_segment_fixed_size: 4096
    .kernarg_segment_align: 8
    .kernarg_segment_size: 100
    .language:       OpenCL C
    .language_version:
      - 2
      - 0
    .max_flat_workgroup_size: 256
    .name:           _ZL34rocblas_syrkx_herkx_general_kernelIi19rocblas_complex_numIfELi16ELi32ELi8ELb0ELb1ELc84ELc76EKS1_S1_EviT_T0_PT8_S3_lS6_S3_lS4_PT9_S3_li
    .private_segment_fixed_size: 0
    .sgpr_count:     32
    .sgpr_spill_count: 0
    .symbol:         _ZL34rocblas_syrkx_herkx_general_kernelIi19rocblas_complex_numIfELi16ELi32ELi8ELb0ELb1ELc84ELc76EKS1_S1_EviT_T0_PT8_S3_lS6_S3_lS4_PT9_S3_li.kd
    .uniform_work_group_size: 1
    .uses_dynamic_stack: false
    .vgpr_count:     48
    .vgpr_spill_count: 0
    .wavefront_size: 64
  - .args:
      - .offset:         0
        .size:           4
        .value_kind:     by_value
      - .offset:         4
        .size:           4
        .value_kind:     by_value
      - .offset:         8
        .size:           8
        .value_kind:     by_value
      - .address_space:  global
        .offset:         16
        .size:           8
        .value_kind:     global_buffer
      - .offset:         24
        .size:           4
        .value_kind:     by_value
      - .offset:         32
        .size:           8
        .value_kind:     by_value
      - .address_space:  global
        .offset:         40
        .size:           8
        .value_kind:     global_buffer
      - .offset:         48
        .size:           4
        .value_kind:     by_value
      - .offset:         56
        .size:           8
        .value_kind:     by_value
      - .offset:         64
        .size:           8
        .value_kind:     by_value
      - .address_space:  global
        .offset:         72
        .size:           8
        .value_kind:     global_buffer
      - .offset:         80
        .size:           4
        .value_kind:     by_value
      - .offset:         88
        .size:           8
        .value_kind:     by_value
      - .offset:         96
        .size:           4
        .value_kind:     by_value
    .group_segment_fixed_size: 4096
    .kernarg_segment_align: 8
    .kernarg_segment_size: 100
    .language:       OpenCL C
    .language_version:
      - 2
      - 0
    .max_flat_workgroup_size: 256
    .name:           _ZL34rocblas_syrkx_herkx_general_kernelIi19rocblas_complex_numIfELi16ELi32ELi8ELb0ELb1ELc67ELc76EKS1_S1_EviT_T0_PT8_S3_lS6_S3_lS4_PT9_S3_li
    .private_segment_fixed_size: 0
    .sgpr_count:     32
    .sgpr_spill_count: 0
    .symbol:         _ZL34rocblas_syrkx_herkx_general_kernelIi19rocblas_complex_numIfELi16ELi32ELi8ELb0ELb1ELc67ELc76EKS1_S1_EviT_T0_PT8_S3_lS6_S3_lS4_PT9_S3_li.kd
    .uniform_work_group_size: 1
    .uses_dynamic_stack: false
    .vgpr_count:     48
    .vgpr_spill_count: 0
    .wavefront_size: 64
  - .args:
      - .offset:         0
        .size:           4
        .value_kind:     by_value
      - .offset:         4
        .size:           4
        .value_kind:     by_value
      - .offset:         8
        .size:           8
        .value_kind:     by_value
      - .address_space:  global
        .offset:         16
        .size:           8
        .value_kind:     global_buffer
      - .offset:         24
        .size:           4
        .value_kind:     by_value
      - .offset:         32
        .size:           8
        .value_kind:     by_value
      - .address_space:  global
        .offset:         40
        .size:           8
        .value_kind:     global_buffer
      - .offset:         48
        .size:           4
        .value_kind:     by_value
      - .offset:         56
        .size:           8
        .value_kind:     by_value
      - .offset:         64
        .size:           8
        .value_kind:     by_value
      - .address_space:  global
        .offset:         72
        .size:           8
        .value_kind:     global_buffer
      - .offset:         80
        .size:           4
        .value_kind:     by_value
      - .offset:         88
        .size:           8
        .value_kind:     by_value
      - .offset:         96
        .size:           4
        .value_kind:     by_value
    .group_segment_fixed_size: 4096
    .kernarg_segment_align: 8
    .kernarg_segment_size: 100
    .language:       OpenCL C
    .language_version:
      - 2
      - 0
    .max_flat_workgroup_size: 256
    .name:           _ZL34rocblas_syrkx_herkx_general_kernelIi19rocblas_complex_numIfELi16ELi32ELi8ELb0ELb1ELc78ELc76EKS1_S1_EviT_T0_PT8_S3_lS6_S3_lS4_PT9_S3_li
    .private_segment_fixed_size: 0
    .sgpr_count:     34
    .sgpr_spill_count: 0
    .symbol:         _ZL34rocblas_syrkx_herkx_general_kernelIi19rocblas_complex_numIfELi16ELi32ELi8ELb0ELb1ELc78ELc76EKS1_S1_EviT_T0_PT8_S3_lS6_S3_lS4_PT9_S3_li.kd
    .uniform_work_group_size: 1
    .uses_dynamic_stack: false
    .vgpr_count:     53
    .vgpr_spill_count: 0
    .wavefront_size: 64
  - .args:
      - .offset:         0
        .size:           4
        .value_kind:     by_value
      - .offset:         4
        .size:           4
        .value_kind:     by_value
      - .offset:         8
        .size:           8
        .value_kind:     by_value
      - .address_space:  global
        .offset:         16
        .size:           8
        .value_kind:     global_buffer
      - .offset:         24
        .size:           4
        .value_kind:     by_value
      - .offset:         32
        .size:           8
        .value_kind:     by_value
      - .address_space:  global
        .offset:         40
        .size:           8
        .value_kind:     global_buffer
      - .offset:         48
        .size:           4
        .value_kind:     by_value
      - .offset:         56
        .size:           8
        .value_kind:     by_value
      - .offset:         64
        .size:           8
        .value_kind:     by_value
      - .address_space:  global
        .offset:         72
        .size:           8
        .value_kind:     global_buffer
      - .offset:         80
        .size:           4
        .value_kind:     by_value
      - .offset:         88
        .size:           8
        .value_kind:     by_value
      - .offset:         96
        .size:           4
        .value_kind:     by_value
    .group_segment_fixed_size: 4096
    .kernarg_segment_align: 8
    .kernarg_segment_size: 100
    .language:       OpenCL C
    .language_version:
      - 2
      - 0
    .max_flat_workgroup_size: 256
    .name:           _ZL34rocblas_syrkx_herkx_general_kernelIi19rocblas_complex_numIfELi16ELi32ELi8ELb0ELb1ELc84ELc85EKS1_S1_EviT_T0_PT8_S3_lS6_S3_lS4_PT9_S3_li
    .private_segment_fixed_size: 0
    .sgpr_count:     32
    .sgpr_spill_count: 0
    .symbol:         _ZL34rocblas_syrkx_herkx_general_kernelIi19rocblas_complex_numIfELi16ELi32ELi8ELb0ELb1ELc84ELc85EKS1_S1_EviT_T0_PT8_S3_lS6_S3_lS4_PT9_S3_li.kd
    .uniform_work_group_size: 1
    .uses_dynamic_stack: false
    .vgpr_count:     48
    .vgpr_spill_count: 0
    .wavefront_size: 64
  - .args:
      - .offset:         0
        .size:           4
        .value_kind:     by_value
      - .offset:         4
        .size:           4
        .value_kind:     by_value
      - .offset:         8
        .size:           8
        .value_kind:     by_value
      - .address_space:  global
        .offset:         16
        .size:           8
        .value_kind:     global_buffer
      - .offset:         24
        .size:           4
        .value_kind:     by_value
      - .offset:         32
        .size:           8
        .value_kind:     by_value
      - .address_space:  global
        .offset:         40
        .size:           8
        .value_kind:     global_buffer
      - .offset:         48
        .size:           4
        .value_kind:     by_value
      - .offset:         56
        .size:           8
        .value_kind:     by_value
      - .offset:         64
        .size:           8
        .value_kind:     by_value
      - .address_space:  global
        .offset:         72
        .size:           8
        .value_kind:     global_buffer
      - .offset:         80
        .size:           4
        .value_kind:     by_value
      - .offset:         88
        .size:           8
        .value_kind:     by_value
      - .offset:         96
        .size:           4
        .value_kind:     by_value
    .group_segment_fixed_size: 4096
    .kernarg_segment_align: 8
    .kernarg_segment_size: 100
    .language:       OpenCL C
    .language_version:
      - 2
      - 0
    .max_flat_workgroup_size: 256
    .name:           _ZL34rocblas_syrkx_herkx_general_kernelIi19rocblas_complex_numIfELi16ELi32ELi8ELb0ELb1ELc67ELc85EKS1_S1_EviT_T0_PT8_S3_lS6_S3_lS4_PT9_S3_li
    .private_segment_fixed_size: 0
    .sgpr_count:     32
    .sgpr_spill_count: 0
    .symbol:         _ZL34rocblas_syrkx_herkx_general_kernelIi19rocblas_complex_numIfELi16ELi32ELi8ELb0ELb1ELc67ELc85EKS1_S1_EviT_T0_PT8_S3_lS6_S3_lS4_PT9_S3_li.kd
    .uniform_work_group_size: 1
    .uses_dynamic_stack: false
    .vgpr_count:     48
    .vgpr_spill_count: 0
    .wavefront_size: 64
  - .args:
      - .offset:         0
        .size:           4
        .value_kind:     by_value
      - .offset:         4
        .size:           4
        .value_kind:     by_value
      - .offset:         8
        .size:           8
        .value_kind:     by_value
      - .address_space:  global
        .offset:         16
        .size:           8
        .value_kind:     global_buffer
      - .offset:         24
        .size:           4
        .value_kind:     by_value
      - .offset:         32
        .size:           8
        .value_kind:     by_value
      - .address_space:  global
        .offset:         40
        .size:           8
        .value_kind:     global_buffer
      - .offset:         48
        .size:           4
        .value_kind:     by_value
      - .offset:         56
        .size:           8
        .value_kind:     by_value
      - .offset:         64
        .size:           8
        .value_kind:     by_value
      - .address_space:  global
        .offset:         72
        .size:           8
        .value_kind:     global_buffer
      - .offset:         80
        .size:           4
        .value_kind:     by_value
      - .offset:         88
        .size:           8
        .value_kind:     by_value
      - .offset:         96
        .size:           4
        .value_kind:     by_value
    .group_segment_fixed_size: 4096
    .kernarg_segment_align: 8
    .kernarg_segment_size: 100
    .language:       OpenCL C
    .language_version:
      - 2
      - 0
    .max_flat_workgroup_size: 256
    .name:           _ZL34rocblas_syrkx_herkx_general_kernelIi19rocblas_complex_numIfELi16ELi32ELi8ELb0ELb1ELc78ELc85EKS1_S1_EviT_T0_PT8_S3_lS6_S3_lS4_PT9_S3_li
    .private_segment_fixed_size: 0
    .sgpr_count:     34
    .sgpr_spill_count: 0
    .symbol:         _ZL34rocblas_syrkx_herkx_general_kernelIi19rocblas_complex_numIfELi16ELi32ELi8ELb0ELb1ELc78ELc85EKS1_S1_EviT_T0_PT8_S3_lS6_S3_lS4_PT9_S3_li.kd
    .uniform_work_group_size: 1
    .uses_dynamic_stack: false
    .vgpr_count:     53
    .vgpr_spill_count: 0
    .wavefront_size: 64
  - .args:
      - .offset:         0
        .size:           1
        .value_kind:     by_value
      - .offset:         4
        .size:           4
        .value_kind:     by_value
      - .offset:         8
        .size:           4
        .value_kind:     by_value
      - .offset:         12
        .size:           8
        .value_kind:     by_value
      - .offset:         20
        .size:           8
        .value_kind:     by_value
      - .address_space:  global
        .offset:         32
        .size:           8
        .value_kind:     global_buffer
      - .offset:         40
        .size:           4
        .value_kind:     by_value
      - .offset:         48
        .size:           8
        .value_kind:     by_value
      - .offset:         56
        .size:           4
        .value_kind:     by_value
      - .offset:         64
        .size:           4
        .value_kind:     hidden_block_count_x
      - .offset:         68
        .size:           4
        .value_kind:     hidden_block_count_y
      - .offset:         72
        .size:           4
        .value_kind:     hidden_block_count_z
      - .offset:         76
        .size:           2
        .value_kind:     hidden_group_size_x
      - .offset:         78
        .size:           2
        .value_kind:     hidden_group_size_y
      - .offset:         80
        .size:           2
        .value_kind:     hidden_group_size_z
      - .offset:         82
        .size:           2
        .value_kind:     hidden_remainder_x
      - .offset:         84
        .size:           2
        .value_kind:     hidden_remainder_y
      - .offset:         86
        .size:           2
        .value_kind:     hidden_remainder_z
      - .offset:         104
        .size:           8
        .value_kind:     hidden_global_offset_x
      - .offset:         112
        .size:           8
        .value_kind:     hidden_global_offset_y
      - .offset:         120
        .size:           8
        .value_kind:     hidden_global_offset_z
      - .offset:         128
        .size:           2
        .value_kind:     hidden_grid_dims
    .group_segment_fixed_size: 0
    .kernarg_segment_align: 8
    .kernarg_segment_size: 320
    .language:       OpenCL C
    .language_version:
      - 2
      - 0
    .max_flat_workgroup_size: 1024
    .name:           _ZL26rocblas_syr2k_scale_kernelIiLi128ELi8ELb1E19rocblas_complex_numIfES1_PS1_EvbiT_T3_T4_T5_S3_li
    .private_segment_fixed_size: 0
    .sgpr_count:     24
    .sgpr_spill_count: 0
    .symbol:         _ZL26rocblas_syr2k_scale_kernelIiLi128ELi8ELb1E19rocblas_complex_numIfES1_PS1_EvbiT_T3_T4_T5_S3_li.kd
    .uniform_work_group_size: 1
    .uses_dynamic_stack: false
    .vgpr_count:     8
    .vgpr_spill_count: 0
    .wavefront_size: 64
  - .args:
      - .offset:         0
        .size:           1
        .value_kind:     by_value
      - .offset:         4
        .size:           4
        .value_kind:     by_value
      - .offset:         8
        .size:           4
        .value_kind:     by_value
      - .address_space:  global
        .offset:         16
        .size:           8
        .value_kind:     global_buffer
      - .address_space:  global
        .offset:         24
        .size:           8
        .value_kind:     global_buffer
      - .offset:         32
        .size:           4
        .value_kind:     by_value
      - .offset:         40
        .size:           8
        .value_kind:     by_value
      - .address_space:  global
        .offset:         48
        .size:           8
        .value_kind:     global_buffer
      - .offset:         56
        .size:           4
        .value_kind:     by_value
      - .offset:         64
        .size:           8
        .value_kind:     by_value
      - .address_space:  global
        .offset:         72
        .size:           8
        .value_kind:     global_buffer
      - .offset:         80
        .size:           4
        .value_kind:     by_value
      - .offset:         88
        .size:           8
        .value_kind:     by_value
      - .offset:         96
        .size:           4
        .value_kind:     by_value
    .group_segment_fixed_size: 16384
    .kernarg_segment_align: 8
    .kernarg_segment_size: 100
    .language:       OpenCL C
    .language_version:
      - 2
      - 0
    .max_flat_workgroup_size: 1024
    .name:           _ZL26rocblas_syr2k_her2k_kernelIiLb0ELb1ELb0ELi32EPK19rocblas_complex_numIfES3_PS1_EvbiT_T4_T5_S5_lS7_S5_lT6_S5_li
    .private_segment_fixed_size: 0
    .sgpr_count:     32
    .sgpr_spill_count: 0
    .symbol:         _ZL26rocblas_syr2k_her2k_kernelIiLb0ELb1ELb0ELi32EPK19rocblas_complex_numIfES3_PS1_EvbiT_T4_T5_S5_lS7_S5_lT6_S5_li.kd
    .uniform_work_group_size: 1
    .uses_dynamic_stack: false
    .vgpr_count:     38
    .vgpr_spill_count: 0
    .wavefront_size: 64
  - .args:
      - .offset:         0
        .size:           1
        .value_kind:     by_value
      - .offset:         4
        .size:           4
        .value_kind:     by_value
      - .offset:         8
        .size:           4
        .value_kind:     by_value
      - .address_space:  global
        .offset:         16
        .size:           8
        .value_kind:     global_buffer
      - .address_space:  global
        .offset:         24
        .size:           8
        .value_kind:     global_buffer
      - .offset:         32
        .size:           4
        .value_kind:     by_value
      - .offset:         40
        .size:           8
        .value_kind:     by_value
      - .address_space:  global
        .offset:         48
        .size:           8
        .value_kind:     global_buffer
      - .offset:         56
        .size:           4
        .value_kind:     by_value
      - .offset:         64
        .size:           8
        .value_kind:     by_value
      - .address_space:  global
        .offset:         72
        .size:           8
        .value_kind:     global_buffer
      - .offset:         80
        .size:           4
        .value_kind:     by_value
      - .offset:         88
        .size:           8
        .value_kind:     by_value
      - .offset:         96
        .size:           4
        .value_kind:     by_value
    .group_segment_fixed_size: 16384
    .kernarg_segment_align: 8
    .kernarg_segment_size: 100
    .language:       OpenCL C
    .language_version:
      - 2
      - 0
    .max_flat_workgroup_size: 1024
    .name:           _ZL26rocblas_syr2k_her2k_kernelIiLb0ELb1ELb1ELi32EPK19rocblas_complex_numIfES3_PS1_EvbiT_T4_T5_S5_lS7_S5_lT6_S5_li
    .private_segment_fixed_size: 0
    .sgpr_count:     28
    .sgpr_spill_count: 0
    .symbol:         _ZL26rocblas_syr2k_her2k_kernelIiLb0ELb1ELb1ELi32EPK19rocblas_complex_numIfES3_PS1_EvbiT_T4_T5_S5_lS7_S5_lT6_S5_li.kd
    .uniform_work_group_size: 1
    .uses_dynamic_stack: false
    .vgpr_count:     38
    .vgpr_spill_count: 0
    .wavefront_size: 64
  - .args:
      - .offset:         0
        .size:           1
        .value_kind:     by_value
      - .offset:         4
        .size:           4
        .value_kind:     by_value
      - .offset:         8
        .size:           4
        .value_kind:     by_value
      - .offset:         16
        .size:           16
        .value_kind:     by_value
      - .address_space:  global
        .offset:         32
        .size:           8
        .value_kind:     global_buffer
      - .offset:         40
        .size:           4
        .value_kind:     by_value
      - .offset:         48
        .size:           8
        .value_kind:     by_value
      - .address_space:  global
        .offset:         56
        .size:           8
        .value_kind:     global_buffer
      - .offset:         64
        .size:           4
        .value_kind:     by_value
      - .offset:         72
        .size:           8
        .value_kind:     by_value
      - .address_space:  global
        .offset:         80
        .size:           8
        .value_kind:     global_buffer
      - .offset:         88
        .size:           4
        .value_kind:     by_value
      - .offset:         96
        .size:           8
        .value_kind:     by_value
      - .offset:         104
        .size:           4
        .value_kind:     by_value
    .group_segment_fixed_size: 32768
    .kernarg_segment_align: 8
    .kernarg_segment_size: 108
    .language:       OpenCL C
    .language_version:
      - 2
      - 0
    .max_flat_workgroup_size: 1024
    .name:           _ZL26rocblas_syr2k_her2k_kernelIiLb0ELb1ELb0ELi32E19rocblas_complex_numIdEPKS1_PS1_EvbiT_T4_T5_S5_lS7_S5_lT6_S5_li
    .private_segment_fixed_size: 0
    .sgpr_count:     32
    .sgpr_spill_count: 0
    .symbol:         _ZL26rocblas_syr2k_her2k_kernelIiLb0ELb1ELb0ELi32E19rocblas_complex_numIdEPKS1_PS1_EvbiT_T4_T5_S5_lS7_S5_lT6_S5_li.kd
    .uniform_work_group_size: 1
    .uses_dynamic_stack: false
    .vgpr_count:     37
    .vgpr_spill_count: 0
    .wavefront_size: 64
  - .args:
      - .offset:         0
        .size:           1
        .value_kind:     by_value
      - .offset:         4
        .size:           4
        .value_kind:     by_value
      - .offset:         8
        .size:           4
        .value_kind:     by_value
      - .offset:         16
        .size:           16
        .value_kind:     by_value
      - .address_space:  global
        .offset:         32
        .size:           8
        .value_kind:     global_buffer
      - .offset:         40
        .size:           4
        .value_kind:     by_value
      - .offset:         48
        .size:           8
        .value_kind:     by_value
      - .address_space:  global
        .offset:         56
        .size:           8
        .value_kind:     global_buffer
      - .offset:         64
        .size:           4
        .value_kind:     by_value
      - .offset:         72
        .size:           8
        .value_kind:     by_value
      - .address_space:  global
        .offset:         80
        .size:           8
        .value_kind:     global_buffer
      - .offset:         88
        .size:           4
        .value_kind:     by_value
      - .offset:         96
        .size:           8
        .value_kind:     by_value
      - .offset:         104
        .size:           4
        .value_kind:     by_value
    .group_segment_fixed_size: 32768
    .kernarg_segment_align: 8
    .kernarg_segment_size: 108
    .language:       OpenCL C
    .language_version:
      - 2
      - 0
    .max_flat_workgroup_size: 1024
    .name:           _ZL26rocblas_syr2k_her2k_kernelIiLb0ELb1ELb1ELi32E19rocblas_complex_numIdEPKS1_PS1_EvbiT_T4_T5_S5_lS7_S5_lT6_S5_li
    .private_segment_fixed_size: 0
    .sgpr_count:     32
    .sgpr_spill_count: 0
    .symbol:         _ZL26rocblas_syr2k_her2k_kernelIiLb0ELb1ELb1ELi32E19rocblas_complex_numIdEPKS1_PS1_EvbiT_T4_T5_S5_lS7_S5_lT6_S5_li.kd
    .uniform_work_group_size: 1
    .uses_dynamic_stack: false
    .vgpr_count:     39
    .vgpr_spill_count: 0
    .wavefront_size: 64
  - .args:
      - .offset:         0
        .size:           4
        .value_kind:     by_value
      - .offset:         4
        .size:           4
        .value_kind:     by_value
      - .address_space:  global
        .offset:         8
        .size:           8
        .value_kind:     global_buffer
      - .offset:         16
        .size:           4
        .value_kind:     by_value
      - .offset:         24
        .size:           8
        .value_kind:     by_value
      - .address_space:  global
        .offset:         32
        .size:           8
        .value_kind:     global_buffer
      - .offset:         40
        .size:           4
        .value_kind:     by_value
      - .offset:         48
        .size:           8
        .value_kind:     by_value
      - .address_space:  global
        .offset:         56
        .size:           8
        .value_kind:     global_buffer
      - .offset:         64
        .size:           4
        .value_kind:     by_value
      - .offset:         72
        .size:           8
        .value_kind:     by_value
      - .offset:         80
        .size:           4
        .value_kind:     by_value
    .group_segment_fixed_size: 8192
    .kernarg_segment_align: 8
    .kernarg_segment_size: 84
    .language:       OpenCL C
    .language_version:
      - 2
      - 0
    .max_flat_workgroup_size: 256
    .name:           _ZL37rocblas_syrkx_herkx_restricted_kernelIi19rocblas_complex_numIdELi16ELi32ELi8ELi1ELi1ELb1ELc84ELc76EKS1_S1_EviT_PT9_S3_lS5_S3_lPT10_S3_li
    .private_segment_fixed_size: 0
    .sgpr_count:     26
    .sgpr_spill_count: 0
    .symbol:         _ZL37rocblas_syrkx_herkx_restricted_kernelIi19rocblas_complex_numIdELi16ELi32ELi8ELi1ELi1ELb1ELc84ELc76EKS1_S1_EviT_PT9_S3_lS5_S3_lPT10_S3_li.kd
    .uniform_work_group_size: 1
    .uses_dynamic_stack: false
    .vgpr_count:     52
    .vgpr_spill_count: 0
    .wavefront_size: 64
  - .args:
      - .offset:         0
        .size:           4
        .value_kind:     by_value
      - .offset:         4
        .size:           4
        .value_kind:     by_value
      - .address_space:  global
        .offset:         8
        .size:           8
        .value_kind:     global_buffer
      - .offset:         16
        .size:           4
        .value_kind:     by_value
      - .offset:         24
        .size:           8
        .value_kind:     by_value
      - .address_space:  global
        .offset:         32
        .size:           8
        .value_kind:     global_buffer
      - .offset:         40
        .size:           4
        .value_kind:     by_value
      - .offset:         48
        .size:           8
        .value_kind:     by_value
      - .address_space:  global
        .offset:         56
        .size:           8
        .value_kind:     global_buffer
      - .offset:         64
        .size:           4
        .value_kind:     by_value
      - .offset:         72
        .size:           8
        .value_kind:     by_value
      - .offset:         80
        .size:           4
        .value_kind:     by_value
    .group_segment_fixed_size: 8192
    .kernarg_segment_align: 8
    .kernarg_segment_size: 84
    .language:       OpenCL C
    .language_version:
      - 2
      - 0
    .max_flat_workgroup_size: 256
    .name:           _ZL37rocblas_syrkx_herkx_restricted_kernelIi19rocblas_complex_numIdELi16ELi32ELi8ELi1ELi1ELb1ELc67ELc76EKS1_S1_EviT_PT9_S3_lS5_S3_lPT10_S3_li
    .private_segment_fixed_size: 0
    .sgpr_count:     26
    .sgpr_spill_count: 0
    .symbol:         _ZL37rocblas_syrkx_herkx_restricted_kernelIi19rocblas_complex_numIdELi16ELi32ELi8ELi1ELi1ELb1ELc67ELc76EKS1_S1_EviT_PT9_S3_lS5_S3_lPT10_S3_li.kd
    .uniform_work_group_size: 1
    .uses_dynamic_stack: false
    .vgpr_count:     52
    .vgpr_spill_count: 0
    .wavefront_size: 64
  - .args:
      - .offset:         0
        .size:           4
        .value_kind:     by_value
      - .offset:         4
        .size:           4
        .value_kind:     by_value
      - .address_space:  global
        .offset:         8
        .size:           8
        .value_kind:     global_buffer
      - .offset:         16
        .size:           4
        .value_kind:     by_value
      - .offset:         24
        .size:           8
        .value_kind:     by_value
      - .address_space:  global
        .offset:         32
        .size:           8
        .value_kind:     global_buffer
      - .offset:         40
        .size:           4
        .value_kind:     by_value
      - .offset:         48
        .size:           8
        .value_kind:     by_value
      - .address_space:  global
        .offset:         56
        .size:           8
        .value_kind:     global_buffer
      - .offset:         64
        .size:           4
        .value_kind:     by_value
      - .offset:         72
        .size:           8
        .value_kind:     by_value
      - .offset:         80
        .size:           4
        .value_kind:     by_value
    .group_segment_fixed_size: 8192
    .kernarg_segment_align: 8
    .kernarg_segment_size: 84
    .language:       OpenCL C
    .language_version:
      - 2
      - 0
    .max_flat_workgroup_size: 256
    .name:           _ZL37rocblas_syrkx_herkx_restricted_kernelIi19rocblas_complex_numIdELi16ELi32ELi8ELi1ELi1ELb1ELc78ELc76EKS1_S1_EviT_PT9_S3_lS5_S3_lPT10_S3_li
    .private_segment_fixed_size: 0
    .sgpr_count:     29
    .sgpr_spill_count: 0
    .symbol:         _ZL37rocblas_syrkx_herkx_restricted_kernelIi19rocblas_complex_numIdELi16ELi32ELi8ELi1ELi1ELb1ELc78ELc76EKS1_S1_EviT_PT9_S3_lS5_S3_lPT10_S3_li.kd
    .uniform_work_group_size: 1
    .uses_dynamic_stack: false
    .vgpr_count:     54
    .vgpr_spill_count: 0
    .wavefront_size: 64
  - .args:
      - .offset:         0
        .size:           4
        .value_kind:     by_value
      - .offset:         4
        .size:           4
        .value_kind:     by_value
      - .address_space:  global
        .offset:         8
        .size:           8
        .value_kind:     global_buffer
      - .offset:         16
        .size:           4
        .value_kind:     by_value
      - .offset:         24
        .size:           8
        .value_kind:     by_value
      - .address_space:  global
        .offset:         32
        .size:           8
        .value_kind:     global_buffer
      - .offset:         40
        .size:           4
        .value_kind:     by_value
      - .offset:         48
        .size:           8
        .value_kind:     by_value
      - .address_space:  global
        .offset:         56
        .size:           8
        .value_kind:     global_buffer
      - .offset:         64
        .size:           4
        .value_kind:     by_value
      - .offset:         72
        .size:           8
        .value_kind:     by_value
      - .offset:         80
        .size:           4
        .value_kind:     by_value
    .group_segment_fixed_size: 8192
    .kernarg_segment_align: 8
    .kernarg_segment_size: 84
    .language:       OpenCL C
    .language_version:
      - 2
      - 0
    .max_flat_workgroup_size: 256
    .name:           _ZL37rocblas_syrkx_herkx_restricted_kernelIi19rocblas_complex_numIdELi16ELi32ELi8ELi1ELi1ELb1ELc84ELc85EKS1_S1_EviT_PT9_S3_lS5_S3_lPT10_S3_li
    .private_segment_fixed_size: 0
    .sgpr_count:     26
    .sgpr_spill_count: 0
    .symbol:         _ZL37rocblas_syrkx_herkx_restricted_kernelIi19rocblas_complex_numIdELi16ELi32ELi8ELi1ELi1ELb1ELc84ELc85EKS1_S1_EviT_PT9_S3_lS5_S3_lPT10_S3_li.kd
    .uniform_work_group_size: 1
    .uses_dynamic_stack: false
    .vgpr_count:     52
    .vgpr_spill_count: 0
    .wavefront_size: 64
  - .args:
      - .offset:         0
        .size:           4
        .value_kind:     by_value
      - .offset:         4
        .size:           4
        .value_kind:     by_value
      - .address_space:  global
        .offset:         8
        .size:           8
        .value_kind:     global_buffer
      - .offset:         16
        .size:           4
        .value_kind:     by_value
      - .offset:         24
        .size:           8
        .value_kind:     by_value
      - .address_space:  global
        .offset:         32
        .size:           8
        .value_kind:     global_buffer
      - .offset:         40
        .size:           4
        .value_kind:     by_value
      - .offset:         48
        .size:           8
        .value_kind:     by_value
      - .address_space:  global
        .offset:         56
        .size:           8
        .value_kind:     global_buffer
      - .offset:         64
        .size:           4
        .value_kind:     by_value
      - .offset:         72
        .size:           8
        .value_kind:     by_value
      - .offset:         80
        .size:           4
        .value_kind:     by_value
    .group_segment_fixed_size: 8192
    .kernarg_segment_align: 8
    .kernarg_segment_size: 84
    .language:       OpenCL C
    .language_version:
      - 2
      - 0
    .max_flat_workgroup_size: 256
    .name:           _ZL37rocblas_syrkx_herkx_restricted_kernelIi19rocblas_complex_numIdELi16ELi32ELi8ELi1ELi1ELb1ELc67ELc85EKS1_S1_EviT_PT9_S3_lS5_S3_lPT10_S3_li
    .private_segment_fixed_size: 0
    .sgpr_count:     26
    .sgpr_spill_count: 0
    .symbol:         _ZL37rocblas_syrkx_herkx_restricted_kernelIi19rocblas_complex_numIdELi16ELi32ELi8ELi1ELi1ELb1ELc67ELc85EKS1_S1_EviT_PT9_S3_lS5_S3_lPT10_S3_li.kd
    .uniform_work_group_size: 1
    .uses_dynamic_stack: false
    .vgpr_count:     52
    .vgpr_spill_count: 0
    .wavefront_size: 64
  - .args:
      - .offset:         0
        .size:           4
        .value_kind:     by_value
      - .offset:         4
        .size:           4
        .value_kind:     by_value
      - .address_space:  global
        .offset:         8
        .size:           8
        .value_kind:     global_buffer
      - .offset:         16
        .size:           4
        .value_kind:     by_value
      - .offset:         24
        .size:           8
        .value_kind:     by_value
      - .address_space:  global
        .offset:         32
        .size:           8
        .value_kind:     global_buffer
      - .offset:         40
        .size:           4
        .value_kind:     by_value
      - .offset:         48
        .size:           8
        .value_kind:     by_value
      - .address_space:  global
        .offset:         56
        .size:           8
        .value_kind:     global_buffer
      - .offset:         64
        .size:           4
        .value_kind:     by_value
      - .offset:         72
        .size:           8
        .value_kind:     by_value
      - .offset:         80
        .size:           4
        .value_kind:     by_value
    .group_segment_fixed_size: 8192
    .kernarg_segment_align: 8
    .kernarg_segment_size: 84
    .language:       OpenCL C
    .language_version:
      - 2
      - 0
    .max_flat_workgroup_size: 256
    .name:           _ZL37rocblas_syrkx_herkx_restricted_kernelIi19rocblas_complex_numIdELi16ELi32ELi8ELi1ELi1ELb1ELc78ELc85EKS1_S1_EviT_PT9_S3_lS5_S3_lPT10_S3_li
    .private_segment_fixed_size: 0
    .sgpr_count:     29
    .sgpr_spill_count: 0
    .symbol:         _ZL37rocblas_syrkx_herkx_restricted_kernelIi19rocblas_complex_numIdELi16ELi32ELi8ELi1ELi1ELb1ELc78ELc85EKS1_S1_EviT_PT9_S3_lS5_S3_lPT10_S3_li.kd
    .uniform_work_group_size: 1
    .uses_dynamic_stack: false
    .vgpr_count:     54
    .vgpr_spill_count: 0
    .wavefront_size: 64
  - .args:
      - .offset:         0
        .size:           4
        .value_kind:     by_value
      - .offset:         4
        .size:           4
        .value_kind:     by_value
      - .address_space:  global
        .offset:         8
        .size:           8
        .value_kind:     global_buffer
      - .offset:         16
        .size:           4
        .value_kind:     by_value
      - .offset:         24
        .size:           8
        .value_kind:     by_value
      - .address_space:  global
        .offset:         32
        .size:           8
        .value_kind:     global_buffer
      - .offset:         40
        .size:           4
        .value_kind:     by_value
      - .offset:         48
        .size:           8
        .value_kind:     by_value
      - .address_space:  global
        .offset:         56
        .size:           8
        .value_kind:     global_buffer
      - .offset:         64
        .size:           4
        .value_kind:     by_value
      - .offset:         72
        .size:           8
        .value_kind:     by_value
      - .offset:         80
        .size:           4
        .value_kind:     by_value
    .group_segment_fixed_size: 8192
    .kernarg_segment_align: 8
    .kernarg_segment_size: 84
    .language:       OpenCL C
    .language_version:
      - 2
      - 0
    .max_flat_workgroup_size: 256
    .name:           _ZL37rocblas_syrkx_herkx_restricted_kernelIi19rocblas_complex_numIdELi16ELi32ELi8ELi1ELin1ELb1ELc84ELc76EKS1_S1_EviT_PT9_S3_lS5_S3_lPT10_S3_li
    .private_segment_fixed_size: 0
    .sgpr_count:     26
    .sgpr_spill_count: 0
    .symbol:         _ZL37rocblas_syrkx_herkx_restricted_kernelIi19rocblas_complex_numIdELi16ELi32ELi8ELi1ELin1ELb1ELc84ELc76EKS1_S1_EviT_PT9_S3_lS5_S3_lPT10_S3_li.kd
    .uniform_work_group_size: 1
    .uses_dynamic_stack: false
    .vgpr_count:     52
    .vgpr_spill_count: 0
    .wavefront_size: 64
  - .args:
      - .offset:         0
        .size:           4
        .value_kind:     by_value
      - .offset:         4
        .size:           4
        .value_kind:     by_value
      - .address_space:  global
        .offset:         8
        .size:           8
        .value_kind:     global_buffer
      - .offset:         16
        .size:           4
        .value_kind:     by_value
      - .offset:         24
        .size:           8
        .value_kind:     by_value
      - .address_space:  global
        .offset:         32
        .size:           8
        .value_kind:     global_buffer
      - .offset:         40
        .size:           4
        .value_kind:     by_value
      - .offset:         48
        .size:           8
        .value_kind:     by_value
      - .address_space:  global
        .offset:         56
        .size:           8
        .value_kind:     global_buffer
      - .offset:         64
        .size:           4
        .value_kind:     by_value
      - .offset:         72
        .size:           8
        .value_kind:     by_value
      - .offset:         80
        .size:           4
        .value_kind:     by_value
    .group_segment_fixed_size: 8192
    .kernarg_segment_align: 8
    .kernarg_segment_size: 84
    .language:       OpenCL C
    .language_version:
      - 2
      - 0
    .max_flat_workgroup_size: 256
    .name:           _ZL37rocblas_syrkx_herkx_restricted_kernelIi19rocblas_complex_numIdELi16ELi32ELi8ELi1ELin1ELb1ELc67ELc76EKS1_S1_EviT_PT9_S3_lS5_S3_lPT10_S3_li
    .private_segment_fixed_size: 0
    .sgpr_count:     26
    .sgpr_spill_count: 0
    .symbol:         _ZL37rocblas_syrkx_herkx_restricted_kernelIi19rocblas_complex_numIdELi16ELi32ELi8ELi1ELin1ELb1ELc67ELc76EKS1_S1_EviT_PT9_S3_lS5_S3_lPT10_S3_li.kd
    .uniform_work_group_size: 1
    .uses_dynamic_stack: false
    .vgpr_count:     52
    .vgpr_spill_count: 0
    .wavefront_size: 64
  - .args:
      - .offset:         0
        .size:           4
        .value_kind:     by_value
      - .offset:         4
        .size:           4
        .value_kind:     by_value
      - .address_space:  global
        .offset:         8
        .size:           8
        .value_kind:     global_buffer
      - .offset:         16
        .size:           4
        .value_kind:     by_value
      - .offset:         24
        .size:           8
        .value_kind:     by_value
      - .address_space:  global
        .offset:         32
        .size:           8
        .value_kind:     global_buffer
      - .offset:         40
        .size:           4
        .value_kind:     by_value
      - .offset:         48
        .size:           8
        .value_kind:     by_value
      - .address_space:  global
        .offset:         56
        .size:           8
        .value_kind:     global_buffer
      - .offset:         64
        .size:           4
        .value_kind:     by_value
      - .offset:         72
        .size:           8
        .value_kind:     by_value
      - .offset:         80
        .size:           4
        .value_kind:     by_value
    .group_segment_fixed_size: 8192
    .kernarg_segment_align: 8
    .kernarg_segment_size: 84
    .language:       OpenCL C
    .language_version:
      - 2
      - 0
    .max_flat_workgroup_size: 256
    .name:           _ZL37rocblas_syrkx_herkx_restricted_kernelIi19rocblas_complex_numIdELi16ELi32ELi8ELi1ELin1ELb1ELc78ELc76EKS1_S1_EviT_PT9_S3_lS5_S3_lPT10_S3_li
    .private_segment_fixed_size: 0
    .sgpr_count:     29
    .sgpr_spill_count: 0
    .symbol:         _ZL37rocblas_syrkx_herkx_restricted_kernelIi19rocblas_complex_numIdELi16ELi32ELi8ELi1ELin1ELb1ELc78ELc76EKS1_S1_EviT_PT9_S3_lS5_S3_lPT10_S3_li.kd
    .uniform_work_group_size: 1
    .uses_dynamic_stack: false
    .vgpr_count:     54
    .vgpr_spill_count: 0
    .wavefront_size: 64
  - .args:
      - .offset:         0
        .size:           4
        .value_kind:     by_value
      - .offset:         4
        .size:           4
        .value_kind:     by_value
      - .address_space:  global
        .offset:         8
        .size:           8
        .value_kind:     global_buffer
      - .offset:         16
        .size:           4
        .value_kind:     by_value
      - .offset:         24
        .size:           8
        .value_kind:     by_value
      - .address_space:  global
        .offset:         32
        .size:           8
        .value_kind:     global_buffer
      - .offset:         40
        .size:           4
        .value_kind:     by_value
      - .offset:         48
        .size:           8
        .value_kind:     by_value
      - .address_space:  global
        .offset:         56
        .size:           8
        .value_kind:     global_buffer
      - .offset:         64
        .size:           4
        .value_kind:     by_value
      - .offset:         72
        .size:           8
        .value_kind:     by_value
      - .offset:         80
        .size:           4
        .value_kind:     by_value
    .group_segment_fixed_size: 8192
    .kernarg_segment_align: 8
    .kernarg_segment_size: 84
    .language:       OpenCL C
    .language_version:
      - 2
      - 0
    .max_flat_workgroup_size: 256
    .name:           _ZL37rocblas_syrkx_herkx_restricted_kernelIi19rocblas_complex_numIdELi16ELi32ELi8ELi1ELin1ELb1ELc84ELc85EKS1_S1_EviT_PT9_S3_lS5_S3_lPT10_S3_li
    .private_segment_fixed_size: 0
    .sgpr_count:     26
    .sgpr_spill_count: 0
    .symbol:         _ZL37rocblas_syrkx_herkx_restricted_kernelIi19rocblas_complex_numIdELi16ELi32ELi8ELi1ELin1ELb1ELc84ELc85EKS1_S1_EviT_PT9_S3_lS5_S3_lPT10_S3_li.kd
    .uniform_work_group_size: 1
    .uses_dynamic_stack: false
    .vgpr_count:     52
    .vgpr_spill_count: 0
    .wavefront_size: 64
  - .args:
      - .offset:         0
        .size:           4
        .value_kind:     by_value
      - .offset:         4
        .size:           4
        .value_kind:     by_value
      - .address_space:  global
        .offset:         8
        .size:           8
        .value_kind:     global_buffer
      - .offset:         16
        .size:           4
        .value_kind:     by_value
      - .offset:         24
        .size:           8
        .value_kind:     by_value
      - .address_space:  global
        .offset:         32
        .size:           8
        .value_kind:     global_buffer
      - .offset:         40
        .size:           4
        .value_kind:     by_value
      - .offset:         48
        .size:           8
        .value_kind:     by_value
      - .address_space:  global
        .offset:         56
        .size:           8
        .value_kind:     global_buffer
      - .offset:         64
        .size:           4
        .value_kind:     by_value
      - .offset:         72
        .size:           8
        .value_kind:     by_value
      - .offset:         80
        .size:           4
        .value_kind:     by_value
    .group_segment_fixed_size: 8192
    .kernarg_segment_align: 8
    .kernarg_segment_size: 84
    .language:       OpenCL C
    .language_version:
      - 2
      - 0
    .max_flat_workgroup_size: 256
    .name:           _ZL37rocblas_syrkx_herkx_restricted_kernelIi19rocblas_complex_numIdELi16ELi32ELi8ELi1ELin1ELb1ELc67ELc85EKS1_S1_EviT_PT9_S3_lS5_S3_lPT10_S3_li
    .private_segment_fixed_size: 0
    .sgpr_count:     26
    .sgpr_spill_count: 0
    .symbol:         _ZL37rocblas_syrkx_herkx_restricted_kernelIi19rocblas_complex_numIdELi16ELi32ELi8ELi1ELin1ELb1ELc67ELc85EKS1_S1_EviT_PT9_S3_lS5_S3_lPT10_S3_li.kd
    .uniform_work_group_size: 1
    .uses_dynamic_stack: false
    .vgpr_count:     52
    .vgpr_spill_count: 0
    .wavefront_size: 64
  - .args:
      - .offset:         0
        .size:           4
        .value_kind:     by_value
      - .offset:         4
        .size:           4
        .value_kind:     by_value
      - .address_space:  global
        .offset:         8
        .size:           8
        .value_kind:     global_buffer
      - .offset:         16
        .size:           4
        .value_kind:     by_value
      - .offset:         24
        .size:           8
        .value_kind:     by_value
      - .address_space:  global
        .offset:         32
        .size:           8
        .value_kind:     global_buffer
      - .offset:         40
        .size:           4
        .value_kind:     by_value
      - .offset:         48
        .size:           8
        .value_kind:     by_value
      - .address_space:  global
        .offset:         56
        .size:           8
        .value_kind:     global_buffer
      - .offset:         64
        .size:           4
        .value_kind:     by_value
      - .offset:         72
        .size:           8
        .value_kind:     by_value
      - .offset:         80
        .size:           4
        .value_kind:     by_value
    .group_segment_fixed_size: 8192
    .kernarg_segment_align: 8
    .kernarg_segment_size: 84
    .language:       OpenCL C
    .language_version:
      - 2
      - 0
    .max_flat_workgroup_size: 256
    .name:           _ZL37rocblas_syrkx_herkx_restricted_kernelIi19rocblas_complex_numIdELi16ELi32ELi8ELi1ELin1ELb1ELc78ELc85EKS1_S1_EviT_PT9_S3_lS5_S3_lPT10_S3_li
    .private_segment_fixed_size: 0
    .sgpr_count:     29
    .sgpr_spill_count: 0
    .symbol:         _ZL37rocblas_syrkx_herkx_restricted_kernelIi19rocblas_complex_numIdELi16ELi32ELi8ELi1ELin1ELb1ELc78ELc85EKS1_S1_EviT_PT9_S3_lS5_S3_lPT10_S3_li.kd
    .uniform_work_group_size: 1
    .uses_dynamic_stack: false
    .vgpr_count:     54
    .vgpr_spill_count: 0
    .wavefront_size: 64
  - .args:
      - .offset:         0
        .size:           4
        .value_kind:     by_value
      - .offset:         4
        .size:           4
        .value_kind:     by_value
      - .address_space:  global
        .offset:         8
        .size:           8
        .value_kind:     global_buffer
      - .offset:         16
        .size:           4
        .value_kind:     by_value
      - .offset:         24
        .size:           8
        .value_kind:     by_value
      - .address_space:  global
        .offset:         32
        .size:           8
        .value_kind:     global_buffer
      - .offset:         40
        .size:           4
        .value_kind:     by_value
      - .offset:         48
        .size:           8
        .value_kind:     by_value
      - .address_space:  global
        .offset:         56
        .size:           8
        .value_kind:     global_buffer
      - .offset:         64
        .size:           4
        .value_kind:     by_value
      - .offset:         72
        .size:           8
        .value_kind:     by_value
      - .offset:         80
        .size:           4
        .value_kind:     by_value
    .group_segment_fixed_size: 8192
    .kernarg_segment_align: 8
    .kernarg_segment_size: 84
    .language:       OpenCL C
    .language_version:
      - 2
      - 0
    .max_flat_workgroup_size: 256
    .name:           _ZL37rocblas_syrkx_herkx_restricted_kernelIi19rocblas_complex_numIdELi16ELi32ELi8ELi1ELi0ELb1ELc84ELc76EKS1_S1_EviT_PT9_S3_lS5_S3_lPT10_S3_li
    .private_segment_fixed_size: 0
    .sgpr_count:     26
    .sgpr_spill_count: 0
    .symbol:         _ZL37rocblas_syrkx_herkx_restricted_kernelIi19rocblas_complex_numIdELi16ELi32ELi8ELi1ELi0ELb1ELc84ELc76EKS1_S1_EviT_PT9_S3_lS5_S3_lPT10_S3_li.kd
    .uniform_work_group_size: 1
    .uses_dynamic_stack: false
    .vgpr_count:     52
    .vgpr_spill_count: 0
    .wavefront_size: 64
  - .args:
      - .offset:         0
        .size:           4
        .value_kind:     by_value
      - .offset:         4
        .size:           4
        .value_kind:     by_value
      - .address_space:  global
        .offset:         8
        .size:           8
        .value_kind:     global_buffer
      - .offset:         16
        .size:           4
        .value_kind:     by_value
      - .offset:         24
        .size:           8
        .value_kind:     by_value
      - .address_space:  global
        .offset:         32
        .size:           8
        .value_kind:     global_buffer
      - .offset:         40
        .size:           4
        .value_kind:     by_value
      - .offset:         48
        .size:           8
        .value_kind:     by_value
      - .address_space:  global
        .offset:         56
        .size:           8
        .value_kind:     global_buffer
      - .offset:         64
        .size:           4
        .value_kind:     by_value
      - .offset:         72
        .size:           8
        .value_kind:     by_value
      - .offset:         80
        .size:           4
        .value_kind:     by_value
    .group_segment_fixed_size: 8192
    .kernarg_segment_align: 8
    .kernarg_segment_size: 84
    .language:       OpenCL C
    .language_version:
      - 2
      - 0
    .max_flat_workgroup_size: 256
    .name:           _ZL37rocblas_syrkx_herkx_restricted_kernelIi19rocblas_complex_numIdELi16ELi32ELi8ELi1ELi0ELb1ELc67ELc76EKS1_S1_EviT_PT9_S3_lS5_S3_lPT10_S3_li
    .private_segment_fixed_size: 0
    .sgpr_count:     26
    .sgpr_spill_count: 0
    .symbol:         _ZL37rocblas_syrkx_herkx_restricted_kernelIi19rocblas_complex_numIdELi16ELi32ELi8ELi1ELi0ELb1ELc67ELc76EKS1_S1_EviT_PT9_S3_lS5_S3_lPT10_S3_li.kd
    .uniform_work_group_size: 1
    .uses_dynamic_stack: false
    .vgpr_count:     52
    .vgpr_spill_count: 0
    .wavefront_size: 64
  - .args:
      - .offset:         0
        .size:           4
        .value_kind:     by_value
      - .offset:         4
        .size:           4
        .value_kind:     by_value
      - .address_space:  global
        .offset:         8
        .size:           8
        .value_kind:     global_buffer
      - .offset:         16
        .size:           4
        .value_kind:     by_value
      - .offset:         24
        .size:           8
        .value_kind:     by_value
      - .address_space:  global
        .offset:         32
        .size:           8
        .value_kind:     global_buffer
      - .offset:         40
        .size:           4
        .value_kind:     by_value
      - .offset:         48
        .size:           8
        .value_kind:     by_value
      - .address_space:  global
        .offset:         56
        .size:           8
        .value_kind:     global_buffer
      - .offset:         64
        .size:           4
        .value_kind:     by_value
      - .offset:         72
        .size:           8
        .value_kind:     by_value
      - .offset:         80
        .size:           4
        .value_kind:     by_value
    .group_segment_fixed_size: 8192
    .kernarg_segment_align: 8
    .kernarg_segment_size: 84
    .language:       OpenCL C
    .language_version:
      - 2
      - 0
    .max_flat_workgroup_size: 256
    .name:           _ZL37rocblas_syrkx_herkx_restricted_kernelIi19rocblas_complex_numIdELi16ELi32ELi8ELi1ELi0ELb1ELc78ELc76EKS1_S1_EviT_PT9_S3_lS5_S3_lPT10_S3_li
    .private_segment_fixed_size: 0
    .sgpr_count:     29
    .sgpr_spill_count: 0
    .symbol:         _ZL37rocblas_syrkx_herkx_restricted_kernelIi19rocblas_complex_numIdELi16ELi32ELi8ELi1ELi0ELb1ELc78ELc76EKS1_S1_EviT_PT9_S3_lS5_S3_lPT10_S3_li.kd
    .uniform_work_group_size: 1
    .uses_dynamic_stack: false
    .vgpr_count:     54
    .vgpr_spill_count: 0
    .wavefront_size: 64
  - .args:
      - .offset:         0
        .size:           4
        .value_kind:     by_value
      - .offset:         4
        .size:           4
        .value_kind:     by_value
      - .address_space:  global
        .offset:         8
        .size:           8
        .value_kind:     global_buffer
      - .offset:         16
        .size:           4
        .value_kind:     by_value
      - .offset:         24
        .size:           8
        .value_kind:     by_value
      - .address_space:  global
        .offset:         32
        .size:           8
        .value_kind:     global_buffer
      - .offset:         40
        .size:           4
        .value_kind:     by_value
      - .offset:         48
        .size:           8
        .value_kind:     by_value
      - .address_space:  global
        .offset:         56
        .size:           8
        .value_kind:     global_buffer
      - .offset:         64
        .size:           4
        .value_kind:     by_value
      - .offset:         72
        .size:           8
        .value_kind:     by_value
      - .offset:         80
        .size:           4
        .value_kind:     by_value
    .group_segment_fixed_size: 8192
    .kernarg_segment_align: 8
    .kernarg_segment_size: 84
    .language:       OpenCL C
    .language_version:
      - 2
      - 0
    .max_flat_workgroup_size: 256
    .name:           _ZL37rocblas_syrkx_herkx_restricted_kernelIi19rocblas_complex_numIdELi16ELi32ELi8ELi1ELi0ELb1ELc84ELc85EKS1_S1_EviT_PT9_S3_lS5_S3_lPT10_S3_li
    .private_segment_fixed_size: 0
    .sgpr_count:     26
    .sgpr_spill_count: 0
    .symbol:         _ZL37rocblas_syrkx_herkx_restricted_kernelIi19rocblas_complex_numIdELi16ELi32ELi8ELi1ELi0ELb1ELc84ELc85EKS1_S1_EviT_PT9_S3_lS5_S3_lPT10_S3_li.kd
    .uniform_work_group_size: 1
    .uses_dynamic_stack: false
    .vgpr_count:     52
    .vgpr_spill_count: 0
    .wavefront_size: 64
  - .args:
      - .offset:         0
        .size:           4
        .value_kind:     by_value
      - .offset:         4
        .size:           4
        .value_kind:     by_value
      - .address_space:  global
        .offset:         8
        .size:           8
        .value_kind:     global_buffer
      - .offset:         16
        .size:           4
        .value_kind:     by_value
      - .offset:         24
        .size:           8
        .value_kind:     by_value
      - .address_space:  global
        .offset:         32
        .size:           8
        .value_kind:     global_buffer
      - .offset:         40
        .size:           4
        .value_kind:     by_value
      - .offset:         48
        .size:           8
        .value_kind:     by_value
      - .address_space:  global
        .offset:         56
        .size:           8
        .value_kind:     global_buffer
      - .offset:         64
        .size:           4
        .value_kind:     by_value
      - .offset:         72
        .size:           8
        .value_kind:     by_value
      - .offset:         80
        .size:           4
        .value_kind:     by_value
    .group_segment_fixed_size: 8192
    .kernarg_segment_align: 8
    .kernarg_segment_size: 84
    .language:       OpenCL C
    .language_version:
      - 2
      - 0
    .max_flat_workgroup_size: 256
    .name:           _ZL37rocblas_syrkx_herkx_restricted_kernelIi19rocblas_complex_numIdELi16ELi32ELi8ELi1ELi0ELb1ELc67ELc85EKS1_S1_EviT_PT9_S3_lS5_S3_lPT10_S3_li
    .private_segment_fixed_size: 0
    .sgpr_count:     26
    .sgpr_spill_count: 0
    .symbol:         _ZL37rocblas_syrkx_herkx_restricted_kernelIi19rocblas_complex_numIdELi16ELi32ELi8ELi1ELi0ELb1ELc67ELc85EKS1_S1_EviT_PT9_S3_lS5_S3_lPT10_S3_li.kd
    .uniform_work_group_size: 1
    .uses_dynamic_stack: false
    .vgpr_count:     52
    .vgpr_spill_count: 0
    .wavefront_size: 64
  - .args:
      - .offset:         0
        .size:           4
        .value_kind:     by_value
      - .offset:         4
        .size:           4
        .value_kind:     by_value
      - .address_space:  global
        .offset:         8
        .size:           8
        .value_kind:     global_buffer
      - .offset:         16
        .size:           4
        .value_kind:     by_value
      - .offset:         24
        .size:           8
        .value_kind:     by_value
      - .address_space:  global
        .offset:         32
        .size:           8
        .value_kind:     global_buffer
      - .offset:         40
        .size:           4
        .value_kind:     by_value
      - .offset:         48
        .size:           8
        .value_kind:     by_value
      - .address_space:  global
        .offset:         56
        .size:           8
        .value_kind:     global_buffer
      - .offset:         64
        .size:           4
        .value_kind:     by_value
      - .offset:         72
        .size:           8
        .value_kind:     by_value
      - .offset:         80
        .size:           4
        .value_kind:     by_value
    .group_segment_fixed_size: 8192
    .kernarg_segment_align: 8
    .kernarg_segment_size: 84
    .language:       OpenCL C
    .language_version:
      - 2
      - 0
    .max_flat_workgroup_size: 256
    .name:           _ZL37rocblas_syrkx_herkx_restricted_kernelIi19rocblas_complex_numIdELi16ELi32ELi8ELi1ELi0ELb1ELc78ELc85EKS1_S1_EviT_PT9_S3_lS5_S3_lPT10_S3_li
    .private_segment_fixed_size: 0
    .sgpr_count:     29
    .sgpr_spill_count: 0
    .symbol:         _ZL37rocblas_syrkx_herkx_restricted_kernelIi19rocblas_complex_numIdELi16ELi32ELi8ELi1ELi0ELb1ELc78ELc85EKS1_S1_EviT_PT9_S3_lS5_S3_lPT10_S3_li.kd
    .uniform_work_group_size: 1
    .uses_dynamic_stack: false
    .vgpr_count:     54
    .vgpr_spill_count: 0
    .wavefront_size: 64
  - .args:
      - .offset:         0
        .size:           4
        .value_kind:     by_value
      - .offset:         4
        .size:           4
        .value_kind:     by_value
      - .address_space:  global
        .offset:         8
        .size:           8
        .value_kind:     global_buffer
      - .offset:         16
        .size:           4
        .value_kind:     by_value
      - .offset:         24
        .size:           8
        .value_kind:     by_value
      - .address_space:  global
        .offset:         32
        .size:           8
        .value_kind:     global_buffer
      - .offset:         40
        .size:           4
        .value_kind:     by_value
      - .offset:         48
        .size:           8
        .value_kind:     by_value
      - .address_space:  global
        .offset:         56
        .size:           8
        .value_kind:     global_buffer
      - .offset:         64
        .size:           4
        .value_kind:     by_value
      - .offset:         72
        .size:           8
        .value_kind:     by_value
      - .offset:         80
        .size:           4
        .value_kind:     by_value
    .group_segment_fixed_size: 8192
    .kernarg_segment_align: 8
    .kernarg_segment_size: 84
    .language:       OpenCL C
    .language_version:
      - 2
      - 0
    .max_flat_workgroup_size: 256
    .name:           _ZL37rocblas_syrkx_herkx_restricted_kernelIi19rocblas_complex_numIdELi16ELi32ELi8ELin1ELi0ELb1ELc84ELc76EKS1_S1_EviT_PT9_S3_lS5_S3_lPT10_S3_li
    .private_segment_fixed_size: 0
    .sgpr_count:     26
    .sgpr_spill_count: 0
    .symbol:         _ZL37rocblas_syrkx_herkx_restricted_kernelIi19rocblas_complex_numIdELi16ELi32ELi8ELin1ELi0ELb1ELc84ELc76EKS1_S1_EviT_PT9_S3_lS5_S3_lPT10_S3_li.kd
    .uniform_work_group_size: 1
    .uses_dynamic_stack: false
    .vgpr_count:     52
    .vgpr_spill_count: 0
    .wavefront_size: 64
  - .args:
      - .offset:         0
        .size:           4
        .value_kind:     by_value
      - .offset:         4
        .size:           4
        .value_kind:     by_value
      - .address_space:  global
        .offset:         8
        .size:           8
        .value_kind:     global_buffer
      - .offset:         16
        .size:           4
        .value_kind:     by_value
      - .offset:         24
        .size:           8
        .value_kind:     by_value
      - .address_space:  global
        .offset:         32
        .size:           8
        .value_kind:     global_buffer
      - .offset:         40
        .size:           4
        .value_kind:     by_value
      - .offset:         48
        .size:           8
        .value_kind:     by_value
      - .address_space:  global
        .offset:         56
        .size:           8
        .value_kind:     global_buffer
      - .offset:         64
        .size:           4
        .value_kind:     by_value
      - .offset:         72
        .size:           8
        .value_kind:     by_value
      - .offset:         80
        .size:           4
        .value_kind:     by_value
    .group_segment_fixed_size: 8192
    .kernarg_segment_align: 8
    .kernarg_segment_size: 84
    .language:       OpenCL C
    .language_version:
      - 2
      - 0
    .max_flat_workgroup_size: 256
    .name:           _ZL37rocblas_syrkx_herkx_restricted_kernelIi19rocblas_complex_numIdELi16ELi32ELi8ELin1ELi0ELb1ELc67ELc76EKS1_S1_EviT_PT9_S3_lS5_S3_lPT10_S3_li
    .private_segment_fixed_size: 0
    .sgpr_count:     26
    .sgpr_spill_count: 0
    .symbol:         _ZL37rocblas_syrkx_herkx_restricted_kernelIi19rocblas_complex_numIdELi16ELi32ELi8ELin1ELi0ELb1ELc67ELc76EKS1_S1_EviT_PT9_S3_lS5_S3_lPT10_S3_li.kd
    .uniform_work_group_size: 1
    .uses_dynamic_stack: false
    .vgpr_count:     52
    .vgpr_spill_count: 0
    .wavefront_size: 64
  - .args:
      - .offset:         0
        .size:           4
        .value_kind:     by_value
      - .offset:         4
        .size:           4
        .value_kind:     by_value
      - .address_space:  global
        .offset:         8
        .size:           8
        .value_kind:     global_buffer
      - .offset:         16
        .size:           4
        .value_kind:     by_value
      - .offset:         24
        .size:           8
        .value_kind:     by_value
      - .address_space:  global
        .offset:         32
        .size:           8
        .value_kind:     global_buffer
      - .offset:         40
        .size:           4
        .value_kind:     by_value
      - .offset:         48
        .size:           8
        .value_kind:     by_value
      - .address_space:  global
        .offset:         56
        .size:           8
        .value_kind:     global_buffer
      - .offset:         64
        .size:           4
        .value_kind:     by_value
      - .offset:         72
        .size:           8
        .value_kind:     by_value
      - .offset:         80
        .size:           4
        .value_kind:     by_value
    .group_segment_fixed_size: 8192
    .kernarg_segment_align: 8
    .kernarg_segment_size: 84
    .language:       OpenCL C
    .language_version:
      - 2
      - 0
    .max_flat_workgroup_size: 256
    .name:           _ZL37rocblas_syrkx_herkx_restricted_kernelIi19rocblas_complex_numIdELi16ELi32ELi8ELin1ELi0ELb1ELc78ELc76EKS1_S1_EviT_PT9_S3_lS5_S3_lPT10_S3_li
    .private_segment_fixed_size: 0
    .sgpr_count:     29
    .sgpr_spill_count: 0
    .symbol:         _ZL37rocblas_syrkx_herkx_restricted_kernelIi19rocblas_complex_numIdELi16ELi32ELi8ELin1ELi0ELb1ELc78ELc76EKS1_S1_EviT_PT9_S3_lS5_S3_lPT10_S3_li.kd
    .uniform_work_group_size: 1
    .uses_dynamic_stack: false
    .vgpr_count:     54
    .vgpr_spill_count: 0
    .wavefront_size: 64
  - .args:
      - .offset:         0
        .size:           4
        .value_kind:     by_value
      - .offset:         4
        .size:           4
        .value_kind:     by_value
      - .address_space:  global
        .offset:         8
        .size:           8
        .value_kind:     global_buffer
      - .offset:         16
        .size:           4
        .value_kind:     by_value
      - .offset:         24
        .size:           8
        .value_kind:     by_value
      - .address_space:  global
        .offset:         32
        .size:           8
        .value_kind:     global_buffer
      - .offset:         40
        .size:           4
        .value_kind:     by_value
      - .offset:         48
        .size:           8
        .value_kind:     by_value
      - .address_space:  global
        .offset:         56
        .size:           8
        .value_kind:     global_buffer
      - .offset:         64
        .size:           4
        .value_kind:     by_value
      - .offset:         72
        .size:           8
        .value_kind:     by_value
      - .offset:         80
        .size:           4
        .value_kind:     by_value
    .group_segment_fixed_size: 8192
    .kernarg_segment_align: 8
    .kernarg_segment_size: 84
    .language:       OpenCL C
    .language_version:
      - 2
      - 0
    .max_flat_workgroup_size: 256
    .name:           _ZL37rocblas_syrkx_herkx_restricted_kernelIi19rocblas_complex_numIdELi16ELi32ELi8ELin1ELi0ELb1ELc84ELc85EKS1_S1_EviT_PT9_S3_lS5_S3_lPT10_S3_li
    .private_segment_fixed_size: 0
    .sgpr_count:     26
    .sgpr_spill_count: 0
    .symbol:         _ZL37rocblas_syrkx_herkx_restricted_kernelIi19rocblas_complex_numIdELi16ELi32ELi8ELin1ELi0ELb1ELc84ELc85EKS1_S1_EviT_PT9_S3_lS5_S3_lPT10_S3_li.kd
    .uniform_work_group_size: 1
    .uses_dynamic_stack: false
    .vgpr_count:     52
    .vgpr_spill_count: 0
    .wavefront_size: 64
  - .args:
      - .offset:         0
        .size:           4
        .value_kind:     by_value
      - .offset:         4
        .size:           4
        .value_kind:     by_value
      - .address_space:  global
        .offset:         8
        .size:           8
        .value_kind:     global_buffer
      - .offset:         16
        .size:           4
        .value_kind:     by_value
      - .offset:         24
        .size:           8
        .value_kind:     by_value
      - .address_space:  global
        .offset:         32
        .size:           8
        .value_kind:     global_buffer
      - .offset:         40
        .size:           4
        .value_kind:     by_value
      - .offset:         48
        .size:           8
        .value_kind:     by_value
      - .address_space:  global
        .offset:         56
        .size:           8
        .value_kind:     global_buffer
      - .offset:         64
        .size:           4
        .value_kind:     by_value
      - .offset:         72
        .size:           8
        .value_kind:     by_value
      - .offset:         80
        .size:           4
        .value_kind:     by_value
    .group_segment_fixed_size: 8192
    .kernarg_segment_align: 8
    .kernarg_segment_size: 84
    .language:       OpenCL C
    .language_version:
      - 2
      - 0
    .max_flat_workgroup_size: 256
    .name:           _ZL37rocblas_syrkx_herkx_restricted_kernelIi19rocblas_complex_numIdELi16ELi32ELi8ELin1ELi0ELb1ELc67ELc85EKS1_S1_EviT_PT9_S3_lS5_S3_lPT10_S3_li
    .private_segment_fixed_size: 0
    .sgpr_count:     26
    .sgpr_spill_count: 0
    .symbol:         _ZL37rocblas_syrkx_herkx_restricted_kernelIi19rocblas_complex_numIdELi16ELi32ELi8ELin1ELi0ELb1ELc67ELc85EKS1_S1_EviT_PT9_S3_lS5_S3_lPT10_S3_li.kd
    .uniform_work_group_size: 1
    .uses_dynamic_stack: false
    .vgpr_count:     52
    .vgpr_spill_count: 0
    .wavefront_size: 64
  - .args:
      - .offset:         0
        .size:           4
        .value_kind:     by_value
      - .offset:         4
        .size:           4
        .value_kind:     by_value
      - .address_space:  global
        .offset:         8
        .size:           8
        .value_kind:     global_buffer
      - .offset:         16
        .size:           4
        .value_kind:     by_value
      - .offset:         24
        .size:           8
        .value_kind:     by_value
      - .address_space:  global
        .offset:         32
        .size:           8
        .value_kind:     global_buffer
      - .offset:         40
        .size:           4
        .value_kind:     by_value
      - .offset:         48
        .size:           8
        .value_kind:     by_value
      - .address_space:  global
        .offset:         56
        .size:           8
        .value_kind:     global_buffer
      - .offset:         64
        .size:           4
        .value_kind:     by_value
      - .offset:         72
        .size:           8
        .value_kind:     by_value
      - .offset:         80
        .size:           4
        .value_kind:     by_value
    .group_segment_fixed_size: 8192
    .kernarg_segment_align: 8
    .kernarg_segment_size: 84
    .language:       OpenCL C
    .language_version:
      - 2
      - 0
    .max_flat_workgroup_size: 256
    .name:           _ZL37rocblas_syrkx_herkx_restricted_kernelIi19rocblas_complex_numIdELi16ELi32ELi8ELin1ELi0ELb1ELc78ELc85EKS1_S1_EviT_PT9_S3_lS5_S3_lPT10_S3_li
    .private_segment_fixed_size: 0
    .sgpr_count:     29
    .sgpr_spill_count: 0
    .symbol:         _ZL37rocblas_syrkx_herkx_restricted_kernelIi19rocblas_complex_numIdELi16ELi32ELi8ELin1ELi0ELb1ELc78ELc85EKS1_S1_EviT_PT9_S3_lS5_S3_lPT10_S3_li.kd
    .uniform_work_group_size: 1
    .uses_dynamic_stack: false
    .vgpr_count:     54
    .vgpr_spill_count: 0
    .wavefront_size: 64
  - .args:
      - .offset:         0
        .size:           4
        .value_kind:     by_value
      - .offset:         4
        .size:           4
        .value_kind:     by_value
      - .offset:         8
        .size:           16
        .value_kind:     by_value
      - .address_space:  global
        .offset:         24
        .size:           8
        .value_kind:     global_buffer
      - .offset:         32
        .size:           4
        .value_kind:     by_value
      - .offset:         40
        .size:           8
        .value_kind:     by_value
      - .address_space:  global
        .offset:         48
        .size:           8
        .value_kind:     global_buffer
      - .offset:         56
        .size:           4
        .value_kind:     by_value
      - .offset:         64
        .size:           8
        .value_kind:     by_value
      - .offset:         72
        .size:           16
        .value_kind:     by_value
      - .address_space:  global
        .offset:         88
        .size:           8
        .value_kind:     global_buffer
      - .offset:         96
        .size:           4
        .value_kind:     by_value
      - .offset:         104
        .size:           8
        .value_kind:     by_value
      - .offset:         112
        .size:           4
        .value_kind:     by_value
    .group_segment_fixed_size: 8192
    .kernarg_segment_align: 8
    .kernarg_segment_size: 116
    .language:       OpenCL C
    .language_version:
      - 2
      - 0
    .max_flat_workgroup_size: 256
    .name:           _ZL37rocblas_syrkx_herkx_restricted_kernelIi19rocblas_complex_numIdELi16ELi32ELi8ELb1ELb1ELc84ELc76EKS1_S1_EviT_T0_PT8_S3_lS6_S3_lS4_PT9_S3_li
    .private_segment_fixed_size: 0
    .sgpr_count:     28
    .sgpr_spill_count: 0
    .symbol:         _ZL37rocblas_syrkx_herkx_restricted_kernelIi19rocblas_complex_numIdELi16ELi32ELi8ELb1ELb1ELc84ELc76EKS1_S1_EviT_T0_PT8_S3_lS6_S3_lS4_PT9_S3_li.kd
    .uniform_work_group_size: 1
    .uses_dynamic_stack: false
    .vgpr_count:     52
    .vgpr_spill_count: 0
    .wavefront_size: 64
  - .args:
      - .offset:         0
        .size:           4
        .value_kind:     by_value
      - .offset:         4
        .size:           4
        .value_kind:     by_value
      - .offset:         8
        .size:           16
        .value_kind:     by_value
      - .address_space:  global
        .offset:         24
        .size:           8
        .value_kind:     global_buffer
      - .offset:         32
        .size:           4
        .value_kind:     by_value
      - .offset:         40
        .size:           8
        .value_kind:     by_value
      - .address_space:  global
        .offset:         48
        .size:           8
        .value_kind:     global_buffer
      - .offset:         56
        .size:           4
        .value_kind:     by_value
      - .offset:         64
        .size:           8
        .value_kind:     by_value
      - .offset:         72
        .size:           16
        .value_kind:     by_value
      - .address_space:  global
        .offset:         88
        .size:           8
        .value_kind:     global_buffer
      - .offset:         96
        .size:           4
        .value_kind:     by_value
      - .offset:         104
        .size:           8
        .value_kind:     by_value
      - .offset:         112
        .size:           4
        .value_kind:     by_value
    .group_segment_fixed_size: 8192
    .kernarg_segment_align: 8
    .kernarg_segment_size: 116
    .language:       OpenCL C
    .language_version:
      - 2
      - 0
    .max_flat_workgroup_size: 256
    .name:           _ZL37rocblas_syrkx_herkx_restricted_kernelIi19rocblas_complex_numIdELi16ELi32ELi8ELb1ELb1ELc67ELc76EKS1_S1_EviT_T0_PT8_S3_lS6_S3_lS4_PT9_S3_li
    .private_segment_fixed_size: 0
    .sgpr_count:     28
    .sgpr_spill_count: 0
    .symbol:         _ZL37rocblas_syrkx_herkx_restricted_kernelIi19rocblas_complex_numIdELi16ELi32ELi8ELb1ELb1ELc67ELc76EKS1_S1_EviT_T0_PT8_S3_lS6_S3_lS4_PT9_S3_li.kd
    .uniform_work_group_size: 1
    .uses_dynamic_stack: false
    .vgpr_count:     52
    .vgpr_spill_count: 0
    .wavefront_size: 64
  - .args:
      - .offset:         0
        .size:           4
        .value_kind:     by_value
      - .offset:         4
        .size:           4
        .value_kind:     by_value
      - .offset:         8
        .size:           16
        .value_kind:     by_value
      - .address_space:  global
        .offset:         24
        .size:           8
        .value_kind:     global_buffer
      - .offset:         32
        .size:           4
        .value_kind:     by_value
      - .offset:         40
        .size:           8
        .value_kind:     by_value
      - .address_space:  global
        .offset:         48
        .size:           8
        .value_kind:     global_buffer
      - .offset:         56
        .size:           4
        .value_kind:     by_value
      - .offset:         64
        .size:           8
        .value_kind:     by_value
      - .offset:         72
        .size:           16
        .value_kind:     by_value
      - .address_space:  global
        .offset:         88
        .size:           8
        .value_kind:     global_buffer
      - .offset:         96
        .size:           4
        .value_kind:     by_value
      - .offset:         104
        .size:           8
        .value_kind:     by_value
      - .offset:         112
        .size:           4
        .value_kind:     by_value
    .group_segment_fixed_size: 8192
    .kernarg_segment_align: 8
    .kernarg_segment_size: 116
    .language:       OpenCL C
    .language_version:
      - 2
      - 0
    .max_flat_workgroup_size: 256
    .name:           _ZL37rocblas_syrkx_herkx_restricted_kernelIi19rocblas_complex_numIdELi16ELi32ELi8ELb1ELb1ELc78ELc76EKS1_S1_EviT_T0_PT8_S3_lS6_S3_lS4_PT9_S3_li
    .private_segment_fixed_size: 0
    .sgpr_count:     31
    .sgpr_spill_count: 0
    .symbol:         _ZL37rocblas_syrkx_herkx_restricted_kernelIi19rocblas_complex_numIdELi16ELi32ELi8ELb1ELb1ELc78ELc76EKS1_S1_EviT_T0_PT8_S3_lS6_S3_lS4_PT9_S3_li.kd
    .uniform_work_group_size: 1
    .uses_dynamic_stack: false
    .vgpr_count:     54
    .vgpr_spill_count: 0
    .wavefront_size: 64
  - .args:
      - .offset:         0
        .size:           4
        .value_kind:     by_value
      - .offset:         4
        .size:           4
        .value_kind:     by_value
      - .offset:         8
        .size:           16
        .value_kind:     by_value
      - .address_space:  global
        .offset:         24
        .size:           8
        .value_kind:     global_buffer
      - .offset:         32
        .size:           4
        .value_kind:     by_value
      - .offset:         40
        .size:           8
        .value_kind:     by_value
      - .address_space:  global
        .offset:         48
        .size:           8
        .value_kind:     global_buffer
      - .offset:         56
        .size:           4
        .value_kind:     by_value
      - .offset:         64
        .size:           8
        .value_kind:     by_value
      - .offset:         72
        .size:           16
        .value_kind:     by_value
      - .address_space:  global
        .offset:         88
        .size:           8
        .value_kind:     global_buffer
      - .offset:         96
        .size:           4
        .value_kind:     by_value
      - .offset:         104
        .size:           8
        .value_kind:     by_value
      - .offset:         112
        .size:           4
        .value_kind:     by_value
    .group_segment_fixed_size: 8192
    .kernarg_segment_align: 8
    .kernarg_segment_size: 116
    .language:       OpenCL C
    .language_version:
      - 2
      - 0
    .max_flat_workgroup_size: 256
    .name:           _ZL37rocblas_syrkx_herkx_restricted_kernelIi19rocblas_complex_numIdELi16ELi32ELi8ELb1ELb1ELc84ELc85EKS1_S1_EviT_T0_PT8_S3_lS6_S3_lS4_PT9_S3_li
    .private_segment_fixed_size: 0
    .sgpr_count:     28
    .sgpr_spill_count: 0
    .symbol:         _ZL37rocblas_syrkx_herkx_restricted_kernelIi19rocblas_complex_numIdELi16ELi32ELi8ELb1ELb1ELc84ELc85EKS1_S1_EviT_T0_PT8_S3_lS6_S3_lS4_PT9_S3_li.kd
    .uniform_work_group_size: 1
    .uses_dynamic_stack: false
    .vgpr_count:     52
    .vgpr_spill_count: 0
    .wavefront_size: 64
  - .args:
      - .offset:         0
        .size:           4
        .value_kind:     by_value
      - .offset:         4
        .size:           4
        .value_kind:     by_value
      - .offset:         8
        .size:           16
        .value_kind:     by_value
      - .address_space:  global
        .offset:         24
        .size:           8
        .value_kind:     global_buffer
      - .offset:         32
        .size:           4
        .value_kind:     by_value
      - .offset:         40
        .size:           8
        .value_kind:     by_value
      - .address_space:  global
        .offset:         48
        .size:           8
        .value_kind:     global_buffer
      - .offset:         56
        .size:           4
        .value_kind:     by_value
      - .offset:         64
        .size:           8
        .value_kind:     by_value
      - .offset:         72
        .size:           16
        .value_kind:     by_value
      - .address_space:  global
        .offset:         88
        .size:           8
        .value_kind:     global_buffer
      - .offset:         96
        .size:           4
        .value_kind:     by_value
      - .offset:         104
        .size:           8
        .value_kind:     by_value
      - .offset:         112
        .size:           4
        .value_kind:     by_value
    .group_segment_fixed_size: 8192
    .kernarg_segment_align: 8
    .kernarg_segment_size: 116
    .language:       OpenCL C
    .language_version:
      - 2
      - 0
    .max_flat_workgroup_size: 256
    .name:           _ZL37rocblas_syrkx_herkx_restricted_kernelIi19rocblas_complex_numIdELi16ELi32ELi8ELb1ELb1ELc67ELc85EKS1_S1_EviT_T0_PT8_S3_lS6_S3_lS4_PT9_S3_li
    .private_segment_fixed_size: 0
    .sgpr_count:     28
    .sgpr_spill_count: 0
    .symbol:         _ZL37rocblas_syrkx_herkx_restricted_kernelIi19rocblas_complex_numIdELi16ELi32ELi8ELb1ELb1ELc67ELc85EKS1_S1_EviT_T0_PT8_S3_lS6_S3_lS4_PT9_S3_li.kd
    .uniform_work_group_size: 1
    .uses_dynamic_stack: false
    .vgpr_count:     52
    .vgpr_spill_count: 0
    .wavefront_size: 64
  - .args:
      - .offset:         0
        .size:           4
        .value_kind:     by_value
      - .offset:         4
        .size:           4
        .value_kind:     by_value
      - .offset:         8
        .size:           16
        .value_kind:     by_value
      - .address_space:  global
        .offset:         24
        .size:           8
        .value_kind:     global_buffer
      - .offset:         32
        .size:           4
        .value_kind:     by_value
      - .offset:         40
        .size:           8
        .value_kind:     by_value
      - .address_space:  global
        .offset:         48
        .size:           8
        .value_kind:     global_buffer
      - .offset:         56
        .size:           4
        .value_kind:     by_value
      - .offset:         64
        .size:           8
        .value_kind:     by_value
      - .offset:         72
        .size:           16
        .value_kind:     by_value
      - .address_space:  global
        .offset:         88
        .size:           8
        .value_kind:     global_buffer
      - .offset:         96
        .size:           4
        .value_kind:     by_value
      - .offset:         104
        .size:           8
        .value_kind:     by_value
      - .offset:         112
        .size:           4
        .value_kind:     by_value
    .group_segment_fixed_size: 8192
    .kernarg_segment_align: 8
    .kernarg_segment_size: 116
    .language:       OpenCL C
    .language_version:
      - 2
      - 0
    .max_flat_workgroup_size: 256
    .name:           _ZL37rocblas_syrkx_herkx_restricted_kernelIi19rocblas_complex_numIdELi16ELi32ELi8ELb1ELb1ELc78ELc85EKS1_S1_EviT_T0_PT8_S3_lS6_S3_lS4_PT9_S3_li
    .private_segment_fixed_size: 0
    .sgpr_count:     31
    .sgpr_spill_count: 0
    .symbol:         _ZL37rocblas_syrkx_herkx_restricted_kernelIi19rocblas_complex_numIdELi16ELi32ELi8ELb1ELb1ELc78ELc85EKS1_S1_EviT_T0_PT8_S3_lS6_S3_lS4_PT9_S3_li.kd
    .uniform_work_group_size: 1
    .uses_dynamic_stack: false
    .vgpr_count:     54
    .vgpr_spill_count: 0
    .wavefront_size: 64
  - .args:
      - .offset:         0
        .size:           4
        .value_kind:     by_value
      - .offset:         4
        .size:           4
        .value_kind:     by_value
      - .offset:         8
        .size:           16
        .value_kind:     by_value
      - .address_space:  global
        .offset:         24
        .size:           8
        .value_kind:     global_buffer
      - .offset:         32
        .size:           4
        .value_kind:     by_value
      - .offset:         40
        .size:           8
        .value_kind:     by_value
      - .address_space:  global
        .offset:         48
        .size:           8
        .value_kind:     global_buffer
      - .offset:         56
        .size:           4
        .value_kind:     by_value
      - .offset:         64
        .size:           8
        .value_kind:     by_value
      - .offset:         72
        .size:           16
        .value_kind:     by_value
      - .address_space:  global
        .offset:         88
        .size:           8
        .value_kind:     global_buffer
      - .offset:         96
        .size:           4
        .value_kind:     by_value
      - .offset:         104
        .size:           8
        .value_kind:     by_value
      - .offset:         112
        .size:           4
        .value_kind:     by_value
    .group_segment_fixed_size: 8192
    .kernarg_segment_align: 8
    .kernarg_segment_size: 116
    .language:       OpenCL C
    .language_version:
      - 2
      - 0
    .max_flat_workgroup_size: 256
    .name:           _ZL37rocblas_syrkx_herkx_restricted_kernelIi19rocblas_complex_numIdELi16ELi32ELi8ELb0ELb1ELc84ELc76EKS1_S1_EviT_T0_PT8_S3_lS6_S3_lS4_PT9_S3_li
    .private_segment_fixed_size: 0
    .sgpr_count:     34
    .sgpr_spill_count: 0
    .symbol:         _ZL37rocblas_syrkx_herkx_restricted_kernelIi19rocblas_complex_numIdELi16ELi32ELi8ELb0ELb1ELc84ELc76EKS1_S1_EviT_T0_PT8_S3_lS6_S3_lS4_PT9_S3_li.kd
    .uniform_work_group_size: 1
    .uses_dynamic_stack: false
    .vgpr_count:     54
    .vgpr_spill_count: 0
    .wavefront_size: 64
  - .args:
      - .offset:         0
        .size:           4
        .value_kind:     by_value
      - .offset:         4
        .size:           4
        .value_kind:     by_value
      - .offset:         8
        .size:           16
        .value_kind:     by_value
      - .address_space:  global
        .offset:         24
        .size:           8
        .value_kind:     global_buffer
      - .offset:         32
        .size:           4
        .value_kind:     by_value
      - .offset:         40
        .size:           8
        .value_kind:     by_value
      - .address_space:  global
        .offset:         48
        .size:           8
        .value_kind:     global_buffer
      - .offset:         56
        .size:           4
        .value_kind:     by_value
      - .offset:         64
        .size:           8
        .value_kind:     by_value
      - .offset:         72
        .size:           16
        .value_kind:     by_value
      - .address_space:  global
        .offset:         88
        .size:           8
        .value_kind:     global_buffer
      - .offset:         96
        .size:           4
        .value_kind:     by_value
      - .offset:         104
        .size:           8
        .value_kind:     by_value
      - .offset:         112
        .size:           4
        .value_kind:     by_value
    .group_segment_fixed_size: 8192
    .kernarg_segment_align: 8
    .kernarg_segment_size: 116
    .language:       OpenCL C
    .language_version:
      - 2
      - 0
    .max_flat_workgroup_size: 256
    .name:           _ZL37rocblas_syrkx_herkx_restricted_kernelIi19rocblas_complex_numIdELi16ELi32ELi8ELb0ELb1ELc67ELc76EKS1_S1_EviT_T0_PT8_S3_lS6_S3_lS4_PT9_S3_li
    .private_segment_fixed_size: 0
    .sgpr_count:     34
    .sgpr_spill_count: 0
    .symbol:         _ZL37rocblas_syrkx_herkx_restricted_kernelIi19rocblas_complex_numIdELi16ELi32ELi8ELb0ELb1ELc67ELc76EKS1_S1_EviT_T0_PT8_S3_lS6_S3_lS4_PT9_S3_li.kd
    .uniform_work_group_size: 1
    .uses_dynamic_stack: false
    .vgpr_count:     54
    .vgpr_spill_count: 0
    .wavefront_size: 64
  - .args:
      - .offset:         0
        .size:           4
        .value_kind:     by_value
      - .offset:         4
        .size:           4
        .value_kind:     by_value
      - .offset:         8
        .size:           16
        .value_kind:     by_value
      - .address_space:  global
        .offset:         24
        .size:           8
        .value_kind:     global_buffer
      - .offset:         32
        .size:           4
        .value_kind:     by_value
      - .offset:         40
        .size:           8
        .value_kind:     by_value
      - .address_space:  global
        .offset:         48
        .size:           8
        .value_kind:     global_buffer
      - .offset:         56
        .size:           4
        .value_kind:     by_value
      - .offset:         64
        .size:           8
        .value_kind:     by_value
      - .offset:         72
        .size:           16
        .value_kind:     by_value
      - .address_space:  global
        .offset:         88
        .size:           8
        .value_kind:     global_buffer
      - .offset:         96
        .size:           4
        .value_kind:     by_value
      - .offset:         104
        .size:           8
        .value_kind:     by_value
      - .offset:         112
        .size:           4
        .value_kind:     by_value
    .group_segment_fixed_size: 8192
    .kernarg_segment_align: 8
    .kernarg_segment_size: 116
    .language:       OpenCL C
    .language_version:
      - 2
      - 0
    .max_flat_workgroup_size: 256
    .name:           _ZL37rocblas_syrkx_herkx_restricted_kernelIi19rocblas_complex_numIdELi16ELi32ELi8ELb0ELb1ELc78ELc76EKS1_S1_EviT_T0_PT8_S3_lS6_S3_lS4_PT9_S3_li
    .private_segment_fixed_size: 0
    .sgpr_count:     38
    .sgpr_spill_count: 0
    .symbol:         _ZL37rocblas_syrkx_herkx_restricted_kernelIi19rocblas_complex_numIdELi16ELi32ELi8ELb0ELb1ELc78ELc76EKS1_S1_EviT_T0_PT8_S3_lS6_S3_lS4_PT9_S3_li.kd
    .uniform_work_group_size: 1
    .uses_dynamic_stack: false
    .vgpr_count:     54
    .vgpr_spill_count: 0
    .wavefront_size: 64
  - .args:
      - .offset:         0
        .size:           4
        .value_kind:     by_value
      - .offset:         4
        .size:           4
        .value_kind:     by_value
      - .offset:         8
        .size:           16
        .value_kind:     by_value
      - .address_space:  global
        .offset:         24
        .size:           8
        .value_kind:     global_buffer
      - .offset:         32
        .size:           4
        .value_kind:     by_value
      - .offset:         40
        .size:           8
        .value_kind:     by_value
      - .address_space:  global
        .offset:         48
        .size:           8
        .value_kind:     global_buffer
      - .offset:         56
        .size:           4
        .value_kind:     by_value
      - .offset:         64
        .size:           8
        .value_kind:     by_value
      - .offset:         72
        .size:           16
        .value_kind:     by_value
      - .address_space:  global
        .offset:         88
        .size:           8
        .value_kind:     global_buffer
      - .offset:         96
        .size:           4
        .value_kind:     by_value
      - .offset:         104
        .size:           8
        .value_kind:     by_value
      - .offset:         112
        .size:           4
        .value_kind:     by_value
    .group_segment_fixed_size: 8192
    .kernarg_segment_align: 8
    .kernarg_segment_size: 116
    .language:       OpenCL C
    .language_version:
      - 2
      - 0
    .max_flat_workgroup_size: 256
    .name:           _ZL37rocblas_syrkx_herkx_restricted_kernelIi19rocblas_complex_numIdELi16ELi32ELi8ELb0ELb1ELc84ELc85EKS1_S1_EviT_T0_PT8_S3_lS6_S3_lS4_PT9_S3_li
    .private_segment_fixed_size: 0
    .sgpr_count:     34
    .sgpr_spill_count: 0
    .symbol:         _ZL37rocblas_syrkx_herkx_restricted_kernelIi19rocblas_complex_numIdELi16ELi32ELi8ELb0ELb1ELc84ELc85EKS1_S1_EviT_T0_PT8_S3_lS6_S3_lS4_PT9_S3_li.kd
    .uniform_work_group_size: 1
    .uses_dynamic_stack: false
    .vgpr_count:     54
    .vgpr_spill_count: 0
    .wavefront_size: 64
  - .args:
      - .offset:         0
        .size:           4
        .value_kind:     by_value
      - .offset:         4
        .size:           4
        .value_kind:     by_value
      - .offset:         8
        .size:           16
        .value_kind:     by_value
      - .address_space:  global
        .offset:         24
        .size:           8
        .value_kind:     global_buffer
      - .offset:         32
        .size:           4
        .value_kind:     by_value
      - .offset:         40
        .size:           8
        .value_kind:     by_value
      - .address_space:  global
        .offset:         48
        .size:           8
        .value_kind:     global_buffer
      - .offset:         56
        .size:           4
        .value_kind:     by_value
      - .offset:         64
        .size:           8
        .value_kind:     by_value
      - .offset:         72
        .size:           16
        .value_kind:     by_value
      - .address_space:  global
        .offset:         88
        .size:           8
        .value_kind:     global_buffer
      - .offset:         96
        .size:           4
        .value_kind:     by_value
      - .offset:         104
        .size:           8
        .value_kind:     by_value
      - .offset:         112
        .size:           4
        .value_kind:     by_value
    .group_segment_fixed_size: 8192
    .kernarg_segment_align: 8
    .kernarg_segment_size: 116
    .language:       OpenCL C
    .language_version:
      - 2
      - 0
    .max_flat_workgroup_size: 256
    .name:           _ZL37rocblas_syrkx_herkx_restricted_kernelIi19rocblas_complex_numIdELi16ELi32ELi8ELb0ELb1ELc67ELc85EKS1_S1_EviT_T0_PT8_S3_lS6_S3_lS4_PT9_S3_li
    .private_segment_fixed_size: 0
    .sgpr_count:     34
    .sgpr_spill_count: 0
    .symbol:         _ZL37rocblas_syrkx_herkx_restricted_kernelIi19rocblas_complex_numIdELi16ELi32ELi8ELb0ELb1ELc67ELc85EKS1_S1_EviT_T0_PT8_S3_lS6_S3_lS4_PT9_S3_li.kd
    .uniform_work_group_size: 1
    .uses_dynamic_stack: false
    .vgpr_count:     54
    .vgpr_spill_count: 0
    .wavefront_size: 64
  - .args:
      - .offset:         0
        .size:           4
        .value_kind:     by_value
      - .offset:         4
        .size:           4
        .value_kind:     by_value
      - .offset:         8
        .size:           16
        .value_kind:     by_value
      - .address_space:  global
        .offset:         24
        .size:           8
        .value_kind:     global_buffer
      - .offset:         32
        .size:           4
        .value_kind:     by_value
      - .offset:         40
        .size:           8
        .value_kind:     by_value
      - .address_space:  global
        .offset:         48
        .size:           8
        .value_kind:     global_buffer
      - .offset:         56
        .size:           4
        .value_kind:     by_value
      - .offset:         64
        .size:           8
        .value_kind:     by_value
      - .offset:         72
        .size:           16
        .value_kind:     by_value
      - .address_space:  global
        .offset:         88
        .size:           8
        .value_kind:     global_buffer
      - .offset:         96
        .size:           4
        .value_kind:     by_value
      - .offset:         104
        .size:           8
        .value_kind:     by_value
      - .offset:         112
        .size:           4
        .value_kind:     by_value
    .group_segment_fixed_size: 8192
    .kernarg_segment_align: 8
    .kernarg_segment_size: 116
    .language:       OpenCL C
    .language_version:
      - 2
      - 0
    .max_flat_workgroup_size: 256
    .name:           _ZL37rocblas_syrkx_herkx_restricted_kernelIi19rocblas_complex_numIdELi16ELi32ELi8ELb0ELb1ELc78ELc85EKS1_S1_EviT_T0_PT8_S3_lS6_S3_lS4_PT9_S3_li
    .private_segment_fixed_size: 0
    .sgpr_count:     38
    .sgpr_spill_count: 0
    .symbol:         _ZL37rocblas_syrkx_herkx_restricted_kernelIi19rocblas_complex_numIdELi16ELi32ELi8ELb0ELb1ELc78ELc85EKS1_S1_EviT_T0_PT8_S3_lS6_S3_lS4_PT9_S3_li.kd
    .uniform_work_group_size: 1
    .uses_dynamic_stack: false
    .vgpr_count:     54
    .vgpr_spill_count: 0
    .wavefront_size: 64
  - .args:
      - .offset:         0
        .size:           4
        .value_kind:     by_value
      - .offset:         4
        .size:           4
        .value_kind:     by_value
      - .offset:         8
        .size:           16
        .value_kind:     by_value
      - .address_space:  global
        .offset:         24
        .size:           8
        .value_kind:     global_buffer
      - .offset:         32
        .size:           4
        .value_kind:     by_value
      - .offset:         40
        .size:           8
        .value_kind:     by_value
      - .address_space:  global
        .offset:         48
        .size:           8
        .value_kind:     global_buffer
      - .offset:         56
        .size:           4
        .value_kind:     by_value
      - .offset:         64
        .size:           8
        .value_kind:     by_value
      - .offset:         72
        .size:           16
        .value_kind:     by_value
      - .address_space:  global
        .offset:         88
        .size:           8
        .value_kind:     global_buffer
      - .offset:         96
        .size:           4
        .value_kind:     by_value
      - .offset:         104
        .size:           8
        .value_kind:     by_value
      - .offset:         112
        .size:           4
        .value_kind:     by_value
    .group_segment_fixed_size: 8192
    .kernarg_segment_align: 8
    .kernarg_segment_size: 116
    .language:       OpenCL C
    .language_version:
      - 2
      - 0
    .max_flat_workgroup_size: 256
    .name:           _ZL41rocblas_syrkx_herkx_small_restrict_kernelIi19rocblas_complex_numIdELi16ELb1ELb1ELc84ELc76EKS1_S1_EviT_T0_PT6_S3_lS6_S3_lS4_PT7_S3_li
    .private_segment_fixed_size: 0
    .sgpr_count:     24
    .sgpr_spill_count: 0
    .symbol:         _ZL41rocblas_syrkx_herkx_small_restrict_kernelIi19rocblas_complex_numIdELi16ELb1ELb1ELc84ELc76EKS1_S1_EviT_T0_PT6_S3_lS6_S3_lS4_PT7_S3_li.kd
    .uniform_work_group_size: 1
    .uses_dynamic_stack: false
    .vgpr_count:     36
    .vgpr_spill_count: 0
    .wavefront_size: 64
  - .args:
      - .offset:         0
        .size:           4
        .value_kind:     by_value
      - .offset:         4
        .size:           4
        .value_kind:     by_value
      - .offset:         8
        .size:           16
        .value_kind:     by_value
      - .address_space:  global
        .offset:         24
        .size:           8
        .value_kind:     global_buffer
      - .offset:         32
        .size:           4
        .value_kind:     by_value
      - .offset:         40
        .size:           8
        .value_kind:     by_value
      - .address_space:  global
        .offset:         48
        .size:           8
        .value_kind:     global_buffer
      - .offset:         56
        .size:           4
        .value_kind:     by_value
      - .offset:         64
        .size:           8
        .value_kind:     by_value
      - .offset:         72
        .size:           16
        .value_kind:     by_value
      - .address_space:  global
        .offset:         88
        .size:           8
        .value_kind:     global_buffer
      - .offset:         96
        .size:           4
        .value_kind:     by_value
      - .offset:         104
        .size:           8
        .value_kind:     by_value
      - .offset:         112
        .size:           4
        .value_kind:     by_value
    .group_segment_fixed_size: 8192
    .kernarg_segment_align: 8
    .kernarg_segment_size: 116
    .language:       OpenCL C
    .language_version:
      - 2
      - 0
    .max_flat_workgroup_size: 256
    .name:           _ZL41rocblas_syrkx_herkx_small_restrict_kernelIi19rocblas_complex_numIdELi16ELb1ELb1ELc67ELc76EKS1_S1_EviT_T0_PT6_S3_lS6_S3_lS4_PT7_S3_li
    .private_segment_fixed_size: 0
    .sgpr_count:     24
    .sgpr_spill_count: 0
    .symbol:         _ZL41rocblas_syrkx_herkx_small_restrict_kernelIi19rocblas_complex_numIdELi16ELb1ELb1ELc67ELc76EKS1_S1_EviT_T0_PT6_S3_lS6_S3_lS4_PT7_S3_li.kd
    .uniform_work_group_size: 1
    .uses_dynamic_stack: false
    .vgpr_count:     36
    .vgpr_spill_count: 0
    .wavefront_size: 64
  - .args:
      - .offset:         0
        .size:           4
        .value_kind:     by_value
      - .offset:         4
        .size:           4
        .value_kind:     by_value
      - .offset:         8
        .size:           16
        .value_kind:     by_value
      - .address_space:  global
        .offset:         24
        .size:           8
        .value_kind:     global_buffer
      - .offset:         32
        .size:           4
        .value_kind:     by_value
      - .offset:         40
        .size:           8
        .value_kind:     by_value
      - .address_space:  global
        .offset:         48
        .size:           8
        .value_kind:     global_buffer
      - .offset:         56
        .size:           4
        .value_kind:     by_value
      - .offset:         64
        .size:           8
        .value_kind:     by_value
      - .offset:         72
        .size:           16
        .value_kind:     by_value
      - .address_space:  global
        .offset:         88
        .size:           8
        .value_kind:     global_buffer
      - .offset:         96
        .size:           4
        .value_kind:     by_value
      - .offset:         104
        .size:           8
        .value_kind:     by_value
      - .offset:         112
        .size:           4
        .value_kind:     by_value
    .group_segment_fixed_size: 8192
    .kernarg_segment_align: 8
    .kernarg_segment_size: 116
    .language:       OpenCL C
    .language_version:
      - 2
      - 0
    .max_flat_workgroup_size: 256
    .name:           _ZL41rocblas_syrkx_herkx_small_restrict_kernelIi19rocblas_complex_numIdELi16ELb1ELb1ELc78ELc76EKS1_S1_EviT_T0_PT6_S3_lS6_S3_lS4_PT7_S3_li
    .private_segment_fixed_size: 0
    .sgpr_count:     28
    .sgpr_spill_count: 0
    .symbol:         _ZL41rocblas_syrkx_herkx_small_restrict_kernelIi19rocblas_complex_numIdELi16ELb1ELb1ELc78ELc76EKS1_S1_EviT_T0_PT6_S3_lS6_S3_lS4_PT7_S3_li.kd
    .uniform_work_group_size: 1
    .uses_dynamic_stack: false
    .vgpr_count:     38
    .vgpr_spill_count: 0
    .wavefront_size: 64
  - .args:
      - .offset:         0
        .size:           4
        .value_kind:     by_value
      - .offset:         4
        .size:           4
        .value_kind:     by_value
      - .offset:         8
        .size:           16
        .value_kind:     by_value
      - .address_space:  global
        .offset:         24
        .size:           8
        .value_kind:     global_buffer
      - .offset:         32
        .size:           4
        .value_kind:     by_value
      - .offset:         40
        .size:           8
        .value_kind:     by_value
      - .address_space:  global
        .offset:         48
        .size:           8
        .value_kind:     global_buffer
      - .offset:         56
        .size:           4
        .value_kind:     by_value
      - .offset:         64
        .size:           8
        .value_kind:     by_value
      - .offset:         72
        .size:           16
        .value_kind:     by_value
      - .address_space:  global
        .offset:         88
        .size:           8
        .value_kind:     global_buffer
      - .offset:         96
        .size:           4
        .value_kind:     by_value
      - .offset:         104
        .size:           8
        .value_kind:     by_value
      - .offset:         112
        .size:           4
        .value_kind:     by_value
    .group_segment_fixed_size: 8192
    .kernarg_segment_align: 8
    .kernarg_segment_size: 116
    .language:       OpenCL C
    .language_version:
      - 2
      - 0
    .max_flat_workgroup_size: 256
    .name:           _ZL41rocblas_syrkx_herkx_small_restrict_kernelIi19rocblas_complex_numIdELi16ELb1ELb1ELc84ELc85EKS1_S1_EviT_T0_PT6_S3_lS6_S3_lS4_PT7_S3_li
    .private_segment_fixed_size: 0
    .sgpr_count:     24
    .sgpr_spill_count: 0
    .symbol:         _ZL41rocblas_syrkx_herkx_small_restrict_kernelIi19rocblas_complex_numIdELi16ELb1ELb1ELc84ELc85EKS1_S1_EviT_T0_PT6_S3_lS6_S3_lS4_PT7_S3_li.kd
    .uniform_work_group_size: 1
    .uses_dynamic_stack: false
    .vgpr_count:     36
    .vgpr_spill_count: 0
    .wavefront_size: 64
  - .args:
      - .offset:         0
        .size:           4
        .value_kind:     by_value
      - .offset:         4
        .size:           4
        .value_kind:     by_value
      - .offset:         8
        .size:           16
        .value_kind:     by_value
      - .address_space:  global
        .offset:         24
        .size:           8
        .value_kind:     global_buffer
      - .offset:         32
        .size:           4
        .value_kind:     by_value
      - .offset:         40
        .size:           8
        .value_kind:     by_value
      - .address_space:  global
        .offset:         48
        .size:           8
        .value_kind:     global_buffer
      - .offset:         56
        .size:           4
        .value_kind:     by_value
      - .offset:         64
        .size:           8
        .value_kind:     by_value
      - .offset:         72
        .size:           16
        .value_kind:     by_value
      - .address_space:  global
        .offset:         88
        .size:           8
        .value_kind:     global_buffer
      - .offset:         96
        .size:           4
        .value_kind:     by_value
      - .offset:         104
        .size:           8
        .value_kind:     by_value
      - .offset:         112
        .size:           4
        .value_kind:     by_value
    .group_segment_fixed_size: 8192
    .kernarg_segment_align: 8
    .kernarg_segment_size: 116
    .language:       OpenCL C
    .language_version:
      - 2
      - 0
    .max_flat_workgroup_size: 256
    .name:           _ZL41rocblas_syrkx_herkx_small_restrict_kernelIi19rocblas_complex_numIdELi16ELb1ELb1ELc67ELc85EKS1_S1_EviT_T0_PT6_S3_lS6_S3_lS4_PT7_S3_li
    .private_segment_fixed_size: 0
    .sgpr_count:     24
    .sgpr_spill_count: 0
    .symbol:         _ZL41rocblas_syrkx_herkx_small_restrict_kernelIi19rocblas_complex_numIdELi16ELb1ELb1ELc67ELc85EKS1_S1_EviT_T0_PT6_S3_lS6_S3_lS4_PT7_S3_li.kd
    .uniform_work_group_size: 1
    .uses_dynamic_stack: false
    .vgpr_count:     36
    .vgpr_spill_count: 0
    .wavefront_size: 64
  - .args:
      - .offset:         0
        .size:           4
        .value_kind:     by_value
      - .offset:         4
        .size:           4
        .value_kind:     by_value
      - .offset:         8
        .size:           16
        .value_kind:     by_value
      - .address_space:  global
        .offset:         24
        .size:           8
        .value_kind:     global_buffer
      - .offset:         32
        .size:           4
        .value_kind:     by_value
      - .offset:         40
        .size:           8
        .value_kind:     by_value
      - .address_space:  global
        .offset:         48
        .size:           8
        .value_kind:     global_buffer
      - .offset:         56
        .size:           4
        .value_kind:     by_value
      - .offset:         64
        .size:           8
        .value_kind:     by_value
      - .offset:         72
        .size:           16
        .value_kind:     by_value
      - .address_space:  global
        .offset:         88
        .size:           8
        .value_kind:     global_buffer
      - .offset:         96
        .size:           4
        .value_kind:     by_value
      - .offset:         104
        .size:           8
        .value_kind:     by_value
      - .offset:         112
        .size:           4
        .value_kind:     by_value
    .group_segment_fixed_size: 8192
    .kernarg_segment_align: 8
    .kernarg_segment_size: 116
    .language:       OpenCL C
    .language_version:
      - 2
      - 0
    .max_flat_workgroup_size: 256
    .name:           _ZL41rocblas_syrkx_herkx_small_restrict_kernelIi19rocblas_complex_numIdELi16ELb1ELb1ELc78ELc85EKS1_S1_EviT_T0_PT6_S3_lS6_S3_lS4_PT7_S3_li
    .private_segment_fixed_size: 0
    .sgpr_count:     28
    .sgpr_spill_count: 0
    .symbol:         _ZL41rocblas_syrkx_herkx_small_restrict_kernelIi19rocblas_complex_numIdELi16ELb1ELb1ELc78ELc85EKS1_S1_EviT_T0_PT6_S3_lS6_S3_lS4_PT7_S3_li.kd
    .uniform_work_group_size: 1
    .uses_dynamic_stack: false
    .vgpr_count:     38
    .vgpr_spill_count: 0
    .wavefront_size: 64
  - .args:
      - .offset:         0
        .size:           4
        .value_kind:     by_value
      - .offset:         4
        .size:           4
        .value_kind:     by_value
      - .offset:         8
        .size:           16
        .value_kind:     by_value
      - .address_space:  global
        .offset:         24
        .size:           8
        .value_kind:     global_buffer
      - .offset:         32
        .size:           4
        .value_kind:     by_value
      - .offset:         40
        .size:           8
        .value_kind:     by_value
      - .address_space:  global
        .offset:         48
        .size:           8
        .value_kind:     global_buffer
      - .offset:         56
        .size:           4
        .value_kind:     by_value
      - .offset:         64
        .size:           8
        .value_kind:     by_value
      - .offset:         72
        .size:           16
        .value_kind:     by_value
      - .address_space:  global
        .offset:         88
        .size:           8
        .value_kind:     global_buffer
      - .offset:         96
        .size:           4
        .value_kind:     by_value
      - .offset:         104
        .size:           8
        .value_kind:     by_value
      - .offset:         112
        .size:           4
        .value_kind:     by_value
    .group_segment_fixed_size: 8192
    .kernarg_segment_align: 8
    .kernarg_segment_size: 116
    .language:       OpenCL C
    .language_version:
      - 2
      - 0
    .max_flat_workgroup_size: 256
    .name:           _ZL41rocblas_syrkx_herkx_small_restrict_kernelIi19rocblas_complex_numIdELi16ELb0ELb1ELc84ELc76EKS1_S1_EviT_T0_PT6_S3_lS6_S3_lS4_PT7_S3_li
    .private_segment_fixed_size: 0
    .sgpr_count:     32
    .sgpr_spill_count: 0
    .symbol:         _ZL41rocblas_syrkx_herkx_small_restrict_kernelIi19rocblas_complex_numIdELi16ELb0ELb1ELc84ELc76EKS1_S1_EviT_T0_PT6_S3_lS6_S3_lS4_PT7_S3_li.kd
    .uniform_work_group_size: 1
    .uses_dynamic_stack: false
    .vgpr_count:     36
    .vgpr_spill_count: 0
    .wavefront_size: 64
  - .args:
      - .offset:         0
        .size:           4
        .value_kind:     by_value
      - .offset:         4
        .size:           4
        .value_kind:     by_value
      - .offset:         8
        .size:           16
        .value_kind:     by_value
      - .address_space:  global
        .offset:         24
        .size:           8
        .value_kind:     global_buffer
      - .offset:         32
        .size:           4
        .value_kind:     by_value
      - .offset:         40
        .size:           8
        .value_kind:     by_value
      - .address_space:  global
        .offset:         48
        .size:           8
        .value_kind:     global_buffer
      - .offset:         56
        .size:           4
        .value_kind:     by_value
      - .offset:         64
        .size:           8
        .value_kind:     by_value
      - .offset:         72
        .size:           16
        .value_kind:     by_value
      - .address_space:  global
        .offset:         88
        .size:           8
        .value_kind:     global_buffer
      - .offset:         96
        .size:           4
        .value_kind:     by_value
      - .offset:         104
        .size:           8
        .value_kind:     by_value
      - .offset:         112
        .size:           4
        .value_kind:     by_value
    .group_segment_fixed_size: 8192
    .kernarg_segment_align: 8
    .kernarg_segment_size: 116
    .language:       OpenCL C
    .language_version:
      - 2
      - 0
    .max_flat_workgroup_size: 256
    .name:           _ZL41rocblas_syrkx_herkx_small_restrict_kernelIi19rocblas_complex_numIdELi16ELb0ELb1ELc67ELc76EKS1_S1_EviT_T0_PT6_S3_lS6_S3_lS4_PT7_S3_li
    .private_segment_fixed_size: 0
    .sgpr_count:     32
    .sgpr_spill_count: 0
    .symbol:         _ZL41rocblas_syrkx_herkx_small_restrict_kernelIi19rocblas_complex_numIdELi16ELb0ELb1ELc67ELc76EKS1_S1_EviT_T0_PT6_S3_lS6_S3_lS4_PT7_S3_li.kd
    .uniform_work_group_size: 1
    .uses_dynamic_stack: false
    .vgpr_count:     36
    .vgpr_spill_count: 0
    .wavefront_size: 64
  - .args:
      - .offset:         0
        .size:           4
        .value_kind:     by_value
      - .offset:         4
        .size:           4
        .value_kind:     by_value
      - .offset:         8
        .size:           16
        .value_kind:     by_value
      - .address_space:  global
        .offset:         24
        .size:           8
        .value_kind:     global_buffer
      - .offset:         32
        .size:           4
        .value_kind:     by_value
      - .offset:         40
        .size:           8
        .value_kind:     by_value
      - .address_space:  global
        .offset:         48
        .size:           8
        .value_kind:     global_buffer
      - .offset:         56
        .size:           4
        .value_kind:     by_value
      - .offset:         64
        .size:           8
        .value_kind:     by_value
      - .offset:         72
        .size:           16
        .value_kind:     by_value
      - .address_space:  global
        .offset:         88
        .size:           8
        .value_kind:     global_buffer
      - .offset:         96
        .size:           4
        .value_kind:     by_value
      - .offset:         104
        .size:           8
        .value_kind:     by_value
      - .offset:         112
        .size:           4
        .value_kind:     by_value
    .group_segment_fixed_size: 8192
    .kernarg_segment_align: 8
    .kernarg_segment_size: 116
    .language:       OpenCL C
    .language_version:
      - 2
      - 0
    .max_flat_workgroup_size: 256
    .name:           _ZL41rocblas_syrkx_herkx_small_restrict_kernelIi19rocblas_complex_numIdELi16ELb0ELb1ELc78ELc76EKS1_S1_EviT_T0_PT6_S3_lS6_S3_lS4_PT7_S3_li
    .private_segment_fixed_size: 0
    .sgpr_count:     34
    .sgpr_spill_count: 0
    .symbol:         _ZL41rocblas_syrkx_herkx_small_restrict_kernelIi19rocblas_complex_numIdELi16ELb0ELb1ELc78ELc76EKS1_S1_EviT_T0_PT6_S3_lS6_S3_lS4_PT7_S3_li.kd
    .uniform_work_group_size: 1
    .uses_dynamic_stack: false
    .vgpr_count:     38
    .vgpr_spill_count: 0
    .wavefront_size: 64
  - .args:
      - .offset:         0
        .size:           4
        .value_kind:     by_value
      - .offset:         4
        .size:           4
        .value_kind:     by_value
      - .offset:         8
        .size:           16
        .value_kind:     by_value
      - .address_space:  global
        .offset:         24
        .size:           8
        .value_kind:     global_buffer
      - .offset:         32
        .size:           4
        .value_kind:     by_value
      - .offset:         40
        .size:           8
        .value_kind:     by_value
      - .address_space:  global
        .offset:         48
        .size:           8
        .value_kind:     global_buffer
      - .offset:         56
        .size:           4
        .value_kind:     by_value
      - .offset:         64
        .size:           8
        .value_kind:     by_value
      - .offset:         72
        .size:           16
        .value_kind:     by_value
      - .address_space:  global
        .offset:         88
        .size:           8
        .value_kind:     global_buffer
      - .offset:         96
        .size:           4
        .value_kind:     by_value
      - .offset:         104
        .size:           8
        .value_kind:     by_value
      - .offset:         112
        .size:           4
        .value_kind:     by_value
    .group_segment_fixed_size: 8192
    .kernarg_segment_align: 8
    .kernarg_segment_size: 116
    .language:       OpenCL C
    .language_version:
      - 2
      - 0
    .max_flat_workgroup_size: 256
    .name:           _ZL41rocblas_syrkx_herkx_small_restrict_kernelIi19rocblas_complex_numIdELi16ELb0ELb1ELc84ELc85EKS1_S1_EviT_T0_PT6_S3_lS6_S3_lS4_PT7_S3_li
    .private_segment_fixed_size: 0
    .sgpr_count:     32
    .sgpr_spill_count: 0
    .symbol:         _ZL41rocblas_syrkx_herkx_small_restrict_kernelIi19rocblas_complex_numIdELi16ELb0ELb1ELc84ELc85EKS1_S1_EviT_T0_PT6_S3_lS6_S3_lS4_PT7_S3_li.kd
    .uniform_work_group_size: 1
    .uses_dynamic_stack: false
    .vgpr_count:     36
    .vgpr_spill_count: 0
    .wavefront_size: 64
  - .args:
      - .offset:         0
        .size:           4
        .value_kind:     by_value
      - .offset:         4
        .size:           4
        .value_kind:     by_value
      - .offset:         8
        .size:           16
        .value_kind:     by_value
      - .address_space:  global
        .offset:         24
        .size:           8
        .value_kind:     global_buffer
      - .offset:         32
        .size:           4
        .value_kind:     by_value
      - .offset:         40
        .size:           8
        .value_kind:     by_value
      - .address_space:  global
        .offset:         48
        .size:           8
        .value_kind:     global_buffer
      - .offset:         56
        .size:           4
        .value_kind:     by_value
      - .offset:         64
        .size:           8
        .value_kind:     by_value
      - .offset:         72
        .size:           16
        .value_kind:     by_value
      - .address_space:  global
        .offset:         88
        .size:           8
        .value_kind:     global_buffer
      - .offset:         96
        .size:           4
        .value_kind:     by_value
      - .offset:         104
        .size:           8
        .value_kind:     by_value
      - .offset:         112
        .size:           4
        .value_kind:     by_value
    .group_segment_fixed_size: 8192
    .kernarg_segment_align: 8
    .kernarg_segment_size: 116
    .language:       OpenCL C
    .language_version:
      - 2
      - 0
    .max_flat_workgroup_size: 256
    .name:           _ZL41rocblas_syrkx_herkx_small_restrict_kernelIi19rocblas_complex_numIdELi16ELb0ELb1ELc67ELc85EKS1_S1_EviT_T0_PT6_S3_lS6_S3_lS4_PT7_S3_li
    .private_segment_fixed_size: 0
    .sgpr_count:     32
    .sgpr_spill_count: 0
    .symbol:         _ZL41rocblas_syrkx_herkx_small_restrict_kernelIi19rocblas_complex_numIdELi16ELb0ELb1ELc67ELc85EKS1_S1_EviT_T0_PT6_S3_lS6_S3_lS4_PT7_S3_li.kd
    .uniform_work_group_size: 1
    .uses_dynamic_stack: false
    .vgpr_count:     36
    .vgpr_spill_count: 0
    .wavefront_size: 64
  - .args:
      - .offset:         0
        .size:           4
        .value_kind:     by_value
      - .offset:         4
        .size:           4
        .value_kind:     by_value
      - .offset:         8
        .size:           16
        .value_kind:     by_value
      - .address_space:  global
        .offset:         24
        .size:           8
        .value_kind:     global_buffer
      - .offset:         32
        .size:           4
        .value_kind:     by_value
      - .offset:         40
        .size:           8
        .value_kind:     by_value
      - .address_space:  global
        .offset:         48
        .size:           8
        .value_kind:     global_buffer
      - .offset:         56
        .size:           4
        .value_kind:     by_value
      - .offset:         64
        .size:           8
        .value_kind:     by_value
      - .offset:         72
        .size:           16
        .value_kind:     by_value
      - .address_space:  global
        .offset:         88
        .size:           8
        .value_kind:     global_buffer
      - .offset:         96
        .size:           4
        .value_kind:     by_value
      - .offset:         104
        .size:           8
        .value_kind:     by_value
      - .offset:         112
        .size:           4
        .value_kind:     by_value
    .group_segment_fixed_size: 8192
    .kernarg_segment_align: 8
    .kernarg_segment_size: 116
    .language:       OpenCL C
    .language_version:
      - 2
      - 0
    .max_flat_workgroup_size: 256
    .name:           _ZL41rocblas_syrkx_herkx_small_restrict_kernelIi19rocblas_complex_numIdELi16ELb0ELb1ELc78ELc85EKS1_S1_EviT_T0_PT6_S3_lS6_S3_lS4_PT7_S3_li
    .private_segment_fixed_size: 0
    .sgpr_count:     34
    .sgpr_spill_count: 0
    .symbol:         _ZL41rocblas_syrkx_herkx_small_restrict_kernelIi19rocblas_complex_numIdELi16ELb0ELb1ELc78ELc85EKS1_S1_EviT_T0_PT6_S3_lS6_S3_lS4_PT7_S3_li.kd
    .uniform_work_group_size: 1
    .uses_dynamic_stack: false
    .vgpr_count:     38
    .vgpr_spill_count: 0
    .wavefront_size: 64
  - .args:
      - .offset:         0
        .size:           4
        .value_kind:     by_value
      - .offset:         4
        .size:           4
        .value_kind:     by_value
      - .offset:         8
        .size:           16
        .value_kind:     by_value
      - .address_space:  global
        .offset:         24
        .size:           8
        .value_kind:     global_buffer
      - .offset:         32
        .size:           4
        .value_kind:     by_value
      - .offset:         40
        .size:           8
        .value_kind:     by_value
      - .address_space:  global
        .offset:         48
        .size:           8
        .value_kind:     global_buffer
      - .offset:         56
        .size:           4
        .value_kind:     by_value
      - .offset:         64
        .size:           8
        .value_kind:     by_value
      - .offset:         72
        .size:           16
        .value_kind:     by_value
      - .address_space:  global
        .offset:         88
        .size:           8
        .value_kind:     global_buffer
      - .offset:         96
        .size:           4
        .value_kind:     by_value
      - .offset:         104
        .size:           8
        .value_kind:     by_value
      - .offset:         112
        .size:           4
        .value_kind:     by_value
    .group_segment_fixed_size: 8192
    .kernarg_segment_align: 8
    .kernarg_segment_size: 116
    .language:       OpenCL C
    .language_version:
      - 2
      - 0
    .max_flat_workgroup_size: 256
    .name:           _ZL32rocblas_syrkx_herkx_small_kernelIi19rocblas_complex_numIdELi16ELb1ELb1ELc84ELc76EKS1_S1_EviT_T0_PT6_S3_lS6_S3_lS4_PT7_S3_li
    .private_segment_fixed_size: 0
    .sgpr_count:     28
    .sgpr_spill_count: 0
    .symbol:         _ZL32rocblas_syrkx_herkx_small_kernelIi19rocblas_complex_numIdELi16ELb1ELb1ELc84ELc76EKS1_S1_EviT_T0_PT6_S3_lS6_S3_lS4_PT7_S3_li.kd
    .uniform_work_group_size: 1
    .uses_dynamic_stack: false
    .vgpr_count:     40
    .vgpr_spill_count: 0
    .wavefront_size: 64
  - .args:
      - .offset:         0
        .size:           4
        .value_kind:     by_value
      - .offset:         4
        .size:           4
        .value_kind:     by_value
      - .offset:         8
        .size:           16
        .value_kind:     by_value
      - .address_space:  global
        .offset:         24
        .size:           8
        .value_kind:     global_buffer
      - .offset:         32
        .size:           4
        .value_kind:     by_value
      - .offset:         40
        .size:           8
        .value_kind:     by_value
      - .address_space:  global
        .offset:         48
        .size:           8
        .value_kind:     global_buffer
      - .offset:         56
        .size:           4
        .value_kind:     by_value
      - .offset:         64
        .size:           8
        .value_kind:     by_value
      - .offset:         72
        .size:           16
        .value_kind:     by_value
      - .address_space:  global
        .offset:         88
        .size:           8
        .value_kind:     global_buffer
      - .offset:         96
        .size:           4
        .value_kind:     by_value
      - .offset:         104
        .size:           8
        .value_kind:     by_value
      - .offset:         112
        .size:           4
        .value_kind:     by_value
    .group_segment_fixed_size: 8192
    .kernarg_segment_align: 8
    .kernarg_segment_size: 116
    .language:       OpenCL C
    .language_version:
      - 2
      - 0
    .max_flat_workgroup_size: 256
    .name:           _ZL32rocblas_syrkx_herkx_small_kernelIi19rocblas_complex_numIdELi16ELb1ELb1ELc67ELc76EKS1_S1_EviT_T0_PT6_S3_lS6_S3_lS4_PT7_S3_li
    .private_segment_fixed_size: 0
    .sgpr_count:     28
    .sgpr_spill_count: 0
    .symbol:         _ZL32rocblas_syrkx_herkx_small_kernelIi19rocblas_complex_numIdELi16ELb1ELb1ELc67ELc76EKS1_S1_EviT_T0_PT6_S3_lS6_S3_lS4_PT7_S3_li.kd
    .uniform_work_group_size: 1
    .uses_dynamic_stack: false
    .vgpr_count:     49
    .vgpr_spill_count: 0
    .wavefront_size: 64
  - .args:
      - .offset:         0
        .size:           4
        .value_kind:     by_value
      - .offset:         4
        .size:           4
        .value_kind:     by_value
      - .offset:         8
        .size:           16
        .value_kind:     by_value
      - .address_space:  global
        .offset:         24
        .size:           8
        .value_kind:     global_buffer
      - .offset:         32
        .size:           4
        .value_kind:     by_value
      - .offset:         40
        .size:           8
        .value_kind:     by_value
      - .address_space:  global
        .offset:         48
        .size:           8
        .value_kind:     global_buffer
      - .offset:         56
        .size:           4
        .value_kind:     by_value
      - .offset:         64
        .size:           8
        .value_kind:     by_value
      - .offset:         72
        .size:           16
        .value_kind:     by_value
      - .address_space:  global
        .offset:         88
        .size:           8
        .value_kind:     global_buffer
      - .offset:         96
        .size:           4
        .value_kind:     by_value
      - .offset:         104
        .size:           8
        .value_kind:     by_value
      - .offset:         112
        .size:           4
        .value_kind:     by_value
    .group_segment_fixed_size: 8192
    .kernarg_segment_align: 8
    .kernarg_segment_size: 116
    .language:       OpenCL C
    .language_version:
      - 2
      - 0
    .max_flat_workgroup_size: 256
    .name:           _ZL32rocblas_syrkx_herkx_small_kernelIi19rocblas_complex_numIdELi16ELb1ELb1ELc78ELc76EKS1_S1_EviT_T0_PT6_S3_lS6_S3_lS4_PT7_S3_li
    .private_segment_fixed_size: 0
    .sgpr_count:     31
    .sgpr_spill_count: 0
    .symbol:         _ZL32rocblas_syrkx_herkx_small_kernelIi19rocblas_complex_numIdELi16ELb1ELb1ELc78ELc76EKS1_S1_EviT_T0_PT6_S3_lS6_S3_lS4_PT7_S3_li.kd
    .uniform_work_group_size: 1
    .uses_dynamic_stack: false
    .vgpr_count:     46
    .vgpr_spill_count: 0
    .wavefront_size: 64
  - .args:
      - .offset:         0
        .size:           4
        .value_kind:     by_value
      - .offset:         4
        .size:           4
        .value_kind:     by_value
      - .offset:         8
        .size:           16
        .value_kind:     by_value
      - .address_space:  global
        .offset:         24
        .size:           8
        .value_kind:     global_buffer
      - .offset:         32
        .size:           4
        .value_kind:     by_value
      - .offset:         40
        .size:           8
        .value_kind:     by_value
      - .address_space:  global
        .offset:         48
        .size:           8
        .value_kind:     global_buffer
      - .offset:         56
        .size:           4
        .value_kind:     by_value
      - .offset:         64
        .size:           8
        .value_kind:     by_value
      - .offset:         72
        .size:           16
        .value_kind:     by_value
      - .address_space:  global
        .offset:         88
        .size:           8
        .value_kind:     global_buffer
      - .offset:         96
        .size:           4
        .value_kind:     by_value
      - .offset:         104
        .size:           8
        .value_kind:     by_value
      - .offset:         112
        .size:           4
        .value_kind:     by_value
    .group_segment_fixed_size: 8192
    .kernarg_segment_align: 8
    .kernarg_segment_size: 116
    .language:       OpenCL C
    .language_version:
      - 2
      - 0
    .max_flat_workgroup_size: 256
    .name:           _ZL32rocblas_syrkx_herkx_small_kernelIi19rocblas_complex_numIdELi16ELb1ELb1ELc84ELc85EKS1_S1_EviT_T0_PT6_S3_lS6_S3_lS4_PT7_S3_li
    .private_segment_fixed_size: 0
    .sgpr_count:     28
    .sgpr_spill_count: 0
    .symbol:         _ZL32rocblas_syrkx_herkx_small_kernelIi19rocblas_complex_numIdELi16ELb1ELb1ELc84ELc85EKS1_S1_EviT_T0_PT6_S3_lS6_S3_lS4_PT7_S3_li.kd
    .uniform_work_group_size: 1
    .uses_dynamic_stack: false
    .vgpr_count:     40
    .vgpr_spill_count: 0
    .wavefront_size: 64
  - .args:
      - .offset:         0
        .size:           4
        .value_kind:     by_value
      - .offset:         4
        .size:           4
        .value_kind:     by_value
      - .offset:         8
        .size:           16
        .value_kind:     by_value
      - .address_space:  global
        .offset:         24
        .size:           8
        .value_kind:     global_buffer
      - .offset:         32
        .size:           4
        .value_kind:     by_value
      - .offset:         40
        .size:           8
        .value_kind:     by_value
      - .address_space:  global
        .offset:         48
        .size:           8
        .value_kind:     global_buffer
      - .offset:         56
        .size:           4
        .value_kind:     by_value
      - .offset:         64
        .size:           8
        .value_kind:     by_value
      - .offset:         72
        .size:           16
        .value_kind:     by_value
      - .address_space:  global
        .offset:         88
        .size:           8
        .value_kind:     global_buffer
      - .offset:         96
        .size:           4
        .value_kind:     by_value
      - .offset:         104
        .size:           8
        .value_kind:     by_value
      - .offset:         112
        .size:           4
        .value_kind:     by_value
    .group_segment_fixed_size: 8192
    .kernarg_segment_align: 8
    .kernarg_segment_size: 116
    .language:       OpenCL C
    .language_version:
      - 2
      - 0
    .max_flat_workgroup_size: 256
    .name:           _ZL32rocblas_syrkx_herkx_small_kernelIi19rocblas_complex_numIdELi16ELb1ELb1ELc67ELc85EKS1_S1_EviT_T0_PT6_S3_lS6_S3_lS4_PT7_S3_li
    .private_segment_fixed_size: 0
    .sgpr_count:     28
    .sgpr_spill_count: 0
    .symbol:         _ZL32rocblas_syrkx_herkx_small_kernelIi19rocblas_complex_numIdELi16ELb1ELb1ELc67ELc85EKS1_S1_EviT_T0_PT6_S3_lS6_S3_lS4_PT7_S3_li.kd
    .uniform_work_group_size: 1
    .uses_dynamic_stack: false
    .vgpr_count:     49
    .vgpr_spill_count: 0
    .wavefront_size: 64
  - .args:
      - .offset:         0
        .size:           4
        .value_kind:     by_value
      - .offset:         4
        .size:           4
        .value_kind:     by_value
      - .offset:         8
        .size:           16
        .value_kind:     by_value
      - .address_space:  global
        .offset:         24
        .size:           8
        .value_kind:     global_buffer
      - .offset:         32
        .size:           4
        .value_kind:     by_value
      - .offset:         40
        .size:           8
        .value_kind:     by_value
      - .address_space:  global
        .offset:         48
        .size:           8
        .value_kind:     global_buffer
      - .offset:         56
        .size:           4
        .value_kind:     by_value
      - .offset:         64
        .size:           8
        .value_kind:     by_value
      - .offset:         72
        .size:           16
        .value_kind:     by_value
      - .address_space:  global
        .offset:         88
        .size:           8
        .value_kind:     global_buffer
      - .offset:         96
        .size:           4
        .value_kind:     by_value
      - .offset:         104
        .size:           8
        .value_kind:     by_value
      - .offset:         112
        .size:           4
        .value_kind:     by_value
    .group_segment_fixed_size: 8192
    .kernarg_segment_align: 8
    .kernarg_segment_size: 116
    .language:       OpenCL C
    .language_version:
      - 2
      - 0
    .max_flat_workgroup_size: 256
    .name:           _ZL32rocblas_syrkx_herkx_small_kernelIi19rocblas_complex_numIdELi16ELb1ELb1ELc78ELc85EKS1_S1_EviT_T0_PT6_S3_lS6_S3_lS4_PT7_S3_li
    .private_segment_fixed_size: 0
    .sgpr_count:     31
    .sgpr_spill_count: 0
    .symbol:         _ZL32rocblas_syrkx_herkx_small_kernelIi19rocblas_complex_numIdELi16ELb1ELb1ELc78ELc85EKS1_S1_EviT_T0_PT6_S3_lS6_S3_lS4_PT7_S3_li.kd
    .uniform_work_group_size: 1
    .uses_dynamic_stack: false
    .vgpr_count:     46
    .vgpr_spill_count: 0
    .wavefront_size: 64
  - .args:
      - .offset:         0
        .size:           4
        .value_kind:     by_value
      - .offset:         4
        .size:           4
        .value_kind:     by_value
      - .offset:         8
        .size:           16
        .value_kind:     by_value
      - .address_space:  global
        .offset:         24
        .size:           8
        .value_kind:     global_buffer
      - .offset:         32
        .size:           4
        .value_kind:     by_value
      - .offset:         40
        .size:           8
        .value_kind:     by_value
      - .address_space:  global
        .offset:         48
        .size:           8
        .value_kind:     global_buffer
      - .offset:         56
        .size:           4
        .value_kind:     by_value
      - .offset:         64
        .size:           8
        .value_kind:     by_value
      - .offset:         72
        .size:           16
        .value_kind:     by_value
      - .address_space:  global
        .offset:         88
        .size:           8
        .value_kind:     global_buffer
      - .offset:         96
        .size:           4
        .value_kind:     by_value
      - .offset:         104
        .size:           8
        .value_kind:     by_value
      - .offset:         112
        .size:           4
        .value_kind:     by_value
    .group_segment_fixed_size: 8192
    .kernarg_segment_align: 8
    .kernarg_segment_size: 116
    .language:       OpenCL C
    .language_version:
      - 2
      - 0
    .max_flat_workgroup_size: 256
    .name:           _ZL32rocblas_syrkx_herkx_small_kernelIi19rocblas_complex_numIdELi16ELb0ELb1ELc84ELc76EKS1_S1_EviT_T0_PT6_S3_lS6_S3_lS4_PT7_S3_li
    .private_segment_fixed_size: 0
    .sgpr_count:     36
    .sgpr_spill_count: 0
    .symbol:         _ZL32rocblas_syrkx_herkx_small_kernelIi19rocblas_complex_numIdELi16ELb0ELb1ELc84ELc76EKS1_S1_EviT_T0_PT6_S3_lS6_S3_lS4_PT7_S3_li.kd
    .uniform_work_group_size: 1
    .uses_dynamic_stack: false
    .vgpr_count:     40
    .vgpr_spill_count: 0
    .wavefront_size: 64
  - .args:
      - .offset:         0
        .size:           4
        .value_kind:     by_value
      - .offset:         4
        .size:           4
        .value_kind:     by_value
      - .offset:         8
        .size:           16
        .value_kind:     by_value
      - .address_space:  global
        .offset:         24
        .size:           8
        .value_kind:     global_buffer
      - .offset:         32
        .size:           4
        .value_kind:     by_value
      - .offset:         40
        .size:           8
        .value_kind:     by_value
      - .address_space:  global
        .offset:         48
        .size:           8
        .value_kind:     global_buffer
      - .offset:         56
        .size:           4
        .value_kind:     by_value
      - .offset:         64
        .size:           8
        .value_kind:     by_value
      - .offset:         72
        .size:           16
        .value_kind:     by_value
      - .address_space:  global
        .offset:         88
        .size:           8
        .value_kind:     global_buffer
      - .offset:         96
        .size:           4
        .value_kind:     by_value
      - .offset:         104
        .size:           8
        .value_kind:     by_value
      - .offset:         112
        .size:           4
        .value_kind:     by_value
    .group_segment_fixed_size: 8192
    .kernarg_segment_align: 8
    .kernarg_segment_size: 116
    .language:       OpenCL C
    .language_version:
      - 2
      - 0
    .max_flat_workgroup_size: 256
    .name:           _ZL32rocblas_syrkx_herkx_small_kernelIi19rocblas_complex_numIdELi16ELb0ELb1ELc67ELc76EKS1_S1_EviT_T0_PT6_S3_lS6_S3_lS4_PT7_S3_li
    .private_segment_fixed_size: 0
    .sgpr_count:     36
    .sgpr_spill_count: 0
    .symbol:         _ZL32rocblas_syrkx_herkx_small_kernelIi19rocblas_complex_numIdELi16ELb0ELb1ELc67ELc76EKS1_S1_EviT_T0_PT6_S3_lS6_S3_lS4_PT7_S3_li.kd
    .uniform_work_group_size: 1
    .uses_dynamic_stack: false
    .vgpr_count:     49
    .vgpr_spill_count: 0
    .wavefront_size: 64
  - .args:
      - .offset:         0
        .size:           4
        .value_kind:     by_value
      - .offset:         4
        .size:           4
        .value_kind:     by_value
      - .offset:         8
        .size:           16
        .value_kind:     by_value
      - .address_space:  global
        .offset:         24
        .size:           8
        .value_kind:     global_buffer
      - .offset:         32
        .size:           4
        .value_kind:     by_value
      - .offset:         40
        .size:           8
        .value_kind:     by_value
      - .address_space:  global
        .offset:         48
        .size:           8
        .value_kind:     global_buffer
      - .offset:         56
        .size:           4
        .value_kind:     by_value
      - .offset:         64
        .size:           8
        .value_kind:     by_value
      - .offset:         72
        .size:           16
        .value_kind:     by_value
      - .address_space:  global
        .offset:         88
        .size:           8
        .value_kind:     global_buffer
      - .offset:         96
        .size:           4
        .value_kind:     by_value
      - .offset:         104
        .size:           8
        .value_kind:     by_value
      - .offset:         112
        .size:           4
        .value_kind:     by_value
    .group_segment_fixed_size: 8192
    .kernarg_segment_align: 8
    .kernarg_segment_size: 116
    .language:       OpenCL C
    .language_version:
      - 2
      - 0
    .max_flat_workgroup_size: 256
    .name:           _ZL32rocblas_syrkx_herkx_small_kernelIi19rocblas_complex_numIdELi16ELb0ELb1ELc78ELc76EKS1_S1_EviT_T0_PT6_S3_lS6_S3_lS4_PT7_S3_li
    .private_segment_fixed_size: 0
    .sgpr_count:     38
    .sgpr_spill_count: 0
    .symbol:         _ZL32rocblas_syrkx_herkx_small_kernelIi19rocblas_complex_numIdELi16ELb0ELb1ELc78ELc76EKS1_S1_EviT_T0_PT6_S3_lS6_S3_lS4_PT7_S3_li.kd
    .uniform_work_group_size: 1
    .uses_dynamic_stack: false
    .vgpr_count:     46
    .vgpr_spill_count: 0
    .wavefront_size: 64
  - .args:
      - .offset:         0
        .size:           4
        .value_kind:     by_value
      - .offset:         4
        .size:           4
        .value_kind:     by_value
      - .offset:         8
        .size:           16
        .value_kind:     by_value
      - .address_space:  global
        .offset:         24
        .size:           8
        .value_kind:     global_buffer
      - .offset:         32
        .size:           4
        .value_kind:     by_value
      - .offset:         40
        .size:           8
        .value_kind:     by_value
      - .address_space:  global
        .offset:         48
        .size:           8
        .value_kind:     global_buffer
      - .offset:         56
        .size:           4
        .value_kind:     by_value
      - .offset:         64
        .size:           8
        .value_kind:     by_value
      - .offset:         72
        .size:           16
        .value_kind:     by_value
      - .address_space:  global
        .offset:         88
        .size:           8
        .value_kind:     global_buffer
      - .offset:         96
        .size:           4
        .value_kind:     by_value
      - .offset:         104
        .size:           8
        .value_kind:     by_value
      - .offset:         112
        .size:           4
        .value_kind:     by_value
    .group_segment_fixed_size: 8192
    .kernarg_segment_align: 8
    .kernarg_segment_size: 116
    .language:       OpenCL C
    .language_version:
      - 2
      - 0
    .max_flat_workgroup_size: 256
    .name:           _ZL32rocblas_syrkx_herkx_small_kernelIi19rocblas_complex_numIdELi16ELb0ELb1ELc84ELc85EKS1_S1_EviT_T0_PT6_S3_lS6_S3_lS4_PT7_S3_li
    .private_segment_fixed_size: 0
    .sgpr_count:     36
    .sgpr_spill_count: 0
    .symbol:         _ZL32rocblas_syrkx_herkx_small_kernelIi19rocblas_complex_numIdELi16ELb0ELb1ELc84ELc85EKS1_S1_EviT_T0_PT6_S3_lS6_S3_lS4_PT7_S3_li.kd
    .uniform_work_group_size: 1
    .uses_dynamic_stack: false
    .vgpr_count:     40
    .vgpr_spill_count: 0
    .wavefront_size: 64
  - .args:
      - .offset:         0
        .size:           4
        .value_kind:     by_value
      - .offset:         4
        .size:           4
        .value_kind:     by_value
      - .offset:         8
        .size:           16
        .value_kind:     by_value
      - .address_space:  global
        .offset:         24
        .size:           8
        .value_kind:     global_buffer
      - .offset:         32
        .size:           4
        .value_kind:     by_value
      - .offset:         40
        .size:           8
        .value_kind:     by_value
      - .address_space:  global
        .offset:         48
        .size:           8
        .value_kind:     global_buffer
      - .offset:         56
        .size:           4
        .value_kind:     by_value
      - .offset:         64
        .size:           8
        .value_kind:     by_value
      - .offset:         72
        .size:           16
        .value_kind:     by_value
      - .address_space:  global
        .offset:         88
        .size:           8
        .value_kind:     global_buffer
      - .offset:         96
        .size:           4
        .value_kind:     by_value
      - .offset:         104
        .size:           8
        .value_kind:     by_value
      - .offset:         112
        .size:           4
        .value_kind:     by_value
    .group_segment_fixed_size: 8192
    .kernarg_segment_align: 8
    .kernarg_segment_size: 116
    .language:       OpenCL C
    .language_version:
      - 2
      - 0
    .max_flat_workgroup_size: 256
    .name:           _ZL32rocblas_syrkx_herkx_small_kernelIi19rocblas_complex_numIdELi16ELb0ELb1ELc67ELc85EKS1_S1_EviT_T0_PT6_S3_lS6_S3_lS4_PT7_S3_li
    .private_segment_fixed_size: 0
    .sgpr_count:     36
    .sgpr_spill_count: 0
    .symbol:         _ZL32rocblas_syrkx_herkx_small_kernelIi19rocblas_complex_numIdELi16ELb0ELb1ELc67ELc85EKS1_S1_EviT_T0_PT6_S3_lS6_S3_lS4_PT7_S3_li.kd
    .uniform_work_group_size: 1
    .uses_dynamic_stack: false
    .vgpr_count:     49
    .vgpr_spill_count: 0
    .wavefront_size: 64
  - .args:
      - .offset:         0
        .size:           4
        .value_kind:     by_value
      - .offset:         4
        .size:           4
        .value_kind:     by_value
      - .offset:         8
        .size:           16
        .value_kind:     by_value
      - .address_space:  global
        .offset:         24
        .size:           8
        .value_kind:     global_buffer
      - .offset:         32
        .size:           4
        .value_kind:     by_value
      - .offset:         40
        .size:           8
        .value_kind:     by_value
      - .address_space:  global
        .offset:         48
        .size:           8
        .value_kind:     global_buffer
      - .offset:         56
        .size:           4
        .value_kind:     by_value
      - .offset:         64
        .size:           8
        .value_kind:     by_value
      - .offset:         72
        .size:           16
        .value_kind:     by_value
      - .address_space:  global
        .offset:         88
        .size:           8
        .value_kind:     global_buffer
      - .offset:         96
        .size:           4
        .value_kind:     by_value
      - .offset:         104
        .size:           8
        .value_kind:     by_value
      - .offset:         112
        .size:           4
        .value_kind:     by_value
    .group_segment_fixed_size: 8192
    .kernarg_segment_align: 8
    .kernarg_segment_size: 116
    .language:       OpenCL C
    .language_version:
      - 2
      - 0
    .max_flat_workgroup_size: 256
    .name:           _ZL32rocblas_syrkx_herkx_small_kernelIi19rocblas_complex_numIdELi16ELb0ELb1ELc78ELc85EKS1_S1_EviT_T0_PT6_S3_lS6_S3_lS4_PT7_S3_li
    .private_segment_fixed_size: 0
    .sgpr_count:     38
    .sgpr_spill_count: 0
    .symbol:         _ZL32rocblas_syrkx_herkx_small_kernelIi19rocblas_complex_numIdELi16ELb0ELb1ELc78ELc85EKS1_S1_EviT_T0_PT6_S3_lS6_S3_lS4_PT7_S3_li.kd
    .uniform_work_group_size: 1
    .uses_dynamic_stack: false
    .vgpr_count:     46
    .vgpr_spill_count: 0
    .wavefront_size: 64
  - .args:
      - .offset:         0
        .size:           4
        .value_kind:     by_value
      - .offset:         4
        .size:           4
        .value_kind:     by_value
      - .offset:         8
        .size:           16
        .value_kind:     by_value
      - .address_space:  global
        .offset:         24
        .size:           8
        .value_kind:     global_buffer
      - .offset:         32
        .size:           4
        .value_kind:     by_value
      - .offset:         40
        .size:           8
        .value_kind:     by_value
      - .address_space:  global
        .offset:         48
        .size:           8
        .value_kind:     global_buffer
      - .offset:         56
        .size:           4
        .value_kind:     by_value
      - .offset:         64
        .size:           8
        .value_kind:     by_value
      - .offset:         72
        .size:           16
        .value_kind:     by_value
      - .address_space:  global
        .offset:         88
        .size:           8
        .value_kind:     global_buffer
      - .offset:         96
        .size:           4
        .value_kind:     by_value
      - .offset:         104
        .size:           8
        .value_kind:     by_value
      - .offset:         112
        .size:           4
        .value_kind:     by_value
    .group_segment_fixed_size: 8192
    .kernarg_segment_align: 8
    .kernarg_segment_size: 116
    .language:       OpenCL C
    .language_version:
      - 2
      - 0
    .max_flat_workgroup_size: 256
    .name:           _ZL34rocblas_syrkx_herkx_general_kernelIi19rocblas_complex_numIdELi16ELi32ELi8ELb1ELb1ELc84ELc76EKS1_S1_EviT_T0_PT8_S3_lS6_S3_lS4_PT9_S3_li
    .private_segment_fixed_size: 0
    .sgpr_count:     29
    .sgpr_spill_count: 0
    .symbol:         _ZL34rocblas_syrkx_herkx_general_kernelIi19rocblas_complex_numIdELi16ELi32ELi8ELb1ELb1ELc84ELc76EKS1_S1_EviT_T0_PT8_S3_lS6_S3_lS4_PT9_S3_li.kd
    .uniform_work_group_size: 1
    .uses_dynamic_stack: false
    .vgpr_count:     56
    .vgpr_spill_count: 0
    .wavefront_size: 64
  - .args:
      - .offset:         0
        .size:           4
        .value_kind:     by_value
      - .offset:         4
        .size:           4
        .value_kind:     by_value
      - .offset:         8
        .size:           16
        .value_kind:     by_value
      - .address_space:  global
        .offset:         24
        .size:           8
        .value_kind:     global_buffer
      - .offset:         32
        .size:           4
        .value_kind:     by_value
      - .offset:         40
        .size:           8
        .value_kind:     by_value
      - .address_space:  global
        .offset:         48
        .size:           8
        .value_kind:     global_buffer
      - .offset:         56
        .size:           4
        .value_kind:     by_value
      - .offset:         64
        .size:           8
        .value_kind:     by_value
      - .offset:         72
        .size:           16
        .value_kind:     by_value
      - .address_space:  global
        .offset:         88
        .size:           8
        .value_kind:     global_buffer
      - .offset:         96
        .size:           4
        .value_kind:     by_value
      - .offset:         104
        .size:           8
        .value_kind:     by_value
      - .offset:         112
        .size:           4
        .value_kind:     by_value
    .group_segment_fixed_size: 8192
    .kernarg_segment_align: 8
    .kernarg_segment_size: 116
    .language:       OpenCL C
    .language_version:
      - 2
      - 0
    .max_flat_workgroup_size: 256
    .name:           _ZL34rocblas_syrkx_herkx_general_kernelIi19rocblas_complex_numIdELi16ELi32ELi8ELb1ELb1ELc67ELc76EKS1_S1_EviT_T0_PT8_S3_lS6_S3_lS4_PT9_S3_li
    .private_segment_fixed_size: 0
    .sgpr_count:     29
    .sgpr_spill_count: 0
    .symbol:         _ZL34rocblas_syrkx_herkx_general_kernelIi19rocblas_complex_numIdELi16ELi32ELi8ELb1ELb1ELc67ELc76EKS1_S1_EviT_T0_PT8_S3_lS6_S3_lS4_PT9_S3_li.kd
    .uniform_work_group_size: 1
    .uses_dynamic_stack: false
    .vgpr_count:     57
    .vgpr_spill_count: 0
    .wavefront_size: 64
  - .args:
      - .offset:         0
        .size:           4
        .value_kind:     by_value
      - .offset:         4
        .size:           4
        .value_kind:     by_value
      - .offset:         8
        .size:           16
        .value_kind:     by_value
      - .address_space:  global
        .offset:         24
        .size:           8
        .value_kind:     global_buffer
      - .offset:         32
        .size:           4
        .value_kind:     by_value
      - .offset:         40
        .size:           8
        .value_kind:     by_value
      - .address_space:  global
        .offset:         48
        .size:           8
        .value_kind:     global_buffer
      - .offset:         56
        .size:           4
        .value_kind:     by_value
      - .offset:         64
        .size:           8
        .value_kind:     by_value
      - .offset:         72
        .size:           16
        .value_kind:     by_value
      - .address_space:  global
        .offset:         88
        .size:           8
        .value_kind:     global_buffer
      - .offset:         96
        .size:           4
        .value_kind:     by_value
      - .offset:         104
        .size:           8
        .value_kind:     by_value
      - .offset:         112
        .size:           4
        .value_kind:     by_value
    .group_segment_fixed_size: 8192
    .kernarg_segment_align: 8
    .kernarg_segment_size: 116
    .language:       OpenCL C
    .language_version:
      - 2
      - 0
    .max_flat_workgroup_size: 256
    .name:           _ZL34rocblas_syrkx_herkx_general_kernelIi19rocblas_complex_numIdELi16ELi32ELi8ELb1ELb1ELc78ELc76EKS1_S1_EviT_T0_PT8_S3_lS6_S3_lS4_PT9_S3_li
    .private_segment_fixed_size: 0
    .sgpr_count:     32
    .sgpr_spill_count: 0
    .symbol:         _ZL34rocblas_syrkx_herkx_general_kernelIi19rocblas_complex_numIdELi16ELi32ELi8ELb1ELb1ELc78ELc76EKS1_S1_EviT_T0_PT8_S3_lS6_S3_lS4_PT9_S3_li.kd
    .uniform_work_group_size: 1
    .uses_dynamic_stack: false
    .vgpr_count:     59
    .vgpr_spill_count: 0
    .wavefront_size: 64
  - .args:
      - .offset:         0
        .size:           4
        .value_kind:     by_value
      - .offset:         4
        .size:           4
        .value_kind:     by_value
      - .offset:         8
        .size:           16
        .value_kind:     by_value
      - .address_space:  global
        .offset:         24
        .size:           8
        .value_kind:     global_buffer
      - .offset:         32
        .size:           4
        .value_kind:     by_value
      - .offset:         40
        .size:           8
        .value_kind:     by_value
      - .address_space:  global
        .offset:         48
        .size:           8
        .value_kind:     global_buffer
      - .offset:         56
        .size:           4
        .value_kind:     by_value
      - .offset:         64
        .size:           8
        .value_kind:     by_value
      - .offset:         72
        .size:           16
        .value_kind:     by_value
      - .address_space:  global
        .offset:         88
        .size:           8
        .value_kind:     global_buffer
      - .offset:         96
        .size:           4
        .value_kind:     by_value
      - .offset:         104
        .size:           8
        .value_kind:     by_value
      - .offset:         112
        .size:           4
        .value_kind:     by_value
    .group_segment_fixed_size: 8192
    .kernarg_segment_align: 8
    .kernarg_segment_size: 116
    .language:       OpenCL C
    .language_version:
      - 2
      - 0
    .max_flat_workgroup_size: 256
    .name:           _ZL34rocblas_syrkx_herkx_general_kernelIi19rocblas_complex_numIdELi16ELi32ELi8ELb1ELb1ELc84ELc85EKS1_S1_EviT_T0_PT8_S3_lS6_S3_lS4_PT9_S3_li
    .private_segment_fixed_size: 0
    .sgpr_count:     29
    .sgpr_spill_count: 0
    .symbol:         _ZL34rocblas_syrkx_herkx_general_kernelIi19rocblas_complex_numIdELi16ELi32ELi8ELb1ELb1ELc84ELc85EKS1_S1_EviT_T0_PT8_S3_lS6_S3_lS4_PT9_S3_li.kd
    .uniform_work_group_size: 1
    .uses_dynamic_stack: false
    .vgpr_count:     56
    .vgpr_spill_count: 0
    .wavefront_size: 64
  - .args:
      - .offset:         0
        .size:           4
        .value_kind:     by_value
      - .offset:         4
        .size:           4
        .value_kind:     by_value
      - .offset:         8
        .size:           16
        .value_kind:     by_value
      - .address_space:  global
        .offset:         24
        .size:           8
        .value_kind:     global_buffer
      - .offset:         32
        .size:           4
        .value_kind:     by_value
      - .offset:         40
        .size:           8
        .value_kind:     by_value
      - .address_space:  global
        .offset:         48
        .size:           8
        .value_kind:     global_buffer
      - .offset:         56
        .size:           4
        .value_kind:     by_value
      - .offset:         64
        .size:           8
        .value_kind:     by_value
      - .offset:         72
        .size:           16
        .value_kind:     by_value
      - .address_space:  global
        .offset:         88
        .size:           8
        .value_kind:     global_buffer
      - .offset:         96
        .size:           4
        .value_kind:     by_value
      - .offset:         104
        .size:           8
        .value_kind:     by_value
      - .offset:         112
        .size:           4
        .value_kind:     by_value
    .group_segment_fixed_size: 8192
    .kernarg_segment_align: 8
    .kernarg_segment_size: 116
    .language:       OpenCL C
    .language_version:
      - 2
      - 0
    .max_flat_workgroup_size: 256
    .name:           _ZL34rocblas_syrkx_herkx_general_kernelIi19rocblas_complex_numIdELi16ELi32ELi8ELb1ELb1ELc67ELc85EKS1_S1_EviT_T0_PT8_S3_lS6_S3_lS4_PT9_S3_li
    .private_segment_fixed_size: 0
    .sgpr_count:     29
    .sgpr_spill_count: 0
    .symbol:         _ZL34rocblas_syrkx_herkx_general_kernelIi19rocblas_complex_numIdELi16ELi32ELi8ELb1ELb1ELc67ELc85EKS1_S1_EviT_T0_PT8_S3_lS6_S3_lS4_PT9_S3_li.kd
    .uniform_work_group_size: 1
    .uses_dynamic_stack: false
    .vgpr_count:     57
    .vgpr_spill_count: 0
    .wavefront_size: 64
  - .args:
      - .offset:         0
        .size:           4
        .value_kind:     by_value
      - .offset:         4
        .size:           4
        .value_kind:     by_value
      - .offset:         8
        .size:           16
        .value_kind:     by_value
      - .address_space:  global
        .offset:         24
        .size:           8
        .value_kind:     global_buffer
      - .offset:         32
        .size:           4
        .value_kind:     by_value
      - .offset:         40
        .size:           8
        .value_kind:     by_value
      - .address_space:  global
        .offset:         48
        .size:           8
        .value_kind:     global_buffer
      - .offset:         56
        .size:           4
        .value_kind:     by_value
      - .offset:         64
        .size:           8
        .value_kind:     by_value
      - .offset:         72
        .size:           16
        .value_kind:     by_value
      - .address_space:  global
        .offset:         88
        .size:           8
        .value_kind:     global_buffer
      - .offset:         96
        .size:           4
        .value_kind:     by_value
      - .offset:         104
        .size:           8
        .value_kind:     by_value
      - .offset:         112
        .size:           4
        .value_kind:     by_value
    .group_segment_fixed_size: 8192
    .kernarg_segment_align: 8
    .kernarg_segment_size: 116
    .language:       OpenCL C
    .language_version:
      - 2
      - 0
    .max_flat_workgroup_size: 256
    .name:           _ZL34rocblas_syrkx_herkx_general_kernelIi19rocblas_complex_numIdELi16ELi32ELi8ELb1ELb1ELc78ELc85EKS1_S1_EviT_T0_PT8_S3_lS6_S3_lS4_PT9_S3_li
    .private_segment_fixed_size: 0
    .sgpr_count:     32
    .sgpr_spill_count: 0
    .symbol:         _ZL34rocblas_syrkx_herkx_general_kernelIi19rocblas_complex_numIdELi16ELi32ELi8ELb1ELb1ELc78ELc85EKS1_S1_EviT_T0_PT8_S3_lS6_S3_lS4_PT9_S3_li.kd
    .uniform_work_group_size: 1
    .uses_dynamic_stack: false
    .vgpr_count:     59
    .vgpr_spill_count: 0
    .wavefront_size: 64
  - .args:
      - .offset:         0
        .size:           4
        .value_kind:     by_value
      - .offset:         4
        .size:           4
        .value_kind:     by_value
      - .offset:         8
        .size:           16
        .value_kind:     by_value
      - .address_space:  global
        .offset:         24
        .size:           8
        .value_kind:     global_buffer
      - .offset:         32
        .size:           4
        .value_kind:     by_value
      - .offset:         40
        .size:           8
        .value_kind:     by_value
      - .address_space:  global
        .offset:         48
        .size:           8
        .value_kind:     global_buffer
      - .offset:         56
        .size:           4
        .value_kind:     by_value
      - .offset:         64
        .size:           8
        .value_kind:     by_value
      - .offset:         72
        .size:           16
        .value_kind:     by_value
      - .address_space:  global
        .offset:         88
        .size:           8
        .value_kind:     global_buffer
      - .offset:         96
        .size:           4
        .value_kind:     by_value
      - .offset:         104
        .size:           8
        .value_kind:     by_value
      - .offset:         112
        .size:           4
        .value_kind:     by_value
    .group_segment_fixed_size: 8192
    .kernarg_segment_align: 8
    .kernarg_segment_size: 116
    .language:       OpenCL C
    .language_version:
      - 2
      - 0
    .max_flat_workgroup_size: 256
    .name:           _ZL34rocblas_syrkx_herkx_general_kernelIi19rocblas_complex_numIdELi16ELi32ELi8ELb0ELb1ELc84ELc76EKS1_S1_EviT_T0_PT8_S3_lS6_S3_lS4_PT9_S3_li
    .private_segment_fixed_size: 0
    .sgpr_count:     36
    .sgpr_spill_count: 0
    .symbol:         _ZL34rocblas_syrkx_herkx_general_kernelIi19rocblas_complex_numIdELi16ELi32ELi8ELb0ELb1ELc84ELc76EKS1_S1_EviT_T0_PT8_S3_lS6_S3_lS4_PT9_S3_li.kd
    .uniform_work_group_size: 1
    .uses_dynamic_stack: false
    .vgpr_count:     56
    .vgpr_spill_count: 0
    .wavefront_size: 64
  - .args:
      - .offset:         0
        .size:           4
        .value_kind:     by_value
      - .offset:         4
        .size:           4
        .value_kind:     by_value
      - .offset:         8
        .size:           16
        .value_kind:     by_value
      - .address_space:  global
        .offset:         24
        .size:           8
        .value_kind:     global_buffer
      - .offset:         32
        .size:           4
        .value_kind:     by_value
      - .offset:         40
        .size:           8
        .value_kind:     by_value
      - .address_space:  global
        .offset:         48
        .size:           8
        .value_kind:     global_buffer
      - .offset:         56
        .size:           4
        .value_kind:     by_value
      - .offset:         64
        .size:           8
        .value_kind:     by_value
      - .offset:         72
        .size:           16
        .value_kind:     by_value
      - .address_space:  global
        .offset:         88
        .size:           8
        .value_kind:     global_buffer
      - .offset:         96
        .size:           4
        .value_kind:     by_value
      - .offset:         104
        .size:           8
        .value_kind:     by_value
      - .offset:         112
        .size:           4
        .value_kind:     by_value
    .group_segment_fixed_size: 8192
    .kernarg_segment_align: 8
    .kernarg_segment_size: 116
    .language:       OpenCL C
    .language_version:
      - 2
      - 0
    .max_flat_workgroup_size: 256
    .name:           _ZL34rocblas_syrkx_herkx_general_kernelIi19rocblas_complex_numIdELi16ELi32ELi8ELb0ELb1ELc67ELc76EKS1_S1_EviT_T0_PT8_S3_lS6_S3_lS4_PT9_S3_li
    .private_segment_fixed_size: 0
    .sgpr_count:     36
    .sgpr_spill_count: 0
    .symbol:         _ZL34rocblas_syrkx_herkx_general_kernelIi19rocblas_complex_numIdELi16ELi32ELi8ELb0ELb1ELc67ELc76EKS1_S1_EviT_T0_PT8_S3_lS6_S3_lS4_PT9_S3_li.kd
    .uniform_work_group_size: 1
    .uses_dynamic_stack: false
    .vgpr_count:     57
    .vgpr_spill_count: 0
    .wavefront_size: 64
  - .args:
      - .offset:         0
        .size:           4
        .value_kind:     by_value
      - .offset:         4
        .size:           4
        .value_kind:     by_value
      - .offset:         8
        .size:           16
        .value_kind:     by_value
      - .address_space:  global
        .offset:         24
        .size:           8
        .value_kind:     global_buffer
      - .offset:         32
        .size:           4
        .value_kind:     by_value
      - .offset:         40
        .size:           8
        .value_kind:     by_value
      - .address_space:  global
        .offset:         48
        .size:           8
        .value_kind:     global_buffer
      - .offset:         56
        .size:           4
        .value_kind:     by_value
      - .offset:         64
        .size:           8
        .value_kind:     by_value
      - .offset:         72
        .size:           16
        .value_kind:     by_value
      - .address_space:  global
        .offset:         88
        .size:           8
        .value_kind:     global_buffer
      - .offset:         96
        .size:           4
        .value_kind:     by_value
      - .offset:         104
        .size:           8
        .value_kind:     by_value
      - .offset:         112
        .size:           4
        .value_kind:     by_value
    .group_segment_fixed_size: 8192
    .kernarg_segment_align: 8
    .kernarg_segment_size: 116
    .language:       OpenCL C
    .language_version:
      - 2
      - 0
    .max_flat_workgroup_size: 256
    .name:           _ZL34rocblas_syrkx_herkx_general_kernelIi19rocblas_complex_numIdELi16ELi32ELi8ELb0ELb1ELc78ELc76EKS1_S1_EviT_T0_PT8_S3_lS6_S3_lS4_PT9_S3_li
    .private_segment_fixed_size: 0
    .sgpr_count:     40
    .sgpr_spill_count: 0
    .symbol:         _ZL34rocblas_syrkx_herkx_general_kernelIi19rocblas_complex_numIdELi16ELi32ELi8ELb0ELb1ELc78ELc76EKS1_S1_EviT_T0_PT8_S3_lS6_S3_lS4_PT9_S3_li.kd
    .uniform_work_group_size: 1
    .uses_dynamic_stack: false
    .vgpr_count:     59
    .vgpr_spill_count: 0
    .wavefront_size: 64
  - .args:
      - .offset:         0
        .size:           4
        .value_kind:     by_value
      - .offset:         4
        .size:           4
        .value_kind:     by_value
      - .offset:         8
        .size:           16
        .value_kind:     by_value
      - .address_space:  global
        .offset:         24
        .size:           8
        .value_kind:     global_buffer
      - .offset:         32
        .size:           4
        .value_kind:     by_value
      - .offset:         40
        .size:           8
        .value_kind:     by_value
      - .address_space:  global
        .offset:         48
        .size:           8
        .value_kind:     global_buffer
      - .offset:         56
        .size:           4
        .value_kind:     by_value
      - .offset:         64
        .size:           8
        .value_kind:     by_value
      - .offset:         72
        .size:           16
        .value_kind:     by_value
      - .address_space:  global
        .offset:         88
        .size:           8
        .value_kind:     global_buffer
      - .offset:         96
        .size:           4
        .value_kind:     by_value
      - .offset:         104
        .size:           8
        .value_kind:     by_value
      - .offset:         112
        .size:           4
        .value_kind:     by_value
    .group_segment_fixed_size: 8192
    .kernarg_segment_align: 8
    .kernarg_segment_size: 116
    .language:       OpenCL C
    .language_version:
      - 2
      - 0
    .max_flat_workgroup_size: 256
    .name:           _ZL34rocblas_syrkx_herkx_general_kernelIi19rocblas_complex_numIdELi16ELi32ELi8ELb0ELb1ELc84ELc85EKS1_S1_EviT_T0_PT8_S3_lS6_S3_lS4_PT9_S3_li
    .private_segment_fixed_size: 0
    .sgpr_count:     36
    .sgpr_spill_count: 0
    .symbol:         _ZL34rocblas_syrkx_herkx_general_kernelIi19rocblas_complex_numIdELi16ELi32ELi8ELb0ELb1ELc84ELc85EKS1_S1_EviT_T0_PT8_S3_lS6_S3_lS4_PT9_S3_li.kd
    .uniform_work_group_size: 1
    .uses_dynamic_stack: false
    .vgpr_count:     56
    .vgpr_spill_count: 0
    .wavefront_size: 64
  - .args:
      - .offset:         0
        .size:           4
        .value_kind:     by_value
      - .offset:         4
        .size:           4
        .value_kind:     by_value
      - .offset:         8
        .size:           16
        .value_kind:     by_value
      - .address_space:  global
        .offset:         24
        .size:           8
        .value_kind:     global_buffer
      - .offset:         32
        .size:           4
        .value_kind:     by_value
      - .offset:         40
        .size:           8
        .value_kind:     by_value
      - .address_space:  global
        .offset:         48
        .size:           8
        .value_kind:     global_buffer
      - .offset:         56
        .size:           4
        .value_kind:     by_value
      - .offset:         64
        .size:           8
        .value_kind:     by_value
      - .offset:         72
        .size:           16
        .value_kind:     by_value
      - .address_space:  global
        .offset:         88
        .size:           8
        .value_kind:     global_buffer
      - .offset:         96
        .size:           4
        .value_kind:     by_value
      - .offset:         104
        .size:           8
        .value_kind:     by_value
      - .offset:         112
        .size:           4
        .value_kind:     by_value
    .group_segment_fixed_size: 8192
    .kernarg_segment_align: 8
    .kernarg_segment_size: 116
    .language:       OpenCL C
    .language_version:
      - 2
      - 0
    .max_flat_workgroup_size: 256
    .name:           _ZL34rocblas_syrkx_herkx_general_kernelIi19rocblas_complex_numIdELi16ELi32ELi8ELb0ELb1ELc67ELc85EKS1_S1_EviT_T0_PT8_S3_lS6_S3_lS4_PT9_S3_li
    .private_segment_fixed_size: 0
    .sgpr_count:     36
    .sgpr_spill_count: 0
    .symbol:         _ZL34rocblas_syrkx_herkx_general_kernelIi19rocblas_complex_numIdELi16ELi32ELi8ELb0ELb1ELc67ELc85EKS1_S1_EviT_T0_PT8_S3_lS6_S3_lS4_PT9_S3_li.kd
    .uniform_work_group_size: 1
    .uses_dynamic_stack: false
    .vgpr_count:     57
    .vgpr_spill_count: 0
    .wavefront_size: 64
  - .args:
      - .offset:         0
        .size:           4
        .value_kind:     by_value
      - .offset:         4
        .size:           4
        .value_kind:     by_value
      - .offset:         8
        .size:           16
        .value_kind:     by_value
      - .address_space:  global
        .offset:         24
        .size:           8
        .value_kind:     global_buffer
      - .offset:         32
        .size:           4
        .value_kind:     by_value
      - .offset:         40
        .size:           8
        .value_kind:     by_value
      - .address_space:  global
        .offset:         48
        .size:           8
        .value_kind:     global_buffer
      - .offset:         56
        .size:           4
        .value_kind:     by_value
      - .offset:         64
        .size:           8
        .value_kind:     by_value
      - .offset:         72
        .size:           16
        .value_kind:     by_value
      - .address_space:  global
        .offset:         88
        .size:           8
        .value_kind:     global_buffer
      - .offset:         96
        .size:           4
        .value_kind:     by_value
      - .offset:         104
        .size:           8
        .value_kind:     by_value
      - .offset:         112
        .size:           4
        .value_kind:     by_value
    .group_segment_fixed_size: 8192
    .kernarg_segment_align: 8
    .kernarg_segment_size: 116
    .language:       OpenCL C
    .language_version:
      - 2
      - 0
    .max_flat_workgroup_size: 256
    .name:           _ZL34rocblas_syrkx_herkx_general_kernelIi19rocblas_complex_numIdELi16ELi32ELi8ELb0ELb1ELc78ELc85EKS1_S1_EviT_T0_PT8_S3_lS6_S3_lS4_PT9_S3_li
    .private_segment_fixed_size: 0
    .sgpr_count:     40
    .sgpr_spill_count: 0
    .symbol:         _ZL34rocblas_syrkx_herkx_general_kernelIi19rocblas_complex_numIdELi16ELi32ELi8ELb0ELb1ELc78ELc85EKS1_S1_EviT_T0_PT8_S3_lS6_S3_lS4_PT9_S3_li.kd
    .uniform_work_group_size: 1
    .uses_dynamic_stack: false
    .vgpr_count:     59
    .vgpr_spill_count: 0
    .wavefront_size: 64
  - .args:
      - .offset:         0
        .size:           1
        .value_kind:     by_value
      - .offset:         4
        .size:           4
        .value_kind:     by_value
      - .offset:         8
        .size:           4
        .value_kind:     by_value
      - .offset:         16
        .size:           16
        .value_kind:     by_value
      - .offset:         32
        .size:           16
        .value_kind:     by_value
      - .address_space:  global
        .offset:         48
        .size:           8
        .value_kind:     global_buffer
      - .offset:         56
        .size:           4
        .value_kind:     by_value
      - .offset:         64
        .size:           8
        .value_kind:     by_value
      - .offset:         72
        .size:           4
        .value_kind:     by_value
      - .offset:         80
        .size:           4
        .value_kind:     hidden_block_count_x
      - .offset:         84
        .size:           4
        .value_kind:     hidden_block_count_y
      - .offset:         88
        .size:           4
        .value_kind:     hidden_block_count_z
      - .offset:         92
        .size:           2
        .value_kind:     hidden_group_size_x
      - .offset:         94
        .size:           2
        .value_kind:     hidden_group_size_y
      - .offset:         96
        .size:           2
        .value_kind:     hidden_group_size_z
      - .offset:         98
        .size:           2
        .value_kind:     hidden_remainder_x
      - .offset:         100
        .size:           2
        .value_kind:     hidden_remainder_y
      - .offset:         102
        .size:           2
        .value_kind:     hidden_remainder_z
      - .offset:         120
        .size:           8
        .value_kind:     hidden_global_offset_x
      - .offset:         128
        .size:           8
        .value_kind:     hidden_global_offset_y
      - .offset:         136
        .size:           8
        .value_kind:     hidden_global_offset_z
      - .offset:         144
        .size:           2
        .value_kind:     hidden_grid_dims
    .group_segment_fixed_size: 0
    .kernarg_segment_align: 8
    .kernarg_segment_size: 336
    .language:       OpenCL C
    .language_version:
      - 2
      - 0
    .max_flat_workgroup_size: 1024
    .name:           _ZL26rocblas_syr2k_scale_kernelIiLi128ELi8ELb1E19rocblas_complex_numIdES1_PS1_EvbiT_T3_T4_T5_S3_li
    .private_segment_fixed_size: 0
    .sgpr_count:     30
    .sgpr_spill_count: 0
    .symbol:         _ZL26rocblas_syr2k_scale_kernelIiLi128ELi8ELb1E19rocblas_complex_numIdES1_PS1_EvbiT_T3_T4_T5_S3_li.kd
    .uniform_work_group_size: 1
    .uses_dynamic_stack: false
    .vgpr_count:     13
    .vgpr_spill_count: 0
    .wavefront_size: 64
  - .args:
      - .offset:         0
        .size:           1
        .value_kind:     by_value
      - .offset:         4
        .size:           4
        .value_kind:     by_value
      - .offset:         8
        .size:           4
        .value_kind:     by_value
      - .address_space:  global
        .offset:         16
        .size:           8
        .value_kind:     global_buffer
      - .address_space:  global
        .offset:         24
        .size:           8
        .value_kind:     global_buffer
      - .offset:         32
        .size:           4
        .value_kind:     by_value
      - .offset:         40
        .size:           8
        .value_kind:     by_value
      - .address_space:  global
        .offset:         48
        .size:           8
        .value_kind:     global_buffer
      - .offset:         56
        .size:           4
        .value_kind:     by_value
      - .offset:         64
        .size:           8
        .value_kind:     by_value
      - .address_space:  global
        .offset:         72
        .size:           8
        .value_kind:     global_buffer
      - .offset:         80
        .size:           4
        .value_kind:     by_value
      - .offset:         88
        .size:           8
        .value_kind:     by_value
      - .offset:         96
        .size:           4
        .value_kind:     by_value
    .group_segment_fixed_size: 32768
    .kernarg_segment_align: 8
    .kernarg_segment_size: 100
    .language:       OpenCL C
    .language_version:
      - 2
      - 0
    .max_flat_workgroup_size: 1024
    .name:           _ZL26rocblas_syr2k_her2k_kernelIiLb0ELb1ELb0ELi32EPK19rocblas_complex_numIdES3_PS1_EvbiT_T4_T5_S5_lS7_S5_lT6_S5_li
    .private_segment_fixed_size: 0
    .sgpr_count:     32
    .sgpr_spill_count: 0
    .symbol:         _ZL26rocblas_syr2k_her2k_kernelIiLb0ELb1ELb0ELi32EPK19rocblas_complex_numIdES3_PS1_EvbiT_T4_T5_S5_lS7_S5_lT6_S5_li.kd
    .uniform_work_group_size: 1
    .uses_dynamic_stack: false
    .vgpr_count:     37
    .vgpr_spill_count: 0
    .wavefront_size: 64
  - .args:
      - .offset:         0
        .size:           1
        .value_kind:     by_value
      - .offset:         4
        .size:           4
        .value_kind:     by_value
      - .offset:         8
        .size:           4
        .value_kind:     by_value
      - .address_space:  global
        .offset:         16
        .size:           8
        .value_kind:     global_buffer
      - .address_space:  global
        .offset:         24
        .size:           8
        .value_kind:     global_buffer
      - .offset:         32
        .size:           4
        .value_kind:     by_value
      - .offset:         40
        .size:           8
        .value_kind:     by_value
      - .address_space:  global
        .offset:         48
        .size:           8
        .value_kind:     global_buffer
      - .offset:         56
        .size:           4
        .value_kind:     by_value
      - .offset:         64
        .size:           8
        .value_kind:     by_value
      - .address_space:  global
        .offset:         72
        .size:           8
        .value_kind:     global_buffer
      - .offset:         80
        .size:           4
        .value_kind:     by_value
      - .offset:         88
        .size:           8
        .value_kind:     by_value
      - .offset:         96
        .size:           4
        .value_kind:     by_value
    .group_segment_fixed_size: 32768
    .kernarg_segment_align: 8
    .kernarg_segment_size: 100
    .language:       OpenCL C
    .language_version:
      - 2
      - 0
    .max_flat_workgroup_size: 1024
    .name:           _ZL26rocblas_syr2k_her2k_kernelIiLb0ELb1ELb1ELi32EPK19rocblas_complex_numIdES3_PS1_EvbiT_T4_T5_S5_lS7_S5_lT6_S5_li
    .private_segment_fixed_size: 0
    .sgpr_count:     32
    .sgpr_spill_count: 0
    .symbol:         _ZL26rocblas_syr2k_her2k_kernelIiLb0ELb1ELb1ELi32EPK19rocblas_complex_numIdES3_PS1_EvbiT_T4_T5_S5_lS7_S5_lT6_S5_li.kd
    .uniform_work_group_size: 1
    .uses_dynamic_stack: false
    .vgpr_count:     39
    .vgpr_spill_count: 0
    .wavefront_size: 64
  - .args:
      - .offset:         0
        .size:           1
        .value_kind:     by_value
      - .offset:         4
        .size:           4
        .value_kind:     by_value
      - .offset:         8
        .size:           4
        .value_kind:     by_value
      - .offset:         12
        .size:           4
        .value_kind:     by_value
      - .address_space:  global
        .offset:         16
        .size:           8
        .value_kind:     global_buffer
      - .offset:         24
        .size:           4
        .value_kind:     by_value
      - .offset:         32
        .size:           8
        .value_kind:     by_value
      - .address_space:  global
        .offset:         40
        .size:           8
        .value_kind:     global_buffer
      - .offset:         48
        .size:           4
        .value_kind:     by_value
      - .offset:         56
        .size:           8
        .value_kind:     by_value
      - .address_space:  global
        .offset:         64
        .size:           8
        .value_kind:     global_buffer
      - .offset:         72
        .size:           4
        .value_kind:     by_value
      - .offset:         80
        .size:           8
        .value_kind:     by_value
      - .offset:         88
        .size:           4
        .value_kind:     by_value
    .group_segment_fixed_size: 8192
    .kernarg_segment_align: 8
    .kernarg_segment_size: 92
    .language:       OpenCL C
    .language_version:
      - 2
      - 0
    .max_flat_workgroup_size: 1024
    .name:           _ZL26rocblas_syr2k_her2k_kernelIiLb0ELb0ELb0ELi32EfPKPKfPKPfEvbiT_T4_T5_S7_lS9_S7_lT6_S7_li
    .private_segment_fixed_size: 0
    .sgpr_count:     30
    .sgpr_spill_count: 0
    .symbol:         _ZL26rocblas_syr2k_her2k_kernelIiLb0ELb0ELb0ELi32EfPKPKfPKPfEvbiT_T4_T5_S7_lS9_S7_lT6_S7_li.kd
    .uniform_work_group_size: 1
    .uses_dynamic_stack: false
    .vgpr_count:     29
    .vgpr_spill_count: 0
    .wavefront_size: 64
  - .args:
      - .offset:         0
        .size:           1
        .value_kind:     by_value
      - .offset:         4
        .size:           4
        .value_kind:     by_value
      - .offset:         8
        .size:           4
        .value_kind:     by_value
      - .offset:         12
        .size:           4
        .value_kind:     by_value
      - .address_space:  global
        .offset:         16
        .size:           8
        .value_kind:     global_buffer
      - .offset:         24
        .size:           4
        .value_kind:     by_value
      - .offset:         32
        .size:           8
        .value_kind:     by_value
      - .address_space:  global
        .offset:         40
        .size:           8
        .value_kind:     global_buffer
      - .offset:         48
        .size:           4
        .value_kind:     by_value
      - .offset:         56
        .size:           8
        .value_kind:     by_value
      - .address_space:  global
        .offset:         64
        .size:           8
        .value_kind:     global_buffer
      - .offset:         72
        .size:           4
        .value_kind:     by_value
      - .offset:         80
        .size:           8
        .value_kind:     by_value
      - .offset:         88
        .size:           4
        .value_kind:     by_value
    .group_segment_fixed_size: 8192
    .kernarg_segment_align: 8
    .kernarg_segment_size: 92
    .language:       OpenCL C
    .language_version:
      - 2
      - 0
    .max_flat_workgroup_size: 1024
    .name:           _ZL26rocblas_syr2k_her2k_kernelIiLb0ELb0ELb1ELi32EfPKPKfPKPfEvbiT_T4_T5_S7_lS9_S7_lT6_S7_li
    .private_segment_fixed_size: 0
    .sgpr_count:     30
    .sgpr_spill_count: 0
    .symbol:         _ZL26rocblas_syr2k_her2k_kernelIiLb0ELb0ELb1ELi32EfPKPKfPKPfEvbiT_T4_T5_S7_lS9_S7_lT6_S7_li.kd
    .uniform_work_group_size: 1
    .uses_dynamic_stack: false
    .vgpr_count:     29
    .vgpr_spill_count: 0
    .wavefront_size: 64
  - .args:
      - .offset:         0
        .size:           4
        .value_kind:     by_value
      - .offset:         4
        .size:           4
        .value_kind:     by_value
      - .address_space:  global
        .offset:         8
        .size:           8
        .value_kind:     global_buffer
      - .offset:         16
        .size:           4
        .value_kind:     by_value
      - .offset:         24
        .size:           8
        .value_kind:     by_value
      - .address_space:  global
        .offset:         32
        .size:           8
        .value_kind:     global_buffer
      - .offset:         40
        .size:           4
        .value_kind:     by_value
      - .offset:         48
        .size:           8
        .value_kind:     by_value
      - .address_space:  global
        .offset:         56
        .size:           8
        .value_kind:     global_buffer
      - .offset:         64
        .size:           4
        .value_kind:     by_value
      - .offset:         72
        .size:           8
        .value_kind:     by_value
      - .offset:         80
        .size:           4
        .value_kind:     by_value
    .group_segment_fixed_size: 2048
    .kernarg_segment_align: 8
    .kernarg_segment_size: 84
    .language:       OpenCL C
    .language_version:
      - 2
      - 0
    .max_flat_workgroup_size: 256
    .name:           _ZL37rocblas_syrkx_herkx_restricted_kernelIifLi16ELi32ELi8ELi1ELi1ELb0ELc84ELc76EKPKfKPfEviT_PT9_S5_lS7_S5_lPT10_S5_li
    .private_segment_fixed_size: 0
    .sgpr_count:     21
    .sgpr_spill_count: 0
    .symbol:         _ZL37rocblas_syrkx_herkx_restricted_kernelIifLi16ELi32ELi8ELi1ELi1ELb0ELc84ELc76EKPKfKPfEviT_PT9_S5_lS7_S5_lPT10_S5_li.kd
    .uniform_work_group_size: 1
    .uses_dynamic_stack: false
    .vgpr_count:     34
    .vgpr_spill_count: 0
    .wavefront_size: 64
  - .args:
      - .offset:         0
        .size:           4
        .value_kind:     by_value
      - .offset:         4
        .size:           4
        .value_kind:     by_value
      - .address_space:  global
        .offset:         8
        .size:           8
        .value_kind:     global_buffer
      - .offset:         16
        .size:           4
        .value_kind:     by_value
      - .offset:         24
        .size:           8
        .value_kind:     by_value
      - .address_space:  global
        .offset:         32
        .size:           8
        .value_kind:     global_buffer
      - .offset:         40
        .size:           4
        .value_kind:     by_value
      - .offset:         48
        .size:           8
        .value_kind:     by_value
      - .address_space:  global
        .offset:         56
        .size:           8
        .value_kind:     global_buffer
      - .offset:         64
        .size:           4
        .value_kind:     by_value
      - .offset:         72
        .size:           8
        .value_kind:     by_value
      - .offset:         80
        .size:           4
        .value_kind:     by_value
    .group_segment_fixed_size: 2048
    .kernarg_segment_align: 8
    .kernarg_segment_size: 84
    .language:       OpenCL C
    .language_version:
      - 2
      - 0
    .max_flat_workgroup_size: 256
    .name:           _ZL37rocblas_syrkx_herkx_restricted_kernelIifLi16ELi32ELi8ELi1ELi1ELb0ELc67ELc76EKPKfKPfEviT_PT9_S5_lS7_S5_lPT10_S5_li
    .private_segment_fixed_size: 0
    .sgpr_count:     21
    .sgpr_spill_count: 0
    .symbol:         _ZL37rocblas_syrkx_herkx_restricted_kernelIifLi16ELi32ELi8ELi1ELi1ELb0ELc67ELc76EKPKfKPfEviT_PT9_S5_lS7_S5_lPT10_S5_li.kd
    .uniform_work_group_size: 1
    .uses_dynamic_stack: false
    .vgpr_count:     34
    .vgpr_spill_count: 0
    .wavefront_size: 64
  - .args:
      - .offset:         0
        .size:           4
        .value_kind:     by_value
      - .offset:         4
        .size:           4
        .value_kind:     by_value
      - .address_space:  global
        .offset:         8
        .size:           8
        .value_kind:     global_buffer
      - .offset:         16
        .size:           4
        .value_kind:     by_value
      - .offset:         24
        .size:           8
        .value_kind:     by_value
      - .address_space:  global
        .offset:         32
        .size:           8
        .value_kind:     global_buffer
      - .offset:         40
        .size:           4
        .value_kind:     by_value
      - .offset:         48
        .size:           8
        .value_kind:     by_value
      - .address_space:  global
        .offset:         56
        .size:           8
        .value_kind:     global_buffer
      - .offset:         64
        .size:           4
        .value_kind:     by_value
      - .offset:         72
        .size:           8
        .value_kind:     by_value
      - .offset:         80
        .size:           4
        .value_kind:     by_value
    .group_segment_fixed_size: 2048
    .kernarg_segment_align: 8
    .kernarg_segment_size: 84
    .language:       OpenCL C
    .language_version:
      - 2
      - 0
    .max_flat_workgroup_size: 256
    .name:           _ZL37rocblas_syrkx_herkx_restricted_kernelIifLi16ELi32ELi8ELi1ELi1ELb0ELc78ELc76EKPKfKPfEviT_PT9_S5_lS7_S5_lPT10_S5_li
    .private_segment_fixed_size: 0
    .sgpr_count:     24
    .sgpr_spill_count: 0
    .symbol:         _ZL37rocblas_syrkx_herkx_restricted_kernelIifLi16ELi32ELi8ELi1ELi1ELb0ELc78ELc76EKPKfKPfEviT_PT9_S5_lS7_S5_lPT10_S5_li.kd
    .uniform_work_group_size: 1
    .uses_dynamic_stack: false
    .vgpr_count:     36
    .vgpr_spill_count: 0
    .wavefront_size: 64
  - .args:
      - .offset:         0
        .size:           4
        .value_kind:     by_value
      - .offset:         4
        .size:           4
        .value_kind:     by_value
      - .address_space:  global
        .offset:         8
        .size:           8
        .value_kind:     global_buffer
      - .offset:         16
        .size:           4
        .value_kind:     by_value
      - .offset:         24
        .size:           8
        .value_kind:     by_value
      - .address_space:  global
        .offset:         32
        .size:           8
        .value_kind:     global_buffer
      - .offset:         40
        .size:           4
        .value_kind:     by_value
      - .offset:         48
        .size:           8
        .value_kind:     by_value
      - .address_space:  global
        .offset:         56
        .size:           8
        .value_kind:     global_buffer
      - .offset:         64
        .size:           4
        .value_kind:     by_value
      - .offset:         72
        .size:           8
        .value_kind:     by_value
      - .offset:         80
        .size:           4
        .value_kind:     by_value
    .group_segment_fixed_size: 2048
    .kernarg_segment_align: 8
    .kernarg_segment_size: 84
    .language:       OpenCL C
    .language_version:
      - 2
      - 0
    .max_flat_workgroup_size: 256
    .name:           _ZL37rocblas_syrkx_herkx_restricted_kernelIifLi16ELi32ELi8ELi1ELi1ELb0ELc84ELc85EKPKfKPfEviT_PT9_S5_lS7_S5_lPT10_S5_li
    .private_segment_fixed_size: 0
    .sgpr_count:     21
    .sgpr_spill_count: 0
    .symbol:         _ZL37rocblas_syrkx_herkx_restricted_kernelIifLi16ELi32ELi8ELi1ELi1ELb0ELc84ELc85EKPKfKPfEviT_PT9_S5_lS7_S5_lPT10_S5_li.kd
    .uniform_work_group_size: 1
    .uses_dynamic_stack: false
    .vgpr_count:     34
    .vgpr_spill_count: 0
    .wavefront_size: 64
  - .args:
      - .offset:         0
        .size:           4
        .value_kind:     by_value
      - .offset:         4
        .size:           4
        .value_kind:     by_value
      - .address_space:  global
        .offset:         8
        .size:           8
        .value_kind:     global_buffer
      - .offset:         16
        .size:           4
        .value_kind:     by_value
      - .offset:         24
        .size:           8
        .value_kind:     by_value
      - .address_space:  global
        .offset:         32
        .size:           8
        .value_kind:     global_buffer
      - .offset:         40
        .size:           4
        .value_kind:     by_value
      - .offset:         48
        .size:           8
        .value_kind:     by_value
      - .address_space:  global
        .offset:         56
        .size:           8
        .value_kind:     global_buffer
      - .offset:         64
        .size:           4
        .value_kind:     by_value
      - .offset:         72
        .size:           8
        .value_kind:     by_value
      - .offset:         80
        .size:           4
        .value_kind:     by_value
    .group_segment_fixed_size: 2048
    .kernarg_segment_align: 8
    .kernarg_segment_size: 84
    .language:       OpenCL C
    .language_version:
      - 2
      - 0
    .max_flat_workgroup_size: 256
    .name:           _ZL37rocblas_syrkx_herkx_restricted_kernelIifLi16ELi32ELi8ELi1ELi1ELb0ELc67ELc85EKPKfKPfEviT_PT9_S5_lS7_S5_lPT10_S5_li
    .private_segment_fixed_size: 0
    .sgpr_count:     21
    .sgpr_spill_count: 0
    .symbol:         _ZL37rocblas_syrkx_herkx_restricted_kernelIifLi16ELi32ELi8ELi1ELi1ELb0ELc67ELc85EKPKfKPfEviT_PT9_S5_lS7_S5_lPT10_S5_li.kd
    .uniform_work_group_size: 1
    .uses_dynamic_stack: false
    .vgpr_count:     34
    .vgpr_spill_count: 0
    .wavefront_size: 64
  - .args:
      - .offset:         0
        .size:           4
        .value_kind:     by_value
      - .offset:         4
        .size:           4
        .value_kind:     by_value
      - .address_space:  global
        .offset:         8
        .size:           8
        .value_kind:     global_buffer
      - .offset:         16
        .size:           4
        .value_kind:     by_value
      - .offset:         24
        .size:           8
        .value_kind:     by_value
      - .address_space:  global
        .offset:         32
        .size:           8
        .value_kind:     global_buffer
      - .offset:         40
        .size:           4
        .value_kind:     by_value
      - .offset:         48
        .size:           8
        .value_kind:     by_value
      - .address_space:  global
        .offset:         56
        .size:           8
        .value_kind:     global_buffer
      - .offset:         64
        .size:           4
        .value_kind:     by_value
      - .offset:         72
        .size:           8
        .value_kind:     by_value
      - .offset:         80
        .size:           4
        .value_kind:     by_value
    .group_segment_fixed_size: 2048
    .kernarg_segment_align: 8
    .kernarg_segment_size: 84
    .language:       OpenCL C
    .language_version:
      - 2
      - 0
    .max_flat_workgroup_size: 256
    .name:           _ZL37rocblas_syrkx_herkx_restricted_kernelIifLi16ELi32ELi8ELi1ELi1ELb0ELc78ELc85EKPKfKPfEviT_PT9_S5_lS7_S5_lPT10_S5_li
    .private_segment_fixed_size: 0
    .sgpr_count:     24
    .sgpr_spill_count: 0
    .symbol:         _ZL37rocblas_syrkx_herkx_restricted_kernelIifLi16ELi32ELi8ELi1ELi1ELb0ELc78ELc85EKPKfKPfEviT_PT9_S5_lS7_S5_lPT10_S5_li.kd
    .uniform_work_group_size: 1
    .uses_dynamic_stack: false
    .vgpr_count:     36
    .vgpr_spill_count: 0
    .wavefront_size: 64
  - .args:
      - .offset:         0
        .size:           4
        .value_kind:     by_value
      - .offset:         4
        .size:           4
        .value_kind:     by_value
      - .address_space:  global
        .offset:         8
        .size:           8
        .value_kind:     global_buffer
      - .offset:         16
        .size:           4
        .value_kind:     by_value
      - .offset:         24
        .size:           8
        .value_kind:     by_value
      - .address_space:  global
        .offset:         32
        .size:           8
        .value_kind:     global_buffer
      - .offset:         40
        .size:           4
        .value_kind:     by_value
      - .offset:         48
        .size:           8
        .value_kind:     by_value
      - .address_space:  global
        .offset:         56
        .size:           8
        .value_kind:     global_buffer
      - .offset:         64
        .size:           4
        .value_kind:     by_value
      - .offset:         72
        .size:           8
        .value_kind:     by_value
      - .offset:         80
        .size:           4
        .value_kind:     by_value
    .group_segment_fixed_size: 2048
    .kernarg_segment_align: 8
    .kernarg_segment_size: 84
    .language:       OpenCL C
    .language_version:
      - 2
      - 0
    .max_flat_workgroup_size: 256
    .name:           _ZL37rocblas_syrkx_herkx_restricted_kernelIifLi16ELi32ELi8ELi1ELin1ELb0ELc84ELc76EKPKfKPfEviT_PT9_S5_lS7_S5_lPT10_S5_li
    .private_segment_fixed_size: 0
    .sgpr_count:     21
    .sgpr_spill_count: 0
    .symbol:         _ZL37rocblas_syrkx_herkx_restricted_kernelIifLi16ELi32ELi8ELi1ELin1ELb0ELc84ELc76EKPKfKPfEviT_PT9_S5_lS7_S5_lPT10_S5_li.kd
    .uniform_work_group_size: 1
    .uses_dynamic_stack: false
    .vgpr_count:     34
    .vgpr_spill_count: 0
    .wavefront_size: 64
  - .args:
      - .offset:         0
        .size:           4
        .value_kind:     by_value
      - .offset:         4
        .size:           4
        .value_kind:     by_value
      - .address_space:  global
        .offset:         8
        .size:           8
        .value_kind:     global_buffer
      - .offset:         16
        .size:           4
        .value_kind:     by_value
      - .offset:         24
        .size:           8
        .value_kind:     by_value
      - .address_space:  global
        .offset:         32
        .size:           8
        .value_kind:     global_buffer
      - .offset:         40
        .size:           4
        .value_kind:     by_value
      - .offset:         48
        .size:           8
        .value_kind:     by_value
      - .address_space:  global
        .offset:         56
        .size:           8
        .value_kind:     global_buffer
      - .offset:         64
        .size:           4
        .value_kind:     by_value
      - .offset:         72
        .size:           8
        .value_kind:     by_value
      - .offset:         80
        .size:           4
        .value_kind:     by_value
    .group_segment_fixed_size: 2048
    .kernarg_segment_align: 8
    .kernarg_segment_size: 84
    .language:       OpenCL C
    .language_version:
      - 2
      - 0
    .max_flat_workgroup_size: 256
    .name:           _ZL37rocblas_syrkx_herkx_restricted_kernelIifLi16ELi32ELi8ELi1ELin1ELb0ELc67ELc76EKPKfKPfEviT_PT9_S5_lS7_S5_lPT10_S5_li
    .private_segment_fixed_size: 0
    .sgpr_count:     21
    .sgpr_spill_count: 0
    .symbol:         _ZL37rocblas_syrkx_herkx_restricted_kernelIifLi16ELi32ELi8ELi1ELin1ELb0ELc67ELc76EKPKfKPfEviT_PT9_S5_lS7_S5_lPT10_S5_li.kd
    .uniform_work_group_size: 1
    .uses_dynamic_stack: false
    .vgpr_count:     34
    .vgpr_spill_count: 0
    .wavefront_size: 64
  - .args:
      - .offset:         0
        .size:           4
        .value_kind:     by_value
      - .offset:         4
        .size:           4
        .value_kind:     by_value
      - .address_space:  global
        .offset:         8
        .size:           8
        .value_kind:     global_buffer
      - .offset:         16
        .size:           4
        .value_kind:     by_value
      - .offset:         24
        .size:           8
        .value_kind:     by_value
      - .address_space:  global
        .offset:         32
        .size:           8
        .value_kind:     global_buffer
      - .offset:         40
        .size:           4
        .value_kind:     by_value
      - .offset:         48
        .size:           8
        .value_kind:     by_value
      - .address_space:  global
        .offset:         56
        .size:           8
        .value_kind:     global_buffer
      - .offset:         64
        .size:           4
        .value_kind:     by_value
      - .offset:         72
        .size:           8
        .value_kind:     by_value
      - .offset:         80
        .size:           4
        .value_kind:     by_value
    .group_segment_fixed_size: 2048
    .kernarg_segment_align: 8
    .kernarg_segment_size: 84
    .language:       OpenCL C
    .language_version:
      - 2
      - 0
    .max_flat_workgroup_size: 256
    .name:           _ZL37rocblas_syrkx_herkx_restricted_kernelIifLi16ELi32ELi8ELi1ELin1ELb0ELc78ELc76EKPKfKPfEviT_PT9_S5_lS7_S5_lPT10_S5_li
    .private_segment_fixed_size: 0
    .sgpr_count:     24
    .sgpr_spill_count: 0
    .symbol:         _ZL37rocblas_syrkx_herkx_restricted_kernelIifLi16ELi32ELi8ELi1ELin1ELb0ELc78ELc76EKPKfKPfEviT_PT9_S5_lS7_S5_lPT10_S5_li.kd
    .uniform_work_group_size: 1
    .uses_dynamic_stack: false
    .vgpr_count:     36
    .vgpr_spill_count: 0
    .wavefront_size: 64
  - .args:
      - .offset:         0
        .size:           4
        .value_kind:     by_value
      - .offset:         4
        .size:           4
        .value_kind:     by_value
      - .address_space:  global
        .offset:         8
        .size:           8
        .value_kind:     global_buffer
      - .offset:         16
        .size:           4
        .value_kind:     by_value
      - .offset:         24
        .size:           8
        .value_kind:     by_value
      - .address_space:  global
        .offset:         32
        .size:           8
        .value_kind:     global_buffer
      - .offset:         40
        .size:           4
        .value_kind:     by_value
      - .offset:         48
        .size:           8
        .value_kind:     by_value
      - .address_space:  global
        .offset:         56
        .size:           8
        .value_kind:     global_buffer
      - .offset:         64
        .size:           4
        .value_kind:     by_value
      - .offset:         72
        .size:           8
        .value_kind:     by_value
      - .offset:         80
        .size:           4
        .value_kind:     by_value
    .group_segment_fixed_size: 2048
    .kernarg_segment_align: 8
    .kernarg_segment_size: 84
    .language:       OpenCL C
    .language_version:
      - 2
      - 0
    .max_flat_workgroup_size: 256
    .name:           _ZL37rocblas_syrkx_herkx_restricted_kernelIifLi16ELi32ELi8ELi1ELin1ELb0ELc84ELc85EKPKfKPfEviT_PT9_S5_lS7_S5_lPT10_S5_li
    .private_segment_fixed_size: 0
    .sgpr_count:     21
    .sgpr_spill_count: 0
    .symbol:         _ZL37rocblas_syrkx_herkx_restricted_kernelIifLi16ELi32ELi8ELi1ELin1ELb0ELc84ELc85EKPKfKPfEviT_PT9_S5_lS7_S5_lPT10_S5_li.kd
    .uniform_work_group_size: 1
    .uses_dynamic_stack: false
    .vgpr_count:     34
    .vgpr_spill_count: 0
    .wavefront_size: 64
  - .args:
      - .offset:         0
        .size:           4
        .value_kind:     by_value
      - .offset:         4
        .size:           4
        .value_kind:     by_value
      - .address_space:  global
        .offset:         8
        .size:           8
        .value_kind:     global_buffer
      - .offset:         16
        .size:           4
        .value_kind:     by_value
      - .offset:         24
        .size:           8
        .value_kind:     by_value
      - .address_space:  global
        .offset:         32
        .size:           8
        .value_kind:     global_buffer
      - .offset:         40
        .size:           4
        .value_kind:     by_value
      - .offset:         48
        .size:           8
        .value_kind:     by_value
      - .address_space:  global
        .offset:         56
        .size:           8
        .value_kind:     global_buffer
      - .offset:         64
        .size:           4
        .value_kind:     by_value
      - .offset:         72
        .size:           8
        .value_kind:     by_value
      - .offset:         80
        .size:           4
        .value_kind:     by_value
    .group_segment_fixed_size: 2048
    .kernarg_segment_align: 8
    .kernarg_segment_size: 84
    .language:       OpenCL C
    .language_version:
      - 2
      - 0
    .max_flat_workgroup_size: 256
    .name:           _ZL37rocblas_syrkx_herkx_restricted_kernelIifLi16ELi32ELi8ELi1ELin1ELb0ELc67ELc85EKPKfKPfEviT_PT9_S5_lS7_S5_lPT10_S5_li
    .private_segment_fixed_size: 0
    .sgpr_count:     21
    .sgpr_spill_count: 0
    .symbol:         _ZL37rocblas_syrkx_herkx_restricted_kernelIifLi16ELi32ELi8ELi1ELin1ELb0ELc67ELc85EKPKfKPfEviT_PT9_S5_lS7_S5_lPT10_S5_li.kd
    .uniform_work_group_size: 1
    .uses_dynamic_stack: false
    .vgpr_count:     34
    .vgpr_spill_count: 0
    .wavefront_size: 64
  - .args:
      - .offset:         0
        .size:           4
        .value_kind:     by_value
      - .offset:         4
        .size:           4
        .value_kind:     by_value
      - .address_space:  global
        .offset:         8
        .size:           8
        .value_kind:     global_buffer
      - .offset:         16
        .size:           4
        .value_kind:     by_value
      - .offset:         24
        .size:           8
        .value_kind:     by_value
      - .address_space:  global
        .offset:         32
        .size:           8
        .value_kind:     global_buffer
      - .offset:         40
        .size:           4
        .value_kind:     by_value
      - .offset:         48
        .size:           8
        .value_kind:     by_value
      - .address_space:  global
        .offset:         56
        .size:           8
        .value_kind:     global_buffer
      - .offset:         64
        .size:           4
        .value_kind:     by_value
      - .offset:         72
        .size:           8
        .value_kind:     by_value
      - .offset:         80
        .size:           4
        .value_kind:     by_value
    .group_segment_fixed_size: 2048
    .kernarg_segment_align: 8
    .kernarg_segment_size: 84
    .language:       OpenCL C
    .language_version:
      - 2
      - 0
    .max_flat_workgroup_size: 256
    .name:           _ZL37rocblas_syrkx_herkx_restricted_kernelIifLi16ELi32ELi8ELi1ELin1ELb0ELc78ELc85EKPKfKPfEviT_PT9_S5_lS7_S5_lPT10_S5_li
    .private_segment_fixed_size: 0
    .sgpr_count:     24
    .sgpr_spill_count: 0
    .symbol:         _ZL37rocblas_syrkx_herkx_restricted_kernelIifLi16ELi32ELi8ELi1ELin1ELb0ELc78ELc85EKPKfKPfEviT_PT9_S5_lS7_S5_lPT10_S5_li.kd
    .uniform_work_group_size: 1
    .uses_dynamic_stack: false
    .vgpr_count:     36
    .vgpr_spill_count: 0
    .wavefront_size: 64
  - .args:
      - .offset:         0
        .size:           4
        .value_kind:     by_value
      - .offset:         4
        .size:           4
        .value_kind:     by_value
      - .address_space:  global
        .offset:         8
        .size:           8
        .value_kind:     global_buffer
      - .offset:         16
        .size:           4
        .value_kind:     by_value
      - .offset:         24
        .size:           8
        .value_kind:     by_value
      - .address_space:  global
        .offset:         32
        .size:           8
        .value_kind:     global_buffer
      - .offset:         40
        .size:           4
        .value_kind:     by_value
      - .offset:         48
        .size:           8
        .value_kind:     by_value
      - .address_space:  global
        .offset:         56
        .size:           8
        .value_kind:     global_buffer
      - .offset:         64
        .size:           4
        .value_kind:     by_value
      - .offset:         72
        .size:           8
        .value_kind:     by_value
      - .offset:         80
        .size:           4
        .value_kind:     by_value
    .group_segment_fixed_size: 2048
    .kernarg_segment_align: 8
    .kernarg_segment_size: 84
    .language:       OpenCL C
    .language_version:
      - 2
      - 0
    .max_flat_workgroup_size: 256
    .name:           _ZL37rocblas_syrkx_herkx_restricted_kernelIifLi16ELi32ELi8ELi1ELi0ELb0ELc84ELc76EKPKfKPfEviT_PT9_S5_lS7_S5_lPT10_S5_li
    .private_segment_fixed_size: 0
    .sgpr_count:     21
    .sgpr_spill_count: 0
    .symbol:         _ZL37rocblas_syrkx_herkx_restricted_kernelIifLi16ELi32ELi8ELi1ELi0ELb0ELc84ELc76EKPKfKPfEviT_PT9_S5_lS7_S5_lPT10_S5_li.kd
    .uniform_work_group_size: 1
    .uses_dynamic_stack: false
    .vgpr_count:     34
    .vgpr_spill_count: 0
    .wavefront_size: 64
  - .args:
      - .offset:         0
        .size:           4
        .value_kind:     by_value
      - .offset:         4
        .size:           4
        .value_kind:     by_value
      - .address_space:  global
        .offset:         8
        .size:           8
        .value_kind:     global_buffer
      - .offset:         16
        .size:           4
        .value_kind:     by_value
      - .offset:         24
        .size:           8
        .value_kind:     by_value
      - .address_space:  global
        .offset:         32
        .size:           8
        .value_kind:     global_buffer
      - .offset:         40
        .size:           4
        .value_kind:     by_value
      - .offset:         48
        .size:           8
        .value_kind:     by_value
      - .address_space:  global
        .offset:         56
        .size:           8
        .value_kind:     global_buffer
      - .offset:         64
        .size:           4
        .value_kind:     by_value
      - .offset:         72
        .size:           8
        .value_kind:     by_value
      - .offset:         80
        .size:           4
        .value_kind:     by_value
    .group_segment_fixed_size: 2048
    .kernarg_segment_align: 8
    .kernarg_segment_size: 84
    .language:       OpenCL C
    .language_version:
      - 2
      - 0
    .max_flat_workgroup_size: 256
    .name:           _ZL37rocblas_syrkx_herkx_restricted_kernelIifLi16ELi32ELi8ELi1ELi0ELb0ELc67ELc76EKPKfKPfEviT_PT9_S5_lS7_S5_lPT10_S5_li
    .private_segment_fixed_size: 0
    .sgpr_count:     21
    .sgpr_spill_count: 0
    .symbol:         _ZL37rocblas_syrkx_herkx_restricted_kernelIifLi16ELi32ELi8ELi1ELi0ELb0ELc67ELc76EKPKfKPfEviT_PT9_S5_lS7_S5_lPT10_S5_li.kd
    .uniform_work_group_size: 1
    .uses_dynamic_stack: false
    .vgpr_count:     34
    .vgpr_spill_count: 0
    .wavefront_size: 64
  - .args:
      - .offset:         0
        .size:           4
        .value_kind:     by_value
      - .offset:         4
        .size:           4
        .value_kind:     by_value
      - .address_space:  global
        .offset:         8
        .size:           8
        .value_kind:     global_buffer
      - .offset:         16
        .size:           4
        .value_kind:     by_value
      - .offset:         24
        .size:           8
        .value_kind:     by_value
      - .address_space:  global
        .offset:         32
        .size:           8
        .value_kind:     global_buffer
      - .offset:         40
        .size:           4
        .value_kind:     by_value
      - .offset:         48
        .size:           8
        .value_kind:     by_value
      - .address_space:  global
        .offset:         56
        .size:           8
        .value_kind:     global_buffer
      - .offset:         64
        .size:           4
        .value_kind:     by_value
      - .offset:         72
        .size:           8
        .value_kind:     by_value
      - .offset:         80
        .size:           4
        .value_kind:     by_value
    .group_segment_fixed_size: 2048
    .kernarg_segment_align: 8
    .kernarg_segment_size: 84
    .language:       OpenCL C
    .language_version:
      - 2
      - 0
    .max_flat_workgroup_size: 256
    .name:           _ZL37rocblas_syrkx_herkx_restricted_kernelIifLi16ELi32ELi8ELi1ELi0ELb0ELc78ELc76EKPKfKPfEviT_PT9_S5_lS7_S5_lPT10_S5_li
    .private_segment_fixed_size: 0
    .sgpr_count:     24
    .sgpr_spill_count: 0
    .symbol:         _ZL37rocblas_syrkx_herkx_restricted_kernelIifLi16ELi32ELi8ELi1ELi0ELb0ELc78ELc76EKPKfKPfEviT_PT9_S5_lS7_S5_lPT10_S5_li.kd
    .uniform_work_group_size: 1
    .uses_dynamic_stack: false
    .vgpr_count:     36
    .vgpr_spill_count: 0
    .wavefront_size: 64
  - .args:
      - .offset:         0
        .size:           4
        .value_kind:     by_value
      - .offset:         4
        .size:           4
        .value_kind:     by_value
      - .address_space:  global
        .offset:         8
        .size:           8
        .value_kind:     global_buffer
      - .offset:         16
        .size:           4
        .value_kind:     by_value
      - .offset:         24
        .size:           8
        .value_kind:     by_value
      - .address_space:  global
        .offset:         32
        .size:           8
        .value_kind:     global_buffer
      - .offset:         40
        .size:           4
        .value_kind:     by_value
      - .offset:         48
        .size:           8
        .value_kind:     by_value
      - .address_space:  global
        .offset:         56
        .size:           8
        .value_kind:     global_buffer
      - .offset:         64
        .size:           4
        .value_kind:     by_value
      - .offset:         72
        .size:           8
        .value_kind:     by_value
      - .offset:         80
        .size:           4
        .value_kind:     by_value
    .group_segment_fixed_size: 2048
    .kernarg_segment_align: 8
    .kernarg_segment_size: 84
    .language:       OpenCL C
    .language_version:
      - 2
      - 0
    .max_flat_workgroup_size: 256
    .name:           _ZL37rocblas_syrkx_herkx_restricted_kernelIifLi16ELi32ELi8ELi1ELi0ELb0ELc84ELc85EKPKfKPfEviT_PT9_S5_lS7_S5_lPT10_S5_li
    .private_segment_fixed_size: 0
    .sgpr_count:     21
    .sgpr_spill_count: 0
    .symbol:         _ZL37rocblas_syrkx_herkx_restricted_kernelIifLi16ELi32ELi8ELi1ELi0ELb0ELc84ELc85EKPKfKPfEviT_PT9_S5_lS7_S5_lPT10_S5_li.kd
    .uniform_work_group_size: 1
    .uses_dynamic_stack: false
    .vgpr_count:     34
    .vgpr_spill_count: 0
    .wavefront_size: 64
  - .args:
      - .offset:         0
        .size:           4
        .value_kind:     by_value
      - .offset:         4
        .size:           4
        .value_kind:     by_value
      - .address_space:  global
        .offset:         8
        .size:           8
        .value_kind:     global_buffer
      - .offset:         16
        .size:           4
        .value_kind:     by_value
      - .offset:         24
        .size:           8
        .value_kind:     by_value
      - .address_space:  global
        .offset:         32
        .size:           8
        .value_kind:     global_buffer
      - .offset:         40
        .size:           4
        .value_kind:     by_value
      - .offset:         48
        .size:           8
        .value_kind:     by_value
      - .address_space:  global
        .offset:         56
        .size:           8
        .value_kind:     global_buffer
      - .offset:         64
        .size:           4
        .value_kind:     by_value
      - .offset:         72
        .size:           8
        .value_kind:     by_value
      - .offset:         80
        .size:           4
        .value_kind:     by_value
    .group_segment_fixed_size: 2048
    .kernarg_segment_align: 8
    .kernarg_segment_size: 84
    .language:       OpenCL C
    .language_version:
      - 2
      - 0
    .max_flat_workgroup_size: 256
    .name:           _ZL37rocblas_syrkx_herkx_restricted_kernelIifLi16ELi32ELi8ELi1ELi0ELb0ELc67ELc85EKPKfKPfEviT_PT9_S5_lS7_S5_lPT10_S5_li
    .private_segment_fixed_size: 0
    .sgpr_count:     21
    .sgpr_spill_count: 0
    .symbol:         _ZL37rocblas_syrkx_herkx_restricted_kernelIifLi16ELi32ELi8ELi1ELi0ELb0ELc67ELc85EKPKfKPfEviT_PT9_S5_lS7_S5_lPT10_S5_li.kd
    .uniform_work_group_size: 1
    .uses_dynamic_stack: false
    .vgpr_count:     34
    .vgpr_spill_count: 0
    .wavefront_size: 64
  - .args:
      - .offset:         0
        .size:           4
        .value_kind:     by_value
      - .offset:         4
        .size:           4
        .value_kind:     by_value
      - .address_space:  global
        .offset:         8
        .size:           8
        .value_kind:     global_buffer
      - .offset:         16
        .size:           4
        .value_kind:     by_value
      - .offset:         24
        .size:           8
        .value_kind:     by_value
      - .address_space:  global
        .offset:         32
        .size:           8
        .value_kind:     global_buffer
      - .offset:         40
        .size:           4
        .value_kind:     by_value
      - .offset:         48
        .size:           8
        .value_kind:     by_value
      - .address_space:  global
        .offset:         56
        .size:           8
        .value_kind:     global_buffer
      - .offset:         64
        .size:           4
        .value_kind:     by_value
      - .offset:         72
        .size:           8
        .value_kind:     by_value
      - .offset:         80
        .size:           4
        .value_kind:     by_value
    .group_segment_fixed_size: 2048
    .kernarg_segment_align: 8
    .kernarg_segment_size: 84
    .language:       OpenCL C
    .language_version:
      - 2
      - 0
    .max_flat_workgroup_size: 256
    .name:           _ZL37rocblas_syrkx_herkx_restricted_kernelIifLi16ELi32ELi8ELi1ELi0ELb0ELc78ELc85EKPKfKPfEviT_PT9_S5_lS7_S5_lPT10_S5_li
    .private_segment_fixed_size: 0
    .sgpr_count:     24
    .sgpr_spill_count: 0
    .symbol:         _ZL37rocblas_syrkx_herkx_restricted_kernelIifLi16ELi32ELi8ELi1ELi0ELb0ELc78ELc85EKPKfKPfEviT_PT9_S5_lS7_S5_lPT10_S5_li.kd
    .uniform_work_group_size: 1
    .uses_dynamic_stack: false
    .vgpr_count:     36
    .vgpr_spill_count: 0
    .wavefront_size: 64
  - .args:
      - .offset:         0
        .size:           4
        .value_kind:     by_value
      - .offset:         4
        .size:           4
        .value_kind:     by_value
      - .address_space:  global
        .offset:         8
        .size:           8
        .value_kind:     global_buffer
      - .offset:         16
        .size:           4
        .value_kind:     by_value
      - .offset:         24
        .size:           8
        .value_kind:     by_value
      - .address_space:  global
        .offset:         32
        .size:           8
        .value_kind:     global_buffer
      - .offset:         40
        .size:           4
        .value_kind:     by_value
      - .offset:         48
        .size:           8
        .value_kind:     by_value
      - .address_space:  global
        .offset:         56
        .size:           8
        .value_kind:     global_buffer
      - .offset:         64
        .size:           4
        .value_kind:     by_value
      - .offset:         72
        .size:           8
        .value_kind:     by_value
      - .offset:         80
        .size:           4
        .value_kind:     by_value
    .group_segment_fixed_size: 2048
    .kernarg_segment_align: 8
    .kernarg_segment_size: 84
    .language:       OpenCL C
    .language_version:
      - 2
      - 0
    .max_flat_workgroup_size: 256
    .name:           _ZL37rocblas_syrkx_herkx_restricted_kernelIifLi16ELi32ELi8ELin1ELi0ELb0ELc84ELc76EKPKfKPfEviT_PT9_S5_lS7_S5_lPT10_S5_li
    .private_segment_fixed_size: 0
    .sgpr_count:     21
    .sgpr_spill_count: 0
    .symbol:         _ZL37rocblas_syrkx_herkx_restricted_kernelIifLi16ELi32ELi8ELin1ELi0ELb0ELc84ELc76EKPKfKPfEviT_PT9_S5_lS7_S5_lPT10_S5_li.kd
    .uniform_work_group_size: 1
    .uses_dynamic_stack: false
    .vgpr_count:     34
    .vgpr_spill_count: 0
    .wavefront_size: 64
  - .args:
      - .offset:         0
        .size:           4
        .value_kind:     by_value
      - .offset:         4
        .size:           4
        .value_kind:     by_value
      - .address_space:  global
        .offset:         8
        .size:           8
        .value_kind:     global_buffer
      - .offset:         16
        .size:           4
        .value_kind:     by_value
      - .offset:         24
        .size:           8
        .value_kind:     by_value
      - .address_space:  global
        .offset:         32
        .size:           8
        .value_kind:     global_buffer
      - .offset:         40
        .size:           4
        .value_kind:     by_value
      - .offset:         48
        .size:           8
        .value_kind:     by_value
      - .address_space:  global
        .offset:         56
        .size:           8
        .value_kind:     global_buffer
      - .offset:         64
        .size:           4
        .value_kind:     by_value
      - .offset:         72
        .size:           8
        .value_kind:     by_value
      - .offset:         80
        .size:           4
        .value_kind:     by_value
    .group_segment_fixed_size: 2048
    .kernarg_segment_align: 8
    .kernarg_segment_size: 84
    .language:       OpenCL C
    .language_version:
      - 2
      - 0
    .max_flat_workgroup_size: 256
    .name:           _ZL37rocblas_syrkx_herkx_restricted_kernelIifLi16ELi32ELi8ELin1ELi0ELb0ELc67ELc76EKPKfKPfEviT_PT9_S5_lS7_S5_lPT10_S5_li
    .private_segment_fixed_size: 0
    .sgpr_count:     21
    .sgpr_spill_count: 0
    .symbol:         _ZL37rocblas_syrkx_herkx_restricted_kernelIifLi16ELi32ELi8ELin1ELi0ELb0ELc67ELc76EKPKfKPfEviT_PT9_S5_lS7_S5_lPT10_S5_li.kd
    .uniform_work_group_size: 1
    .uses_dynamic_stack: false
    .vgpr_count:     34
    .vgpr_spill_count: 0
    .wavefront_size: 64
  - .args:
      - .offset:         0
        .size:           4
        .value_kind:     by_value
      - .offset:         4
        .size:           4
        .value_kind:     by_value
      - .address_space:  global
        .offset:         8
        .size:           8
        .value_kind:     global_buffer
      - .offset:         16
        .size:           4
        .value_kind:     by_value
      - .offset:         24
        .size:           8
        .value_kind:     by_value
      - .address_space:  global
        .offset:         32
        .size:           8
        .value_kind:     global_buffer
      - .offset:         40
        .size:           4
        .value_kind:     by_value
      - .offset:         48
        .size:           8
        .value_kind:     by_value
      - .address_space:  global
        .offset:         56
        .size:           8
        .value_kind:     global_buffer
      - .offset:         64
        .size:           4
        .value_kind:     by_value
      - .offset:         72
        .size:           8
        .value_kind:     by_value
      - .offset:         80
        .size:           4
        .value_kind:     by_value
    .group_segment_fixed_size: 2048
    .kernarg_segment_align: 8
    .kernarg_segment_size: 84
    .language:       OpenCL C
    .language_version:
      - 2
      - 0
    .max_flat_workgroup_size: 256
    .name:           _ZL37rocblas_syrkx_herkx_restricted_kernelIifLi16ELi32ELi8ELin1ELi0ELb0ELc78ELc76EKPKfKPfEviT_PT9_S5_lS7_S5_lPT10_S5_li
    .private_segment_fixed_size: 0
    .sgpr_count:     24
    .sgpr_spill_count: 0
    .symbol:         _ZL37rocblas_syrkx_herkx_restricted_kernelIifLi16ELi32ELi8ELin1ELi0ELb0ELc78ELc76EKPKfKPfEviT_PT9_S5_lS7_S5_lPT10_S5_li.kd
    .uniform_work_group_size: 1
    .uses_dynamic_stack: false
    .vgpr_count:     36
    .vgpr_spill_count: 0
    .wavefront_size: 64
  - .args:
      - .offset:         0
        .size:           4
        .value_kind:     by_value
      - .offset:         4
        .size:           4
        .value_kind:     by_value
      - .address_space:  global
        .offset:         8
        .size:           8
        .value_kind:     global_buffer
      - .offset:         16
        .size:           4
        .value_kind:     by_value
      - .offset:         24
        .size:           8
        .value_kind:     by_value
      - .address_space:  global
        .offset:         32
        .size:           8
        .value_kind:     global_buffer
      - .offset:         40
        .size:           4
        .value_kind:     by_value
      - .offset:         48
        .size:           8
        .value_kind:     by_value
      - .address_space:  global
        .offset:         56
        .size:           8
        .value_kind:     global_buffer
      - .offset:         64
        .size:           4
        .value_kind:     by_value
      - .offset:         72
        .size:           8
        .value_kind:     by_value
      - .offset:         80
        .size:           4
        .value_kind:     by_value
    .group_segment_fixed_size: 2048
    .kernarg_segment_align: 8
    .kernarg_segment_size: 84
    .language:       OpenCL C
    .language_version:
      - 2
      - 0
    .max_flat_workgroup_size: 256
    .name:           _ZL37rocblas_syrkx_herkx_restricted_kernelIifLi16ELi32ELi8ELin1ELi0ELb0ELc84ELc85EKPKfKPfEviT_PT9_S5_lS7_S5_lPT10_S5_li
    .private_segment_fixed_size: 0
    .sgpr_count:     21
    .sgpr_spill_count: 0
    .symbol:         _ZL37rocblas_syrkx_herkx_restricted_kernelIifLi16ELi32ELi8ELin1ELi0ELb0ELc84ELc85EKPKfKPfEviT_PT9_S5_lS7_S5_lPT10_S5_li.kd
    .uniform_work_group_size: 1
    .uses_dynamic_stack: false
    .vgpr_count:     34
    .vgpr_spill_count: 0
    .wavefront_size: 64
  - .args:
      - .offset:         0
        .size:           4
        .value_kind:     by_value
      - .offset:         4
        .size:           4
        .value_kind:     by_value
      - .address_space:  global
        .offset:         8
        .size:           8
        .value_kind:     global_buffer
      - .offset:         16
        .size:           4
        .value_kind:     by_value
      - .offset:         24
        .size:           8
        .value_kind:     by_value
      - .address_space:  global
        .offset:         32
        .size:           8
        .value_kind:     global_buffer
      - .offset:         40
        .size:           4
        .value_kind:     by_value
      - .offset:         48
        .size:           8
        .value_kind:     by_value
      - .address_space:  global
        .offset:         56
        .size:           8
        .value_kind:     global_buffer
      - .offset:         64
        .size:           4
        .value_kind:     by_value
      - .offset:         72
        .size:           8
        .value_kind:     by_value
      - .offset:         80
        .size:           4
        .value_kind:     by_value
    .group_segment_fixed_size: 2048
    .kernarg_segment_align: 8
    .kernarg_segment_size: 84
    .language:       OpenCL C
    .language_version:
      - 2
      - 0
    .max_flat_workgroup_size: 256
    .name:           _ZL37rocblas_syrkx_herkx_restricted_kernelIifLi16ELi32ELi8ELin1ELi0ELb0ELc67ELc85EKPKfKPfEviT_PT9_S5_lS7_S5_lPT10_S5_li
    .private_segment_fixed_size: 0
    .sgpr_count:     21
    .sgpr_spill_count: 0
    .symbol:         _ZL37rocblas_syrkx_herkx_restricted_kernelIifLi16ELi32ELi8ELin1ELi0ELb0ELc67ELc85EKPKfKPfEviT_PT9_S5_lS7_S5_lPT10_S5_li.kd
    .uniform_work_group_size: 1
    .uses_dynamic_stack: false
    .vgpr_count:     34
    .vgpr_spill_count: 0
    .wavefront_size: 64
  - .args:
      - .offset:         0
        .size:           4
        .value_kind:     by_value
      - .offset:         4
        .size:           4
        .value_kind:     by_value
      - .address_space:  global
        .offset:         8
        .size:           8
        .value_kind:     global_buffer
      - .offset:         16
        .size:           4
        .value_kind:     by_value
      - .offset:         24
        .size:           8
        .value_kind:     by_value
      - .address_space:  global
        .offset:         32
        .size:           8
        .value_kind:     global_buffer
      - .offset:         40
        .size:           4
        .value_kind:     by_value
      - .offset:         48
        .size:           8
        .value_kind:     by_value
      - .address_space:  global
        .offset:         56
        .size:           8
        .value_kind:     global_buffer
      - .offset:         64
        .size:           4
        .value_kind:     by_value
      - .offset:         72
        .size:           8
        .value_kind:     by_value
      - .offset:         80
        .size:           4
        .value_kind:     by_value
    .group_segment_fixed_size: 2048
    .kernarg_segment_align: 8
    .kernarg_segment_size: 84
    .language:       OpenCL C
    .language_version:
      - 2
      - 0
    .max_flat_workgroup_size: 256
    .name:           _ZL37rocblas_syrkx_herkx_restricted_kernelIifLi16ELi32ELi8ELin1ELi0ELb0ELc78ELc85EKPKfKPfEviT_PT9_S5_lS7_S5_lPT10_S5_li
    .private_segment_fixed_size: 0
    .sgpr_count:     24
    .sgpr_spill_count: 0
    .symbol:         _ZL37rocblas_syrkx_herkx_restricted_kernelIifLi16ELi32ELi8ELin1ELi0ELb0ELc78ELc85EKPKfKPfEviT_PT9_S5_lS7_S5_lPT10_S5_li.kd
    .uniform_work_group_size: 1
    .uses_dynamic_stack: false
    .vgpr_count:     36
    .vgpr_spill_count: 0
    .wavefront_size: 64
  - .args:
      - .offset:         0
        .size:           4
        .value_kind:     by_value
      - .offset:         4
        .size:           4
        .value_kind:     by_value
      - .offset:         8
        .size:           4
        .value_kind:     by_value
      - .address_space:  global
        .offset:         16
        .size:           8
        .value_kind:     global_buffer
      - .offset:         24
        .size:           4
        .value_kind:     by_value
      - .offset:         32
        .size:           8
        .value_kind:     by_value
      - .address_space:  global
        .offset:         40
        .size:           8
        .value_kind:     global_buffer
      - .offset:         48
        .size:           4
        .value_kind:     by_value
      - .offset:         56
        .size:           8
        .value_kind:     by_value
      - .offset:         64
        .size:           4
        .value_kind:     by_value
      - .address_space:  global
        .offset:         72
        .size:           8
        .value_kind:     global_buffer
      - .offset:         80
        .size:           4
        .value_kind:     by_value
      - .offset:         88
        .size:           8
        .value_kind:     by_value
      - .offset:         96
        .size:           4
        .value_kind:     by_value
    .group_segment_fixed_size: 2048
    .kernarg_segment_align: 8
    .kernarg_segment_size: 100
    .language:       OpenCL C
    .language_version:
      - 2
      - 0
    .max_flat_workgroup_size: 256
    .name:           _ZL37rocblas_syrkx_herkx_restricted_kernelIifLi16ELi32ELi8ELb1ELb0ELc84ELc76EKPKfKPfEviT_T0_PT8_S5_lS8_S5_lS6_PT9_S5_li
    .private_segment_fixed_size: 0
    .sgpr_count:     22
    .sgpr_spill_count: 0
    .symbol:         _ZL37rocblas_syrkx_herkx_restricted_kernelIifLi16ELi32ELi8ELb1ELb0ELc84ELc76EKPKfKPfEviT_T0_PT8_S5_lS8_S5_lS6_PT9_S5_li.kd
    .uniform_work_group_size: 1
    .uses_dynamic_stack: false
    .vgpr_count:     34
    .vgpr_spill_count: 0
    .wavefront_size: 64
  - .args:
      - .offset:         0
        .size:           4
        .value_kind:     by_value
      - .offset:         4
        .size:           4
        .value_kind:     by_value
      - .offset:         8
        .size:           4
        .value_kind:     by_value
      - .address_space:  global
        .offset:         16
        .size:           8
        .value_kind:     global_buffer
      - .offset:         24
        .size:           4
        .value_kind:     by_value
      - .offset:         32
        .size:           8
        .value_kind:     by_value
      - .address_space:  global
        .offset:         40
        .size:           8
        .value_kind:     global_buffer
      - .offset:         48
        .size:           4
        .value_kind:     by_value
      - .offset:         56
        .size:           8
        .value_kind:     by_value
      - .offset:         64
        .size:           4
        .value_kind:     by_value
      - .address_space:  global
        .offset:         72
        .size:           8
        .value_kind:     global_buffer
      - .offset:         80
        .size:           4
        .value_kind:     by_value
      - .offset:         88
        .size:           8
        .value_kind:     by_value
      - .offset:         96
        .size:           4
        .value_kind:     by_value
    .group_segment_fixed_size: 2048
    .kernarg_segment_align: 8
    .kernarg_segment_size: 100
    .language:       OpenCL C
    .language_version:
      - 2
      - 0
    .max_flat_workgroup_size: 256
    .name:           _ZL37rocblas_syrkx_herkx_restricted_kernelIifLi16ELi32ELi8ELb1ELb0ELc67ELc76EKPKfKPfEviT_T0_PT8_S5_lS8_S5_lS6_PT9_S5_li
    .private_segment_fixed_size: 0
    .sgpr_count:     22
    .sgpr_spill_count: 0
    .symbol:         _ZL37rocblas_syrkx_herkx_restricted_kernelIifLi16ELi32ELi8ELb1ELb0ELc67ELc76EKPKfKPfEviT_T0_PT8_S5_lS8_S5_lS6_PT9_S5_li.kd
    .uniform_work_group_size: 1
    .uses_dynamic_stack: false
    .vgpr_count:     34
    .vgpr_spill_count: 0
    .wavefront_size: 64
  - .args:
      - .offset:         0
        .size:           4
        .value_kind:     by_value
      - .offset:         4
        .size:           4
        .value_kind:     by_value
      - .offset:         8
        .size:           4
        .value_kind:     by_value
      - .address_space:  global
        .offset:         16
        .size:           8
        .value_kind:     global_buffer
      - .offset:         24
        .size:           4
        .value_kind:     by_value
      - .offset:         32
        .size:           8
        .value_kind:     by_value
      - .address_space:  global
        .offset:         40
        .size:           8
        .value_kind:     global_buffer
      - .offset:         48
        .size:           4
        .value_kind:     by_value
      - .offset:         56
        .size:           8
        .value_kind:     by_value
      - .offset:         64
        .size:           4
        .value_kind:     by_value
      - .address_space:  global
        .offset:         72
        .size:           8
        .value_kind:     global_buffer
      - .offset:         80
        .size:           4
        .value_kind:     by_value
      - .offset:         88
        .size:           8
        .value_kind:     by_value
      - .offset:         96
        .size:           4
        .value_kind:     by_value
    .group_segment_fixed_size: 2048
    .kernarg_segment_align: 8
    .kernarg_segment_size: 100
    .language:       OpenCL C
    .language_version:
      - 2
      - 0
    .max_flat_workgroup_size: 256
    .name:           _ZL37rocblas_syrkx_herkx_restricted_kernelIifLi16ELi32ELi8ELb1ELb0ELc78ELc76EKPKfKPfEviT_T0_PT8_S5_lS8_S5_lS6_PT9_S5_li
    .private_segment_fixed_size: 0
    .sgpr_count:     26
    .sgpr_spill_count: 0
    .symbol:         _ZL37rocblas_syrkx_herkx_restricted_kernelIifLi16ELi32ELi8ELb1ELb0ELc78ELc76EKPKfKPfEviT_T0_PT8_S5_lS8_S5_lS6_PT9_S5_li.kd
    .uniform_work_group_size: 1
    .uses_dynamic_stack: false
    .vgpr_count:     36
    .vgpr_spill_count: 0
    .wavefront_size: 64
  - .args:
      - .offset:         0
        .size:           4
        .value_kind:     by_value
      - .offset:         4
        .size:           4
        .value_kind:     by_value
      - .offset:         8
        .size:           4
        .value_kind:     by_value
      - .address_space:  global
        .offset:         16
        .size:           8
        .value_kind:     global_buffer
      - .offset:         24
        .size:           4
        .value_kind:     by_value
      - .offset:         32
        .size:           8
        .value_kind:     by_value
      - .address_space:  global
        .offset:         40
        .size:           8
        .value_kind:     global_buffer
      - .offset:         48
        .size:           4
        .value_kind:     by_value
      - .offset:         56
        .size:           8
        .value_kind:     by_value
      - .offset:         64
        .size:           4
        .value_kind:     by_value
      - .address_space:  global
        .offset:         72
        .size:           8
        .value_kind:     global_buffer
      - .offset:         80
        .size:           4
        .value_kind:     by_value
      - .offset:         88
        .size:           8
        .value_kind:     by_value
      - .offset:         96
        .size:           4
        .value_kind:     by_value
    .group_segment_fixed_size: 2048
    .kernarg_segment_align: 8
    .kernarg_segment_size: 100
    .language:       OpenCL C
    .language_version:
      - 2
      - 0
    .max_flat_workgroup_size: 256
    .name:           _ZL37rocblas_syrkx_herkx_restricted_kernelIifLi16ELi32ELi8ELb1ELb0ELc84ELc85EKPKfKPfEviT_T0_PT8_S5_lS8_S5_lS6_PT9_S5_li
    .private_segment_fixed_size: 0
    .sgpr_count:     22
    .sgpr_spill_count: 0
    .symbol:         _ZL37rocblas_syrkx_herkx_restricted_kernelIifLi16ELi32ELi8ELb1ELb0ELc84ELc85EKPKfKPfEviT_T0_PT8_S5_lS8_S5_lS6_PT9_S5_li.kd
    .uniform_work_group_size: 1
    .uses_dynamic_stack: false
    .vgpr_count:     34
    .vgpr_spill_count: 0
    .wavefront_size: 64
  - .args:
      - .offset:         0
        .size:           4
        .value_kind:     by_value
      - .offset:         4
        .size:           4
        .value_kind:     by_value
      - .offset:         8
        .size:           4
        .value_kind:     by_value
      - .address_space:  global
        .offset:         16
        .size:           8
        .value_kind:     global_buffer
      - .offset:         24
        .size:           4
        .value_kind:     by_value
      - .offset:         32
        .size:           8
        .value_kind:     by_value
      - .address_space:  global
        .offset:         40
        .size:           8
        .value_kind:     global_buffer
      - .offset:         48
        .size:           4
        .value_kind:     by_value
      - .offset:         56
        .size:           8
        .value_kind:     by_value
      - .offset:         64
        .size:           4
        .value_kind:     by_value
      - .address_space:  global
        .offset:         72
        .size:           8
        .value_kind:     global_buffer
      - .offset:         80
        .size:           4
        .value_kind:     by_value
      - .offset:         88
        .size:           8
        .value_kind:     by_value
      - .offset:         96
        .size:           4
        .value_kind:     by_value
    .group_segment_fixed_size: 2048
    .kernarg_segment_align: 8
    .kernarg_segment_size: 100
    .language:       OpenCL C
    .language_version:
      - 2
      - 0
    .max_flat_workgroup_size: 256
    .name:           _ZL37rocblas_syrkx_herkx_restricted_kernelIifLi16ELi32ELi8ELb1ELb0ELc67ELc85EKPKfKPfEviT_T0_PT8_S5_lS8_S5_lS6_PT9_S5_li
    .private_segment_fixed_size: 0
    .sgpr_count:     22
    .sgpr_spill_count: 0
    .symbol:         _ZL37rocblas_syrkx_herkx_restricted_kernelIifLi16ELi32ELi8ELb1ELb0ELc67ELc85EKPKfKPfEviT_T0_PT8_S5_lS8_S5_lS6_PT9_S5_li.kd
    .uniform_work_group_size: 1
    .uses_dynamic_stack: false
    .vgpr_count:     34
    .vgpr_spill_count: 0
    .wavefront_size: 64
  - .args:
      - .offset:         0
        .size:           4
        .value_kind:     by_value
      - .offset:         4
        .size:           4
        .value_kind:     by_value
      - .offset:         8
        .size:           4
        .value_kind:     by_value
      - .address_space:  global
        .offset:         16
        .size:           8
        .value_kind:     global_buffer
      - .offset:         24
        .size:           4
        .value_kind:     by_value
      - .offset:         32
        .size:           8
        .value_kind:     by_value
      - .address_space:  global
        .offset:         40
        .size:           8
        .value_kind:     global_buffer
      - .offset:         48
        .size:           4
        .value_kind:     by_value
      - .offset:         56
        .size:           8
        .value_kind:     by_value
      - .offset:         64
        .size:           4
        .value_kind:     by_value
      - .address_space:  global
        .offset:         72
        .size:           8
        .value_kind:     global_buffer
      - .offset:         80
        .size:           4
        .value_kind:     by_value
      - .offset:         88
        .size:           8
        .value_kind:     by_value
      - .offset:         96
        .size:           4
        .value_kind:     by_value
    .group_segment_fixed_size: 2048
    .kernarg_segment_align: 8
    .kernarg_segment_size: 100
    .language:       OpenCL C
    .language_version:
      - 2
      - 0
    .max_flat_workgroup_size: 256
    .name:           _ZL37rocblas_syrkx_herkx_restricted_kernelIifLi16ELi32ELi8ELb1ELb0ELc78ELc85EKPKfKPfEviT_T0_PT8_S5_lS8_S5_lS6_PT9_S5_li
    .private_segment_fixed_size: 0
    .sgpr_count:     26
    .sgpr_spill_count: 0
    .symbol:         _ZL37rocblas_syrkx_herkx_restricted_kernelIifLi16ELi32ELi8ELb1ELb0ELc78ELc85EKPKfKPfEviT_T0_PT8_S5_lS8_S5_lS6_PT9_S5_li.kd
    .uniform_work_group_size: 1
    .uses_dynamic_stack: false
    .vgpr_count:     36
    .vgpr_spill_count: 0
    .wavefront_size: 64
  - .args:
      - .offset:         0
        .size:           4
        .value_kind:     by_value
      - .offset:         4
        .size:           4
        .value_kind:     by_value
      - .offset:         8
        .size:           4
        .value_kind:     by_value
      - .address_space:  global
        .offset:         16
        .size:           8
        .value_kind:     global_buffer
      - .offset:         24
        .size:           4
        .value_kind:     by_value
      - .offset:         32
        .size:           8
        .value_kind:     by_value
      - .address_space:  global
        .offset:         40
        .size:           8
        .value_kind:     global_buffer
      - .offset:         48
        .size:           4
        .value_kind:     by_value
      - .offset:         56
        .size:           8
        .value_kind:     by_value
      - .offset:         64
        .size:           4
        .value_kind:     by_value
      - .address_space:  global
        .offset:         72
        .size:           8
        .value_kind:     global_buffer
      - .offset:         80
        .size:           4
        .value_kind:     by_value
      - .offset:         88
        .size:           8
        .value_kind:     by_value
      - .offset:         96
        .size:           4
        .value_kind:     by_value
    .group_segment_fixed_size: 2048
    .kernarg_segment_align: 8
    .kernarg_segment_size: 100
    .language:       OpenCL C
    .language_version:
      - 2
      - 0
    .max_flat_workgroup_size: 256
    .name:           _ZL37rocblas_syrkx_herkx_restricted_kernelIifLi16ELi32ELi8ELb0ELb0ELc84ELc76EKPKfKPfEviT_T0_PT8_S5_lS8_S5_lS6_PT9_S5_li
    .private_segment_fixed_size: 0
    .sgpr_count:     22
    .sgpr_spill_count: 0
    .symbol:         _ZL37rocblas_syrkx_herkx_restricted_kernelIifLi16ELi32ELi8ELb0ELb0ELc84ELc76EKPKfKPfEviT_T0_PT8_S5_lS8_S5_lS6_PT9_S5_li.kd
    .uniform_work_group_size: 1
    .uses_dynamic_stack: false
    .vgpr_count:     34
    .vgpr_spill_count: 0
    .wavefront_size: 64
  - .args:
      - .offset:         0
        .size:           4
        .value_kind:     by_value
      - .offset:         4
        .size:           4
        .value_kind:     by_value
      - .offset:         8
        .size:           4
        .value_kind:     by_value
      - .address_space:  global
        .offset:         16
        .size:           8
        .value_kind:     global_buffer
      - .offset:         24
        .size:           4
        .value_kind:     by_value
      - .offset:         32
        .size:           8
        .value_kind:     by_value
      - .address_space:  global
        .offset:         40
        .size:           8
        .value_kind:     global_buffer
      - .offset:         48
        .size:           4
        .value_kind:     by_value
      - .offset:         56
        .size:           8
        .value_kind:     by_value
      - .offset:         64
        .size:           4
        .value_kind:     by_value
      - .address_space:  global
        .offset:         72
        .size:           8
        .value_kind:     global_buffer
      - .offset:         80
        .size:           4
        .value_kind:     by_value
      - .offset:         88
        .size:           8
        .value_kind:     by_value
      - .offset:         96
        .size:           4
        .value_kind:     by_value
    .group_segment_fixed_size: 2048
    .kernarg_segment_align: 8
    .kernarg_segment_size: 100
    .language:       OpenCL C
    .language_version:
      - 2
      - 0
    .max_flat_workgroup_size: 256
    .name:           _ZL37rocblas_syrkx_herkx_restricted_kernelIifLi16ELi32ELi8ELb0ELb0ELc67ELc76EKPKfKPfEviT_T0_PT8_S5_lS8_S5_lS6_PT9_S5_li
    .private_segment_fixed_size: 0
    .sgpr_count:     22
    .sgpr_spill_count: 0
    .symbol:         _ZL37rocblas_syrkx_herkx_restricted_kernelIifLi16ELi32ELi8ELb0ELb0ELc67ELc76EKPKfKPfEviT_T0_PT8_S5_lS8_S5_lS6_PT9_S5_li.kd
    .uniform_work_group_size: 1
    .uses_dynamic_stack: false
    .vgpr_count:     34
    .vgpr_spill_count: 0
    .wavefront_size: 64
  - .args:
      - .offset:         0
        .size:           4
        .value_kind:     by_value
      - .offset:         4
        .size:           4
        .value_kind:     by_value
      - .offset:         8
        .size:           4
        .value_kind:     by_value
      - .address_space:  global
        .offset:         16
        .size:           8
        .value_kind:     global_buffer
      - .offset:         24
        .size:           4
        .value_kind:     by_value
      - .offset:         32
        .size:           8
        .value_kind:     by_value
      - .address_space:  global
        .offset:         40
        .size:           8
        .value_kind:     global_buffer
      - .offset:         48
        .size:           4
        .value_kind:     by_value
      - .offset:         56
        .size:           8
        .value_kind:     by_value
      - .offset:         64
        .size:           4
        .value_kind:     by_value
      - .address_space:  global
        .offset:         72
        .size:           8
        .value_kind:     global_buffer
      - .offset:         80
        .size:           4
        .value_kind:     by_value
      - .offset:         88
        .size:           8
        .value_kind:     by_value
      - .offset:         96
        .size:           4
        .value_kind:     by_value
    .group_segment_fixed_size: 2048
    .kernarg_segment_align: 8
    .kernarg_segment_size: 100
    .language:       OpenCL C
    .language_version:
      - 2
      - 0
    .max_flat_workgroup_size: 256
    .name:           _ZL37rocblas_syrkx_herkx_restricted_kernelIifLi16ELi32ELi8ELb0ELb0ELc78ELc76EKPKfKPfEviT_T0_PT8_S5_lS8_S5_lS6_PT9_S5_li
    .private_segment_fixed_size: 0
    .sgpr_count:     26
    .sgpr_spill_count: 0
    .symbol:         _ZL37rocblas_syrkx_herkx_restricted_kernelIifLi16ELi32ELi8ELb0ELb0ELc78ELc76EKPKfKPfEviT_T0_PT8_S5_lS8_S5_lS6_PT9_S5_li.kd
    .uniform_work_group_size: 1
    .uses_dynamic_stack: false
    .vgpr_count:     36
    .vgpr_spill_count: 0
    .wavefront_size: 64
  - .args:
      - .offset:         0
        .size:           4
        .value_kind:     by_value
      - .offset:         4
        .size:           4
        .value_kind:     by_value
      - .offset:         8
        .size:           4
        .value_kind:     by_value
      - .address_space:  global
        .offset:         16
        .size:           8
        .value_kind:     global_buffer
      - .offset:         24
        .size:           4
        .value_kind:     by_value
      - .offset:         32
        .size:           8
        .value_kind:     by_value
      - .address_space:  global
        .offset:         40
        .size:           8
        .value_kind:     global_buffer
      - .offset:         48
        .size:           4
        .value_kind:     by_value
      - .offset:         56
        .size:           8
        .value_kind:     by_value
      - .offset:         64
        .size:           4
        .value_kind:     by_value
      - .address_space:  global
        .offset:         72
        .size:           8
        .value_kind:     global_buffer
      - .offset:         80
        .size:           4
        .value_kind:     by_value
      - .offset:         88
        .size:           8
        .value_kind:     by_value
      - .offset:         96
        .size:           4
        .value_kind:     by_value
    .group_segment_fixed_size: 2048
    .kernarg_segment_align: 8
    .kernarg_segment_size: 100
    .language:       OpenCL C
    .language_version:
      - 2
      - 0
    .max_flat_workgroup_size: 256
    .name:           _ZL37rocblas_syrkx_herkx_restricted_kernelIifLi16ELi32ELi8ELb0ELb0ELc84ELc85EKPKfKPfEviT_T0_PT8_S5_lS8_S5_lS6_PT9_S5_li
    .private_segment_fixed_size: 0
    .sgpr_count:     22
    .sgpr_spill_count: 0
    .symbol:         _ZL37rocblas_syrkx_herkx_restricted_kernelIifLi16ELi32ELi8ELb0ELb0ELc84ELc85EKPKfKPfEviT_T0_PT8_S5_lS8_S5_lS6_PT9_S5_li.kd
    .uniform_work_group_size: 1
    .uses_dynamic_stack: false
    .vgpr_count:     34
    .vgpr_spill_count: 0
    .wavefront_size: 64
  - .args:
      - .offset:         0
        .size:           4
        .value_kind:     by_value
      - .offset:         4
        .size:           4
        .value_kind:     by_value
      - .offset:         8
        .size:           4
        .value_kind:     by_value
      - .address_space:  global
        .offset:         16
        .size:           8
        .value_kind:     global_buffer
      - .offset:         24
        .size:           4
        .value_kind:     by_value
      - .offset:         32
        .size:           8
        .value_kind:     by_value
      - .address_space:  global
        .offset:         40
        .size:           8
        .value_kind:     global_buffer
      - .offset:         48
        .size:           4
        .value_kind:     by_value
      - .offset:         56
        .size:           8
        .value_kind:     by_value
      - .offset:         64
        .size:           4
        .value_kind:     by_value
      - .address_space:  global
        .offset:         72
        .size:           8
        .value_kind:     global_buffer
      - .offset:         80
        .size:           4
        .value_kind:     by_value
      - .offset:         88
        .size:           8
        .value_kind:     by_value
      - .offset:         96
        .size:           4
        .value_kind:     by_value
    .group_segment_fixed_size: 2048
    .kernarg_segment_align: 8
    .kernarg_segment_size: 100
    .language:       OpenCL C
    .language_version:
      - 2
      - 0
    .max_flat_workgroup_size: 256
    .name:           _ZL37rocblas_syrkx_herkx_restricted_kernelIifLi16ELi32ELi8ELb0ELb0ELc67ELc85EKPKfKPfEviT_T0_PT8_S5_lS8_S5_lS6_PT9_S5_li
    .private_segment_fixed_size: 0
    .sgpr_count:     22
    .sgpr_spill_count: 0
    .symbol:         _ZL37rocblas_syrkx_herkx_restricted_kernelIifLi16ELi32ELi8ELb0ELb0ELc67ELc85EKPKfKPfEviT_T0_PT8_S5_lS8_S5_lS6_PT9_S5_li.kd
    .uniform_work_group_size: 1
    .uses_dynamic_stack: false
    .vgpr_count:     34
    .vgpr_spill_count: 0
    .wavefront_size: 64
  - .args:
      - .offset:         0
        .size:           4
        .value_kind:     by_value
      - .offset:         4
        .size:           4
        .value_kind:     by_value
      - .offset:         8
        .size:           4
        .value_kind:     by_value
      - .address_space:  global
        .offset:         16
        .size:           8
        .value_kind:     global_buffer
      - .offset:         24
        .size:           4
        .value_kind:     by_value
      - .offset:         32
        .size:           8
        .value_kind:     by_value
      - .address_space:  global
        .offset:         40
        .size:           8
        .value_kind:     global_buffer
      - .offset:         48
        .size:           4
        .value_kind:     by_value
      - .offset:         56
        .size:           8
        .value_kind:     by_value
      - .offset:         64
        .size:           4
        .value_kind:     by_value
      - .address_space:  global
        .offset:         72
        .size:           8
        .value_kind:     global_buffer
      - .offset:         80
        .size:           4
        .value_kind:     by_value
      - .offset:         88
        .size:           8
        .value_kind:     by_value
      - .offset:         96
        .size:           4
        .value_kind:     by_value
    .group_segment_fixed_size: 2048
    .kernarg_segment_align: 8
    .kernarg_segment_size: 100
    .language:       OpenCL C
    .language_version:
      - 2
      - 0
    .max_flat_workgroup_size: 256
    .name:           _ZL37rocblas_syrkx_herkx_restricted_kernelIifLi16ELi32ELi8ELb0ELb0ELc78ELc85EKPKfKPfEviT_T0_PT8_S5_lS8_S5_lS6_PT9_S5_li
    .private_segment_fixed_size: 0
    .sgpr_count:     26
    .sgpr_spill_count: 0
    .symbol:         _ZL37rocblas_syrkx_herkx_restricted_kernelIifLi16ELi32ELi8ELb0ELb0ELc78ELc85EKPKfKPfEviT_T0_PT8_S5_lS8_S5_lS6_PT9_S5_li.kd
    .uniform_work_group_size: 1
    .uses_dynamic_stack: false
    .vgpr_count:     36
    .vgpr_spill_count: 0
    .wavefront_size: 64
  - .args:
      - .offset:         0
        .size:           4
        .value_kind:     by_value
      - .offset:         4
        .size:           4
        .value_kind:     by_value
      - .offset:         8
        .size:           4
        .value_kind:     by_value
      - .address_space:  global
        .offset:         16
        .size:           8
        .value_kind:     global_buffer
      - .offset:         24
        .size:           4
        .value_kind:     by_value
      - .offset:         32
        .size:           8
        .value_kind:     by_value
      - .address_space:  global
        .offset:         40
        .size:           8
        .value_kind:     global_buffer
      - .offset:         48
        .size:           4
        .value_kind:     by_value
      - .offset:         56
        .size:           8
        .value_kind:     by_value
      - .offset:         64
        .size:           4
        .value_kind:     by_value
      - .address_space:  global
        .offset:         72
        .size:           8
        .value_kind:     global_buffer
      - .offset:         80
        .size:           4
        .value_kind:     by_value
      - .offset:         88
        .size:           8
        .value_kind:     by_value
      - .offset:         96
        .size:           4
        .value_kind:     by_value
    .group_segment_fixed_size: 2048
    .kernarg_segment_align: 8
    .kernarg_segment_size: 100
    .language:       OpenCL C
    .language_version:
      - 2
      - 0
    .max_flat_workgroup_size: 256
    .name:           _ZL41rocblas_syrkx_herkx_small_restrict_kernelIifLi16ELb1ELb0ELc84ELc76EKPKfKPfEviT_T0_PT6_S5_lS8_S5_lS6_PT7_S5_li
    .private_segment_fixed_size: 0
    .sgpr_count:     19
    .sgpr_spill_count: 0
    .symbol:         _ZL41rocblas_syrkx_herkx_small_restrict_kernelIifLi16ELb1ELb0ELc84ELc76EKPKfKPfEviT_T0_PT6_S5_lS8_S5_lS6_PT7_S5_li.kd
    .uniform_work_group_size: 1
    .uses_dynamic_stack: false
    .vgpr_count:     21
    .vgpr_spill_count: 0
    .wavefront_size: 64
  - .args:
      - .offset:         0
        .size:           4
        .value_kind:     by_value
      - .offset:         4
        .size:           4
        .value_kind:     by_value
      - .offset:         8
        .size:           4
        .value_kind:     by_value
      - .address_space:  global
        .offset:         16
        .size:           8
        .value_kind:     global_buffer
      - .offset:         24
        .size:           4
        .value_kind:     by_value
      - .offset:         32
        .size:           8
        .value_kind:     by_value
      - .address_space:  global
        .offset:         40
        .size:           8
        .value_kind:     global_buffer
      - .offset:         48
        .size:           4
        .value_kind:     by_value
      - .offset:         56
        .size:           8
        .value_kind:     by_value
      - .offset:         64
        .size:           4
        .value_kind:     by_value
      - .address_space:  global
        .offset:         72
        .size:           8
        .value_kind:     global_buffer
      - .offset:         80
        .size:           4
        .value_kind:     by_value
      - .offset:         88
        .size:           8
        .value_kind:     by_value
      - .offset:         96
        .size:           4
        .value_kind:     by_value
    .group_segment_fixed_size: 2048
    .kernarg_segment_align: 8
    .kernarg_segment_size: 100
    .language:       OpenCL C
    .language_version:
      - 2
      - 0
    .max_flat_workgroup_size: 256
    .name:           _ZL41rocblas_syrkx_herkx_small_restrict_kernelIifLi16ELb1ELb0ELc67ELc76EKPKfKPfEviT_T0_PT6_S5_lS8_S5_lS6_PT7_S5_li
    .private_segment_fixed_size: 0
    .sgpr_count:     19
    .sgpr_spill_count: 0
    .symbol:         _ZL41rocblas_syrkx_herkx_small_restrict_kernelIifLi16ELb1ELb0ELc67ELc76EKPKfKPfEviT_T0_PT6_S5_lS8_S5_lS6_PT7_S5_li.kd
    .uniform_work_group_size: 1
    .uses_dynamic_stack: false
    .vgpr_count:     21
    .vgpr_spill_count: 0
    .wavefront_size: 64
  - .args:
      - .offset:         0
        .size:           4
        .value_kind:     by_value
      - .offset:         4
        .size:           4
        .value_kind:     by_value
      - .offset:         8
        .size:           4
        .value_kind:     by_value
      - .address_space:  global
        .offset:         16
        .size:           8
        .value_kind:     global_buffer
      - .offset:         24
        .size:           4
        .value_kind:     by_value
      - .offset:         32
        .size:           8
        .value_kind:     by_value
      - .address_space:  global
        .offset:         40
        .size:           8
        .value_kind:     global_buffer
      - .offset:         48
        .size:           4
        .value_kind:     by_value
      - .offset:         56
        .size:           8
        .value_kind:     by_value
      - .offset:         64
        .size:           4
        .value_kind:     by_value
      - .address_space:  global
        .offset:         72
        .size:           8
        .value_kind:     global_buffer
      - .offset:         80
        .size:           4
        .value_kind:     by_value
      - .offset:         88
        .size:           8
        .value_kind:     by_value
      - .offset:         96
        .size:           4
        .value_kind:     by_value
    .group_segment_fixed_size: 2048
    .kernarg_segment_align: 8
    .kernarg_segment_size: 100
    .language:       OpenCL C
    .language_version:
      - 2
      - 0
    .max_flat_workgroup_size: 256
    .name:           _ZL41rocblas_syrkx_herkx_small_restrict_kernelIifLi16ELb1ELb0ELc78ELc76EKPKfKPfEviT_T0_PT6_S5_lS8_S5_lS6_PT7_S5_li
    .private_segment_fixed_size: 0
    .sgpr_count:     22
    .sgpr_spill_count: 0
    .symbol:         _ZL41rocblas_syrkx_herkx_small_restrict_kernelIifLi16ELb1ELb0ELc78ELc76EKPKfKPfEviT_T0_PT6_S5_lS8_S5_lS6_PT7_S5_li.kd
    .uniform_work_group_size: 1
    .uses_dynamic_stack: false
    .vgpr_count:     23
    .vgpr_spill_count: 0
    .wavefront_size: 64
  - .args:
      - .offset:         0
        .size:           4
        .value_kind:     by_value
      - .offset:         4
        .size:           4
        .value_kind:     by_value
      - .offset:         8
        .size:           4
        .value_kind:     by_value
      - .address_space:  global
        .offset:         16
        .size:           8
        .value_kind:     global_buffer
      - .offset:         24
        .size:           4
        .value_kind:     by_value
      - .offset:         32
        .size:           8
        .value_kind:     by_value
      - .address_space:  global
        .offset:         40
        .size:           8
        .value_kind:     global_buffer
      - .offset:         48
        .size:           4
        .value_kind:     by_value
      - .offset:         56
        .size:           8
        .value_kind:     by_value
      - .offset:         64
        .size:           4
        .value_kind:     by_value
      - .address_space:  global
        .offset:         72
        .size:           8
        .value_kind:     global_buffer
      - .offset:         80
        .size:           4
        .value_kind:     by_value
      - .offset:         88
        .size:           8
        .value_kind:     by_value
      - .offset:         96
        .size:           4
        .value_kind:     by_value
    .group_segment_fixed_size: 2048
    .kernarg_segment_align: 8
    .kernarg_segment_size: 100
    .language:       OpenCL C
    .language_version:
      - 2
      - 0
    .max_flat_workgroup_size: 256
    .name:           _ZL41rocblas_syrkx_herkx_small_restrict_kernelIifLi16ELb1ELb0ELc84ELc85EKPKfKPfEviT_T0_PT6_S5_lS8_S5_lS6_PT7_S5_li
    .private_segment_fixed_size: 0
    .sgpr_count:     19
    .sgpr_spill_count: 0
    .symbol:         _ZL41rocblas_syrkx_herkx_small_restrict_kernelIifLi16ELb1ELb0ELc84ELc85EKPKfKPfEviT_T0_PT6_S5_lS8_S5_lS6_PT7_S5_li.kd
    .uniform_work_group_size: 1
    .uses_dynamic_stack: false
    .vgpr_count:     21
    .vgpr_spill_count: 0
    .wavefront_size: 64
  - .args:
      - .offset:         0
        .size:           4
        .value_kind:     by_value
      - .offset:         4
        .size:           4
        .value_kind:     by_value
      - .offset:         8
        .size:           4
        .value_kind:     by_value
      - .address_space:  global
        .offset:         16
        .size:           8
        .value_kind:     global_buffer
      - .offset:         24
        .size:           4
        .value_kind:     by_value
      - .offset:         32
        .size:           8
        .value_kind:     by_value
      - .address_space:  global
        .offset:         40
        .size:           8
        .value_kind:     global_buffer
      - .offset:         48
        .size:           4
        .value_kind:     by_value
      - .offset:         56
        .size:           8
        .value_kind:     by_value
      - .offset:         64
        .size:           4
        .value_kind:     by_value
      - .address_space:  global
        .offset:         72
        .size:           8
        .value_kind:     global_buffer
      - .offset:         80
        .size:           4
        .value_kind:     by_value
      - .offset:         88
        .size:           8
        .value_kind:     by_value
      - .offset:         96
        .size:           4
        .value_kind:     by_value
    .group_segment_fixed_size: 2048
    .kernarg_segment_align: 8
    .kernarg_segment_size: 100
    .language:       OpenCL C
    .language_version:
      - 2
      - 0
    .max_flat_workgroup_size: 256
    .name:           _ZL41rocblas_syrkx_herkx_small_restrict_kernelIifLi16ELb1ELb0ELc67ELc85EKPKfKPfEviT_T0_PT6_S5_lS8_S5_lS6_PT7_S5_li
    .private_segment_fixed_size: 0
    .sgpr_count:     19
    .sgpr_spill_count: 0
    .symbol:         _ZL41rocblas_syrkx_herkx_small_restrict_kernelIifLi16ELb1ELb0ELc67ELc85EKPKfKPfEviT_T0_PT6_S5_lS8_S5_lS6_PT7_S5_li.kd
    .uniform_work_group_size: 1
    .uses_dynamic_stack: false
    .vgpr_count:     21
    .vgpr_spill_count: 0
    .wavefront_size: 64
  - .args:
      - .offset:         0
        .size:           4
        .value_kind:     by_value
      - .offset:         4
        .size:           4
        .value_kind:     by_value
      - .offset:         8
        .size:           4
        .value_kind:     by_value
      - .address_space:  global
        .offset:         16
        .size:           8
        .value_kind:     global_buffer
      - .offset:         24
        .size:           4
        .value_kind:     by_value
      - .offset:         32
        .size:           8
        .value_kind:     by_value
      - .address_space:  global
        .offset:         40
        .size:           8
        .value_kind:     global_buffer
      - .offset:         48
        .size:           4
        .value_kind:     by_value
      - .offset:         56
        .size:           8
        .value_kind:     by_value
      - .offset:         64
        .size:           4
        .value_kind:     by_value
      - .address_space:  global
        .offset:         72
        .size:           8
        .value_kind:     global_buffer
      - .offset:         80
        .size:           4
        .value_kind:     by_value
      - .offset:         88
        .size:           8
        .value_kind:     by_value
      - .offset:         96
        .size:           4
        .value_kind:     by_value
    .group_segment_fixed_size: 2048
    .kernarg_segment_align: 8
    .kernarg_segment_size: 100
    .language:       OpenCL C
    .language_version:
      - 2
      - 0
    .max_flat_workgroup_size: 256
    .name:           _ZL41rocblas_syrkx_herkx_small_restrict_kernelIifLi16ELb1ELb0ELc78ELc85EKPKfKPfEviT_T0_PT6_S5_lS8_S5_lS6_PT7_S5_li
    .private_segment_fixed_size: 0
    .sgpr_count:     22
    .sgpr_spill_count: 0
    .symbol:         _ZL41rocblas_syrkx_herkx_small_restrict_kernelIifLi16ELb1ELb0ELc78ELc85EKPKfKPfEviT_T0_PT6_S5_lS8_S5_lS6_PT7_S5_li.kd
    .uniform_work_group_size: 1
    .uses_dynamic_stack: false
    .vgpr_count:     23
    .vgpr_spill_count: 0
    .wavefront_size: 64
  - .args:
      - .offset:         0
        .size:           4
        .value_kind:     by_value
      - .offset:         4
        .size:           4
        .value_kind:     by_value
      - .offset:         8
        .size:           4
        .value_kind:     by_value
      - .address_space:  global
        .offset:         16
        .size:           8
        .value_kind:     global_buffer
      - .offset:         24
        .size:           4
        .value_kind:     by_value
      - .offset:         32
        .size:           8
        .value_kind:     by_value
      - .address_space:  global
        .offset:         40
        .size:           8
        .value_kind:     global_buffer
      - .offset:         48
        .size:           4
        .value_kind:     by_value
      - .offset:         56
        .size:           8
        .value_kind:     by_value
      - .offset:         64
        .size:           4
        .value_kind:     by_value
      - .address_space:  global
        .offset:         72
        .size:           8
        .value_kind:     global_buffer
      - .offset:         80
        .size:           4
        .value_kind:     by_value
      - .offset:         88
        .size:           8
        .value_kind:     by_value
      - .offset:         96
        .size:           4
        .value_kind:     by_value
    .group_segment_fixed_size: 2048
    .kernarg_segment_align: 8
    .kernarg_segment_size: 100
    .language:       OpenCL C
    .language_version:
      - 2
      - 0
    .max_flat_workgroup_size: 256
    .name:           _ZL41rocblas_syrkx_herkx_small_restrict_kernelIifLi16ELb0ELb0ELc84ELc76EKPKfKPfEviT_T0_PT6_S5_lS8_S5_lS6_PT7_S5_li
    .private_segment_fixed_size: 0
    .sgpr_count:     19
    .sgpr_spill_count: 0
    .symbol:         _ZL41rocblas_syrkx_herkx_small_restrict_kernelIifLi16ELb0ELb0ELc84ELc76EKPKfKPfEviT_T0_PT6_S5_lS8_S5_lS6_PT7_S5_li.kd
    .uniform_work_group_size: 1
    .uses_dynamic_stack: false
    .vgpr_count:     21
    .vgpr_spill_count: 0
    .wavefront_size: 64
  - .args:
      - .offset:         0
        .size:           4
        .value_kind:     by_value
      - .offset:         4
        .size:           4
        .value_kind:     by_value
      - .offset:         8
        .size:           4
        .value_kind:     by_value
      - .address_space:  global
        .offset:         16
        .size:           8
        .value_kind:     global_buffer
      - .offset:         24
        .size:           4
        .value_kind:     by_value
      - .offset:         32
        .size:           8
        .value_kind:     by_value
      - .address_space:  global
        .offset:         40
        .size:           8
        .value_kind:     global_buffer
      - .offset:         48
        .size:           4
        .value_kind:     by_value
      - .offset:         56
        .size:           8
        .value_kind:     by_value
      - .offset:         64
        .size:           4
        .value_kind:     by_value
      - .address_space:  global
        .offset:         72
        .size:           8
        .value_kind:     global_buffer
      - .offset:         80
        .size:           4
        .value_kind:     by_value
      - .offset:         88
        .size:           8
        .value_kind:     by_value
      - .offset:         96
        .size:           4
        .value_kind:     by_value
    .group_segment_fixed_size: 2048
    .kernarg_segment_align: 8
    .kernarg_segment_size: 100
    .language:       OpenCL C
    .language_version:
      - 2
      - 0
    .max_flat_workgroup_size: 256
    .name:           _ZL41rocblas_syrkx_herkx_small_restrict_kernelIifLi16ELb0ELb0ELc67ELc76EKPKfKPfEviT_T0_PT6_S5_lS8_S5_lS6_PT7_S5_li
    .private_segment_fixed_size: 0
    .sgpr_count:     19
    .sgpr_spill_count: 0
    .symbol:         _ZL41rocblas_syrkx_herkx_small_restrict_kernelIifLi16ELb0ELb0ELc67ELc76EKPKfKPfEviT_T0_PT6_S5_lS8_S5_lS6_PT7_S5_li.kd
    .uniform_work_group_size: 1
    .uses_dynamic_stack: false
    .vgpr_count:     21
    .vgpr_spill_count: 0
    .wavefront_size: 64
  - .args:
      - .offset:         0
        .size:           4
        .value_kind:     by_value
      - .offset:         4
        .size:           4
        .value_kind:     by_value
      - .offset:         8
        .size:           4
        .value_kind:     by_value
      - .address_space:  global
        .offset:         16
        .size:           8
        .value_kind:     global_buffer
      - .offset:         24
        .size:           4
        .value_kind:     by_value
      - .offset:         32
        .size:           8
        .value_kind:     by_value
      - .address_space:  global
        .offset:         40
        .size:           8
        .value_kind:     global_buffer
      - .offset:         48
        .size:           4
        .value_kind:     by_value
      - .offset:         56
        .size:           8
        .value_kind:     by_value
      - .offset:         64
        .size:           4
        .value_kind:     by_value
      - .address_space:  global
        .offset:         72
        .size:           8
        .value_kind:     global_buffer
      - .offset:         80
        .size:           4
        .value_kind:     by_value
      - .offset:         88
        .size:           8
        .value_kind:     by_value
      - .offset:         96
        .size:           4
        .value_kind:     by_value
    .group_segment_fixed_size: 2048
    .kernarg_segment_align: 8
    .kernarg_segment_size: 100
    .language:       OpenCL C
    .language_version:
      - 2
      - 0
    .max_flat_workgroup_size: 256
    .name:           _ZL41rocblas_syrkx_herkx_small_restrict_kernelIifLi16ELb0ELb0ELc78ELc76EKPKfKPfEviT_T0_PT6_S5_lS8_S5_lS6_PT7_S5_li
    .private_segment_fixed_size: 0
    .sgpr_count:     22
    .sgpr_spill_count: 0
    .symbol:         _ZL41rocblas_syrkx_herkx_small_restrict_kernelIifLi16ELb0ELb0ELc78ELc76EKPKfKPfEviT_T0_PT6_S5_lS8_S5_lS6_PT7_S5_li.kd
    .uniform_work_group_size: 1
    .uses_dynamic_stack: false
    .vgpr_count:     23
    .vgpr_spill_count: 0
    .wavefront_size: 64
  - .args:
      - .offset:         0
        .size:           4
        .value_kind:     by_value
      - .offset:         4
        .size:           4
        .value_kind:     by_value
      - .offset:         8
        .size:           4
        .value_kind:     by_value
      - .address_space:  global
        .offset:         16
        .size:           8
        .value_kind:     global_buffer
      - .offset:         24
        .size:           4
        .value_kind:     by_value
      - .offset:         32
        .size:           8
        .value_kind:     by_value
      - .address_space:  global
        .offset:         40
        .size:           8
        .value_kind:     global_buffer
      - .offset:         48
        .size:           4
        .value_kind:     by_value
      - .offset:         56
        .size:           8
        .value_kind:     by_value
      - .offset:         64
        .size:           4
        .value_kind:     by_value
      - .address_space:  global
        .offset:         72
        .size:           8
        .value_kind:     global_buffer
      - .offset:         80
        .size:           4
        .value_kind:     by_value
      - .offset:         88
        .size:           8
        .value_kind:     by_value
      - .offset:         96
        .size:           4
        .value_kind:     by_value
    .group_segment_fixed_size: 2048
    .kernarg_segment_align: 8
    .kernarg_segment_size: 100
    .language:       OpenCL C
    .language_version:
      - 2
      - 0
    .max_flat_workgroup_size: 256
    .name:           _ZL41rocblas_syrkx_herkx_small_restrict_kernelIifLi16ELb0ELb0ELc84ELc85EKPKfKPfEviT_T0_PT6_S5_lS8_S5_lS6_PT7_S5_li
    .private_segment_fixed_size: 0
    .sgpr_count:     19
    .sgpr_spill_count: 0
    .symbol:         _ZL41rocblas_syrkx_herkx_small_restrict_kernelIifLi16ELb0ELb0ELc84ELc85EKPKfKPfEviT_T0_PT6_S5_lS8_S5_lS6_PT7_S5_li.kd
    .uniform_work_group_size: 1
    .uses_dynamic_stack: false
    .vgpr_count:     21
    .vgpr_spill_count: 0
    .wavefront_size: 64
  - .args:
      - .offset:         0
        .size:           4
        .value_kind:     by_value
      - .offset:         4
        .size:           4
        .value_kind:     by_value
      - .offset:         8
        .size:           4
        .value_kind:     by_value
      - .address_space:  global
        .offset:         16
        .size:           8
        .value_kind:     global_buffer
      - .offset:         24
        .size:           4
        .value_kind:     by_value
      - .offset:         32
        .size:           8
        .value_kind:     by_value
      - .address_space:  global
        .offset:         40
        .size:           8
        .value_kind:     global_buffer
      - .offset:         48
        .size:           4
        .value_kind:     by_value
      - .offset:         56
        .size:           8
        .value_kind:     by_value
      - .offset:         64
        .size:           4
        .value_kind:     by_value
      - .address_space:  global
        .offset:         72
        .size:           8
        .value_kind:     global_buffer
      - .offset:         80
        .size:           4
        .value_kind:     by_value
      - .offset:         88
        .size:           8
        .value_kind:     by_value
      - .offset:         96
        .size:           4
        .value_kind:     by_value
    .group_segment_fixed_size: 2048
    .kernarg_segment_align: 8
    .kernarg_segment_size: 100
    .language:       OpenCL C
    .language_version:
      - 2
      - 0
    .max_flat_workgroup_size: 256
    .name:           _ZL41rocblas_syrkx_herkx_small_restrict_kernelIifLi16ELb0ELb0ELc67ELc85EKPKfKPfEviT_T0_PT6_S5_lS8_S5_lS6_PT7_S5_li
    .private_segment_fixed_size: 0
    .sgpr_count:     19
    .sgpr_spill_count: 0
    .symbol:         _ZL41rocblas_syrkx_herkx_small_restrict_kernelIifLi16ELb0ELb0ELc67ELc85EKPKfKPfEviT_T0_PT6_S5_lS8_S5_lS6_PT7_S5_li.kd
    .uniform_work_group_size: 1
    .uses_dynamic_stack: false
    .vgpr_count:     21
    .vgpr_spill_count: 0
    .wavefront_size: 64
  - .args:
      - .offset:         0
        .size:           4
        .value_kind:     by_value
      - .offset:         4
        .size:           4
        .value_kind:     by_value
      - .offset:         8
        .size:           4
        .value_kind:     by_value
      - .address_space:  global
        .offset:         16
        .size:           8
        .value_kind:     global_buffer
      - .offset:         24
        .size:           4
        .value_kind:     by_value
      - .offset:         32
        .size:           8
        .value_kind:     by_value
      - .address_space:  global
        .offset:         40
        .size:           8
        .value_kind:     global_buffer
      - .offset:         48
        .size:           4
        .value_kind:     by_value
      - .offset:         56
        .size:           8
        .value_kind:     by_value
      - .offset:         64
        .size:           4
        .value_kind:     by_value
      - .address_space:  global
        .offset:         72
        .size:           8
        .value_kind:     global_buffer
      - .offset:         80
        .size:           4
        .value_kind:     by_value
      - .offset:         88
        .size:           8
        .value_kind:     by_value
      - .offset:         96
        .size:           4
        .value_kind:     by_value
    .group_segment_fixed_size: 2048
    .kernarg_segment_align: 8
    .kernarg_segment_size: 100
    .language:       OpenCL C
    .language_version:
      - 2
      - 0
    .max_flat_workgroup_size: 256
    .name:           _ZL41rocblas_syrkx_herkx_small_restrict_kernelIifLi16ELb0ELb0ELc78ELc85EKPKfKPfEviT_T0_PT6_S5_lS8_S5_lS6_PT7_S5_li
    .private_segment_fixed_size: 0
    .sgpr_count:     22
    .sgpr_spill_count: 0
    .symbol:         _ZL41rocblas_syrkx_herkx_small_restrict_kernelIifLi16ELb0ELb0ELc78ELc85EKPKfKPfEviT_T0_PT6_S5_lS8_S5_lS6_PT7_S5_li.kd
    .uniform_work_group_size: 1
    .uses_dynamic_stack: false
    .vgpr_count:     23
    .vgpr_spill_count: 0
    .wavefront_size: 64
  - .args:
      - .offset:         0
        .size:           4
        .value_kind:     by_value
      - .offset:         4
        .size:           4
        .value_kind:     by_value
      - .offset:         8
        .size:           4
        .value_kind:     by_value
      - .address_space:  global
        .offset:         16
        .size:           8
        .value_kind:     global_buffer
      - .offset:         24
        .size:           4
        .value_kind:     by_value
      - .offset:         32
        .size:           8
        .value_kind:     by_value
      - .address_space:  global
        .offset:         40
        .size:           8
        .value_kind:     global_buffer
      - .offset:         48
        .size:           4
        .value_kind:     by_value
      - .offset:         56
        .size:           8
        .value_kind:     by_value
      - .offset:         64
        .size:           4
        .value_kind:     by_value
      - .address_space:  global
        .offset:         72
        .size:           8
        .value_kind:     global_buffer
      - .offset:         80
        .size:           4
        .value_kind:     by_value
      - .offset:         88
        .size:           8
        .value_kind:     by_value
      - .offset:         96
        .size:           4
        .value_kind:     by_value
    .group_segment_fixed_size: 2048
    .kernarg_segment_align: 8
    .kernarg_segment_size: 100
    .language:       OpenCL C
    .language_version:
      - 2
      - 0
    .max_flat_workgroup_size: 256
    .name:           _ZL32rocblas_syrkx_herkx_small_kernelIifLi16ELb1ELb0ELc84ELc76EKPKfKPfEviT_T0_PT6_S5_lS8_S5_lS6_PT7_S5_li
    .private_segment_fixed_size: 0
    .sgpr_count:     22
    .sgpr_spill_count: 0
    .symbol:         _ZL32rocblas_syrkx_herkx_small_kernelIifLi16ELb1ELb0ELc84ELc76EKPKfKPfEviT_T0_PT6_S5_lS8_S5_lS6_PT7_S5_li.kd
    .uniform_work_group_size: 1
    .uses_dynamic_stack: false
    .vgpr_count:     25
    .vgpr_spill_count: 0
    .wavefront_size: 64
  - .args:
      - .offset:         0
        .size:           4
        .value_kind:     by_value
      - .offset:         4
        .size:           4
        .value_kind:     by_value
      - .offset:         8
        .size:           4
        .value_kind:     by_value
      - .address_space:  global
        .offset:         16
        .size:           8
        .value_kind:     global_buffer
      - .offset:         24
        .size:           4
        .value_kind:     by_value
      - .offset:         32
        .size:           8
        .value_kind:     by_value
      - .address_space:  global
        .offset:         40
        .size:           8
        .value_kind:     global_buffer
      - .offset:         48
        .size:           4
        .value_kind:     by_value
      - .offset:         56
        .size:           8
        .value_kind:     by_value
      - .offset:         64
        .size:           4
        .value_kind:     by_value
      - .address_space:  global
        .offset:         72
        .size:           8
        .value_kind:     global_buffer
      - .offset:         80
        .size:           4
        .value_kind:     by_value
      - .offset:         88
        .size:           8
        .value_kind:     by_value
      - .offset:         96
        .size:           4
        .value_kind:     by_value
    .group_segment_fixed_size: 2048
    .kernarg_segment_align: 8
    .kernarg_segment_size: 100
    .language:       OpenCL C
    .language_version:
      - 2
      - 0
    .max_flat_workgroup_size: 256
    .name:           _ZL32rocblas_syrkx_herkx_small_kernelIifLi16ELb1ELb0ELc67ELc76EKPKfKPfEviT_T0_PT6_S5_lS8_S5_lS6_PT7_S5_li
    .private_segment_fixed_size: 0
    .sgpr_count:     22
    .sgpr_spill_count: 0
    .symbol:         _ZL32rocblas_syrkx_herkx_small_kernelIifLi16ELb1ELb0ELc67ELc76EKPKfKPfEviT_T0_PT6_S5_lS8_S5_lS6_PT7_S5_li.kd
    .uniform_work_group_size: 1
    .uses_dynamic_stack: false
    .vgpr_count:     25
    .vgpr_spill_count: 0
    .wavefront_size: 64
  - .args:
      - .offset:         0
        .size:           4
        .value_kind:     by_value
      - .offset:         4
        .size:           4
        .value_kind:     by_value
      - .offset:         8
        .size:           4
        .value_kind:     by_value
      - .address_space:  global
        .offset:         16
        .size:           8
        .value_kind:     global_buffer
      - .offset:         24
        .size:           4
        .value_kind:     by_value
      - .offset:         32
        .size:           8
        .value_kind:     by_value
      - .address_space:  global
        .offset:         40
        .size:           8
        .value_kind:     global_buffer
      - .offset:         48
        .size:           4
        .value_kind:     by_value
      - .offset:         56
        .size:           8
        .value_kind:     by_value
      - .offset:         64
        .size:           4
        .value_kind:     by_value
      - .address_space:  global
        .offset:         72
        .size:           8
        .value_kind:     global_buffer
      - .offset:         80
        .size:           4
        .value_kind:     by_value
      - .offset:         88
        .size:           8
        .value_kind:     by_value
      - .offset:         96
        .size:           4
        .value_kind:     by_value
    .group_segment_fixed_size: 2048
    .kernarg_segment_align: 8
    .kernarg_segment_size: 100
    .language:       OpenCL C
    .language_version:
      - 2
      - 0
    .max_flat_workgroup_size: 256
    .name:           _ZL32rocblas_syrkx_herkx_small_kernelIifLi16ELb1ELb0ELc78ELc76EKPKfKPfEviT_T0_PT6_S5_lS8_S5_lS6_PT7_S5_li
    .private_segment_fixed_size: 0
    .sgpr_count:     26
    .sgpr_spill_count: 0
    .symbol:         _ZL32rocblas_syrkx_herkx_small_kernelIifLi16ELb1ELb0ELc78ELc76EKPKfKPfEviT_T0_PT6_S5_lS8_S5_lS6_PT7_S5_li.kd
    .uniform_work_group_size: 1
    .uses_dynamic_stack: false
    .vgpr_count:     26
    .vgpr_spill_count: 0
    .wavefront_size: 64
  - .args:
      - .offset:         0
        .size:           4
        .value_kind:     by_value
      - .offset:         4
        .size:           4
        .value_kind:     by_value
      - .offset:         8
        .size:           4
        .value_kind:     by_value
      - .address_space:  global
        .offset:         16
        .size:           8
        .value_kind:     global_buffer
      - .offset:         24
        .size:           4
        .value_kind:     by_value
      - .offset:         32
        .size:           8
        .value_kind:     by_value
      - .address_space:  global
        .offset:         40
        .size:           8
        .value_kind:     global_buffer
      - .offset:         48
        .size:           4
        .value_kind:     by_value
      - .offset:         56
        .size:           8
        .value_kind:     by_value
      - .offset:         64
        .size:           4
        .value_kind:     by_value
      - .address_space:  global
        .offset:         72
        .size:           8
        .value_kind:     global_buffer
      - .offset:         80
        .size:           4
        .value_kind:     by_value
      - .offset:         88
        .size:           8
        .value_kind:     by_value
      - .offset:         96
        .size:           4
        .value_kind:     by_value
    .group_segment_fixed_size: 2048
    .kernarg_segment_align: 8
    .kernarg_segment_size: 100
    .language:       OpenCL C
    .language_version:
      - 2
      - 0
    .max_flat_workgroup_size: 256
    .name:           _ZL32rocblas_syrkx_herkx_small_kernelIifLi16ELb1ELb0ELc84ELc85EKPKfKPfEviT_T0_PT6_S5_lS8_S5_lS6_PT7_S5_li
    .private_segment_fixed_size: 0
    .sgpr_count:     22
    .sgpr_spill_count: 0
    .symbol:         _ZL32rocblas_syrkx_herkx_small_kernelIifLi16ELb1ELb0ELc84ELc85EKPKfKPfEviT_T0_PT6_S5_lS8_S5_lS6_PT7_S5_li.kd
    .uniform_work_group_size: 1
    .uses_dynamic_stack: false
    .vgpr_count:     25
    .vgpr_spill_count: 0
    .wavefront_size: 64
  - .args:
      - .offset:         0
        .size:           4
        .value_kind:     by_value
      - .offset:         4
        .size:           4
        .value_kind:     by_value
      - .offset:         8
        .size:           4
        .value_kind:     by_value
      - .address_space:  global
        .offset:         16
        .size:           8
        .value_kind:     global_buffer
      - .offset:         24
        .size:           4
        .value_kind:     by_value
      - .offset:         32
        .size:           8
        .value_kind:     by_value
      - .address_space:  global
        .offset:         40
        .size:           8
        .value_kind:     global_buffer
      - .offset:         48
        .size:           4
        .value_kind:     by_value
      - .offset:         56
        .size:           8
        .value_kind:     by_value
      - .offset:         64
        .size:           4
        .value_kind:     by_value
      - .address_space:  global
        .offset:         72
        .size:           8
        .value_kind:     global_buffer
      - .offset:         80
        .size:           4
        .value_kind:     by_value
      - .offset:         88
        .size:           8
        .value_kind:     by_value
      - .offset:         96
        .size:           4
        .value_kind:     by_value
    .group_segment_fixed_size: 2048
    .kernarg_segment_align: 8
    .kernarg_segment_size: 100
    .language:       OpenCL C
    .language_version:
      - 2
      - 0
    .max_flat_workgroup_size: 256
    .name:           _ZL32rocblas_syrkx_herkx_small_kernelIifLi16ELb1ELb0ELc67ELc85EKPKfKPfEviT_T0_PT6_S5_lS8_S5_lS6_PT7_S5_li
    .private_segment_fixed_size: 0
    .sgpr_count:     22
    .sgpr_spill_count: 0
    .symbol:         _ZL32rocblas_syrkx_herkx_small_kernelIifLi16ELb1ELb0ELc67ELc85EKPKfKPfEviT_T0_PT6_S5_lS8_S5_lS6_PT7_S5_li.kd
    .uniform_work_group_size: 1
    .uses_dynamic_stack: false
    .vgpr_count:     25
    .vgpr_spill_count: 0
    .wavefront_size: 64
  - .args:
      - .offset:         0
        .size:           4
        .value_kind:     by_value
      - .offset:         4
        .size:           4
        .value_kind:     by_value
      - .offset:         8
        .size:           4
        .value_kind:     by_value
      - .address_space:  global
        .offset:         16
        .size:           8
        .value_kind:     global_buffer
      - .offset:         24
        .size:           4
        .value_kind:     by_value
      - .offset:         32
        .size:           8
        .value_kind:     by_value
      - .address_space:  global
        .offset:         40
        .size:           8
        .value_kind:     global_buffer
      - .offset:         48
        .size:           4
        .value_kind:     by_value
      - .offset:         56
        .size:           8
        .value_kind:     by_value
      - .offset:         64
        .size:           4
        .value_kind:     by_value
      - .address_space:  global
        .offset:         72
        .size:           8
        .value_kind:     global_buffer
      - .offset:         80
        .size:           4
        .value_kind:     by_value
      - .offset:         88
        .size:           8
        .value_kind:     by_value
      - .offset:         96
        .size:           4
        .value_kind:     by_value
    .group_segment_fixed_size: 2048
    .kernarg_segment_align: 8
    .kernarg_segment_size: 100
    .language:       OpenCL C
    .language_version:
      - 2
      - 0
    .max_flat_workgroup_size: 256
    .name:           _ZL32rocblas_syrkx_herkx_small_kernelIifLi16ELb1ELb0ELc78ELc85EKPKfKPfEviT_T0_PT6_S5_lS8_S5_lS6_PT7_S5_li
    .private_segment_fixed_size: 0
    .sgpr_count:     26
    .sgpr_spill_count: 0
    .symbol:         _ZL32rocblas_syrkx_herkx_small_kernelIifLi16ELb1ELb0ELc78ELc85EKPKfKPfEviT_T0_PT6_S5_lS8_S5_lS6_PT7_S5_li.kd
    .uniform_work_group_size: 1
    .uses_dynamic_stack: false
    .vgpr_count:     26
    .vgpr_spill_count: 0
    .wavefront_size: 64
  - .args:
      - .offset:         0
        .size:           4
        .value_kind:     by_value
      - .offset:         4
        .size:           4
        .value_kind:     by_value
      - .offset:         8
        .size:           4
        .value_kind:     by_value
      - .address_space:  global
        .offset:         16
        .size:           8
        .value_kind:     global_buffer
      - .offset:         24
        .size:           4
        .value_kind:     by_value
      - .offset:         32
        .size:           8
        .value_kind:     by_value
      - .address_space:  global
        .offset:         40
        .size:           8
        .value_kind:     global_buffer
      - .offset:         48
        .size:           4
        .value_kind:     by_value
      - .offset:         56
        .size:           8
        .value_kind:     by_value
      - .offset:         64
        .size:           4
        .value_kind:     by_value
      - .address_space:  global
        .offset:         72
        .size:           8
        .value_kind:     global_buffer
      - .offset:         80
        .size:           4
        .value_kind:     by_value
      - .offset:         88
        .size:           8
        .value_kind:     by_value
      - .offset:         96
        .size:           4
        .value_kind:     by_value
    .group_segment_fixed_size: 2048
    .kernarg_segment_align: 8
    .kernarg_segment_size: 100
    .language:       OpenCL C
    .language_version:
      - 2
      - 0
    .max_flat_workgroup_size: 256
    .name:           _ZL32rocblas_syrkx_herkx_small_kernelIifLi16ELb0ELb0ELc84ELc76EKPKfKPfEviT_T0_PT6_S5_lS8_S5_lS6_PT7_S5_li
    .private_segment_fixed_size: 0
    .sgpr_count:     22
    .sgpr_spill_count: 0
    .symbol:         _ZL32rocblas_syrkx_herkx_small_kernelIifLi16ELb0ELb0ELc84ELc76EKPKfKPfEviT_T0_PT6_S5_lS8_S5_lS6_PT7_S5_li.kd
    .uniform_work_group_size: 1
    .uses_dynamic_stack: false
    .vgpr_count:     25
    .vgpr_spill_count: 0
    .wavefront_size: 64
  - .args:
      - .offset:         0
        .size:           4
        .value_kind:     by_value
      - .offset:         4
        .size:           4
        .value_kind:     by_value
      - .offset:         8
        .size:           4
        .value_kind:     by_value
      - .address_space:  global
        .offset:         16
        .size:           8
        .value_kind:     global_buffer
      - .offset:         24
        .size:           4
        .value_kind:     by_value
      - .offset:         32
        .size:           8
        .value_kind:     by_value
      - .address_space:  global
        .offset:         40
        .size:           8
        .value_kind:     global_buffer
      - .offset:         48
        .size:           4
        .value_kind:     by_value
      - .offset:         56
        .size:           8
        .value_kind:     by_value
      - .offset:         64
        .size:           4
        .value_kind:     by_value
      - .address_space:  global
        .offset:         72
        .size:           8
        .value_kind:     global_buffer
      - .offset:         80
        .size:           4
        .value_kind:     by_value
      - .offset:         88
        .size:           8
        .value_kind:     by_value
      - .offset:         96
        .size:           4
        .value_kind:     by_value
    .group_segment_fixed_size: 2048
    .kernarg_segment_align: 8
    .kernarg_segment_size: 100
    .language:       OpenCL C
    .language_version:
      - 2
      - 0
    .max_flat_workgroup_size: 256
    .name:           _ZL32rocblas_syrkx_herkx_small_kernelIifLi16ELb0ELb0ELc67ELc76EKPKfKPfEviT_T0_PT6_S5_lS8_S5_lS6_PT7_S5_li
    .private_segment_fixed_size: 0
    .sgpr_count:     22
    .sgpr_spill_count: 0
    .symbol:         _ZL32rocblas_syrkx_herkx_small_kernelIifLi16ELb0ELb0ELc67ELc76EKPKfKPfEviT_T0_PT6_S5_lS8_S5_lS6_PT7_S5_li.kd
    .uniform_work_group_size: 1
    .uses_dynamic_stack: false
    .vgpr_count:     25
    .vgpr_spill_count: 0
    .wavefront_size: 64
  - .args:
      - .offset:         0
        .size:           4
        .value_kind:     by_value
      - .offset:         4
        .size:           4
        .value_kind:     by_value
      - .offset:         8
        .size:           4
        .value_kind:     by_value
      - .address_space:  global
        .offset:         16
        .size:           8
        .value_kind:     global_buffer
      - .offset:         24
        .size:           4
        .value_kind:     by_value
      - .offset:         32
        .size:           8
        .value_kind:     by_value
      - .address_space:  global
        .offset:         40
        .size:           8
        .value_kind:     global_buffer
      - .offset:         48
        .size:           4
        .value_kind:     by_value
      - .offset:         56
        .size:           8
        .value_kind:     by_value
      - .offset:         64
        .size:           4
        .value_kind:     by_value
      - .address_space:  global
        .offset:         72
        .size:           8
        .value_kind:     global_buffer
      - .offset:         80
        .size:           4
        .value_kind:     by_value
      - .offset:         88
        .size:           8
        .value_kind:     by_value
      - .offset:         96
        .size:           4
        .value_kind:     by_value
    .group_segment_fixed_size: 2048
    .kernarg_segment_align: 8
    .kernarg_segment_size: 100
    .language:       OpenCL C
    .language_version:
      - 2
      - 0
    .max_flat_workgroup_size: 256
    .name:           _ZL32rocblas_syrkx_herkx_small_kernelIifLi16ELb0ELb0ELc78ELc76EKPKfKPfEviT_T0_PT6_S5_lS8_S5_lS6_PT7_S5_li
    .private_segment_fixed_size: 0
    .sgpr_count:     26
    .sgpr_spill_count: 0
    .symbol:         _ZL32rocblas_syrkx_herkx_small_kernelIifLi16ELb0ELb0ELc78ELc76EKPKfKPfEviT_T0_PT6_S5_lS8_S5_lS6_PT7_S5_li.kd
    .uniform_work_group_size: 1
    .uses_dynamic_stack: false
    .vgpr_count:     26
    .vgpr_spill_count: 0
    .wavefront_size: 64
  - .args:
      - .offset:         0
        .size:           4
        .value_kind:     by_value
      - .offset:         4
        .size:           4
        .value_kind:     by_value
      - .offset:         8
        .size:           4
        .value_kind:     by_value
      - .address_space:  global
        .offset:         16
        .size:           8
        .value_kind:     global_buffer
      - .offset:         24
        .size:           4
        .value_kind:     by_value
      - .offset:         32
        .size:           8
        .value_kind:     by_value
      - .address_space:  global
        .offset:         40
        .size:           8
        .value_kind:     global_buffer
      - .offset:         48
        .size:           4
        .value_kind:     by_value
      - .offset:         56
        .size:           8
        .value_kind:     by_value
      - .offset:         64
        .size:           4
        .value_kind:     by_value
      - .address_space:  global
        .offset:         72
        .size:           8
        .value_kind:     global_buffer
      - .offset:         80
        .size:           4
        .value_kind:     by_value
      - .offset:         88
        .size:           8
        .value_kind:     by_value
      - .offset:         96
        .size:           4
        .value_kind:     by_value
    .group_segment_fixed_size: 2048
    .kernarg_segment_align: 8
    .kernarg_segment_size: 100
    .language:       OpenCL C
    .language_version:
      - 2
      - 0
    .max_flat_workgroup_size: 256
    .name:           _ZL32rocblas_syrkx_herkx_small_kernelIifLi16ELb0ELb0ELc84ELc85EKPKfKPfEviT_T0_PT6_S5_lS8_S5_lS6_PT7_S5_li
    .private_segment_fixed_size: 0
    .sgpr_count:     22
    .sgpr_spill_count: 0
    .symbol:         _ZL32rocblas_syrkx_herkx_small_kernelIifLi16ELb0ELb0ELc84ELc85EKPKfKPfEviT_T0_PT6_S5_lS8_S5_lS6_PT7_S5_li.kd
    .uniform_work_group_size: 1
    .uses_dynamic_stack: false
    .vgpr_count:     25
    .vgpr_spill_count: 0
    .wavefront_size: 64
  - .args:
      - .offset:         0
        .size:           4
        .value_kind:     by_value
      - .offset:         4
        .size:           4
        .value_kind:     by_value
      - .offset:         8
        .size:           4
        .value_kind:     by_value
      - .address_space:  global
        .offset:         16
        .size:           8
        .value_kind:     global_buffer
      - .offset:         24
        .size:           4
        .value_kind:     by_value
      - .offset:         32
        .size:           8
        .value_kind:     by_value
      - .address_space:  global
        .offset:         40
        .size:           8
        .value_kind:     global_buffer
      - .offset:         48
        .size:           4
        .value_kind:     by_value
      - .offset:         56
        .size:           8
        .value_kind:     by_value
      - .offset:         64
        .size:           4
        .value_kind:     by_value
      - .address_space:  global
        .offset:         72
        .size:           8
        .value_kind:     global_buffer
      - .offset:         80
        .size:           4
        .value_kind:     by_value
      - .offset:         88
        .size:           8
        .value_kind:     by_value
      - .offset:         96
        .size:           4
        .value_kind:     by_value
    .group_segment_fixed_size: 2048
    .kernarg_segment_align: 8
    .kernarg_segment_size: 100
    .language:       OpenCL C
    .language_version:
      - 2
      - 0
    .max_flat_workgroup_size: 256
    .name:           _ZL32rocblas_syrkx_herkx_small_kernelIifLi16ELb0ELb0ELc67ELc85EKPKfKPfEviT_T0_PT6_S5_lS8_S5_lS6_PT7_S5_li
    .private_segment_fixed_size: 0
    .sgpr_count:     22
    .sgpr_spill_count: 0
    .symbol:         _ZL32rocblas_syrkx_herkx_small_kernelIifLi16ELb0ELb0ELc67ELc85EKPKfKPfEviT_T0_PT6_S5_lS8_S5_lS6_PT7_S5_li.kd
    .uniform_work_group_size: 1
    .uses_dynamic_stack: false
    .vgpr_count:     25
    .vgpr_spill_count: 0
    .wavefront_size: 64
  - .args:
      - .offset:         0
        .size:           4
        .value_kind:     by_value
      - .offset:         4
        .size:           4
        .value_kind:     by_value
      - .offset:         8
        .size:           4
        .value_kind:     by_value
      - .address_space:  global
        .offset:         16
        .size:           8
        .value_kind:     global_buffer
      - .offset:         24
        .size:           4
        .value_kind:     by_value
      - .offset:         32
        .size:           8
        .value_kind:     by_value
      - .address_space:  global
        .offset:         40
        .size:           8
        .value_kind:     global_buffer
      - .offset:         48
        .size:           4
        .value_kind:     by_value
      - .offset:         56
        .size:           8
        .value_kind:     by_value
      - .offset:         64
        .size:           4
        .value_kind:     by_value
      - .address_space:  global
        .offset:         72
        .size:           8
        .value_kind:     global_buffer
      - .offset:         80
        .size:           4
        .value_kind:     by_value
      - .offset:         88
        .size:           8
        .value_kind:     by_value
      - .offset:         96
        .size:           4
        .value_kind:     by_value
    .group_segment_fixed_size: 2048
    .kernarg_segment_align: 8
    .kernarg_segment_size: 100
    .language:       OpenCL C
    .language_version:
      - 2
      - 0
    .max_flat_workgroup_size: 256
    .name:           _ZL32rocblas_syrkx_herkx_small_kernelIifLi16ELb0ELb0ELc78ELc85EKPKfKPfEviT_T0_PT6_S5_lS8_S5_lS6_PT7_S5_li
    .private_segment_fixed_size: 0
    .sgpr_count:     26
    .sgpr_spill_count: 0
    .symbol:         _ZL32rocblas_syrkx_herkx_small_kernelIifLi16ELb0ELb0ELc78ELc85EKPKfKPfEviT_T0_PT6_S5_lS8_S5_lS6_PT7_S5_li.kd
    .uniform_work_group_size: 1
    .uses_dynamic_stack: false
    .vgpr_count:     26
    .vgpr_spill_count: 0
    .wavefront_size: 64
  - .args:
      - .offset:         0
        .size:           4
        .value_kind:     by_value
      - .offset:         4
        .size:           4
        .value_kind:     by_value
      - .offset:         8
        .size:           4
        .value_kind:     by_value
      - .address_space:  global
        .offset:         16
        .size:           8
        .value_kind:     global_buffer
      - .offset:         24
        .size:           4
        .value_kind:     by_value
      - .offset:         32
        .size:           8
        .value_kind:     by_value
      - .address_space:  global
        .offset:         40
        .size:           8
        .value_kind:     global_buffer
      - .offset:         48
        .size:           4
        .value_kind:     by_value
      - .offset:         56
        .size:           8
        .value_kind:     by_value
      - .offset:         64
        .size:           4
        .value_kind:     by_value
      - .address_space:  global
        .offset:         72
        .size:           8
        .value_kind:     global_buffer
      - .offset:         80
        .size:           4
        .value_kind:     by_value
      - .offset:         88
        .size:           8
        .value_kind:     by_value
      - .offset:         96
        .size:           4
        .value_kind:     by_value
    .group_segment_fixed_size: 2048
    .kernarg_segment_align: 8
    .kernarg_segment_size: 100
    .language:       OpenCL C
    .language_version:
      - 2
      - 0
    .max_flat_workgroup_size: 256
    .name:           _ZL34rocblas_syrkx_herkx_general_kernelIifLi16ELi32ELi8ELb1ELb0ELc84ELc76EKPKfKPfEviT_T0_PT8_S5_lS8_S5_lS6_PT9_S5_li
    .private_segment_fixed_size: 0
    .sgpr_count:     24
    .sgpr_spill_count: 0
    .symbol:         _ZL34rocblas_syrkx_herkx_general_kernelIifLi16ELi32ELi8ELb1ELb0ELc84ELc76EKPKfKPfEviT_T0_PT8_S5_lS8_S5_lS6_PT9_S5_li.kd
    .uniform_work_group_size: 1
    .uses_dynamic_stack: false
    .vgpr_count:     36
    .vgpr_spill_count: 0
    .wavefront_size: 64
  - .args:
      - .offset:         0
        .size:           4
        .value_kind:     by_value
      - .offset:         4
        .size:           4
        .value_kind:     by_value
      - .offset:         8
        .size:           4
        .value_kind:     by_value
      - .address_space:  global
        .offset:         16
        .size:           8
        .value_kind:     global_buffer
      - .offset:         24
        .size:           4
        .value_kind:     by_value
      - .offset:         32
        .size:           8
        .value_kind:     by_value
      - .address_space:  global
        .offset:         40
        .size:           8
        .value_kind:     global_buffer
      - .offset:         48
        .size:           4
        .value_kind:     by_value
      - .offset:         56
        .size:           8
        .value_kind:     by_value
      - .offset:         64
        .size:           4
        .value_kind:     by_value
      - .address_space:  global
        .offset:         72
        .size:           8
        .value_kind:     global_buffer
      - .offset:         80
        .size:           4
        .value_kind:     by_value
      - .offset:         88
        .size:           8
        .value_kind:     by_value
      - .offset:         96
        .size:           4
        .value_kind:     by_value
    .group_segment_fixed_size: 2048
    .kernarg_segment_align: 8
    .kernarg_segment_size: 100
    .language:       OpenCL C
    .language_version:
      - 2
      - 0
    .max_flat_workgroup_size: 256
    .name:           _ZL34rocblas_syrkx_herkx_general_kernelIifLi16ELi32ELi8ELb1ELb0ELc67ELc76EKPKfKPfEviT_T0_PT8_S5_lS8_S5_lS6_PT9_S5_li
    .private_segment_fixed_size: 0
    .sgpr_count:     24
    .sgpr_spill_count: 0
    .symbol:         _ZL34rocblas_syrkx_herkx_general_kernelIifLi16ELi32ELi8ELb1ELb0ELc67ELc76EKPKfKPfEviT_T0_PT8_S5_lS8_S5_lS6_PT9_S5_li.kd
    .uniform_work_group_size: 1
    .uses_dynamic_stack: false
    .vgpr_count:     36
    .vgpr_spill_count: 0
    .wavefront_size: 64
  - .args:
      - .offset:         0
        .size:           4
        .value_kind:     by_value
      - .offset:         4
        .size:           4
        .value_kind:     by_value
      - .offset:         8
        .size:           4
        .value_kind:     by_value
      - .address_space:  global
        .offset:         16
        .size:           8
        .value_kind:     global_buffer
      - .offset:         24
        .size:           4
        .value_kind:     by_value
      - .offset:         32
        .size:           8
        .value_kind:     by_value
      - .address_space:  global
        .offset:         40
        .size:           8
        .value_kind:     global_buffer
      - .offset:         48
        .size:           4
        .value_kind:     by_value
      - .offset:         56
        .size:           8
        .value_kind:     by_value
      - .offset:         64
        .size:           4
        .value_kind:     by_value
      - .address_space:  global
        .offset:         72
        .size:           8
        .value_kind:     global_buffer
      - .offset:         80
        .size:           4
        .value_kind:     by_value
      - .offset:         88
        .size:           8
        .value_kind:     by_value
      - .offset:         96
        .size:           4
        .value_kind:     by_value
    .group_segment_fixed_size: 2048
    .kernarg_segment_align: 8
    .kernarg_segment_size: 100
    .language:       OpenCL C
    .language_version:
      - 2
      - 0
    .max_flat_workgroup_size: 256
    .name:           _ZL34rocblas_syrkx_herkx_general_kernelIifLi16ELi32ELi8ELb1ELb0ELc78ELc76EKPKfKPfEviT_T0_PT8_S5_lS8_S5_lS6_PT9_S5_li
    .private_segment_fixed_size: 0
    .sgpr_count:     26
    .sgpr_spill_count: 0
    .symbol:         _ZL34rocblas_syrkx_herkx_general_kernelIifLi16ELi32ELi8ELb1ELb0ELc78ELc76EKPKfKPfEviT_T0_PT8_S5_lS8_S5_lS6_PT9_S5_li.kd
    .uniform_work_group_size: 1
    .uses_dynamic_stack: false
    .vgpr_count:     36
    .vgpr_spill_count: 0
    .wavefront_size: 64
  - .args:
      - .offset:         0
        .size:           4
        .value_kind:     by_value
      - .offset:         4
        .size:           4
        .value_kind:     by_value
      - .offset:         8
        .size:           4
        .value_kind:     by_value
      - .address_space:  global
        .offset:         16
        .size:           8
        .value_kind:     global_buffer
      - .offset:         24
        .size:           4
        .value_kind:     by_value
      - .offset:         32
        .size:           8
        .value_kind:     by_value
      - .address_space:  global
        .offset:         40
        .size:           8
        .value_kind:     global_buffer
      - .offset:         48
        .size:           4
        .value_kind:     by_value
      - .offset:         56
        .size:           8
        .value_kind:     by_value
      - .offset:         64
        .size:           4
        .value_kind:     by_value
      - .address_space:  global
        .offset:         72
        .size:           8
        .value_kind:     global_buffer
      - .offset:         80
        .size:           4
        .value_kind:     by_value
      - .offset:         88
        .size:           8
        .value_kind:     by_value
      - .offset:         96
        .size:           4
        .value_kind:     by_value
    .group_segment_fixed_size: 2048
    .kernarg_segment_align: 8
    .kernarg_segment_size: 100
    .language:       OpenCL C
    .language_version:
      - 2
      - 0
    .max_flat_workgroup_size: 256
    .name:           _ZL34rocblas_syrkx_herkx_general_kernelIifLi16ELi32ELi8ELb1ELb0ELc84ELc85EKPKfKPfEviT_T0_PT8_S5_lS8_S5_lS6_PT9_S5_li
    .private_segment_fixed_size: 0
    .sgpr_count:     24
    .sgpr_spill_count: 0
    .symbol:         _ZL34rocblas_syrkx_herkx_general_kernelIifLi16ELi32ELi8ELb1ELb0ELc84ELc85EKPKfKPfEviT_T0_PT8_S5_lS8_S5_lS6_PT9_S5_li.kd
    .uniform_work_group_size: 1
    .uses_dynamic_stack: false
    .vgpr_count:     36
    .vgpr_spill_count: 0
    .wavefront_size: 64
  - .args:
      - .offset:         0
        .size:           4
        .value_kind:     by_value
      - .offset:         4
        .size:           4
        .value_kind:     by_value
      - .offset:         8
        .size:           4
        .value_kind:     by_value
      - .address_space:  global
        .offset:         16
        .size:           8
        .value_kind:     global_buffer
      - .offset:         24
        .size:           4
        .value_kind:     by_value
      - .offset:         32
        .size:           8
        .value_kind:     by_value
      - .address_space:  global
        .offset:         40
        .size:           8
        .value_kind:     global_buffer
      - .offset:         48
        .size:           4
        .value_kind:     by_value
      - .offset:         56
        .size:           8
        .value_kind:     by_value
      - .offset:         64
        .size:           4
        .value_kind:     by_value
      - .address_space:  global
        .offset:         72
        .size:           8
        .value_kind:     global_buffer
      - .offset:         80
        .size:           4
        .value_kind:     by_value
      - .offset:         88
        .size:           8
        .value_kind:     by_value
      - .offset:         96
        .size:           4
        .value_kind:     by_value
    .group_segment_fixed_size: 2048
    .kernarg_segment_align: 8
    .kernarg_segment_size: 100
    .language:       OpenCL C
    .language_version:
      - 2
      - 0
    .max_flat_workgroup_size: 256
    .name:           _ZL34rocblas_syrkx_herkx_general_kernelIifLi16ELi32ELi8ELb1ELb0ELc67ELc85EKPKfKPfEviT_T0_PT8_S5_lS8_S5_lS6_PT9_S5_li
    .private_segment_fixed_size: 0
    .sgpr_count:     24
    .sgpr_spill_count: 0
    .symbol:         _ZL34rocblas_syrkx_herkx_general_kernelIifLi16ELi32ELi8ELb1ELb0ELc67ELc85EKPKfKPfEviT_T0_PT8_S5_lS8_S5_lS6_PT9_S5_li.kd
    .uniform_work_group_size: 1
    .uses_dynamic_stack: false
    .vgpr_count:     36
    .vgpr_spill_count: 0
    .wavefront_size: 64
  - .args:
      - .offset:         0
        .size:           4
        .value_kind:     by_value
      - .offset:         4
        .size:           4
        .value_kind:     by_value
      - .offset:         8
        .size:           4
        .value_kind:     by_value
      - .address_space:  global
        .offset:         16
        .size:           8
        .value_kind:     global_buffer
      - .offset:         24
        .size:           4
        .value_kind:     by_value
      - .offset:         32
        .size:           8
        .value_kind:     by_value
      - .address_space:  global
        .offset:         40
        .size:           8
        .value_kind:     global_buffer
      - .offset:         48
        .size:           4
        .value_kind:     by_value
      - .offset:         56
        .size:           8
        .value_kind:     by_value
      - .offset:         64
        .size:           4
        .value_kind:     by_value
      - .address_space:  global
        .offset:         72
        .size:           8
        .value_kind:     global_buffer
      - .offset:         80
        .size:           4
        .value_kind:     by_value
      - .offset:         88
        .size:           8
        .value_kind:     by_value
      - .offset:         96
        .size:           4
        .value_kind:     by_value
    .group_segment_fixed_size: 2048
    .kernarg_segment_align: 8
    .kernarg_segment_size: 100
    .language:       OpenCL C
    .language_version:
      - 2
      - 0
    .max_flat_workgroup_size: 256
    .name:           _ZL34rocblas_syrkx_herkx_general_kernelIifLi16ELi32ELi8ELb1ELb0ELc78ELc85EKPKfKPfEviT_T0_PT8_S5_lS8_S5_lS6_PT9_S5_li
    .private_segment_fixed_size: 0
    .sgpr_count:     26
    .sgpr_spill_count: 0
    .symbol:         _ZL34rocblas_syrkx_herkx_general_kernelIifLi16ELi32ELi8ELb1ELb0ELc78ELc85EKPKfKPfEviT_T0_PT8_S5_lS8_S5_lS6_PT9_S5_li.kd
    .uniform_work_group_size: 1
    .uses_dynamic_stack: false
    .vgpr_count:     36
    .vgpr_spill_count: 0
    .wavefront_size: 64
  - .args:
      - .offset:         0
        .size:           4
        .value_kind:     by_value
      - .offset:         4
        .size:           4
        .value_kind:     by_value
      - .offset:         8
        .size:           4
        .value_kind:     by_value
      - .address_space:  global
        .offset:         16
        .size:           8
        .value_kind:     global_buffer
      - .offset:         24
        .size:           4
        .value_kind:     by_value
      - .offset:         32
        .size:           8
        .value_kind:     by_value
      - .address_space:  global
        .offset:         40
        .size:           8
        .value_kind:     global_buffer
      - .offset:         48
        .size:           4
        .value_kind:     by_value
      - .offset:         56
        .size:           8
        .value_kind:     by_value
      - .offset:         64
        .size:           4
        .value_kind:     by_value
      - .address_space:  global
        .offset:         72
        .size:           8
        .value_kind:     global_buffer
      - .offset:         80
        .size:           4
        .value_kind:     by_value
      - .offset:         88
        .size:           8
        .value_kind:     by_value
      - .offset:         96
        .size:           4
        .value_kind:     by_value
    .group_segment_fixed_size: 2048
    .kernarg_segment_align: 8
    .kernarg_segment_size: 100
    .language:       OpenCL C
    .language_version:
      - 2
      - 0
    .max_flat_workgroup_size: 256
    .name:           _ZL34rocblas_syrkx_herkx_general_kernelIifLi16ELi32ELi8ELb0ELb0ELc84ELc76EKPKfKPfEviT_T0_PT8_S5_lS8_S5_lS6_PT9_S5_li
    .private_segment_fixed_size: 0
    .sgpr_count:     24
    .sgpr_spill_count: 0
    .symbol:         _ZL34rocblas_syrkx_herkx_general_kernelIifLi16ELi32ELi8ELb0ELb0ELc84ELc76EKPKfKPfEviT_T0_PT8_S5_lS8_S5_lS6_PT9_S5_li.kd
    .uniform_work_group_size: 1
    .uses_dynamic_stack: false
    .vgpr_count:     36
    .vgpr_spill_count: 0
    .wavefront_size: 64
  - .args:
      - .offset:         0
        .size:           4
        .value_kind:     by_value
      - .offset:         4
        .size:           4
        .value_kind:     by_value
      - .offset:         8
        .size:           4
        .value_kind:     by_value
      - .address_space:  global
        .offset:         16
        .size:           8
        .value_kind:     global_buffer
      - .offset:         24
        .size:           4
        .value_kind:     by_value
      - .offset:         32
        .size:           8
        .value_kind:     by_value
      - .address_space:  global
        .offset:         40
        .size:           8
        .value_kind:     global_buffer
      - .offset:         48
        .size:           4
        .value_kind:     by_value
      - .offset:         56
        .size:           8
        .value_kind:     by_value
      - .offset:         64
        .size:           4
        .value_kind:     by_value
      - .address_space:  global
        .offset:         72
        .size:           8
        .value_kind:     global_buffer
      - .offset:         80
        .size:           4
        .value_kind:     by_value
      - .offset:         88
        .size:           8
        .value_kind:     by_value
      - .offset:         96
        .size:           4
        .value_kind:     by_value
    .group_segment_fixed_size: 2048
    .kernarg_segment_align: 8
    .kernarg_segment_size: 100
    .language:       OpenCL C
    .language_version:
      - 2
      - 0
    .max_flat_workgroup_size: 256
    .name:           _ZL34rocblas_syrkx_herkx_general_kernelIifLi16ELi32ELi8ELb0ELb0ELc67ELc76EKPKfKPfEviT_T0_PT8_S5_lS8_S5_lS6_PT9_S5_li
    .private_segment_fixed_size: 0
    .sgpr_count:     24
    .sgpr_spill_count: 0
    .symbol:         _ZL34rocblas_syrkx_herkx_general_kernelIifLi16ELi32ELi8ELb0ELb0ELc67ELc76EKPKfKPfEviT_T0_PT8_S5_lS8_S5_lS6_PT9_S5_li.kd
    .uniform_work_group_size: 1
    .uses_dynamic_stack: false
    .vgpr_count:     36
    .vgpr_spill_count: 0
    .wavefront_size: 64
  - .args:
      - .offset:         0
        .size:           4
        .value_kind:     by_value
      - .offset:         4
        .size:           4
        .value_kind:     by_value
      - .offset:         8
        .size:           4
        .value_kind:     by_value
      - .address_space:  global
        .offset:         16
        .size:           8
        .value_kind:     global_buffer
      - .offset:         24
        .size:           4
        .value_kind:     by_value
      - .offset:         32
        .size:           8
        .value_kind:     by_value
      - .address_space:  global
        .offset:         40
        .size:           8
        .value_kind:     global_buffer
      - .offset:         48
        .size:           4
        .value_kind:     by_value
      - .offset:         56
        .size:           8
        .value_kind:     by_value
      - .offset:         64
        .size:           4
        .value_kind:     by_value
      - .address_space:  global
        .offset:         72
        .size:           8
        .value_kind:     global_buffer
      - .offset:         80
        .size:           4
        .value_kind:     by_value
      - .offset:         88
        .size:           8
        .value_kind:     by_value
      - .offset:         96
        .size:           4
        .value_kind:     by_value
    .group_segment_fixed_size: 2048
    .kernarg_segment_align: 8
    .kernarg_segment_size: 100
    .language:       OpenCL C
    .language_version:
      - 2
      - 0
    .max_flat_workgroup_size: 256
    .name:           _ZL34rocblas_syrkx_herkx_general_kernelIifLi16ELi32ELi8ELb0ELb0ELc78ELc76EKPKfKPfEviT_T0_PT8_S5_lS8_S5_lS6_PT9_S5_li
    .private_segment_fixed_size: 0
    .sgpr_count:     26
    .sgpr_spill_count: 0
    .symbol:         _ZL34rocblas_syrkx_herkx_general_kernelIifLi16ELi32ELi8ELb0ELb0ELc78ELc76EKPKfKPfEviT_T0_PT8_S5_lS8_S5_lS6_PT9_S5_li.kd
    .uniform_work_group_size: 1
    .uses_dynamic_stack: false
    .vgpr_count:     36
    .vgpr_spill_count: 0
    .wavefront_size: 64
  - .args:
      - .offset:         0
        .size:           4
        .value_kind:     by_value
      - .offset:         4
        .size:           4
        .value_kind:     by_value
      - .offset:         8
        .size:           4
        .value_kind:     by_value
      - .address_space:  global
        .offset:         16
        .size:           8
        .value_kind:     global_buffer
      - .offset:         24
        .size:           4
        .value_kind:     by_value
      - .offset:         32
        .size:           8
        .value_kind:     by_value
      - .address_space:  global
        .offset:         40
        .size:           8
        .value_kind:     global_buffer
      - .offset:         48
        .size:           4
        .value_kind:     by_value
      - .offset:         56
        .size:           8
        .value_kind:     by_value
      - .offset:         64
        .size:           4
        .value_kind:     by_value
      - .address_space:  global
        .offset:         72
        .size:           8
        .value_kind:     global_buffer
      - .offset:         80
        .size:           4
        .value_kind:     by_value
      - .offset:         88
        .size:           8
        .value_kind:     by_value
      - .offset:         96
        .size:           4
        .value_kind:     by_value
    .group_segment_fixed_size: 2048
    .kernarg_segment_align: 8
    .kernarg_segment_size: 100
    .language:       OpenCL C
    .language_version:
      - 2
      - 0
    .max_flat_workgroup_size: 256
    .name:           _ZL34rocblas_syrkx_herkx_general_kernelIifLi16ELi32ELi8ELb0ELb0ELc84ELc85EKPKfKPfEviT_T0_PT8_S5_lS8_S5_lS6_PT9_S5_li
    .private_segment_fixed_size: 0
    .sgpr_count:     24
    .sgpr_spill_count: 0
    .symbol:         _ZL34rocblas_syrkx_herkx_general_kernelIifLi16ELi32ELi8ELb0ELb0ELc84ELc85EKPKfKPfEviT_T0_PT8_S5_lS8_S5_lS6_PT9_S5_li.kd
    .uniform_work_group_size: 1
    .uses_dynamic_stack: false
    .vgpr_count:     36
    .vgpr_spill_count: 0
    .wavefront_size: 64
  - .args:
      - .offset:         0
        .size:           4
        .value_kind:     by_value
      - .offset:         4
        .size:           4
        .value_kind:     by_value
      - .offset:         8
        .size:           4
        .value_kind:     by_value
      - .address_space:  global
        .offset:         16
        .size:           8
        .value_kind:     global_buffer
      - .offset:         24
        .size:           4
        .value_kind:     by_value
      - .offset:         32
        .size:           8
        .value_kind:     by_value
      - .address_space:  global
        .offset:         40
        .size:           8
        .value_kind:     global_buffer
      - .offset:         48
        .size:           4
        .value_kind:     by_value
      - .offset:         56
        .size:           8
        .value_kind:     by_value
      - .offset:         64
        .size:           4
        .value_kind:     by_value
      - .address_space:  global
        .offset:         72
        .size:           8
        .value_kind:     global_buffer
      - .offset:         80
        .size:           4
        .value_kind:     by_value
      - .offset:         88
        .size:           8
        .value_kind:     by_value
      - .offset:         96
        .size:           4
        .value_kind:     by_value
    .group_segment_fixed_size: 2048
    .kernarg_segment_align: 8
    .kernarg_segment_size: 100
    .language:       OpenCL C
    .language_version:
      - 2
      - 0
    .max_flat_workgroup_size: 256
    .name:           _ZL34rocblas_syrkx_herkx_general_kernelIifLi16ELi32ELi8ELb0ELb0ELc67ELc85EKPKfKPfEviT_T0_PT8_S5_lS8_S5_lS6_PT9_S5_li
    .private_segment_fixed_size: 0
    .sgpr_count:     24
    .sgpr_spill_count: 0
    .symbol:         _ZL34rocblas_syrkx_herkx_general_kernelIifLi16ELi32ELi8ELb0ELb0ELc67ELc85EKPKfKPfEviT_T0_PT8_S5_lS8_S5_lS6_PT9_S5_li.kd
    .uniform_work_group_size: 1
    .uses_dynamic_stack: false
    .vgpr_count:     36
    .vgpr_spill_count: 0
    .wavefront_size: 64
  - .args:
      - .offset:         0
        .size:           4
        .value_kind:     by_value
      - .offset:         4
        .size:           4
        .value_kind:     by_value
      - .offset:         8
        .size:           4
        .value_kind:     by_value
      - .address_space:  global
        .offset:         16
        .size:           8
        .value_kind:     global_buffer
      - .offset:         24
        .size:           4
        .value_kind:     by_value
      - .offset:         32
        .size:           8
        .value_kind:     by_value
      - .address_space:  global
        .offset:         40
        .size:           8
        .value_kind:     global_buffer
      - .offset:         48
        .size:           4
        .value_kind:     by_value
      - .offset:         56
        .size:           8
        .value_kind:     by_value
      - .offset:         64
        .size:           4
        .value_kind:     by_value
      - .address_space:  global
        .offset:         72
        .size:           8
        .value_kind:     global_buffer
      - .offset:         80
        .size:           4
        .value_kind:     by_value
      - .offset:         88
        .size:           8
        .value_kind:     by_value
      - .offset:         96
        .size:           4
        .value_kind:     by_value
    .group_segment_fixed_size: 2048
    .kernarg_segment_align: 8
    .kernarg_segment_size: 100
    .language:       OpenCL C
    .language_version:
      - 2
      - 0
    .max_flat_workgroup_size: 256
    .name:           _ZL34rocblas_syrkx_herkx_general_kernelIifLi16ELi32ELi8ELb0ELb0ELc78ELc85EKPKfKPfEviT_T0_PT8_S5_lS8_S5_lS6_PT9_S5_li
    .private_segment_fixed_size: 0
    .sgpr_count:     26
    .sgpr_spill_count: 0
    .symbol:         _ZL34rocblas_syrkx_herkx_general_kernelIifLi16ELi32ELi8ELb0ELb0ELc78ELc85EKPKfKPfEviT_T0_PT8_S5_lS8_S5_lS6_PT9_S5_li.kd
    .uniform_work_group_size: 1
    .uses_dynamic_stack: false
    .vgpr_count:     36
    .vgpr_spill_count: 0
    .wavefront_size: 64
  - .args:
      - .offset:         0
        .size:           1
        .value_kind:     by_value
      - .offset:         4
        .size:           4
        .value_kind:     by_value
      - .offset:         8
        .size:           4
        .value_kind:     by_value
      - .offset:         12
        .size:           4
        .value_kind:     by_value
      - .offset:         16
        .size:           4
        .value_kind:     by_value
      - .address_space:  global
        .offset:         24
        .size:           8
        .value_kind:     global_buffer
      - .offset:         32
        .size:           4
        .value_kind:     by_value
      - .offset:         40
        .size:           8
        .value_kind:     by_value
      - .offset:         48
        .size:           4
        .value_kind:     by_value
      - .offset:         56
        .size:           4
        .value_kind:     hidden_block_count_x
      - .offset:         60
        .size:           4
        .value_kind:     hidden_block_count_y
      - .offset:         64
        .size:           4
        .value_kind:     hidden_block_count_z
      - .offset:         68
        .size:           2
        .value_kind:     hidden_group_size_x
      - .offset:         70
        .size:           2
        .value_kind:     hidden_group_size_y
      - .offset:         72
        .size:           2
        .value_kind:     hidden_group_size_z
      - .offset:         74
        .size:           2
        .value_kind:     hidden_remainder_x
      - .offset:         76
        .size:           2
        .value_kind:     hidden_remainder_y
      - .offset:         78
        .size:           2
        .value_kind:     hidden_remainder_z
      - .offset:         96
        .size:           8
        .value_kind:     hidden_global_offset_x
      - .offset:         104
        .size:           8
        .value_kind:     hidden_global_offset_y
      - .offset:         112
        .size:           8
        .value_kind:     hidden_global_offset_z
      - .offset:         120
        .size:           2
        .value_kind:     hidden_grid_dims
    .group_segment_fixed_size: 0
    .kernarg_segment_align: 8
    .kernarg_segment_size: 312
    .language:       OpenCL C
    .language_version:
      - 2
      - 0
    .max_flat_workgroup_size: 1024
    .name:           _ZL26rocblas_syr2k_scale_kernelIiLi128ELi8ELb0EffPKPfEvbiT_T3_T4_T5_S3_li
    .private_segment_fixed_size: 0
    .sgpr_count:     15
    .sgpr_spill_count: 0
    .symbol:         _ZL26rocblas_syr2k_scale_kernelIiLi128ELi8ELb0EffPKPfEvbiT_T3_T4_T5_S3_li.kd
    .uniform_work_group_size: 1
    .uses_dynamic_stack: false
    .vgpr_count:     6
    .vgpr_spill_count: 0
    .wavefront_size: 64
  - .args:
      - .offset:         0
        .size:           1
        .value_kind:     by_value
      - .offset:         4
        .size:           4
        .value_kind:     by_value
      - .offset:         8
        .size:           4
        .value_kind:     by_value
      - .address_space:  global
        .offset:         16
        .size:           8
        .value_kind:     global_buffer
      - .address_space:  global
        .offset:         24
        .size:           8
        .value_kind:     global_buffer
      - .offset:         32
        .size:           4
        .value_kind:     by_value
      - .offset:         40
        .size:           8
        .value_kind:     by_value
      - .address_space:  global
        .offset:         48
        .size:           8
        .value_kind:     global_buffer
      - .offset:         56
        .size:           4
        .value_kind:     by_value
      - .offset:         64
        .size:           8
        .value_kind:     by_value
      - .address_space:  global
        .offset:         72
        .size:           8
        .value_kind:     global_buffer
      - .offset:         80
        .size:           4
        .value_kind:     by_value
      - .offset:         88
        .size:           8
        .value_kind:     by_value
      - .offset:         96
        .size:           4
        .value_kind:     by_value
    .group_segment_fixed_size: 8192
    .kernarg_segment_align: 8
    .kernarg_segment_size: 100
    .language:       OpenCL C
    .language_version:
      - 2
      - 0
    .max_flat_workgroup_size: 1024
    .name:           _ZL26rocblas_syr2k_her2k_kernelIiLb0ELb0ELb0ELi32EPKfPKS1_PKPfEvbiT_T4_T5_S7_lS9_S7_lT6_S7_li
    .private_segment_fixed_size: 0
    .sgpr_count:     28
    .sgpr_spill_count: 0
    .symbol:         _ZL26rocblas_syr2k_her2k_kernelIiLb0ELb0ELb0ELi32EPKfPKS1_PKPfEvbiT_T4_T5_S7_lS9_S7_lT6_S7_li.kd
    .uniform_work_group_size: 1
    .uses_dynamic_stack: false
    .vgpr_count:     29
    .vgpr_spill_count: 0
    .wavefront_size: 64
  - .args:
      - .offset:         0
        .size:           1
        .value_kind:     by_value
      - .offset:         4
        .size:           4
        .value_kind:     by_value
      - .offset:         8
        .size:           4
        .value_kind:     by_value
      - .address_space:  global
        .offset:         16
        .size:           8
        .value_kind:     global_buffer
      - .address_space:  global
        .offset:         24
        .size:           8
        .value_kind:     global_buffer
      - .offset:         32
        .size:           4
        .value_kind:     by_value
      - .offset:         40
        .size:           8
        .value_kind:     by_value
      - .address_space:  global
        .offset:         48
        .size:           8
        .value_kind:     global_buffer
      - .offset:         56
        .size:           4
        .value_kind:     by_value
      - .offset:         64
        .size:           8
        .value_kind:     by_value
      - .address_space:  global
        .offset:         72
        .size:           8
        .value_kind:     global_buffer
      - .offset:         80
        .size:           4
        .value_kind:     by_value
      - .offset:         88
        .size:           8
        .value_kind:     by_value
      - .offset:         96
        .size:           4
        .value_kind:     by_value
    .group_segment_fixed_size: 8192
    .kernarg_segment_align: 8
    .kernarg_segment_size: 100
    .language:       OpenCL C
    .language_version:
      - 2
      - 0
    .max_flat_workgroup_size: 1024
    .name:           _ZL26rocblas_syr2k_her2k_kernelIiLb0ELb0ELb1ELi32EPKfPKS1_PKPfEvbiT_T4_T5_S7_lS9_S7_lT6_S7_li
    .private_segment_fixed_size: 0
    .sgpr_count:     28
    .sgpr_spill_count: 0
    .symbol:         _ZL26rocblas_syr2k_her2k_kernelIiLb0ELb0ELb1ELi32EPKfPKS1_PKPfEvbiT_T4_T5_S7_lS9_S7_lT6_S7_li.kd
    .uniform_work_group_size: 1
    .uses_dynamic_stack: false
    .vgpr_count:     29
    .vgpr_spill_count: 0
    .wavefront_size: 64
  - .args:
      - .offset:         0
        .size:           1
        .value_kind:     by_value
      - .offset:         4
        .size:           4
        .value_kind:     by_value
      - .offset:         8
        .size:           4
        .value_kind:     by_value
      - .offset:         16
        .size:           8
        .value_kind:     by_value
      - .address_space:  global
        .offset:         24
        .size:           8
        .value_kind:     global_buffer
      - .offset:         32
        .size:           4
        .value_kind:     by_value
      - .offset:         40
        .size:           8
        .value_kind:     by_value
      - .address_space:  global
        .offset:         48
        .size:           8
        .value_kind:     global_buffer
      - .offset:         56
        .size:           4
        .value_kind:     by_value
      - .offset:         64
        .size:           8
        .value_kind:     by_value
      - .address_space:  global
        .offset:         72
        .size:           8
        .value_kind:     global_buffer
      - .offset:         80
        .size:           4
        .value_kind:     by_value
      - .offset:         88
        .size:           8
        .value_kind:     by_value
      - .offset:         96
        .size:           4
        .value_kind:     by_value
    .group_segment_fixed_size: 16384
    .kernarg_segment_align: 8
    .kernarg_segment_size: 100
    .language:       OpenCL C
    .language_version:
      - 2
      - 0
    .max_flat_workgroup_size: 1024
    .name:           _ZL26rocblas_syr2k_her2k_kernelIiLb0ELb0ELb0ELi32EdPKPKdPKPdEvbiT_T4_T5_S7_lS9_S7_lT6_S7_li
    .private_segment_fixed_size: 0
    .sgpr_count:     32
    .sgpr_spill_count: 0
    .symbol:         _ZL26rocblas_syr2k_her2k_kernelIiLb0ELb0ELb0ELi32EdPKPKdPKPdEvbiT_T4_T5_S7_lS9_S7_lT6_S7_li.kd
    .uniform_work_group_size: 1
    .uses_dynamic_stack: false
    .vgpr_count:     27
    .vgpr_spill_count: 0
    .wavefront_size: 64
  - .args:
      - .offset:         0
        .size:           1
        .value_kind:     by_value
      - .offset:         4
        .size:           4
        .value_kind:     by_value
      - .offset:         8
        .size:           4
        .value_kind:     by_value
      - .offset:         16
        .size:           8
        .value_kind:     by_value
      - .address_space:  global
        .offset:         24
        .size:           8
        .value_kind:     global_buffer
      - .offset:         32
        .size:           4
        .value_kind:     by_value
      - .offset:         40
        .size:           8
        .value_kind:     by_value
      - .address_space:  global
        .offset:         48
        .size:           8
        .value_kind:     global_buffer
      - .offset:         56
        .size:           4
        .value_kind:     by_value
      - .offset:         64
        .size:           8
        .value_kind:     by_value
      - .address_space:  global
        .offset:         72
        .size:           8
        .value_kind:     global_buffer
      - .offset:         80
        .size:           4
        .value_kind:     by_value
      - .offset:         88
        .size:           8
        .value_kind:     by_value
      - .offset:         96
        .size:           4
        .value_kind:     by_value
    .group_segment_fixed_size: 16384
    .kernarg_segment_align: 8
    .kernarg_segment_size: 100
    .language:       OpenCL C
    .language_version:
      - 2
      - 0
    .max_flat_workgroup_size: 1024
    .name:           _ZL26rocblas_syr2k_her2k_kernelIiLb0ELb0ELb1ELi32EdPKPKdPKPdEvbiT_T4_T5_S7_lS9_S7_lT6_S7_li
    .private_segment_fixed_size: 0
    .sgpr_count:     33
    .sgpr_spill_count: 0
    .symbol:         _ZL26rocblas_syr2k_her2k_kernelIiLb0ELb0ELb1ELi32EdPKPKdPKPdEvbiT_T4_T5_S7_lS9_S7_lT6_S7_li.kd
    .uniform_work_group_size: 1
    .uses_dynamic_stack: false
    .vgpr_count:     28
    .vgpr_spill_count: 0
    .wavefront_size: 64
  - .args:
      - .offset:         0
        .size:           4
        .value_kind:     by_value
      - .offset:         4
        .size:           4
        .value_kind:     by_value
      - .address_space:  global
        .offset:         8
        .size:           8
        .value_kind:     global_buffer
      - .offset:         16
        .size:           4
        .value_kind:     by_value
      - .offset:         24
        .size:           8
        .value_kind:     by_value
      - .address_space:  global
        .offset:         32
        .size:           8
        .value_kind:     global_buffer
      - .offset:         40
        .size:           4
        .value_kind:     by_value
      - .offset:         48
        .size:           8
        .value_kind:     by_value
      - .address_space:  global
        .offset:         56
        .size:           8
        .value_kind:     global_buffer
      - .offset:         64
        .size:           4
        .value_kind:     by_value
      - .offset:         72
        .size:           8
        .value_kind:     by_value
      - .offset:         80
        .size:           4
        .value_kind:     by_value
    .group_segment_fixed_size: 4096
    .kernarg_segment_align: 8
    .kernarg_segment_size: 84
    .language:       OpenCL C
    .language_version:
      - 2
      - 0
    .max_flat_workgroup_size: 256
    .name:           _ZL37rocblas_syrkx_herkx_restricted_kernelIidLi16ELi32ELi8ELi1ELi1ELb0ELc84ELc76EKPKdKPdEviT_PT9_S5_lS7_S5_lPT10_S5_li
    .private_segment_fixed_size: 0
    .sgpr_count:     21
    .sgpr_spill_count: 0
    .symbol:         _ZL37rocblas_syrkx_herkx_restricted_kernelIidLi16ELi32ELi8ELi1ELi1ELb0ELc84ELc76EKPKdKPdEviT_PT9_S5_lS7_S5_lPT10_S5_li.kd
    .uniform_work_group_size: 1
    .uses_dynamic_stack: false
    .vgpr_count:     38
    .vgpr_spill_count: 0
    .wavefront_size: 64
  - .args:
      - .offset:         0
        .size:           4
        .value_kind:     by_value
      - .offset:         4
        .size:           4
        .value_kind:     by_value
      - .address_space:  global
        .offset:         8
        .size:           8
        .value_kind:     global_buffer
      - .offset:         16
        .size:           4
        .value_kind:     by_value
      - .offset:         24
        .size:           8
        .value_kind:     by_value
      - .address_space:  global
        .offset:         32
        .size:           8
        .value_kind:     global_buffer
      - .offset:         40
        .size:           4
        .value_kind:     by_value
      - .offset:         48
        .size:           8
        .value_kind:     by_value
      - .address_space:  global
        .offset:         56
        .size:           8
        .value_kind:     global_buffer
      - .offset:         64
        .size:           4
        .value_kind:     by_value
      - .offset:         72
        .size:           8
        .value_kind:     by_value
      - .offset:         80
        .size:           4
        .value_kind:     by_value
    .group_segment_fixed_size: 4096
    .kernarg_segment_align: 8
    .kernarg_segment_size: 84
    .language:       OpenCL C
    .language_version:
      - 2
      - 0
    .max_flat_workgroup_size: 256
    .name:           _ZL37rocblas_syrkx_herkx_restricted_kernelIidLi16ELi32ELi8ELi1ELi1ELb0ELc67ELc76EKPKdKPdEviT_PT9_S5_lS7_S5_lPT10_S5_li
    .private_segment_fixed_size: 0
    .sgpr_count:     21
    .sgpr_spill_count: 0
    .symbol:         _ZL37rocblas_syrkx_herkx_restricted_kernelIidLi16ELi32ELi8ELi1ELi1ELb0ELc67ELc76EKPKdKPdEviT_PT9_S5_lS7_S5_lPT10_S5_li.kd
    .uniform_work_group_size: 1
    .uses_dynamic_stack: false
    .vgpr_count:     38
    .vgpr_spill_count: 0
    .wavefront_size: 64
  - .args:
      - .offset:         0
        .size:           4
        .value_kind:     by_value
      - .offset:         4
        .size:           4
        .value_kind:     by_value
      - .address_space:  global
        .offset:         8
        .size:           8
        .value_kind:     global_buffer
      - .offset:         16
        .size:           4
        .value_kind:     by_value
      - .offset:         24
        .size:           8
        .value_kind:     by_value
      - .address_space:  global
        .offset:         32
        .size:           8
        .value_kind:     global_buffer
      - .offset:         40
        .size:           4
        .value_kind:     by_value
      - .offset:         48
        .size:           8
        .value_kind:     by_value
      - .address_space:  global
        .offset:         56
        .size:           8
        .value_kind:     global_buffer
      - .offset:         64
        .size:           4
        .value_kind:     by_value
      - .offset:         72
        .size:           8
        .value_kind:     by_value
      - .offset:         80
        .size:           4
        .value_kind:     by_value
    .group_segment_fixed_size: 4096
    .kernarg_segment_align: 8
    .kernarg_segment_size: 84
    .language:       OpenCL C
    .language_version:
      - 2
      - 0
    .max_flat_workgroup_size: 256
    .name:           _ZL37rocblas_syrkx_herkx_restricted_kernelIidLi16ELi32ELi8ELi1ELi1ELb0ELc78ELc76EKPKdKPdEviT_PT9_S5_lS7_S5_lPT10_S5_li
    .private_segment_fixed_size: 0
    .sgpr_count:     24
    .sgpr_spill_count: 0
    .symbol:         _ZL37rocblas_syrkx_herkx_restricted_kernelIidLi16ELi32ELi8ELi1ELi1ELb0ELc78ELc76EKPKdKPdEviT_PT9_S5_lS7_S5_lPT10_S5_li.kd
    .uniform_work_group_size: 1
    .uses_dynamic_stack: false
    .vgpr_count:     38
    .vgpr_spill_count: 0
    .wavefront_size: 64
  - .args:
      - .offset:         0
        .size:           4
        .value_kind:     by_value
      - .offset:         4
        .size:           4
        .value_kind:     by_value
      - .address_space:  global
        .offset:         8
        .size:           8
        .value_kind:     global_buffer
      - .offset:         16
        .size:           4
        .value_kind:     by_value
      - .offset:         24
        .size:           8
        .value_kind:     by_value
      - .address_space:  global
        .offset:         32
        .size:           8
        .value_kind:     global_buffer
      - .offset:         40
        .size:           4
        .value_kind:     by_value
      - .offset:         48
        .size:           8
        .value_kind:     by_value
      - .address_space:  global
        .offset:         56
        .size:           8
        .value_kind:     global_buffer
      - .offset:         64
        .size:           4
        .value_kind:     by_value
      - .offset:         72
        .size:           8
        .value_kind:     by_value
      - .offset:         80
        .size:           4
        .value_kind:     by_value
    .group_segment_fixed_size: 4096
    .kernarg_segment_align: 8
    .kernarg_segment_size: 84
    .language:       OpenCL C
    .language_version:
      - 2
      - 0
    .max_flat_workgroup_size: 256
    .name:           _ZL37rocblas_syrkx_herkx_restricted_kernelIidLi16ELi32ELi8ELi1ELi1ELb0ELc84ELc85EKPKdKPdEviT_PT9_S5_lS7_S5_lPT10_S5_li
    .private_segment_fixed_size: 0
    .sgpr_count:     21
    .sgpr_spill_count: 0
    .symbol:         _ZL37rocblas_syrkx_herkx_restricted_kernelIidLi16ELi32ELi8ELi1ELi1ELb0ELc84ELc85EKPKdKPdEviT_PT9_S5_lS7_S5_lPT10_S5_li.kd
    .uniform_work_group_size: 1
    .uses_dynamic_stack: false
    .vgpr_count:     38
    .vgpr_spill_count: 0
    .wavefront_size: 64
  - .args:
      - .offset:         0
        .size:           4
        .value_kind:     by_value
      - .offset:         4
        .size:           4
        .value_kind:     by_value
      - .address_space:  global
        .offset:         8
        .size:           8
        .value_kind:     global_buffer
      - .offset:         16
        .size:           4
        .value_kind:     by_value
      - .offset:         24
        .size:           8
        .value_kind:     by_value
      - .address_space:  global
        .offset:         32
        .size:           8
        .value_kind:     global_buffer
      - .offset:         40
        .size:           4
        .value_kind:     by_value
      - .offset:         48
        .size:           8
        .value_kind:     by_value
      - .address_space:  global
        .offset:         56
        .size:           8
        .value_kind:     global_buffer
      - .offset:         64
        .size:           4
        .value_kind:     by_value
      - .offset:         72
        .size:           8
        .value_kind:     by_value
      - .offset:         80
        .size:           4
        .value_kind:     by_value
    .group_segment_fixed_size: 4096
    .kernarg_segment_align: 8
    .kernarg_segment_size: 84
    .language:       OpenCL C
    .language_version:
      - 2
      - 0
    .max_flat_workgroup_size: 256
    .name:           _ZL37rocblas_syrkx_herkx_restricted_kernelIidLi16ELi32ELi8ELi1ELi1ELb0ELc67ELc85EKPKdKPdEviT_PT9_S5_lS7_S5_lPT10_S5_li
    .private_segment_fixed_size: 0
    .sgpr_count:     21
    .sgpr_spill_count: 0
    .symbol:         _ZL37rocblas_syrkx_herkx_restricted_kernelIidLi16ELi32ELi8ELi1ELi1ELb0ELc67ELc85EKPKdKPdEviT_PT9_S5_lS7_S5_lPT10_S5_li.kd
    .uniform_work_group_size: 1
    .uses_dynamic_stack: false
    .vgpr_count:     38
    .vgpr_spill_count: 0
    .wavefront_size: 64
  - .args:
      - .offset:         0
        .size:           4
        .value_kind:     by_value
      - .offset:         4
        .size:           4
        .value_kind:     by_value
      - .address_space:  global
        .offset:         8
        .size:           8
        .value_kind:     global_buffer
      - .offset:         16
        .size:           4
        .value_kind:     by_value
      - .offset:         24
        .size:           8
        .value_kind:     by_value
      - .address_space:  global
        .offset:         32
        .size:           8
        .value_kind:     global_buffer
      - .offset:         40
        .size:           4
        .value_kind:     by_value
      - .offset:         48
        .size:           8
        .value_kind:     by_value
      - .address_space:  global
        .offset:         56
        .size:           8
        .value_kind:     global_buffer
      - .offset:         64
        .size:           4
        .value_kind:     by_value
      - .offset:         72
        .size:           8
        .value_kind:     by_value
      - .offset:         80
        .size:           4
        .value_kind:     by_value
    .group_segment_fixed_size: 4096
    .kernarg_segment_align: 8
    .kernarg_segment_size: 84
    .language:       OpenCL C
    .language_version:
      - 2
      - 0
    .max_flat_workgroup_size: 256
    .name:           _ZL37rocblas_syrkx_herkx_restricted_kernelIidLi16ELi32ELi8ELi1ELi1ELb0ELc78ELc85EKPKdKPdEviT_PT9_S5_lS7_S5_lPT10_S5_li
    .private_segment_fixed_size: 0
    .sgpr_count:     24
    .sgpr_spill_count: 0
    .symbol:         _ZL37rocblas_syrkx_herkx_restricted_kernelIidLi16ELi32ELi8ELi1ELi1ELb0ELc78ELc85EKPKdKPdEviT_PT9_S5_lS7_S5_lPT10_S5_li.kd
    .uniform_work_group_size: 1
    .uses_dynamic_stack: false
    .vgpr_count:     38
    .vgpr_spill_count: 0
    .wavefront_size: 64
  - .args:
      - .offset:         0
        .size:           4
        .value_kind:     by_value
      - .offset:         4
        .size:           4
        .value_kind:     by_value
      - .address_space:  global
        .offset:         8
        .size:           8
        .value_kind:     global_buffer
      - .offset:         16
        .size:           4
        .value_kind:     by_value
      - .offset:         24
        .size:           8
        .value_kind:     by_value
      - .address_space:  global
        .offset:         32
        .size:           8
        .value_kind:     global_buffer
      - .offset:         40
        .size:           4
        .value_kind:     by_value
      - .offset:         48
        .size:           8
        .value_kind:     by_value
      - .address_space:  global
        .offset:         56
        .size:           8
        .value_kind:     global_buffer
      - .offset:         64
        .size:           4
        .value_kind:     by_value
      - .offset:         72
        .size:           8
        .value_kind:     by_value
      - .offset:         80
        .size:           4
        .value_kind:     by_value
    .group_segment_fixed_size: 4096
    .kernarg_segment_align: 8
    .kernarg_segment_size: 84
    .language:       OpenCL C
    .language_version:
      - 2
      - 0
    .max_flat_workgroup_size: 256
    .name:           _ZL37rocblas_syrkx_herkx_restricted_kernelIidLi16ELi32ELi8ELi1ELin1ELb0ELc84ELc76EKPKdKPdEviT_PT9_S5_lS7_S5_lPT10_S5_li
    .private_segment_fixed_size: 0
    .sgpr_count:     21
    .sgpr_spill_count: 0
    .symbol:         _ZL37rocblas_syrkx_herkx_restricted_kernelIidLi16ELi32ELi8ELi1ELin1ELb0ELc84ELc76EKPKdKPdEviT_PT9_S5_lS7_S5_lPT10_S5_li.kd
    .uniform_work_group_size: 1
    .uses_dynamic_stack: false
    .vgpr_count:     38
    .vgpr_spill_count: 0
    .wavefront_size: 64
  - .args:
      - .offset:         0
        .size:           4
        .value_kind:     by_value
      - .offset:         4
        .size:           4
        .value_kind:     by_value
      - .address_space:  global
        .offset:         8
        .size:           8
        .value_kind:     global_buffer
      - .offset:         16
        .size:           4
        .value_kind:     by_value
      - .offset:         24
        .size:           8
        .value_kind:     by_value
      - .address_space:  global
        .offset:         32
        .size:           8
        .value_kind:     global_buffer
      - .offset:         40
        .size:           4
        .value_kind:     by_value
      - .offset:         48
        .size:           8
        .value_kind:     by_value
      - .address_space:  global
        .offset:         56
        .size:           8
        .value_kind:     global_buffer
      - .offset:         64
        .size:           4
        .value_kind:     by_value
      - .offset:         72
        .size:           8
        .value_kind:     by_value
      - .offset:         80
        .size:           4
        .value_kind:     by_value
    .group_segment_fixed_size: 4096
    .kernarg_segment_align: 8
    .kernarg_segment_size: 84
    .language:       OpenCL C
    .language_version:
      - 2
      - 0
    .max_flat_workgroup_size: 256
    .name:           _ZL37rocblas_syrkx_herkx_restricted_kernelIidLi16ELi32ELi8ELi1ELin1ELb0ELc67ELc76EKPKdKPdEviT_PT9_S5_lS7_S5_lPT10_S5_li
    .private_segment_fixed_size: 0
    .sgpr_count:     21
    .sgpr_spill_count: 0
    .symbol:         _ZL37rocblas_syrkx_herkx_restricted_kernelIidLi16ELi32ELi8ELi1ELin1ELb0ELc67ELc76EKPKdKPdEviT_PT9_S5_lS7_S5_lPT10_S5_li.kd
    .uniform_work_group_size: 1
    .uses_dynamic_stack: false
    .vgpr_count:     38
    .vgpr_spill_count: 0
    .wavefront_size: 64
  - .args:
      - .offset:         0
        .size:           4
        .value_kind:     by_value
      - .offset:         4
        .size:           4
        .value_kind:     by_value
      - .address_space:  global
        .offset:         8
        .size:           8
        .value_kind:     global_buffer
      - .offset:         16
        .size:           4
        .value_kind:     by_value
      - .offset:         24
        .size:           8
        .value_kind:     by_value
      - .address_space:  global
        .offset:         32
        .size:           8
        .value_kind:     global_buffer
      - .offset:         40
        .size:           4
        .value_kind:     by_value
      - .offset:         48
        .size:           8
        .value_kind:     by_value
      - .address_space:  global
        .offset:         56
        .size:           8
        .value_kind:     global_buffer
      - .offset:         64
        .size:           4
        .value_kind:     by_value
      - .offset:         72
        .size:           8
        .value_kind:     by_value
      - .offset:         80
        .size:           4
        .value_kind:     by_value
    .group_segment_fixed_size: 4096
    .kernarg_segment_align: 8
    .kernarg_segment_size: 84
    .language:       OpenCL C
    .language_version:
      - 2
      - 0
    .max_flat_workgroup_size: 256
    .name:           _ZL37rocblas_syrkx_herkx_restricted_kernelIidLi16ELi32ELi8ELi1ELin1ELb0ELc78ELc76EKPKdKPdEviT_PT9_S5_lS7_S5_lPT10_S5_li
    .private_segment_fixed_size: 0
    .sgpr_count:     24
    .sgpr_spill_count: 0
    .symbol:         _ZL37rocblas_syrkx_herkx_restricted_kernelIidLi16ELi32ELi8ELi1ELin1ELb0ELc78ELc76EKPKdKPdEviT_PT9_S5_lS7_S5_lPT10_S5_li.kd
    .uniform_work_group_size: 1
    .uses_dynamic_stack: false
    .vgpr_count:     38
    .vgpr_spill_count: 0
    .wavefront_size: 64
  - .args:
      - .offset:         0
        .size:           4
        .value_kind:     by_value
      - .offset:         4
        .size:           4
        .value_kind:     by_value
      - .address_space:  global
        .offset:         8
        .size:           8
        .value_kind:     global_buffer
      - .offset:         16
        .size:           4
        .value_kind:     by_value
      - .offset:         24
        .size:           8
        .value_kind:     by_value
      - .address_space:  global
        .offset:         32
        .size:           8
        .value_kind:     global_buffer
      - .offset:         40
        .size:           4
        .value_kind:     by_value
      - .offset:         48
        .size:           8
        .value_kind:     by_value
      - .address_space:  global
        .offset:         56
        .size:           8
        .value_kind:     global_buffer
      - .offset:         64
        .size:           4
        .value_kind:     by_value
      - .offset:         72
        .size:           8
        .value_kind:     by_value
      - .offset:         80
        .size:           4
        .value_kind:     by_value
    .group_segment_fixed_size: 4096
    .kernarg_segment_align: 8
    .kernarg_segment_size: 84
    .language:       OpenCL C
    .language_version:
      - 2
      - 0
    .max_flat_workgroup_size: 256
    .name:           _ZL37rocblas_syrkx_herkx_restricted_kernelIidLi16ELi32ELi8ELi1ELin1ELb0ELc84ELc85EKPKdKPdEviT_PT9_S5_lS7_S5_lPT10_S5_li
    .private_segment_fixed_size: 0
    .sgpr_count:     21
    .sgpr_spill_count: 0
    .symbol:         _ZL37rocblas_syrkx_herkx_restricted_kernelIidLi16ELi32ELi8ELi1ELin1ELb0ELc84ELc85EKPKdKPdEviT_PT9_S5_lS7_S5_lPT10_S5_li.kd
    .uniform_work_group_size: 1
    .uses_dynamic_stack: false
    .vgpr_count:     38
    .vgpr_spill_count: 0
    .wavefront_size: 64
  - .args:
      - .offset:         0
        .size:           4
        .value_kind:     by_value
      - .offset:         4
        .size:           4
        .value_kind:     by_value
      - .address_space:  global
        .offset:         8
        .size:           8
        .value_kind:     global_buffer
      - .offset:         16
        .size:           4
        .value_kind:     by_value
      - .offset:         24
        .size:           8
        .value_kind:     by_value
      - .address_space:  global
        .offset:         32
        .size:           8
        .value_kind:     global_buffer
      - .offset:         40
        .size:           4
        .value_kind:     by_value
      - .offset:         48
        .size:           8
        .value_kind:     by_value
      - .address_space:  global
        .offset:         56
        .size:           8
        .value_kind:     global_buffer
      - .offset:         64
        .size:           4
        .value_kind:     by_value
      - .offset:         72
        .size:           8
        .value_kind:     by_value
      - .offset:         80
        .size:           4
        .value_kind:     by_value
    .group_segment_fixed_size: 4096
    .kernarg_segment_align: 8
    .kernarg_segment_size: 84
    .language:       OpenCL C
    .language_version:
      - 2
      - 0
    .max_flat_workgroup_size: 256
    .name:           _ZL37rocblas_syrkx_herkx_restricted_kernelIidLi16ELi32ELi8ELi1ELin1ELb0ELc67ELc85EKPKdKPdEviT_PT9_S5_lS7_S5_lPT10_S5_li
    .private_segment_fixed_size: 0
    .sgpr_count:     21
    .sgpr_spill_count: 0
    .symbol:         _ZL37rocblas_syrkx_herkx_restricted_kernelIidLi16ELi32ELi8ELi1ELin1ELb0ELc67ELc85EKPKdKPdEviT_PT9_S5_lS7_S5_lPT10_S5_li.kd
    .uniform_work_group_size: 1
    .uses_dynamic_stack: false
    .vgpr_count:     38
    .vgpr_spill_count: 0
    .wavefront_size: 64
  - .args:
      - .offset:         0
        .size:           4
        .value_kind:     by_value
      - .offset:         4
        .size:           4
        .value_kind:     by_value
      - .address_space:  global
        .offset:         8
        .size:           8
        .value_kind:     global_buffer
      - .offset:         16
        .size:           4
        .value_kind:     by_value
      - .offset:         24
        .size:           8
        .value_kind:     by_value
      - .address_space:  global
        .offset:         32
        .size:           8
        .value_kind:     global_buffer
      - .offset:         40
        .size:           4
        .value_kind:     by_value
      - .offset:         48
        .size:           8
        .value_kind:     by_value
      - .address_space:  global
        .offset:         56
        .size:           8
        .value_kind:     global_buffer
      - .offset:         64
        .size:           4
        .value_kind:     by_value
      - .offset:         72
        .size:           8
        .value_kind:     by_value
      - .offset:         80
        .size:           4
        .value_kind:     by_value
    .group_segment_fixed_size: 4096
    .kernarg_segment_align: 8
    .kernarg_segment_size: 84
    .language:       OpenCL C
    .language_version:
      - 2
      - 0
    .max_flat_workgroup_size: 256
    .name:           _ZL37rocblas_syrkx_herkx_restricted_kernelIidLi16ELi32ELi8ELi1ELin1ELb0ELc78ELc85EKPKdKPdEviT_PT9_S5_lS7_S5_lPT10_S5_li
    .private_segment_fixed_size: 0
    .sgpr_count:     24
    .sgpr_spill_count: 0
    .symbol:         _ZL37rocblas_syrkx_herkx_restricted_kernelIidLi16ELi32ELi8ELi1ELin1ELb0ELc78ELc85EKPKdKPdEviT_PT9_S5_lS7_S5_lPT10_S5_li.kd
    .uniform_work_group_size: 1
    .uses_dynamic_stack: false
    .vgpr_count:     38
    .vgpr_spill_count: 0
    .wavefront_size: 64
  - .args:
      - .offset:         0
        .size:           4
        .value_kind:     by_value
      - .offset:         4
        .size:           4
        .value_kind:     by_value
      - .address_space:  global
        .offset:         8
        .size:           8
        .value_kind:     global_buffer
      - .offset:         16
        .size:           4
        .value_kind:     by_value
      - .offset:         24
        .size:           8
        .value_kind:     by_value
      - .address_space:  global
        .offset:         32
        .size:           8
        .value_kind:     global_buffer
      - .offset:         40
        .size:           4
        .value_kind:     by_value
      - .offset:         48
        .size:           8
        .value_kind:     by_value
      - .address_space:  global
        .offset:         56
        .size:           8
        .value_kind:     global_buffer
      - .offset:         64
        .size:           4
        .value_kind:     by_value
      - .offset:         72
        .size:           8
        .value_kind:     by_value
      - .offset:         80
        .size:           4
        .value_kind:     by_value
    .group_segment_fixed_size: 4096
    .kernarg_segment_align: 8
    .kernarg_segment_size: 84
    .language:       OpenCL C
    .language_version:
      - 2
      - 0
    .max_flat_workgroup_size: 256
    .name:           _ZL37rocblas_syrkx_herkx_restricted_kernelIidLi16ELi32ELi8ELi1ELi0ELb0ELc84ELc76EKPKdKPdEviT_PT9_S5_lS7_S5_lPT10_S5_li
    .private_segment_fixed_size: 0
    .sgpr_count:     21
    .sgpr_spill_count: 0
    .symbol:         _ZL37rocblas_syrkx_herkx_restricted_kernelIidLi16ELi32ELi8ELi1ELi0ELb0ELc84ELc76EKPKdKPdEviT_PT9_S5_lS7_S5_lPT10_S5_li.kd
    .uniform_work_group_size: 1
    .uses_dynamic_stack: false
    .vgpr_count:     38
    .vgpr_spill_count: 0
    .wavefront_size: 64
  - .args:
      - .offset:         0
        .size:           4
        .value_kind:     by_value
      - .offset:         4
        .size:           4
        .value_kind:     by_value
      - .address_space:  global
        .offset:         8
        .size:           8
        .value_kind:     global_buffer
      - .offset:         16
        .size:           4
        .value_kind:     by_value
      - .offset:         24
        .size:           8
        .value_kind:     by_value
      - .address_space:  global
        .offset:         32
        .size:           8
        .value_kind:     global_buffer
      - .offset:         40
        .size:           4
        .value_kind:     by_value
      - .offset:         48
        .size:           8
        .value_kind:     by_value
      - .address_space:  global
        .offset:         56
        .size:           8
        .value_kind:     global_buffer
      - .offset:         64
        .size:           4
        .value_kind:     by_value
      - .offset:         72
        .size:           8
        .value_kind:     by_value
      - .offset:         80
        .size:           4
        .value_kind:     by_value
    .group_segment_fixed_size: 4096
    .kernarg_segment_align: 8
    .kernarg_segment_size: 84
    .language:       OpenCL C
    .language_version:
      - 2
      - 0
    .max_flat_workgroup_size: 256
    .name:           _ZL37rocblas_syrkx_herkx_restricted_kernelIidLi16ELi32ELi8ELi1ELi0ELb0ELc67ELc76EKPKdKPdEviT_PT9_S5_lS7_S5_lPT10_S5_li
    .private_segment_fixed_size: 0
    .sgpr_count:     21
    .sgpr_spill_count: 0
    .symbol:         _ZL37rocblas_syrkx_herkx_restricted_kernelIidLi16ELi32ELi8ELi1ELi0ELb0ELc67ELc76EKPKdKPdEviT_PT9_S5_lS7_S5_lPT10_S5_li.kd
    .uniform_work_group_size: 1
    .uses_dynamic_stack: false
    .vgpr_count:     38
    .vgpr_spill_count: 0
    .wavefront_size: 64
  - .args:
      - .offset:         0
        .size:           4
        .value_kind:     by_value
      - .offset:         4
        .size:           4
        .value_kind:     by_value
      - .address_space:  global
        .offset:         8
        .size:           8
        .value_kind:     global_buffer
      - .offset:         16
        .size:           4
        .value_kind:     by_value
      - .offset:         24
        .size:           8
        .value_kind:     by_value
      - .address_space:  global
        .offset:         32
        .size:           8
        .value_kind:     global_buffer
      - .offset:         40
        .size:           4
        .value_kind:     by_value
      - .offset:         48
        .size:           8
        .value_kind:     by_value
      - .address_space:  global
        .offset:         56
        .size:           8
        .value_kind:     global_buffer
      - .offset:         64
        .size:           4
        .value_kind:     by_value
      - .offset:         72
        .size:           8
        .value_kind:     by_value
      - .offset:         80
        .size:           4
        .value_kind:     by_value
    .group_segment_fixed_size: 4096
    .kernarg_segment_align: 8
    .kernarg_segment_size: 84
    .language:       OpenCL C
    .language_version:
      - 2
      - 0
    .max_flat_workgroup_size: 256
    .name:           _ZL37rocblas_syrkx_herkx_restricted_kernelIidLi16ELi32ELi8ELi1ELi0ELb0ELc78ELc76EKPKdKPdEviT_PT9_S5_lS7_S5_lPT10_S5_li
    .private_segment_fixed_size: 0
    .sgpr_count:     24
    .sgpr_spill_count: 0
    .symbol:         _ZL37rocblas_syrkx_herkx_restricted_kernelIidLi16ELi32ELi8ELi1ELi0ELb0ELc78ELc76EKPKdKPdEviT_PT9_S5_lS7_S5_lPT10_S5_li.kd
    .uniform_work_group_size: 1
    .uses_dynamic_stack: false
    .vgpr_count:     38
    .vgpr_spill_count: 0
    .wavefront_size: 64
  - .args:
      - .offset:         0
        .size:           4
        .value_kind:     by_value
      - .offset:         4
        .size:           4
        .value_kind:     by_value
      - .address_space:  global
        .offset:         8
        .size:           8
        .value_kind:     global_buffer
      - .offset:         16
        .size:           4
        .value_kind:     by_value
      - .offset:         24
        .size:           8
        .value_kind:     by_value
      - .address_space:  global
        .offset:         32
        .size:           8
        .value_kind:     global_buffer
      - .offset:         40
        .size:           4
        .value_kind:     by_value
      - .offset:         48
        .size:           8
        .value_kind:     by_value
      - .address_space:  global
        .offset:         56
        .size:           8
        .value_kind:     global_buffer
      - .offset:         64
        .size:           4
        .value_kind:     by_value
      - .offset:         72
        .size:           8
        .value_kind:     by_value
      - .offset:         80
        .size:           4
        .value_kind:     by_value
    .group_segment_fixed_size: 4096
    .kernarg_segment_align: 8
    .kernarg_segment_size: 84
    .language:       OpenCL C
    .language_version:
      - 2
      - 0
    .max_flat_workgroup_size: 256
    .name:           _ZL37rocblas_syrkx_herkx_restricted_kernelIidLi16ELi32ELi8ELi1ELi0ELb0ELc84ELc85EKPKdKPdEviT_PT9_S5_lS7_S5_lPT10_S5_li
    .private_segment_fixed_size: 0
    .sgpr_count:     21
    .sgpr_spill_count: 0
    .symbol:         _ZL37rocblas_syrkx_herkx_restricted_kernelIidLi16ELi32ELi8ELi1ELi0ELb0ELc84ELc85EKPKdKPdEviT_PT9_S5_lS7_S5_lPT10_S5_li.kd
    .uniform_work_group_size: 1
    .uses_dynamic_stack: false
    .vgpr_count:     38
    .vgpr_spill_count: 0
    .wavefront_size: 64
  - .args:
      - .offset:         0
        .size:           4
        .value_kind:     by_value
      - .offset:         4
        .size:           4
        .value_kind:     by_value
      - .address_space:  global
        .offset:         8
        .size:           8
        .value_kind:     global_buffer
      - .offset:         16
        .size:           4
        .value_kind:     by_value
      - .offset:         24
        .size:           8
        .value_kind:     by_value
      - .address_space:  global
        .offset:         32
        .size:           8
        .value_kind:     global_buffer
      - .offset:         40
        .size:           4
        .value_kind:     by_value
      - .offset:         48
        .size:           8
        .value_kind:     by_value
      - .address_space:  global
        .offset:         56
        .size:           8
        .value_kind:     global_buffer
      - .offset:         64
        .size:           4
        .value_kind:     by_value
      - .offset:         72
        .size:           8
        .value_kind:     by_value
      - .offset:         80
        .size:           4
        .value_kind:     by_value
    .group_segment_fixed_size: 4096
    .kernarg_segment_align: 8
    .kernarg_segment_size: 84
    .language:       OpenCL C
    .language_version:
      - 2
      - 0
    .max_flat_workgroup_size: 256
    .name:           _ZL37rocblas_syrkx_herkx_restricted_kernelIidLi16ELi32ELi8ELi1ELi0ELb0ELc67ELc85EKPKdKPdEviT_PT9_S5_lS7_S5_lPT10_S5_li
    .private_segment_fixed_size: 0
    .sgpr_count:     21
    .sgpr_spill_count: 0
    .symbol:         _ZL37rocblas_syrkx_herkx_restricted_kernelIidLi16ELi32ELi8ELi1ELi0ELb0ELc67ELc85EKPKdKPdEviT_PT9_S5_lS7_S5_lPT10_S5_li.kd
    .uniform_work_group_size: 1
    .uses_dynamic_stack: false
    .vgpr_count:     38
    .vgpr_spill_count: 0
    .wavefront_size: 64
  - .args:
      - .offset:         0
        .size:           4
        .value_kind:     by_value
      - .offset:         4
        .size:           4
        .value_kind:     by_value
      - .address_space:  global
        .offset:         8
        .size:           8
        .value_kind:     global_buffer
      - .offset:         16
        .size:           4
        .value_kind:     by_value
      - .offset:         24
        .size:           8
        .value_kind:     by_value
      - .address_space:  global
        .offset:         32
        .size:           8
        .value_kind:     global_buffer
      - .offset:         40
        .size:           4
        .value_kind:     by_value
      - .offset:         48
        .size:           8
        .value_kind:     by_value
      - .address_space:  global
        .offset:         56
        .size:           8
        .value_kind:     global_buffer
      - .offset:         64
        .size:           4
        .value_kind:     by_value
      - .offset:         72
        .size:           8
        .value_kind:     by_value
      - .offset:         80
        .size:           4
        .value_kind:     by_value
    .group_segment_fixed_size: 4096
    .kernarg_segment_align: 8
    .kernarg_segment_size: 84
    .language:       OpenCL C
    .language_version:
      - 2
      - 0
    .max_flat_workgroup_size: 256
    .name:           _ZL37rocblas_syrkx_herkx_restricted_kernelIidLi16ELi32ELi8ELi1ELi0ELb0ELc78ELc85EKPKdKPdEviT_PT9_S5_lS7_S5_lPT10_S5_li
    .private_segment_fixed_size: 0
    .sgpr_count:     24
    .sgpr_spill_count: 0
    .symbol:         _ZL37rocblas_syrkx_herkx_restricted_kernelIidLi16ELi32ELi8ELi1ELi0ELb0ELc78ELc85EKPKdKPdEviT_PT9_S5_lS7_S5_lPT10_S5_li.kd
    .uniform_work_group_size: 1
    .uses_dynamic_stack: false
    .vgpr_count:     38
    .vgpr_spill_count: 0
    .wavefront_size: 64
  - .args:
      - .offset:         0
        .size:           4
        .value_kind:     by_value
      - .offset:         4
        .size:           4
        .value_kind:     by_value
      - .address_space:  global
        .offset:         8
        .size:           8
        .value_kind:     global_buffer
      - .offset:         16
        .size:           4
        .value_kind:     by_value
      - .offset:         24
        .size:           8
        .value_kind:     by_value
      - .address_space:  global
        .offset:         32
        .size:           8
        .value_kind:     global_buffer
      - .offset:         40
        .size:           4
        .value_kind:     by_value
      - .offset:         48
        .size:           8
        .value_kind:     by_value
      - .address_space:  global
        .offset:         56
        .size:           8
        .value_kind:     global_buffer
      - .offset:         64
        .size:           4
        .value_kind:     by_value
      - .offset:         72
        .size:           8
        .value_kind:     by_value
      - .offset:         80
        .size:           4
        .value_kind:     by_value
    .group_segment_fixed_size: 4096
    .kernarg_segment_align: 8
    .kernarg_segment_size: 84
    .language:       OpenCL C
    .language_version:
      - 2
      - 0
    .max_flat_workgroup_size: 256
    .name:           _ZL37rocblas_syrkx_herkx_restricted_kernelIidLi16ELi32ELi8ELin1ELi0ELb0ELc84ELc76EKPKdKPdEviT_PT9_S5_lS7_S5_lPT10_S5_li
    .private_segment_fixed_size: 0
    .sgpr_count:     21
    .sgpr_spill_count: 0
    .symbol:         _ZL37rocblas_syrkx_herkx_restricted_kernelIidLi16ELi32ELi8ELin1ELi0ELb0ELc84ELc76EKPKdKPdEviT_PT9_S5_lS7_S5_lPT10_S5_li.kd
    .uniform_work_group_size: 1
    .uses_dynamic_stack: false
    .vgpr_count:     38
    .vgpr_spill_count: 0
    .wavefront_size: 64
  - .args:
      - .offset:         0
        .size:           4
        .value_kind:     by_value
      - .offset:         4
        .size:           4
        .value_kind:     by_value
      - .address_space:  global
        .offset:         8
        .size:           8
        .value_kind:     global_buffer
      - .offset:         16
        .size:           4
        .value_kind:     by_value
      - .offset:         24
        .size:           8
        .value_kind:     by_value
      - .address_space:  global
        .offset:         32
        .size:           8
        .value_kind:     global_buffer
      - .offset:         40
        .size:           4
        .value_kind:     by_value
      - .offset:         48
        .size:           8
        .value_kind:     by_value
      - .address_space:  global
        .offset:         56
        .size:           8
        .value_kind:     global_buffer
      - .offset:         64
        .size:           4
        .value_kind:     by_value
      - .offset:         72
        .size:           8
        .value_kind:     by_value
      - .offset:         80
        .size:           4
        .value_kind:     by_value
    .group_segment_fixed_size: 4096
    .kernarg_segment_align: 8
    .kernarg_segment_size: 84
    .language:       OpenCL C
    .language_version:
      - 2
      - 0
    .max_flat_workgroup_size: 256
    .name:           _ZL37rocblas_syrkx_herkx_restricted_kernelIidLi16ELi32ELi8ELin1ELi0ELb0ELc67ELc76EKPKdKPdEviT_PT9_S5_lS7_S5_lPT10_S5_li
    .private_segment_fixed_size: 0
    .sgpr_count:     21
    .sgpr_spill_count: 0
    .symbol:         _ZL37rocblas_syrkx_herkx_restricted_kernelIidLi16ELi32ELi8ELin1ELi0ELb0ELc67ELc76EKPKdKPdEviT_PT9_S5_lS7_S5_lPT10_S5_li.kd
    .uniform_work_group_size: 1
    .uses_dynamic_stack: false
    .vgpr_count:     38
    .vgpr_spill_count: 0
    .wavefront_size: 64
  - .args:
      - .offset:         0
        .size:           4
        .value_kind:     by_value
      - .offset:         4
        .size:           4
        .value_kind:     by_value
      - .address_space:  global
        .offset:         8
        .size:           8
        .value_kind:     global_buffer
      - .offset:         16
        .size:           4
        .value_kind:     by_value
      - .offset:         24
        .size:           8
        .value_kind:     by_value
      - .address_space:  global
        .offset:         32
        .size:           8
        .value_kind:     global_buffer
      - .offset:         40
        .size:           4
        .value_kind:     by_value
      - .offset:         48
        .size:           8
        .value_kind:     by_value
      - .address_space:  global
        .offset:         56
        .size:           8
        .value_kind:     global_buffer
      - .offset:         64
        .size:           4
        .value_kind:     by_value
      - .offset:         72
        .size:           8
        .value_kind:     by_value
      - .offset:         80
        .size:           4
        .value_kind:     by_value
    .group_segment_fixed_size: 4096
    .kernarg_segment_align: 8
    .kernarg_segment_size: 84
    .language:       OpenCL C
    .language_version:
      - 2
      - 0
    .max_flat_workgroup_size: 256
    .name:           _ZL37rocblas_syrkx_herkx_restricted_kernelIidLi16ELi32ELi8ELin1ELi0ELb0ELc78ELc76EKPKdKPdEviT_PT9_S5_lS7_S5_lPT10_S5_li
    .private_segment_fixed_size: 0
    .sgpr_count:     24
    .sgpr_spill_count: 0
    .symbol:         _ZL37rocblas_syrkx_herkx_restricted_kernelIidLi16ELi32ELi8ELin1ELi0ELb0ELc78ELc76EKPKdKPdEviT_PT9_S5_lS7_S5_lPT10_S5_li.kd
    .uniform_work_group_size: 1
    .uses_dynamic_stack: false
    .vgpr_count:     38
    .vgpr_spill_count: 0
    .wavefront_size: 64
  - .args:
      - .offset:         0
        .size:           4
        .value_kind:     by_value
      - .offset:         4
        .size:           4
        .value_kind:     by_value
      - .address_space:  global
        .offset:         8
        .size:           8
        .value_kind:     global_buffer
      - .offset:         16
        .size:           4
        .value_kind:     by_value
      - .offset:         24
        .size:           8
        .value_kind:     by_value
      - .address_space:  global
        .offset:         32
        .size:           8
        .value_kind:     global_buffer
      - .offset:         40
        .size:           4
        .value_kind:     by_value
      - .offset:         48
        .size:           8
        .value_kind:     by_value
      - .address_space:  global
        .offset:         56
        .size:           8
        .value_kind:     global_buffer
      - .offset:         64
        .size:           4
        .value_kind:     by_value
      - .offset:         72
        .size:           8
        .value_kind:     by_value
      - .offset:         80
        .size:           4
        .value_kind:     by_value
    .group_segment_fixed_size: 4096
    .kernarg_segment_align: 8
    .kernarg_segment_size: 84
    .language:       OpenCL C
    .language_version:
      - 2
      - 0
    .max_flat_workgroup_size: 256
    .name:           _ZL37rocblas_syrkx_herkx_restricted_kernelIidLi16ELi32ELi8ELin1ELi0ELb0ELc84ELc85EKPKdKPdEviT_PT9_S5_lS7_S5_lPT10_S5_li
    .private_segment_fixed_size: 0
    .sgpr_count:     21
    .sgpr_spill_count: 0
    .symbol:         _ZL37rocblas_syrkx_herkx_restricted_kernelIidLi16ELi32ELi8ELin1ELi0ELb0ELc84ELc85EKPKdKPdEviT_PT9_S5_lS7_S5_lPT10_S5_li.kd
    .uniform_work_group_size: 1
    .uses_dynamic_stack: false
    .vgpr_count:     38
    .vgpr_spill_count: 0
    .wavefront_size: 64
  - .args:
      - .offset:         0
        .size:           4
        .value_kind:     by_value
      - .offset:         4
        .size:           4
        .value_kind:     by_value
      - .address_space:  global
        .offset:         8
        .size:           8
        .value_kind:     global_buffer
      - .offset:         16
        .size:           4
        .value_kind:     by_value
      - .offset:         24
        .size:           8
        .value_kind:     by_value
      - .address_space:  global
        .offset:         32
        .size:           8
        .value_kind:     global_buffer
      - .offset:         40
        .size:           4
        .value_kind:     by_value
      - .offset:         48
        .size:           8
        .value_kind:     by_value
      - .address_space:  global
        .offset:         56
        .size:           8
        .value_kind:     global_buffer
      - .offset:         64
        .size:           4
        .value_kind:     by_value
      - .offset:         72
        .size:           8
        .value_kind:     by_value
      - .offset:         80
        .size:           4
        .value_kind:     by_value
    .group_segment_fixed_size: 4096
    .kernarg_segment_align: 8
    .kernarg_segment_size: 84
    .language:       OpenCL C
    .language_version:
      - 2
      - 0
    .max_flat_workgroup_size: 256
    .name:           _ZL37rocblas_syrkx_herkx_restricted_kernelIidLi16ELi32ELi8ELin1ELi0ELb0ELc67ELc85EKPKdKPdEviT_PT9_S5_lS7_S5_lPT10_S5_li
    .private_segment_fixed_size: 0
    .sgpr_count:     21
    .sgpr_spill_count: 0
    .symbol:         _ZL37rocblas_syrkx_herkx_restricted_kernelIidLi16ELi32ELi8ELin1ELi0ELb0ELc67ELc85EKPKdKPdEviT_PT9_S5_lS7_S5_lPT10_S5_li.kd
    .uniform_work_group_size: 1
    .uses_dynamic_stack: false
    .vgpr_count:     38
    .vgpr_spill_count: 0
    .wavefront_size: 64
  - .args:
      - .offset:         0
        .size:           4
        .value_kind:     by_value
      - .offset:         4
        .size:           4
        .value_kind:     by_value
      - .address_space:  global
        .offset:         8
        .size:           8
        .value_kind:     global_buffer
      - .offset:         16
        .size:           4
        .value_kind:     by_value
      - .offset:         24
        .size:           8
        .value_kind:     by_value
      - .address_space:  global
        .offset:         32
        .size:           8
        .value_kind:     global_buffer
      - .offset:         40
        .size:           4
        .value_kind:     by_value
      - .offset:         48
        .size:           8
        .value_kind:     by_value
      - .address_space:  global
        .offset:         56
        .size:           8
        .value_kind:     global_buffer
      - .offset:         64
        .size:           4
        .value_kind:     by_value
      - .offset:         72
        .size:           8
        .value_kind:     by_value
      - .offset:         80
        .size:           4
        .value_kind:     by_value
    .group_segment_fixed_size: 4096
    .kernarg_segment_align: 8
    .kernarg_segment_size: 84
    .language:       OpenCL C
    .language_version:
      - 2
      - 0
    .max_flat_workgroup_size: 256
    .name:           _ZL37rocblas_syrkx_herkx_restricted_kernelIidLi16ELi32ELi8ELin1ELi0ELb0ELc78ELc85EKPKdKPdEviT_PT9_S5_lS7_S5_lPT10_S5_li
    .private_segment_fixed_size: 0
    .sgpr_count:     24
    .sgpr_spill_count: 0
    .symbol:         _ZL37rocblas_syrkx_herkx_restricted_kernelIidLi16ELi32ELi8ELin1ELi0ELb0ELc78ELc85EKPKdKPdEviT_PT9_S5_lS7_S5_lPT10_S5_li.kd
    .uniform_work_group_size: 1
    .uses_dynamic_stack: false
    .vgpr_count:     38
    .vgpr_spill_count: 0
    .wavefront_size: 64
  - .args:
      - .offset:         0
        .size:           4
        .value_kind:     by_value
      - .offset:         4
        .size:           4
        .value_kind:     by_value
      - .offset:         8
        .size:           8
        .value_kind:     by_value
      - .address_space:  global
        .offset:         16
        .size:           8
        .value_kind:     global_buffer
      - .offset:         24
        .size:           4
        .value_kind:     by_value
      - .offset:         32
        .size:           8
        .value_kind:     by_value
      - .address_space:  global
        .offset:         40
        .size:           8
        .value_kind:     global_buffer
      - .offset:         48
        .size:           4
        .value_kind:     by_value
      - .offset:         56
        .size:           8
        .value_kind:     by_value
      - .offset:         64
        .size:           8
        .value_kind:     by_value
      - .address_space:  global
        .offset:         72
        .size:           8
        .value_kind:     global_buffer
      - .offset:         80
        .size:           4
        .value_kind:     by_value
      - .offset:         88
        .size:           8
        .value_kind:     by_value
      - .offset:         96
        .size:           4
        .value_kind:     by_value
    .group_segment_fixed_size: 4096
    .kernarg_segment_align: 8
    .kernarg_segment_size: 100
    .language:       OpenCL C
    .language_version:
      - 2
      - 0
    .max_flat_workgroup_size: 256
    .name:           _ZL37rocblas_syrkx_herkx_restricted_kernelIidLi16ELi32ELi8ELb1ELb0ELc84ELc76EKPKdKPdEviT_T0_PT8_S5_lS8_S5_lS6_PT9_S5_li
    .private_segment_fixed_size: 0
    .sgpr_count:     23
    .sgpr_spill_count: 0
    .symbol:         _ZL37rocblas_syrkx_herkx_restricted_kernelIidLi16ELi32ELi8ELb1ELb0ELc84ELc76EKPKdKPdEviT_T0_PT8_S5_lS8_S5_lS6_PT9_S5_li.kd
    .uniform_work_group_size: 1
    .uses_dynamic_stack: false
    .vgpr_count:     36
    .vgpr_spill_count: 0
    .wavefront_size: 64
  - .args:
      - .offset:         0
        .size:           4
        .value_kind:     by_value
      - .offset:         4
        .size:           4
        .value_kind:     by_value
      - .offset:         8
        .size:           8
        .value_kind:     by_value
      - .address_space:  global
        .offset:         16
        .size:           8
        .value_kind:     global_buffer
      - .offset:         24
        .size:           4
        .value_kind:     by_value
      - .offset:         32
        .size:           8
        .value_kind:     by_value
      - .address_space:  global
        .offset:         40
        .size:           8
        .value_kind:     global_buffer
      - .offset:         48
        .size:           4
        .value_kind:     by_value
      - .offset:         56
        .size:           8
        .value_kind:     by_value
      - .offset:         64
        .size:           8
        .value_kind:     by_value
      - .address_space:  global
        .offset:         72
        .size:           8
        .value_kind:     global_buffer
      - .offset:         80
        .size:           4
        .value_kind:     by_value
      - .offset:         88
        .size:           8
        .value_kind:     by_value
      - .offset:         96
        .size:           4
        .value_kind:     by_value
    .group_segment_fixed_size: 4096
    .kernarg_segment_align: 8
    .kernarg_segment_size: 100
    .language:       OpenCL C
    .language_version:
      - 2
      - 0
    .max_flat_workgroup_size: 256
    .name:           _ZL37rocblas_syrkx_herkx_restricted_kernelIidLi16ELi32ELi8ELb1ELb0ELc67ELc76EKPKdKPdEviT_T0_PT8_S5_lS8_S5_lS6_PT9_S5_li
    .private_segment_fixed_size: 0
    .sgpr_count:     23
    .sgpr_spill_count: 0
    .symbol:         _ZL37rocblas_syrkx_herkx_restricted_kernelIidLi16ELi32ELi8ELb1ELb0ELc67ELc76EKPKdKPdEviT_T0_PT8_S5_lS8_S5_lS6_PT9_S5_li.kd
    .uniform_work_group_size: 1
    .uses_dynamic_stack: false
    .vgpr_count:     36
    .vgpr_spill_count: 0
    .wavefront_size: 64
  - .args:
      - .offset:         0
        .size:           4
        .value_kind:     by_value
      - .offset:         4
        .size:           4
        .value_kind:     by_value
      - .offset:         8
        .size:           8
        .value_kind:     by_value
      - .address_space:  global
        .offset:         16
        .size:           8
        .value_kind:     global_buffer
      - .offset:         24
        .size:           4
        .value_kind:     by_value
      - .offset:         32
        .size:           8
        .value_kind:     by_value
      - .address_space:  global
        .offset:         40
        .size:           8
        .value_kind:     global_buffer
      - .offset:         48
        .size:           4
        .value_kind:     by_value
      - .offset:         56
        .size:           8
        .value_kind:     by_value
      - .offset:         64
        .size:           8
        .value_kind:     by_value
      - .address_space:  global
        .offset:         72
        .size:           8
        .value_kind:     global_buffer
      - .offset:         80
        .size:           4
        .value_kind:     by_value
      - .offset:         88
        .size:           8
        .value_kind:     by_value
      - .offset:         96
        .size:           4
        .value_kind:     by_value
    .group_segment_fixed_size: 4096
    .kernarg_segment_align: 8
    .kernarg_segment_size: 100
    .language:       OpenCL C
    .language_version:
      - 2
      - 0
    .max_flat_workgroup_size: 256
    .name:           _ZL37rocblas_syrkx_herkx_restricted_kernelIidLi16ELi32ELi8ELb1ELb0ELc78ELc76EKPKdKPdEviT_T0_PT8_S5_lS8_S5_lS6_PT9_S5_li
    .private_segment_fixed_size: 0
    .sgpr_count:     26
    .sgpr_spill_count: 0
    .symbol:         _ZL37rocblas_syrkx_herkx_restricted_kernelIidLi16ELi32ELi8ELb1ELb0ELc78ELc76EKPKdKPdEviT_T0_PT8_S5_lS8_S5_lS6_PT9_S5_li.kd
    .uniform_work_group_size: 1
    .uses_dynamic_stack: false
    .vgpr_count:     38
    .vgpr_spill_count: 0
    .wavefront_size: 64
  - .args:
      - .offset:         0
        .size:           4
        .value_kind:     by_value
      - .offset:         4
        .size:           4
        .value_kind:     by_value
      - .offset:         8
        .size:           8
        .value_kind:     by_value
      - .address_space:  global
        .offset:         16
        .size:           8
        .value_kind:     global_buffer
      - .offset:         24
        .size:           4
        .value_kind:     by_value
      - .offset:         32
        .size:           8
        .value_kind:     by_value
      - .address_space:  global
        .offset:         40
        .size:           8
        .value_kind:     global_buffer
      - .offset:         48
        .size:           4
        .value_kind:     by_value
      - .offset:         56
        .size:           8
        .value_kind:     by_value
      - .offset:         64
        .size:           8
        .value_kind:     by_value
      - .address_space:  global
        .offset:         72
        .size:           8
        .value_kind:     global_buffer
      - .offset:         80
        .size:           4
        .value_kind:     by_value
      - .offset:         88
        .size:           8
        .value_kind:     by_value
      - .offset:         96
        .size:           4
        .value_kind:     by_value
    .group_segment_fixed_size: 4096
    .kernarg_segment_align: 8
    .kernarg_segment_size: 100
    .language:       OpenCL C
    .language_version:
      - 2
      - 0
    .max_flat_workgroup_size: 256
    .name:           _ZL37rocblas_syrkx_herkx_restricted_kernelIidLi16ELi32ELi8ELb1ELb0ELc84ELc85EKPKdKPdEviT_T0_PT8_S5_lS8_S5_lS6_PT9_S5_li
    .private_segment_fixed_size: 0
    .sgpr_count:     23
    .sgpr_spill_count: 0
    .symbol:         _ZL37rocblas_syrkx_herkx_restricted_kernelIidLi16ELi32ELi8ELb1ELb0ELc84ELc85EKPKdKPdEviT_T0_PT8_S5_lS8_S5_lS6_PT9_S5_li.kd
    .uniform_work_group_size: 1
    .uses_dynamic_stack: false
    .vgpr_count:     38
    .vgpr_spill_count: 0
    .wavefront_size: 64
  - .args:
      - .offset:         0
        .size:           4
        .value_kind:     by_value
      - .offset:         4
        .size:           4
        .value_kind:     by_value
      - .offset:         8
        .size:           8
        .value_kind:     by_value
      - .address_space:  global
        .offset:         16
        .size:           8
        .value_kind:     global_buffer
      - .offset:         24
        .size:           4
        .value_kind:     by_value
      - .offset:         32
        .size:           8
        .value_kind:     by_value
      - .address_space:  global
        .offset:         40
        .size:           8
        .value_kind:     global_buffer
      - .offset:         48
        .size:           4
        .value_kind:     by_value
      - .offset:         56
        .size:           8
        .value_kind:     by_value
      - .offset:         64
        .size:           8
        .value_kind:     by_value
      - .address_space:  global
        .offset:         72
        .size:           8
        .value_kind:     global_buffer
      - .offset:         80
        .size:           4
        .value_kind:     by_value
      - .offset:         88
        .size:           8
        .value_kind:     by_value
      - .offset:         96
        .size:           4
        .value_kind:     by_value
    .group_segment_fixed_size: 4096
    .kernarg_segment_align: 8
    .kernarg_segment_size: 100
    .language:       OpenCL C
    .language_version:
      - 2
      - 0
    .max_flat_workgroup_size: 256
    .name:           _ZL37rocblas_syrkx_herkx_restricted_kernelIidLi16ELi32ELi8ELb1ELb0ELc67ELc85EKPKdKPdEviT_T0_PT8_S5_lS8_S5_lS6_PT9_S5_li
    .private_segment_fixed_size: 0
    .sgpr_count:     23
    .sgpr_spill_count: 0
    .symbol:         _ZL37rocblas_syrkx_herkx_restricted_kernelIidLi16ELi32ELi8ELb1ELb0ELc67ELc85EKPKdKPdEviT_T0_PT8_S5_lS8_S5_lS6_PT9_S5_li.kd
    .uniform_work_group_size: 1
    .uses_dynamic_stack: false
    .vgpr_count:     38
    .vgpr_spill_count: 0
    .wavefront_size: 64
  - .args:
      - .offset:         0
        .size:           4
        .value_kind:     by_value
      - .offset:         4
        .size:           4
        .value_kind:     by_value
      - .offset:         8
        .size:           8
        .value_kind:     by_value
      - .address_space:  global
        .offset:         16
        .size:           8
        .value_kind:     global_buffer
      - .offset:         24
        .size:           4
        .value_kind:     by_value
      - .offset:         32
        .size:           8
        .value_kind:     by_value
      - .address_space:  global
        .offset:         40
        .size:           8
        .value_kind:     global_buffer
      - .offset:         48
        .size:           4
        .value_kind:     by_value
      - .offset:         56
        .size:           8
        .value_kind:     by_value
      - .offset:         64
        .size:           8
        .value_kind:     by_value
      - .address_space:  global
        .offset:         72
        .size:           8
        .value_kind:     global_buffer
      - .offset:         80
        .size:           4
        .value_kind:     by_value
      - .offset:         88
        .size:           8
        .value_kind:     by_value
      - .offset:         96
        .size:           4
        .value_kind:     by_value
    .group_segment_fixed_size: 4096
    .kernarg_segment_align: 8
    .kernarg_segment_size: 100
    .language:       OpenCL C
    .language_version:
      - 2
      - 0
    .max_flat_workgroup_size: 256
    .name:           _ZL37rocblas_syrkx_herkx_restricted_kernelIidLi16ELi32ELi8ELb1ELb0ELc78ELc85EKPKdKPdEviT_T0_PT8_S5_lS8_S5_lS6_PT9_S5_li
    .private_segment_fixed_size: 0
    .sgpr_count:     26
    .sgpr_spill_count: 0
    .symbol:         _ZL37rocblas_syrkx_herkx_restricted_kernelIidLi16ELi32ELi8ELb1ELb0ELc78ELc85EKPKdKPdEviT_T0_PT8_S5_lS8_S5_lS6_PT9_S5_li.kd
    .uniform_work_group_size: 1
    .uses_dynamic_stack: false
    .vgpr_count:     38
    .vgpr_spill_count: 0
    .wavefront_size: 64
  - .args:
      - .offset:         0
        .size:           4
        .value_kind:     by_value
      - .offset:         4
        .size:           4
        .value_kind:     by_value
      - .offset:         8
        .size:           8
        .value_kind:     by_value
      - .address_space:  global
        .offset:         16
        .size:           8
        .value_kind:     global_buffer
      - .offset:         24
        .size:           4
        .value_kind:     by_value
      - .offset:         32
        .size:           8
        .value_kind:     by_value
      - .address_space:  global
        .offset:         40
        .size:           8
        .value_kind:     global_buffer
      - .offset:         48
        .size:           4
        .value_kind:     by_value
      - .offset:         56
        .size:           8
        .value_kind:     by_value
      - .offset:         64
        .size:           8
        .value_kind:     by_value
      - .address_space:  global
        .offset:         72
        .size:           8
        .value_kind:     global_buffer
      - .offset:         80
        .size:           4
        .value_kind:     by_value
      - .offset:         88
        .size:           8
        .value_kind:     by_value
      - .offset:         96
        .size:           4
        .value_kind:     by_value
    .group_segment_fixed_size: 4096
    .kernarg_segment_align: 8
    .kernarg_segment_size: 100
    .language:       OpenCL C
    .language_version:
      - 2
      - 0
    .max_flat_workgroup_size: 256
    .name:           _ZL37rocblas_syrkx_herkx_restricted_kernelIidLi16ELi32ELi8ELb0ELb0ELc84ELc76EKPKdKPdEviT_T0_PT8_S5_lS8_S5_lS6_PT9_S5_li
    .private_segment_fixed_size: 0
    .sgpr_count:     27
    .sgpr_spill_count: 0
    .symbol:         _ZL37rocblas_syrkx_herkx_restricted_kernelIidLi16ELi32ELi8ELb0ELb0ELc84ELc76EKPKdKPdEviT_T0_PT8_S5_lS8_S5_lS6_PT9_S5_li.kd
    .uniform_work_group_size: 1
    .uses_dynamic_stack: false
    .vgpr_count:     38
    .vgpr_spill_count: 0
    .wavefront_size: 64
  - .args:
      - .offset:         0
        .size:           4
        .value_kind:     by_value
      - .offset:         4
        .size:           4
        .value_kind:     by_value
      - .offset:         8
        .size:           8
        .value_kind:     by_value
      - .address_space:  global
        .offset:         16
        .size:           8
        .value_kind:     global_buffer
      - .offset:         24
        .size:           4
        .value_kind:     by_value
      - .offset:         32
        .size:           8
        .value_kind:     by_value
      - .address_space:  global
        .offset:         40
        .size:           8
        .value_kind:     global_buffer
      - .offset:         48
        .size:           4
        .value_kind:     by_value
      - .offset:         56
        .size:           8
        .value_kind:     by_value
      - .offset:         64
        .size:           8
        .value_kind:     by_value
      - .address_space:  global
        .offset:         72
        .size:           8
        .value_kind:     global_buffer
      - .offset:         80
        .size:           4
        .value_kind:     by_value
      - .offset:         88
        .size:           8
        .value_kind:     by_value
      - .offset:         96
        .size:           4
        .value_kind:     by_value
    .group_segment_fixed_size: 4096
    .kernarg_segment_align: 8
    .kernarg_segment_size: 100
    .language:       OpenCL C
    .language_version:
      - 2
      - 0
    .max_flat_workgroup_size: 256
    .name:           _ZL37rocblas_syrkx_herkx_restricted_kernelIidLi16ELi32ELi8ELb0ELb0ELc67ELc76EKPKdKPdEviT_T0_PT8_S5_lS8_S5_lS6_PT9_S5_li
    .private_segment_fixed_size: 0
    .sgpr_count:     27
    .sgpr_spill_count: 0
    .symbol:         _ZL37rocblas_syrkx_herkx_restricted_kernelIidLi16ELi32ELi8ELb0ELb0ELc67ELc76EKPKdKPdEviT_T0_PT8_S5_lS8_S5_lS6_PT9_S5_li.kd
    .uniform_work_group_size: 1
    .uses_dynamic_stack: false
    .vgpr_count:     38
    .vgpr_spill_count: 0
    .wavefront_size: 64
  - .args:
      - .offset:         0
        .size:           4
        .value_kind:     by_value
      - .offset:         4
        .size:           4
        .value_kind:     by_value
      - .offset:         8
        .size:           8
        .value_kind:     by_value
      - .address_space:  global
        .offset:         16
        .size:           8
        .value_kind:     global_buffer
      - .offset:         24
        .size:           4
        .value_kind:     by_value
      - .offset:         32
        .size:           8
        .value_kind:     by_value
      - .address_space:  global
        .offset:         40
        .size:           8
        .value_kind:     global_buffer
      - .offset:         48
        .size:           4
        .value_kind:     by_value
      - .offset:         56
        .size:           8
        .value_kind:     by_value
      - .offset:         64
        .size:           8
        .value_kind:     by_value
      - .address_space:  global
        .offset:         72
        .size:           8
        .value_kind:     global_buffer
      - .offset:         80
        .size:           4
        .value_kind:     by_value
      - .offset:         88
        .size:           8
        .value_kind:     by_value
      - .offset:         96
        .size:           4
        .value_kind:     by_value
    .group_segment_fixed_size: 4096
    .kernarg_segment_align: 8
    .kernarg_segment_size: 100
    .language:       OpenCL C
    .language_version:
      - 2
      - 0
    .max_flat_workgroup_size: 256
    .name:           _ZL37rocblas_syrkx_herkx_restricted_kernelIidLi16ELi32ELi8ELb0ELb0ELc78ELc76EKPKdKPdEviT_T0_PT8_S5_lS8_S5_lS6_PT9_S5_li
    .private_segment_fixed_size: 0
    .sgpr_count:     28
    .sgpr_spill_count: 0
    .symbol:         _ZL37rocblas_syrkx_herkx_restricted_kernelIidLi16ELi32ELi8ELb0ELb0ELc78ELc76EKPKdKPdEviT_T0_PT8_S5_lS8_S5_lS6_PT9_S5_li.kd
    .uniform_work_group_size: 1
    .uses_dynamic_stack: false
    .vgpr_count:     38
    .vgpr_spill_count: 0
    .wavefront_size: 64
  - .args:
      - .offset:         0
        .size:           4
        .value_kind:     by_value
      - .offset:         4
        .size:           4
        .value_kind:     by_value
      - .offset:         8
        .size:           8
        .value_kind:     by_value
      - .address_space:  global
        .offset:         16
        .size:           8
        .value_kind:     global_buffer
      - .offset:         24
        .size:           4
        .value_kind:     by_value
      - .offset:         32
        .size:           8
        .value_kind:     by_value
      - .address_space:  global
        .offset:         40
        .size:           8
        .value_kind:     global_buffer
      - .offset:         48
        .size:           4
        .value_kind:     by_value
      - .offset:         56
        .size:           8
        .value_kind:     by_value
      - .offset:         64
        .size:           8
        .value_kind:     by_value
      - .address_space:  global
        .offset:         72
        .size:           8
        .value_kind:     global_buffer
      - .offset:         80
        .size:           4
        .value_kind:     by_value
      - .offset:         88
        .size:           8
        .value_kind:     by_value
      - .offset:         96
        .size:           4
        .value_kind:     by_value
    .group_segment_fixed_size: 4096
    .kernarg_segment_align: 8
    .kernarg_segment_size: 100
    .language:       OpenCL C
    .language_version:
      - 2
      - 0
    .max_flat_workgroup_size: 256
    .name:           _ZL37rocblas_syrkx_herkx_restricted_kernelIidLi16ELi32ELi8ELb0ELb0ELc84ELc85EKPKdKPdEviT_T0_PT8_S5_lS8_S5_lS6_PT9_S5_li
    .private_segment_fixed_size: 0
    .sgpr_count:     25
    .sgpr_spill_count: 0
    .symbol:         _ZL37rocblas_syrkx_herkx_restricted_kernelIidLi16ELi32ELi8ELb0ELb0ELc84ELc85EKPKdKPdEviT_T0_PT8_S5_lS8_S5_lS6_PT9_S5_li.kd
    .uniform_work_group_size: 1
    .uses_dynamic_stack: false
    .vgpr_count:     38
    .vgpr_spill_count: 0
    .wavefront_size: 64
  - .args:
      - .offset:         0
        .size:           4
        .value_kind:     by_value
      - .offset:         4
        .size:           4
        .value_kind:     by_value
      - .offset:         8
        .size:           8
        .value_kind:     by_value
      - .address_space:  global
        .offset:         16
        .size:           8
        .value_kind:     global_buffer
      - .offset:         24
        .size:           4
        .value_kind:     by_value
      - .offset:         32
        .size:           8
        .value_kind:     by_value
      - .address_space:  global
        .offset:         40
        .size:           8
        .value_kind:     global_buffer
      - .offset:         48
        .size:           4
        .value_kind:     by_value
      - .offset:         56
        .size:           8
        .value_kind:     by_value
      - .offset:         64
        .size:           8
        .value_kind:     by_value
      - .address_space:  global
        .offset:         72
        .size:           8
        .value_kind:     global_buffer
      - .offset:         80
        .size:           4
        .value_kind:     by_value
      - .offset:         88
        .size:           8
        .value_kind:     by_value
      - .offset:         96
        .size:           4
        .value_kind:     by_value
    .group_segment_fixed_size: 4096
    .kernarg_segment_align: 8
    .kernarg_segment_size: 100
    .language:       OpenCL C
    .language_version:
      - 2
      - 0
    .max_flat_workgroup_size: 256
    .name:           _ZL37rocblas_syrkx_herkx_restricted_kernelIidLi16ELi32ELi8ELb0ELb0ELc67ELc85EKPKdKPdEviT_T0_PT8_S5_lS8_S5_lS6_PT9_S5_li
    .private_segment_fixed_size: 0
    .sgpr_count:     25
    .sgpr_spill_count: 0
    .symbol:         _ZL37rocblas_syrkx_herkx_restricted_kernelIidLi16ELi32ELi8ELb0ELb0ELc67ELc85EKPKdKPdEviT_T0_PT8_S5_lS8_S5_lS6_PT9_S5_li.kd
    .uniform_work_group_size: 1
    .uses_dynamic_stack: false
    .vgpr_count:     38
    .vgpr_spill_count: 0
    .wavefront_size: 64
  - .args:
      - .offset:         0
        .size:           4
        .value_kind:     by_value
      - .offset:         4
        .size:           4
        .value_kind:     by_value
      - .offset:         8
        .size:           8
        .value_kind:     by_value
      - .address_space:  global
        .offset:         16
        .size:           8
        .value_kind:     global_buffer
      - .offset:         24
        .size:           4
        .value_kind:     by_value
      - .offset:         32
        .size:           8
        .value_kind:     by_value
      - .address_space:  global
        .offset:         40
        .size:           8
        .value_kind:     global_buffer
      - .offset:         48
        .size:           4
        .value_kind:     by_value
      - .offset:         56
        .size:           8
        .value_kind:     by_value
      - .offset:         64
        .size:           8
        .value_kind:     by_value
      - .address_space:  global
        .offset:         72
        .size:           8
        .value_kind:     global_buffer
      - .offset:         80
        .size:           4
        .value_kind:     by_value
      - .offset:         88
        .size:           8
        .value_kind:     by_value
      - .offset:         96
        .size:           4
        .value_kind:     by_value
    .group_segment_fixed_size: 4096
    .kernarg_segment_align: 8
    .kernarg_segment_size: 100
    .language:       OpenCL C
    .language_version:
      - 2
      - 0
    .max_flat_workgroup_size: 256
    .name:           _ZL37rocblas_syrkx_herkx_restricted_kernelIidLi16ELi32ELi8ELb0ELb0ELc78ELc85EKPKdKPdEviT_T0_PT8_S5_lS8_S5_lS6_PT9_S5_li
    .private_segment_fixed_size: 0
    .sgpr_count:     28
    .sgpr_spill_count: 0
    .symbol:         _ZL37rocblas_syrkx_herkx_restricted_kernelIidLi16ELi32ELi8ELb0ELb0ELc78ELc85EKPKdKPdEviT_T0_PT8_S5_lS8_S5_lS6_PT9_S5_li.kd
    .uniform_work_group_size: 1
    .uses_dynamic_stack: false
    .vgpr_count:     38
    .vgpr_spill_count: 0
    .wavefront_size: 64
  - .args:
      - .offset:         0
        .size:           4
        .value_kind:     by_value
      - .offset:         4
        .size:           4
        .value_kind:     by_value
      - .offset:         8
        .size:           8
        .value_kind:     by_value
      - .address_space:  global
        .offset:         16
        .size:           8
        .value_kind:     global_buffer
      - .offset:         24
        .size:           4
        .value_kind:     by_value
      - .offset:         32
        .size:           8
        .value_kind:     by_value
      - .address_space:  global
        .offset:         40
        .size:           8
        .value_kind:     global_buffer
      - .offset:         48
        .size:           4
        .value_kind:     by_value
      - .offset:         56
        .size:           8
        .value_kind:     by_value
      - .offset:         64
        .size:           8
        .value_kind:     by_value
      - .address_space:  global
        .offset:         72
        .size:           8
        .value_kind:     global_buffer
      - .offset:         80
        .size:           4
        .value_kind:     by_value
      - .offset:         88
        .size:           8
        .value_kind:     by_value
      - .offset:         96
        .size:           4
        .value_kind:     by_value
    .group_segment_fixed_size: 4096
    .kernarg_segment_align: 8
    .kernarg_segment_size: 100
    .language:       OpenCL C
    .language_version:
      - 2
      - 0
    .max_flat_workgroup_size: 256
    .name:           _ZL41rocblas_syrkx_herkx_small_restrict_kernelIidLi16ELb1ELb0ELc84ELc76EKPKdKPdEviT_T0_PT6_S5_lS8_S5_lS6_PT7_S5_li
    .private_segment_fixed_size: 0
    .sgpr_count:     20
    .sgpr_spill_count: 0
    .symbol:         _ZL41rocblas_syrkx_herkx_small_restrict_kernelIidLi16ELb1ELb0ELc84ELc76EKPKdKPdEviT_T0_PT6_S5_lS8_S5_lS6_PT7_S5_li.kd
    .uniform_work_group_size: 1
    .uses_dynamic_stack: false
    .vgpr_count:     20
    .vgpr_spill_count: 0
    .wavefront_size: 64
  - .args:
      - .offset:         0
        .size:           4
        .value_kind:     by_value
      - .offset:         4
        .size:           4
        .value_kind:     by_value
      - .offset:         8
        .size:           8
        .value_kind:     by_value
      - .address_space:  global
        .offset:         16
        .size:           8
        .value_kind:     global_buffer
      - .offset:         24
        .size:           4
        .value_kind:     by_value
      - .offset:         32
        .size:           8
        .value_kind:     by_value
      - .address_space:  global
        .offset:         40
        .size:           8
        .value_kind:     global_buffer
      - .offset:         48
        .size:           4
        .value_kind:     by_value
      - .offset:         56
        .size:           8
        .value_kind:     by_value
      - .offset:         64
        .size:           8
        .value_kind:     by_value
      - .address_space:  global
        .offset:         72
        .size:           8
        .value_kind:     global_buffer
      - .offset:         80
        .size:           4
        .value_kind:     by_value
      - .offset:         88
        .size:           8
        .value_kind:     by_value
      - .offset:         96
        .size:           4
        .value_kind:     by_value
    .group_segment_fixed_size: 4096
    .kernarg_segment_align: 8
    .kernarg_segment_size: 100
    .language:       OpenCL C
    .language_version:
      - 2
      - 0
    .max_flat_workgroup_size: 256
    .name:           _ZL41rocblas_syrkx_herkx_small_restrict_kernelIidLi16ELb1ELb0ELc67ELc76EKPKdKPdEviT_T0_PT6_S5_lS8_S5_lS6_PT7_S5_li
    .private_segment_fixed_size: 0
    .sgpr_count:     20
    .sgpr_spill_count: 0
    .symbol:         _ZL41rocblas_syrkx_herkx_small_restrict_kernelIidLi16ELb1ELb0ELc67ELc76EKPKdKPdEviT_T0_PT6_S5_lS8_S5_lS6_PT7_S5_li.kd
    .uniform_work_group_size: 1
    .uses_dynamic_stack: false
    .vgpr_count:     20
    .vgpr_spill_count: 0
    .wavefront_size: 64
  - .args:
      - .offset:         0
        .size:           4
        .value_kind:     by_value
      - .offset:         4
        .size:           4
        .value_kind:     by_value
      - .offset:         8
        .size:           8
        .value_kind:     by_value
      - .address_space:  global
        .offset:         16
        .size:           8
        .value_kind:     global_buffer
      - .offset:         24
        .size:           4
        .value_kind:     by_value
      - .offset:         32
        .size:           8
        .value_kind:     by_value
      - .address_space:  global
        .offset:         40
        .size:           8
        .value_kind:     global_buffer
      - .offset:         48
        .size:           4
        .value_kind:     by_value
      - .offset:         56
        .size:           8
        .value_kind:     by_value
      - .offset:         64
        .size:           8
        .value_kind:     by_value
      - .address_space:  global
        .offset:         72
        .size:           8
        .value_kind:     global_buffer
      - .offset:         80
        .size:           4
        .value_kind:     by_value
      - .offset:         88
        .size:           8
        .value_kind:     by_value
      - .offset:         96
        .size:           4
        .value_kind:     by_value
    .group_segment_fixed_size: 4096
    .kernarg_segment_align: 8
    .kernarg_segment_size: 100
    .language:       OpenCL C
    .language_version:
      - 2
      - 0
    .max_flat_workgroup_size: 256
    .name:           _ZL41rocblas_syrkx_herkx_small_restrict_kernelIidLi16ELb1ELb0ELc78ELc76EKPKdKPdEviT_T0_PT6_S5_lS8_S5_lS6_PT7_S5_li
    .private_segment_fixed_size: 0
    .sgpr_count:     24
    .sgpr_spill_count: 0
    .symbol:         _ZL41rocblas_syrkx_herkx_small_restrict_kernelIidLi16ELb1ELb0ELc78ELc76EKPKdKPdEviT_T0_PT6_S5_lS8_S5_lS6_PT7_S5_li.kd
    .uniform_work_group_size: 1
    .uses_dynamic_stack: false
    .vgpr_count:     26
    .vgpr_spill_count: 0
    .wavefront_size: 64
  - .args:
      - .offset:         0
        .size:           4
        .value_kind:     by_value
      - .offset:         4
        .size:           4
        .value_kind:     by_value
      - .offset:         8
        .size:           8
        .value_kind:     by_value
      - .address_space:  global
        .offset:         16
        .size:           8
        .value_kind:     global_buffer
      - .offset:         24
        .size:           4
        .value_kind:     by_value
      - .offset:         32
        .size:           8
        .value_kind:     by_value
      - .address_space:  global
        .offset:         40
        .size:           8
        .value_kind:     global_buffer
      - .offset:         48
        .size:           4
        .value_kind:     by_value
      - .offset:         56
        .size:           8
        .value_kind:     by_value
      - .offset:         64
        .size:           8
        .value_kind:     by_value
      - .address_space:  global
        .offset:         72
        .size:           8
        .value_kind:     global_buffer
      - .offset:         80
        .size:           4
        .value_kind:     by_value
      - .offset:         88
        .size:           8
        .value_kind:     by_value
      - .offset:         96
        .size:           4
        .value_kind:     by_value
    .group_segment_fixed_size: 4096
    .kernarg_segment_align: 8
    .kernarg_segment_size: 100
    .language:       OpenCL C
    .language_version:
      - 2
      - 0
    .max_flat_workgroup_size: 256
    .name:           _ZL41rocblas_syrkx_herkx_small_restrict_kernelIidLi16ELb1ELb0ELc84ELc85EKPKdKPdEviT_T0_PT6_S5_lS8_S5_lS6_PT7_S5_li
    .private_segment_fixed_size: 0
    .sgpr_count:     20
    .sgpr_spill_count: 0
    .symbol:         _ZL41rocblas_syrkx_herkx_small_restrict_kernelIidLi16ELb1ELb0ELc84ELc85EKPKdKPdEviT_T0_PT6_S5_lS8_S5_lS6_PT7_S5_li.kd
    .uniform_work_group_size: 1
    .uses_dynamic_stack: false
    .vgpr_count:     20
    .vgpr_spill_count: 0
    .wavefront_size: 64
  - .args:
      - .offset:         0
        .size:           4
        .value_kind:     by_value
      - .offset:         4
        .size:           4
        .value_kind:     by_value
      - .offset:         8
        .size:           8
        .value_kind:     by_value
      - .address_space:  global
        .offset:         16
        .size:           8
        .value_kind:     global_buffer
      - .offset:         24
        .size:           4
        .value_kind:     by_value
      - .offset:         32
        .size:           8
        .value_kind:     by_value
      - .address_space:  global
        .offset:         40
        .size:           8
        .value_kind:     global_buffer
      - .offset:         48
        .size:           4
        .value_kind:     by_value
      - .offset:         56
        .size:           8
        .value_kind:     by_value
      - .offset:         64
        .size:           8
        .value_kind:     by_value
      - .address_space:  global
        .offset:         72
        .size:           8
        .value_kind:     global_buffer
      - .offset:         80
        .size:           4
        .value_kind:     by_value
      - .offset:         88
        .size:           8
        .value_kind:     by_value
      - .offset:         96
        .size:           4
        .value_kind:     by_value
    .group_segment_fixed_size: 4096
    .kernarg_segment_align: 8
    .kernarg_segment_size: 100
    .language:       OpenCL C
    .language_version:
      - 2
      - 0
    .max_flat_workgroup_size: 256
    .name:           _ZL41rocblas_syrkx_herkx_small_restrict_kernelIidLi16ELb1ELb0ELc67ELc85EKPKdKPdEviT_T0_PT6_S5_lS8_S5_lS6_PT7_S5_li
    .private_segment_fixed_size: 0
    .sgpr_count:     20
    .sgpr_spill_count: 0
    .symbol:         _ZL41rocblas_syrkx_herkx_small_restrict_kernelIidLi16ELb1ELb0ELc67ELc85EKPKdKPdEviT_T0_PT6_S5_lS8_S5_lS6_PT7_S5_li.kd
    .uniform_work_group_size: 1
    .uses_dynamic_stack: false
    .vgpr_count:     20
    .vgpr_spill_count: 0
    .wavefront_size: 64
  - .args:
      - .offset:         0
        .size:           4
        .value_kind:     by_value
      - .offset:         4
        .size:           4
        .value_kind:     by_value
      - .offset:         8
        .size:           8
        .value_kind:     by_value
      - .address_space:  global
        .offset:         16
        .size:           8
        .value_kind:     global_buffer
      - .offset:         24
        .size:           4
        .value_kind:     by_value
      - .offset:         32
        .size:           8
        .value_kind:     by_value
      - .address_space:  global
        .offset:         40
        .size:           8
        .value_kind:     global_buffer
      - .offset:         48
        .size:           4
        .value_kind:     by_value
      - .offset:         56
        .size:           8
        .value_kind:     by_value
      - .offset:         64
        .size:           8
        .value_kind:     by_value
      - .address_space:  global
        .offset:         72
        .size:           8
        .value_kind:     global_buffer
      - .offset:         80
        .size:           4
        .value_kind:     by_value
      - .offset:         88
        .size:           8
        .value_kind:     by_value
      - .offset:         96
        .size:           4
        .value_kind:     by_value
    .group_segment_fixed_size: 4096
    .kernarg_segment_align: 8
    .kernarg_segment_size: 100
    .language:       OpenCL C
    .language_version:
      - 2
      - 0
    .max_flat_workgroup_size: 256
    .name:           _ZL41rocblas_syrkx_herkx_small_restrict_kernelIidLi16ELb1ELb0ELc78ELc85EKPKdKPdEviT_T0_PT6_S5_lS8_S5_lS6_PT7_S5_li
    .private_segment_fixed_size: 0
    .sgpr_count:     24
    .sgpr_spill_count: 0
    .symbol:         _ZL41rocblas_syrkx_herkx_small_restrict_kernelIidLi16ELb1ELb0ELc78ELc85EKPKdKPdEviT_T0_PT6_S5_lS8_S5_lS6_PT7_S5_li.kd
    .uniform_work_group_size: 1
    .uses_dynamic_stack: false
    .vgpr_count:     26
    .vgpr_spill_count: 0
    .wavefront_size: 64
  - .args:
      - .offset:         0
        .size:           4
        .value_kind:     by_value
      - .offset:         4
        .size:           4
        .value_kind:     by_value
      - .offset:         8
        .size:           8
        .value_kind:     by_value
      - .address_space:  global
        .offset:         16
        .size:           8
        .value_kind:     global_buffer
      - .offset:         24
        .size:           4
        .value_kind:     by_value
      - .offset:         32
        .size:           8
        .value_kind:     by_value
      - .address_space:  global
        .offset:         40
        .size:           8
        .value_kind:     global_buffer
      - .offset:         48
        .size:           4
        .value_kind:     by_value
      - .offset:         56
        .size:           8
        .value_kind:     by_value
      - .offset:         64
        .size:           8
        .value_kind:     by_value
      - .address_space:  global
        .offset:         72
        .size:           8
        .value_kind:     global_buffer
      - .offset:         80
        .size:           4
        .value_kind:     by_value
      - .offset:         88
        .size:           8
        .value_kind:     by_value
      - .offset:         96
        .size:           4
        .value_kind:     by_value
    .group_segment_fixed_size: 4096
    .kernarg_segment_align: 8
    .kernarg_segment_size: 100
    .language:       OpenCL C
    .language_version:
      - 2
      - 0
    .max_flat_workgroup_size: 256
    .name:           _ZL41rocblas_syrkx_herkx_small_restrict_kernelIidLi16ELb0ELb0ELc84ELc76EKPKdKPdEviT_T0_PT6_S5_lS8_S5_lS6_PT7_S5_li
    .private_segment_fixed_size: 0
    .sgpr_count:     24
    .sgpr_spill_count: 0
    .symbol:         _ZL41rocblas_syrkx_herkx_small_restrict_kernelIidLi16ELb0ELb0ELc84ELc76EKPKdKPdEviT_T0_PT6_S5_lS8_S5_lS6_PT7_S5_li.kd
    .uniform_work_group_size: 1
    .uses_dynamic_stack: false
    .vgpr_count:     20
    .vgpr_spill_count: 0
    .wavefront_size: 64
  - .args:
      - .offset:         0
        .size:           4
        .value_kind:     by_value
      - .offset:         4
        .size:           4
        .value_kind:     by_value
      - .offset:         8
        .size:           8
        .value_kind:     by_value
      - .address_space:  global
        .offset:         16
        .size:           8
        .value_kind:     global_buffer
      - .offset:         24
        .size:           4
        .value_kind:     by_value
      - .offset:         32
        .size:           8
        .value_kind:     by_value
      - .address_space:  global
        .offset:         40
        .size:           8
        .value_kind:     global_buffer
      - .offset:         48
        .size:           4
        .value_kind:     by_value
      - .offset:         56
        .size:           8
        .value_kind:     by_value
      - .offset:         64
        .size:           8
        .value_kind:     by_value
      - .address_space:  global
        .offset:         72
        .size:           8
        .value_kind:     global_buffer
      - .offset:         80
        .size:           4
        .value_kind:     by_value
      - .offset:         88
        .size:           8
        .value_kind:     by_value
      - .offset:         96
        .size:           4
        .value_kind:     by_value
    .group_segment_fixed_size: 4096
    .kernarg_segment_align: 8
    .kernarg_segment_size: 100
    .language:       OpenCL C
    .language_version:
      - 2
      - 0
    .max_flat_workgroup_size: 256
    .name:           _ZL41rocblas_syrkx_herkx_small_restrict_kernelIidLi16ELb0ELb0ELc67ELc76EKPKdKPdEviT_T0_PT6_S5_lS8_S5_lS6_PT7_S5_li
    .private_segment_fixed_size: 0
    .sgpr_count:     24
    .sgpr_spill_count: 0
    .symbol:         _ZL41rocblas_syrkx_herkx_small_restrict_kernelIidLi16ELb0ELb0ELc67ELc76EKPKdKPdEviT_T0_PT6_S5_lS8_S5_lS6_PT7_S5_li.kd
    .uniform_work_group_size: 1
    .uses_dynamic_stack: false
    .vgpr_count:     20
    .vgpr_spill_count: 0
    .wavefront_size: 64
  - .args:
      - .offset:         0
        .size:           4
        .value_kind:     by_value
      - .offset:         4
        .size:           4
        .value_kind:     by_value
      - .offset:         8
        .size:           8
        .value_kind:     by_value
      - .address_space:  global
        .offset:         16
        .size:           8
        .value_kind:     global_buffer
      - .offset:         24
        .size:           4
        .value_kind:     by_value
      - .offset:         32
        .size:           8
        .value_kind:     by_value
      - .address_space:  global
        .offset:         40
        .size:           8
        .value_kind:     global_buffer
      - .offset:         48
        .size:           4
        .value_kind:     by_value
      - .offset:         56
        .size:           8
        .value_kind:     by_value
      - .offset:         64
        .size:           8
        .value_kind:     by_value
      - .address_space:  global
        .offset:         72
        .size:           8
        .value_kind:     global_buffer
      - .offset:         80
        .size:           4
        .value_kind:     by_value
      - .offset:         88
        .size:           8
        .value_kind:     by_value
      - .offset:         96
        .size:           4
        .value_kind:     by_value
    .group_segment_fixed_size: 4096
    .kernarg_segment_align: 8
    .kernarg_segment_size: 100
    .language:       OpenCL C
    .language_version:
      - 2
      - 0
    .max_flat_workgroup_size: 256
    .name:           _ZL41rocblas_syrkx_herkx_small_restrict_kernelIidLi16ELb0ELb0ELc78ELc76EKPKdKPdEviT_T0_PT6_S5_lS8_S5_lS6_PT7_S5_li
    .private_segment_fixed_size: 0
    .sgpr_count:     26
    .sgpr_spill_count: 0
    .symbol:         _ZL41rocblas_syrkx_herkx_small_restrict_kernelIidLi16ELb0ELb0ELc78ELc76EKPKdKPdEviT_T0_PT6_S5_lS8_S5_lS6_PT7_S5_li.kd
    .uniform_work_group_size: 1
    .uses_dynamic_stack: false
    .vgpr_count:     26
    .vgpr_spill_count: 0
    .wavefront_size: 64
  - .args:
      - .offset:         0
        .size:           4
        .value_kind:     by_value
      - .offset:         4
        .size:           4
        .value_kind:     by_value
      - .offset:         8
        .size:           8
        .value_kind:     by_value
      - .address_space:  global
        .offset:         16
        .size:           8
        .value_kind:     global_buffer
      - .offset:         24
        .size:           4
        .value_kind:     by_value
      - .offset:         32
        .size:           8
        .value_kind:     by_value
      - .address_space:  global
        .offset:         40
        .size:           8
        .value_kind:     global_buffer
      - .offset:         48
        .size:           4
        .value_kind:     by_value
      - .offset:         56
        .size:           8
        .value_kind:     by_value
      - .offset:         64
        .size:           8
        .value_kind:     by_value
      - .address_space:  global
        .offset:         72
        .size:           8
        .value_kind:     global_buffer
      - .offset:         80
        .size:           4
        .value_kind:     by_value
      - .offset:         88
        .size:           8
        .value_kind:     by_value
      - .offset:         96
        .size:           4
        .value_kind:     by_value
    .group_segment_fixed_size: 4096
    .kernarg_segment_align: 8
    .kernarg_segment_size: 100
    .language:       OpenCL C
    .language_version:
      - 2
      - 0
    .max_flat_workgroup_size: 256
    .name:           _ZL41rocblas_syrkx_herkx_small_restrict_kernelIidLi16ELb0ELb0ELc84ELc85EKPKdKPdEviT_T0_PT6_S5_lS8_S5_lS6_PT7_S5_li
    .private_segment_fixed_size: 0
    .sgpr_count:     24
    .sgpr_spill_count: 0
    .symbol:         _ZL41rocblas_syrkx_herkx_small_restrict_kernelIidLi16ELb0ELb0ELc84ELc85EKPKdKPdEviT_T0_PT6_S5_lS8_S5_lS6_PT7_S5_li.kd
    .uniform_work_group_size: 1
    .uses_dynamic_stack: false
    .vgpr_count:     20
    .vgpr_spill_count: 0
    .wavefront_size: 64
  - .args:
      - .offset:         0
        .size:           4
        .value_kind:     by_value
      - .offset:         4
        .size:           4
        .value_kind:     by_value
      - .offset:         8
        .size:           8
        .value_kind:     by_value
      - .address_space:  global
        .offset:         16
        .size:           8
        .value_kind:     global_buffer
      - .offset:         24
        .size:           4
        .value_kind:     by_value
      - .offset:         32
        .size:           8
        .value_kind:     by_value
      - .address_space:  global
        .offset:         40
        .size:           8
        .value_kind:     global_buffer
      - .offset:         48
        .size:           4
        .value_kind:     by_value
      - .offset:         56
        .size:           8
        .value_kind:     by_value
      - .offset:         64
        .size:           8
        .value_kind:     by_value
      - .address_space:  global
        .offset:         72
        .size:           8
        .value_kind:     global_buffer
      - .offset:         80
        .size:           4
        .value_kind:     by_value
      - .offset:         88
        .size:           8
        .value_kind:     by_value
      - .offset:         96
        .size:           4
        .value_kind:     by_value
    .group_segment_fixed_size: 4096
    .kernarg_segment_align: 8
    .kernarg_segment_size: 100
    .language:       OpenCL C
    .language_version:
      - 2
      - 0
    .max_flat_workgroup_size: 256
    .name:           _ZL41rocblas_syrkx_herkx_small_restrict_kernelIidLi16ELb0ELb0ELc67ELc85EKPKdKPdEviT_T0_PT6_S5_lS8_S5_lS6_PT7_S5_li
    .private_segment_fixed_size: 0
    .sgpr_count:     24
    .sgpr_spill_count: 0
    .symbol:         _ZL41rocblas_syrkx_herkx_small_restrict_kernelIidLi16ELb0ELb0ELc67ELc85EKPKdKPdEviT_T0_PT6_S5_lS8_S5_lS6_PT7_S5_li.kd
    .uniform_work_group_size: 1
    .uses_dynamic_stack: false
    .vgpr_count:     20
    .vgpr_spill_count: 0
    .wavefront_size: 64
  - .args:
      - .offset:         0
        .size:           4
        .value_kind:     by_value
      - .offset:         4
        .size:           4
        .value_kind:     by_value
      - .offset:         8
        .size:           8
        .value_kind:     by_value
      - .address_space:  global
        .offset:         16
        .size:           8
        .value_kind:     global_buffer
      - .offset:         24
        .size:           4
        .value_kind:     by_value
      - .offset:         32
        .size:           8
        .value_kind:     by_value
      - .address_space:  global
        .offset:         40
        .size:           8
        .value_kind:     global_buffer
      - .offset:         48
        .size:           4
        .value_kind:     by_value
      - .offset:         56
        .size:           8
        .value_kind:     by_value
      - .offset:         64
        .size:           8
        .value_kind:     by_value
      - .address_space:  global
        .offset:         72
        .size:           8
        .value_kind:     global_buffer
      - .offset:         80
        .size:           4
        .value_kind:     by_value
      - .offset:         88
        .size:           8
        .value_kind:     by_value
      - .offset:         96
        .size:           4
        .value_kind:     by_value
    .group_segment_fixed_size: 4096
    .kernarg_segment_align: 8
    .kernarg_segment_size: 100
    .language:       OpenCL C
    .language_version:
      - 2
      - 0
    .max_flat_workgroup_size: 256
    .name:           _ZL41rocblas_syrkx_herkx_small_restrict_kernelIidLi16ELb0ELb0ELc78ELc85EKPKdKPdEviT_T0_PT6_S5_lS8_S5_lS6_PT7_S5_li
    .private_segment_fixed_size: 0
    .sgpr_count:     26
    .sgpr_spill_count: 0
    .symbol:         _ZL41rocblas_syrkx_herkx_small_restrict_kernelIidLi16ELb0ELb0ELc78ELc85EKPKdKPdEviT_T0_PT6_S5_lS8_S5_lS6_PT7_S5_li.kd
    .uniform_work_group_size: 1
    .uses_dynamic_stack: false
    .vgpr_count:     26
    .vgpr_spill_count: 0
    .wavefront_size: 64
  - .args:
      - .offset:         0
        .size:           4
        .value_kind:     by_value
      - .offset:         4
        .size:           4
        .value_kind:     by_value
      - .offset:         8
        .size:           8
        .value_kind:     by_value
      - .address_space:  global
        .offset:         16
        .size:           8
        .value_kind:     global_buffer
      - .offset:         24
        .size:           4
        .value_kind:     by_value
      - .offset:         32
        .size:           8
        .value_kind:     by_value
      - .address_space:  global
        .offset:         40
        .size:           8
        .value_kind:     global_buffer
      - .offset:         48
        .size:           4
        .value_kind:     by_value
      - .offset:         56
        .size:           8
        .value_kind:     by_value
      - .offset:         64
        .size:           8
        .value_kind:     by_value
      - .address_space:  global
        .offset:         72
        .size:           8
        .value_kind:     global_buffer
      - .offset:         80
        .size:           4
        .value_kind:     by_value
      - .offset:         88
        .size:           8
        .value_kind:     by_value
      - .offset:         96
        .size:           4
        .value_kind:     by_value
    .group_segment_fixed_size: 4096
    .kernarg_segment_align: 8
    .kernarg_segment_size: 100
    .language:       OpenCL C
    .language_version:
      - 2
      - 0
    .max_flat_workgroup_size: 256
    .name:           _ZL32rocblas_syrkx_herkx_small_kernelIidLi16ELb1ELb0ELc84ELc76EKPKdKPdEviT_T0_PT6_S5_lS8_S5_lS6_PT7_S5_li
    .private_segment_fixed_size: 0
    .sgpr_count:     24
    .sgpr_spill_count: 0
    .symbol:         _ZL32rocblas_syrkx_herkx_small_kernelIidLi16ELb1ELb0ELc84ELc76EKPKdKPdEviT_T0_PT6_S5_lS8_S5_lS6_PT7_S5_li.kd
    .uniform_work_group_size: 1
    .uses_dynamic_stack: false
    .vgpr_count:     24
    .vgpr_spill_count: 0
    .wavefront_size: 64
  - .args:
      - .offset:         0
        .size:           4
        .value_kind:     by_value
      - .offset:         4
        .size:           4
        .value_kind:     by_value
      - .offset:         8
        .size:           8
        .value_kind:     by_value
      - .address_space:  global
        .offset:         16
        .size:           8
        .value_kind:     global_buffer
      - .offset:         24
        .size:           4
        .value_kind:     by_value
      - .offset:         32
        .size:           8
        .value_kind:     by_value
      - .address_space:  global
        .offset:         40
        .size:           8
        .value_kind:     global_buffer
      - .offset:         48
        .size:           4
        .value_kind:     by_value
      - .offset:         56
        .size:           8
        .value_kind:     by_value
      - .offset:         64
        .size:           8
        .value_kind:     by_value
      - .address_space:  global
        .offset:         72
        .size:           8
        .value_kind:     global_buffer
      - .offset:         80
        .size:           4
        .value_kind:     by_value
      - .offset:         88
        .size:           8
        .value_kind:     by_value
      - .offset:         96
        .size:           4
        .value_kind:     by_value
    .group_segment_fixed_size: 4096
    .kernarg_segment_align: 8
    .kernarg_segment_size: 100
    .language:       OpenCL C
    .language_version:
      - 2
      - 0
    .max_flat_workgroup_size: 256
    .name:           _ZL32rocblas_syrkx_herkx_small_kernelIidLi16ELb1ELb0ELc67ELc76EKPKdKPdEviT_T0_PT6_S5_lS8_S5_lS6_PT7_S5_li
    .private_segment_fixed_size: 0
    .sgpr_count:     24
    .sgpr_spill_count: 0
    .symbol:         _ZL32rocblas_syrkx_herkx_small_kernelIidLi16ELb1ELb0ELc67ELc76EKPKdKPdEviT_T0_PT6_S5_lS8_S5_lS6_PT7_S5_li.kd
    .uniform_work_group_size: 1
    .uses_dynamic_stack: false
    .vgpr_count:     24
    .vgpr_spill_count: 0
    .wavefront_size: 64
  - .args:
      - .offset:         0
        .size:           4
        .value_kind:     by_value
      - .offset:         4
        .size:           4
        .value_kind:     by_value
      - .offset:         8
        .size:           8
        .value_kind:     by_value
      - .address_space:  global
        .offset:         16
        .size:           8
        .value_kind:     global_buffer
      - .offset:         24
        .size:           4
        .value_kind:     by_value
      - .offset:         32
        .size:           8
        .value_kind:     by_value
      - .address_space:  global
        .offset:         40
        .size:           8
        .value_kind:     global_buffer
      - .offset:         48
        .size:           4
        .value_kind:     by_value
      - .offset:         56
        .size:           8
        .value_kind:     by_value
      - .offset:         64
        .size:           8
        .value_kind:     by_value
      - .address_space:  global
        .offset:         72
        .size:           8
        .value_kind:     global_buffer
      - .offset:         80
        .size:           4
        .value_kind:     by_value
      - .offset:         88
        .size:           8
        .value_kind:     by_value
      - .offset:         96
        .size:           4
        .value_kind:     by_value
    .group_segment_fixed_size: 4096
    .kernarg_segment_align: 8
    .kernarg_segment_size: 100
    .language:       OpenCL C
    .language_version:
      - 2
      - 0
    .max_flat_workgroup_size: 256
    .name:           _ZL32rocblas_syrkx_herkx_small_kernelIidLi16ELb1ELb0ELc78ELc76EKPKdKPdEviT_T0_PT6_S5_lS8_S5_lS6_PT7_S5_li
    .private_segment_fixed_size: 0
    .sgpr_count:     26
    .sgpr_spill_count: 0
    .symbol:         _ZL32rocblas_syrkx_herkx_small_kernelIidLi16ELb1ELb0ELc78ELc76EKPKdKPdEviT_T0_PT6_S5_lS8_S5_lS6_PT7_S5_li.kd
    .uniform_work_group_size: 1
    .uses_dynamic_stack: false
    .vgpr_count:     31
    .vgpr_spill_count: 0
    .wavefront_size: 64
  - .args:
      - .offset:         0
        .size:           4
        .value_kind:     by_value
      - .offset:         4
        .size:           4
        .value_kind:     by_value
      - .offset:         8
        .size:           8
        .value_kind:     by_value
      - .address_space:  global
        .offset:         16
        .size:           8
        .value_kind:     global_buffer
      - .offset:         24
        .size:           4
        .value_kind:     by_value
      - .offset:         32
        .size:           8
        .value_kind:     by_value
      - .address_space:  global
        .offset:         40
        .size:           8
        .value_kind:     global_buffer
      - .offset:         48
        .size:           4
        .value_kind:     by_value
      - .offset:         56
        .size:           8
        .value_kind:     by_value
      - .offset:         64
        .size:           8
        .value_kind:     by_value
      - .address_space:  global
        .offset:         72
        .size:           8
        .value_kind:     global_buffer
      - .offset:         80
        .size:           4
        .value_kind:     by_value
      - .offset:         88
        .size:           8
        .value_kind:     by_value
      - .offset:         96
        .size:           4
        .value_kind:     by_value
    .group_segment_fixed_size: 4096
    .kernarg_segment_align: 8
    .kernarg_segment_size: 100
    .language:       OpenCL C
    .language_version:
      - 2
      - 0
    .max_flat_workgroup_size: 256
    .name:           _ZL32rocblas_syrkx_herkx_small_kernelIidLi16ELb1ELb0ELc84ELc85EKPKdKPdEviT_T0_PT6_S5_lS8_S5_lS6_PT7_S5_li
    .private_segment_fixed_size: 0
    .sgpr_count:     25
    .sgpr_spill_count: 0
    .symbol:         _ZL32rocblas_syrkx_herkx_small_kernelIidLi16ELb1ELb0ELc84ELc85EKPKdKPdEviT_T0_PT6_S5_lS8_S5_lS6_PT7_S5_li.kd
    .uniform_work_group_size: 1
    .uses_dynamic_stack: false
    .vgpr_count:     24
    .vgpr_spill_count: 0
    .wavefront_size: 64
  - .args:
      - .offset:         0
        .size:           4
        .value_kind:     by_value
      - .offset:         4
        .size:           4
        .value_kind:     by_value
      - .offset:         8
        .size:           8
        .value_kind:     by_value
      - .address_space:  global
        .offset:         16
        .size:           8
        .value_kind:     global_buffer
      - .offset:         24
        .size:           4
        .value_kind:     by_value
      - .offset:         32
        .size:           8
        .value_kind:     by_value
      - .address_space:  global
        .offset:         40
        .size:           8
        .value_kind:     global_buffer
      - .offset:         48
        .size:           4
        .value_kind:     by_value
      - .offset:         56
        .size:           8
        .value_kind:     by_value
      - .offset:         64
        .size:           8
        .value_kind:     by_value
      - .address_space:  global
        .offset:         72
        .size:           8
        .value_kind:     global_buffer
      - .offset:         80
        .size:           4
        .value_kind:     by_value
      - .offset:         88
        .size:           8
        .value_kind:     by_value
      - .offset:         96
        .size:           4
        .value_kind:     by_value
    .group_segment_fixed_size: 4096
    .kernarg_segment_align: 8
    .kernarg_segment_size: 100
    .language:       OpenCL C
    .language_version:
      - 2
      - 0
    .max_flat_workgroup_size: 256
    .name:           _ZL32rocblas_syrkx_herkx_small_kernelIidLi16ELb1ELb0ELc67ELc85EKPKdKPdEviT_T0_PT6_S5_lS8_S5_lS6_PT7_S5_li
    .private_segment_fixed_size: 0
    .sgpr_count:     25
    .sgpr_spill_count: 0
    .symbol:         _ZL32rocblas_syrkx_herkx_small_kernelIidLi16ELb1ELb0ELc67ELc85EKPKdKPdEviT_T0_PT6_S5_lS8_S5_lS6_PT7_S5_li.kd
    .uniform_work_group_size: 1
    .uses_dynamic_stack: false
    .vgpr_count:     24
    .vgpr_spill_count: 0
    .wavefront_size: 64
  - .args:
      - .offset:         0
        .size:           4
        .value_kind:     by_value
      - .offset:         4
        .size:           4
        .value_kind:     by_value
      - .offset:         8
        .size:           8
        .value_kind:     by_value
      - .address_space:  global
        .offset:         16
        .size:           8
        .value_kind:     global_buffer
      - .offset:         24
        .size:           4
        .value_kind:     by_value
      - .offset:         32
        .size:           8
        .value_kind:     by_value
      - .address_space:  global
        .offset:         40
        .size:           8
        .value_kind:     global_buffer
      - .offset:         48
        .size:           4
        .value_kind:     by_value
      - .offset:         56
        .size:           8
        .value_kind:     by_value
      - .offset:         64
        .size:           8
        .value_kind:     by_value
      - .address_space:  global
        .offset:         72
        .size:           8
        .value_kind:     global_buffer
      - .offset:         80
        .size:           4
        .value_kind:     by_value
      - .offset:         88
        .size:           8
        .value_kind:     by_value
      - .offset:         96
        .size:           4
        .value_kind:     by_value
    .group_segment_fixed_size: 4096
    .kernarg_segment_align: 8
    .kernarg_segment_size: 100
    .language:       OpenCL C
    .language_version:
      - 2
      - 0
    .max_flat_workgroup_size: 256
    .name:           _ZL32rocblas_syrkx_herkx_small_kernelIidLi16ELb1ELb0ELc78ELc85EKPKdKPdEviT_T0_PT6_S5_lS8_S5_lS6_PT7_S5_li
    .private_segment_fixed_size: 0
    .sgpr_count:     26
    .sgpr_spill_count: 0
    .symbol:         _ZL32rocblas_syrkx_herkx_small_kernelIidLi16ELb1ELb0ELc78ELc85EKPKdKPdEviT_T0_PT6_S5_lS8_S5_lS6_PT7_S5_li.kd
    .uniform_work_group_size: 1
    .uses_dynamic_stack: false
    .vgpr_count:     31
    .vgpr_spill_count: 0
    .wavefront_size: 64
  - .args:
      - .offset:         0
        .size:           4
        .value_kind:     by_value
      - .offset:         4
        .size:           4
        .value_kind:     by_value
      - .offset:         8
        .size:           8
        .value_kind:     by_value
      - .address_space:  global
        .offset:         16
        .size:           8
        .value_kind:     global_buffer
      - .offset:         24
        .size:           4
        .value_kind:     by_value
      - .offset:         32
        .size:           8
        .value_kind:     by_value
      - .address_space:  global
        .offset:         40
        .size:           8
        .value_kind:     global_buffer
      - .offset:         48
        .size:           4
        .value_kind:     by_value
      - .offset:         56
        .size:           8
        .value_kind:     by_value
      - .offset:         64
        .size:           8
        .value_kind:     by_value
      - .address_space:  global
        .offset:         72
        .size:           8
        .value_kind:     global_buffer
      - .offset:         80
        .size:           4
        .value_kind:     by_value
      - .offset:         88
        .size:           8
        .value_kind:     by_value
      - .offset:         96
        .size:           4
        .value_kind:     by_value
    .group_segment_fixed_size: 4096
    .kernarg_segment_align: 8
    .kernarg_segment_size: 100
    .language:       OpenCL C
    .language_version:
      - 2
      - 0
    .max_flat_workgroup_size: 256
    .name:           _ZL32rocblas_syrkx_herkx_small_kernelIidLi16ELb0ELb0ELc84ELc76EKPKdKPdEviT_T0_PT6_S5_lS8_S5_lS6_PT7_S5_li
    .private_segment_fixed_size: 0
    .sgpr_count:     27
    .sgpr_spill_count: 0
    .symbol:         _ZL32rocblas_syrkx_herkx_small_kernelIidLi16ELb0ELb0ELc84ELc76EKPKdKPdEviT_T0_PT6_S5_lS8_S5_lS6_PT7_S5_li.kd
    .uniform_work_group_size: 1
    .uses_dynamic_stack: false
    .vgpr_count:     24
    .vgpr_spill_count: 0
    .wavefront_size: 64
  - .args:
      - .offset:         0
        .size:           4
        .value_kind:     by_value
      - .offset:         4
        .size:           4
        .value_kind:     by_value
      - .offset:         8
        .size:           8
        .value_kind:     by_value
      - .address_space:  global
        .offset:         16
        .size:           8
        .value_kind:     global_buffer
      - .offset:         24
        .size:           4
        .value_kind:     by_value
      - .offset:         32
        .size:           8
        .value_kind:     by_value
      - .address_space:  global
        .offset:         40
        .size:           8
        .value_kind:     global_buffer
      - .offset:         48
        .size:           4
        .value_kind:     by_value
      - .offset:         56
        .size:           8
        .value_kind:     by_value
      - .offset:         64
        .size:           8
        .value_kind:     by_value
      - .address_space:  global
        .offset:         72
        .size:           8
        .value_kind:     global_buffer
      - .offset:         80
        .size:           4
        .value_kind:     by_value
      - .offset:         88
        .size:           8
        .value_kind:     by_value
      - .offset:         96
        .size:           4
        .value_kind:     by_value
    .group_segment_fixed_size: 4096
    .kernarg_segment_align: 8
    .kernarg_segment_size: 100
    .language:       OpenCL C
    .language_version:
      - 2
      - 0
    .max_flat_workgroup_size: 256
    .name:           _ZL32rocblas_syrkx_herkx_small_kernelIidLi16ELb0ELb0ELc67ELc76EKPKdKPdEviT_T0_PT6_S5_lS8_S5_lS6_PT7_S5_li
    .private_segment_fixed_size: 0
    .sgpr_count:     27
    .sgpr_spill_count: 0
    .symbol:         _ZL32rocblas_syrkx_herkx_small_kernelIidLi16ELb0ELb0ELc67ELc76EKPKdKPdEviT_T0_PT6_S5_lS8_S5_lS6_PT7_S5_li.kd
    .uniform_work_group_size: 1
    .uses_dynamic_stack: false
    .vgpr_count:     24
    .vgpr_spill_count: 0
    .wavefront_size: 64
  - .args:
      - .offset:         0
        .size:           4
        .value_kind:     by_value
      - .offset:         4
        .size:           4
        .value_kind:     by_value
      - .offset:         8
        .size:           8
        .value_kind:     by_value
      - .address_space:  global
        .offset:         16
        .size:           8
        .value_kind:     global_buffer
      - .offset:         24
        .size:           4
        .value_kind:     by_value
      - .offset:         32
        .size:           8
        .value_kind:     by_value
      - .address_space:  global
        .offset:         40
        .size:           8
        .value_kind:     global_buffer
      - .offset:         48
        .size:           4
        .value_kind:     by_value
      - .offset:         56
        .size:           8
        .value_kind:     by_value
      - .offset:         64
        .size:           8
        .value_kind:     by_value
      - .address_space:  global
        .offset:         72
        .size:           8
        .value_kind:     global_buffer
      - .offset:         80
        .size:           4
        .value_kind:     by_value
      - .offset:         88
        .size:           8
        .value_kind:     by_value
      - .offset:         96
        .size:           4
        .value_kind:     by_value
    .group_segment_fixed_size: 4096
    .kernarg_segment_align: 8
    .kernarg_segment_size: 100
    .language:       OpenCL C
    .language_version:
      - 2
      - 0
    .max_flat_workgroup_size: 256
    .name:           _ZL32rocblas_syrkx_herkx_small_kernelIidLi16ELb0ELb0ELc78ELc76EKPKdKPdEviT_T0_PT6_S5_lS8_S5_lS6_PT7_S5_li
    .private_segment_fixed_size: 0
    .sgpr_count:     28
    .sgpr_spill_count: 0
    .symbol:         _ZL32rocblas_syrkx_herkx_small_kernelIidLi16ELb0ELb0ELc78ELc76EKPKdKPdEviT_T0_PT6_S5_lS8_S5_lS6_PT7_S5_li.kd
    .uniform_work_group_size: 1
    .uses_dynamic_stack: false
    .vgpr_count:     31
    .vgpr_spill_count: 0
    .wavefront_size: 64
  - .args:
      - .offset:         0
        .size:           4
        .value_kind:     by_value
      - .offset:         4
        .size:           4
        .value_kind:     by_value
      - .offset:         8
        .size:           8
        .value_kind:     by_value
      - .address_space:  global
        .offset:         16
        .size:           8
        .value_kind:     global_buffer
      - .offset:         24
        .size:           4
        .value_kind:     by_value
      - .offset:         32
        .size:           8
        .value_kind:     by_value
      - .address_space:  global
        .offset:         40
        .size:           8
        .value_kind:     global_buffer
      - .offset:         48
        .size:           4
        .value_kind:     by_value
      - .offset:         56
        .size:           8
        .value_kind:     by_value
      - .offset:         64
        .size:           8
        .value_kind:     by_value
      - .address_space:  global
        .offset:         72
        .size:           8
        .value_kind:     global_buffer
      - .offset:         80
        .size:           4
        .value_kind:     by_value
      - .offset:         88
        .size:           8
        .value_kind:     by_value
      - .offset:         96
        .size:           4
        .value_kind:     by_value
    .group_segment_fixed_size: 4096
    .kernarg_segment_align: 8
    .kernarg_segment_size: 100
    .language:       OpenCL C
    .language_version:
      - 2
      - 0
    .max_flat_workgroup_size: 256
    .name:           _ZL32rocblas_syrkx_herkx_small_kernelIidLi16ELb0ELb0ELc84ELc85EKPKdKPdEviT_T0_PT6_S5_lS8_S5_lS6_PT7_S5_li
    .private_segment_fixed_size: 0
    .sgpr_count:     29
    .sgpr_spill_count: 0
    .symbol:         _ZL32rocblas_syrkx_herkx_small_kernelIidLi16ELb0ELb0ELc84ELc85EKPKdKPdEviT_T0_PT6_S5_lS8_S5_lS6_PT7_S5_li.kd
    .uniform_work_group_size: 1
    .uses_dynamic_stack: false
    .vgpr_count:     24
    .vgpr_spill_count: 0
    .wavefront_size: 64
  - .args:
      - .offset:         0
        .size:           4
        .value_kind:     by_value
      - .offset:         4
        .size:           4
        .value_kind:     by_value
      - .offset:         8
        .size:           8
        .value_kind:     by_value
      - .address_space:  global
        .offset:         16
        .size:           8
        .value_kind:     global_buffer
      - .offset:         24
        .size:           4
        .value_kind:     by_value
      - .offset:         32
        .size:           8
        .value_kind:     by_value
      - .address_space:  global
        .offset:         40
        .size:           8
        .value_kind:     global_buffer
      - .offset:         48
        .size:           4
        .value_kind:     by_value
      - .offset:         56
        .size:           8
        .value_kind:     by_value
      - .offset:         64
        .size:           8
        .value_kind:     by_value
      - .address_space:  global
        .offset:         72
        .size:           8
        .value_kind:     global_buffer
      - .offset:         80
        .size:           4
        .value_kind:     by_value
      - .offset:         88
        .size:           8
        .value_kind:     by_value
      - .offset:         96
        .size:           4
        .value_kind:     by_value
    .group_segment_fixed_size: 4096
    .kernarg_segment_align: 8
    .kernarg_segment_size: 100
    .language:       OpenCL C
    .language_version:
      - 2
      - 0
    .max_flat_workgroup_size: 256
    .name:           _ZL32rocblas_syrkx_herkx_small_kernelIidLi16ELb0ELb0ELc67ELc85EKPKdKPdEviT_T0_PT6_S5_lS8_S5_lS6_PT7_S5_li
    .private_segment_fixed_size: 0
    .sgpr_count:     29
    .sgpr_spill_count: 0
    .symbol:         _ZL32rocblas_syrkx_herkx_small_kernelIidLi16ELb0ELb0ELc67ELc85EKPKdKPdEviT_T0_PT6_S5_lS8_S5_lS6_PT7_S5_li.kd
    .uniform_work_group_size: 1
    .uses_dynamic_stack: false
    .vgpr_count:     24
    .vgpr_spill_count: 0
    .wavefront_size: 64
  - .args:
      - .offset:         0
        .size:           4
        .value_kind:     by_value
      - .offset:         4
        .size:           4
        .value_kind:     by_value
      - .offset:         8
        .size:           8
        .value_kind:     by_value
      - .address_space:  global
        .offset:         16
        .size:           8
        .value_kind:     global_buffer
      - .offset:         24
        .size:           4
        .value_kind:     by_value
      - .offset:         32
        .size:           8
        .value_kind:     by_value
      - .address_space:  global
        .offset:         40
        .size:           8
        .value_kind:     global_buffer
      - .offset:         48
        .size:           4
        .value_kind:     by_value
      - .offset:         56
        .size:           8
        .value_kind:     by_value
      - .offset:         64
        .size:           8
        .value_kind:     by_value
      - .address_space:  global
        .offset:         72
        .size:           8
        .value_kind:     global_buffer
      - .offset:         80
        .size:           4
        .value_kind:     by_value
      - .offset:         88
        .size:           8
        .value_kind:     by_value
      - .offset:         96
        .size:           4
        .value_kind:     by_value
    .group_segment_fixed_size: 4096
    .kernarg_segment_align: 8
    .kernarg_segment_size: 100
    .language:       OpenCL C
    .language_version:
      - 2
      - 0
    .max_flat_workgroup_size: 256
    .name:           _ZL32rocblas_syrkx_herkx_small_kernelIidLi16ELb0ELb0ELc78ELc85EKPKdKPdEviT_T0_PT6_S5_lS8_S5_lS6_PT7_S5_li
    .private_segment_fixed_size: 0
    .sgpr_count:     28
    .sgpr_spill_count: 0
    .symbol:         _ZL32rocblas_syrkx_herkx_small_kernelIidLi16ELb0ELb0ELc78ELc85EKPKdKPdEviT_T0_PT6_S5_lS8_S5_lS6_PT7_S5_li.kd
    .uniform_work_group_size: 1
    .uses_dynamic_stack: false
    .vgpr_count:     31
    .vgpr_spill_count: 0
    .wavefront_size: 64
  - .args:
      - .offset:         0
        .size:           4
        .value_kind:     by_value
      - .offset:         4
        .size:           4
        .value_kind:     by_value
      - .offset:         8
        .size:           8
        .value_kind:     by_value
      - .address_space:  global
        .offset:         16
        .size:           8
        .value_kind:     global_buffer
      - .offset:         24
        .size:           4
        .value_kind:     by_value
      - .offset:         32
        .size:           8
        .value_kind:     by_value
      - .address_space:  global
        .offset:         40
        .size:           8
        .value_kind:     global_buffer
      - .offset:         48
        .size:           4
        .value_kind:     by_value
      - .offset:         56
        .size:           8
        .value_kind:     by_value
      - .offset:         64
        .size:           8
        .value_kind:     by_value
      - .address_space:  global
        .offset:         72
        .size:           8
        .value_kind:     global_buffer
      - .offset:         80
        .size:           4
        .value_kind:     by_value
      - .offset:         88
        .size:           8
        .value_kind:     by_value
      - .offset:         96
        .size:           4
        .value_kind:     by_value
    .group_segment_fixed_size: 4096
    .kernarg_segment_align: 8
    .kernarg_segment_size: 100
    .language:       OpenCL C
    .language_version:
      - 2
      - 0
    .max_flat_workgroup_size: 256
    .name:           _ZL34rocblas_syrkx_herkx_general_kernelIidLi16ELi32ELi8ELb1ELb0ELc84ELc76EKPKdKPdEviT_T0_PT8_S5_lS8_S5_lS6_PT9_S5_li
    .private_segment_fixed_size: 0
    .sgpr_count:     25
    .sgpr_spill_count: 0
    .symbol:         _ZL34rocblas_syrkx_herkx_general_kernelIidLi16ELi32ELi8ELb1ELb0ELc84ELc76EKPKdKPdEviT_T0_PT8_S5_lS8_S5_lS6_PT9_S5_li.kd
    .uniform_work_group_size: 1
    .uses_dynamic_stack: false
    .vgpr_count:     38
    .vgpr_spill_count: 0
    .wavefront_size: 64
  - .args:
      - .offset:         0
        .size:           4
        .value_kind:     by_value
      - .offset:         4
        .size:           4
        .value_kind:     by_value
      - .offset:         8
        .size:           8
        .value_kind:     by_value
      - .address_space:  global
        .offset:         16
        .size:           8
        .value_kind:     global_buffer
      - .offset:         24
        .size:           4
        .value_kind:     by_value
      - .offset:         32
        .size:           8
        .value_kind:     by_value
      - .address_space:  global
        .offset:         40
        .size:           8
        .value_kind:     global_buffer
      - .offset:         48
        .size:           4
        .value_kind:     by_value
      - .offset:         56
        .size:           8
        .value_kind:     by_value
      - .offset:         64
        .size:           8
        .value_kind:     by_value
      - .address_space:  global
        .offset:         72
        .size:           8
        .value_kind:     global_buffer
      - .offset:         80
        .size:           4
        .value_kind:     by_value
      - .offset:         88
        .size:           8
        .value_kind:     by_value
      - .offset:         96
        .size:           4
        .value_kind:     by_value
    .group_segment_fixed_size: 4096
    .kernarg_segment_align: 8
    .kernarg_segment_size: 100
    .language:       OpenCL C
    .language_version:
      - 2
      - 0
    .max_flat_workgroup_size: 256
    .name:           _ZL34rocblas_syrkx_herkx_general_kernelIidLi16ELi32ELi8ELb1ELb0ELc67ELc76EKPKdKPdEviT_T0_PT8_S5_lS8_S5_lS6_PT9_S5_li
    .private_segment_fixed_size: 0
    .sgpr_count:     25
    .sgpr_spill_count: 0
    .symbol:         _ZL34rocblas_syrkx_herkx_general_kernelIidLi16ELi32ELi8ELb1ELb0ELc67ELc76EKPKdKPdEviT_T0_PT8_S5_lS8_S5_lS6_PT9_S5_li.kd
    .uniform_work_group_size: 1
    .uses_dynamic_stack: false
    .vgpr_count:     38
    .vgpr_spill_count: 0
    .wavefront_size: 64
  - .args:
      - .offset:         0
        .size:           4
        .value_kind:     by_value
      - .offset:         4
        .size:           4
        .value_kind:     by_value
      - .offset:         8
        .size:           8
        .value_kind:     by_value
      - .address_space:  global
        .offset:         16
        .size:           8
        .value_kind:     global_buffer
      - .offset:         24
        .size:           4
        .value_kind:     by_value
      - .offset:         32
        .size:           8
        .value_kind:     by_value
      - .address_space:  global
        .offset:         40
        .size:           8
        .value_kind:     global_buffer
      - .offset:         48
        .size:           4
        .value_kind:     by_value
      - .offset:         56
        .size:           8
        .value_kind:     by_value
      - .offset:         64
        .size:           8
        .value_kind:     by_value
      - .address_space:  global
        .offset:         72
        .size:           8
        .value_kind:     global_buffer
      - .offset:         80
        .size:           4
        .value_kind:     by_value
      - .offset:         88
        .size:           8
        .value_kind:     by_value
      - .offset:         96
        .size:           4
        .value_kind:     by_value
    .group_segment_fixed_size: 4096
    .kernarg_segment_align: 8
    .kernarg_segment_size: 100
    .language:       OpenCL C
    .language_version:
      - 2
      - 0
    .max_flat_workgroup_size: 256
    .name:           _ZL34rocblas_syrkx_herkx_general_kernelIidLi16ELi32ELi8ELb1ELb0ELc78ELc76EKPKdKPdEviT_T0_PT8_S5_lS8_S5_lS6_PT9_S5_li
    .private_segment_fixed_size: 0
    .sgpr_count:     28
    .sgpr_spill_count: 0
    .symbol:         _ZL34rocblas_syrkx_herkx_general_kernelIidLi16ELi32ELi8ELb1ELb0ELc78ELc76EKPKdKPdEviT_T0_PT8_S5_lS8_S5_lS6_PT9_S5_li.kd
    .uniform_work_group_size: 1
    .uses_dynamic_stack: false
    .vgpr_count:     40
    .vgpr_spill_count: 0
    .wavefront_size: 64
  - .args:
      - .offset:         0
        .size:           4
        .value_kind:     by_value
      - .offset:         4
        .size:           4
        .value_kind:     by_value
      - .offset:         8
        .size:           8
        .value_kind:     by_value
      - .address_space:  global
        .offset:         16
        .size:           8
        .value_kind:     global_buffer
      - .offset:         24
        .size:           4
        .value_kind:     by_value
      - .offset:         32
        .size:           8
        .value_kind:     by_value
      - .address_space:  global
        .offset:         40
        .size:           8
        .value_kind:     global_buffer
      - .offset:         48
        .size:           4
        .value_kind:     by_value
      - .offset:         56
        .size:           8
        .value_kind:     by_value
      - .offset:         64
        .size:           8
        .value_kind:     by_value
      - .address_space:  global
        .offset:         72
        .size:           8
        .value_kind:     global_buffer
      - .offset:         80
        .size:           4
        .value_kind:     by_value
      - .offset:         88
        .size:           8
        .value_kind:     by_value
      - .offset:         96
        .size:           4
        .value_kind:     by_value
    .group_segment_fixed_size: 4096
    .kernarg_segment_align: 8
    .kernarg_segment_size: 100
    .language:       OpenCL C
    .language_version:
      - 2
      - 0
    .max_flat_workgroup_size: 256
    .name:           _ZL34rocblas_syrkx_herkx_general_kernelIidLi16ELi32ELi8ELb1ELb0ELc84ELc85EKPKdKPdEviT_T0_PT8_S5_lS8_S5_lS6_PT9_S5_li
    .private_segment_fixed_size: 0
    .sgpr_count:     25
    .sgpr_spill_count: 0
    .symbol:         _ZL34rocblas_syrkx_herkx_general_kernelIidLi16ELi32ELi8ELb1ELb0ELc84ELc85EKPKdKPdEviT_T0_PT8_S5_lS8_S5_lS6_PT9_S5_li.kd
    .uniform_work_group_size: 1
    .uses_dynamic_stack: false
    .vgpr_count:     38
    .vgpr_spill_count: 0
    .wavefront_size: 64
  - .args:
      - .offset:         0
        .size:           4
        .value_kind:     by_value
      - .offset:         4
        .size:           4
        .value_kind:     by_value
      - .offset:         8
        .size:           8
        .value_kind:     by_value
      - .address_space:  global
        .offset:         16
        .size:           8
        .value_kind:     global_buffer
      - .offset:         24
        .size:           4
        .value_kind:     by_value
      - .offset:         32
        .size:           8
        .value_kind:     by_value
      - .address_space:  global
        .offset:         40
        .size:           8
        .value_kind:     global_buffer
      - .offset:         48
        .size:           4
        .value_kind:     by_value
      - .offset:         56
        .size:           8
        .value_kind:     by_value
      - .offset:         64
        .size:           8
        .value_kind:     by_value
      - .address_space:  global
        .offset:         72
        .size:           8
        .value_kind:     global_buffer
      - .offset:         80
        .size:           4
        .value_kind:     by_value
      - .offset:         88
        .size:           8
        .value_kind:     by_value
      - .offset:         96
        .size:           4
        .value_kind:     by_value
    .group_segment_fixed_size: 4096
    .kernarg_segment_align: 8
    .kernarg_segment_size: 100
    .language:       OpenCL C
    .language_version:
      - 2
      - 0
    .max_flat_workgroup_size: 256
    .name:           _ZL34rocblas_syrkx_herkx_general_kernelIidLi16ELi32ELi8ELb1ELb0ELc67ELc85EKPKdKPdEviT_T0_PT8_S5_lS8_S5_lS6_PT9_S5_li
    .private_segment_fixed_size: 0
    .sgpr_count:     25
    .sgpr_spill_count: 0
    .symbol:         _ZL34rocblas_syrkx_herkx_general_kernelIidLi16ELi32ELi8ELb1ELb0ELc67ELc85EKPKdKPdEviT_T0_PT8_S5_lS8_S5_lS6_PT9_S5_li.kd
    .uniform_work_group_size: 1
    .uses_dynamic_stack: false
    .vgpr_count:     38
    .vgpr_spill_count: 0
    .wavefront_size: 64
  - .args:
      - .offset:         0
        .size:           4
        .value_kind:     by_value
      - .offset:         4
        .size:           4
        .value_kind:     by_value
      - .offset:         8
        .size:           8
        .value_kind:     by_value
      - .address_space:  global
        .offset:         16
        .size:           8
        .value_kind:     global_buffer
      - .offset:         24
        .size:           4
        .value_kind:     by_value
      - .offset:         32
        .size:           8
        .value_kind:     by_value
      - .address_space:  global
        .offset:         40
        .size:           8
        .value_kind:     global_buffer
      - .offset:         48
        .size:           4
        .value_kind:     by_value
      - .offset:         56
        .size:           8
        .value_kind:     by_value
      - .offset:         64
        .size:           8
        .value_kind:     by_value
      - .address_space:  global
        .offset:         72
        .size:           8
        .value_kind:     global_buffer
      - .offset:         80
        .size:           4
        .value_kind:     by_value
      - .offset:         88
        .size:           8
        .value_kind:     by_value
      - .offset:         96
        .size:           4
        .value_kind:     by_value
    .group_segment_fixed_size: 4096
    .kernarg_segment_align: 8
    .kernarg_segment_size: 100
    .language:       OpenCL C
    .language_version:
      - 2
      - 0
    .max_flat_workgroup_size: 256
    .name:           _ZL34rocblas_syrkx_herkx_general_kernelIidLi16ELi32ELi8ELb1ELb0ELc78ELc85EKPKdKPdEviT_T0_PT8_S5_lS8_S5_lS6_PT9_S5_li
    .private_segment_fixed_size: 0
    .sgpr_count:     28
    .sgpr_spill_count: 0
    .symbol:         _ZL34rocblas_syrkx_herkx_general_kernelIidLi16ELi32ELi8ELb1ELb0ELc78ELc85EKPKdKPdEviT_T0_PT8_S5_lS8_S5_lS6_PT9_S5_li.kd
    .uniform_work_group_size: 1
    .uses_dynamic_stack: false
    .vgpr_count:     40
    .vgpr_spill_count: 0
    .wavefront_size: 64
  - .args:
      - .offset:         0
        .size:           4
        .value_kind:     by_value
      - .offset:         4
        .size:           4
        .value_kind:     by_value
      - .offset:         8
        .size:           8
        .value_kind:     by_value
      - .address_space:  global
        .offset:         16
        .size:           8
        .value_kind:     global_buffer
      - .offset:         24
        .size:           4
        .value_kind:     by_value
      - .offset:         32
        .size:           8
        .value_kind:     by_value
      - .address_space:  global
        .offset:         40
        .size:           8
        .value_kind:     global_buffer
      - .offset:         48
        .size:           4
        .value_kind:     by_value
      - .offset:         56
        .size:           8
        .value_kind:     by_value
      - .offset:         64
        .size:           8
        .value_kind:     by_value
      - .address_space:  global
        .offset:         72
        .size:           8
        .value_kind:     global_buffer
      - .offset:         80
        .size:           4
        .value_kind:     by_value
      - .offset:         88
        .size:           8
        .value_kind:     by_value
      - .offset:         96
        .size:           4
        .value_kind:     by_value
    .group_segment_fixed_size: 4096
    .kernarg_segment_align: 8
    .kernarg_segment_size: 100
    .language:       OpenCL C
    .language_version:
      - 2
      - 0
    .max_flat_workgroup_size: 256
    .name:           _ZL34rocblas_syrkx_herkx_general_kernelIidLi16ELi32ELi8ELb0ELb0ELc84ELc76EKPKdKPdEviT_T0_PT8_S5_lS8_S5_lS6_PT9_S5_li
    .private_segment_fixed_size: 0
    .sgpr_count:     27
    .sgpr_spill_count: 0
    .symbol:         _ZL34rocblas_syrkx_herkx_general_kernelIidLi16ELi32ELi8ELb0ELb0ELc84ELc76EKPKdKPdEviT_T0_PT8_S5_lS8_S5_lS6_PT9_S5_li.kd
    .uniform_work_group_size: 1
    .uses_dynamic_stack: false
    .vgpr_count:     38
    .vgpr_spill_count: 0
    .wavefront_size: 64
  - .args:
      - .offset:         0
        .size:           4
        .value_kind:     by_value
      - .offset:         4
        .size:           4
        .value_kind:     by_value
      - .offset:         8
        .size:           8
        .value_kind:     by_value
      - .address_space:  global
        .offset:         16
        .size:           8
        .value_kind:     global_buffer
      - .offset:         24
        .size:           4
        .value_kind:     by_value
      - .offset:         32
        .size:           8
        .value_kind:     by_value
      - .address_space:  global
        .offset:         40
        .size:           8
        .value_kind:     global_buffer
      - .offset:         48
        .size:           4
        .value_kind:     by_value
      - .offset:         56
        .size:           8
        .value_kind:     by_value
      - .offset:         64
        .size:           8
        .value_kind:     by_value
      - .address_space:  global
        .offset:         72
        .size:           8
        .value_kind:     global_buffer
      - .offset:         80
        .size:           4
        .value_kind:     by_value
      - .offset:         88
        .size:           8
        .value_kind:     by_value
      - .offset:         96
        .size:           4
        .value_kind:     by_value
    .group_segment_fixed_size: 4096
    .kernarg_segment_align: 8
    .kernarg_segment_size: 100
    .language:       OpenCL C
    .language_version:
      - 2
      - 0
    .max_flat_workgroup_size: 256
    .name:           _ZL34rocblas_syrkx_herkx_general_kernelIidLi16ELi32ELi8ELb0ELb0ELc67ELc76EKPKdKPdEviT_T0_PT8_S5_lS8_S5_lS6_PT9_S5_li
    .private_segment_fixed_size: 0
    .sgpr_count:     27
    .sgpr_spill_count: 0
    .symbol:         _ZL34rocblas_syrkx_herkx_general_kernelIidLi16ELi32ELi8ELb0ELb0ELc67ELc76EKPKdKPdEviT_T0_PT8_S5_lS8_S5_lS6_PT9_S5_li.kd
    .uniform_work_group_size: 1
    .uses_dynamic_stack: false
    .vgpr_count:     38
    .vgpr_spill_count: 0
    .wavefront_size: 64
  - .args:
      - .offset:         0
        .size:           4
        .value_kind:     by_value
      - .offset:         4
        .size:           4
        .value_kind:     by_value
      - .offset:         8
        .size:           8
        .value_kind:     by_value
      - .address_space:  global
        .offset:         16
        .size:           8
        .value_kind:     global_buffer
      - .offset:         24
        .size:           4
        .value_kind:     by_value
      - .offset:         32
        .size:           8
        .value_kind:     by_value
      - .address_space:  global
        .offset:         40
        .size:           8
        .value_kind:     global_buffer
      - .offset:         48
        .size:           4
        .value_kind:     by_value
      - .offset:         56
        .size:           8
        .value_kind:     by_value
      - .offset:         64
        .size:           8
        .value_kind:     by_value
      - .address_space:  global
        .offset:         72
        .size:           8
        .value_kind:     global_buffer
      - .offset:         80
        .size:           4
        .value_kind:     by_value
      - .offset:         88
        .size:           8
        .value_kind:     by_value
      - .offset:         96
        .size:           4
        .value_kind:     by_value
    .group_segment_fixed_size: 4096
    .kernarg_segment_align: 8
    .kernarg_segment_size: 100
    .language:       OpenCL C
    .language_version:
      - 2
      - 0
    .max_flat_workgroup_size: 256
    .name:           _ZL34rocblas_syrkx_herkx_general_kernelIidLi16ELi32ELi8ELb0ELb0ELc78ELc76EKPKdKPdEviT_T0_PT8_S5_lS8_S5_lS6_PT9_S5_li
    .private_segment_fixed_size: 0
    .sgpr_count:     30
    .sgpr_spill_count: 0
    .symbol:         _ZL34rocblas_syrkx_herkx_general_kernelIidLi16ELi32ELi8ELb0ELb0ELc78ELc76EKPKdKPdEviT_T0_PT8_S5_lS8_S5_lS6_PT9_S5_li.kd
    .uniform_work_group_size: 1
    .uses_dynamic_stack: false
    .vgpr_count:     40
    .vgpr_spill_count: 0
    .wavefront_size: 64
  - .args:
      - .offset:         0
        .size:           4
        .value_kind:     by_value
      - .offset:         4
        .size:           4
        .value_kind:     by_value
      - .offset:         8
        .size:           8
        .value_kind:     by_value
      - .address_space:  global
        .offset:         16
        .size:           8
        .value_kind:     global_buffer
      - .offset:         24
        .size:           4
        .value_kind:     by_value
      - .offset:         32
        .size:           8
        .value_kind:     by_value
      - .address_space:  global
        .offset:         40
        .size:           8
        .value_kind:     global_buffer
      - .offset:         48
        .size:           4
        .value_kind:     by_value
      - .offset:         56
        .size:           8
        .value_kind:     by_value
      - .offset:         64
        .size:           8
        .value_kind:     by_value
      - .address_space:  global
        .offset:         72
        .size:           8
        .value_kind:     global_buffer
      - .offset:         80
        .size:           4
        .value_kind:     by_value
      - .offset:         88
        .size:           8
        .value_kind:     by_value
      - .offset:         96
        .size:           4
        .value_kind:     by_value
    .group_segment_fixed_size: 4096
    .kernarg_segment_align: 8
    .kernarg_segment_size: 100
    .language:       OpenCL C
    .language_version:
      - 2
      - 0
    .max_flat_workgroup_size: 256
    .name:           _ZL34rocblas_syrkx_herkx_general_kernelIidLi16ELi32ELi8ELb0ELb0ELc84ELc85EKPKdKPdEviT_T0_PT8_S5_lS8_S5_lS6_PT9_S5_li
    .private_segment_fixed_size: 0
    .sgpr_count:     27
    .sgpr_spill_count: 0
    .symbol:         _ZL34rocblas_syrkx_herkx_general_kernelIidLi16ELi32ELi8ELb0ELb0ELc84ELc85EKPKdKPdEviT_T0_PT8_S5_lS8_S5_lS6_PT9_S5_li.kd
    .uniform_work_group_size: 1
    .uses_dynamic_stack: false
    .vgpr_count:     38
    .vgpr_spill_count: 0
    .wavefront_size: 64
  - .args:
      - .offset:         0
        .size:           4
        .value_kind:     by_value
      - .offset:         4
        .size:           4
        .value_kind:     by_value
      - .offset:         8
        .size:           8
        .value_kind:     by_value
      - .address_space:  global
        .offset:         16
        .size:           8
        .value_kind:     global_buffer
      - .offset:         24
        .size:           4
        .value_kind:     by_value
      - .offset:         32
        .size:           8
        .value_kind:     by_value
      - .address_space:  global
        .offset:         40
        .size:           8
        .value_kind:     global_buffer
      - .offset:         48
        .size:           4
        .value_kind:     by_value
      - .offset:         56
        .size:           8
        .value_kind:     by_value
      - .offset:         64
        .size:           8
        .value_kind:     by_value
      - .address_space:  global
        .offset:         72
        .size:           8
        .value_kind:     global_buffer
      - .offset:         80
        .size:           4
        .value_kind:     by_value
      - .offset:         88
        .size:           8
        .value_kind:     by_value
      - .offset:         96
        .size:           4
        .value_kind:     by_value
    .group_segment_fixed_size: 4096
    .kernarg_segment_align: 8
    .kernarg_segment_size: 100
    .language:       OpenCL C
    .language_version:
      - 2
      - 0
    .max_flat_workgroup_size: 256
    .name:           _ZL34rocblas_syrkx_herkx_general_kernelIidLi16ELi32ELi8ELb0ELb0ELc67ELc85EKPKdKPdEviT_T0_PT8_S5_lS8_S5_lS6_PT9_S5_li
    .private_segment_fixed_size: 0
    .sgpr_count:     27
    .sgpr_spill_count: 0
    .symbol:         _ZL34rocblas_syrkx_herkx_general_kernelIidLi16ELi32ELi8ELb0ELb0ELc67ELc85EKPKdKPdEviT_T0_PT8_S5_lS8_S5_lS6_PT9_S5_li.kd
    .uniform_work_group_size: 1
    .uses_dynamic_stack: false
    .vgpr_count:     38
    .vgpr_spill_count: 0
    .wavefront_size: 64
  - .args:
      - .offset:         0
        .size:           4
        .value_kind:     by_value
      - .offset:         4
        .size:           4
        .value_kind:     by_value
      - .offset:         8
        .size:           8
        .value_kind:     by_value
      - .address_space:  global
        .offset:         16
        .size:           8
        .value_kind:     global_buffer
      - .offset:         24
        .size:           4
        .value_kind:     by_value
      - .offset:         32
        .size:           8
        .value_kind:     by_value
      - .address_space:  global
        .offset:         40
        .size:           8
        .value_kind:     global_buffer
      - .offset:         48
        .size:           4
        .value_kind:     by_value
      - .offset:         56
        .size:           8
        .value_kind:     by_value
      - .offset:         64
        .size:           8
        .value_kind:     by_value
      - .address_space:  global
        .offset:         72
        .size:           8
        .value_kind:     global_buffer
      - .offset:         80
        .size:           4
        .value_kind:     by_value
      - .offset:         88
        .size:           8
        .value_kind:     by_value
      - .offset:         96
        .size:           4
        .value_kind:     by_value
    .group_segment_fixed_size: 4096
    .kernarg_segment_align: 8
    .kernarg_segment_size: 100
    .language:       OpenCL C
    .language_version:
      - 2
      - 0
    .max_flat_workgroup_size: 256
    .name:           _ZL34rocblas_syrkx_herkx_general_kernelIidLi16ELi32ELi8ELb0ELb0ELc78ELc85EKPKdKPdEviT_T0_PT8_S5_lS8_S5_lS6_PT9_S5_li
    .private_segment_fixed_size: 0
    .sgpr_count:     30
    .sgpr_spill_count: 0
    .symbol:         _ZL34rocblas_syrkx_herkx_general_kernelIidLi16ELi32ELi8ELb0ELb0ELc78ELc85EKPKdKPdEviT_T0_PT8_S5_lS8_S5_lS6_PT9_S5_li.kd
    .uniform_work_group_size: 1
    .uses_dynamic_stack: false
    .vgpr_count:     40
    .vgpr_spill_count: 0
    .wavefront_size: 64
  - .args:
      - .offset:         0
        .size:           1
        .value_kind:     by_value
      - .offset:         4
        .size:           4
        .value_kind:     by_value
      - .offset:         8
        .size:           4
        .value_kind:     by_value
      - .offset:         16
        .size:           8
        .value_kind:     by_value
      - .offset:         24
        .size:           8
        .value_kind:     by_value
      - .address_space:  global
        .offset:         32
        .size:           8
        .value_kind:     global_buffer
      - .offset:         40
        .size:           4
        .value_kind:     by_value
      - .offset:         48
        .size:           8
        .value_kind:     by_value
      - .offset:         56
        .size:           4
        .value_kind:     by_value
      - .offset:         64
        .size:           4
        .value_kind:     hidden_block_count_x
      - .offset:         68
        .size:           4
        .value_kind:     hidden_block_count_y
      - .offset:         72
        .size:           4
        .value_kind:     hidden_block_count_z
      - .offset:         76
        .size:           2
        .value_kind:     hidden_group_size_x
      - .offset:         78
        .size:           2
        .value_kind:     hidden_group_size_y
      - .offset:         80
        .size:           2
        .value_kind:     hidden_group_size_z
      - .offset:         82
        .size:           2
        .value_kind:     hidden_remainder_x
      - .offset:         84
        .size:           2
        .value_kind:     hidden_remainder_y
      - .offset:         86
        .size:           2
        .value_kind:     hidden_remainder_z
      - .offset:         104
        .size:           8
        .value_kind:     hidden_global_offset_x
      - .offset:         112
        .size:           8
        .value_kind:     hidden_global_offset_y
      - .offset:         120
        .size:           8
        .value_kind:     hidden_global_offset_z
      - .offset:         128
        .size:           2
        .value_kind:     hidden_grid_dims
    .group_segment_fixed_size: 0
    .kernarg_segment_align: 8
    .kernarg_segment_size: 320
    .language:       OpenCL C
    .language_version:
      - 2
      - 0
    .max_flat_workgroup_size: 1024
    .name:           _ZL26rocblas_syr2k_scale_kernelIiLi128ELi8ELb0EddPKPdEvbiT_T3_T4_T5_S3_li
    .private_segment_fixed_size: 0
    .sgpr_count:     20
    .sgpr_spill_count: 0
    .symbol:         _ZL26rocblas_syr2k_scale_kernelIiLi128ELi8ELb0EddPKPdEvbiT_T3_T4_T5_S3_li.kd
    .uniform_work_group_size: 1
    .uses_dynamic_stack: false
    .vgpr_count:     5
    .vgpr_spill_count: 0
    .wavefront_size: 64
  - .args:
      - .offset:         0
        .size:           1
        .value_kind:     by_value
      - .offset:         4
        .size:           4
        .value_kind:     by_value
      - .offset:         8
        .size:           4
        .value_kind:     by_value
      - .address_space:  global
        .offset:         16
        .size:           8
        .value_kind:     global_buffer
      - .address_space:  global
        .offset:         24
        .size:           8
        .value_kind:     global_buffer
      - .offset:         32
        .size:           4
        .value_kind:     by_value
      - .offset:         40
        .size:           8
        .value_kind:     by_value
      - .address_space:  global
        .offset:         48
        .size:           8
        .value_kind:     global_buffer
      - .offset:         56
        .size:           4
        .value_kind:     by_value
      - .offset:         64
        .size:           8
        .value_kind:     by_value
      - .address_space:  global
        .offset:         72
        .size:           8
        .value_kind:     global_buffer
      - .offset:         80
        .size:           4
        .value_kind:     by_value
      - .offset:         88
        .size:           8
        .value_kind:     by_value
      - .offset:         96
        .size:           4
        .value_kind:     by_value
    .group_segment_fixed_size: 16384
    .kernarg_segment_align: 8
    .kernarg_segment_size: 100
    .language:       OpenCL C
    .language_version:
      - 2
      - 0
    .max_flat_workgroup_size: 1024
    .name:           _ZL26rocblas_syr2k_her2k_kernelIiLb0ELb0ELb0ELi32EPKdPKS1_PKPdEvbiT_T4_T5_S7_lS9_S7_lT6_S7_li
    .private_segment_fixed_size: 0
    .sgpr_count:     29
    .sgpr_spill_count: 0
    .symbol:         _ZL26rocblas_syr2k_her2k_kernelIiLb0ELb0ELb0ELi32EPKdPKS1_PKPdEvbiT_T4_T5_S7_lS9_S7_lT6_S7_li.kd
    .uniform_work_group_size: 1
    .uses_dynamic_stack: false
    .vgpr_count:     27
    .vgpr_spill_count: 0
    .wavefront_size: 64
  - .args:
      - .offset:         0
        .size:           1
        .value_kind:     by_value
      - .offset:         4
        .size:           4
        .value_kind:     by_value
      - .offset:         8
        .size:           4
        .value_kind:     by_value
      - .address_space:  global
        .offset:         16
        .size:           8
        .value_kind:     global_buffer
      - .address_space:  global
        .offset:         24
        .size:           8
        .value_kind:     global_buffer
      - .offset:         32
        .size:           4
        .value_kind:     by_value
      - .offset:         40
        .size:           8
        .value_kind:     by_value
      - .address_space:  global
        .offset:         48
        .size:           8
        .value_kind:     global_buffer
      - .offset:         56
        .size:           4
        .value_kind:     by_value
      - .offset:         64
        .size:           8
        .value_kind:     by_value
      - .address_space:  global
        .offset:         72
        .size:           8
        .value_kind:     global_buffer
      - .offset:         80
        .size:           4
        .value_kind:     by_value
      - .offset:         88
        .size:           8
        .value_kind:     by_value
      - .offset:         96
        .size:           4
        .value_kind:     by_value
    .group_segment_fixed_size: 16384
    .kernarg_segment_align: 8
    .kernarg_segment_size: 100
    .language:       OpenCL C
    .language_version:
      - 2
      - 0
    .max_flat_workgroup_size: 1024
    .name:           _ZL26rocblas_syr2k_her2k_kernelIiLb0ELb0ELb1ELi32EPKdPKS1_PKPdEvbiT_T4_T5_S7_lS9_S7_lT6_S7_li
    .private_segment_fixed_size: 0
    .sgpr_count:     29
    .sgpr_spill_count: 0
    .symbol:         _ZL26rocblas_syr2k_her2k_kernelIiLb0ELb0ELb1ELi32EPKdPKS1_PKPdEvbiT_T4_T5_S7_lS9_S7_lT6_S7_li.kd
    .uniform_work_group_size: 1
    .uses_dynamic_stack: false
    .vgpr_count:     28
    .vgpr_spill_count: 0
    .wavefront_size: 64
  - .args:
      - .offset:         0
        .size:           1
        .value_kind:     by_value
      - .offset:         4
        .size:           4
        .value_kind:     by_value
      - .offset:         8
        .size:           4
        .value_kind:     by_value
      - .offset:         12
        .size:           8
        .value_kind:     by_value
      - .address_space:  global
        .offset:         24
        .size:           8
        .value_kind:     global_buffer
      - .offset:         32
        .size:           4
        .value_kind:     by_value
      - .offset:         40
        .size:           8
        .value_kind:     by_value
      - .address_space:  global
        .offset:         48
        .size:           8
        .value_kind:     global_buffer
      - .offset:         56
        .size:           4
        .value_kind:     by_value
      - .offset:         64
        .size:           8
        .value_kind:     by_value
      - .address_space:  global
        .offset:         72
        .size:           8
        .value_kind:     global_buffer
      - .offset:         80
        .size:           4
        .value_kind:     by_value
      - .offset:         88
        .size:           8
        .value_kind:     by_value
      - .offset:         96
        .size:           4
        .value_kind:     by_value
    .group_segment_fixed_size: 16384
    .kernarg_segment_align: 8
    .kernarg_segment_size: 100
    .language:       OpenCL C
    .language_version:
      - 2
      - 0
    .max_flat_workgroup_size: 1024
    .name:           _ZL26rocblas_syr2k_her2k_kernelIiLb0ELb0ELb0ELi32E19rocblas_complex_numIfEPKPKS1_PKPS1_EvbiT_T4_T5_S9_lSB_S9_lT6_S9_li
    .private_segment_fixed_size: 0
    .sgpr_count:     31
    .sgpr_spill_count: 0
    .symbol:         _ZL26rocblas_syr2k_her2k_kernelIiLb0ELb0ELb0ELi32E19rocblas_complex_numIfEPKPKS1_PKPS1_EvbiT_T4_T5_S9_lSB_S9_lT6_S9_li.kd
    .uniform_work_group_size: 1
    .uses_dynamic_stack: false
    .vgpr_count:     36
    .vgpr_spill_count: 0
    .wavefront_size: 64
  - .args:
      - .offset:         0
        .size:           1
        .value_kind:     by_value
      - .offset:         4
        .size:           4
        .value_kind:     by_value
      - .offset:         8
        .size:           4
        .value_kind:     by_value
      - .offset:         12
        .size:           8
        .value_kind:     by_value
      - .address_space:  global
        .offset:         24
        .size:           8
        .value_kind:     global_buffer
      - .offset:         32
        .size:           4
        .value_kind:     by_value
      - .offset:         40
        .size:           8
        .value_kind:     by_value
      - .address_space:  global
        .offset:         48
        .size:           8
        .value_kind:     global_buffer
      - .offset:         56
        .size:           4
        .value_kind:     by_value
      - .offset:         64
        .size:           8
        .value_kind:     by_value
      - .address_space:  global
        .offset:         72
        .size:           8
        .value_kind:     global_buffer
      - .offset:         80
        .size:           4
        .value_kind:     by_value
      - .offset:         88
        .size:           8
        .value_kind:     by_value
      - .offset:         96
        .size:           4
        .value_kind:     by_value
    .group_segment_fixed_size: 16384
    .kernarg_segment_align: 8
    .kernarg_segment_size: 100
    .language:       OpenCL C
    .language_version:
      - 2
      - 0
    .max_flat_workgroup_size: 1024
    .name:           _ZL26rocblas_syr2k_her2k_kernelIiLb0ELb0ELb1ELi32E19rocblas_complex_numIfEPKPKS1_PKPS1_EvbiT_T4_T5_S9_lSB_S9_lT6_S9_li
    .private_segment_fixed_size: 0
    .sgpr_count:     31
    .sgpr_spill_count: 0
    .symbol:         _ZL26rocblas_syr2k_her2k_kernelIiLb0ELb0ELb1ELi32E19rocblas_complex_numIfEPKPKS1_PKPS1_EvbiT_T4_T5_S9_lSB_S9_lT6_S9_li.kd
    .uniform_work_group_size: 1
    .uses_dynamic_stack: false
    .vgpr_count:     36
    .vgpr_spill_count: 0
    .wavefront_size: 64
  - .args:
      - .offset:         0
        .size:           4
        .value_kind:     by_value
      - .offset:         4
        .size:           4
        .value_kind:     by_value
      - .address_space:  global
        .offset:         8
        .size:           8
        .value_kind:     global_buffer
      - .offset:         16
        .size:           4
        .value_kind:     by_value
      - .offset:         24
        .size:           8
        .value_kind:     by_value
      - .address_space:  global
        .offset:         32
        .size:           8
        .value_kind:     global_buffer
      - .offset:         40
        .size:           4
        .value_kind:     by_value
      - .offset:         48
        .size:           8
        .value_kind:     by_value
      - .address_space:  global
        .offset:         56
        .size:           8
        .value_kind:     global_buffer
      - .offset:         64
        .size:           4
        .value_kind:     by_value
      - .offset:         72
        .size:           8
        .value_kind:     by_value
      - .offset:         80
        .size:           4
        .value_kind:     by_value
    .group_segment_fixed_size: 4096
    .kernarg_segment_align: 8
    .kernarg_segment_size: 84
    .language:       OpenCL C
    .language_version:
      - 2
      - 0
    .max_flat_workgroup_size: 256
    .name:           _ZL37rocblas_syrkx_herkx_restricted_kernelIi19rocblas_complex_numIfELi16ELi32ELi8ELi1ELi1ELb0ELc84ELc76EKPKS1_KPS1_EviT_PT9_S7_lS9_S7_lPT10_S7_li
    .private_segment_fixed_size: 0
    .sgpr_count:     21
    .sgpr_spill_count: 0
    .symbol:         _ZL37rocblas_syrkx_herkx_restricted_kernelIi19rocblas_complex_numIfELi16ELi32ELi8ELi1ELi1ELb0ELc84ELc76EKPKS1_KPS1_EviT_PT9_S7_lS9_S7_lPT10_S7_li.kd
    .uniform_work_group_size: 1
    .uses_dynamic_stack: false
    .vgpr_count:     41
    .vgpr_spill_count: 0
    .wavefront_size: 64
  - .args:
      - .offset:         0
        .size:           4
        .value_kind:     by_value
      - .offset:         4
        .size:           4
        .value_kind:     by_value
      - .address_space:  global
        .offset:         8
        .size:           8
        .value_kind:     global_buffer
      - .offset:         16
        .size:           4
        .value_kind:     by_value
      - .offset:         24
        .size:           8
        .value_kind:     by_value
      - .address_space:  global
        .offset:         32
        .size:           8
        .value_kind:     global_buffer
      - .offset:         40
        .size:           4
        .value_kind:     by_value
      - .offset:         48
        .size:           8
        .value_kind:     by_value
      - .address_space:  global
        .offset:         56
        .size:           8
        .value_kind:     global_buffer
      - .offset:         64
        .size:           4
        .value_kind:     by_value
      - .offset:         72
        .size:           8
        .value_kind:     by_value
      - .offset:         80
        .size:           4
        .value_kind:     by_value
    .group_segment_fixed_size: 4096
    .kernarg_segment_align: 8
    .kernarg_segment_size: 84
    .language:       OpenCL C
    .language_version:
      - 2
      - 0
    .max_flat_workgroup_size: 256
    .name:           _ZL37rocblas_syrkx_herkx_restricted_kernelIi19rocblas_complex_numIfELi16ELi32ELi8ELi1ELi1ELb0ELc67ELc76EKPKS1_KPS1_EviT_PT9_S7_lS9_S7_lPT10_S7_li
    .private_segment_fixed_size: 0
    .sgpr_count:     21
    .sgpr_spill_count: 0
    .symbol:         _ZL37rocblas_syrkx_herkx_restricted_kernelIi19rocblas_complex_numIfELi16ELi32ELi8ELi1ELi1ELb0ELc67ELc76EKPKS1_KPS1_EviT_PT9_S7_lS9_S7_lPT10_S7_li.kd
    .uniform_work_group_size: 1
    .uses_dynamic_stack: false
    .vgpr_count:     41
    .vgpr_spill_count: 0
    .wavefront_size: 64
  - .args:
      - .offset:         0
        .size:           4
        .value_kind:     by_value
      - .offset:         4
        .size:           4
        .value_kind:     by_value
      - .address_space:  global
        .offset:         8
        .size:           8
        .value_kind:     global_buffer
      - .offset:         16
        .size:           4
        .value_kind:     by_value
      - .offset:         24
        .size:           8
        .value_kind:     by_value
      - .address_space:  global
        .offset:         32
        .size:           8
        .value_kind:     global_buffer
      - .offset:         40
        .size:           4
        .value_kind:     by_value
      - .offset:         48
        .size:           8
        .value_kind:     by_value
      - .address_space:  global
        .offset:         56
        .size:           8
        .value_kind:     global_buffer
      - .offset:         64
        .size:           4
        .value_kind:     by_value
      - .offset:         72
        .size:           8
        .value_kind:     by_value
      - .offset:         80
        .size:           4
        .value_kind:     by_value
    .group_segment_fixed_size: 4096
    .kernarg_segment_align: 8
    .kernarg_segment_size: 84
    .language:       OpenCL C
    .language_version:
      - 2
      - 0
    .max_flat_workgroup_size: 256
    .name:           _ZL37rocblas_syrkx_herkx_restricted_kernelIi19rocblas_complex_numIfELi16ELi32ELi8ELi1ELi1ELb0ELc78ELc76EKPKS1_KPS1_EviT_PT9_S7_lS9_S7_lPT10_S7_li
    .private_segment_fixed_size: 0
    .sgpr_count:     24
    .sgpr_spill_count: 0
    .symbol:         _ZL37rocblas_syrkx_herkx_restricted_kernelIi19rocblas_complex_numIfELi16ELi32ELi8ELi1ELi1ELb0ELc78ELc76EKPKS1_KPS1_EviT_PT9_S7_lS9_S7_lPT10_S7_li.kd
    .uniform_work_group_size: 1
    .uses_dynamic_stack: false
    .vgpr_count:     43
    .vgpr_spill_count: 0
    .wavefront_size: 64
  - .args:
      - .offset:         0
        .size:           4
        .value_kind:     by_value
      - .offset:         4
        .size:           4
        .value_kind:     by_value
      - .address_space:  global
        .offset:         8
        .size:           8
        .value_kind:     global_buffer
      - .offset:         16
        .size:           4
        .value_kind:     by_value
      - .offset:         24
        .size:           8
        .value_kind:     by_value
      - .address_space:  global
        .offset:         32
        .size:           8
        .value_kind:     global_buffer
      - .offset:         40
        .size:           4
        .value_kind:     by_value
      - .offset:         48
        .size:           8
        .value_kind:     by_value
      - .address_space:  global
        .offset:         56
        .size:           8
        .value_kind:     global_buffer
      - .offset:         64
        .size:           4
        .value_kind:     by_value
      - .offset:         72
        .size:           8
        .value_kind:     by_value
      - .offset:         80
        .size:           4
        .value_kind:     by_value
    .group_segment_fixed_size: 4096
    .kernarg_segment_align: 8
    .kernarg_segment_size: 84
    .language:       OpenCL C
    .language_version:
      - 2
      - 0
    .max_flat_workgroup_size: 256
    .name:           _ZL37rocblas_syrkx_herkx_restricted_kernelIi19rocblas_complex_numIfELi16ELi32ELi8ELi1ELi1ELb0ELc84ELc85EKPKS1_KPS1_EviT_PT9_S7_lS9_S7_lPT10_S7_li
    .private_segment_fixed_size: 0
    .sgpr_count:     21
    .sgpr_spill_count: 0
    .symbol:         _ZL37rocblas_syrkx_herkx_restricted_kernelIi19rocblas_complex_numIfELi16ELi32ELi8ELi1ELi1ELb0ELc84ELc85EKPKS1_KPS1_EviT_PT9_S7_lS9_S7_lPT10_S7_li.kd
    .uniform_work_group_size: 1
    .uses_dynamic_stack: false
    .vgpr_count:     41
    .vgpr_spill_count: 0
    .wavefront_size: 64
  - .args:
      - .offset:         0
        .size:           4
        .value_kind:     by_value
      - .offset:         4
        .size:           4
        .value_kind:     by_value
      - .address_space:  global
        .offset:         8
        .size:           8
        .value_kind:     global_buffer
      - .offset:         16
        .size:           4
        .value_kind:     by_value
      - .offset:         24
        .size:           8
        .value_kind:     by_value
      - .address_space:  global
        .offset:         32
        .size:           8
        .value_kind:     global_buffer
      - .offset:         40
        .size:           4
        .value_kind:     by_value
      - .offset:         48
        .size:           8
        .value_kind:     by_value
      - .address_space:  global
        .offset:         56
        .size:           8
        .value_kind:     global_buffer
      - .offset:         64
        .size:           4
        .value_kind:     by_value
      - .offset:         72
        .size:           8
        .value_kind:     by_value
      - .offset:         80
        .size:           4
        .value_kind:     by_value
    .group_segment_fixed_size: 4096
    .kernarg_segment_align: 8
    .kernarg_segment_size: 84
    .language:       OpenCL C
    .language_version:
      - 2
      - 0
    .max_flat_workgroup_size: 256
    .name:           _ZL37rocblas_syrkx_herkx_restricted_kernelIi19rocblas_complex_numIfELi16ELi32ELi8ELi1ELi1ELb0ELc67ELc85EKPKS1_KPS1_EviT_PT9_S7_lS9_S7_lPT10_S7_li
    .private_segment_fixed_size: 0
    .sgpr_count:     21
    .sgpr_spill_count: 0
    .symbol:         _ZL37rocblas_syrkx_herkx_restricted_kernelIi19rocblas_complex_numIfELi16ELi32ELi8ELi1ELi1ELb0ELc67ELc85EKPKS1_KPS1_EviT_PT9_S7_lS9_S7_lPT10_S7_li.kd
    .uniform_work_group_size: 1
    .uses_dynamic_stack: false
    .vgpr_count:     41
    .vgpr_spill_count: 0
    .wavefront_size: 64
  - .args:
      - .offset:         0
        .size:           4
        .value_kind:     by_value
      - .offset:         4
        .size:           4
        .value_kind:     by_value
      - .address_space:  global
        .offset:         8
        .size:           8
        .value_kind:     global_buffer
      - .offset:         16
        .size:           4
        .value_kind:     by_value
      - .offset:         24
        .size:           8
        .value_kind:     by_value
      - .address_space:  global
        .offset:         32
        .size:           8
        .value_kind:     global_buffer
      - .offset:         40
        .size:           4
        .value_kind:     by_value
      - .offset:         48
        .size:           8
        .value_kind:     by_value
      - .address_space:  global
        .offset:         56
        .size:           8
        .value_kind:     global_buffer
      - .offset:         64
        .size:           4
        .value_kind:     by_value
      - .offset:         72
        .size:           8
        .value_kind:     by_value
      - .offset:         80
        .size:           4
        .value_kind:     by_value
    .group_segment_fixed_size: 4096
    .kernarg_segment_align: 8
    .kernarg_segment_size: 84
    .language:       OpenCL C
    .language_version:
      - 2
      - 0
    .max_flat_workgroup_size: 256
    .name:           _ZL37rocblas_syrkx_herkx_restricted_kernelIi19rocblas_complex_numIfELi16ELi32ELi8ELi1ELi1ELb0ELc78ELc85EKPKS1_KPS1_EviT_PT9_S7_lS9_S7_lPT10_S7_li
    .private_segment_fixed_size: 0
    .sgpr_count:     24
    .sgpr_spill_count: 0
    .symbol:         _ZL37rocblas_syrkx_herkx_restricted_kernelIi19rocblas_complex_numIfELi16ELi32ELi8ELi1ELi1ELb0ELc78ELc85EKPKS1_KPS1_EviT_PT9_S7_lS9_S7_lPT10_S7_li.kd
    .uniform_work_group_size: 1
    .uses_dynamic_stack: false
    .vgpr_count:     43
    .vgpr_spill_count: 0
    .wavefront_size: 64
  - .args:
      - .offset:         0
        .size:           4
        .value_kind:     by_value
      - .offset:         4
        .size:           4
        .value_kind:     by_value
      - .address_space:  global
        .offset:         8
        .size:           8
        .value_kind:     global_buffer
      - .offset:         16
        .size:           4
        .value_kind:     by_value
      - .offset:         24
        .size:           8
        .value_kind:     by_value
      - .address_space:  global
        .offset:         32
        .size:           8
        .value_kind:     global_buffer
      - .offset:         40
        .size:           4
        .value_kind:     by_value
      - .offset:         48
        .size:           8
        .value_kind:     by_value
      - .address_space:  global
        .offset:         56
        .size:           8
        .value_kind:     global_buffer
      - .offset:         64
        .size:           4
        .value_kind:     by_value
      - .offset:         72
        .size:           8
        .value_kind:     by_value
      - .offset:         80
        .size:           4
        .value_kind:     by_value
    .group_segment_fixed_size: 4096
    .kernarg_segment_align: 8
    .kernarg_segment_size: 84
    .language:       OpenCL C
    .language_version:
      - 2
      - 0
    .max_flat_workgroup_size: 256
    .name:           _ZL37rocblas_syrkx_herkx_restricted_kernelIi19rocblas_complex_numIfELi16ELi32ELi8ELi1ELin1ELb0ELc84ELc76EKPKS1_KPS1_EviT_PT9_S7_lS9_S7_lPT10_S7_li
    .private_segment_fixed_size: 0
    .sgpr_count:     21
    .sgpr_spill_count: 0
    .symbol:         _ZL37rocblas_syrkx_herkx_restricted_kernelIi19rocblas_complex_numIfELi16ELi32ELi8ELi1ELin1ELb0ELc84ELc76EKPKS1_KPS1_EviT_PT9_S7_lS9_S7_lPT10_S7_li.kd
    .uniform_work_group_size: 1
    .uses_dynamic_stack: false
    .vgpr_count:     41
    .vgpr_spill_count: 0
    .wavefront_size: 64
  - .args:
      - .offset:         0
        .size:           4
        .value_kind:     by_value
      - .offset:         4
        .size:           4
        .value_kind:     by_value
      - .address_space:  global
        .offset:         8
        .size:           8
        .value_kind:     global_buffer
      - .offset:         16
        .size:           4
        .value_kind:     by_value
      - .offset:         24
        .size:           8
        .value_kind:     by_value
      - .address_space:  global
        .offset:         32
        .size:           8
        .value_kind:     global_buffer
      - .offset:         40
        .size:           4
        .value_kind:     by_value
      - .offset:         48
        .size:           8
        .value_kind:     by_value
      - .address_space:  global
        .offset:         56
        .size:           8
        .value_kind:     global_buffer
      - .offset:         64
        .size:           4
        .value_kind:     by_value
      - .offset:         72
        .size:           8
        .value_kind:     by_value
      - .offset:         80
        .size:           4
        .value_kind:     by_value
    .group_segment_fixed_size: 4096
    .kernarg_segment_align: 8
    .kernarg_segment_size: 84
    .language:       OpenCL C
    .language_version:
      - 2
      - 0
    .max_flat_workgroup_size: 256
    .name:           _ZL37rocblas_syrkx_herkx_restricted_kernelIi19rocblas_complex_numIfELi16ELi32ELi8ELi1ELin1ELb0ELc67ELc76EKPKS1_KPS1_EviT_PT9_S7_lS9_S7_lPT10_S7_li
    .private_segment_fixed_size: 0
    .sgpr_count:     21
    .sgpr_spill_count: 0
    .symbol:         _ZL37rocblas_syrkx_herkx_restricted_kernelIi19rocblas_complex_numIfELi16ELi32ELi8ELi1ELin1ELb0ELc67ELc76EKPKS1_KPS1_EviT_PT9_S7_lS9_S7_lPT10_S7_li.kd
    .uniform_work_group_size: 1
    .uses_dynamic_stack: false
    .vgpr_count:     41
    .vgpr_spill_count: 0
    .wavefront_size: 64
  - .args:
      - .offset:         0
        .size:           4
        .value_kind:     by_value
      - .offset:         4
        .size:           4
        .value_kind:     by_value
      - .address_space:  global
        .offset:         8
        .size:           8
        .value_kind:     global_buffer
      - .offset:         16
        .size:           4
        .value_kind:     by_value
      - .offset:         24
        .size:           8
        .value_kind:     by_value
      - .address_space:  global
        .offset:         32
        .size:           8
        .value_kind:     global_buffer
      - .offset:         40
        .size:           4
        .value_kind:     by_value
      - .offset:         48
        .size:           8
        .value_kind:     by_value
      - .address_space:  global
        .offset:         56
        .size:           8
        .value_kind:     global_buffer
      - .offset:         64
        .size:           4
        .value_kind:     by_value
      - .offset:         72
        .size:           8
        .value_kind:     by_value
      - .offset:         80
        .size:           4
        .value_kind:     by_value
    .group_segment_fixed_size: 4096
    .kernarg_segment_align: 8
    .kernarg_segment_size: 84
    .language:       OpenCL C
    .language_version:
      - 2
      - 0
    .max_flat_workgroup_size: 256
    .name:           _ZL37rocblas_syrkx_herkx_restricted_kernelIi19rocblas_complex_numIfELi16ELi32ELi8ELi1ELin1ELb0ELc78ELc76EKPKS1_KPS1_EviT_PT9_S7_lS9_S7_lPT10_S7_li
    .private_segment_fixed_size: 0
    .sgpr_count:     24
    .sgpr_spill_count: 0
    .symbol:         _ZL37rocblas_syrkx_herkx_restricted_kernelIi19rocblas_complex_numIfELi16ELi32ELi8ELi1ELin1ELb0ELc78ELc76EKPKS1_KPS1_EviT_PT9_S7_lS9_S7_lPT10_S7_li.kd
    .uniform_work_group_size: 1
    .uses_dynamic_stack: false
    .vgpr_count:     43
    .vgpr_spill_count: 0
    .wavefront_size: 64
  - .args:
      - .offset:         0
        .size:           4
        .value_kind:     by_value
      - .offset:         4
        .size:           4
        .value_kind:     by_value
      - .address_space:  global
        .offset:         8
        .size:           8
        .value_kind:     global_buffer
      - .offset:         16
        .size:           4
        .value_kind:     by_value
      - .offset:         24
        .size:           8
        .value_kind:     by_value
      - .address_space:  global
        .offset:         32
        .size:           8
        .value_kind:     global_buffer
      - .offset:         40
        .size:           4
        .value_kind:     by_value
      - .offset:         48
        .size:           8
        .value_kind:     by_value
      - .address_space:  global
        .offset:         56
        .size:           8
        .value_kind:     global_buffer
      - .offset:         64
        .size:           4
        .value_kind:     by_value
      - .offset:         72
        .size:           8
        .value_kind:     by_value
      - .offset:         80
        .size:           4
        .value_kind:     by_value
    .group_segment_fixed_size: 4096
    .kernarg_segment_align: 8
    .kernarg_segment_size: 84
    .language:       OpenCL C
    .language_version:
      - 2
      - 0
    .max_flat_workgroup_size: 256
    .name:           _ZL37rocblas_syrkx_herkx_restricted_kernelIi19rocblas_complex_numIfELi16ELi32ELi8ELi1ELin1ELb0ELc84ELc85EKPKS1_KPS1_EviT_PT9_S7_lS9_S7_lPT10_S7_li
    .private_segment_fixed_size: 0
    .sgpr_count:     21
    .sgpr_spill_count: 0
    .symbol:         _ZL37rocblas_syrkx_herkx_restricted_kernelIi19rocblas_complex_numIfELi16ELi32ELi8ELi1ELin1ELb0ELc84ELc85EKPKS1_KPS1_EviT_PT9_S7_lS9_S7_lPT10_S7_li.kd
    .uniform_work_group_size: 1
    .uses_dynamic_stack: false
    .vgpr_count:     41
    .vgpr_spill_count: 0
    .wavefront_size: 64
  - .args:
      - .offset:         0
        .size:           4
        .value_kind:     by_value
      - .offset:         4
        .size:           4
        .value_kind:     by_value
      - .address_space:  global
        .offset:         8
        .size:           8
        .value_kind:     global_buffer
      - .offset:         16
        .size:           4
        .value_kind:     by_value
      - .offset:         24
        .size:           8
        .value_kind:     by_value
      - .address_space:  global
        .offset:         32
        .size:           8
        .value_kind:     global_buffer
      - .offset:         40
        .size:           4
        .value_kind:     by_value
      - .offset:         48
        .size:           8
        .value_kind:     by_value
      - .address_space:  global
        .offset:         56
        .size:           8
        .value_kind:     global_buffer
      - .offset:         64
        .size:           4
        .value_kind:     by_value
      - .offset:         72
        .size:           8
        .value_kind:     by_value
      - .offset:         80
        .size:           4
        .value_kind:     by_value
    .group_segment_fixed_size: 4096
    .kernarg_segment_align: 8
    .kernarg_segment_size: 84
    .language:       OpenCL C
    .language_version:
      - 2
      - 0
    .max_flat_workgroup_size: 256
    .name:           _ZL37rocblas_syrkx_herkx_restricted_kernelIi19rocblas_complex_numIfELi16ELi32ELi8ELi1ELin1ELb0ELc67ELc85EKPKS1_KPS1_EviT_PT9_S7_lS9_S7_lPT10_S7_li
    .private_segment_fixed_size: 0
    .sgpr_count:     21
    .sgpr_spill_count: 0
    .symbol:         _ZL37rocblas_syrkx_herkx_restricted_kernelIi19rocblas_complex_numIfELi16ELi32ELi8ELi1ELin1ELb0ELc67ELc85EKPKS1_KPS1_EviT_PT9_S7_lS9_S7_lPT10_S7_li.kd
    .uniform_work_group_size: 1
    .uses_dynamic_stack: false
    .vgpr_count:     41
    .vgpr_spill_count: 0
    .wavefront_size: 64
  - .args:
      - .offset:         0
        .size:           4
        .value_kind:     by_value
      - .offset:         4
        .size:           4
        .value_kind:     by_value
      - .address_space:  global
        .offset:         8
        .size:           8
        .value_kind:     global_buffer
      - .offset:         16
        .size:           4
        .value_kind:     by_value
      - .offset:         24
        .size:           8
        .value_kind:     by_value
      - .address_space:  global
        .offset:         32
        .size:           8
        .value_kind:     global_buffer
      - .offset:         40
        .size:           4
        .value_kind:     by_value
      - .offset:         48
        .size:           8
        .value_kind:     by_value
      - .address_space:  global
        .offset:         56
        .size:           8
        .value_kind:     global_buffer
      - .offset:         64
        .size:           4
        .value_kind:     by_value
      - .offset:         72
        .size:           8
        .value_kind:     by_value
      - .offset:         80
        .size:           4
        .value_kind:     by_value
    .group_segment_fixed_size: 4096
    .kernarg_segment_align: 8
    .kernarg_segment_size: 84
    .language:       OpenCL C
    .language_version:
      - 2
      - 0
    .max_flat_workgroup_size: 256
    .name:           _ZL37rocblas_syrkx_herkx_restricted_kernelIi19rocblas_complex_numIfELi16ELi32ELi8ELi1ELin1ELb0ELc78ELc85EKPKS1_KPS1_EviT_PT9_S7_lS9_S7_lPT10_S7_li
    .private_segment_fixed_size: 0
    .sgpr_count:     24
    .sgpr_spill_count: 0
    .symbol:         _ZL37rocblas_syrkx_herkx_restricted_kernelIi19rocblas_complex_numIfELi16ELi32ELi8ELi1ELin1ELb0ELc78ELc85EKPKS1_KPS1_EviT_PT9_S7_lS9_S7_lPT10_S7_li.kd
    .uniform_work_group_size: 1
    .uses_dynamic_stack: false
    .vgpr_count:     43
    .vgpr_spill_count: 0
    .wavefront_size: 64
  - .args:
      - .offset:         0
        .size:           4
        .value_kind:     by_value
      - .offset:         4
        .size:           4
        .value_kind:     by_value
      - .address_space:  global
        .offset:         8
        .size:           8
        .value_kind:     global_buffer
      - .offset:         16
        .size:           4
        .value_kind:     by_value
      - .offset:         24
        .size:           8
        .value_kind:     by_value
      - .address_space:  global
        .offset:         32
        .size:           8
        .value_kind:     global_buffer
      - .offset:         40
        .size:           4
        .value_kind:     by_value
      - .offset:         48
        .size:           8
        .value_kind:     by_value
      - .address_space:  global
        .offset:         56
        .size:           8
        .value_kind:     global_buffer
      - .offset:         64
        .size:           4
        .value_kind:     by_value
      - .offset:         72
        .size:           8
        .value_kind:     by_value
      - .offset:         80
        .size:           4
        .value_kind:     by_value
    .group_segment_fixed_size: 4096
    .kernarg_segment_align: 8
    .kernarg_segment_size: 84
    .language:       OpenCL C
    .language_version:
      - 2
      - 0
    .max_flat_workgroup_size: 256
    .name:           _ZL37rocblas_syrkx_herkx_restricted_kernelIi19rocblas_complex_numIfELi16ELi32ELi8ELi1ELi0ELb0ELc84ELc76EKPKS1_KPS1_EviT_PT9_S7_lS9_S7_lPT10_S7_li
    .private_segment_fixed_size: 0
    .sgpr_count:     21
    .sgpr_spill_count: 0
    .symbol:         _ZL37rocblas_syrkx_herkx_restricted_kernelIi19rocblas_complex_numIfELi16ELi32ELi8ELi1ELi0ELb0ELc84ELc76EKPKS1_KPS1_EviT_PT9_S7_lS9_S7_lPT10_S7_li.kd
    .uniform_work_group_size: 1
    .uses_dynamic_stack: false
    .vgpr_count:     41
    .vgpr_spill_count: 0
    .wavefront_size: 64
  - .args:
      - .offset:         0
        .size:           4
        .value_kind:     by_value
      - .offset:         4
        .size:           4
        .value_kind:     by_value
      - .address_space:  global
        .offset:         8
        .size:           8
        .value_kind:     global_buffer
      - .offset:         16
        .size:           4
        .value_kind:     by_value
      - .offset:         24
        .size:           8
        .value_kind:     by_value
      - .address_space:  global
        .offset:         32
        .size:           8
        .value_kind:     global_buffer
      - .offset:         40
        .size:           4
        .value_kind:     by_value
      - .offset:         48
        .size:           8
        .value_kind:     by_value
      - .address_space:  global
        .offset:         56
        .size:           8
        .value_kind:     global_buffer
      - .offset:         64
        .size:           4
        .value_kind:     by_value
      - .offset:         72
        .size:           8
        .value_kind:     by_value
      - .offset:         80
        .size:           4
        .value_kind:     by_value
    .group_segment_fixed_size: 4096
    .kernarg_segment_align: 8
    .kernarg_segment_size: 84
    .language:       OpenCL C
    .language_version:
      - 2
      - 0
    .max_flat_workgroup_size: 256
    .name:           _ZL37rocblas_syrkx_herkx_restricted_kernelIi19rocblas_complex_numIfELi16ELi32ELi8ELi1ELi0ELb0ELc67ELc76EKPKS1_KPS1_EviT_PT9_S7_lS9_S7_lPT10_S7_li
    .private_segment_fixed_size: 0
    .sgpr_count:     21
    .sgpr_spill_count: 0
    .symbol:         _ZL37rocblas_syrkx_herkx_restricted_kernelIi19rocblas_complex_numIfELi16ELi32ELi8ELi1ELi0ELb0ELc67ELc76EKPKS1_KPS1_EviT_PT9_S7_lS9_S7_lPT10_S7_li.kd
    .uniform_work_group_size: 1
    .uses_dynamic_stack: false
    .vgpr_count:     41
    .vgpr_spill_count: 0
    .wavefront_size: 64
  - .args:
      - .offset:         0
        .size:           4
        .value_kind:     by_value
      - .offset:         4
        .size:           4
        .value_kind:     by_value
      - .address_space:  global
        .offset:         8
        .size:           8
        .value_kind:     global_buffer
      - .offset:         16
        .size:           4
        .value_kind:     by_value
      - .offset:         24
        .size:           8
        .value_kind:     by_value
      - .address_space:  global
        .offset:         32
        .size:           8
        .value_kind:     global_buffer
      - .offset:         40
        .size:           4
        .value_kind:     by_value
      - .offset:         48
        .size:           8
        .value_kind:     by_value
      - .address_space:  global
        .offset:         56
        .size:           8
        .value_kind:     global_buffer
      - .offset:         64
        .size:           4
        .value_kind:     by_value
      - .offset:         72
        .size:           8
        .value_kind:     by_value
      - .offset:         80
        .size:           4
        .value_kind:     by_value
    .group_segment_fixed_size: 4096
    .kernarg_segment_align: 8
    .kernarg_segment_size: 84
    .language:       OpenCL C
    .language_version:
      - 2
      - 0
    .max_flat_workgroup_size: 256
    .name:           _ZL37rocblas_syrkx_herkx_restricted_kernelIi19rocblas_complex_numIfELi16ELi32ELi8ELi1ELi0ELb0ELc78ELc76EKPKS1_KPS1_EviT_PT9_S7_lS9_S7_lPT10_S7_li
    .private_segment_fixed_size: 0
    .sgpr_count:     24
    .sgpr_spill_count: 0
    .symbol:         _ZL37rocblas_syrkx_herkx_restricted_kernelIi19rocblas_complex_numIfELi16ELi32ELi8ELi1ELi0ELb0ELc78ELc76EKPKS1_KPS1_EviT_PT9_S7_lS9_S7_lPT10_S7_li.kd
    .uniform_work_group_size: 1
    .uses_dynamic_stack: false
    .vgpr_count:     43
    .vgpr_spill_count: 0
    .wavefront_size: 64
  - .args:
      - .offset:         0
        .size:           4
        .value_kind:     by_value
      - .offset:         4
        .size:           4
        .value_kind:     by_value
      - .address_space:  global
        .offset:         8
        .size:           8
        .value_kind:     global_buffer
      - .offset:         16
        .size:           4
        .value_kind:     by_value
      - .offset:         24
        .size:           8
        .value_kind:     by_value
      - .address_space:  global
        .offset:         32
        .size:           8
        .value_kind:     global_buffer
      - .offset:         40
        .size:           4
        .value_kind:     by_value
      - .offset:         48
        .size:           8
        .value_kind:     by_value
      - .address_space:  global
        .offset:         56
        .size:           8
        .value_kind:     global_buffer
      - .offset:         64
        .size:           4
        .value_kind:     by_value
      - .offset:         72
        .size:           8
        .value_kind:     by_value
      - .offset:         80
        .size:           4
        .value_kind:     by_value
    .group_segment_fixed_size: 4096
    .kernarg_segment_align: 8
    .kernarg_segment_size: 84
    .language:       OpenCL C
    .language_version:
      - 2
      - 0
    .max_flat_workgroup_size: 256
    .name:           _ZL37rocblas_syrkx_herkx_restricted_kernelIi19rocblas_complex_numIfELi16ELi32ELi8ELi1ELi0ELb0ELc84ELc85EKPKS1_KPS1_EviT_PT9_S7_lS9_S7_lPT10_S7_li
    .private_segment_fixed_size: 0
    .sgpr_count:     21
    .sgpr_spill_count: 0
    .symbol:         _ZL37rocblas_syrkx_herkx_restricted_kernelIi19rocblas_complex_numIfELi16ELi32ELi8ELi1ELi0ELb0ELc84ELc85EKPKS1_KPS1_EviT_PT9_S7_lS9_S7_lPT10_S7_li.kd
    .uniform_work_group_size: 1
    .uses_dynamic_stack: false
    .vgpr_count:     41
    .vgpr_spill_count: 0
    .wavefront_size: 64
  - .args:
      - .offset:         0
        .size:           4
        .value_kind:     by_value
      - .offset:         4
        .size:           4
        .value_kind:     by_value
      - .address_space:  global
        .offset:         8
        .size:           8
        .value_kind:     global_buffer
      - .offset:         16
        .size:           4
        .value_kind:     by_value
      - .offset:         24
        .size:           8
        .value_kind:     by_value
      - .address_space:  global
        .offset:         32
        .size:           8
        .value_kind:     global_buffer
      - .offset:         40
        .size:           4
        .value_kind:     by_value
      - .offset:         48
        .size:           8
        .value_kind:     by_value
      - .address_space:  global
        .offset:         56
        .size:           8
        .value_kind:     global_buffer
      - .offset:         64
        .size:           4
        .value_kind:     by_value
      - .offset:         72
        .size:           8
        .value_kind:     by_value
      - .offset:         80
        .size:           4
        .value_kind:     by_value
    .group_segment_fixed_size: 4096
    .kernarg_segment_align: 8
    .kernarg_segment_size: 84
    .language:       OpenCL C
    .language_version:
      - 2
      - 0
    .max_flat_workgroup_size: 256
    .name:           _ZL37rocblas_syrkx_herkx_restricted_kernelIi19rocblas_complex_numIfELi16ELi32ELi8ELi1ELi0ELb0ELc67ELc85EKPKS1_KPS1_EviT_PT9_S7_lS9_S7_lPT10_S7_li
    .private_segment_fixed_size: 0
    .sgpr_count:     21
    .sgpr_spill_count: 0
    .symbol:         _ZL37rocblas_syrkx_herkx_restricted_kernelIi19rocblas_complex_numIfELi16ELi32ELi8ELi1ELi0ELb0ELc67ELc85EKPKS1_KPS1_EviT_PT9_S7_lS9_S7_lPT10_S7_li.kd
    .uniform_work_group_size: 1
    .uses_dynamic_stack: false
    .vgpr_count:     41
    .vgpr_spill_count: 0
    .wavefront_size: 64
  - .args:
      - .offset:         0
        .size:           4
        .value_kind:     by_value
      - .offset:         4
        .size:           4
        .value_kind:     by_value
      - .address_space:  global
        .offset:         8
        .size:           8
        .value_kind:     global_buffer
      - .offset:         16
        .size:           4
        .value_kind:     by_value
      - .offset:         24
        .size:           8
        .value_kind:     by_value
      - .address_space:  global
        .offset:         32
        .size:           8
        .value_kind:     global_buffer
      - .offset:         40
        .size:           4
        .value_kind:     by_value
      - .offset:         48
        .size:           8
        .value_kind:     by_value
      - .address_space:  global
        .offset:         56
        .size:           8
        .value_kind:     global_buffer
      - .offset:         64
        .size:           4
        .value_kind:     by_value
      - .offset:         72
        .size:           8
        .value_kind:     by_value
      - .offset:         80
        .size:           4
        .value_kind:     by_value
    .group_segment_fixed_size: 4096
    .kernarg_segment_align: 8
    .kernarg_segment_size: 84
    .language:       OpenCL C
    .language_version:
      - 2
      - 0
    .max_flat_workgroup_size: 256
    .name:           _ZL37rocblas_syrkx_herkx_restricted_kernelIi19rocblas_complex_numIfELi16ELi32ELi8ELi1ELi0ELb0ELc78ELc85EKPKS1_KPS1_EviT_PT9_S7_lS9_S7_lPT10_S7_li
    .private_segment_fixed_size: 0
    .sgpr_count:     24
    .sgpr_spill_count: 0
    .symbol:         _ZL37rocblas_syrkx_herkx_restricted_kernelIi19rocblas_complex_numIfELi16ELi32ELi8ELi1ELi0ELb0ELc78ELc85EKPKS1_KPS1_EviT_PT9_S7_lS9_S7_lPT10_S7_li.kd
    .uniform_work_group_size: 1
    .uses_dynamic_stack: false
    .vgpr_count:     43
    .vgpr_spill_count: 0
    .wavefront_size: 64
  - .args:
      - .offset:         0
        .size:           4
        .value_kind:     by_value
      - .offset:         4
        .size:           4
        .value_kind:     by_value
      - .address_space:  global
        .offset:         8
        .size:           8
        .value_kind:     global_buffer
      - .offset:         16
        .size:           4
        .value_kind:     by_value
      - .offset:         24
        .size:           8
        .value_kind:     by_value
      - .address_space:  global
        .offset:         32
        .size:           8
        .value_kind:     global_buffer
      - .offset:         40
        .size:           4
        .value_kind:     by_value
      - .offset:         48
        .size:           8
        .value_kind:     by_value
      - .address_space:  global
        .offset:         56
        .size:           8
        .value_kind:     global_buffer
      - .offset:         64
        .size:           4
        .value_kind:     by_value
      - .offset:         72
        .size:           8
        .value_kind:     by_value
      - .offset:         80
        .size:           4
        .value_kind:     by_value
    .group_segment_fixed_size: 4096
    .kernarg_segment_align: 8
    .kernarg_segment_size: 84
    .language:       OpenCL C
    .language_version:
      - 2
      - 0
    .max_flat_workgroup_size: 256
    .name:           _ZL37rocblas_syrkx_herkx_restricted_kernelIi19rocblas_complex_numIfELi16ELi32ELi8ELin1ELi0ELb0ELc84ELc76EKPKS1_KPS1_EviT_PT9_S7_lS9_S7_lPT10_S7_li
    .private_segment_fixed_size: 0
    .sgpr_count:     21
    .sgpr_spill_count: 0
    .symbol:         _ZL37rocblas_syrkx_herkx_restricted_kernelIi19rocblas_complex_numIfELi16ELi32ELi8ELin1ELi0ELb0ELc84ELc76EKPKS1_KPS1_EviT_PT9_S7_lS9_S7_lPT10_S7_li.kd
    .uniform_work_group_size: 1
    .uses_dynamic_stack: false
    .vgpr_count:     41
    .vgpr_spill_count: 0
    .wavefront_size: 64
  - .args:
      - .offset:         0
        .size:           4
        .value_kind:     by_value
      - .offset:         4
        .size:           4
        .value_kind:     by_value
      - .address_space:  global
        .offset:         8
        .size:           8
        .value_kind:     global_buffer
      - .offset:         16
        .size:           4
        .value_kind:     by_value
      - .offset:         24
        .size:           8
        .value_kind:     by_value
      - .address_space:  global
        .offset:         32
        .size:           8
        .value_kind:     global_buffer
      - .offset:         40
        .size:           4
        .value_kind:     by_value
      - .offset:         48
        .size:           8
        .value_kind:     by_value
      - .address_space:  global
        .offset:         56
        .size:           8
        .value_kind:     global_buffer
      - .offset:         64
        .size:           4
        .value_kind:     by_value
      - .offset:         72
        .size:           8
        .value_kind:     by_value
      - .offset:         80
        .size:           4
        .value_kind:     by_value
    .group_segment_fixed_size: 4096
    .kernarg_segment_align: 8
    .kernarg_segment_size: 84
    .language:       OpenCL C
    .language_version:
      - 2
      - 0
    .max_flat_workgroup_size: 256
    .name:           _ZL37rocblas_syrkx_herkx_restricted_kernelIi19rocblas_complex_numIfELi16ELi32ELi8ELin1ELi0ELb0ELc67ELc76EKPKS1_KPS1_EviT_PT9_S7_lS9_S7_lPT10_S7_li
    .private_segment_fixed_size: 0
    .sgpr_count:     21
    .sgpr_spill_count: 0
    .symbol:         _ZL37rocblas_syrkx_herkx_restricted_kernelIi19rocblas_complex_numIfELi16ELi32ELi8ELin1ELi0ELb0ELc67ELc76EKPKS1_KPS1_EviT_PT9_S7_lS9_S7_lPT10_S7_li.kd
    .uniform_work_group_size: 1
    .uses_dynamic_stack: false
    .vgpr_count:     41
    .vgpr_spill_count: 0
    .wavefront_size: 64
  - .args:
      - .offset:         0
        .size:           4
        .value_kind:     by_value
      - .offset:         4
        .size:           4
        .value_kind:     by_value
      - .address_space:  global
        .offset:         8
        .size:           8
        .value_kind:     global_buffer
      - .offset:         16
        .size:           4
        .value_kind:     by_value
      - .offset:         24
        .size:           8
        .value_kind:     by_value
      - .address_space:  global
        .offset:         32
        .size:           8
        .value_kind:     global_buffer
      - .offset:         40
        .size:           4
        .value_kind:     by_value
      - .offset:         48
        .size:           8
        .value_kind:     by_value
      - .address_space:  global
        .offset:         56
        .size:           8
        .value_kind:     global_buffer
      - .offset:         64
        .size:           4
        .value_kind:     by_value
      - .offset:         72
        .size:           8
        .value_kind:     by_value
      - .offset:         80
        .size:           4
        .value_kind:     by_value
    .group_segment_fixed_size: 4096
    .kernarg_segment_align: 8
    .kernarg_segment_size: 84
    .language:       OpenCL C
    .language_version:
      - 2
      - 0
    .max_flat_workgroup_size: 256
    .name:           _ZL37rocblas_syrkx_herkx_restricted_kernelIi19rocblas_complex_numIfELi16ELi32ELi8ELin1ELi0ELb0ELc78ELc76EKPKS1_KPS1_EviT_PT9_S7_lS9_S7_lPT10_S7_li
    .private_segment_fixed_size: 0
    .sgpr_count:     24
    .sgpr_spill_count: 0
    .symbol:         _ZL37rocblas_syrkx_herkx_restricted_kernelIi19rocblas_complex_numIfELi16ELi32ELi8ELin1ELi0ELb0ELc78ELc76EKPKS1_KPS1_EviT_PT9_S7_lS9_S7_lPT10_S7_li.kd
    .uniform_work_group_size: 1
    .uses_dynamic_stack: false
    .vgpr_count:     43
    .vgpr_spill_count: 0
    .wavefront_size: 64
  - .args:
      - .offset:         0
        .size:           4
        .value_kind:     by_value
      - .offset:         4
        .size:           4
        .value_kind:     by_value
      - .address_space:  global
        .offset:         8
        .size:           8
        .value_kind:     global_buffer
      - .offset:         16
        .size:           4
        .value_kind:     by_value
      - .offset:         24
        .size:           8
        .value_kind:     by_value
      - .address_space:  global
        .offset:         32
        .size:           8
        .value_kind:     global_buffer
      - .offset:         40
        .size:           4
        .value_kind:     by_value
      - .offset:         48
        .size:           8
        .value_kind:     by_value
      - .address_space:  global
        .offset:         56
        .size:           8
        .value_kind:     global_buffer
      - .offset:         64
        .size:           4
        .value_kind:     by_value
      - .offset:         72
        .size:           8
        .value_kind:     by_value
      - .offset:         80
        .size:           4
        .value_kind:     by_value
    .group_segment_fixed_size: 4096
    .kernarg_segment_align: 8
    .kernarg_segment_size: 84
    .language:       OpenCL C
    .language_version:
      - 2
      - 0
    .max_flat_workgroup_size: 256
    .name:           _ZL37rocblas_syrkx_herkx_restricted_kernelIi19rocblas_complex_numIfELi16ELi32ELi8ELin1ELi0ELb0ELc84ELc85EKPKS1_KPS1_EviT_PT9_S7_lS9_S7_lPT10_S7_li
    .private_segment_fixed_size: 0
    .sgpr_count:     21
    .sgpr_spill_count: 0
    .symbol:         _ZL37rocblas_syrkx_herkx_restricted_kernelIi19rocblas_complex_numIfELi16ELi32ELi8ELin1ELi0ELb0ELc84ELc85EKPKS1_KPS1_EviT_PT9_S7_lS9_S7_lPT10_S7_li.kd
    .uniform_work_group_size: 1
    .uses_dynamic_stack: false
    .vgpr_count:     41
    .vgpr_spill_count: 0
    .wavefront_size: 64
  - .args:
      - .offset:         0
        .size:           4
        .value_kind:     by_value
      - .offset:         4
        .size:           4
        .value_kind:     by_value
      - .address_space:  global
        .offset:         8
        .size:           8
        .value_kind:     global_buffer
      - .offset:         16
        .size:           4
        .value_kind:     by_value
      - .offset:         24
        .size:           8
        .value_kind:     by_value
      - .address_space:  global
        .offset:         32
        .size:           8
        .value_kind:     global_buffer
      - .offset:         40
        .size:           4
        .value_kind:     by_value
      - .offset:         48
        .size:           8
        .value_kind:     by_value
      - .address_space:  global
        .offset:         56
        .size:           8
        .value_kind:     global_buffer
      - .offset:         64
        .size:           4
        .value_kind:     by_value
      - .offset:         72
        .size:           8
        .value_kind:     by_value
      - .offset:         80
        .size:           4
        .value_kind:     by_value
    .group_segment_fixed_size: 4096
    .kernarg_segment_align: 8
    .kernarg_segment_size: 84
    .language:       OpenCL C
    .language_version:
      - 2
      - 0
    .max_flat_workgroup_size: 256
    .name:           _ZL37rocblas_syrkx_herkx_restricted_kernelIi19rocblas_complex_numIfELi16ELi32ELi8ELin1ELi0ELb0ELc67ELc85EKPKS1_KPS1_EviT_PT9_S7_lS9_S7_lPT10_S7_li
    .private_segment_fixed_size: 0
    .sgpr_count:     21
    .sgpr_spill_count: 0
    .symbol:         _ZL37rocblas_syrkx_herkx_restricted_kernelIi19rocblas_complex_numIfELi16ELi32ELi8ELin1ELi0ELb0ELc67ELc85EKPKS1_KPS1_EviT_PT9_S7_lS9_S7_lPT10_S7_li.kd
    .uniform_work_group_size: 1
    .uses_dynamic_stack: false
    .vgpr_count:     41
    .vgpr_spill_count: 0
    .wavefront_size: 64
  - .args:
      - .offset:         0
        .size:           4
        .value_kind:     by_value
      - .offset:         4
        .size:           4
        .value_kind:     by_value
      - .address_space:  global
        .offset:         8
        .size:           8
        .value_kind:     global_buffer
      - .offset:         16
        .size:           4
        .value_kind:     by_value
      - .offset:         24
        .size:           8
        .value_kind:     by_value
      - .address_space:  global
        .offset:         32
        .size:           8
        .value_kind:     global_buffer
      - .offset:         40
        .size:           4
        .value_kind:     by_value
      - .offset:         48
        .size:           8
        .value_kind:     by_value
      - .address_space:  global
        .offset:         56
        .size:           8
        .value_kind:     global_buffer
      - .offset:         64
        .size:           4
        .value_kind:     by_value
      - .offset:         72
        .size:           8
        .value_kind:     by_value
      - .offset:         80
        .size:           4
        .value_kind:     by_value
    .group_segment_fixed_size: 4096
    .kernarg_segment_align: 8
    .kernarg_segment_size: 84
    .language:       OpenCL C
    .language_version:
      - 2
      - 0
    .max_flat_workgroup_size: 256
    .name:           _ZL37rocblas_syrkx_herkx_restricted_kernelIi19rocblas_complex_numIfELi16ELi32ELi8ELin1ELi0ELb0ELc78ELc85EKPKS1_KPS1_EviT_PT9_S7_lS9_S7_lPT10_S7_li
    .private_segment_fixed_size: 0
    .sgpr_count:     24
    .sgpr_spill_count: 0
    .symbol:         _ZL37rocblas_syrkx_herkx_restricted_kernelIi19rocblas_complex_numIfELi16ELi32ELi8ELin1ELi0ELb0ELc78ELc85EKPKS1_KPS1_EviT_PT9_S7_lS9_S7_lPT10_S7_li.kd
    .uniform_work_group_size: 1
    .uses_dynamic_stack: false
    .vgpr_count:     43
    .vgpr_spill_count: 0
    .wavefront_size: 64
  - .args:
      - .offset:         0
        .size:           4
        .value_kind:     by_value
      - .offset:         4
        .size:           4
        .value_kind:     by_value
      - .offset:         8
        .size:           8
        .value_kind:     by_value
      - .address_space:  global
        .offset:         16
        .size:           8
        .value_kind:     global_buffer
      - .offset:         24
        .size:           4
        .value_kind:     by_value
      - .offset:         32
        .size:           8
        .value_kind:     by_value
      - .address_space:  global
        .offset:         40
        .size:           8
        .value_kind:     global_buffer
      - .offset:         48
        .size:           4
        .value_kind:     by_value
      - .offset:         56
        .size:           8
        .value_kind:     by_value
      - .offset:         64
        .size:           8
        .value_kind:     by_value
      - .address_space:  global
        .offset:         72
        .size:           8
        .value_kind:     global_buffer
      - .offset:         80
        .size:           4
        .value_kind:     by_value
      - .offset:         88
        .size:           8
        .value_kind:     by_value
      - .offset:         96
        .size:           4
        .value_kind:     by_value
    .group_segment_fixed_size: 4096
    .kernarg_segment_align: 8
    .kernarg_segment_size: 100
    .language:       OpenCL C
    .language_version:
      - 2
      - 0
    .max_flat_workgroup_size: 256
    .name:           _ZL37rocblas_syrkx_herkx_restricted_kernelIi19rocblas_complex_numIfELi16ELi32ELi8ELb1ELb0ELc84ELc76EKPKS1_KPS1_EviT_T0_PT8_S7_lSA_S7_lS8_PT9_S7_li
    .private_segment_fixed_size: 0
    .sgpr_count:     23
    .sgpr_spill_count: 0
    .symbol:         _ZL37rocblas_syrkx_herkx_restricted_kernelIi19rocblas_complex_numIfELi16ELi32ELi8ELb1ELb0ELc84ELc76EKPKS1_KPS1_EviT_T0_PT8_S7_lSA_S7_lS8_PT9_S7_li.kd
    .uniform_work_group_size: 1
    .uses_dynamic_stack: false
    .vgpr_count:     41
    .vgpr_spill_count: 0
    .wavefront_size: 64
  - .args:
      - .offset:         0
        .size:           4
        .value_kind:     by_value
      - .offset:         4
        .size:           4
        .value_kind:     by_value
      - .offset:         8
        .size:           8
        .value_kind:     by_value
      - .address_space:  global
        .offset:         16
        .size:           8
        .value_kind:     global_buffer
      - .offset:         24
        .size:           4
        .value_kind:     by_value
      - .offset:         32
        .size:           8
        .value_kind:     by_value
      - .address_space:  global
        .offset:         40
        .size:           8
        .value_kind:     global_buffer
      - .offset:         48
        .size:           4
        .value_kind:     by_value
      - .offset:         56
        .size:           8
        .value_kind:     by_value
      - .offset:         64
        .size:           8
        .value_kind:     by_value
      - .address_space:  global
        .offset:         72
        .size:           8
        .value_kind:     global_buffer
      - .offset:         80
        .size:           4
        .value_kind:     by_value
      - .offset:         88
        .size:           8
        .value_kind:     by_value
      - .offset:         96
        .size:           4
        .value_kind:     by_value
    .group_segment_fixed_size: 4096
    .kernarg_segment_align: 8
    .kernarg_segment_size: 100
    .language:       OpenCL C
    .language_version:
      - 2
      - 0
    .max_flat_workgroup_size: 256
    .name:           _ZL37rocblas_syrkx_herkx_restricted_kernelIi19rocblas_complex_numIfELi16ELi32ELi8ELb1ELb0ELc67ELc76EKPKS1_KPS1_EviT_T0_PT8_S7_lSA_S7_lS8_PT9_S7_li
    .private_segment_fixed_size: 0
    .sgpr_count:     23
    .sgpr_spill_count: 0
    .symbol:         _ZL37rocblas_syrkx_herkx_restricted_kernelIi19rocblas_complex_numIfELi16ELi32ELi8ELb1ELb0ELc67ELc76EKPKS1_KPS1_EviT_T0_PT8_S7_lSA_S7_lS8_PT9_S7_li.kd
    .uniform_work_group_size: 1
    .uses_dynamic_stack: false
    .vgpr_count:     41
    .vgpr_spill_count: 0
    .wavefront_size: 64
  - .args:
      - .offset:         0
        .size:           4
        .value_kind:     by_value
      - .offset:         4
        .size:           4
        .value_kind:     by_value
      - .offset:         8
        .size:           8
        .value_kind:     by_value
      - .address_space:  global
        .offset:         16
        .size:           8
        .value_kind:     global_buffer
      - .offset:         24
        .size:           4
        .value_kind:     by_value
      - .offset:         32
        .size:           8
        .value_kind:     by_value
      - .address_space:  global
        .offset:         40
        .size:           8
        .value_kind:     global_buffer
      - .offset:         48
        .size:           4
        .value_kind:     by_value
      - .offset:         56
        .size:           8
        .value_kind:     by_value
      - .offset:         64
        .size:           8
        .value_kind:     by_value
      - .address_space:  global
        .offset:         72
        .size:           8
        .value_kind:     global_buffer
      - .offset:         80
        .size:           4
        .value_kind:     by_value
      - .offset:         88
        .size:           8
        .value_kind:     by_value
      - .offset:         96
        .size:           4
        .value_kind:     by_value
    .group_segment_fixed_size: 4096
    .kernarg_segment_align: 8
    .kernarg_segment_size: 100
    .language:       OpenCL C
    .language_version:
      - 2
      - 0
    .max_flat_workgroup_size: 256
    .name:           _ZL37rocblas_syrkx_herkx_restricted_kernelIi19rocblas_complex_numIfELi16ELi32ELi8ELb1ELb0ELc78ELc76EKPKS1_KPS1_EviT_T0_PT8_S7_lSA_S7_lS8_PT9_S7_li
    .private_segment_fixed_size: 0
    .sgpr_count:     26
    .sgpr_spill_count: 0
    .symbol:         _ZL37rocblas_syrkx_herkx_restricted_kernelIi19rocblas_complex_numIfELi16ELi32ELi8ELb1ELb0ELc78ELc76EKPKS1_KPS1_EviT_T0_PT8_S7_lSA_S7_lS8_PT9_S7_li.kd
    .uniform_work_group_size: 1
    .uses_dynamic_stack: false
    .vgpr_count:     43
    .vgpr_spill_count: 0
    .wavefront_size: 64
  - .args:
      - .offset:         0
        .size:           4
        .value_kind:     by_value
      - .offset:         4
        .size:           4
        .value_kind:     by_value
      - .offset:         8
        .size:           8
        .value_kind:     by_value
      - .address_space:  global
        .offset:         16
        .size:           8
        .value_kind:     global_buffer
      - .offset:         24
        .size:           4
        .value_kind:     by_value
      - .offset:         32
        .size:           8
        .value_kind:     by_value
      - .address_space:  global
        .offset:         40
        .size:           8
        .value_kind:     global_buffer
      - .offset:         48
        .size:           4
        .value_kind:     by_value
      - .offset:         56
        .size:           8
        .value_kind:     by_value
      - .offset:         64
        .size:           8
        .value_kind:     by_value
      - .address_space:  global
        .offset:         72
        .size:           8
        .value_kind:     global_buffer
      - .offset:         80
        .size:           4
        .value_kind:     by_value
      - .offset:         88
        .size:           8
        .value_kind:     by_value
      - .offset:         96
        .size:           4
        .value_kind:     by_value
    .group_segment_fixed_size: 4096
    .kernarg_segment_align: 8
    .kernarg_segment_size: 100
    .language:       OpenCL C
    .language_version:
      - 2
      - 0
    .max_flat_workgroup_size: 256
    .name:           _ZL37rocblas_syrkx_herkx_restricted_kernelIi19rocblas_complex_numIfELi16ELi32ELi8ELb1ELb0ELc84ELc85EKPKS1_KPS1_EviT_T0_PT8_S7_lSA_S7_lS8_PT9_S7_li
    .private_segment_fixed_size: 0
    .sgpr_count:     23
    .sgpr_spill_count: 0
    .symbol:         _ZL37rocblas_syrkx_herkx_restricted_kernelIi19rocblas_complex_numIfELi16ELi32ELi8ELb1ELb0ELc84ELc85EKPKS1_KPS1_EviT_T0_PT8_S7_lSA_S7_lS8_PT9_S7_li.kd
    .uniform_work_group_size: 1
    .uses_dynamic_stack: false
    .vgpr_count:     41
    .vgpr_spill_count: 0
    .wavefront_size: 64
  - .args:
      - .offset:         0
        .size:           4
        .value_kind:     by_value
      - .offset:         4
        .size:           4
        .value_kind:     by_value
      - .offset:         8
        .size:           8
        .value_kind:     by_value
      - .address_space:  global
        .offset:         16
        .size:           8
        .value_kind:     global_buffer
      - .offset:         24
        .size:           4
        .value_kind:     by_value
      - .offset:         32
        .size:           8
        .value_kind:     by_value
      - .address_space:  global
        .offset:         40
        .size:           8
        .value_kind:     global_buffer
      - .offset:         48
        .size:           4
        .value_kind:     by_value
      - .offset:         56
        .size:           8
        .value_kind:     by_value
      - .offset:         64
        .size:           8
        .value_kind:     by_value
      - .address_space:  global
        .offset:         72
        .size:           8
        .value_kind:     global_buffer
      - .offset:         80
        .size:           4
        .value_kind:     by_value
      - .offset:         88
        .size:           8
        .value_kind:     by_value
      - .offset:         96
        .size:           4
        .value_kind:     by_value
    .group_segment_fixed_size: 4096
    .kernarg_segment_align: 8
    .kernarg_segment_size: 100
    .language:       OpenCL C
    .language_version:
      - 2
      - 0
    .max_flat_workgroup_size: 256
    .name:           _ZL37rocblas_syrkx_herkx_restricted_kernelIi19rocblas_complex_numIfELi16ELi32ELi8ELb1ELb0ELc67ELc85EKPKS1_KPS1_EviT_T0_PT8_S7_lSA_S7_lS8_PT9_S7_li
    .private_segment_fixed_size: 0
    .sgpr_count:     23
    .sgpr_spill_count: 0
    .symbol:         _ZL37rocblas_syrkx_herkx_restricted_kernelIi19rocblas_complex_numIfELi16ELi32ELi8ELb1ELb0ELc67ELc85EKPKS1_KPS1_EviT_T0_PT8_S7_lSA_S7_lS8_PT9_S7_li.kd
    .uniform_work_group_size: 1
    .uses_dynamic_stack: false
    .vgpr_count:     41
    .vgpr_spill_count: 0
    .wavefront_size: 64
  - .args:
      - .offset:         0
        .size:           4
        .value_kind:     by_value
      - .offset:         4
        .size:           4
        .value_kind:     by_value
      - .offset:         8
        .size:           8
        .value_kind:     by_value
      - .address_space:  global
        .offset:         16
        .size:           8
        .value_kind:     global_buffer
      - .offset:         24
        .size:           4
        .value_kind:     by_value
      - .offset:         32
        .size:           8
        .value_kind:     by_value
      - .address_space:  global
        .offset:         40
        .size:           8
        .value_kind:     global_buffer
      - .offset:         48
        .size:           4
        .value_kind:     by_value
      - .offset:         56
        .size:           8
        .value_kind:     by_value
      - .offset:         64
        .size:           8
        .value_kind:     by_value
      - .address_space:  global
        .offset:         72
        .size:           8
        .value_kind:     global_buffer
      - .offset:         80
        .size:           4
        .value_kind:     by_value
      - .offset:         88
        .size:           8
        .value_kind:     by_value
      - .offset:         96
        .size:           4
        .value_kind:     by_value
    .group_segment_fixed_size: 4096
    .kernarg_segment_align: 8
    .kernarg_segment_size: 100
    .language:       OpenCL C
    .language_version:
      - 2
      - 0
    .max_flat_workgroup_size: 256
    .name:           _ZL37rocblas_syrkx_herkx_restricted_kernelIi19rocblas_complex_numIfELi16ELi32ELi8ELb1ELb0ELc78ELc85EKPKS1_KPS1_EviT_T0_PT8_S7_lSA_S7_lS8_PT9_S7_li
    .private_segment_fixed_size: 0
    .sgpr_count:     26
    .sgpr_spill_count: 0
    .symbol:         _ZL37rocblas_syrkx_herkx_restricted_kernelIi19rocblas_complex_numIfELi16ELi32ELi8ELb1ELb0ELc78ELc85EKPKS1_KPS1_EviT_T0_PT8_S7_lSA_S7_lS8_PT9_S7_li.kd
    .uniform_work_group_size: 1
    .uses_dynamic_stack: false
    .vgpr_count:     43
    .vgpr_spill_count: 0
    .wavefront_size: 64
  - .args:
      - .offset:         0
        .size:           4
        .value_kind:     by_value
      - .offset:         4
        .size:           4
        .value_kind:     by_value
      - .offset:         8
        .size:           8
        .value_kind:     by_value
      - .address_space:  global
        .offset:         16
        .size:           8
        .value_kind:     global_buffer
      - .offset:         24
        .size:           4
        .value_kind:     by_value
      - .offset:         32
        .size:           8
        .value_kind:     by_value
      - .address_space:  global
        .offset:         40
        .size:           8
        .value_kind:     global_buffer
      - .offset:         48
        .size:           4
        .value_kind:     by_value
      - .offset:         56
        .size:           8
        .value_kind:     by_value
      - .offset:         64
        .size:           8
        .value_kind:     by_value
      - .address_space:  global
        .offset:         72
        .size:           8
        .value_kind:     global_buffer
      - .offset:         80
        .size:           4
        .value_kind:     by_value
      - .offset:         88
        .size:           8
        .value_kind:     by_value
      - .offset:         96
        .size:           4
        .value_kind:     by_value
    .group_segment_fixed_size: 4096
    .kernarg_segment_align: 8
    .kernarg_segment_size: 100
    .language:       OpenCL C
    .language_version:
      - 2
      - 0
    .max_flat_workgroup_size: 256
    .name:           _ZL37rocblas_syrkx_herkx_restricted_kernelIi19rocblas_complex_numIfELi16ELi32ELi8ELb0ELb0ELc84ELc76EKPKS1_KPS1_EviT_T0_PT8_S7_lSA_S7_lS8_PT9_S7_li
    .private_segment_fixed_size: 0
    .sgpr_count:     27
    .sgpr_spill_count: 0
    .symbol:         _ZL37rocblas_syrkx_herkx_restricted_kernelIi19rocblas_complex_numIfELi16ELi32ELi8ELb0ELb0ELc84ELc76EKPKS1_KPS1_EviT_T0_PT8_S7_lSA_S7_lS8_PT9_S7_li.kd
    .uniform_work_group_size: 1
    .uses_dynamic_stack: false
    .vgpr_count:     41
    .vgpr_spill_count: 0
    .wavefront_size: 64
  - .args:
      - .offset:         0
        .size:           4
        .value_kind:     by_value
      - .offset:         4
        .size:           4
        .value_kind:     by_value
      - .offset:         8
        .size:           8
        .value_kind:     by_value
      - .address_space:  global
        .offset:         16
        .size:           8
        .value_kind:     global_buffer
      - .offset:         24
        .size:           4
        .value_kind:     by_value
      - .offset:         32
        .size:           8
        .value_kind:     by_value
      - .address_space:  global
        .offset:         40
        .size:           8
        .value_kind:     global_buffer
      - .offset:         48
        .size:           4
        .value_kind:     by_value
      - .offset:         56
        .size:           8
        .value_kind:     by_value
      - .offset:         64
        .size:           8
        .value_kind:     by_value
      - .address_space:  global
        .offset:         72
        .size:           8
        .value_kind:     global_buffer
      - .offset:         80
        .size:           4
        .value_kind:     by_value
      - .offset:         88
        .size:           8
        .value_kind:     by_value
      - .offset:         96
        .size:           4
        .value_kind:     by_value
    .group_segment_fixed_size: 4096
    .kernarg_segment_align: 8
    .kernarg_segment_size: 100
    .language:       OpenCL C
    .language_version:
      - 2
      - 0
    .max_flat_workgroup_size: 256
    .name:           _ZL37rocblas_syrkx_herkx_restricted_kernelIi19rocblas_complex_numIfELi16ELi32ELi8ELb0ELb0ELc67ELc76EKPKS1_KPS1_EviT_T0_PT8_S7_lSA_S7_lS8_PT9_S7_li
    .private_segment_fixed_size: 0
    .sgpr_count:     27
    .sgpr_spill_count: 0
    .symbol:         _ZL37rocblas_syrkx_herkx_restricted_kernelIi19rocblas_complex_numIfELi16ELi32ELi8ELb0ELb0ELc67ELc76EKPKS1_KPS1_EviT_T0_PT8_S7_lSA_S7_lS8_PT9_S7_li.kd
    .uniform_work_group_size: 1
    .uses_dynamic_stack: false
    .vgpr_count:     41
    .vgpr_spill_count: 0
    .wavefront_size: 64
  - .args:
      - .offset:         0
        .size:           4
        .value_kind:     by_value
      - .offset:         4
        .size:           4
        .value_kind:     by_value
      - .offset:         8
        .size:           8
        .value_kind:     by_value
      - .address_space:  global
        .offset:         16
        .size:           8
        .value_kind:     global_buffer
      - .offset:         24
        .size:           4
        .value_kind:     by_value
      - .offset:         32
        .size:           8
        .value_kind:     by_value
      - .address_space:  global
        .offset:         40
        .size:           8
        .value_kind:     global_buffer
      - .offset:         48
        .size:           4
        .value_kind:     by_value
      - .offset:         56
        .size:           8
        .value_kind:     by_value
      - .offset:         64
        .size:           8
        .value_kind:     by_value
      - .address_space:  global
        .offset:         72
        .size:           8
        .value_kind:     global_buffer
      - .offset:         80
        .size:           4
        .value_kind:     by_value
      - .offset:         88
        .size:           8
        .value_kind:     by_value
      - .offset:         96
        .size:           4
        .value_kind:     by_value
    .group_segment_fixed_size: 4096
    .kernarg_segment_align: 8
    .kernarg_segment_size: 100
    .language:       OpenCL C
    .language_version:
      - 2
      - 0
    .max_flat_workgroup_size: 256
    .name:           _ZL37rocblas_syrkx_herkx_restricted_kernelIi19rocblas_complex_numIfELi16ELi32ELi8ELb0ELb0ELc78ELc76EKPKS1_KPS1_EviT_T0_PT8_S7_lSA_S7_lS8_PT9_S7_li
    .private_segment_fixed_size: 0
    .sgpr_count:     28
    .sgpr_spill_count: 0
    .symbol:         _ZL37rocblas_syrkx_herkx_restricted_kernelIi19rocblas_complex_numIfELi16ELi32ELi8ELb0ELb0ELc78ELc76EKPKS1_KPS1_EviT_T0_PT8_S7_lSA_S7_lS8_PT9_S7_li.kd
    .uniform_work_group_size: 1
    .uses_dynamic_stack: false
    .vgpr_count:     43
    .vgpr_spill_count: 0
    .wavefront_size: 64
  - .args:
      - .offset:         0
        .size:           4
        .value_kind:     by_value
      - .offset:         4
        .size:           4
        .value_kind:     by_value
      - .offset:         8
        .size:           8
        .value_kind:     by_value
      - .address_space:  global
        .offset:         16
        .size:           8
        .value_kind:     global_buffer
      - .offset:         24
        .size:           4
        .value_kind:     by_value
      - .offset:         32
        .size:           8
        .value_kind:     by_value
      - .address_space:  global
        .offset:         40
        .size:           8
        .value_kind:     global_buffer
      - .offset:         48
        .size:           4
        .value_kind:     by_value
      - .offset:         56
        .size:           8
        .value_kind:     by_value
      - .offset:         64
        .size:           8
        .value_kind:     by_value
      - .address_space:  global
        .offset:         72
        .size:           8
        .value_kind:     global_buffer
      - .offset:         80
        .size:           4
        .value_kind:     by_value
      - .offset:         88
        .size:           8
        .value_kind:     by_value
      - .offset:         96
        .size:           4
        .value_kind:     by_value
    .group_segment_fixed_size: 4096
    .kernarg_segment_align: 8
    .kernarg_segment_size: 100
    .language:       OpenCL C
    .language_version:
      - 2
      - 0
    .max_flat_workgroup_size: 256
    .name:           _ZL37rocblas_syrkx_herkx_restricted_kernelIi19rocblas_complex_numIfELi16ELi32ELi8ELb0ELb0ELc84ELc85EKPKS1_KPS1_EviT_T0_PT8_S7_lSA_S7_lS8_PT9_S7_li
    .private_segment_fixed_size: 0
    .sgpr_count:     25
    .sgpr_spill_count: 0
    .symbol:         _ZL37rocblas_syrkx_herkx_restricted_kernelIi19rocblas_complex_numIfELi16ELi32ELi8ELb0ELb0ELc84ELc85EKPKS1_KPS1_EviT_T0_PT8_S7_lSA_S7_lS8_PT9_S7_li.kd
    .uniform_work_group_size: 1
    .uses_dynamic_stack: false
    .vgpr_count:     41
    .vgpr_spill_count: 0
    .wavefront_size: 64
  - .args:
      - .offset:         0
        .size:           4
        .value_kind:     by_value
      - .offset:         4
        .size:           4
        .value_kind:     by_value
      - .offset:         8
        .size:           8
        .value_kind:     by_value
      - .address_space:  global
        .offset:         16
        .size:           8
        .value_kind:     global_buffer
      - .offset:         24
        .size:           4
        .value_kind:     by_value
      - .offset:         32
        .size:           8
        .value_kind:     by_value
      - .address_space:  global
        .offset:         40
        .size:           8
        .value_kind:     global_buffer
      - .offset:         48
        .size:           4
        .value_kind:     by_value
      - .offset:         56
        .size:           8
        .value_kind:     by_value
      - .offset:         64
        .size:           8
        .value_kind:     by_value
      - .address_space:  global
        .offset:         72
        .size:           8
        .value_kind:     global_buffer
      - .offset:         80
        .size:           4
        .value_kind:     by_value
      - .offset:         88
        .size:           8
        .value_kind:     by_value
      - .offset:         96
        .size:           4
        .value_kind:     by_value
    .group_segment_fixed_size: 4096
    .kernarg_segment_align: 8
    .kernarg_segment_size: 100
    .language:       OpenCL C
    .language_version:
      - 2
      - 0
    .max_flat_workgroup_size: 256
    .name:           _ZL37rocblas_syrkx_herkx_restricted_kernelIi19rocblas_complex_numIfELi16ELi32ELi8ELb0ELb0ELc67ELc85EKPKS1_KPS1_EviT_T0_PT8_S7_lSA_S7_lS8_PT9_S7_li
    .private_segment_fixed_size: 0
    .sgpr_count:     25
    .sgpr_spill_count: 0
    .symbol:         _ZL37rocblas_syrkx_herkx_restricted_kernelIi19rocblas_complex_numIfELi16ELi32ELi8ELb0ELb0ELc67ELc85EKPKS1_KPS1_EviT_T0_PT8_S7_lSA_S7_lS8_PT9_S7_li.kd
    .uniform_work_group_size: 1
    .uses_dynamic_stack: false
    .vgpr_count:     41
    .vgpr_spill_count: 0
    .wavefront_size: 64
  - .args:
      - .offset:         0
        .size:           4
        .value_kind:     by_value
      - .offset:         4
        .size:           4
        .value_kind:     by_value
      - .offset:         8
        .size:           8
        .value_kind:     by_value
      - .address_space:  global
        .offset:         16
        .size:           8
        .value_kind:     global_buffer
      - .offset:         24
        .size:           4
        .value_kind:     by_value
      - .offset:         32
        .size:           8
        .value_kind:     by_value
      - .address_space:  global
        .offset:         40
        .size:           8
        .value_kind:     global_buffer
      - .offset:         48
        .size:           4
        .value_kind:     by_value
      - .offset:         56
        .size:           8
        .value_kind:     by_value
      - .offset:         64
        .size:           8
        .value_kind:     by_value
      - .address_space:  global
        .offset:         72
        .size:           8
        .value_kind:     global_buffer
      - .offset:         80
        .size:           4
        .value_kind:     by_value
      - .offset:         88
        .size:           8
        .value_kind:     by_value
      - .offset:         96
        .size:           4
        .value_kind:     by_value
    .group_segment_fixed_size: 4096
    .kernarg_segment_align: 8
    .kernarg_segment_size: 100
    .language:       OpenCL C
    .language_version:
      - 2
      - 0
    .max_flat_workgroup_size: 256
    .name:           _ZL37rocblas_syrkx_herkx_restricted_kernelIi19rocblas_complex_numIfELi16ELi32ELi8ELb0ELb0ELc78ELc85EKPKS1_KPS1_EviT_T0_PT8_S7_lSA_S7_lS8_PT9_S7_li
    .private_segment_fixed_size: 0
    .sgpr_count:     28
    .sgpr_spill_count: 0
    .symbol:         _ZL37rocblas_syrkx_herkx_restricted_kernelIi19rocblas_complex_numIfELi16ELi32ELi8ELb0ELb0ELc78ELc85EKPKS1_KPS1_EviT_T0_PT8_S7_lSA_S7_lS8_PT9_S7_li.kd
    .uniform_work_group_size: 1
    .uses_dynamic_stack: false
    .vgpr_count:     43
    .vgpr_spill_count: 0
    .wavefront_size: 64
  - .args:
      - .offset:         0
        .size:           4
        .value_kind:     by_value
      - .offset:         4
        .size:           4
        .value_kind:     by_value
      - .offset:         8
        .size:           8
        .value_kind:     by_value
      - .address_space:  global
        .offset:         16
        .size:           8
        .value_kind:     global_buffer
      - .offset:         24
        .size:           4
        .value_kind:     by_value
      - .offset:         32
        .size:           8
        .value_kind:     by_value
      - .address_space:  global
        .offset:         40
        .size:           8
        .value_kind:     global_buffer
      - .offset:         48
        .size:           4
        .value_kind:     by_value
      - .offset:         56
        .size:           8
        .value_kind:     by_value
      - .offset:         64
        .size:           8
        .value_kind:     by_value
      - .address_space:  global
        .offset:         72
        .size:           8
        .value_kind:     global_buffer
      - .offset:         80
        .size:           4
        .value_kind:     by_value
      - .offset:         88
        .size:           8
        .value_kind:     by_value
      - .offset:         96
        .size:           4
        .value_kind:     by_value
    .group_segment_fixed_size: 4096
    .kernarg_segment_align: 8
    .kernarg_segment_size: 100
    .language:       OpenCL C
    .language_version:
      - 2
      - 0
    .max_flat_workgroup_size: 256
    .name:           _ZL41rocblas_syrkx_herkx_small_restrict_kernelIi19rocblas_complex_numIfELi16ELb1ELb0ELc84ELc76EKPKS1_KPS1_EviT_T0_PT6_S7_lSA_S7_lS8_PT7_S7_li
    .private_segment_fixed_size: 0
    .sgpr_count:     20
    .sgpr_spill_count: 0
    .symbol:         _ZL41rocblas_syrkx_herkx_small_restrict_kernelIi19rocblas_complex_numIfELi16ELb1ELb0ELc84ELc76EKPKS1_KPS1_EviT_T0_PT6_S7_lSA_S7_lS8_PT7_S7_li.kd
    .uniform_work_group_size: 1
    .uses_dynamic_stack: false
    .vgpr_count:     66
    .vgpr_spill_count: 0
    .wavefront_size: 64
  - .args:
      - .offset:         0
        .size:           4
        .value_kind:     by_value
      - .offset:         4
        .size:           4
        .value_kind:     by_value
      - .offset:         8
        .size:           8
        .value_kind:     by_value
      - .address_space:  global
        .offset:         16
        .size:           8
        .value_kind:     global_buffer
      - .offset:         24
        .size:           4
        .value_kind:     by_value
      - .offset:         32
        .size:           8
        .value_kind:     by_value
      - .address_space:  global
        .offset:         40
        .size:           8
        .value_kind:     global_buffer
      - .offset:         48
        .size:           4
        .value_kind:     by_value
      - .offset:         56
        .size:           8
        .value_kind:     by_value
      - .offset:         64
        .size:           8
        .value_kind:     by_value
      - .address_space:  global
        .offset:         72
        .size:           8
        .value_kind:     global_buffer
      - .offset:         80
        .size:           4
        .value_kind:     by_value
      - .offset:         88
        .size:           8
        .value_kind:     by_value
      - .offset:         96
        .size:           4
        .value_kind:     by_value
    .group_segment_fixed_size: 4096
    .kernarg_segment_align: 8
    .kernarg_segment_size: 100
    .language:       OpenCL C
    .language_version:
      - 2
      - 0
    .max_flat_workgroup_size: 256
    .name:           _ZL41rocblas_syrkx_herkx_small_restrict_kernelIi19rocblas_complex_numIfELi16ELb1ELb0ELc67ELc76EKPKS1_KPS1_EviT_T0_PT6_S7_lSA_S7_lS8_PT7_S7_li
    .private_segment_fixed_size: 0
    .sgpr_count:     20
    .sgpr_spill_count: 0
    .symbol:         _ZL41rocblas_syrkx_herkx_small_restrict_kernelIi19rocblas_complex_numIfELi16ELb1ELb0ELc67ELc76EKPKS1_KPS1_EviT_T0_PT6_S7_lSA_S7_lS8_PT7_S7_li.kd
    .uniform_work_group_size: 1
    .uses_dynamic_stack: false
    .vgpr_count:     66
    .vgpr_spill_count: 0
    .wavefront_size: 64
  - .args:
      - .offset:         0
        .size:           4
        .value_kind:     by_value
      - .offset:         4
        .size:           4
        .value_kind:     by_value
      - .offset:         8
        .size:           8
        .value_kind:     by_value
      - .address_space:  global
        .offset:         16
        .size:           8
        .value_kind:     global_buffer
      - .offset:         24
        .size:           4
        .value_kind:     by_value
      - .offset:         32
        .size:           8
        .value_kind:     by_value
      - .address_space:  global
        .offset:         40
        .size:           8
        .value_kind:     global_buffer
      - .offset:         48
        .size:           4
        .value_kind:     by_value
      - .offset:         56
        .size:           8
        .value_kind:     by_value
      - .offset:         64
        .size:           8
        .value_kind:     by_value
      - .address_space:  global
        .offset:         72
        .size:           8
        .value_kind:     global_buffer
      - .offset:         80
        .size:           4
        .value_kind:     by_value
      - .offset:         88
        .size:           8
        .value_kind:     by_value
      - .offset:         96
        .size:           4
        .value_kind:     by_value
    .group_segment_fixed_size: 4096
    .kernarg_segment_align: 8
    .kernarg_segment_size: 100
    .language:       OpenCL C
    .language_version:
      - 2
      - 0
    .max_flat_workgroup_size: 256
    .name:           _ZL41rocblas_syrkx_herkx_small_restrict_kernelIi19rocblas_complex_numIfELi16ELb1ELb0ELc78ELc76EKPKS1_KPS1_EviT_T0_PT6_S7_lSA_S7_lS8_PT7_S7_li
    .private_segment_fixed_size: 0
    .sgpr_count:     24
    .sgpr_spill_count: 0
    .symbol:         _ZL41rocblas_syrkx_herkx_small_restrict_kernelIi19rocblas_complex_numIfELi16ELb1ELb0ELc78ELc76EKPKS1_KPS1_EviT_T0_PT6_S7_lSA_S7_lS8_PT7_S7_li.kd
    .uniform_work_group_size: 1
    .uses_dynamic_stack: false
    .vgpr_count:     69
    .vgpr_spill_count: 0
    .wavefront_size: 64
  - .args:
      - .offset:         0
        .size:           4
        .value_kind:     by_value
      - .offset:         4
        .size:           4
        .value_kind:     by_value
      - .offset:         8
        .size:           8
        .value_kind:     by_value
      - .address_space:  global
        .offset:         16
        .size:           8
        .value_kind:     global_buffer
      - .offset:         24
        .size:           4
        .value_kind:     by_value
      - .offset:         32
        .size:           8
        .value_kind:     by_value
      - .address_space:  global
        .offset:         40
        .size:           8
        .value_kind:     global_buffer
      - .offset:         48
        .size:           4
        .value_kind:     by_value
      - .offset:         56
        .size:           8
        .value_kind:     by_value
      - .offset:         64
        .size:           8
        .value_kind:     by_value
      - .address_space:  global
        .offset:         72
        .size:           8
        .value_kind:     global_buffer
      - .offset:         80
        .size:           4
        .value_kind:     by_value
      - .offset:         88
        .size:           8
        .value_kind:     by_value
      - .offset:         96
        .size:           4
        .value_kind:     by_value
    .group_segment_fixed_size: 4096
    .kernarg_segment_align: 8
    .kernarg_segment_size: 100
    .language:       OpenCL C
    .language_version:
      - 2
      - 0
    .max_flat_workgroup_size: 256
    .name:           _ZL41rocblas_syrkx_herkx_small_restrict_kernelIi19rocblas_complex_numIfELi16ELb1ELb0ELc84ELc85EKPKS1_KPS1_EviT_T0_PT6_S7_lSA_S7_lS8_PT7_S7_li
    .private_segment_fixed_size: 0
    .sgpr_count:     20
    .sgpr_spill_count: 0
    .symbol:         _ZL41rocblas_syrkx_herkx_small_restrict_kernelIi19rocblas_complex_numIfELi16ELb1ELb0ELc84ELc85EKPKS1_KPS1_EviT_T0_PT6_S7_lSA_S7_lS8_PT7_S7_li.kd
    .uniform_work_group_size: 1
    .uses_dynamic_stack: false
    .vgpr_count:     66
    .vgpr_spill_count: 0
    .wavefront_size: 64
  - .args:
      - .offset:         0
        .size:           4
        .value_kind:     by_value
      - .offset:         4
        .size:           4
        .value_kind:     by_value
      - .offset:         8
        .size:           8
        .value_kind:     by_value
      - .address_space:  global
        .offset:         16
        .size:           8
        .value_kind:     global_buffer
      - .offset:         24
        .size:           4
        .value_kind:     by_value
      - .offset:         32
        .size:           8
        .value_kind:     by_value
      - .address_space:  global
        .offset:         40
        .size:           8
        .value_kind:     global_buffer
      - .offset:         48
        .size:           4
        .value_kind:     by_value
      - .offset:         56
        .size:           8
        .value_kind:     by_value
      - .offset:         64
        .size:           8
        .value_kind:     by_value
      - .address_space:  global
        .offset:         72
        .size:           8
        .value_kind:     global_buffer
      - .offset:         80
        .size:           4
        .value_kind:     by_value
      - .offset:         88
        .size:           8
        .value_kind:     by_value
      - .offset:         96
        .size:           4
        .value_kind:     by_value
    .group_segment_fixed_size: 4096
    .kernarg_segment_align: 8
    .kernarg_segment_size: 100
    .language:       OpenCL C
    .language_version:
      - 2
      - 0
    .max_flat_workgroup_size: 256
    .name:           _ZL41rocblas_syrkx_herkx_small_restrict_kernelIi19rocblas_complex_numIfELi16ELb1ELb0ELc67ELc85EKPKS1_KPS1_EviT_T0_PT6_S7_lSA_S7_lS8_PT7_S7_li
    .private_segment_fixed_size: 0
    .sgpr_count:     20
    .sgpr_spill_count: 0
    .symbol:         _ZL41rocblas_syrkx_herkx_small_restrict_kernelIi19rocblas_complex_numIfELi16ELb1ELb0ELc67ELc85EKPKS1_KPS1_EviT_T0_PT6_S7_lSA_S7_lS8_PT7_S7_li.kd
    .uniform_work_group_size: 1
    .uses_dynamic_stack: false
    .vgpr_count:     66
    .vgpr_spill_count: 0
    .wavefront_size: 64
  - .args:
      - .offset:         0
        .size:           4
        .value_kind:     by_value
      - .offset:         4
        .size:           4
        .value_kind:     by_value
      - .offset:         8
        .size:           8
        .value_kind:     by_value
      - .address_space:  global
        .offset:         16
        .size:           8
        .value_kind:     global_buffer
      - .offset:         24
        .size:           4
        .value_kind:     by_value
      - .offset:         32
        .size:           8
        .value_kind:     by_value
      - .address_space:  global
        .offset:         40
        .size:           8
        .value_kind:     global_buffer
      - .offset:         48
        .size:           4
        .value_kind:     by_value
      - .offset:         56
        .size:           8
        .value_kind:     by_value
      - .offset:         64
        .size:           8
        .value_kind:     by_value
      - .address_space:  global
        .offset:         72
        .size:           8
        .value_kind:     global_buffer
      - .offset:         80
        .size:           4
        .value_kind:     by_value
      - .offset:         88
        .size:           8
        .value_kind:     by_value
      - .offset:         96
        .size:           4
        .value_kind:     by_value
    .group_segment_fixed_size: 4096
    .kernarg_segment_align: 8
    .kernarg_segment_size: 100
    .language:       OpenCL C
    .language_version:
      - 2
      - 0
    .max_flat_workgroup_size: 256
    .name:           _ZL41rocblas_syrkx_herkx_small_restrict_kernelIi19rocblas_complex_numIfELi16ELb1ELb0ELc78ELc85EKPKS1_KPS1_EviT_T0_PT6_S7_lSA_S7_lS8_PT7_S7_li
    .private_segment_fixed_size: 0
    .sgpr_count:     24
    .sgpr_spill_count: 0
    .symbol:         _ZL41rocblas_syrkx_herkx_small_restrict_kernelIi19rocblas_complex_numIfELi16ELb1ELb0ELc78ELc85EKPKS1_KPS1_EviT_T0_PT6_S7_lSA_S7_lS8_PT7_S7_li.kd
    .uniform_work_group_size: 1
    .uses_dynamic_stack: false
    .vgpr_count:     69
    .vgpr_spill_count: 0
    .wavefront_size: 64
  - .args:
      - .offset:         0
        .size:           4
        .value_kind:     by_value
      - .offset:         4
        .size:           4
        .value_kind:     by_value
      - .offset:         8
        .size:           8
        .value_kind:     by_value
      - .address_space:  global
        .offset:         16
        .size:           8
        .value_kind:     global_buffer
      - .offset:         24
        .size:           4
        .value_kind:     by_value
      - .offset:         32
        .size:           8
        .value_kind:     by_value
      - .address_space:  global
        .offset:         40
        .size:           8
        .value_kind:     global_buffer
      - .offset:         48
        .size:           4
        .value_kind:     by_value
      - .offset:         56
        .size:           8
        .value_kind:     by_value
      - .offset:         64
        .size:           8
        .value_kind:     by_value
      - .address_space:  global
        .offset:         72
        .size:           8
        .value_kind:     global_buffer
      - .offset:         80
        .size:           4
        .value_kind:     by_value
      - .offset:         88
        .size:           8
        .value_kind:     by_value
      - .offset:         96
        .size:           4
        .value_kind:     by_value
    .group_segment_fixed_size: 4096
    .kernarg_segment_align: 8
    .kernarg_segment_size: 100
    .language:       OpenCL C
    .language_version:
      - 2
      - 0
    .max_flat_workgroup_size: 256
    .name:           _ZL41rocblas_syrkx_herkx_small_restrict_kernelIi19rocblas_complex_numIfELi16ELb0ELb0ELc84ELc76EKPKS1_KPS1_EviT_T0_PT6_S7_lSA_S7_lS8_PT7_S7_li
    .private_segment_fixed_size: 0
    .sgpr_count:     24
    .sgpr_spill_count: 0
    .symbol:         _ZL41rocblas_syrkx_herkx_small_restrict_kernelIi19rocblas_complex_numIfELi16ELb0ELb0ELc84ELc76EKPKS1_KPS1_EviT_T0_PT6_S7_lSA_S7_lS8_PT7_S7_li.kd
    .uniform_work_group_size: 1
    .uses_dynamic_stack: false
    .vgpr_count:     66
    .vgpr_spill_count: 0
    .wavefront_size: 64
  - .args:
      - .offset:         0
        .size:           4
        .value_kind:     by_value
      - .offset:         4
        .size:           4
        .value_kind:     by_value
      - .offset:         8
        .size:           8
        .value_kind:     by_value
      - .address_space:  global
        .offset:         16
        .size:           8
        .value_kind:     global_buffer
      - .offset:         24
        .size:           4
        .value_kind:     by_value
      - .offset:         32
        .size:           8
        .value_kind:     by_value
      - .address_space:  global
        .offset:         40
        .size:           8
        .value_kind:     global_buffer
      - .offset:         48
        .size:           4
        .value_kind:     by_value
      - .offset:         56
        .size:           8
        .value_kind:     by_value
      - .offset:         64
        .size:           8
        .value_kind:     by_value
      - .address_space:  global
        .offset:         72
        .size:           8
        .value_kind:     global_buffer
      - .offset:         80
        .size:           4
        .value_kind:     by_value
      - .offset:         88
        .size:           8
        .value_kind:     by_value
      - .offset:         96
        .size:           4
        .value_kind:     by_value
    .group_segment_fixed_size: 4096
    .kernarg_segment_align: 8
    .kernarg_segment_size: 100
    .language:       OpenCL C
    .language_version:
      - 2
      - 0
    .max_flat_workgroup_size: 256
    .name:           _ZL41rocblas_syrkx_herkx_small_restrict_kernelIi19rocblas_complex_numIfELi16ELb0ELb0ELc67ELc76EKPKS1_KPS1_EviT_T0_PT6_S7_lSA_S7_lS8_PT7_S7_li
    .private_segment_fixed_size: 0
    .sgpr_count:     24
    .sgpr_spill_count: 0
    .symbol:         _ZL41rocblas_syrkx_herkx_small_restrict_kernelIi19rocblas_complex_numIfELi16ELb0ELb0ELc67ELc76EKPKS1_KPS1_EviT_T0_PT6_S7_lSA_S7_lS8_PT7_S7_li.kd
    .uniform_work_group_size: 1
    .uses_dynamic_stack: false
    .vgpr_count:     66
    .vgpr_spill_count: 0
    .wavefront_size: 64
  - .args:
      - .offset:         0
        .size:           4
        .value_kind:     by_value
      - .offset:         4
        .size:           4
        .value_kind:     by_value
      - .offset:         8
        .size:           8
        .value_kind:     by_value
      - .address_space:  global
        .offset:         16
        .size:           8
        .value_kind:     global_buffer
      - .offset:         24
        .size:           4
        .value_kind:     by_value
      - .offset:         32
        .size:           8
        .value_kind:     by_value
      - .address_space:  global
        .offset:         40
        .size:           8
        .value_kind:     global_buffer
      - .offset:         48
        .size:           4
        .value_kind:     by_value
      - .offset:         56
        .size:           8
        .value_kind:     by_value
      - .offset:         64
        .size:           8
        .value_kind:     by_value
      - .address_space:  global
        .offset:         72
        .size:           8
        .value_kind:     global_buffer
      - .offset:         80
        .size:           4
        .value_kind:     by_value
      - .offset:         88
        .size:           8
        .value_kind:     by_value
      - .offset:         96
        .size:           4
        .value_kind:     by_value
    .group_segment_fixed_size: 4096
    .kernarg_segment_align: 8
    .kernarg_segment_size: 100
    .language:       OpenCL C
    .language_version:
      - 2
      - 0
    .max_flat_workgroup_size: 256
    .name:           _ZL41rocblas_syrkx_herkx_small_restrict_kernelIi19rocblas_complex_numIfELi16ELb0ELb0ELc78ELc76EKPKS1_KPS1_EviT_T0_PT6_S7_lSA_S7_lS8_PT7_S7_li
    .private_segment_fixed_size: 0
    .sgpr_count:     26
    .sgpr_spill_count: 0
    .symbol:         _ZL41rocblas_syrkx_herkx_small_restrict_kernelIi19rocblas_complex_numIfELi16ELb0ELb0ELc78ELc76EKPKS1_KPS1_EviT_T0_PT6_S7_lSA_S7_lS8_PT7_S7_li.kd
    .uniform_work_group_size: 1
    .uses_dynamic_stack: false
    .vgpr_count:     69
    .vgpr_spill_count: 0
    .wavefront_size: 64
  - .args:
      - .offset:         0
        .size:           4
        .value_kind:     by_value
      - .offset:         4
        .size:           4
        .value_kind:     by_value
      - .offset:         8
        .size:           8
        .value_kind:     by_value
      - .address_space:  global
        .offset:         16
        .size:           8
        .value_kind:     global_buffer
      - .offset:         24
        .size:           4
        .value_kind:     by_value
      - .offset:         32
        .size:           8
        .value_kind:     by_value
      - .address_space:  global
        .offset:         40
        .size:           8
        .value_kind:     global_buffer
      - .offset:         48
        .size:           4
        .value_kind:     by_value
      - .offset:         56
        .size:           8
        .value_kind:     by_value
      - .offset:         64
        .size:           8
        .value_kind:     by_value
      - .address_space:  global
        .offset:         72
        .size:           8
        .value_kind:     global_buffer
      - .offset:         80
        .size:           4
        .value_kind:     by_value
      - .offset:         88
        .size:           8
        .value_kind:     by_value
      - .offset:         96
        .size:           4
        .value_kind:     by_value
    .group_segment_fixed_size: 4096
    .kernarg_segment_align: 8
    .kernarg_segment_size: 100
    .language:       OpenCL C
    .language_version:
      - 2
      - 0
    .max_flat_workgroup_size: 256
    .name:           _ZL41rocblas_syrkx_herkx_small_restrict_kernelIi19rocblas_complex_numIfELi16ELb0ELb0ELc84ELc85EKPKS1_KPS1_EviT_T0_PT6_S7_lSA_S7_lS8_PT7_S7_li
    .private_segment_fixed_size: 0
    .sgpr_count:     24
    .sgpr_spill_count: 0
    .symbol:         _ZL41rocblas_syrkx_herkx_small_restrict_kernelIi19rocblas_complex_numIfELi16ELb0ELb0ELc84ELc85EKPKS1_KPS1_EviT_T0_PT6_S7_lSA_S7_lS8_PT7_S7_li.kd
    .uniform_work_group_size: 1
    .uses_dynamic_stack: false
    .vgpr_count:     66
    .vgpr_spill_count: 0
    .wavefront_size: 64
  - .args:
      - .offset:         0
        .size:           4
        .value_kind:     by_value
      - .offset:         4
        .size:           4
        .value_kind:     by_value
      - .offset:         8
        .size:           8
        .value_kind:     by_value
      - .address_space:  global
        .offset:         16
        .size:           8
        .value_kind:     global_buffer
      - .offset:         24
        .size:           4
        .value_kind:     by_value
      - .offset:         32
        .size:           8
        .value_kind:     by_value
      - .address_space:  global
        .offset:         40
        .size:           8
        .value_kind:     global_buffer
      - .offset:         48
        .size:           4
        .value_kind:     by_value
      - .offset:         56
        .size:           8
        .value_kind:     by_value
      - .offset:         64
        .size:           8
        .value_kind:     by_value
      - .address_space:  global
        .offset:         72
        .size:           8
        .value_kind:     global_buffer
      - .offset:         80
        .size:           4
        .value_kind:     by_value
      - .offset:         88
        .size:           8
        .value_kind:     by_value
      - .offset:         96
        .size:           4
        .value_kind:     by_value
    .group_segment_fixed_size: 4096
    .kernarg_segment_align: 8
    .kernarg_segment_size: 100
    .language:       OpenCL C
    .language_version:
      - 2
      - 0
    .max_flat_workgroup_size: 256
    .name:           _ZL41rocblas_syrkx_herkx_small_restrict_kernelIi19rocblas_complex_numIfELi16ELb0ELb0ELc67ELc85EKPKS1_KPS1_EviT_T0_PT6_S7_lSA_S7_lS8_PT7_S7_li
    .private_segment_fixed_size: 0
    .sgpr_count:     24
    .sgpr_spill_count: 0
    .symbol:         _ZL41rocblas_syrkx_herkx_small_restrict_kernelIi19rocblas_complex_numIfELi16ELb0ELb0ELc67ELc85EKPKS1_KPS1_EviT_T0_PT6_S7_lSA_S7_lS8_PT7_S7_li.kd
    .uniform_work_group_size: 1
    .uses_dynamic_stack: false
    .vgpr_count:     66
    .vgpr_spill_count: 0
    .wavefront_size: 64
  - .args:
      - .offset:         0
        .size:           4
        .value_kind:     by_value
      - .offset:         4
        .size:           4
        .value_kind:     by_value
      - .offset:         8
        .size:           8
        .value_kind:     by_value
      - .address_space:  global
        .offset:         16
        .size:           8
        .value_kind:     global_buffer
      - .offset:         24
        .size:           4
        .value_kind:     by_value
      - .offset:         32
        .size:           8
        .value_kind:     by_value
      - .address_space:  global
        .offset:         40
        .size:           8
        .value_kind:     global_buffer
      - .offset:         48
        .size:           4
        .value_kind:     by_value
      - .offset:         56
        .size:           8
        .value_kind:     by_value
      - .offset:         64
        .size:           8
        .value_kind:     by_value
      - .address_space:  global
        .offset:         72
        .size:           8
        .value_kind:     global_buffer
      - .offset:         80
        .size:           4
        .value_kind:     by_value
      - .offset:         88
        .size:           8
        .value_kind:     by_value
      - .offset:         96
        .size:           4
        .value_kind:     by_value
    .group_segment_fixed_size: 4096
    .kernarg_segment_align: 8
    .kernarg_segment_size: 100
    .language:       OpenCL C
    .language_version:
      - 2
      - 0
    .max_flat_workgroup_size: 256
    .name:           _ZL41rocblas_syrkx_herkx_small_restrict_kernelIi19rocblas_complex_numIfELi16ELb0ELb0ELc78ELc85EKPKS1_KPS1_EviT_T0_PT6_S7_lSA_S7_lS8_PT7_S7_li
    .private_segment_fixed_size: 0
    .sgpr_count:     26
    .sgpr_spill_count: 0
    .symbol:         _ZL41rocblas_syrkx_herkx_small_restrict_kernelIi19rocblas_complex_numIfELi16ELb0ELb0ELc78ELc85EKPKS1_KPS1_EviT_T0_PT6_S7_lSA_S7_lS8_PT7_S7_li.kd
    .uniform_work_group_size: 1
    .uses_dynamic_stack: false
    .vgpr_count:     69
    .vgpr_spill_count: 0
    .wavefront_size: 64
  - .args:
      - .offset:         0
        .size:           4
        .value_kind:     by_value
      - .offset:         4
        .size:           4
        .value_kind:     by_value
      - .offset:         8
        .size:           8
        .value_kind:     by_value
      - .address_space:  global
        .offset:         16
        .size:           8
        .value_kind:     global_buffer
      - .offset:         24
        .size:           4
        .value_kind:     by_value
      - .offset:         32
        .size:           8
        .value_kind:     by_value
      - .address_space:  global
        .offset:         40
        .size:           8
        .value_kind:     global_buffer
      - .offset:         48
        .size:           4
        .value_kind:     by_value
      - .offset:         56
        .size:           8
        .value_kind:     by_value
      - .offset:         64
        .size:           8
        .value_kind:     by_value
      - .address_space:  global
        .offset:         72
        .size:           8
        .value_kind:     global_buffer
      - .offset:         80
        .size:           4
        .value_kind:     by_value
      - .offset:         88
        .size:           8
        .value_kind:     by_value
      - .offset:         96
        .size:           4
        .value_kind:     by_value
    .group_segment_fixed_size: 4096
    .kernarg_segment_align: 8
    .kernarg_segment_size: 100
    .language:       OpenCL C
    .language_version:
      - 2
      - 0
    .max_flat_workgroup_size: 256
    .name:           _ZL32rocblas_syrkx_herkx_small_kernelIi19rocblas_complex_numIfELi16ELb1ELb0ELc84ELc76EKPKS1_KPS1_EviT_T0_PT6_S7_lSA_S7_lS8_PT7_S7_li
    .private_segment_fixed_size: 0
    .sgpr_count:     23
    .sgpr_spill_count: 0
    .symbol:         _ZL32rocblas_syrkx_herkx_small_kernelIi19rocblas_complex_numIfELi16ELb1ELb0ELc84ELc76EKPKS1_KPS1_EviT_T0_PT6_S7_lSA_S7_lS8_PT7_S7_li.kd
    .uniform_work_group_size: 1
    .uses_dynamic_stack: false
    .vgpr_count:     52
    .vgpr_spill_count: 0
    .wavefront_size: 64
  - .args:
      - .offset:         0
        .size:           4
        .value_kind:     by_value
      - .offset:         4
        .size:           4
        .value_kind:     by_value
      - .offset:         8
        .size:           8
        .value_kind:     by_value
      - .address_space:  global
        .offset:         16
        .size:           8
        .value_kind:     global_buffer
      - .offset:         24
        .size:           4
        .value_kind:     by_value
      - .offset:         32
        .size:           8
        .value_kind:     by_value
      - .address_space:  global
        .offset:         40
        .size:           8
        .value_kind:     global_buffer
      - .offset:         48
        .size:           4
        .value_kind:     by_value
      - .offset:         56
        .size:           8
        .value_kind:     by_value
      - .offset:         64
        .size:           8
        .value_kind:     by_value
      - .address_space:  global
        .offset:         72
        .size:           8
        .value_kind:     global_buffer
      - .offset:         80
        .size:           4
        .value_kind:     by_value
      - .offset:         88
        .size:           8
        .value_kind:     by_value
      - .offset:         96
        .size:           4
        .value_kind:     by_value
    .group_segment_fixed_size: 4096
    .kernarg_segment_align: 8
    .kernarg_segment_size: 100
    .language:       OpenCL C
    .language_version:
      - 2
      - 0
    .max_flat_workgroup_size: 256
    .name:           _ZL32rocblas_syrkx_herkx_small_kernelIi19rocblas_complex_numIfELi16ELb1ELb0ELc67ELc76EKPKS1_KPS1_EviT_T0_PT6_S7_lSA_S7_lS8_PT7_S7_li
    .private_segment_fixed_size: 0
    .sgpr_count:     23
    .sgpr_spill_count: 0
    .symbol:         _ZL32rocblas_syrkx_herkx_small_kernelIi19rocblas_complex_numIfELi16ELb1ELb0ELc67ELc76EKPKS1_KPS1_EviT_T0_PT6_S7_lSA_S7_lS8_PT7_S7_li.kd
    .uniform_work_group_size: 1
    .uses_dynamic_stack: false
    .vgpr_count:     52
    .vgpr_spill_count: 0
    .wavefront_size: 64
  - .args:
      - .offset:         0
        .size:           4
        .value_kind:     by_value
      - .offset:         4
        .size:           4
        .value_kind:     by_value
      - .offset:         8
        .size:           8
        .value_kind:     by_value
      - .address_space:  global
        .offset:         16
        .size:           8
        .value_kind:     global_buffer
      - .offset:         24
        .size:           4
        .value_kind:     by_value
      - .offset:         32
        .size:           8
        .value_kind:     by_value
      - .address_space:  global
        .offset:         40
        .size:           8
        .value_kind:     global_buffer
      - .offset:         48
        .size:           4
        .value_kind:     by_value
      - .offset:         56
        .size:           8
        .value_kind:     by_value
      - .offset:         64
        .size:           8
        .value_kind:     by_value
      - .address_space:  global
        .offset:         72
        .size:           8
        .value_kind:     global_buffer
      - .offset:         80
        .size:           4
        .value_kind:     by_value
      - .offset:         88
        .size:           8
        .value_kind:     by_value
      - .offset:         96
        .size:           4
        .value_kind:     by_value
    .group_segment_fixed_size: 4096
    .kernarg_segment_align: 8
    .kernarg_segment_size: 100
    .language:       OpenCL C
    .language_version:
      - 2
      - 0
    .max_flat_workgroup_size: 256
    .name:           _ZL32rocblas_syrkx_herkx_small_kernelIi19rocblas_complex_numIfELi16ELb1ELb0ELc78ELc76EKPKS1_KPS1_EviT_T0_PT6_S7_lSA_S7_lS8_PT7_S7_li
    .private_segment_fixed_size: 0
    .sgpr_count:     26
    .sgpr_spill_count: 0
    .symbol:         _ZL32rocblas_syrkx_herkx_small_kernelIi19rocblas_complex_numIfELi16ELb1ELb0ELc78ELc76EKPKS1_KPS1_EviT_T0_PT6_S7_lSA_S7_lS8_PT7_S7_li.kd
    .uniform_work_group_size: 1
    .uses_dynamic_stack: false
    .vgpr_count:     59
    .vgpr_spill_count: 0
    .wavefront_size: 64
  - .args:
      - .offset:         0
        .size:           4
        .value_kind:     by_value
      - .offset:         4
        .size:           4
        .value_kind:     by_value
      - .offset:         8
        .size:           8
        .value_kind:     by_value
      - .address_space:  global
        .offset:         16
        .size:           8
        .value_kind:     global_buffer
      - .offset:         24
        .size:           4
        .value_kind:     by_value
      - .offset:         32
        .size:           8
        .value_kind:     by_value
      - .address_space:  global
        .offset:         40
        .size:           8
        .value_kind:     global_buffer
      - .offset:         48
        .size:           4
        .value_kind:     by_value
      - .offset:         56
        .size:           8
        .value_kind:     by_value
      - .offset:         64
        .size:           8
        .value_kind:     by_value
      - .address_space:  global
        .offset:         72
        .size:           8
        .value_kind:     global_buffer
      - .offset:         80
        .size:           4
        .value_kind:     by_value
      - .offset:         88
        .size:           8
        .value_kind:     by_value
      - .offset:         96
        .size:           4
        .value_kind:     by_value
    .group_segment_fixed_size: 4096
    .kernarg_segment_align: 8
    .kernarg_segment_size: 100
    .language:       OpenCL C
    .language_version:
      - 2
      - 0
    .max_flat_workgroup_size: 256
    .name:           _ZL32rocblas_syrkx_herkx_small_kernelIi19rocblas_complex_numIfELi16ELb1ELb0ELc84ELc85EKPKS1_KPS1_EviT_T0_PT6_S7_lSA_S7_lS8_PT7_S7_li
    .private_segment_fixed_size: 0
    .sgpr_count:     23
    .sgpr_spill_count: 0
    .symbol:         _ZL32rocblas_syrkx_herkx_small_kernelIi19rocblas_complex_numIfELi16ELb1ELb0ELc84ELc85EKPKS1_KPS1_EviT_T0_PT6_S7_lSA_S7_lS8_PT7_S7_li.kd
    .uniform_work_group_size: 1
    .uses_dynamic_stack: false
    .vgpr_count:     52
    .vgpr_spill_count: 0
    .wavefront_size: 64
  - .args:
      - .offset:         0
        .size:           4
        .value_kind:     by_value
      - .offset:         4
        .size:           4
        .value_kind:     by_value
      - .offset:         8
        .size:           8
        .value_kind:     by_value
      - .address_space:  global
        .offset:         16
        .size:           8
        .value_kind:     global_buffer
      - .offset:         24
        .size:           4
        .value_kind:     by_value
      - .offset:         32
        .size:           8
        .value_kind:     by_value
      - .address_space:  global
        .offset:         40
        .size:           8
        .value_kind:     global_buffer
      - .offset:         48
        .size:           4
        .value_kind:     by_value
      - .offset:         56
        .size:           8
        .value_kind:     by_value
      - .offset:         64
        .size:           8
        .value_kind:     by_value
      - .address_space:  global
        .offset:         72
        .size:           8
        .value_kind:     global_buffer
      - .offset:         80
        .size:           4
        .value_kind:     by_value
      - .offset:         88
        .size:           8
        .value_kind:     by_value
      - .offset:         96
        .size:           4
        .value_kind:     by_value
    .group_segment_fixed_size: 4096
    .kernarg_segment_align: 8
    .kernarg_segment_size: 100
    .language:       OpenCL C
    .language_version:
      - 2
      - 0
    .max_flat_workgroup_size: 256
    .name:           _ZL32rocblas_syrkx_herkx_small_kernelIi19rocblas_complex_numIfELi16ELb1ELb0ELc67ELc85EKPKS1_KPS1_EviT_T0_PT6_S7_lSA_S7_lS8_PT7_S7_li
    .private_segment_fixed_size: 0
    .sgpr_count:     23
    .sgpr_spill_count: 0
    .symbol:         _ZL32rocblas_syrkx_herkx_small_kernelIi19rocblas_complex_numIfELi16ELb1ELb0ELc67ELc85EKPKS1_KPS1_EviT_T0_PT6_S7_lSA_S7_lS8_PT7_S7_li.kd
    .uniform_work_group_size: 1
    .uses_dynamic_stack: false
    .vgpr_count:     52
    .vgpr_spill_count: 0
    .wavefront_size: 64
  - .args:
      - .offset:         0
        .size:           4
        .value_kind:     by_value
      - .offset:         4
        .size:           4
        .value_kind:     by_value
      - .offset:         8
        .size:           8
        .value_kind:     by_value
      - .address_space:  global
        .offset:         16
        .size:           8
        .value_kind:     global_buffer
      - .offset:         24
        .size:           4
        .value_kind:     by_value
      - .offset:         32
        .size:           8
        .value_kind:     by_value
      - .address_space:  global
        .offset:         40
        .size:           8
        .value_kind:     global_buffer
      - .offset:         48
        .size:           4
        .value_kind:     by_value
      - .offset:         56
        .size:           8
        .value_kind:     by_value
      - .offset:         64
        .size:           8
        .value_kind:     by_value
      - .address_space:  global
        .offset:         72
        .size:           8
        .value_kind:     global_buffer
      - .offset:         80
        .size:           4
        .value_kind:     by_value
      - .offset:         88
        .size:           8
        .value_kind:     by_value
      - .offset:         96
        .size:           4
        .value_kind:     by_value
    .group_segment_fixed_size: 4096
    .kernarg_segment_align: 8
    .kernarg_segment_size: 100
    .language:       OpenCL C
    .language_version:
      - 2
      - 0
    .max_flat_workgroup_size: 256
    .name:           _ZL32rocblas_syrkx_herkx_small_kernelIi19rocblas_complex_numIfELi16ELb1ELb0ELc78ELc85EKPKS1_KPS1_EviT_T0_PT6_S7_lSA_S7_lS8_PT7_S7_li
    .private_segment_fixed_size: 0
    .sgpr_count:     26
    .sgpr_spill_count: 0
    .symbol:         _ZL32rocblas_syrkx_herkx_small_kernelIi19rocblas_complex_numIfELi16ELb1ELb0ELc78ELc85EKPKS1_KPS1_EviT_T0_PT6_S7_lSA_S7_lS8_PT7_S7_li.kd
    .uniform_work_group_size: 1
    .uses_dynamic_stack: false
    .vgpr_count:     59
    .vgpr_spill_count: 0
    .wavefront_size: 64
  - .args:
      - .offset:         0
        .size:           4
        .value_kind:     by_value
      - .offset:         4
        .size:           4
        .value_kind:     by_value
      - .offset:         8
        .size:           8
        .value_kind:     by_value
      - .address_space:  global
        .offset:         16
        .size:           8
        .value_kind:     global_buffer
      - .offset:         24
        .size:           4
        .value_kind:     by_value
      - .offset:         32
        .size:           8
        .value_kind:     by_value
      - .address_space:  global
        .offset:         40
        .size:           8
        .value_kind:     global_buffer
      - .offset:         48
        .size:           4
        .value_kind:     by_value
      - .offset:         56
        .size:           8
        .value_kind:     by_value
      - .offset:         64
        .size:           8
        .value_kind:     by_value
      - .address_space:  global
        .offset:         72
        .size:           8
        .value_kind:     global_buffer
      - .offset:         80
        .size:           4
        .value_kind:     by_value
      - .offset:         88
        .size:           8
        .value_kind:     by_value
      - .offset:         96
        .size:           4
        .value_kind:     by_value
    .group_segment_fixed_size: 4096
    .kernarg_segment_align: 8
    .kernarg_segment_size: 100
    .language:       OpenCL C
    .language_version:
      - 2
      - 0
    .max_flat_workgroup_size: 256
    .name:           _ZL32rocblas_syrkx_herkx_small_kernelIi19rocblas_complex_numIfELi16ELb0ELb0ELc84ELc76EKPKS1_KPS1_EviT_T0_PT6_S7_lSA_S7_lS8_PT7_S7_li
    .private_segment_fixed_size: 0
    .sgpr_count:     27
    .sgpr_spill_count: 0
    .symbol:         _ZL32rocblas_syrkx_herkx_small_kernelIi19rocblas_complex_numIfELi16ELb0ELb0ELc84ELc76EKPKS1_KPS1_EviT_T0_PT6_S7_lSA_S7_lS8_PT7_S7_li.kd
    .uniform_work_group_size: 1
    .uses_dynamic_stack: false
    .vgpr_count:     52
    .vgpr_spill_count: 0
    .wavefront_size: 64
  - .args:
      - .offset:         0
        .size:           4
        .value_kind:     by_value
      - .offset:         4
        .size:           4
        .value_kind:     by_value
      - .offset:         8
        .size:           8
        .value_kind:     by_value
      - .address_space:  global
        .offset:         16
        .size:           8
        .value_kind:     global_buffer
      - .offset:         24
        .size:           4
        .value_kind:     by_value
      - .offset:         32
        .size:           8
        .value_kind:     by_value
      - .address_space:  global
        .offset:         40
        .size:           8
        .value_kind:     global_buffer
      - .offset:         48
        .size:           4
        .value_kind:     by_value
      - .offset:         56
        .size:           8
        .value_kind:     by_value
      - .offset:         64
        .size:           8
        .value_kind:     by_value
      - .address_space:  global
        .offset:         72
        .size:           8
        .value_kind:     global_buffer
      - .offset:         80
        .size:           4
        .value_kind:     by_value
      - .offset:         88
        .size:           8
        .value_kind:     by_value
      - .offset:         96
        .size:           4
        .value_kind:     by_value
    .group_segment_fixed_size: 4096
    .kernarg_segment_align: 8
    .kernarg_segment_size: 100
    .language:       OpenCL C
    .language_version:
      - 2
      - 0
    .max_flat_workgroup_size: 256
    .name:           _ZL32rocblas_syrkx_herkx_small_kernelIi19rocblas_complex_numIfELi16ELb0ELb0ELc67ELc76EKPKS1_KPS1_EviT_T0_PT6_S7_lSA_S7_lS8_PT7_S7_li
    .private_segment_fixed_size: 0
    .sgpr_count:     27
    .sgpr_spill_count: 0
    .symbol:         _ZL32rocblas_syrkx_herkx_small_kernelIi19rocblas_complex_numIfELi16ELb0ELb0ELc67ELc76EKPKS1_KPS1_EviT_T0_PT6_S7_lSA_S7_lS8_PT7_S7_li.kd
    .uniform_work_group_size: 1
    .uses_dynamic_stack: false
    .vgpr_count:     52
    .vgpr_spill_count: 0
    .wavefront_size: 64
  - .args:
      - .offset:         0
        .size:           4
        .value_kind:     by_value
      - .offset:         4
        .size:           4
        .value_kind:     by_value
      - .offset:         8
        .size:           8
        .value_kind:     by_value
      - .address_space:  global
        .offset:         16
        .size:           8
        .value_kind:     global_buffer
      - .offset:         24
        .size:           4
        .value_kind:     by_value
      - .offset:         32
        .size:           8
        .value_kind:     by_value
      - .address_space:  global
        .offset:         40
        .size:           8
        .value_kind:     global_buffer
      - .offset:         48
        .size:           4
        .value_kind:     by_value
      - .offset:         56
        .size:           8
        .value_kind:     by_value
      - .offset:         64
        .size:           8
        .value_kind:     by_value
      - .address_space:  global
        .offset:         72
        .size:           8
        .value_kind:     global_buffer
      - .offset:         80
        .size:           4
        .value_kind:     by_value
      - .offset:         88
        .size:           8
        .value_kind:     by_value
      - .offset:         96
        .size:           4
        .value_kind:     by_value
    .group_segment_fixed_size: 4096
    .kernarg_segment_align: 8
    .kernarg_segment_size: 100
    .language:       OpenCL C
    .language_version:
      - 2
      - 0
    .max_flat_workgroup_size: 256
    .name:           _ZL32rocblas_syrkx_herkx_small_kernelIi19rocblas_complex_numIfELi16ELb0ELb0ELc78ELc76EKPKS1_KPS1_EviT_T0_PT6_S7_lSA_S7_lS8_PT7_S7_li
    .private_segment_fixed_size: 0
    .sgpr_count:     28
    .sgpr_spill_count: 0
    .symbol:         _ZL32rocblas_syrkx_herkx_small_kernelIi19rocblas_complex_numIfELi16ELb0ELb0ELc78ELc76EKPKS1_KPS1_EviT_T0_PT6_S7_lSA_S7_lS8_PT7_S7_li.kd
    .uniform_work_group_size: 1
    .uses_dynamic_stack: false
    .vgpr_count:     59
    .vgpr_spill_count: 0
    .wavefront_size: 64
  - .args:
      - .offset:         0
        .size:           4
        .value_kind:     by_value
      - .offset:         4
        .size:           4
        .value_kind:     by_value
      - .offset:         8
        .size:           8
        .value_kind:     by_value
      - .address_space:  global
        .offset:         16
        .size:           8
        .value_kind:     global_buffer
      - .offset:         24
        .size:           4
        .value_kind:     by_value
      - .offset:         32
        .size:           8
        .value_kind:     by_value
      - .address_space:  global
        .offset:         40
        .size:           8
        .value_kind:     global_buffer
      - .offset:         48
        .size:           4
        .value_kind:     by_value
      - .offset:         56
        .size:           8
        .value_kind:     by_value
      - .offset:         64
        .size:           8
        .value_kind:     by_value
      - .address_space:  global
        .offset:         72
        .size:           8
        .value_kind:     global_buffer
      - .offset:         80
        .size:           4
        .value_kind:     by_value
      - .offset:         88
        .size:           8
        .value_kind:     by_value
      - .offset:         96
        .size:           4
        .value_kind:     by_value
    .group_segment_fixed_size: 4096
    .kernarg_segment_align: 8
    .kernarg_segment_size: 100
    .language:       OpenCL C
    .language_version:
      - 2
      - 0
    .max_flat_workgroup_size: 256
    .name:           _ZL32rocblas_syrkx_herkx_small_kernelIi19rocblas_complex_numIfELi16ELb0ELb0ELc84ELc85EKPKS1_KPS1_EviT_T0_PT6_S7_lSA_S7_lS8_PT7_S7_li
    .private_segment_fixed_size: 0
    .sgpr_count:     27
    .sgpr_spill_count: 0
    .symbol:         _ZL32rocblas_syrkx_herkx_small_kernelIi19rocblas_complex_numIfELi16ELb0ELb0ELc84ELc85EKPKS1_KPS1_EviT_T0_PT6_S7_lSA_S7_lS8_PT7_S7_li.kd
    .uniform_work_group_size: 1
    .uses_dynamic_stack: false
    .vgpr_count:     52
    .vgpr_spill_count: 0
    .wavefront_size: 64
  - .args:
      - .offset:         0
        .size:           4
        .value_kind:     by_value
      - .offset:         4
        .size:           4
        .value_kind:     by_value
      - .offset:         8
        .size:           8
        .value_kind:     by_value
      - .address_space:  global
        .offset:         16
        .size:           8
        .value_kind:     global_buffer
      - .offset:         24
        .size:           4
        .value_kind:     by_value
      - .offset:         32
        .size:           8
        .value_kind:     by_value
      - .address_space:  global
        .offset:         40
        .size:           8
        .value_kind:     global_buffer
      - .offset:         48
        .size:           4
        .value_kind:     by_value
      - .offset:         56
        .size:           8
        .value_kind:     by_value
      - .offset:         64
        .size:           8
        .value_kind:     by_value
      - .address_space:  global
        .offset:         72
        .size:           8
        .value_kind:     global_buffer
      - .offset:         80
        .size:           4
        .value_kind:     by_value
      - .offset:         88
        .size:           8
        .value_kind:     by_value
      - .offset:         96
        .size:           4
        .value_kind:     by_value
    .group_segment_fixed_size: 4096
    .kernarg_segment_align: 8
    .kernarg_segment_size: 100
    .language:       OpenCL C
    .language_version:
      - 2
      - 0
    .max_flat_workgroup_size: 256
    .name:           _ZL32rocblas_syrkx_herkx_small_kernelIi19rocblas_complex_numIfELi16ELb0ELb0ELc67ELc85EKPKS1_KPS1_EviT_T0_PT6_S7_lSA_S7_lS8_PT7_S7_li
    .private_segment_fixed_size: 0
    .sgpr_count:     27
    .sgpr_spill_count: 0
    .symbol:         _ZL32rocblas_syrkx_herkx_small_kernelIi19rocblas_complex_numIfELi16ELb0ELb0ELc67ELc85EKPKS1_KPS1_EviT_T0_PT6_S7_lSA_S7_lS8_PT7_S7_li.kd
    .uniform_work_group_size: 1
    .uses_dynamic_stack: false
    .vgpr_count:     52
    .vgpr_spill_count: 0
    .wavefront_size: 64
  - .args:
      - .offset:         0
        .size:           4
        .value_kind:     by_value
      - .offset:         4
        .size:           4
        .value_kind:     by_value
      - .offset:         8
        .size:           8
        .value_kind:     by_value
      - .address_space:  global
        .offset:         16
        .size:           8
        .value_kind:     global_buffer
      - .offset:         24
        .size:           4
        .value_kind:     by_value
      - .offset:         32
        .size:           8
        .value_kind:     by_value
      - .address_space:  global
        .offset:         40
        .size:           8
        .value_kind:     global_buffer
      - .offset:         48
        .size:           4
        .value_kind:     by_value
      - .offset:         56
        .size:           8
        .value_kind:     by_value
      - .offset:         64
        .size:           8
        .value_kind:     by_value
      - .address_space:  global
        .offset:         72
        .size:           8
        .value_kind:     global_buffer
      - .offset:         80
        .size:           4
        .value_kind:     by_value
      - .offset:         88
        .size:           8
        .value_kind:     by_value
      - .offset:         96
        .size:           4
        .value_kind:     by_value
    .group_segment_fixed_size: 4096
    .kernarg_segment_align: 8
    .kernarg_segment_size: 100
    .language:       OpenCL C
    .language_version:
      - 2
      - 0
    .max_flat_workgroup_size: 256
    .name:           _ZL32rocblas_syrkx_herkx_small_kernelIi19rocblas_complex_numIfELi16ELb0ELb0ELc78ELc85EKPKS1_KPS1_EviT_T0_PT6_S7_lSA_S7_lS8_PT7_S7_li
    .private_segment_fixed_size: 0
    .sgpr_count:     28
    .sgpr_spill_count: 0
    .symbol:         _ZL32rocblas_syrkx_herkx_small_kernelIi19rocblas_complex_numIfELi16ELb0ELb0ELc78ELc85EKPKS1_KPS1_EviT_T0_PT6_S7_lSA_S7_lS8_PT7_S7_li.kd
    .uniform_work_group_size: 1
    .uses_dynamic_stack: false
    .vgpr_count:     59
    .vgpr_spill_count: 0
    .wavefront_size: 64
  - .args:
      - .offset:         0
        .size:           4
        .value_kind:     by_value
      - .offset:         4
        .size:           4
        .value_kind:     by_value
      - .offset:         8
        .size:           8
        .value_kind:     by_value
      - .address_space:  global
        .offset:         16
        .size:           8
        .value_kind:     global_buffer
      - .offset:         24
        .size:           4
        .value_kind:     by_value
      - .offset:         32
        .size:           8
        .value_kind:     by_value
      - .address_space:  global
        .offset:         40
        .size:           8
        .value_kind:     global_buffer
      - .offset:         48
        .size:           4
        .value_kind:     by_value
      - .offset:         56
        .size:           8
        .value_kind:     by_value
      - .offset:         64
        .size:           8
        .value_kind:     by_value
      - .address_space:  global
        .offset:         72
        .size:           8
        .value_kind:     global_buffer
      - .offset:         80
        .size:           4
        .value_kind:     by_value
      - .offset:         88
        .size:           8
        .value_kind:     by_value
      - .offset:         96
        .size:           4
        .value_kind:     by_value
    .group_segment_fixed_size: 4096
    .kernarg_segment_align: 8
    .kernarg_segment_size: 100
    .language:       OpenCL C
    .language_version:
      - 2
      - 0
    .max_flat_workgroup_size: 256
    .name:           _ZL34rocblas_syrkx_herkx_general_kernelIi19rocblas_complex_numIfELi16ELi32ELi8ELb1ELb0ELc84ELc76EKPKS1_KPS1_EviT_T0_PT8_S7_lSA_S7_lS8_PT9_S7_li
    .private_segment_fixed_size: 0
    .sgpr_count:     25
    .sgpr_spill_count: 0
    .symbol:         _ZL34rocblas_syrkx_herkx_general_kernelIi19rocblas_complex_numIfELi16ELi32ELi8ELb1ELb0ELc84ELc76EKPKS1_KPS1_EviT_T0_PT8_S7_lSA_S7_lS8_PT9_S7_li.kd
    .uniform_work_group_size: 1
    .uses_dynamic_stack: false
    .vgpr_count:     48
    .vgpr_spill_count: 0
    .wavefront_size: 64
  - .args:
      - .offset:         0
        .size:           4
        .value_kind:     by_value
      - .offset:         4
        .size:           4
        .value_kind:     by_value
      - .offset:         8
        .size:           8
        .value_kind:     by_value
      - .address_space:  global
        .offset:         16
        .size:           8
        .value_kind:     global_buffer
      - .offset:         24
        .size:           4
        .value_kind:     by_value
      - .offset:         32
        .size:           8
        .value_kind:     by_value
      - .address_space:  global
        .offset:         40
        .size:           8
        .value_kind:     global_buffer
      - .offset:         48
        .size:           4
        .value_kind:     by_value
      - .offset:         56
        .size:           8
        .value_kind:     by_value
      - .offset:         64
        .size:           8
        .value_kind:     by_value
      - .address_space:  global
        .offset:         72
        .size:           8
        .value_kind:     global_buffer
      - .offset:         80
        .size:           4
        .value_kind:     by_value
      - .offset:         88
        .size:           8
        .value_kind:     by_value
      - .offset:         96
        .size:           4
        .value_kind:     by_value
    .group_segment_fixed_size: 4096
    .kernarg_segment_align: 8
    .kernarg_segment_size: 100
    .language:       OpenCL C
    .language_version:
      - 2
      - 0
    .max_flat_workgroup_size: 256
    .name:           _ZL34rocblas_syrkx_herkx_general_kernelIi19rocblas_complex_numIfELi16ELi32ELi8ELb1ELb0ELc67ELc76EKPKS1_KPS1_EviT_T0_PT8_S7_lSA_S7_lS8_PT9_S7_li
    .private_segment_fixed_size: 0
    .sgpr_count:     25
    .sgpr_spill_count: 0
    .symbol:         _ZL34rocblas_syrkx_herkx_general_kernelIi19rocblas_complex_numIfELi16ELi32ELi8ELb1ELb0ELc67ELc76EKPKS1_KPS1_EviT_T0_PT8_S7_lSA_S7_lS8_PT9_S7_li.kd
    .uniform_work_group_size: 1
    .uses_dynamic_stack: false
    .vgpr_count:     48
    .vgpr_spill_count: 0
    .wavefront_size: 64
  - .args:
      - .offset:         0
        .size:           4
        .value_kind:     by_value
      - .offset:         4
        .size:           4
        .value_kind:     by_value
      - .offset:         8
        .size:           8
        .value_kind:     by_value
      - .address_space:  global
        .offset:         16
        .size:           8
        .value_kind:     global_buffer
      - .offset:         24
        .size:           4
        .value_kind:     by_value
      - .offset:         32
        .size:           8
        .value_kind:     by_value
      - .address_space:  global
        .offset:         40
        .size:           8
        .value_kind:     global_buffer
      - .offset:         48
        .size:           4
        .value_kind:     by_value
      - .offset:         56
        .size:           8
        .value_kind:     by_value
      - .offset:         64
        .size:           8
        .value_kind:     by_value
      - .address_space:  global
        .offset:         72
        .size:           8
        .value_kind:     global_buffer
      - .offset:         80
        .size:           4
        .value_kind:     by_value
      - .offset:         88
        .size:           8
        .value_kind:     by_value
      - .offset:         96
        .size:           4
        .value_kind:     by_value
    .group_segment_fixed_size: 4096
    .kernarg_segment_align: 8
    .kernarg_segment_size: 100
    .language:       OpenCL C
    .language_version:
      - 2
      - 0
    .max_flat_workgroup_size: 256
    .name:           _ZL34rocblas_syrkx_herkx_general_kernelIi19rocblas_complex_numIfELi16ELi32ELi8ELb1ELb0ELc78ELc76EKPKS1_KPS1_EviT_T0_PT8_S7_lSA_S7_lS8_PT9_S7_li
    .private_segment_fixed_size: 0
    .sgpr_count:     28
    .sgpr_spill_count: 0
    .symbol:         _ZL34rocblas_syrkx_herkx_general_kernelIi19rocblas_complex_numIfELi16ELi32ELi8ELb1ELb0ELc78ELc76EKPKS1_KPS1_EviT_T0_PT8_S7_lSA_S7_lS8_PT9_S7_li.kd
    .uniform_work_group_size: 1
    .uses_dynamic_stack: false
    .vgpr_count:     53
    .vgpr_spill_count: 0
    .wavefront_size: 64
  - .args:
      - .offset:         0
        .size:           4
        .value_kind:     by_value
      - .offset:         4
        .size:           4
        .value_kind:     by_value
      - .offset:         8
        .size:           8
        .value_kind:     by_value
      - .address_space:  global
        .offset:         16
        .size:           8
        .value_kind:     global_buffer
      - .offset:         24
        .size:           4
        .value_kind:     by_value
      - .offset:         32
        .size:           8
        .value_kind:     by_value
      - .address_space:  global
        .offset:         40
        .size:           8
        .value_kind:     global_buffer
      - .offset:         48
        .size:           4
        .value_kind:     by_value
      - .offset:         56
        .size:           8
        .value_kind:     by_value
      - .offset:         64
        .size:           8
        .value_kind:     by_value
      - .address_space:  global
        .offset:         72
        .size:           8
        .value_kind:     global_buffer
      - .offset:         80
        .size:           4
        .value_kind:     by_value
      - .offset:         88
        .size:           8
        .value_kind:     by_value
      - .offset:         96
        .size:           4
        .value_kind:     by_value
    .group_segment_fixed_size: 4096
    .kernarg_segment_align: 8
    .kernarg_segment_size: 100
    .language:       OpenCL C
    .language_version:
      - 2
      - 0
    .max_flat_workgroup_size: 256
    .name:           _ZL34rocblas_syrkx_herkx_general_kernelIi19rocblas_complex_numIfELi16ELi32ELi8ELb1ELb0ELc84ELc85EKPKS1_KPS1_EviT_T0_PT8_S7_lSA_S7_lS8_PT9_S7_li
    .private_segment_fixed_size: 0
    .sgpr_count:     25
    .sgpr_spill_count: 0
    .symbol:         _ZL34rocblas_syrkx_herkx_general_kernelIi19rocblas_complex_numIfELi16ELi32ELi8ELb1ELb0ELc84ELc85EKPKS1_KPS1_EviT_T0_PT8_S7_lSA_S7_lS8_PT9_S7_li.kd
    .uniform_work_group_size: 1
    .uses_dynamic_stack: false
    .vgpr_count:     48
    .vgpr_spill_count: 0
    .wavefront_size: 64
  - .args:
      - .offset:         0
        .size:           4
        .value_kind:     by_value
      - .offset:         4
        .size:           4
        .value_kind:     by_value
      - .offset:         8
        .size:           8
        .value_kind:     by_value
      - .address_space:  global
        .offset:         16
        .size:           8
        .value_kind:     global_buffer
      - .offset:         24
        .size:           4
        .value_kind:     by_value
      - .offset:         32
        .size:           8
        .value_kind:     by_value
      - .address_space:  global
        .offset:         40
        .size:           8
        .value_kind:     global_buffer
      - .offset:         48
        .size:           4
        .value_kind:     by_value
      - .offset:         56
        .size:           8
        .value_kind:     by_value
      - .offset:         64
        .size:           8
        .value_kind:     by_value
      - .address_space:  global
        .offset:         72
        .size:           8
        .value_kind:     global_buffer
      - .offset:         80
        .size:           4
        .value_kind:     by_value
      - .offset:         88
        .size:           8
        .value_kind:     by_value
      - .offset:         96
        .size:           4
        .value_kind:     by_value
    .group_segment_fixed_size: 4096
    .kernarg_segment_align: 8
    .kernarg_segment_size: 100
    .language:       OpenCL C
    .language_version:
      - 2
      - 0
    .max_flat_workgroup_size: 256
    .name:           _ZL34rocblas_syrkx_herkx_general_kernelIi19rocblas_complex_numIfELi16ELi32ELi8ELb1ELb0ELc67ELc85EKPKS1_KPS1_EviT_T0_PT8_S7_lSA_S7_lS8_PT9_S7_li
    .private_segment_fixed_size: 0
    .sgpr_count:     25
    .sgpr_spill_count: 0
    .symbol:         _ZL34rocblas_syrkx_herkx_general_kernelIi19rocblas_complex_numIfELi16ELi32ELi8ELb1ELb0ELc67ELc85EKPKS1_KPS1_EviT_T0_PT8_S7_lSA_S7_lS8_PT9_S7_li.kd
    .uniform_work_group_size: 1
    .uses_dynamic_stack: false
    .vgpr_count:     48
    .vgpr_spill_count: 0
    .wavefront_size: 64
  - .args:
      - .offset:         0
        .size:           4
        .value_kind:     by_value
      - .offset:         4
        .size:           4
        .value_kind:     by_value
      - .offset:         8
        .size:           8
        .value_kind:     by_value
      - .address_space:  global
        .offset:         16
        .size:           8
        .value_kind:     global_buffer
      - .offset:         24
        .size:           4
        .value_kind:     by_value
      - .offset:         32
        .size:           8
        .value_kind:     by_value
      - .address_space:  global
        .offset:         40
        .size:           8
        .value_kind:     global_buffer
      - .offset:         48
        .size:           4
        .value_kind:     by_value
      - .offset:         56
        .size:           8
        .value_kind:     by_value
      - .offset:         64
        .size:           8
        .value_kind:     by_value
      - .address_space:  global
        .offset:         72
        .size:           8
        .value_kind:     global_buffer
      - .offset:         80
        .size:           4
        .value_kind:     by_value
      - .offset:         88
        .size:           8
        .value_kind:     by_value
      - .offset:         96
        .size:           4
        .value_kind:     by_value
    .group_segment_fixed_size: 4096
    .kernarg_segment_align: 8
    .kernarg_segment_size: 100
    .language:       OpenCL C
    .language_version:
      - 2
      - 0
    .max_flat_workgroup_size: 256
    .name:           _ZL34rocblas_syrkx_herkx_general_kernelIi19rocblas_complex_numIfELi16ELi32ELi8ELb1ELb0ELc78ELc85EKPKS1_KPS1_EviT_T0_PT8_S7_lSA_S7_lS8_PT9_S7_li
    .private_segment_fixed_size: 0
    .sgpr_count:     28
    .sgpr_spill_count: 0
    .symbol:         _ZL34rocblas_syrkx_herkx_general_kernelIi19rocblas_complex_numIfELi16ELi32ELi8ELb1ELb0ELc78ELc85EKPKS1_KPS1_EviT_T0_PT8_S7_lSA_S7_lS8_PT9_S7_li.kd
    .uniform_work_group_size: 1
    .uses_dynamic_stack: false
    .vgpr_count:     53
    .vgpr_spill_count: 0
    .wavefront_size: 64
  - .args:
      - .offset:         0
        .size:           4
        .value_kind:     by_value
      - .offset:         4
        .size:           4
        .value_kind:     by_value
      - .offset:         8
        .size:           8
        .value_kind:     by_value
      - .address_space:  global
        .offset:         16
        .size:           8
        .value_kind:     global_buffer
      - .offset:         24
        .size:           4
        .value_kind:     by_value
      - .offset:         32
        .size:           8
        .value_kind:     by_value
      - .address_space:  global
        .offset:         40
        .size:           8
        .value_kind:     global_buffer
      - .offset:         48
        .size:           4
        .value_kind:     by_value
      - .offset:         56
        .size:           8
        .value_kind:     by_value
      - .offset:         64
        .size:           8
        .value_kind:     by_value
      - .address_space:  global
        .offset:         72
        .size:           8
        .value_kind:     global_buffer
      - .offset:         80
        .size:           4
        .value_kind:     by_value
      - .offset:         88
        .size:           8
        .value_kind:     by_value
      - .offset:         96
        .size:           4
        .value_kind:     by_value
    .group_segment_fixed_size: 4096
    .kernarg_segment_align: 8
    .kernarg_segment_size: 100
    .language:       OpenCL C
    .language_version:
      - 2
      - 0
    .max_flat_workgroup_size: 256
    .name:           _ZL34rocblas_syrkx_herkx_general_kernelIi19rocblas_complex_numIfELi16ELi32ELi8ELb0ELb0ELc84ELc76EKPKS1_KPS1_EviT_T0_PT8_S7_lSA_S7_lS8_PT9_S7_li
    .private_segment_fixed_size: 0
    .sgpr_count:     27
    .sgpr_spill_count: 0
    .symbol:         _ZL34rocblas_syrkx_herkx_general_kernelIi19rocblas_complex_numIfELi16ELi32ELi8ELb0ELb0ELc84ELc76EKPKS1_KPS1_EviT_T0_PT8_S7_lSA_S7_lS8_PT9_S7_li.kd
    .uniform_work_group_size: 1
    .uses_dynamic_stack: false
    .vgpr_count:     48
    .vgpr_spill_count: 0
    .wavefront_size: 64
  - .args:
      - .offset:         0
        .size:           4
        .value_kind:     by_value
      - .offset:         4
        .size:           4
        .value_kind:     by_value
      - .offset:         8
        .size:           8
        .value_kind:     by_value
      - .address_space:  global
        .offset:         16
        .size:           8
        .value_kind:     global_buffer
      - .offset:         24
        .size:           4
        .value_kind:     by_value
      - .offset:         32
        .size:           8
        .value_kind:     by_value
      - .address_space:  global
        .offset:         40
        .size:           8
        .value_kind:     global_buffer
      - .offset:         48
        .size:           4
        .value_kind:     by_value
      - .offset:         56
        .size:           8
        .value_kind:     by_value
      - .offset:         64
        .size:           8
        .value_kind:     by_value
      - .address_space:  global
        .offset:         72
        .size:           8
        .value_kind:     global_buffer
      - .offset:         80
        .size:           4
        .value_kind:     by_value
      - .offset:         88
        .size:           8
        .value_kind:     by_value
      - .offset:         96
        .size:           4
        .value_kind:     by_value
    .group_segment_fixed_size: 4096
    .kernarg_segment_align: 8
    .kernarg_segment_size: 100
    .language:       OpenCL C
    .language_version:
      - 2
      - 0
    .max_flat_workgroup_size: 256
    .name:           _ZL34rocblas_syrkx_herkx_general_kernelIi19rocblas_complex_numIfELi16ELi32ELi8ELb0ELb0ELc67ELc76EKPKS1_KPS1_EviT_T0_PT8_S7_lSA_S7_lS8_PT9_S7_li
    .private_segment_fixed_size: 0
    .sgpr_count:     27
    .sgpr_spill_count: 0
    .symbol:         _ZL34rocblas_syrkx_herkx_general_kernelIi19rocblas_complex_numIfELi16ELi32ELi8ELb0ELb0ELc67ELc76EKPKS1_KPS1_EviT_T0_PT8_S7_lSA_S7_lS8_PT9_S7_li.kd
    .uniform_work_group_size: 1
    .uses_dynamic_stack: false
    .vgpr_count:     48
    .vgpr_spill_count: 0
    .wavefront_size: 64
  - .args:
      - .offset:         0
        .size:           4
        .value_kind:     by_value
      - .offset:         4
        .size:           4
        .value_kind:     by_value
      - .offset:         8
        .size:           8
        .value_kind:     by_value
      - .address_space:  global
        .offset:         16
        .size:           8
        .value_kind:     global_buffer
      - .offset:         24
        .size:           4
        .value_kind:     by_value
      - .offset:         32
        .size:           8
        .value_kind:     by_value
      - .address_space:  global
        .offset:         40
        .size:           8
        .value_kind:     global_buffer
      - .offset:         48
        .size:           4
        .value_kind:     by_value
      - .offset:         56
        .size:           8
        .value_kind:     by_value
      - .offset:         64
        .size:           8
        .value_kind:     by_value
      - .address_space:  global
        .offset:         72
        .size:           8
        .value_kind:     global_buffer
      - .offset:         80
        .size:           4
        .value_kind:     by_value
      - .offset:         88
        .size:           8
        .value_kind:     by_value
      - .offset:         96
        .size:           4
        .value_kind:     by_value
    .group_segment_fixed_size: 4096
    .kernarg_segment_align: 8
    .kernarg_segment_size: 100
    .language:       OpenCL C
    .language_version:
      - 2
      - 0
    .max_flat_workgroup_size: 256
    .name:           _ZL34rocblas_syrkx_herkx_general_kernelIi19rocblas_complex_numIfELi16ELi32ELi8ELb0ELb0ELc78ELc76EKPKS1_KPS1_EviT_T0_PT8_S7_lSA_S7_lS8_PT9_S7_li
    .private_segment_fixed_size: 0
    .sgpr_count:     30
    .sgpr_spill_count: 0
    .symbol:         _ZL34rocblas_syrkx_herkx_general_kernelIi19rocblas_complex_numIfELi16ELi32ELi8ELb0ELb0ELc78ELc76EKPKS1_KPS1_EviT_T0_PT8_S7_lSA_S7_lS8_PT9_S7_li.kd
    .uniform_work_group_size: 1
    .uses_dynamic_stack: false
    .vgpr_count:     53
    .vgpr_spill_count: 0
    .wavefront_size: 64
  - .args:
      - .offset:         0
        .size:           4
        .value_kind:     by_value
      - .offset:         4
        .size:           4
        .value_kind:     by_value
      - .offset:         8
        .size:           8
        .value_kind:     by_value
      - .address_space:  global
        .offset:         16
        .size:           8
        .value_kind:     global_buffer
      - .offset:         24
        .size:           4
        .value_kind:     by_value
      - .offset:         32
        .size:           8
        .value_kind:     by_value
      - .address_space:  global
        .offset:         40
        .size:           8
        .value_kind:     global_buffer
      - .offset:         48
        .size:           4
        .value_kind:     by_value
      - .offset:         56
        .size:           8
        .value_kind:     by_value
      - .offset:         64
        .size:           8
        .value_kind:     by_value
      - .address_space:  global
        .offset:         72
        .size:           8
        .value_kind:     global_buffer
      - .offset:         80
        .size:           4
        .value_kind:     by_value
      - .offset:         88
        .size:           8
        .value_kind:     by_value
      - .offset:         96
        .size:           4
        .value_kind:     by_value
    .group_segment_fixed_size: 4096
    .kernarg_segment_align: 8
    .kernarg_segment_size: 100
    .language:       OpenCL C
    .language_version:
      - 2
      - 0
    .max_flat_workgroup_size: 256
    .name:           _ZL34rocblas_syrkx_herkx_general_kernelIi19rocblas_complex_numIfELi16ELi32ELi8ELb0ELb0ELc84ELc85EKPKS1_KPS1_EviT_T0_PT8_S7_lSA_S7_lS8_PT9_S7_li
    .private_segment_fixed_size: 0
    .sgpr_count:     27
    .sgpr_spill_count: 0
    .symbol:         _ZL34rocblas_syrkx_herkx_general_kernelIi19rocblas_complex_numIfELi16ELi32ELi8ELb0ELb0ELc84ELc85EKPKS1_KPS1_EviT_T0_PT8_S7_lSA_S7_lS8_PT9_S7_li.kd
    .uniform_work_group_size: 1
    .uses_dynamic_stack: false
    .vgpr_count:     48
    .vgpr_spill_count: 0
    .wavefront_size: 64
  - .args:
      - .offset:         0
        .size:           4
        .value_kind:     by_value
      - .offset:         4
        .size:           4
        .value_kind:     by_value
      - .offset:         8
        .size:           8
        .value_kind:     by_value
      - .address_space:  global
        .offset:         16
        .size:           8
        .value_kind:     global_buffer
      - .offset:         24
        .size:           4
        .value_kind:     by_value
      - .offset:         32
        .size:           8
        .value_kind:     by_value
      - .address_space:  global
        .offset:         40
        .size:           8
        .value_kind:     global_buffer
      - .offset:         48
        .size:           4
        .value_kind:     by_value
      - .offset:         56
        .size:           8
        .value_kind:     by_value
      - .offset:         64
        .size:           8
        .value_kind:     by_value
      - .address_space:  global
        .offset:         72
        .size:           8
        .value_kind:     global_buffer
      - .offset:         80
        .size:           4
        .value_kind:     by_value
      - .offset:         88
        .size:           8
        .value_kind:     by_value
      - .offset:         96
        .size:           4
        .value_kind:     by_value
    .group_segment_fixed_size: 4096
    .kernarg_segment_align: 8
    .kernarg_segment_size: 100
    .language:       OpenCL C
    .language_version:
      - 2
      - 0
    .max_flat_workgroup_size: 256
    .name:           _ZL34rocblas_syrkx_herkx_general_kernelIi19rocblas_complex_numIfELi16ELi32ELi8ELb0ELb0ELc67ELc85EKPKS1_KPS1_EviT_T0_PT8_S7_lSA_S7_lS8_PT9_S7_li
    .private_segment_fixed_size: 0
    .sgpr_count:     27
    .sgpr_spill_count: 0
    .symbol:         _ZL34rocblas_syrkx_herkx_general_kernelIi19rocblas_complex_numIfELi16ELi32ELi8ELb0ELb0ELc67ELc85EKPKS1_KPS1_EviT_T0_PT8_S7_lSA_S7_lS8_PT9_S7_li.kd
    .uniform_work_group_size: 1
    .uses_dynamic_stack: false
    .vgpr_count:     48
    .vgpr_spill_count: 0
    .wavefront_size: 64
  - .args:
      - .offset:         0
        .size:           4
        .value_kind:     by_value
      - .offset:         4
        .size:           4
        .value_kind:     by_value
      - .offset:         8
        .size:           8
        .value_kind:     by_value
      - .address_space:  global
        .offset:         16
        .size:           8
        .value_kind:     global_buffer
      - .offset:         24
        .size:           4
        .value_kind:     by_value
      - .offset:         32
        .size:           8
        .value_kind:     by_value
      - .address_space:  global
        .offset:         40
        .size:           8
        .value_kind:     global_buffer
      - .offset:         48
        .size:           4
        .value_kind:     by_value
      - .offset:         56
        .size:           8
        .value_kind:     by_value
      - .offset:         64
        .size:           8
        .value_kind:     by_value
      - .address_space:  global
        .offset:         72
        .size:           8
        .value_kind:     global_buffer
      - .offset:         80
        .size:           4
        .value_kind:     by_value
      - .offset:         88
        .size:           8
        .value_kind:     by_value
      - .offset:         96
        .size:           4
        .value_kind:     by_value
    .group_segment_fixed_size: 4096
    .kernarg_segment_align: 8
    .kernarg_segment_size: 100
    .language:       OpenCL C
    .language_version:
      - 2
      - 0
    .max_flat_workgroup_size: 256
    .name:           _ZL34rocblas_syrkx_herkx_general_kernelIi19rocblas_complex_numIfELi16ELi32ELi8ELb0ELb0ELc78ELc85EKPKS1_KPS1_EviT_T0_PT8_S7_lSA_S7_lS8_PT9_S7_li
    .private_segment_fixed_size: 0
    .sgpr_count:     30
    .sgpr_spill_count: 0
    .symbol:         _ZL34rocblas_syrkx_herkx_general_kernelIi19rocblas_complex_numIfELi16ELi32ELi8ELb0ELb0ELc78ELc85EKPKS1_KPS1_EviT_T0_PT8_S7_lSA_S7_lS8_PT9_S7_li.kd
    .uniform_work_group_size: 1
    .uses_dynamic_stack: false
    .vgpr_count:     53
    .vgpr_spill_count: 0
    .wavefront_size: 64
  - .args:
      - .offset:         0
        .size:           1
        .value_kind:     by_value
      - .offset:         4
        .size:           4
        .value_kind:     by_value
      - .offset:         8
        .size:           4
        .value_kind:     by_value
      - .offset:         12
        .size:           8
        .value_kind:     by_value
      - .offset:         20
        .size:           8
        .value_kind:     by_value
      - .address_space:  global
        .offset:         32
        .size:           8
        .value_kind:     global_buffer
      - .offset:         40
        .size:           4
        .value_kind:     by_value
      - .offset:         48
        .size:           8
        .value_kind:     by_value
      - .offset:         56
        .size:           4
        .value_kind:     by_value
      - .offset:         64
        .size:           4
        .value_kind:     hidden_block_count_x
      - .offset:         68
        .size:           4
        .value_kind:     hidden_block_count_y
      - .offset:         72
        .size:           4
        .value_kind:     hidden_block_count_z
      - .offset:         76
        .size:           2
        .value_kind:     hidden_group_size_x
      - .offset:         78
        .size:           2
        .value_kind:     hidden_group_size_y
      - .offset:         80
        .size:           2
        .value_kind:     hidden_group_size_z
      - .offset:         82
        .size:           2
        .value_kind:     hidden_remainder_x
      - .offset:         84
        .size:           2
        .value_kind:     hidden_remainder_y
      - .offset:         86
        .size:           2
        .value_kind:     hidden_remainder_z
      - .offset:         104
        .size:           8
        .value_kind:     hidden_global_offset_x
      - .offset:         112
        .size:           8
        .value_kind:     hidden_global_offset_y
      - .offset:         120
        .size:           8
        .value_kind:     hidden_global_offset_z
      - .offset:         128
        .size:           2
        .value_kind:     hidden_grid_dims
    .group_segment_fixed_size: 0
    .kernarg_segment_align: 8
    .kernarg_segment_size: 320
    .language:       OpenCL C
    .language_version:
      - 2
      - 0
    .max_flat_workgroup_size: 1024
    .name:           _ZL26rocblas_syr2k_scale_kernelIiLi128ELi8ELb0E19rocblas_complex_numIfES1_PKPS1_EvbiT_T3_T4_T5_S5_li
    .private_segment_fixed_size: 0
    .sgpr_count:     16
    .sgpr_spill_count: 0
    .symbol:         _ZL26rocblas_syr2k_scale_kernelIiLi128ELi8ELb0E19rocblas_complex_numIfES1_PKPS1_EvbiT_T3_T4_T5_S5_li.kd
    .uniform_work_group_size: 1
    .uses_dynamic_stack: false
    .vgpr_count:     6
    .vgpr_spill_count: 0
    .wavefront_size: 64
  - .args:
      - .offset:         0
        .size:           1
        .value_kind:     by_value
      - .offset:         4
        .size:           4
        .value_kind:     by_value
      - .offset:         8
        .size:           4
        .value_kind:     by_value
      - .address_space:  global
        .offset:         16
        .size:           8
        .value_kind:     global_buffer
      - .address_space:  global
        .offset:         24
        .size:           8
        .value_kind:     global_buffer
      - .offset:         32
        .size:           4
        .value_kind:     by_value
      - .offset:         40
        .size:           8
        .value_kind:     by_value
      - .address_space:  global
        .offset:         48
        .size:           8
        .value_kind:     global_buffer
      - .offset:         56
        .size:           4
        .value_kind:     by_value
      - .offset:         64
        .size:           8
        .value_kind:     by_value
      - .address_space:  global
        .offset:         72
        .size:           8
        .value_kind:     global_buffer
      - .offset:         80
        .size:           4
        .value_kind:     by_value
      - .offset:         88
        .size:           8
        .value_kind:     by_value
      - .offset:         96
        .size:           4
        .value_kind:     by_value
    .group_segment_fixed_size: 16384
    .kernarg_segment_align: 8
    .kernarg_segment_size: 100
    .language:       OpenCL C
    .language_version:
      - 2
      - 0
    .max_flat_workgroup_size: 1024
    .name:           _ZL26rocblas_syr2k_her2k_kernelIiLb0ELb0ELb0ELi32EPK19rocblas_complex_numIfEPKS3_PKPS1_EvbiT_T4_T5_S9_lSB_S9_lT6_S9_li
    .private_segment_fixed_size: 0
    .sgpr_count:     29
    .sgpr_spill_count: 0
    .symbol:         _ZL26rocblas_syr2k_her2k_kernelIiLb0ELb0ELb0ELi32EPK19rocblas_complex_numIfEPKS3_PKPS1_EvbiT_T4_T5_S9_lSB_S9_lT6_S9_li.kd
    .uniform_work_group_size: 1
    .uses_dynamic_stack: false
    .vgpr_count:     36
    .vgpr_spill_count: 0
    .wavefront_size: 64
  - .args:
      - .offset:         0
        .size:           1
        .value_kind:     by_value
      - .offset:         4
        .size:           4
        .value_kind:     by_value
      - .offset:         8
        .size:           4
        .value_kind:     by_value
      - .address_space:  global
        .offset:         16
        .size:           8
        .value_kind:     global_buffer
      - .address_space:  global
        .offset:         24
        .size:           8
        .value_kind:     global_buffer
      - .offset:         32
        .size:           4
        .value_kind:     by_value
      - .offset:         40
        .size:           8
        .value_kind:     by_value
      - .address_space:  global
        .offset:         48
        .size:           8
        .value_kind:     global_buffer
      - .offset:         56
        .size:           4
        .value_kind:     by_value
      - .offset:         64
        .size:           8
        .value_kind:     by_value
      - .address_space:  global
        .offset:         72
        .size:           8
        .value_kind:     global_buffer
      - .offset:         80
        .size:           4
        .value_kind:     by_value
      - .offset:         88
        .size:           8
        .value_kind:     by_value
      - .offset:         96
        .size:           4
        .value_kind:     by_value
    .group_segment_fixed_size: 16384
    .kernarg_segment_align: 8
    .kernarg_segment_size: 100
    .language:       OpenCL C
    .language_version:
      - 2
      - 0
    .max_flat_workgroup_size: 1024
    .name:           _ZL26rocblas_syr2k_her2k_kernelIiLb0ELb0ELb1ELi32EPK19rocblas_complex_numIfEPKS3_PKPS1_EvbiT_T4_T5_S9_lSB_S9_lT6_S9_li
    .private_segment_fixed_size: 0
    .sgpr_count:     29
    .sgpr_spill_count: 0
    .symbol:         _ZL26rocblas_syr2k_her2k_kernelIiLb0ELb0ELb1ELi32EPK19rocblas_complex_numIfEPKS3_PKPS1_EvbiT_T4_T5_S9_lSB_S9_lT6_S9_li.kd
    .uniform_work_group_size: 1
    .uses_dynamic_stack: false
    .vgpr_count:     36
    .vgpr_spill_count: 0
    .wavefront_size: 64
  - .args:
      - .offset:         0
        .size:           1
        .value_kind:     by_value
      - .offset:         4
        .size:           4
        .value_kind:     by_value
      - .offset:         8
        .size:           4
        .value_kind:     by_value
      - .offset:         16
        .size:           16
        .value_kind:     by_value
      - .address_space:  global
        .offset:         32
        .size:           8
        .value_kind:     global_buffer
      - .offset:         40
        .size:           4
        .value_kind:     by_value
      - .offset:         48
        .size:           8
        .value_kind:     by_value
      - .address_space:  global
        .offset:         56
        .size:           8
        .value_kind:     global_buffer
      - .offset:         64
        .size:           4
        .value_kind:     by_value
      - .offset:         72
        .size:           8
        .value_kind:     by_value
      - .address_space:  global
        .offset:         80
        .size:           8
        .value_kind:     global_buffer
      - .offset:         88
        .size:           4
        .value_kind:     by_value
      - .offset:         96
        .size:           8
        .value_kind:     by_value
      - .offset:         104
        .size:           4
        .value_kind:     by_value
    .group_segment_fixed_size: 32768
    .kernarg_segment_align: 8
    .kernarg_segment_size: 108
    .language:       OpenCL C
    .language_version:
      - 2
      - 0
    .max_flat_workgroup_size: 1024
    .name:           _ZL26rocblas_syr2k_her2k_kernelIiLb0ELb0ELb0ELi32E19rocblas_complex_numIdEPKPKS1_PKPS1_EvbiT_T4_T5_S9_lSB_S9_lT6_S9_li
    .private_segment_fixed_size: 0
    .sgpr_count:     32
    .sgpr_spill_count: 0
    .symbol:         _ZL26rocblas_syr2k_her2k_kernelIiLb0ELb0ELb0ELi32E19rocblas_complex_numIdEPKPKS1_PKPS1_EvbiT_T4_T5_S9_lSB_S9_lT6_S9_li.kd
    .uniform_work_group_size: 1
    .uses_dynamic_stack: false
    .vgpr_count:     34
    .vgpr_spill_count: 0
    .wavefront_size: 64
  - .args:
      - .offset:         0
        .size:           1
        .value_kind:     by_value
      - .offset:         4
        .size:           4
        .value_kind:     by_value
      - .offset:         8
        .size:           4
        .value_kind:     by_value
      - .offset:         16
        .size:           16
        .value_kind:     by_value
      - .address_space:  global
        .offset:         32
        .size:           8
        .value_kind:     global_buffer
      - .offset:         40
        .size:           4
        .value_kind:     by_value
      - .offset:         48
        .size:           8
        .value_kind:     by_value
      - .address_space:  global
        .offset:         56
        .size:           8
        .value_kind:     global_buffer
      - .offset:         64
        .size:           4
        .value_kind:     by_value
      - .offset:         72
        .size:           8
        .value_kind:     by_value
      - .address_space:  global
        .offset:         80
        .size:           8
        .value_kind:     global_buffer
      - .offset:         88
        .size:           4
        .value_kind:     by_value
      - .offset:         96
        .size:           8
        .value_kind:     by_value
      - .offset:         104
        .size:           4
        .value_kind:     by_value
    .group_segment_fixed_size: 32768
    .kernarg_segment_align: 8
    .kernarg_segment_size: 108
    .language:       OpenCL C
    .language_version:
      - 2
      - 0
    .max_flat_workgroup_size: 1024
    .name:           _ZL26rocblas_syr2k_her2k_kernelIiLb0ELb0ELb1ELi32E19rocblas_complex_numIdEPKPKS1_PKPS1_EvbiT_T4_T5_S9_lSB_S9_lT6_S9_li
    .private_segment_fixed_size: 0
    .sgpr_count:     33
    .sgpr_spill_count: 0
    .symbol:         _ZL26rocblas_syr2k_her2k_kernelIiLb0ELb0ELb1ELi32E19rocblas_complex_numIdEPKPKS1_PKPS1_EvbiT_T4_T5_S9_lSB_S9_lT6_S9_li.kd
    .uniform_work_group_size: 1
    .uses_dynamic_stack: false
    .vgpr_count:     36
    .vgpr_spill_count: 0
    .wavefront_size: 64
  - .args:
      - .offset:         0
        .size:           4
        .value_kind:     by_value
      - .offset:         4
        .size:           4
        .value_kind:     by_value
      - .address_space:  global
        .offset:         8
        .size:           8
        .value_kind:     global_buffer
      - .offset:         16
        .size:           4
        .value_kind:     by_value
      - .offset:         24
        .size:           8
        .value_kind:     by_value
      - .address_space:  global
        .offset:         32
        .size:           8
        .value_kind:     global_buffer
      - .offset:         40
        .size:           4
        .value_kind:     by_value
      - .offset:         48
        .size:           8
        .value_kind:     by_value
      - .address_space:  global
        .offset:         56
        .size:           8
        .value_kind:     global_buffer
      - .offset:         64
        .size:           4
        .value_kind:     by_value
      - .offset:         72
        .size:           8
        .value_kind:     by_value
      - .offset:         80
        .size:           4
        .value_kind:     by_value
    .group_segment_fixed_size: 8192
    .kernarg_segment_align: 8
    .kernarg_segment_size: 84
    .language:       OpenCL C
    .language_version:
      - 2
      - 0
    .max_flat_workgroup_size: 256
    .name:           _ZL37rocblas_syrkx_herkx_restricted_kernelIi19rocblas_complex_numIdELi16ELi32ELi8ELi1ELi1ELb0ELc84ELc76EKPKS1_KPS1_EviT_PT9_S7_lS9_S7_lPT10_S7_li
    .private_segment_fixed_size: 0
    .sgpr_count:     21
    .sgpr_spill_count: 0
    .symbol:         _ZL37rocblas_syrkx_herkx_restricted_kernelIi19rocblas_complex_numIdELi16ELi32ELi8ELi1ELi1ELb0ELc84ELc76EKPKS1_KPS1_EviT_PT9_S7_lS9_S7_lPT10_S7_li.kd
    .uniform_work_group_size: 1
    .uses_dynamic_stack: false
    .vgpr_count:     52
    .vgpr_spill_count: 0
    .wavefront_size: 64
  - .args:
      - .offset:         0
        .size:           4
        .value_kind:     by_value
      - .offset:         4
        .size:           4
        .value_kind:     by_value
      - .address_space:  global
        .offset:         8
        .size:           8
        .value_kind:     global_buffer
      - .offset:         16
        .size:           4
        .value_kind:     by_value
      - .offset:         24
        .size:           8
        .value_kind:     by_value
      - .address_space:  global
        .offset:         32
        .size:           8
        .value_kind:     global_buffer
      - .offset:         40
        .size:           4
        .value_kind:     by_value
      - .offset:         48
        .size:           8
        .value_kind:     by_value
      - .address_space:  global
        .offset:         56
        .size:           8
        .value_kind:     global_buffer
      - .offset:         64
        .size:           4
        .value_kind:     by_value
      - .offset:         72
        .size:           8
        .value_kind:     by_value
      - .offset:         80
        .size:           4
        .value_kind:     by_value
    .group_segment_fixed_size: 8192
    .kernarg_segment_align: 8
    .kernarg_segment_size: 84
    .language:       OpenCL C
    .language_version:
      - 2
      - 0
    .max_flat_workgroup_size: 256
    .name:           _ZL37rocblas_syrkx_herkx_restricted_kernelIi19rocblas_complex_numIdELi16ELi32ELi8ELi1ELi1ELb0ELc67ELc76EKPKS1_KPS1_EviT_PT9_S7_lS9_S7_lPT10_S7_li
    .private_segment_fixed_size: 0
    .sgpr_count:     21
    .sgpr_spill_count: 0
    .symbol:         _ZL37rocblas_syrkx_herkx_restricted_kernelIi19rocblas_complex_numIdELi16ELi32ELi8ELi1ELi1ELb0ELc67ELc76EKPKS1_KPS1_EviT_PT9_S7_lS9_S7_lPT10_S7_li.kd
    .uniform_work_group_size: 1
    .uses_dynamic_stack: false
    .vgpr_count:     52
    .vgpr_spill_count: 0
    .wavefront_size: 64
  - .args:
      - .offset:         0
        .size:           4
        .value_kind:     by_value
      - .offset:         4
        .size:           4
        .value_kind:     by_value
      - .address_space:  global
        .offset:         8
        .size:           8
        .value_kind:     global_buffer
      - .offset:         16
        .size:           4
        .value_kind:     by_value
      - .offset:         24
        .size:           8
        .value_kind:     by_value
      - .address_space:  global
        .offset:         32
        .size:           8
        .value_kind:     global_buffer
      - .offset:         40
        .size:           4
        .value_kind:     by_value
      - .offset:         48
        .size:           8
        .value_kind:     by_value
      - .address_space:  global
        .offset:         56
        .size:           8
        .value_kind:     global_buffer
      - .offset:         64
        .size:           4
        .value_kind:     by_value
      - .offset:         72
        .size:           8
        .value_kind:     by_value
      - .offset:         80
        .size:           4
        .value_kind:     by_value
    .group_segment_fixed_size: 8192
    .kernarg_segment_align: 8
    .kernarg_segment_size: 84
    .language:       OpenCL C
    .language_version:
      - 2
      - 0
    .max_flat_workgroup_size: 256
    .name:           _ZL37rocblas_syrkx_herkx_restricted_kernelIi19rocblas_complex_numIdELi16ELi32ELi8ELi1ELi1ELb0ELc78ELc76EKPKS1_KPS1_EviT_PT9_S7_lS9_S7_lPT10_S7_li
    .private_segment_fixed_size: 0
    .sgpr_count:     24
    .sgpr_spill_count: 0
    .symbol:         _ZL37rocblas_syrkx_herkx_restricted_kernelIi19rocblas_complex_numIdELi16ELi32ELi8ELi1ELi1ELb0ELc78ELc76EKPKS1_KPS1_EviT_PT9_S7_lS9_S7_lPT10_S7_li.kd
    .uniform_work_group_size: 1
    .uses_dynamic_stack: false
    .vgpr_count:     54
    .vgpr_spill_count: 0
    .wavefront_size: 64
  - .args:
      - .offset:         0
        .size:           4
        .value_kind:     by_value
      - .offset:         4
        .size:           4
        .value_kind:     by_value
      - .address_space:  global
        .offset:         8
        .size:           8
        .value_kind:     global_buffer
      - .offset:         16
        .size:           4
        .value_kind:     by_value
      - .offset:         24
        .size:           8
        .value_kind:     by_value
      - .address_space:  global
        .offset:         32
        .size:           8
        .value_kind:     global_buffer
      - .offset:         40
        .size:           4
        .value_kind:     by_value
      - .offset:         48
        .size:           8
        .value_kind:     by_value
      - .address_space:  global
        .offset:         56
        .size:           8
        .value_kind:     global_buffer
      - .offset:         64
        .size:           4
        .value_kind:     by_value
      - .offset:         72
        .size:           8
        .value_kind:     by_value
      - .offset:         80
        .size:           4
        .value_kind:     by_value
    .group_segment_fixed_size: 8192
    .kernarg_segment_align: 8
    .kernarg_segment_size: 84
    .language:       OpenCL C
    .language_version:
      - 2
      - 0
    .max_flat_workgroup_size: 256
    .name:           _ZL37rocblas_syrkx_herkx_restricted_kernelIi19rocblas_complex_numIdELi16ELi32ELi8ELi1ELi1ELb0ELc84ELc85EKPKS1_KPS1_EviT_PT9_S7_lS9_S7_lPT10_S7_li
    .private_segment_fixed_size: 0
    .sgpr_count:     21
    .sgpr_spill_count: 0
    .symbol:         _ZL37rocblas_syrkx_herkx_restricted_kernelIi19rocblas_complex_numIdELi16ELi32ELi8ELi1ELi1ELb0ELc84ELc85EKPKS1_KPS1_EviT_PT9_S7_lS9_S7_lPT10_S7_li.kd
    .uniform_work_group_size: 1
    .uses_dynamic_stack: false
    .vgpr_count:     52
    .vgpr_spill_count: 0
    .wavefront_size: 64
  - .args:
      - .offset:         0
        .size:           4
        .value_kind:     by_value
      - .offset:         4
        .size:           4
        .value_kind:     by_value
      - .address_space:  global
        .offset:         8
        .size:           8
        .value_kind:     global_buffer
      - .offset:         16
        .size:           4
        .value_kind:     by_value
      - .offset:         24
        .size:           8
        .value_kind:     by_value
      - .address_space:  global
        .offset:         32
        .size:           8
        .value_kind:     global_buffer
      - .offset:         40
        .size:           4
        .value_kind:     by_value
      - .offset:         48
        .size:           8
        .value_kind:     by_value
      - .address_space:  global
        .offset:         56
        .size:           8
        .value_kind:     global_buffer
      - .offset:         64
        .size:           4
        .value_kind:     by_value
      - .offset:         72
        .size:           8
        .value_kind:     by_value
      - .offset:         80
        .size:           4
        .value_kind:     by_value
    .group_segment_fixed_size: 8192
    .kernarg_segment_align: 8
    .kernarg_segment_size: 84
    .language:       OpenCL C
    .language_version:
      - 2
      - 0
    .max_flat_workgroup_size: 256
    .name:           _ZL37rocblas_syrkx_herkx_restricted_kernelIi19rocblas_complex_numIdELi16ELi32ELi8ELi1ELi1ELb0ELc67ELc85EKPKS1_KPS1_EviT_PT9_S7_lS9_S7_lPT10_S7_li
    .private_segment_fixed_size: 0
    .sgpr_count:     21
    .sgpr_spill_count: 0
    .symbol:         _ZL37rocblas_syrkx_herkx_restricted_kernelIi19rocblas_complex_numIdELi16ELi32ELi8ELi1ELi1ELb0ELc67ELc85EKPKS1_KPS1_EviT_PT9_S7_lS9_S7_lPT10_S7_li.kd
    .uniform_work_group_size: 1
    .uses_dynamic_stack: false
    .vgpr_count:     52
    .vgpr_spill_count: 0
    .wavefront_size: 64
  - .args:
      - .offset:         0
        .size:           4
        .value_kind:     by_value
      - .offset:         4
        .size:           4
        .value_kind:     by_value
      - .address_space:  global
        .offset:         8
        .size:           8
        .value_kind:     global_buffer
      - .offset:         16
        .size:           4
        .value_kind:     by_value
      - .offset:         24
        .size:           8
        .value_kind:     by_value
      - .address_space:  global
        .offset:         32
        .size:           8
        .value_kind:     global_buffer
      - .offset:         40
        .size:           4
        .value_kind:     by_value
      - .offset:         48
        .size:           8
        .value_kind:     by_value
      - .address_space:  global
        .offset:         56
        .size:           8
        .value_kind:     global_buffer
      - .offset:         64
        .size:           4
        .value_kind:     by_value
      - .offset:         72
        .size:           8
        .value_kind:     by_value
      - .offset:         80
        .size:           4
        .value_kind:     by_value
    .group_segment_fixed_size: 8192
    .kernarg_segment_align: 8
    .kernarg_segment_size: 84
    .language:       OpenCL C
    .language_version:
      - 2
      - 0
    .max_flat_workgroup_size: 256
    .name:           _ZL37rocblas_syrkx_herkx_restricted_kernelIi19rocblas_complex_numIdELi16ELi32ELi8ELi1ELi1ELb0ELc78ELc85EKPKS1_KPS1_EviT_PT9_S7_lS9_S7_lPT10_S7_li
    .private_segment_fixed_size: 0
    .sgpr_count:     24
    .sgpr_spill_count: 0
    .symbol:         _ZL37rocblas_syrkx_herkx_restricted_kernelIi19rocblas_complex_numIdELi16ELi32ELi8ELi1ELi1ELb0ELc78ELc85EKPKS1_KPS1_EviT_PT9_S7_lS9_S7_lPT10_S7_li.kd
    .uniform_work_group_size: 1
    .uses_dynamic_stack: false
    .vgpr_count:     54
    .vgpr_spill_count: 0
    .wavefront_size: 64
  - .args:
      - .offset:         0
        .size:           4
        .value_kind:     by_value
      - .offset:         4
        .size:           4
        .value_kind:     by_value
      - .address_space:  global
        .offset:         8
        .size:           8
        .value_kind:     global_buffer
      - .offset:         16
        .size:           4
        .value_kind:     by_value
      - .offset:         24
        .size:           8
        .value_kind:     by_value
      - .address_space:  global
        .offset:         32
        .size:           8
        .value_kind:     global_buffer
      - .offset:         40
        .size:           4
        .value_kind:     by_value
      - .offset:         48
        .size:           8
        .value_kind:     by_value
      - .address_space:  global
        .offset:         56
        .size:           8
        .value_kind:     global_buffer
      - .offset:         64
        .size:           4
        .value_kind:     by_value
      - .offset:         72
        .size:           8
        .value_kind:     by_value
      - .offset:         80
        .size:           4
        .value_kind:     by_value
    .group_segment_fixed_size: 8192
    .kernarg_segment_align: 8
    .kernarg_segment_size: 84
    .language:       OpenCL C
    .language_version:
      - 2
      - 0
    .max_flat_workgroup_size: 256
    .name:           _ZL37rocblas_syrkx_herkx_restricted_kernelIi19rocblas_complex_numIdELi16ELi32ELi8ELi1ELin1ELb0ELc84ELc76EKPKS1_KPS1_EviT_PT9_S7_lS9_S7_lPT10_S7_li
    .private_segment_fixed_size: 0
    .sgpr_count:     21
    .sgpr_spill_count: 0
    .symbol:         _ZL37rocblas_syrkx_herkx_restricted_kernelIi19rocblas_complex_numIdELi16ELi32ELi8ELi1ELin1ELb0ELc84ELc76EKPKS1_KPS1_EviT_PT9_S7_lS9_S7_lPT10_S7_li.kd
    .uniform_work_group_size: 1
    .uses_dynamic_stack: false
    .vgpr_count:     52
    .vgpr_spill_count: 0
    .wavefront_size: 64
  - .args:
      - .offset:         0
        .size:           4
        .value_kind:     by_value
      - .offset:         4
        .size:           4
        .value_kind:     by_value
      - .address_space:  global
        .offset:         8
        .size:           8
        .value_kind:     global_buffer
      - .offset:         16
        .size:           4
        .value_kind:     by_value
      - .offset:         24
        .size:           8
        .value_kind:     by_value
      - .address_space:  global
        .offset:         32
        .size:           8
        .value_kind:     global_buffer
      - .offset:         40
        .size:           4
        .value_kind:     by_value
      - .offset:         48
        .size:           8
        .value_kind:     by_value
      - .address_space:  global
        .offset:         56
        .size:           8
        .value_kind:     global_buffer
      - .offset:         64
        .size:           4
        .value_kind:     by_value
      - .offset:         72
        .size:           8
        .value_kind:     by_value
      - .offset:         80
        .size:           4
        .value_kind:     by_value
    .group_segment_fixed_size: 8192
    .kernarg_segment_align: 8
    .kernarg_segment_size: 84
    .language:       OpenCL C
    .language_version:
      - 2
      - 0
    .max_flat_workgroup_size: 256
    .name:           _ZL37rocblas_syrkx_herkx_restricted_kernelIi19rocblas_complex_numIdELi16ELi32ELi8ELi1ELin1ELb0ELc67ELc76EKPKS1_KPS1_EviT_PT9_S7_lS9_S7_lPT10_S7_li
    .private_segment_fixed_size: 0
    .sgpr_count:     21
    .sgpr_spill_count: 0
    .symbol:         _ZL37rocblas_syrkx_herkx_restricted_kernelIi19rocblas_complex_numIdELi16ELi32ELi8ELi1ELin1ELb0ELc67ELc76EKPKS1_KPS1_EviT_PT9_S7_lS9_S7_lPT10_S7_li.kd
    .uniform_work_group_size: 1
    .uses_dynamic_stack: false
    .vgpr_count:     52
    .vgpr_spill_count: 0
    .wavefront_size: 64
  - .args:
      - .offset:         0
        .size:           4
        .value_kind:     by_value
      - .offset:         4
        .size:           4
        .value_kind:     by_value
      - .address_space:  global
        .offset:         8
        .size:           8
        .value_kind:     global_buffer
      - .offset:         16
        .size:           4
        .value_kind:     by_value
      - .offset:         24
        .size:           8
        .value_kind:     by_value
      - .address_space:  global
        .offset:         32
        .size:           8
        .value_kind:     global_buffer
      - .offset:         40
        .size:           4
        .value_kind:     by_value
      - .offset:         48
        .size:           8
        .value_kind:     by_value
      - .address_space:  global
        .offset:         56
        .size:           8
        .value_kind:     global_buffer
      - .offset:         64
        .size:           4
        .value_kind:     by_value
      - .offset:         72
        .size:           8
        .value_kind:     by_value
      - .offset:         80
        .size:           4
        .value_kind:     by_value
    .group_segment_fixed_size: 8192
    .kernarg_segment_align: 8
    .kernarg_segment_size: 84
    .language:       OpenCL C
    .language_version:
      - 2
      - 0
    .max_flat_workgroup_size: 256
    .name:           _ZL37rocblas_syrkx_herkx_restricted_kernelIi19rocblas_complex_numIdELi16ELi32ELi8ELi1ELin1ELb0ELc78ELc76EKPKS1_KPS1_EviT_PT9_S7_lS9_S7_lPT10_S7_li
    .private_segment_fixed_size: 0
    .sgpr_count:     24
    .sgpr_spill_count: 0
    .symbol:         _ZL37rocblas_syrkx_herkx_restricted_kernelIi19rocblas_complex_numIdELi16ELi32ELi8ELi1ELin1ELb0ELc78ELc76EKPKS1_KPS1_EviT_PT9_S7_lS9_S7_lPT10_S7_li.kd
    .uniform_work_group_size: 1
    .uses_dynamic_stack: false
    .vgpr_count:     54
    .vgpr_spill_count: 0
    .wavefront_size: 64
  - .args:
      - .offset:         0
        .size:           4
        .value_kind:     by_value
      - .offset:         4
        .size:           4
        .value_kind:     by_value
      - .address_space:  global
        .offset:         8
        .size:           8
        .value_kind:     global_buffer
      - .offset:         16
        .size:           4
        .value_kind:     by_value
      - .offset:         24
        .size:           8
        .value_kind:     by_value
      - .address_space:  global
        .offset:         32
        .size:           8
        .value_kind:     global_buffer
      - .offset:         40
        .size:           4
        .value_kind:     by_value
      - .offset:         48
        .size:           8
        .value_kind:     by_value
      - .address_space:  global
        .offset:         56
        .size:           8
        .value_kind:     global_buffer
      - .offset:         64
        .size:           4
        .value_kind:     by_value
      - .offset:         72
        .size:           8
        .value_kind:     by_value
      - .offset:         80
        .size:           4
        .value_kind:     by_value
    .group_segment_fixed_size: 8192
    .kernarg_segment_align: 8
    .kernarg_segment_size: 84
    .language:       OpenCL C
    .language_version:
      - 2
      - 0
    .max_flat_workgroup_size: 256
    .name:           _ZL37rocblas_syrkx_herkx_restricted_kernelIi19rocblas_complex_numIdELi16ELi32ELi8ELi1ELin1ELb0ELc84ELc85EKPKS1_KPS1_EviT_PT9_S7_lS9_S7_lPT10_S7_li
    .private_segment_fixed_size: 0
    .sgpr_count:     21
    .sgpr_spill_count: 0
    .symbol:         _ZL37rocblas_syrkx_herkx_restricted_kernelIi19rocblas_complex_numIdELi16ELi32ELi8ELi1ELin1ELb0ELc84ELc85EKPKS1_KPS1_EviT_PT9_S7_lS9_S7_lPT10_S7_li.kd
    .uniform_work_group_size: 1
    .uses_dynamic_stack: false
    .vgpr_count:     52
    .vgpr_spill_count: 0
    .wavefront_size: 64
  - .args:
      - .offset:         0
        .size:           4
        .value_kind:     by_value
      - .offset:         4
        .size:           4
        .value_kind:     by_value
      - .address_space:  global
        .offset:         8
        .size:           8
        .value_kind:     global_buffer
      - .offset:         16
        .size:           4
        .value_kind:     by_value
      - .offset:         24
        .size:           8
        .value_kind:     by_value
      - .address_space:  global
        .offset:         32
        .size:           8
        .value_kind:     global_buffer
      - .offset:         40
        .size:           4
        .value_kind:     by_value
      - .offset:         48
        .size:           8
        .value_kind:     by_value
      - .address_space:  global
        .offset:         56
        .size:           8
        .value_kind:     global_buffer
      - .offset:         64
        .size:           4
        .value_kind:     by_value
      - .offset:         72
        .size:           8
        .value_kind:     by_value
      - .offset:         80
        .size:           4
        .value_kind:     by_value
    .group_segment_fixed_size: 8192
    .kernarg_segment_align: 8
    .kernarg_segment_size: 84
    .language:       OpenCL C
    .language_version:
      - 2
      - 0
    .max_flat_workgroup_size: 256
    .name:           _ZL37rocblas_syrkx_herkx_restricted_kernelIi19rocblas_complex_numIdELi16ELi32ELi8ELi1ELin1ELb0ELc67ELc85EKPKS1_KPS1_EviT_PT9_S7_lS9_S7_lPT10_S7_li
    .private_segment_fixed_size: 0
    .sgpr_count:     21
    .sgpr_spill_count: 0
    .symbol:         _ZL37rocblas_syrkx_herkx_restricted_kernelIi19rocblas_complex_numIdELi16ELi32ELi8ELi1ELin1ELb0ELc67ELc85EKPKS1_KPS1_EviT_PT9_S7_lS9_S7_lPT10_S7_li.kd
    .uniform_work_group_size: 1
    .uses_dynamic_stack: false
    .vgpr_count:     52
    .vgpr_spill_count: 0
    .wavefront_size: 64
  - .args:
      - .offset:         0
        .size:           4
        .value_kind:     by_value
      - .offset:         4
        .size:           4
        .value_kind:     by_value
      - .address_space:  global
        .offset:         8
        .size:           8
        .value_kind:     global_buffer
      - .offset:         16
        .size:           4
        .value_kind:     by_value
      - .offset:         24
        .size:           8
        .value_kind:     by_value
      - .address_space:  global
        .offset:         32
        .size:           8
        .value_kind:     global_buffer
      - .offset:         40
        .size:           4
        .value_kind:     by_value
      - .offset:         48
        .size:           8
        .value_kind:     by_value
      - .address_space:  global
        .offset:         56
        .size:           8
        .value_kind:     global_buffer
      - .offset:         64
        .size:           4
        .value_kind:     by_value
      - .offset:         72
        .size:           8
        .value_kind:     by_value
      - .offset:         80
        .size:           4
        .value_kind:     by_value
    .group_segment_fixed_size: 8192
    .kernarg_segment_align: 8
    .kernarg_segment_size: 84
    .language:       OpenCL C
    .language_version:
      - 2
      - 0
    .max_flat_workgroup_size: 256
    .name:           _ZL37rocblas_syrkx_herkx_restricted_kernelIi19rocblas_complex_numIdELi16ELi32ELi8ELi1ELin1ELb0ELc78ELc85EKPKS1_KPS1_EviT_PT9_S7_lS9_S7_lPT10_S7_li
    .private_segment_fixed_size: 0
    .sgpr_count:     24
    .sgpr_spill_count: 0
    .symbol:         _ZL37rocblas_syrkx_herkx_restricted_kernelIi19rocblas_complex_numIdELi16ELi32ELi8ELi1ELin1ELb0ELc78ELc85EKPKS1_KPS1_EviT_PT9_S7_lS9_S7_lPT10_S7_li.kd
    .uniform_work_group_size: 1
    .uses_dynamic_stack: false
    .vgpr_count:     54
    .vgpr_spill_count: 0
    .wavefront_size: 64
  - .args:
      - .offset:         0
        .size:           4
        .value_kind:     by_value
      - .offset:         4
        .size:           4
        .value_kind:     by_value
      - .address_space:  global
        .offset:         8
        .size:           8
        .value_kind:     global_buffer
      - .offset:         16
        .size:           4
        .value_kind:     by_value
      - .offset:         24
        .size:           8
        .value_kind:     by_value
      - .address_space:  global
        .offset:         32
        .size:           8
        .value_kind:     global_buffer
      - .offset:         40
        .size:           4
        .value_kind:     by_value
      - .offset:         48
        .size:           8
        .value_kind:     by_value
      - .address_space:  global
        .offset:         56
        .size:           8
        .value_kind:     global_buffer
      - .offset:         64
        .size:           4
        .value_kind:     by_value
      - .offset:         72
        .size:           8
        .value_kind:     by_value
      - .offset:         80
        .size:           4
        .value_kind:     by_value
    .group_segment_fixed_size: 8192
    .kernarg_segment_align: 8
    .kernarg_segment_size: 84
    .language:       OpenCL C
    .language_version:
      - 2
      - 0
    .max_flat_workgroup_size: 256
    .name:           _ZL37rocblas_syrkx_herkx_restricted_kernelIi19rocblas_complex_numIdELi16ELi32ELi8ELi1ELi0ELb0ELc84ELc76EKPKS1_KPS1_EviT_PT9_S7_lS9_S7_lPT10_S7_li
    .private_segment_fixed_size: 0
    .sgpr_count:     21
    .sgpr_spill_count: 0
    .symbol:         _ZL37rocblas_syrkx_herkx_restricted_kernelIi19rocblas_complex_numIdELi16ELi32ELi8ELi1ELi0ELb0ELc84ELc76EKPKS1_KPS1_EviT_PT9_S7_lS9_S7_lPT10_S7_li.kd
    .uniform_work_group_size: 1
    .uses_dynamic_stack: false
    .vgpr_count:     52
    .vgpr_spill_count: 0
    .wavefront_size: 64
  - .args:
      - .offset:         0
        .size:           4
        .value_kind:     by_value
      - .offset:         4
        .size:           4
        .value_kind:     by_value
      - .address_space:  global
        .offset:         8
        .size:           8
        .value_kind:     global_buffer
      - .offset:         16
        .size:           4
        .value_kind:     by_value
      - .offset:         24
        .size:           8
        .value_kind:     by_value
      - .address_space:  global
        .offset:         32
        .size:           8
        .value_kind:     global_buffer
      - .offset:         40
        .size:           4
        .value_kind:     by_value
      - .offset:         48
        .size:           8
        .value_kind:     by_value
      - .address_space:  global
        .offset:         56
        .size:           8
        .value_kind:     global_buffer
      - .offset:         64
        .size:           4
        .value_kind:     by_value
      - .offset:         72
        .size:           8
        .value_kind:     by_value
      - .offset:         80
        .size:           4
        .value_kind:     by_value
    .group_segment_fixed_size: 8192
    .kernarg_segment_align: 8
    .kernarg_segment_size: 84
    .language:       OpenCL C
    .language_version:
      - 2
      - 0
    .max_flat_workgroup_size: 256
    .name:           _ZL37rocblas_syrkx_herkx_restricted_kernelIi19rocblas_complex_numIdELi16ELi32ELi8ELi1ELi0ELb0ELc67ELc76EKPKS1_KPS1_EviT_PT9_S7_lS9_S7_lPT10_S7_li
    .private_segment_fixed_size: 0
    .sgpr_count:     21
    .sgpr_spill_count: 0
    .symbol:         _ZL37rocblas_syrkx_herkx_restricted_kernelIi19rocblas_complex_numIdELi16ELi32ELi8ELi1ELi0ELb0ELc67ELc76EKPKS1_KPS1_EviT_PT9_S7_lS9_S7_lPT10_S7_li.kd
    .uniform_work_group_size: 1
    .uses_dynamic_stack: false
    .vgpr_count:     52
    .vgpr_spill_count: 0
    .wavefront_size: 64
  - .args:
      - .offset:         0
        .size:           4
        .value_kind:     by_value
      - .offset:         4
        .size:           4
        .value_kind:     by_value
      - .address_space:  global
        .offset:         8
        .size:           8
        .value_kind:     global_buffer
      - .offset:         16
        .size:           4
        .value_kind:     by_value
      - .offset:         24
        .size:           8
        .value_kind:     by_value
      - .address_space:  global
        .offset:         32
        .size:           8
        .value_kind:     global_buffer
      - .offset:         40
        .size:           4
        .value_kind:     by_value
      - .offset:         48
        .size:           8
        .value_kind:     by_value
      - .address_space:  global
        .offset:         56
        .size:           8
        .value_kind:     global_buffer
      - .offset:         64
        .size:           4
        .value_kind:     by_value
      - .offset:         72
        .size:           8
        .value_kind:     by_value
      - .offset:         80
        .size:           4
        .value_kind:     by_value
    .group_segment_fixed_size: 8192
    .kernarg_segment_align: 8
    .kernarg_segment_size: 84
    .language:       OpenCL C
    .language_version:
      - 2
      - 0
    .max_flat_workgroup_size: 256
    .name:           _ZL37rocblas_syrkx_herkx_restricted_kernelIi19rocblas_complex_numIdELi16ELi32ELi8ELi1ELi0ELb0ELc78ELc76EKPKS1_KPS1_EviT_PT9_S7_lS9_S7_lPT10_S7_li
    .private_segment_fixed_size: 0
    .sgpr_count:     24
    .sgpr_spill_count: 0
    .symbol:         _ZL37rocblas_syrkx_herkx_restricted_kernelIi19rocblas_complex_numIdELi16ELi32ELi8ELi1ELi0ELb0ELc78ELc76EKPKS1_KPS1_EviT_PT9_S7_lS9_S7_lPT10_S7_li.kd
    .uniform_work_group_size: 1
    .uses_dynamic_stack: false
    .vgpr_count:     54
    .vgpr_spill_count: 0
    .wavefront_size: 64
  - .args:
      - .offset:         0
        .size:           4
        .value_kind:     by_value
      - .offset:         4
        .size:           4
        .value_kind:     by_value
      - .address_space:  global
        .offset:         8
        .size:           8
        .value_kind:     global_buffer
      - .offset:         16
        .size:           4
        .value_kind:     by_value
      - .offset:         24
        .size:           8
        .value_kind:     by_value
      - .address_space:  global
        .offset:         32
        .size:           8
        .value_kind:     global_buffer
      - .offset:         40
        .size:           4
        .value_kind:     by_value
      - .offset:         48
        .size:           8
        .value_kind:     by_value
      - .address_space:  global
        .offset:         56
        .size:           8
        .value_kind:     global_buffer
      - .offset:         64
        .size:           4
        .value_kind:     by_value
      - .offset:         72
        .size:           8
        .value_kind:     by_value
      - .offset:         80
        .size:           4
        .value_kind:     by_value
    .group_segment_fixed_size: 8192
    .kernarg_segment_align: 8
    .kernarg_segment_size: 84
    .language:       OpenCL C
    .language_version:
      - 2
      - 0
    .max_flat_workgroup_size: 256
    .name:           _ZL37rocblas_syrkx_herkx_restricted_kernelIi19rocblas_complex_numIdELi16ELi32ELi8ELi1ELi0ELb0ELc84ELc85EKPKS1_KPS1_EviT_PT9_S7_lS9_S7_lPT10_S7_li
    .private_segment_fixed_size: 0
    .sgpr_count:     21
    .sgpr_spill_count: 0
    .symbol:         _ZL37rocblas_syrkx_herkx_restricted_kernelIi19rocblas_complex_numIdELi16ELi32ELi8ELi1ELi0ELb0ELc84ELc85EKPKS1_KPS1_EviT_PT9_S7_lS9_S7_lPT10_S7_li.kd
    .uniform_work_group_size: 1
    .uses_dynamic_stack: false
    .vgpr_count:     52
    .vgpr_spill_count: 0
    .wavefront_size: 64
  - .args:
      - .offset:         0
        .size:           4
        .value_kind:     by_value
      - .offset:         4
        .size:           4
        .value_kind:     by_value
      - .address_space:  global
        .offset:         8
        .size:           8
        .value_kind:     global_buffer
      - .offset:         16
        .size:           4
        .value_kind:     by_value
      - .offset:         24
        .size:           8
        .value_kind:     by_value
      - .address_space:  global
        .offset:         32
        .size:           8
        .value_kind:     global_buffer
      - .offset:         40
        .size:           4
        .value_kind:     by_value
      - .offset:         48
        .size:           8
        .value_kind:     by_value
      - .address_space:  global
        .offset:         56
        .size:           8
        .value_kind:     global_buffer
      - .offset:         64
        .size:           4
        .value_kind:     by_value
      - .offset:         72
        .size:           8
        .value_kind:     by_value
      - .offset:         80
        .size:           4
        .value_kind:     by_value
    .group_segment_fixed_size: 8192
    .kernarg_segment_align: 8
    .kernarg_segment_size: 84
    .language:       OpenCL C
    .language_version:
      - 2
      - 0
    .max_flat_workgroup_size: 256
    .name:           _ZL37rocblas_syrkx_herkx_restricted_kernelIi19rocblas_complex_numIdELi16ELi32ELi8ELi1ELi0ELb0ELc67ELc85EKPKS1_KPS1_EviT_PT9_S7_lS9_S7_lPT10_S7_li
    .private_segment_fixed_size: 0
    .sgpr_count:     21
    .sgpr_spill_count: 0
    .symbol:         _ZL37rocblas_syrkx_herkx_restricted_kernelIi19rocblas_complex_numIdELi16ELi32ELi8ELi1ELi0ELb0ELc67ELc85EKPKS1_KPS1_EviT_PT9_S7_lS9_S7_lPT10_S7_li.kd
    .uniform_work_group_size: 1
    .uses_dynamic_stack: false
    .vgpr_count:     52
    .vgpr_spill_count: 0
    .wavefront_size: 64
  - .args:
      - .offset:         0
        .size:           4
        .value_kind:     by_value
      - .offset:         4
        .size:           4
        .value_kind:     by_value
      - .address_space:  global
        .offset:         8
        .size:           8
        .value_kind:     global_buffer
      - .offset:         16
        .size:           4
        .value_kind:     by_value
      - .offset:         24
        .size:           8
        .value_kind:     by_value
      - .address_space:  global
        .offset:         32
        .size:           8
        .value_kind:     global_buffer
      - .offset:         40
        .size:           4
        .value_kind:     by_value
      - .offset:         48
        .size:           8
        .value_kind:     by_value
      - .address_space:  global
        .offset:         56
        .size:           8
        .value_kind:     global_buffer
      - .offset:         64
        .size:           4
        .value_kind:     by_value
      - .offset:         72
        .size:           8
        .value_kind:     by_value
      - .offset:         80
        .size:           4
        .value_kind:     by_value
    .group_segment_fixed_size: 8192
    .kernarg_segment_align: 8
    .kernarg_segment_size: 84
    .language:       OpenCL C
    .language_version:
      - 2
      - 0
    .max_flat_workgroup_size: 256
    .name:           _ZL37rocblas_syrkx_herkx_restricted_kernelIi19rocblas_complex_numIdELi16ELi32ELi8ELi1ELi0ELb0ELc78ELc85EKPKS1_KPS1_EviT_PT9_S7_lS9_S7_lPT10_S7_li
    .private_segment_fixed_size: 0
    .sgpr_count:     24
    .sgpr_spill_count: 0
    .symbol:         _ZL37rocblas_syrkx_herkx_restricted_kernelIi19rocblas_complex_numIdELi16ELi32ELi8ELi1ELi0ELb0ELc78ELc85EKPKS1_KPS1_EviT_PT9_S7_lS9_S7_lPT10_S7_li.kd
    .uniform_work_group_size: 1
    .uses_dynamic_stack: false
    .vgpr_count:     54
    .vgpr_spill_count: 0
    .wavefront_size: 64
  - .args:
      - .offset:         0
        .size:           4
        .value_kind:     by_value
      - .offset:         4
        .size:           4
        .value_kind:     by_value
      - .address_space:  global
        .offset:         8
        .size:           8
        .value_kind:     global_buffer
      - .offset:         16
        .size:           4
        .value_kind:     by_value
      - .offset:         24
        .size:           8
        .value_kind:     by_value
      - .address_space:  global
        .offset:         32
        .size:           8
        .value_kind:     global_buffer
      - .offset:         40
        .size:           4
        .value_kind:     by_value
      - .offset:         48
        .size:           8
        .value_kind:     by_value
      - .address_space:  global
        .offset:         56
        .size:           8
        .value_kind:     global_buffer
      - .offset:         64
        .size:           4
        .value_kind:     by_value
      - .offset:         72
        .size:           8
        .value_kind:     by_value
      - .offset:         80
        .size:           4
        .value_kind:     by_value
    .group_segment_fixed_size: 8192
    .kernarg_segment_align: 8
    .kernarg_segment_size: 84
    .language:       OpenCL C
    .language_version:
      - 2
      - 0
    .max_flat_workgroup_size: 256
    .name:           _ZL37rocblas_syrkx_herkx_restricted_kernelIi19rocblas_complex_numIdELi16ELi32ELi8ELin1ELi0ELb0ELc84ELc76EKPKS1_KPS1_EviT_PT9_S7_lS9_S7_lPT10_S7_li
    .private_segment_fixed_size: 0
    .sgpr_count:     21
    .sgpr_spill_count: 0
    .symbol:         _ZL37rocblas_syrkx_herkx_restricted_kernelIi19rocblas_complex_numIdELi16ELi32ELi8ELin1ELi0ELb0ELc84ELc76EKPKS1_KPS1_EviT_PT9_S7_lS9_S7_lPT10_S7_li.kd
    .uniform_work_group_size: 1
    .uses_dynamic_stack: false
    .vgpr_count:     52
    .vgpr_spill_count: 0
    .wavefront_size: 64
  - .args:
      - .offset:         0
        .size:           4
        .value_kind:     by_value
      - .offset:         4
        .size:           4
        .value_kind:     by_value
      - .address_space:  global
        .offset:         8
        .size:           8
        .value_kind:     global_buffer
      - .offset:         16
        .size:           4
        .value_kind:     by_value
      - .offset:         24
        .size:           8
        .value_kind:     by_value
      - .address_space:  global
        .offset:         32
        .size:           8
        .value_kind:     global_buffer
      - .offset:         40
        .size:           4
        .value_kind:     by_value
      - .offset:         48
        .size:           8
        .value_kind:     by_value
      - .address_space:  global
        .offset:         56
        .size:           8
        .value_kind:     global_buffer
      - .offset:         64
        .size:           4
        .value_kind:     by_value
      - .offset:         72
        .size:           8
        .value_kind:     by_value
      - .offset:         80
        .size:           4
        .value_kind:     by_value
    .group_segment_fixed_size: 8192
    .kernarg_segment_align: 8
    .kernarg_segment_size: 84
    .language:       OpenCL C
    .language_version:
      - 2
      - 0
    .max_flat_workgroup_size: 256
    .name:           _ZL37rocblas_syrkx_herkx_restricted_kernelIi19rocblas_complex_numIdELi16ELi32ELi8ELin1ELi0ELb0ELc67ELc76EKPKS1_KPS1_EviT_PT9_S7_lS9_S7_lPT10_S7_li
    .private_segment_fixed_size: 0
    .sgpr_count:     21
    .sgpr_spill_count: 0
    .symbol:         _ZL37rocblas_syrkx_herkx_restricted_kernelIi19rocblas_complex_numIdELi16ELi32ELi8ELin1ELi0ELb0ELc67ELc76EKPKS1_KPS1_EviT_PT9_S7_lS9_S7_lPT10_S7_li.kd
    .uniform_work_group_size: 1
    .uses_dynamic_stack: false
    .vgpr_count:     52
    .vgpr_spill_count: 0
    .wavefront_size: 64
  - .args:
      - .offset:         0
        .size:           4
        .value_kind:     by_value
      - .offset:         4
        .size:           4
        .value_kind:     by_value
      - .address_space:  global
        .offset:         8
        .size:           8
        .value_kind:     global_buffer
      - .offset:         16
        .size:           4
        .value_kind:     by_value
      - .offset:         24
        .size:           8
        .value_kind:     by_value
      - .address_space:  global
        .offset:         32
        .size:           8
        .value_kind:     global_buffer
      - .offset:         40
        .size:           4
        .value_kind:     by_value
      - .offset:         48
        .size:           8
        .value_kind:     by_value
      - .address_space:  global
        .offset:         56
        .size:           8
        .value_kind:     global_buffer
      - .offset:         64
        .size:           4
        .value_kind:     by_value
      - .offset:         72
        .size:           8
        .value_kind:     by_value
      - .offset:         80
        .size:           4
        .value_kind:     by_value
    .group_segment_fixed_size: 8192
    .kernarg_segment_align: 8
    .kernarg_segment_size: 84
    .language:       OpenCL C
    .language_version:
      - 2
      - 0
    .max_flat_workgroup_size: 256
    .name:           _ZL37rocblas_syrkx_herkx_restricted_kernelIi19rocblas_complex_numIdELi16ELi32ELi8ELin1ELi0ELb0ELc78ELc76EKPKS1_KPS1_EviT_PT9_S7_lS9_S7_lPT10_S7_li
    .private_segment_fixed_size: 0
    .sgpr_count:     24
    .sgpr_spill_count: 0
    .symbol:         _ZL37rocblas_syrkx_herkx_restricted_kernelIi19rocblas_complex_numIdELi16ELi32ELi8ELin1ELi0ELb0ELc78ELc76EKPKS1_KPS1_EviT_PT9_S7_lS9_S7_lPT10_S7_li.kd
    .uniform_work_group_size: 1
    .uses_dynamic_stack: false
    .vgpr_count:     54
    .vgpr_spill_count: 0
    .wavefront_size: 64
  - .args:
      - .offset:         0
        .size:           4
        .value_kind:     by_value
      - .offset:         4
        .size:           4
        .value_kind:     by_value
      - .address_space:  global
        .offset:         8
        .size:           8
        .value_kind:     global_buffer
      - .offset:         16
        .size:           4
        .value_kind:     by_value
      - .offset:         24
        .size:           8
        .value_kind:     by_value
      - .address_space:  global
        .offset:         32
        .size:           8
        .value_kind:     global_buffer
      - .offset:         40
        .size:           4
        .value_kind:     by_value
      - .offset:         48
        .size:           8
        .value_kind:     by_value
      - .address_space:  global
        .offset:         56
        .size:           8
        .value_kind:     global_buffer
      - .offset:         64
        .size:           4
        .value_kind:     by_value
      - .offset:         72
        .size:           8
        .value_kind:     by_value
      - .offset:         80
        .size:           4
        .value_kind:     by_value
    .group_segment_fixed_size: 8192
    .kernarg_segment_align: 8
    .kernarg_segment_size: 84
    .language:       OpenCL C
    .language_version:
      - 2
      - 0
    .max_flat_workgroup_size: 256
    .name:           _ZL37rocblas_syrkx_herkx_restricted_kernelIi19rocblas_complex_numIdELi16ELi32ELi8ELin1ELi0ELb0ELc84ELc85EKPKS1_KPS1_EviT_PT9_S7_lS9_S7_lPT10_S7_li
    .private_segment_fixed_size: 0
    .sgpr_count:     21
    .sgpr_spill_count: 0
    .symbol:         _ZL37rocblas_syrkx_herkx_restricted_kernelIi19rocblas_complex_numIdELi16ELi32ELi8ELin1ELi0ELb0ELc84ELc85EKPKS1_KPS1_EviT_PT9_S7_lS9_S7_lPT10_S7_li.kd
    .uniform_work_group_size: 1
    .uses_dynamic_stack: false
    .vgpr_count:     52
    .vgpr_spill_count: 0
    .wavefront_size: 64
  - .args:
      - .offset:         0
        .size:           4
        .value_kind:     by_value
      - .offset:         4
        .size:           4
        .value_kind:     by_value
      - .address_space:  global
        .offset:         8
        .size:           8
        .value_kind:     global_buffer
      - .offset:         16
        .size:           4
        .value_kind:     by_value
      - .offset:         24
        .size:           8
        .value_kind:     by_value
      - .address_space:  global
        .offset:         32
        .size:           8
        .value_kind:     global_buffer
      - .offset:         40
        .size:           4
        .value_kind:     by_value
      - .offset:         48
        .size:           8
        .value_kind:     by_value
      - .address_space:  global
        .offset:         56
        .size:           8
        .value_kind:     global_buffer
      - .offset:         64
        .size:           4
        .value_kind:     by_value
      - .offset:         72
        .size:           8
        .value_kind:     by_value
      - .offset:         80
        .size:           4
        .value_kind:     by_value
    .group_segment_fixed_size: 8192
    .kernarg_segment_align: 8
    .kernarg_segment_size: 84
    .language:       OpenCL C
    .language_version:
      - 2
      - 0
    .max_flat_workgroup_size: 256
    .name:           _ZL37rocblas_syrkx_herkx_restricted_kernelIi19rocblas_complex_numIdELi16ELi32ELi8ELin1ELi0ELb0ELc67ELc85EKPKS1_KPS1_EviT_PT9_S7_lS9_S7_lPT10_S7_li
    .private_segment_fixed_size: 0
    .sgpr_count:     21
    .sgpr_spill_count: 0
    .symbol:         _ZL37rocblas_syrkx_herkx_restricted_kernelIi19rocblas_complex_numIdELi16ELi32ELi8ELin1ELi0ELb0ELc67ELc85EKPKS1_KPS1_EviT_PT9_S7_lS9_S7_lPT10_S7_li.kd
    .uniform_work_group_size: 1
    .uses_dynamic_stack: false
    .vgpr_count:     52
    .vgpr_spill_count: 0
    .wavefront_size: 64
  - .args:
      - .offset:         0
        .size:           4
        .value_kind:     by_value
      - .offset:         4
        .size:           4
        .value_kind:     by_value
      - .address_space:  global
        .offset:         8
        .size:           8
        .value_kind:     global_buffer
      - .offset:         16
        .size:           4
        .value_kind:     by_value
      - .offset:         24
        .size:           8
        .value_kind:     by_value
      - .address_space:  global
        .offset:         32
        .size:           8
        .value_kind:     global_buffer
      - .offset:         40
        .size:           4
        .value_kind:     by_value
      - .offset:         48
        .size:           8
        .value_kind:     by_value
      - .address_space:  global
        .offset:         56
        .size:           8
        .value_kind:     global_buffer
      - .offset:         64
        .size:           4
        .value_kind:     by_value
      - .offset:         72
        .size:           8
        .value_kind:     by_value
      - .offset:         80
        .size:           4
        .value_kind:     by_value
    .group_segment_fixed_size: 8192
    .kernarg_segment_align: 8
    .kernarg_segment_size: 84
    .language:       OpenCL C
    .language_version:
      - 2
      - 0
    .max_flat_workgroup_size: 256
    .name:           _ZL37rocblas_syrkx_herkx_restricted_kernelIi19rocblas_complex_numIdELi16ELi32ELi8ELin1ELi0ELb0ELc78ELc85EKPKS1_KPS1_EviT_PT9_S7_lS9_S7_lPT10_S7_li
    .private_segment_fixed_size: 0
    .sgpr_count:     24
    .sgpr_spill_count: 0
    .symbol:         _ZL37rocblas_syrkx_herkx_restricted_kernelIi19rocblas_complex_numIdELi16ELi32ELi8ELin1ELi0ELb0ELc78ELc85EKPKS1_KPS1_EviT_PT9_S7_lS9_S7_lPT10_S7_li.kd
    .uniform_work_group_size: 1
    .uses_dynamic_stack: false
    .vgpr_count:     54
    .vgpr_spill_count: 0
    .wavefront_size: 64
  - .args:
      - .offset:         0
        .size:           4
        .value_kind:     by_value
      - .offset:         4
        .size:           4
        .value_kind:     by_value
      - .offset:         8
        .size:           16
        .value_kind:     by_value
      - .address_space:  global
        .offset:         24
        .size:           8
        .value_kind:     global_buffer
      - .offset:         32
        .size:           4
        .value_kind:     by_value
      - .offset:         40
        .size:           8
        .value_kind:     by_value
      - .address_space:  global
        .offset:         48
        .size:           8
        .value_kind:     global_buffer
      - .offset:         56
        .size:           4
        .value_kind:     by_value
      - .offset:         64
        .size:           8
        .value_kind:     by_value
      - .offset:         72
        .size:           16
        .value_kind:     by_value
      - .address_space:  global
        .offset:         88
        .size:           8
        .value_kind:     global_buffer
      - .offset:         96
        .size:           4
        .value_kind:     by_value
      - .offset:         104
        .size:           8
        .value_kind:     by_value
      - .offset:         112
        .size:           4
        .value_kind:     by_value
    .group_segment_fixed_size: 8192
    .kernarg_segment_align: 8
    .kernarg_segment_size: 116
    .language:       OpenCL C
    .language_version:
      - 2
      - 0
    .max_flat_workgroup_size: 256
    .name:           _ZL37rocblas_syrkx_herkx_restricted_kernelIi19rocblas_complex_numIdELi16ELi32ELi8ELb1ELb0ELc84ELc76EKPKS1_KPS1_EviT_T0_PT8_S7_lSA_S7_lS8_PT9_S7_li
    .private_segment_fixed_size: 0
    .sgpr_count:     25
    .sgpr_spill_count: 0
    .symbol:         _ZL37rocblas_syrkx_herkx_restricted_kernelIi19rocblas_complex_numIdELi16ELi32ELi8ELb1ELb0ELc84ELc76EKPKS1_KPS1_EviT_T0_PT8_S7_lSA_S7_lS8_PT9_S7_li.kd
    .uniform_work_group_size: 1
    .uses_dynamic_stack: false
    .vgpr_count:     52
    .vgpr_spill_count: 0
    .wavefront_size: 64
  - .args:
      - .offset:         0
        .size:           4
        .value_kind:     by_value
      - .offset:         4
        .size:           4
        .value_kind:     by_value
      - .offset:         8
        .size:           16
        .value_kind:     by_value
      - .address_space:  global
        .offset:         24
        .size:           8
        .value_kind:     global_buffer
      - .offset:         32
        .size:           4
        .value_kind:     by_value
      - .offset:         40
        .size:           8
        .value_kind:     by_value
      - .address_space:  global
        .offset:         48
        .size:           8
        .value_kind:     global_buffer
      - .offset:         56
        .size:           4
        .value_kind:     by_value
      - .offset:         64
        .size:           8
        .value_kind:     by_value
      - .offset:         72
        .size:           16
        .value_kind:     by_value
      - .address_space:  global
        .offset:         88
        .size:           8
        .value_kind:     global_buffer
      - .offset:         96
        .size:           4
        .value_kind:     by_value
      - .offset:         104
        .size:           8
        .value_kind:     by_value
      - .offset:         112
        .size:           4
        .value_kind:     by_value
    .group_segment_fixed_size: 8192
    .kernarg_segment_align: 8
    .kernarg_segment_size: 116
    .language:       OpenCL C
    .language_version:
      - 2
      - 0
    .max_flat_workgroup_size: 256
    .name:           _ZL37rocblas_syrkx_herkx_restricted_kernelIi19rocblas_complex_numIdELi16ELi32ELi8ELb1ELb0ELc67ELc76EKPKS1_KPS1_EviT_T0_PT8_S7_lSA_S7_lS8_PT9_S7_li
    .private_segment_fixed_size: 0
    .sgpr_count:     25
    .sgpr_spill_count: 0
    .symbol:         _ZL37rocblas_syrkx_herkx_restricted_kernelIi19rocblas_complex_numIdELi16ELi32ELi8ELb1ELb0ELc67ELc76EKPKS1_KPS1_EviT_T0_PT8_S7_lSA_S7_lS8_PT9_S7_li.kd
    .uniform_work_group_size: 1
    .uses_dynamic_stack: false
    .vgpr_count:     52
    .vgpr_spill_count: 0
    .wavefront_size: 64
  - .args:
      - .offset:         0
        .size:           4
        .value_kind:     by_value
      - .offset:         4
        .size:           4
        .value_kind:     by_value
      - .offset:         8
        .size:           16
        .value_kind:     by_value
      - .address_space:  global
        .offset:         24
        .size:           8
        .value_kind:     global_buffer
      - .offset:         32
        .size:           4
        .value_kind:     by_value
      - .offset:         40
        .size:           8
        .value_kind:     by_value
      - .address_space:  global
        .offset:         48
        .size:           8
        .value_kind:     global_buffer
      - .offset:         56
        .size:           4
        .value_kind:     by_value
      - .offset:         64
        .size:           8
        .value_kind:     by_value
      - .offset:         72
        .size:           16
        .value_kind:     by_value
      - .address_space:  global
        .offset:         88
        .size:           8
        .value_kind:     global_buffer
      - .offset:         96
        .size:           4
        .value_kind:     by_value
      - .offset:         104
        .size:           8
        .value_kind:     by_value
      - .offset:         112
        .size:           4
        .value_kind:     by_value
    .group_segment_fixed_size: 8192
    .kernarg_segment_align: 8
    .kernarg_segment_size: 116
    .language:       OpenCL C
    .language_version:
      - 2
      - 0
    .max_flat_workgroup_size: 256
    .name:           _ZL37rocblas_syrkx_herkx_restricted_kernelIi19rocblas_complex_numIdELi16ELi32ELi8ELb1ELb0ELc78ELc76EKPKS1_KPS1_EviT_T0_PT8_S7_lSA_S7_lS8_PT9_S7_li
    .private_segment_fixed_size: 0
    .sgpr_count:     28
    .sgpr_spill_count: 0
    .symbol:         _ZL37rocblas_syrkx_herkx_restricted_kernelIi19rocblas_complex_numIdELi16ELi32ELi8ELb1ELb0ELc78ELc76EKPKS1_KPS1_EviT_T0_PT8_S7_lSA_S7_lS8_PT9_S7_li.kd
    .uniform_work_group_size: 1
    .uses_dynamic_stack: false
    .vgpr_count:     54
    .vgpr_spill_count: 0
    .wavefront_size: 64
  - .args:
      - .offset:         0
        .size:           4
        .value_kind:     by_value
      - .offset:         4
        .size:           4
        .value_kind:     by_value
      - .offset:         8
        .size:           16
        .value_kind:     by_value
      - .address_space:  global
        .offset:         24
        .size:           8
        .value_kind:     global_buffer
      - .offset:         32
        .size:           4
        .value_kind:     by_value
      - .offset:         40
        .size:           8
        .value_kind:     by_value
      - .address_space:  global
        .offset:         48
        .size:           8
        .value_kind:     global_buffer
      - .offset:         56
        .size:           4
        .value_kind:     by_value
      - .offset:         64
        .size:           8
        .value_kind:     by_value
      - .offset:         72
        .size:           16
        .value_kind:     by_value
      - .address_space:  global
        .offset:         88
        .size:           8
        .value_kind:     global_buffer
      - .offset:         96
        .size:           4
        .value_kind:     by_value
      - .offset:         104
        .size:           8
        .value_kind:     by_value
      - .offset:         112
        .size:           4
        .value_kind:     by_value
    .group_segment_fixed_size: 8192
    .kernarg_segment_align: 8
    .kernarg_segment_size: 116
    .language:       OpenCL C
    .language_version:
      - 2
      - 0
    .max_flat_workgroup_size: 256
    .name:           _ZL37rocblas_syrkx_herkx_restricted_kernelIi19rocblas_complex_numIdELi16ELi32ELi8ELb1ELb0ELc84ELc85EKPKS1_KPS1_EviT_T0_PT8_S7_lSA_S7_lS8_PT9_S7_li
    .private_segment_fixed_size: 0
    .sgpr_count:     25
    .sgpr_spill_count: 0
    .symbol:         _ZL37rocblas_syrkx_herkx_restricted_kernelIi19rocblas_complex_numIdELi16ELi32ELi8ELb1ELb0ELc84ELc85EKPKS1_KPS1_EviT_T0_PT8_S7_lSA_S7_lS8_PT9_S7_li.kd
    .uniform_work_group_size: 1
    .uses_dynamic_stack: false
    .vgpr_count:     52
    .vgpr_spill_count: 0
    .wavefront_size: 64
  - .args:
      - .offset:         0
        .size:           4
        .value_kind:     by_value
      - .offset:         4
        .size:           4
        .value_kind:     by_value
      - .offset:         8
        .size:           16
        .value_kind:     by_value
      - .address_space:  global
        .offset:         24
        .size:           8
        .value_kind:     global_buffer
      - .offset:         32
        .size:           4
        .value_kind:     by_value
      - .offset:         40
        .size:           8
        .value_kind:     by_value
      - .address_space:  global
        .offset:         48
        .size:           8
        .value_kind:     global_buffer
      - .offset:         56
        .size:           4
        .value_kind:     by_value
      - .offset:         64
        .size:           8
        .value_kind:     by_value
      - .offset:         72
        .size:           16
        .value_kind:     by_value
      - .address_space:  global
        .offset:         88
        .size:           8
        .value_kind:     global_buffer
      - .offset:         96
        .size:           4
        .value_kind:     by_value
      - .offset:         104
        .size:           8
        .value_kind:     by_value
      - .offset:         112
        .size:           4
        .value_kind:     by_value
    .group_segment_fixed_size: 8192
    .kernarg_segment_align: 8
    .kernarg_segment_size: 116
    .language:       OpenCL C
    .language_version:
      - 2
      - 0
    .max_flat_workgroup_size: 256
    .name:           _ZL37rocblas_syrkx_herkx_restricted_kernelIi19rocblas_complex_numIdELi16ELi32ELi8ELb1ELb0ELc67ELc85EKPKS1_KPS1_EviT_T0_PT8_S7_lSA_S7_lS8_PT9_S7_li
    .private_segment_fixed_size: 0
    .sgpr_count:     25
    .sgpr_spill_count: 0
    .symbol:         _ZL37rocblas_syrkx_herkx_restricted_kernelIi19rocblas_complex_numIdELi16ELi32ELi8ELb1ELb0ELc67ELc85EKPKS1_KPS1_EviT_T0_PT8_S7_lSA_S7_lS8_PT9_S7_li.kd
    .uniform_work_group_size: 1
    .uses_dynamic_stack: false
    .vgpr_count:     52
    .vgpr_spill_count: 0
    .wavefront_size: 64
  - .args:
      - .offset:         0
        .size:           4
        .value_kind:     by_value
      - .offset:         4
        .size:           4
        .value_kind:     by_value
      - .offset:         8
        .size:           16
        .value_kind:     by_value
      - .address_space:  global
        .offset:         24
        .size:           8
        .value_kind:     global_buffer
      - .offset:         32
        .size:           4
        .value_kind:     by_value
      - .offset:         40
        .size:           8
        .value_kind:     by_value
      - .address_space:  global
        .offset:         48
        .size:           8
        .value_kind:     global_buffer
      - .offset:         56
        .size:           4
        .value_kind:     by_value
      - .offset:         64
        .size:           8
        .value_kind:     by_value
      - .offset:         72
        .size:           16
        .value_kind:     by_value
      - .address_space:  global
        .offset:         88
        .size:           8
        .value_kind:     global_buffer
      - .offset:         96
        .size:           4
        .value_kind:     by_value
      - .offset:         104
        .size:           8
        .value_kind:     by_value
      - .offset:         112
        .size:           4
        .value_kind:     by_value
    .group_segment_fixed_size: 8192
    .kernarg_segment_align: 8
    .kernarg_segment_size: 116
    .language:       OpenCL C
    .language_version:
      - 2
      - 0
    .max_flat_workgroup_size: 256
    .name:           _ZL37rocblas_syrkx_herkx_restricted_kernelIi19rocblas_complex_numIdELi16ELi32ELi8ELb1ELb0ELc78ELc85EKPKS1_KPS1_EviT_T0_PT8_S7_lSA_S7_lS8_PT9_S7_li
    .private_segment_fixed_size: 0
    .sgpr_count:     28
    .sgpr_spill_count: 0
    .symbol:         _ZL37rocblas_syrkx_herkx_restricted_kernelIi19rocblas_complex_numIdELi16ELi32ELi8ELb1ELb0ELc78ELc85EKPKS1_KPS1_EviT_T0_PT8_S7_lSA_S7_lS8_PT9_S7_li.kd
    .uniform_work_group_size: 1
    .uses_dynamic_stack: false
    .vgpr_count:     54
    .vgpr_spill_count: 0
    .wavefront_size: 64
  - .args:
      - .offset:         0
        .size:           4
        .value_kind:     by_value
      - .offset:         4
        .size:           4
        .value_kind:     by_value
      - .offset:         8
        .size:           16
        .value_kind:     by_value
      - .address_space:  global
        .offset:         24
        .size:           8
        .value_kind:     global_buffer
      - .offset:         32
        .size:           4
        .value_kind:     by_value
      - .offset:         40
        .size:           8
        .value_kind:     by_value
      - .address_space:  global
        .offset:         48
        .size:           8
        .value_kind:     global_buffer
      - .offset:         56
        .size:           4
        .value_kind:     by_value
      - .offset:         64
        .size:           8
        .value_kind:     by_value
      - .offset:         72
        .size:           16
        .value_kind:     by_value
      - .address_space:  global
        .offset:         88
        .size:           8
        .value_kind:     global_buffer
      - .offset:         96
        .size:           4
        .value_kind:     by_value
      - .offset:         104
        .size:           8
        .value_kind:     by_value
      - .offset:         112
        .size:           4
        .value_kind:     by_value
    .group_segment_fixed_size: 8192
    .kernarg_segment_align: 8
    .kernarg_segment_size: 116
    .language:       OpenCL C
    .language_version:
      - 2
      - 0
    .max_flat_workgroup_size: 256
    .name:           _ZL37rocblas_syrkx_herkx_restricted_kernelIi19rocblas_complex_numIdELi16ELi32ELi8ELb0ELb0ELc84ELc76EKPKS1_KPS1_EviT_T0_PT8_S7_lSA_S7_lS8_PT9_S7_li
    .private_segment_fixed_size: 0
    .sgpr_count:     29
    .sgpr_spill_count: 0
    .symbol:         _ZL37rocblas_syrkx_herkx_restricted_kernelIi19rocblas_complex_numIdELi16ELi32ELi8ELb0ELb0ELc84ELc76EKPKS1_KPS1_EviT_T0_PT8_S7_lSA_S7_lS8_PT9_S7_li.kd
    .uniform_work_group_size: 1
    .uses_dynamic_stack: false
    .vgpr_count:     52
    .vgpr_spill_count: 0
    .wavefront_size: 64
  - .args:
      - .offset:         0
        .size:           4
        .value_kind:     by_value
      - .offset:         4
        .size:           4
        .value_kind:     by_value
      - .offset:         8
        .size:           16
        .value_kind:     by_value
      - .address_space:  global
        .offset:         24
        .size:           8
        .value_kind:     global_buffer
      - .offset:         32
        .size:           4
        .value_kind:     by_value
      - .offset:         40
        .size:           8
        .value_kind:     by_value
      - .address_space:  global
        .offset:         48
        .size:           8
        .value_kind:     global_buffer
      - .offset:         56
        .size:           4
        .value_kind:     by_value
      - .offset:         64
        .size:           8
        .value_kind:     by_value
      - .offset:         72
        .size:           16
        .value_kind:     by_value
      - .address_space:  global
        .offset:         88
        .size:           8
        .value_kind:     global_buffer
      - .offset:         96
        .size:           4
        .value_kind:     by_value
      - .offset:         104
        .size:           8
        .value_kind:     by_value
      - .offset:         112
        .size:           4
        .value_kind:     by_value
    .group_segment_fixed_size: 8192
    .kernarg_segment_align: 8
    .kernarg_segment_size: 116
    .language:       OpenCL C
    .language_version:
      - 2
      - 0
    .max_flat_workgroup_size: 256
    .name:           _ZL37rocblas_syrkx_herkx_restricted_kernelIi19rocblas_complex_numIdELi16ELi32ELi8ELb0ELb0ELc67ELc76EKPKS1_KPS1_EviT_T0_PT8_S7_lSA_S7_lS8_PT9_S7_li
    .private_segment_fixed_size: 0
    .sgpr_count:     29
    .sgpr_spill_count: 0
    .symbol:         _ZL37rocblas_syrkx_herkx_restricted_kernelIi19rocblas_complex_numIdELi16ELi32ELi8ELb0ELb0ELc67ELc76EKPKS1_KPS1_EviT_T0_PT8_S7_lSA_S7_lS8_PT9_S7_li.kd
    .uniform_work_group_size: 1
    .uses_dynamic_stack: false
    .vgpr_count:     52
    .vgpr_spill_count: 0
    .wavefront_size: 64
  - .args:
      - .offset:         0
        .size:           4
        .value_kind:     by_value
      - .offset:         4
        .size:           4
        .value_kind:     by_value
      - .offset:         8
        .size:           16
        .value_kind:     by_value
      - .address_space:  global
        .offset:         24
        .size:           8
        .value_kind:     global_buffer
      - .offset:         32
        .size:           4
        .value_kind:     by_value
      - .offset:         40
        .size:           8
        .value_kind:     by_value
      - .address_space:  global
        .offset:         48
        .size:           8
        .value_kind:     global_buffer
      - .offset:         56
        .size:           4
        .value_kind:     by_value
      - .offset:         64
        .size:           8
        .value_kind:     by_value
      - .offset:         72
        .size:           16
        .value_kind:     by_value
      - .address_space:  global
        .offset:         88
        .size:           8
        .value_kind:     global_buffer
      - .offset:         96
        .size:           4
        .value_kind:     by_value
      - .offset:         104
        .size:           8
        .value_kind:     by_value
      - .offset:         112
        .size:           4
        .value_kind:     by_value
    .group_segment_fixed_size: 8192
    .kernarg_segment_align: 8
    .kernarg_segment_size: 116
    .language:       OpenCL C
    .language_version:
      - 2
      - 0
    .max_flat_workgroup_size: 256
    .name:           _ZL37rocblas_syrkx_herkx_restricted_kernelIi19rocblas_complex_numIdELi16ELi32ELi8ELb0ELb0ELc78ELc76EKPKS1_KPS1_EviT_T0_PT8_S7_lSA_S7_lS8_PT9_S7_li
    .private_segment_fixed_size: 0
    .sgpr_count:     32
    .sgpr_spill_count: 0
    .symbol:         _ZL37rocblas_syrkx_herkx_restricted_kernelIi19rocblas_complex_numIdELi16ELi32ELi8ELb0ELb0ELc78ELc76EKPKS1_KPS1_EviT_T0_PT8_S7_lSA_S7_lS8_PT9_S7_li.kd
    .uniform_work_group_size: 1
    .uses_dynamic_stack: false
    .vgpr_count:     54
    .vgpr_spill_count: 0
    .wavefront_size: 64
  - .args:
      - .offset:         0
        .size:           4
        .value_kind:     by_value
      - .offset:         4
        .size:           4
        .value_kind:     by_value
      - .offset:         8
        .size:           16
        .value_kind:     by_value
      - .address_space:  global
        .offset:         24
        .size:           8
        .value_kind:     global_buffer
      - .offset:         32
        .size:           4
        .value_kind:     by_value
      - .offset:         40
        .size:           8
        .value_kind:     by_value
      - .address_space:  global
        .offset:         48
        .size:           8
        .value_kind:     global_buffer
      - .offset:         56
        .size:           4
        .value_kind:     by_value
      - .offset:         64
        .size:           8
        .value_kind:     by_value
      - .offset:         72
        .size:           16
        .value_kind:     by_value
      - .address_space:  global
        .offset:         88
        .size:           8
        .value_kind:     global_buffer
      - .offset:         96
        .size:           4
        .value_kind:     by_value
      - .offset:         104
        .size:           8
        .value_kind:     by_value
      - .offset:         112
        .size:           4
        .value_kind:     by_value
    .group_segment_fixed_size: 8192
    .kernarg_segment_align: 8
    .kernarg_segment_size: 116
    .language:       OpenCL C
    .language_version:
      - 2
      - 0
    .max_flat_workgroup_size: 256
    .name:           _ZL37rocblas_syrkx_herkx_restricted_kernelIi19rocblas_complex_numIdELi16ELi32ELi8ELb0ELb0ELc84ELc85EKPKS1_KPS1_EviT_T0_PT8_S7_lSA_S7_lS8_PT9_S7_li
    .private_segment_fixed_size: 0
    .sgpr_count:     29
    .sgpr_spill_count: 0
    .symbol:         _ZL37rocblas_syrkx_herkx_restricted_kernelIi19rocblas_complex_numIdELi16ELi32ELi8ELb0ELb0ELc84ELc85EKPKS1_KPS1_EviT_T0_PT8_S7_lSA_S7_lS8_PT9_S7_li.kd
    .uniform_work_group_size: 1
    .uses_dynamic_stack: false
    .vgpr_count:     52
    .vgpr_spill_count: 0
    .wavefront_size: 64
  - .args:
      - .offset:         0
        .size:           4
        .value_kind:     by_value
      - .offset:         4
        .size:           4
        .value_kind:     by_value
      - .offset:         8
        .size:           16
        .value_kind:     by_value
      - .address_space:  global
        .offset:         24
        .size:           8
        .value_kind:     global_buffer
      - .offset:         32
        .size:           4
        .value_kind:     by_value
      - .offset:         40
        .size:           8
        .value_kind:     by_value
      - .address_space:  global
        .offset:         48
        .size:           8
        .value_kind:     global_buffer
      - .offset:         56
        .size:           4
        .value_kind:     by_value
      - .offset:         64
        .size:           8
        .value_kind:     by_value
      - .offset:         72
        .size:           16
        .value_kind:     by_value
      - .address_space:  global
        .offset:         88
        .size:           8
        .value_kind:     global_buffer
      - .offset:         96
        .size:           4
        .value_kind:     by_value
      - .offset:         104
        .size:           8
        .value_kind:     by_value
      - .offset:         112
        .size:           4
        .value_kind:     by_value
    .group_segment_fixed_size: 8192
    .kernarg_segment_align: 8
    .kernarg_segment_size: 116
    .language:       OpenCL C
    .language_version:
      - 2
      - 0
    .max_flat_workgroup_size: 256
    .name:           _ZL37rocblas_syrkx_herkx_restricted_kernelIi19rocblas_complex_numIdELi16ELi32ELi8ELb0ELb0ELc67ELc85EKPKS1_KPS1_EviT_T0_PT8_S7_lSA_S7_lS8_PT9_S7_li
    .private_segment_fixed_size: 0
    .sgpr_count:     29
    .sgpr_spill_count: 0
    .symbol:         _ZL37rocblas_syrkx_herkx_restricted_kernelIi19rocblas_complex_numIdELi16ELi32ELi8ELb0ELb0ELc67ELc85EKPKS1_KPS1_EviT_T0_PT8_S7_lSA_S7_lS8_PT9_S7_li.kd
    .uniform_work_group_size: 1
    .uses_dynamic_stack: false
    .vgpr_count:     52
    .vgpr_spill_count: 0
    .wavefront_size: 64
  - .args:
      - .offset:         0
        .size:           4
        .value_kind:     by_value
      - .offset:         4
        .size:           4
        .value_kind:     by_value
      - .offset:         8
        .size:           16
        .value_kind:     by_value
      - .address_space:  global
        .offset:         24
        .size:           8
        .value_kind:     global_buffer
      - .offset:         32
        .size:           4
        .value_kind:     by_value
      - .offset:         40
        .size:           8
        .value_kind:     by_value
      - .address_space:  global
        .offset:         48
        .size:           8
        .value_kind:     global_buffer
      - .offset:         56
        .size:           4
        .value_kind:     by_value
      - .offset:         64
        .size:           8
        .value_kind:     by_value
      - .offset:         72
        .size:           16
        .value_kind:     by_value
      - .address_space:  global
        .offset:         88
        .size:           8
        .value_kind:     global_buffer
      - .offset:         96
        .size:           4
        .value_kind:     by_value
      - .offset:         104
        .size:           8
        .value_kind:     by_value
      - .offset:         112
        .size:           4
        .value_kind:     by_value
    .group_segment_fixed_size: 8192
    .kernarg_segment_align: 8
    .kernarg_segment_size: 116
    .language:       OpenCL C
    .language_version:
      - 2
      - 0
    .max_flat_workgroup_size: 256
    .name:           _ZL37rocblas_syrkx_herkx_restricted_kernelIi19rocblas_complex_numIdELi16ELi32ELi8ELb0ELb0ELc78ELc85EKPKS1_KPS1_EviT_T0_PT8_S7_lSA_S7_lS8_PT9_S7_li
    .private_segment_fixed_size: 0
    .sgpr_count:     32
    .sgpr_spill_count: 0
    .symbol:         _ZL37rocblas_syrkx_herkx_restricted_kernelIi19rocblas_complex_numIdELi16ELi32ELi8ELb0ELb0ELc78ELc85EKPKS1_KPS1_EviT_T0_PT8_S7_lSA_S7_lS8_PT9_S7_li.kd
    .uniform_work_group_size: 1
    .uses_dynamic_stack: false
    .vgpr_count:     54
    .vgpr_spill_count: 0
    .wavefront_size: 64
  - .args:
      - .offset:         0
        .size:           4
        .value_kind:     by_value
      - .offset:         4
        .size:           4
        .value_kind:     by_value
      - .offset:         8
        .size:           16
        .value_kind:     by_value
      - .address_space:  global
        .offset:         24
        .size:           8
        .value_kind:     global_buffer
      - .offset:         32
        .size:           4
        .value_kind:     by_value
      - .offset:         40
        .size:           8
        .value_kind:     by_value
      - .address_space:  global
        .offset:         48
        .size:           8
        .value_kind:     global_buffer
      - .offset:         56
        .size:           4
        .value_kind:     by_value
      - .offset:         64
        .size:           8
        .value_kind:     by_value
      - .offset:         72
        .size:           16
        .value_kind:     by_value
      - .address_space:  global
        .offset:         88
        .size:           8
        .value_kind:     global_buffer
      - .offset:         96
        .size:           4
        .value_kind:     by_value
      - .offset:         104
        .size:           8
        .value_kind:     by_value
      - .offset:         112
        .size:           4
        .value_kind:     by_value
    .group_segment_fixed_size: 8192
    .kernarg_segment_align: 8
    .kernarg_segment_size: 116
    .language:       OpenCL C
    .language_version:
      - 2
      - 0
    .max_flat_workgroup_size: 256
    .name:           _ZL41rocblas_syrkx_herkx_small_restrict_kernelIi19rocblas_complex_numIdELi16ELb1ELb0ELc84ELc76EKPKS1_KPS1_EviT_T0_PT6_S7_lSA_S7_lS8_PT7_S7_li
    .private_segment_fixed_size: 0
    .sgpr_count:     22
    .sgpr_spill_count: 0
    .symbol:         _ZL41rocblas_syrkx_herkx_small_restrict_kernelIi19rocblas_complex_numIdELi16ELb1ELb0ELc84ELc76EKPKS1_KPS1_EviT_T0_PT6_S7_lSA_S7_lS8_PT7_S7_li.kd
    .uniform_work_group_size: 1
    .uses_dynamic_stack: false
    .vgpr_count:     36
    .vgpr_spill_count: 0
    .wavefront_size: 64
  - .args:
      - .offset:         0
        .size:           4
        .value_kind:     by_value
      - .offset:         4
        .size:           4
        .value_kind:     by_value
      - .offset:         8
        .size:           16
        .value_kind:     by_value
      - .address_space:  global
        .offset:         24
        .size:           8
        .value_kind:     global_buffer
      - .offset:         32
        .size:           4
        .value_kind:     by_value
      - .offset:         40
        .size:           8
        .value_kind:     by_value
      - .address_space:  global
        .offset:         48
        .size:           8
        .value_kind:     global_buffer
      - .offset:         56
        .size:           4
        .value_kind:     by_value
      - .offset:         64
        .size:           8
        .value_kind:     by_value
      - .offset:         72
        .size:           16
        .value_kind:     by_value
      - .address_space:  global
        .offset:         88
        .size:           8
        .value_kind:     global_buffer
      - .offset:         96
        .size:           4
        .value_kind:     by_value
      - .offset:         104
        .size:           8
        .value_kind:     by_value
      - .offset:         112
        .size:           4
        .value_kind:     by_value
    .group_segment_fixed_size: 8192
    .kernarg_segment_align: 8
    .kernarg_segment_size: 116
    .language:       OpenCL C
    .language_version:
      - 2
      - 0
    .max_flat_workgroup_size: 256
    .name:           _ZL41rocblas_syrkx_herkx_small_restrict_kernelIi19rocblas_complex_numIdELi16ELb1ELb0ELc67ELc76EKPKS1_KPS1_EviT_T0_PT6_S7_lSA_S7_lS8_PT7_S7_li
    .private_segment_fixed_size: 0
    .sgpr_count:     22
    .sgpr_spill_count: 0
    .symbol:         _ZL41rocblas_syrkx_herkx_small_restrict_kernelIi19rocblas_complex_numIdELi16ELb1ELb0ELc67ELc76EKPKS1_KPS1_EviT_T0_PT6_S7_lSA_S7_lS8_PT7_S7_li.kd
    .uniform_work_group_size: 1
    .uses_dynamic_stack: false
    .vgpr_count:     36
    .vgpr_spill_count: 0
    .wavefront_size: 64
  - .args:
      - .offset:         0
        .size:           4
        .value_kind:     by_value
      - .offset:         4
        .size:           4
        .value_kind:     by_value
      - .offset:         8
        .size:           16
        .value_kind:     by_value
      - .address_space:  global
        .offset:         24
        .size:           8
        .value_kind:     global_buffer
      - .offset:         32
        .size:           4
        .value_kind:     by_value
      - .offset:         40
        .size:           8
        .value_kind:     by_value
      - .address_space:  global
        .offset:         48
        .size:           8
        .value_kind:     global_buffer
      - .offset:         56
        .size:           4
        .value_kind:     by_value
      - .offset:         64
        .size:           8
        .value_kind:     by_value
      - .offset:         72
        .size:           16
        .value_kind:     by_value
      - .address_space:  global
        .offset:         88
        .size:           8
        .value_kind:     global_buffer
      - .offset:         96
        .size:           4
        .value_kind:     by_value
      - .offset:         104
        .size:           8
        .value_kind:     by_value
      - .offset:         112
        .size:           4
        .value_kind:     by_value
    .group_segment_fixed_size: 8192
    .kernarg_segment_align: 8
    .kernarg_segment_size: 116
    .language:       OpenCL C
    .language_version:
      - 2
      - 0
    .max_flat_workgroup_size: 256
    .name:           _ZL41rocblas_syrkx_herkx_small_restrict_kernelIi19rocblas_complex_numIdELi16ELb1ELb0ELc78ELc76EKPKS1_KPS1_EviT_T0_PT6_S7_lSA_S7_lS8_PT7_S7_li
    .private_segment_fixed_size: 0
    .sgpr_count:     26
    .sgpr_spill_count: 0
    .symbol:         _ZL41rocblas_syrkx_herkx_small_restrict_kernelIi19rocblas_complex_numIdELi16ELb1ELb0ELc78ELc76EKPKS1_KPS1_EviT_T0_PT6_S7_lSA_S7_lS8_PT7_S7_li.kd
    .uniform_work_group_size: 1
    .uses_dynamic_stack: false
    .vgpr_count:     38
    .vgpr_spill_count: 0
    .wavefront_size: 64
  - .args:
      - .offset:         0
        .size:           4
        .value_kind:     by_value
      - .offset:         4
        .size:           4
        .value_kind:     by_value
      - .offset:         8
        .size:           16
        .value_kind:     by_value
      - .address_space:  global
        .offset:         24
        .size:           8
        .value_kind:     global_buffer
      - .offset:         32
        .size:           4
        .value_kind:     by_value
      - .offset:         40
        .size:           8
        .value_kind:     by_value
      - .address_space:  global
        .offset:         48
        .size:           8
        .value_kind:     global_buffer
      - .offset:         56
        .size:           4
        .value_kind:     by_value
      - .offset:         64
        .size:           8
        .value_kind:     by_value
      - .offset:         72
        .size:           16
        .value_kind:     by_value
      - .address_space:  global
        .offset:         88
        .size:           8
        .value_kind:     global_buffer
      - .offset:         96
        .size:           4
        .value_kind:     by_value
      - .offset:         104
        .size:           8
        .value_kind:     by_value
      - .offset:         112
        .size:           4
        .value_kind:     by_value
    .group_segment_fixed_size: 8192
    .kernarg_segment_align: 8
    .kernarg_segment_size: 116
    .language:       OpenCL C
    .language_version:
      - 2
      - 0
    .max_flat_workgroup_size: 256
    .name:           _ZL41rocblas_syrkx_herkx_small_restrict_kernelIi19rocblas_complex_numIdELi16ELb1ELb0ELc84ELc85EKPKS1_KPS1_EviT_T0_PT6_S7_lSA_S7_lS8_PT7_S7_li
    .private_segment_fixed_size: 0
    .sgpr_count:     22
    .sgpr_spill_count: 0
    .symbol:         _ZL41rocblas_syrkx_herkx_small_restrict_kernelIi19rocblas_complex_numIdELi16ELb1ELb0ELc84ELc85EKPKS1_KPS1_EviT_T0_PT6_S7_lSA_S7_lS8_PT7_S7_li.kd
    .uniform_work_group_size: 1
    .uses_dynamic_stack: false
    .vgpr_count:     36
    .vgpr_spill_count: 0
    .wavefront_size: 64
  - .args:
      - .offset:         0
        .size:           4
        .value_kind:     by_value
      - .offset:         4
        .size:           4
        .value_kind:     by_value
      - .offset:         8
        .size:           16
        .value_kind:     by_value
      - .address_space:  global
        .offset:         24
        .size:           8
        .value_kind:     global_buffer
      - .offset:         32
        .size:           4
        .value_kind:     by_value
      - .offset:         40
        .size:           8
        .value_kind:     by_value
      - .address_space:  global
        .offset:         48
        .size:           8
        .value_kind:     global_buffer
      - .offset:         56
        .size:           4
        .value_kind:     by_value
      - .offset:         64
        .size:           8
        .value_kind:     by_value
      - .offset:         72
        .size:           16
        .value_kind:     by_value
      - .address_space:  global
        .offset:         88
        .size:           8
        .value_kind:     global_buffer
      - .offset:         96
        .size:           4
        .value_kind:     by_value
      - .offset:         104
        .size:           8
        .value_kind:     by_value
      - .offset:         112
        .size:           4
        .value_kind:     by_value
    .group_segment_fixed_size: 8192
    .kernarg_segment_align: 8
    .kernarg_segment_size: 116
    .language:       OpenCL C
    .language_version:
      - 2
      - 0
    .max_flat_workgroup_size: 256
    .name:           _ZL41rocblas_syrkx_herkx_small_restrict_kernelIi19rocblas_complex_numIdELi16ELb1ELb0ELc67ELc85EKPKS1_KPS1_EviT_T0_PT6_S7_lSA_S7_lS8_PT7_S7_li
    .private_segment_fixed_size: 0
    .sgpr_count:     22
    .sgpr_spill_count: 0
    .symbol:         _ZL41rocblas_syrkx_herkx_small_restrict_kernelIi19rocblas_complex_numIdELi16ELb1ELb0ELc67ELc85EKPKS1_KPS1_EviT_T0_PT6_S7_lSA_S7_lS8_PT7_S7_li.kd
    .uniform_work_group_size: 1
    .uses_dynamic_stack: false
    .vgpr_count:     36
    .vgpr_spill_count: 0
    .wavefront_size: 64
  - .args:
      - .offset:         0
        .size:           4
        .value_kind:     by_value
      - .offset:         4
        .size:           4
        .value_kind:     by_value
      - .offset:         8
        .size:           16
        .value_kind:     by_value
      - .address_space:  global
        .offset:         24
        .size:           8
        .value_kind:     global_buffer
      - .offset:         32
        .size:           4
        .value_kind:     by_value
      - .offset:         40
        .size:           8
        .value_kind:     by_value
      - .address_space:  global
        .offset:         48
        .size:           8
        .value_kind:     global_buffer
      - .offset:         56
        .size:           4
        .value_kind:     by_value
      - .offset:         64
        .size:           8
        .value_kind:     by_value
      - .offset:         72
        .size:           16
        .value_kind:     by_value
      - .address_space:  global
        .offset:         88
        .size:           8
        .value_kind:     global_buffer
      - .offset:         96
        .size:           4
        .value_kind:     by_value
      - .offset:         104
        .size:           8
        .value_kind:     by_value
      - .offset:         112
        .size:           4
        .value_kind:     by_value
    .group_segment_fixed_size: 8192
    .kernarg_segment_align: 8
    .kernarg_segment_size: 116
    .language:       OpenCL C
    .language_version:
      - 2
      - 0
    .max_flat_workgroup_size: 256
    .name:           _ZL41rocblas_syrkx_herkx_small_restrict_kernelIi19rocblas_complex_numIdELi16ELb1ELb0ELc78ELc85EKPKS1_KPS1_EviT_T0_PT6_S7_lSA_S7_lS8_PT7_S7_li
    .private_segment_fixed_size: 0
    .sgpr_count:     26
    .sgpr_spill_count: 0
    .symbol:         _ZL41rocblas_syrkx_herkx_small_restrict_kernelIi19rocblas_complex_numIdELi16ELb1ELb0ELc78ELc85EKPKS1_KPS1_EviT_T0_PT6_S7_lSA_S7_lS8_PT7_S7_li.kd
    .uniform_work_group_size: 1
    .uses_dynamic_stack: false
    .vgpr_count:     38
    .vgpr_spill_count: 0
    .wavefront_size: 64
  - .args:
      - .offset:         0
        .size:           4
        .value_kind:     by_value
      - .offset:         4
        .size:           4
        .value_kind:     by_value
      - .offset:         8
        .size:           16
        .value_kind:     by_value
      - .address_space:  global
        .offset:         24
        .size:           8
        .value_kind:     global_buffer
      - .offset:         32
        .size:           4
        .value_kind:     by_value
      - .offset:         40
        .size:           8
        .value_kind:     by_value
      - .address_space:  global
        .offset:         48
        .size:           8
        .value_kind:     global_buffer
      - .offset:         56
        .size:           4
        .value_kind:     by_value
      - .offset:         64
        .size:           8
        .value_kind:     by_value
      - .offset:         72
        .size:           16
        .value_kind:     by_value
      - .address_space:  global
        .offset:         88
        .size:           8
        .value_kind:     global_buffer
      - .offset:         96
        .size:           4
        .value_kind:     by_value
      - .offset:         104
        .size:           8
        .value_kind:     by_value
      - .offset:         112
        .size:           4
        .value_kind:     by_value
    .group_segment_fixed_size: 8192
    .kernarg_segment_align: 8
    .kernarg_segment_size: 116
    .language:       OpenCL C
    .language_version:
      - 2
      - 0
    .max_flat_workgroup_size: 256
    .name:           _ZL41rocblas_syrkx_herkx_small_restrict_kernelIi19rocblas_complex_numIdELi16ELb0ELb0ELc84ELc76EKPKS1_KPS1_EviT_T0_PT6_S7_lSA_S7_lS8_PT7_S7_li
    .private_segment_fixed_size: 0
    .sgpr_count:     26
    .sgpr_spill_count: 0
    .symbol:         _ZL41rocblas_syrkx_herkx_small_restrict_kernelIi19rocblas_complex_numIdELi16ELb0ELb0ELc84ELc76EKPKS1_KPS1_EviT_T0_PT6_S7_lSA_S7_lS8_PT7_S7_li.kd
    .uniform_work_group_size: 1
    .uses_dynamic_stack: false
    .vgpr_count:     36
    .vgpr_spill_count: 0
    .wavefront_size: 64
  - .args:
      - .offset:         0
        .size:           4
        .value_kind:     by_value
      - .offset:         4
        .size:           4
        .value_kind:     by_value
      - .offset:         8
        .size:           16
        .value_kind:     by_value
      - .address_space:  global
        .offset:         24
        .size:           8
        .value_kind:     global_buffer
      - .offset:         32
        .size:           4
        .value_kind:     by_value
      - .offset:         40
        .size:           8
        .value_kind:     by_value
      - .address_space:  global
        .offset:         48
        .size:           8
        .value_kind:     global_buffer
      - .offset:         56
        .size:           4
        .value_kind:     by_value
      - .offset:         64
        .size:           8
        .value_kind:     by_value
      - .offset:         72
        .size:           16
        .value_kind:     by_value
      - .address_space:  global
        .offset:         88
        .size:           8
        .value_kind:     global_buffer
      - .offset:         96
        .size:           4
        .value_kind:     by_value
      - .offset:         104
        .size:           8
        .value_kind:     by_value
      - .offset:         112
        .size:           4
        .value_kind:     by_value
    .group_segment_fixed_size: 8192
    .kernarg_segment_align: 8
    .kernarg_segment_size: 116
    .language:       OpenCL C
    .language_version:
      - 2
      - 0
    .max_flat_workgroup_size: 256
    .name:           _ZL41rocblas_syrkx_herkx_small_restrict_kernelIi19rocblas_complex_numIdELi16ELb0ELb0ELc67ELc76EKPKS1_KPS1_EviT_T0_PT6_S7_lSA_S7_lS8_PT7_S7_li
    .private_segment_fixed_size: 0
    .sgpr_count:     26
    .sgpr_spill_count: 0
    .symbol:         _ZL41rocblas_syrkx_herkx_small_restrict_kernelIi19rocblas_complex_numIdELi16ELb0ELb0ELc67ELc76EKPKS1_KPS1_EviT_T0_PT6_S7_lSA_S7_lS8_PT7_S7_li.kd
    .uniform_work_group_size: 1
    .uses_dynamic_stack: false
    .vgpr_count:     36
    .vgpr_spill_count: 0
    .wavefront_size: 64
  - .args:
      - .offset:         0
        .size:           4
        .value_kind:     by_value
      - .offset:         4
        .size:           4
        .value_kind:     by_value
      - .offset:         8
        .size:           16
        .value_kind:     by_value
      - .address_space:  global
        .offset:         24
        .size:           8
        .value_kind:     global_buffer
      - .offset:         32
        .size:           4
        .value_kind:     by_value
      - .offset:         40
        .size:           8
        .value_kind:     by_value
      - .address_space:  global
        .offset:         48
        .size:           8
        .value_kind:     global_buffer
      - .offset:         56
        .size:           4
        .value_kind:     by_value
      - .offset:         64
        .size:           8
        .value_kind:     by_value
      - .offset:         72
        .size:           16
        .value_kind:     by_value
      - .address_space:  global
        .offset:         88
        .size:           8
        .value_kind:     global_buffer
      - .offset:         96
        .size:           4
        .value_kind:     by_value
      - .offset:         104
        .size:           8
        .value_kind:     by_value
      - .offset:         112
        .size:           4
        .value_kind:     by_value
    .group_segment_fixed_size: 8192
    .kernarg_segment_align: 8
    .kernarg_segment_size: 116
    .language:       OpenCL C
    .language_version:
      - 2
      - 0
    .max_flat_workgroup_size: 256
    .name:           _ZL41rocblas_syrkx_herkx_small_restrict_kernelIi19rocblas_complex_numIdELi16ELb0ELb0ELc78ELc76EKPKS1_KPS1_EviT_T0_PT6_S7_lSA_S7_lS8_PT7_S7_li
    .private_segment_fixed_size: 0
    .sgpr_count:     30
    .sgpr_spill_count: 0
    .symbol:         _ZL41rocblas_syrkx_herkx_small_restrict_kernelIi19rocblas_complex_numIdELi16ELb0ELb0ELc78ELc76EKPKS1_KPS1_EviT_T0_PT6_S7_lSA_S7_lS8_PT7_S7_li.kd
    .uniform_work_group_size: 1
    .uses_dynamic_stack: false
    .vgpr_count:     38
    .vgpr_spill_count: 0
    .wavefront_size: 64
  - .args:
      - .offset:         0
        .size:           4
        .value_kind:     by_value
      - .offset:         4
        .size:           4
        .value_kind:     by_value
      - .offset:         8
        .size:           16
        .value_kind:     by_value
      - .address_space:  global
        .offset:         24
        .size:           8
        .value_kind:     global_buffer
      - .offset:         32
        .size:           4
        .value_kind:     by_value
      - .offset:         40
        .size:           8
        .value_kind:     by_value
      - .address_space:  global
        .offset:         48
        .size:           8
        .value_kind:     global_buffer
      - .offset:         56
        .size:           4
        .value_kind:     by_value
      - .offset:         64
        .size:           8
        .value_kind:     by_value
      - .offset:         72
        .size:           16
        .value_kind:     by_value
      - .address_space:  global
        .offset:         88
        .size:           8
        .value_kind:     global_buffer
      - .offset:         96
        .size:           4
        .value_kind:     by_value
      - .offset:         104
        .size:           8
        .value_kind:     by_value
      - .offset:         112
        .size:           4
        .value_kind:     by_value
    .group_segment_fixed_size: 8192
    .kernarg_segment_align: 8
    .kernarg_segment_size: 116
    .language:       OpenCL C
    .language_version:
      - 2
      - 0
    .max_flat_workgroup_size: 256
    .name:           _ZL41rocblas_syrkx_herkx_small_restrict_kernelIi19rocblas_complex_numIdELi16ELb0ELb0ELc84ELc85EKPKS1_KPS1_EviT_T0_PT6_S7_lSA_S7_lS8_PT7_S7_li
    .private_segment_fixed_size: 0
    .sgpr_count:     26
    .sgpr_spill_count: 0
    .symbol:         _ZL41rocblas_syrkx_herkx_small_restrict_kernelIi19rocblas_complex_numIdELi16ELb0ELb0ELc84ELc85EKPKS1_KPS1_EviT_T0_PT6_S7_lSA_S7_lS8_PT7_S7_li.kd
    .uniform_work_group_size: 1
    .uses_dynamic_stack: false
    .vgpr_count:     36
    .vgpr_spill_count: 0
    .wavefront_size: 64
  - .args:
      - .offset:         0
        .size:           4
        .value_kind:     by_value
      - .offset:         4
        .size:           4
        .value_kind:     by_value
      - .offset:         8
        .size:           16
        .value_kind:     by_value
      - .address_space:  global
        .offset:         24
        .size:           8
        .value_kind:     global_buffer
      - .offset:         32
        .size:           4
        .value_kind:     by_value
      - .offset:         40
        .size:           8
        .value_kind:     by_value
      - .address_space:  global
        .offset:         48
        .size:           8
        .value_kind:     global_buffer
      - .offset:         56
        .size:           4
        .value_kind:     by_value
      - .offset:         64
        .size:           8
        .value_kind:     by_value
      - .offset:         72
        .size:           16
        .value_kind:     by_value
      - .address_space:  global
        .offset:         88
        .size:           8
        .value_kind:     global_buffer
      - .offset:         96
        .size:           4
        .value_kind:     by_value
      - .offset:         104
        .size:           8
        .value_kind:     by_value
      - .offset:         112
        .size:           4
        .value_kind:     by_value
    .group_segment_fixed_size: 8192
    .kernarg_segment_align: 8
    .kernarg_segment_size: 116
    .language:       OpenCL C
    .language_version:
      - 2
      - 0
    .max_flat_workgroup_size: 256
    .name:           _ZL41rocblas_syrkx_herkx_small_restrict_kernelIi19rocblas_complex_numIdELi16ELb0ELb0ELc67ELc85EKPKS1_KPS1_EviT_T0_PT6_S7_lSA_S7_lS8_PT7_S7_li
    .private_segment_fixed_size: 0
    .sgpr_count:     26
    .sgpr_spill_count: 0
    .symbol:         _ZL41rocblas_syrkx_herkx_small_restrict_kernelIi19rocblas_complex_numIdELi16ELb0ELb0ELc67ELc85EKPKS1_KPS1_EviT_T0_PT6_S7_lSA_S7_lS8_PT7_S7_li.kd
    .uniform_work_group_size: 1
    .uses_dynamic_stack: false
    .vgpr_count:     36
    .vgpr_spill_count: 0
    .wavefront_size: 64
  - .args:
      - .offset:         0
        .size:           4
        .value_kind:     by_value
      - .offset:         4
        .size:           4
        .value_kind:     by_value
      - .offset:         8
        .size:           16
        .value_kind:     by_value
      - .address_space:  global
        .offset:         24
        .size:           8
        .value_kind:     global_buffer
      - .offset:         32
        .size:           4
        .value_kind:     by_value
      - .offset:         40
        .size:           8
        .value_kind:     by_value
      - .address_space:  global
        .offset:         48
        .size:           8
        .value_kind:     global_buffer
      - .offset:         56
        .size:           4
        .value_kind:     by_value
      - .offset:         64
        .size:           8
        .value_kind:     by_value
      - .offset:         72
        .size:           16
        .value_kind:     by_value
      - .address_space:  global
        .offset:         88
        .size:           8
        .value_kind:     global_buffer
      - .offset:         96
        .size:           4
        .value_kind:     by_value
      - .offset:         104
        .size:           8
        .value_kind:     by_value
      - .offset:         112
        .size:           4
        .value_kind:     by_value
    .group_segment_fixed_size: 8192
    .kernarg_segment_align: 8
    .kernarg_segment_size: 116
    .language:       OpenCL C
    .language_version:
      - 2
      - 0
    .max_flat_workgroup_size: 256
    .name:           _ZL41rocblas_syrkx_herkx_small_restrict_kernelIi19rocblas_complex_numIdELi16ELb0ELb0ELc78ELc85EKPKS1_KPS1_EviT_T0_PT6_S7_lSA_S7_lS8_PT7_S7_li
    .private_segment_fixed_size: 0
    .sgpr_count:     30
    .sgpr_spill_count: 0
    .symbol:         _ZL41rocblas_syrkx_herkx_small_restrict_kernelIi19rocblas_complex_numIdELi16ELb0ELb0ELc78ELc85EKPKS1_KPS1_EviT_T0_PT6_S7_lSA_S7_lS8_PT7_S7_li.kd
    .uniform_work_group_size: 1
    .uses_dynamic_stack: false
    .vgpr_count:     38
    .vgpr_spill_count: 0
    .wavefront_size: 64
  - .args:
      - .offset:         0
        .size:           4
        .value_kind:     by_value
      - .offset:         4
        .size:           4
        .value_kind:     by_value
      - .offset:         8
        .size:           16
        .value_kind:     by_value
      - .address_space:  global
        .offset:         24
        .size:           8
        .value_kind:     global_buffer
      - .offset:         32
        .size:           4
        .value_kind:     by_value
      - .offset:         40
        .size:           8
        .value_kind:     by_value
      - .address_space:  global
        .offset:         48
        .size:           8
        .value_kind:     global_buffer
      - .offset:         56
        .size:           4
        .value_kind:     by_value
      - .offset:         64
        .size:           8
        .value_kind:     by_value
      - .offset:         72
        .size:           16
        .value_kind:     by_value
      - .address_space:  global
        .offset:         88
        .size:           8
        .value_kind:     global_buffer
      - .offset:         96
        .size:           4
        .value_kind:     by_value
      - .offset:         104
        .size:           8
        .value_kind:     by_value
      - .offset:         112
        .size:           4
        .value_kind:     by_value
    .group_segment_fixed_size: 8192
    .kernarg_segment_align: 8
    .kernarg_segment_size: 116
    .language:       OpenCL C
    .language_version:
      - 2
      - 0
    .max_flat_workgroup_size: 256
    .name:           _ZL32rocblas_syrkx_herkx_small_kernelIi19rocblas_complex_numIdELi16ELb1ELb0ELc84ELc76EKPKS1_KPS1_EviT_T0_PT6_S7_lSA_S7_lS8_PT7_S7_li
    .private_segment_fixed_size: 0
    .sgpr_count:     25
    .sgpr_spill_count: 0
    .symbol:         _ZL32rocblas_syrkx_herkx_small_kernelIi19rocblas_complex_numIdELi16ELb1ELb0ELc84ELc76EKPKS1_KPS1_EviT_T0_PT6_S7_lSA_S7_lS8_PT7_S7_li.kd
    .uniform_work_group_size: 1
    .uses_dynamic_stack: false
    .vgpr_count:     50
    .vgpr_spill_count: 0
    .wavefront_size: 64
  - .args:
      - .offset:         0
        .size:           4
        .value_kind:     by_value
      - .offset:         4
        .size:           4
        .value_kind:     by_value
      - .offset:         8
        .size:           16
        .value_kind:     by_value
      - .address_space:  global
        .offset:         24
        .size:           8
        .value_kind:     global_buffer
      - .offset:         32
        .size:           4
        .value_kind:     by_value
      - .offset:         40
        .size:           8
        .value_kind:     by_value
      - .address_space:  global
        .offset:         48
        .size:           8
        .value_kind:     global_buffer
      - .offset:         56
        .size:           4
        .value_kind:     by_value
      - .offset:         64
        .size:           8
        .value_kind:     by_value
      - .offset:         72
        .size:           16
        .value_kind:     by_value
      - .address_space:  global
        .offset:         88
        .size:           8
        .value_kind:     global_buffer
      - .offset:         96
        .size:           4
        .value_kind:     by_value
      - .offset:         104
        .size:           8
        .value_kind:     by_value
      - .offset:         112
        .size:           4
        .value_kind:     by_value
    .group_segment_fixed_size: 8192
    .kernarg_segment_align: 8
    .kernarg_segment_size: 116
    .language:       OpenCL C
    .language_version:
      - 2
      - 0
    .max_flat_workgroup_size: 256
    .name:           _ZL32rocblas_syrkx_herkx_small_kernelIi19rocblas_complex_numIdELi16ELb1ELb0ELc67ELc76EKPKS1_KPS1_EviT_T0_PT6_S7_lSA_S7_lS8_PT7_S7_li
    .private_segment_fixed_size: 0
    .sgpr_count:     25
    .sgpr_spill_count: 0
    .symbol:         _ZL32rocblas_syrkx_herkx_small_kernelIi19rocblas_complex_numIdELi16ELb1ELb0ELc67ELc76EKPKS1_KPS1_EviT_T0_PT6_S7_lSA_S7_lS8_PT7_S7_li.kd
    .uniform_work_group_size: 1
    .uses_dynamic_stack: false
    .vgpr_count:     49
    .vgpr_spill_count: 0
    .wavefront_size: 64
  - .args:
      - .offset:         0
        .size:           4
        .value_kind:     by_value
      - .offset:         4
        .size:           4
        .value_kind:     by_value
      - .offset:         8
        .size:           16
        .value_kind:     by_value
      - .address_space:  global
        .offset:         24
        .size:           8
        .value_kind:     global_buffer
      - .offset:         32
        .size:           4
        .value_kind:     by_value
      - .offset:         40
        .size:           8
        .value_kind:     by_value
      - .address_space:  global
        .offset:         48
        .size:           8
        .value_kind:     global_buffer
      - .offset:         56
        .size:           4
        .value_kind:     by_value
      - .offset:         64
        .size:           8
        .value_kind:     by_value
      - .offset:         72
        .size:           16
        .value_kind:     by_value
      - .address_space:  global
        .offset:         88
        .size:           8
        .value_kind:     global_buffer
      - .offset:         96
        .size:           4
        .value_kind:     by_value
      - .offset:         104
        .size:           8
        .value_kind:     by_value
      - .offset:         112
        .size:           4
        .value_kind:     by_value
    .group_segment_fixed_size: 8192
    .kernarg_segment_align: 8
    .kernarg_segment_size: 116
    .language:       OpenCL C
    .language_version:
      - 2
      - 0
    .max_flat_workgroup_size: 256
    .name:           _ZL32rocblas_syrkx_herkx_small_kernelIi19rocblas_complex_numIdELi16ELb1ELb0ELc78ELc76EKPKS1_KPS1_EviT_T0_PT6_S7_lSA_S7_lS8_PT7_S7_li
    .private_segment_fixed_size: 0
    .sgpr_count:     28
    .sgpr_spill_count: 0
    .symbol:         _ZL32rocblas_syrkx_herkx_small_kernelIi19rocblas_complex_numIdELi16ELb1ELb0ELc78ELc76EKPKS1_KPS1_EviT_T0_PT6_S7_lSA_S7_lS8_PT7_S7_li.kd
    .uniform_work_group_size: 1
    .uses_dynamic_stack: false
    .vgpr_count:     46
    .vgpr_spill_count: 0
    .wavefront_size: 64
  - .args:
      - .offset:         0
        .size:           4
        .value_kind:     by_value
      - .offset:         4
        .size:           4
        .value_kind:     by_value
      - .offset:         8
        .size:           16
        .value_kind:     by_value
      - .address_space:  global
        .offset:         24
        .size:           8
        .value_kind:     global_buffer
      - .offset:         32
        .size:           4
        .value_kind:     by_value
      - .offset:         40
        .size:           8
        .value_kind:     by_value
      - .address_space:  global
        .offset:         48
        .size:           8
        .value_kind:     global_buffer
      - .offset:         56
        .size:           4
        .value_kind:     by_value
      - .offset:         64
        .size:           8
        .value_kind:     by_value
      - .offset:         72
        .size:           16
        .value_kind:     by_value
      - .address_space:  global
        .offset:         88
        .size:           8
        .value_kind:     global_buffer
      - .offset:         96
        .size:           4
        .value_kind:     by_value
      - .offset:         104
        .size:           8
        .value_kind:     by_value
      - .offset:         112
        .size:           4
        .value_kind:     by_value
    .group_segment_fixed_size: 8192
    .kernarg_segment_align: 8
    .kernarg_segment_size: 116
    .language:       OpenCL C
    .language_version:
      - 2
      - 0
    .max_flat_workgroup_size: 256
    .name:           _ZL32rocblas_syrkx_herkx_small_kernelIi19rocblas_complex_numIdELi16ELb1ELb0ELc84ELc85EKPKS1_KPS1_EviT_T0_PT6_S7_lSA_S7_lS8_PT7_S7_li
    .private_segment_fixed_size: 0
    .sgpr_count:     25
    .sgpr_spill_count: 0
    .symbol:         _ZL32rocblas_syrkx_herkx_small_kernelIi19rocblas_complex_numIdELi16ELb1ELb0ELc84ELc85EKPKS1_KPS1_EviT_T0_PT6_S7_lSA_S7_lS8_PT7_S7_li.kd
    .uniform_work_group_size: 1
    .uses_dynamic_stack: false
    .vgpr_count:     50
    .vgpr_spill_count: 0
    .wavefront_size: 64
  - .args:
      - .offset:         0
        .size:           4
        .value_kind:     by_value
      - .offset:         4
        .size:           4
        .value_kind:     by_value
      - .offset:         8
        .size:           16
        .value_kind:     by_value
      - .address_space:  global
        .offset:         24
        .size:           8
        .value_kind:     global_buffer
      - .offset:         32
        .size:           4
        .value_kind:     by_value
      - .offset:         40
        .size:           8
        .value_kind:     by_value
      - .address_space:  global
        .offset:         48
        .size:           8
        .value_kind:     global_buffer
      - .offset:         56
        .size:           4
        .value_kind:     by_value
      - .offset:         64
        .size:           8
        .value_kind:     by_value
      - .offset:         72
        .size:           16
        .value_kind:     by_value
      - .address_space:  global
        .offset:         88
        .size:           8
        .value_kind:     global_buffer
      - .offset:         96
        .size:           4
        .value_kind:     by_value
      - .offset:         104
        .size:           8
        .value_kind:     by_value
      - .offset:         112
        .size:           4
        .value_kind:     by_value
    .group_segment_fixed_size: 8192
    .kernarg_segment_align: 8
    .kernarg_segment_size: 116
    .language:       OpenCL C
    .language_version:
      - 2
      - 0
    .max_flat_workgroup_size: 256
    .name:           _ZL32rocblas_syrkx_herkx_small_kernelIi19rocblas_complex_numIdELi16ELb1ELb0ELc67ELc85EKPKS1_KPS1_EviT_T0_PT6_S7_lSA_S7_lS8_PT7_S7_li
    .private_segment_fixed_size: 0
    .sgpr_count:     25
    .sgpr_spill_count: 0
    .symbol:         _ZL32rocblas_syrkx_herkx_small_kernelIi19rocblas_complex_numIdELi16ELb1ELb0ELc67ELc85EKPKS1_KPS1_EviT_T0_PT6_S7_lSA_S7_lS8_PT7_S7_li.kd
    .uniform_work_group_size: 1
    .uses_dynamic_stack: false
    .vgpr_count:     49
    .vgpr_spill_count: 0
    .wavefront_size: 64
  - .args:
      - .offset:         0
        .size:           4
        .value_kind:     by_value
      - .offset:         4
        .size:           4
        .value_kind:     by_value
      - .offset:         8
        .size:           16
        .value_kind:     by_value
      - .address_space:  global
        .offset:         24
        .size:           8
        .value_kind:     global_buffer
      - .offset:         32
        .size:           4
        .value_kind:     by_value
      - .offset:         40
        .size:           8
        .value_kind:     by_value
      - .address_space:  global
        .offset:         48
        .size:           8
        .value_kind:     global_buffer
      - .offset:         56
        .size:           4
        .value_kind:     by_value
      - .offset:         64
        .size:           8
        .value_kind:     by_value
      - .offset:         72
        .size:           16
        .value_kind:     by_value
      - .address_space:  global
        .offset:         88
        .size:           8
        .value_kind:     global_buffer
      - .offset:         96
        .size:           4
        .value_kind:     by_value
      - .offset:         104
        .size:           8
        .value_kind:     by_value
      - .offset:         112
        .size:           4
        .value_kind:     by_value
    .group_segment_fixed_size: 8192
    .kernarg_segment_align: 8
    .kernarg_segment_size: 116
    .language:       OpenCL C
    .language_version:
      - 2
      - 0
    .max_flat_workgroup_size: 256
    .name:           _ZL32rocblas_syrkx_herkx_small_kernelIi19rocblas_complex_numIdELi16ELb1ELb0ELc78ELc85EKPKS1_KPS1_EviT_T0_PT6_S7_lSA_S7_lS8_PT7_S7_li
    .private_segment_fixed_size: 0
    .sgpr_count:     28
    .sgpr_spill_count: 0
    .symbol:         _ZL32rocblas_syrkx_herkx_small_kernelIi19rocblas_complex_numIdELi16ELb1ELb0ELc78ELc85EKPKS1_KPS1_EviT_T0_PT6_S7_lSA_S7_lS8_PT7_S7_li.kd
    .uniform_work_group_size: 1
    .uses_dynamic_stack: false
    .vgpr_count:     46
    .vgpr_spill_count: 0
    .wavefront_size: 64
  - .args:
      - .offset:         0
        .size:           4
        .value_kind:     by_value
      - .offset:         4
        .size:           4
        .value_kind:     by_value
      - .offset:         8
        .size:           16
        .value_kind:     by_value
      - .address_space:  global
        .offset:         24
        .size:           8
        .value_kind:     global_buffer
      - .offset:         32
        .size:           4
        .value_kind:     by_value
      - .offset:         40
        .size:           8
        .value_kind:     by_value
      - .address_space:  global
        .offset:         48
        .size:           8
        .value_kind:     global_buffer
      - .offset:         56
        .size:           4
        .value_kind:     by_value
      - .offset:         64
        .size:           8
        .value_kind:     by_value
      - .offset:         72
        .size:           16
        .value_kind:     by_value
      - .address_space:  global
        .offset:         88
        .size:           8
        .value_kind:     global_buffer
      - .offset:         96
        .size:           4
        .value_kind:     by_value
      - .offset:         104
        .size:           8
        .value_kind:     by_value
      - .offset:         112
        .size:           4
        .value_kind:     by_value
    .group_segment_fixed_size: 8192
    .kernarg_segment_align: 8
    .kernarg_segment_size: 116
    .language:       OpenCL C
    .language_version:
      - 2
      - 0
    .max_flat_workgroup_size: 256
    .name:           _ZL32rocblas_syrkx_herkx_small_kernelIi19rocblas_complex_numIdELi16ELb0ELb0ELc84ELc76EKPKS1_KPS1_EviT_T0_PT6_S7_lSA_S7_lS8_PT7_S7_li
    .private_segment_fixed_size: 0
    .sgpr_count:     29
    .sgpr_spill_count: 0
    .symbol:         _ZL32rocblas_syrkx_herkx_small_kernelIi19rocblas_complex_numIdELi16ELb0ELb0ELc84ELc76EKPKS1_KPS1_EviT_T0_PT6_S7_lSA_S7_lS8_PT7_S7_li.kd
    .uniform_work_group_size: 1
    .uses_dynamic_stack: false
    .vgpr_count:     50
    .vgpr_spill_count: 0
    .wavefront_size: 64
  - .args:
      - .offset:         0
        .size:           4
        .value_kind:     by_value
      - .offset:         4
        .size:           4
        .value_kind:     by_value
      - .offset:         8
        .size:           16
        .value_kind:     by_value
      - .address_space:  global
        .offset:         24
        .size:           8
        .value_kind:     global_buffer
      - .offset:         32
        .size:           4
        .value_kind:     by_value
      - .offset:         40
        .size:           8
        .value_kind:     by_value
      - .address_space:  global
        .offset:         48
        .size:           8
        .value_kind:     global_buffer
      - .offset:         56
        .size:           4
        .value_kind:     by_value
      - .offset:         64
        .size:           8
        .value_kind:     by_value
      - .offset:         72
        .size:           16
        .value_kind:     by_value
      - .address_space:  global
        .offset:         88
        .size:           8
        .value_kind:     global_buffer
      - .offset:         96
        .size:           4
        .value_kind:     by_value
      - .offset:         104
        .size:           8
        .value_kind:     by_value
      - .offset:         112
        .size:           4
        .value_kind:     by_value
    .group_segment_fixed_size: 8192
    .kernarg_segment_align: 8
    .kernarg_segment_size: 116
    .language:       OpenCL C
    .language_version:
      - 2
      - 0
    .max_flat_workgroup_size: 256
    .name:           _ZL32rocblas_syrkx_herkx_small_kernelIi19rocblas_complex_numIdELi16ELb0ELb0ELc67ELc76EKPKS1_KPS1_EviT_T0_PT6_S7_lSA_S7_lS8_PT7_S7_li
    .private_segment_fixed_size: 0
    .sgpr_count:     29
    .sgpr_spill_count: 0
    .symbol:         _ZL32rocblas_syrkx_herkx_small_kernelIi19rocblas_complex_numIdELi16ELb0ELb0ELc67ELc76EKPKS1_KPS1_EviT_T0_PT6_S7_lSA_S7_lS8_PT7_S7_li.kd
    .uniform_work_group_size: 1
    .uses_dynamic_stack: false
    .vgpr_count:     49
    .vgpr_spill_count: 0
    .wavefront_size: 64
  - .args:
      - .offset:         0
        .size:           4
        .value_kind:     by_value
      - .offset:         4
        .size:           4
        .value_kind:     by_value
      - .offset:         8
        .size:           16
        .value_kind:     by_value
      - .address_space:  global
        .offset:         24
        .size:           8
        .value_kind:     global_buffer
      - .offset:         32
        .size:           4
        .value_kind:     by_value
      - .offset:         40
        .size:           8
        .value_kind:     by_value
      - .address_space:  global
        .offset:         48
        .size:           8
        .value_kind:     global_buffer
      - .offset:         56
        .size:           4
        .value_kind:     by_value
      - .offset:         64
        .size:           8
        .value_kind:     by_value
      - .offset:         72
        .size:           16
        .value_kind:     by_value
      - .address_space:  global
        .offset:         88
        .size:           8
        .value_kind:     global_buffer
      - .offset:         96
        .size:           4
        .value_kind:     by_value
      - .offset:         104
        .size:           8
        .value_kind:     by_value
      - .offset:         112
        .size:           4
        .value_kind:     by_value
    .group_segment_fixed_size: 8192
    .kernarg_segment_align: 8
    .kernarg_segment_size: 116
    .language:       OpenCL C
    .language_version:
      - 2
      - 0
    .max_flat_workgroup_size: 256
    .name:           _ZL32rocblas_syrkx_herkx_small_kernelIi19rocblas_complex_numIdELi16ELb0ELb0ELc78ELc76EKPKS1_KPS1_EviT_T0_PT6_S7_lSA_S7_lS8_PT7_S7_li
    .private_segment_fixed_size: 0
    .sgpr_count:     32
    .sgpr_spill_count: 0
    .symbol:         _ZL32rocblas_syrkx_herkx_small_kernelIi19rocblas_complex_numIdELi16ELb0ELb0ELc78ELc76EKPKS1_KPS1_EviT_T0_PT6_S7_lSA_S7_lS8_PT7_S7_li.kd
    .uniform_work_group_size: 1
    .uses_dynamic_stack: false
    .vgpr_count:     46
    .vgpr_spill_count: 0
    .wavefront_size: 64
  - .args:
      - .offset:         0
        .size:           4
        .value_kind:     by_value
      - .offset:         4
        .size:           4
        .value_kind:     by_value
      - .offset:         8
        .size:           16
        .value_kind:     by_value
      - .address_space:  global
        .offset:         24
        .size:           8
        .value_kind:     global_buffer
      - .offset:         32
        .size:           4
        .value_kind:     by_value
      - .offset:         40
        .size:           8
        .value_kind:     by_value
      - .address_space:  global
        .offset:         48
        .size:           8
        .value_kind:     global_buffer
      - .offset:         56
        .size:           4
        .value_kind:     by_value
      - .offset:         64
        .size:           8
        .value_kind:     by_value
      - .offset:         72
        .size:           16
        .value_kind:     by_value
      - .address_space:  global
        .offset:         88
        .size:           8
        .value_kind:     global_buffer
      - .offset:         96
        .size:           4
        .value_kind:     by_value
      - .offset:         104
        .size:           8
        .value_kind:     by_value
      - .offset:         112
        .size:           4
        .value_kind:     by_value
    .group_segment_fixed_size: 8192
    .kernarg_segment_align: 8
    .kernarg_segment_size: 116
    .language:       OpenCL C
    .language_version:
      - 2
      - 0
    .max_flat_workgroup_size: 256
    .name:           _ZL32rocblas_syrkx_herkx_small_kernelIi19rocblas_complex_numIdELi16ELb0ELb0ELc84ELc85EKPKS1_KPS1_EviT_T0_PT6_S7_lSA_S7_lS8_PT7_S7_li
    .private_segment_fixed_size: 0
    .sgpr_count:     29
    .sgpr_spill_count: 0
    .symbol:         _ZL32rocblas_syrkx_herkx_small_kernelIi19rocblas_complex_numIdELi16ELb0ELb0ELc84ELc85EKPKS1_KPS1_EviT_T0_PT6_S7_lSA_S7_lS8_PT7_S7_li.kd
    .uniform_work_group_size: 1
    .uses_dynamic_stack: false
    .vgpr_count:     50
    .vgpr_spill_count: 0
    .wavefront_size: 64
  - .args:
      - .offset:         0
        .size:           4
        .value_kind:     by_value
      - .offset:         4
        .size:           4
        .value_kind:     by_value
      - .offset:         8
        .size:           16
        .value_kind:     by_value
      - .address_space:  global
        .offset:         24
        .size:           8
        .value_kind:     global_buffer
      - .offset:         32
        .size:           4
        .value_kind:     by_value
      - .offset:         40
        .size:           8
        .value_kind:     by_value
      - .address_space:  global
        .offset:         48
        .size:           8
        .value_kind:     global_buffer
      - .offset:         56
        .size:           4
        .value_kind:     by_value
      - .offset:         64
        .size:           8
        .value_kind:     by_value
      - .offset:         72
        .size:           16
        .value_kind:     by_value
      - .address_space:  global
        .offset:         88
        .size:           8
        .value_kind:     global_buffer
      - .offset:         96
        .size:           4
        .value_kind:     by_value
      - .offset:         104
        .size:           8
        .value_kind:     by_value
      - .offset:         112
        .size:           4
        .value_kind:     by_value
    .group_segment_fixed_size: 8192
    .kernarg_segment_align: 8
    .kernarg_segment_size: 116
    .language:       OpenCL C
    .language_version:
      - 2
      - 0
    .max_flat_workgroup_size: 256
    .name:           _ZL32rocblas_syrkx_herkx_small_kernelIi19rocblas_complex_numIdELi16ELb0ELb0ELc67ELc85EKPKS1_KPS1_EviT_T0_PT6_S7_lSA_S7_lS8_PT7_S7_li
    .private_segment_fixed_size: 0
    .sgpr_count:     29
    .sgpr_spill_count: 0
    .symbol:         _ZL32rocblas_syrkx_herkx_small_kernelIi19rocblas_complex_numIdELi16ELb0ELb0ELc67ELc85EKPKS1_KPS1_EviT_T0_PT6_S7_lSA_S7_lS8_PT7_S7_li.kd
    .uniform_work_group_size: 1
    .uses_dynamic_stack: false
    .vgpr_count:     49
    .vgpr_spill_count: 0
    .wavefront_size: 64
  - .args:
      - .offset:         0
        .size:           4
        .value_kind:     by_value
      - .offset:         4
        .size:           4
        .value_kind:     by_value
      - .offset:         8
        .size:           16
        .value_kind:     by_value
      - .address_space:  global
        .offset:         24
        .size:           8
        .value_kind:     global_buffer
      - .offset:         32
        .size:           4
        .value_kind:     by_value
      - .offset:         40
        .size:           8
        .value_kind:     by_value
      - .address_space:  global
        .offset:         48
        .size:           8
        .value_kind:     global_buffer
      - .offset:         56
        .size:           4
        .value_kind:     by_value
      - .offset:         64
        .size:           8
        .value_kind:     by_value
      - .offset:         72
        .size:           16
        .value_kind:     by_value
      - .address_space:  global
        .offset:         88
        .size:           8
        .value_kind:     global_buffer
      - .offset:         96
        .size:           4
        .value_kind:     by_value
      - .offset:         104
        .size:           8
        .value_kind:     by_value
      - .offset:         112
        .size:           4
        .value_kind:     by_value
    .group_segment_fixed_size: 8192
    .kernarg_segment_align: 8
    .kernarg_segment_size: 116
    .language:       OpenCL C
    .language_version:
      - 2
      - 0
    .max_flat_workgroup_size: 256
    .name:           _ZL32rocblas_syrkx_herkx_small_kernelIi19rocblas_complex_numIdELi16ELb0ELb0ELc78ELc85EKPKS1_KPS1_EviT_T0_PT6_S7_lSA_S7_lS8_PT7_S7_li
    .private_segment_fixed_size: 0
    .sgpr_count:     32
    .sgpr_spill_count: 0
    .symbol:         _ZL32rocblas_syrkx_herkx_small_kernelIi19rocblas_complex_numIdELi16ELb0ELb0ELc78ELc85EKPKS1_KPS1_EviT_T0_PT6_S7_lSA_S7_lS8_PT7_S7_li.kd
    .uniform_work_group_size: 1
    .uses_dynamic_stack: false
    .vgpr_count:     46
    .vgpr_spill_count: 0
    .wavefront_size: 64
  - .args:
      - .offset:         0
        .size:           4
        .value_kind:     by_value
      - .offset:         4
        .size:           4
        .value_kind:     by_value
      - .offset:         8
        .size:           16
        .value_kind:     by_value
      - .address_space:  global
        .offset:         24
        .size:           8
        .value_kind:     global_buffer
      - .offset:         32
        .size:           4
        .value_kind:     by_value
      - .offset:         40
        .size:           8
        .value_kind:     by_value
      - .address_space:  global
        .offset:         48
        .size:           8
        .value_kind:     global_buffer
      - .offset:         56
        .size:           4
        .value_kind:     by_value
      - .offset:         64
        .size:           8
        .value_kind:     by_value
      - .offset:         72
        .size:           16
        .value_kind:     by_value
      - .address_space:  global
        .offset:         88
        .size:           8
        .value_kind:     global_buffer
      - .offset:         96
        .size:           4
        .value_kind:     by_value
      - .offset:         104
        .size:           8
        .value_kind:     by_value
      - .offset:         112
        .size:           4
        .value_kind:     by_value
    .group_segment_fixed_size: 8192
    .kernarg_segment_align: 8
    .kernarg_segment_size: 116
    .language:       OpenCL C
    .language_version:
      - 2
      - 0
    .max_flat_workgroup_size: 256
    .name:           _ZL34rocblas_syrkx_herkx_general_kernelIi19rocblas_complex_numIdELi16ELi32ELi8ELb1ELb0ELc84ELc76EKPKS1_KPS1_EviT_T0_PT8_S7_lSA_S7_lS8_PT9_S7_li
    .private_segment_fixed_size: 0
    .sgpr_count:     27
    .sgpr_spill_count: 0
    .symbol:         _ZL34rocblas_syrkx_herkx_general_kernelIi19rocblas_complex_numIdELi16ELi32ELi8ELb1ELb0ELc84ELc76EKPKS1_KPS1_EviT_T0_PT8_S7_lSA_S7_lS8_PT9_S7_li.kd
    .uniform_work_group_size: 1
    .uses_dynamic_stack: false
    .vgpr_count:     56
    .vgpr_spill_count: 0
    .wavefront_size: 64
  - .args:
      - .offset:         0
        .size:           4
        .value_kind:     by_value
      - .offset:         4
        .size:           4
        .value_kind:     by_value
      - .offset:         8
        .size:           16
        .value_kind:     by_value
      - .address_space:  global
        .offset:         24
        .size:           8
        .value_kind:     global_buffer
      - .offset:         32
        .size:           4
        .value_kind:     by_value
      - .offset:         40
        .size:           8
        .value_kind:     by_value
      - .address_space:  global
        .offset:         48
        .size:           8
        .value_kind:     global_buffer
      - .offset:         56
        .size:           4
        .value_kind:     by_value
      - .offset:         64
        .size:           8
        .value_kind:     by_value
      - .offset:         72
        .size:           16
        .value_kind:     by_value
      - .address_space:  global
        .offset:         88
        .size:           8
        .value_kind:     global_buffer
      - .offset:         96
        .size:           4
        .value_kind:     by_value
      - .offset:         104
        .size:           8
        .value_kind:     by_value
      - .offset:         112
        .size:           4
        .value_kind:     by_value
    .group_segment_fixed_size: 8192
    .kernarg_segment_align: 8
    .kernarg_segment_size: 116
    .language:       OpenCL C
    .language_version:
      - 2
      - 0
    .max_flat_workgroup_size: 256
    .name:           _ZL34rocblas_syrkx_herkx_general_kernelIi19rocblas_complex_numIdELi16ELi32ELi8ELb1ELb0ELc67ELc76EKPKS1_KPS1_EviT_T0_PT8_S7_lSA_S7_lS8_PT9_S7_li
    .private_segment_fixed_size: 0
    .sgpr_count:     27
    .sgpr_spill_count: 0
    .symbol:         _ZL34rocblas_syrkx_herkx_general_kernelIi19rocblas_complex_numIdELi16ELi32ELi8ELb1ELb0ELc67ELc76EKPKS1_KPS1_EviT_T0_PT8_S7_lSA_S7_lS8_PT9_S7_li.kd
    .uniform_work_group_size: 1
    .uses_dynamic_stack: false
    .vgpr_count:     57
    .vgpr_spill_count: 0
    .wavefront_size: 64
  - .args:
      - .offset:         0
        .size:           4
        .value_kind:     by_value
      - .offset:         4
        .size:           4
        .value_kind:     by_value
      - .offset:         8
        .size:           16
        .value_kind:     by_value
      - .address_space:  global
        .offset:         24
        .size:           8
        .value_kind:     global_buffer
      - .offset:         32
        .size:           4
        .value_kind:     by_value
      - .offset:         40
        .size:           8
        .value_kind:     by_value
      - .address_space:  global
        .offset:         48
        .size:           8
        .value_kind:     global_buffer
      - .offset:         56
        .size:           4
        .value_kind:     by_value
      - .offset:         64
        .size:           8
        .value_kind:     by_value
      - .offset:         72
        .size:           16
        .value_kind:     by_value
      - .address_space:  global
        .offset:         88
        .size:           8
        .value_kind:     global_buffer
      - .offset:         96
        .size:           4
        .value_kind:     by_value
      - .offset:         104
        .size:           8
        .value_kind:     by_value
      - .offset:         112
        .size:           4
        .value_kind:     by_value
    .group_segment_fixed_size: 8192
    .kernarg_segment_align: 8
    .kernarg_segment_size: 116
    .language:       OpenCL C
    .language_version:
      - 2
      - 0
    .max_flat_workgroup_size: 256
    .name:           _ZL34rocblas_syrkx_herkx_general_kernelIi19rocblas_complex_numIdELi16ELi32ELi8ELb1ELb0ELc78ELc76EKPKS1_KPS1_EviT_T0_PT8_S7_lSA_S7_lS8_PT9_S7_li
    .private_segment_fixed_size: 0
    .sgpr_count:     30
    .sgpr_spill_count: 0
    .symbol:         _ZL34rocblas_syrkx_herkx_general_kernelIi19rocblas_complex_numIdELi16ELi32ELi8ELb1ELb0ELc78ELc76EKPKS1_KPS1_EviT_T0_PT8_S7_lSA_S7_lS8_PT9_S7_li.kd
    .uniform_work_group_size: 1
    .uses_dynamic_stack: false
    .vgpr_count:     59
    .vgpr_spill_count: 0
    .wavefront_size: 64
  - .args:
      - .offset:         0
        .size:           4
        .value_kind:     by_value
      - .offset:         4
        .size:           4
        .value_kind:     by_value
      - .offset:         8
        .size:           16
        .value_kind:     by_value
      - .address_space:  global
        .offset:         24
        .size:           8
        .value_kind:     global_buffer
      - .offset:         32
        .size:           4
        .value_kind:     by_value
      - .offset:         40
        .size:           8
        .value_kind:     by_value
      - .address_space:  global
        .offset:         48
        .size:           8
        .value_kind:     global_buffer
      - .offset:         56
        .size:           4
        .value_kind:     by_value
      - .offset:         64
        .size:           8
        .value_kind:     by_value
      - .offset:         72
        .size:           16
        .value_kind:     by_value
      - .address_space:  global
        .offset:         88
        .size:           8
        .value_kind:     global_buffer
      - .offset:         96
        .size:           4
        .value_kind:     by_value
      - .offset:         104
        .size:           8
        .value_kind:     by_value
      - .offset:         112
        .size:           4
        .value_kind:     by_value
    .group_segment_fixed_size: 8192
    .kernarg_segment_align: 8
    .kernarg_segment_size: 116
    .language:       OpenCL C
    .language_version:
      - 2
      - 0
    .max_flat_workgroup_size: 256
    .name:           _ZL34rocblas_syrkx_herkx_general_kernelIi19rocblas_complex_numIdELi16ELi32ELi8ELb1ELb0ELc84ELc85EKPKS1_KPS1_EviT_T0_PT8_S7_lSA_S7_lS8_PT9_S7_li
    .private_segment_fixed_size: 0
    .sgpr_count:     27
    .sgpr_spill_count: 0
    .symbol:         _ZL34rocblas_syrkx_herkx_general_kernelIi19rocblas_complex_numIdELi16ELi32ELi8ELb1ELb0ELc84ELc85EKPKS1_KPS1_EviT_T0_PT8_S7_lSA_S7_lS8_PT9_S7_li.kd
    .uniform_work_group_size: 1
    .uses_dynamic_stack: false
    .vgpr_count:     56
    .vgpr_spill_count: 0
    .wavefront_size: 64
  - .args:
      - .offset:         0
        .size:           4
        .value_kind:     by_value
      - .offset:         4
        .size:           4
        .value_kind:     by_value
      - .offset:         8
        .size:           16
        .value_kind:     by_value
      - .address_space:  global
        .offset:         24
        .size:           8
        .value_kind:     global_buffer
      - .offset:         32
        .size:           4
        .value_kind:     by_value
      - .offset:         40
        .size:           8
        .value_kind:     by_value
      - .address_space:  global
        .offset:         48
        .size:           8
        .value_kind:     global_buffer
      - .offset:         56
        .size:           4
        .value_kind:     by_value
      - .offset:         64
        .size:           8
        .value_kind:     by_value
      - .offset:         72
        .size:           16
        .value_kind:     by_value
      - .address_space:  global
        .offset:         88
        .size:           8
        .value_kind:     global_buffer
      - .offset:         96
        .size:           4
        .value_kind:     by_value
      - .offset:         104
        .size:           8
        .value_kind:     by_value
      - .offset:         112
        .size:           4
        .value_kind:     by_value
    .group_segment_fixed_size: 8192
    .kernarg_segment_align: 8
    .kernarg_segment_size: 116
    .language:       OpenCL C
    .language_version:
      - 2
      - 0
    .max_flat_workgroup_size: 256
    .name:           _ZL34rocblas_syrkx_herkx_general_kernelIi19rocblas_complex_numIdELi16ELi32ELi8ELb1ELb0ELc67ELc85EKPKS1_KPS1_EviT_T0_PT8_S7_lSA_S7_lS8_PT9_S7_li
    .private_segment_fixed_size: 0
    .sgpr_count:     27
    .sgpr_spill_count: 0
    .symbol:         _ZL34rocblas_syrkx_herkx_general_kernelIi19rocblas_complex_numIdELi16ELi32ELi8ELb1ELb0ELc67ELc85EKPKS1_KPS1_EviT_T0_PT8_S7_lSA_S7_lS8_PT9_S7_li.kd
    .uniform_work_group_size: 1
    .uses_dynamic_stack: false
    .vgpr_count:     57
    .vgpr_spill_count: 0
    .wavefront_size: 64
  - .args:
      - .offset:         0
        .size:           4
        .value_kind:     by_value
      - .offset:         4
        .size:           4
        .value_kind:     by_value
      - .offset:         8
        .size:           16
        .value_kind:     by_value
      - .address_space:  global
        .offset:         24
        .size:           8
        .value_kind:     global_buffer
      - .offset:         32
        .size:           4
        .value_kind:     by_value
      - .offset:         40
        .size:           8
        .value_kind:     by_value
      - .address_space:  global
        .offset:         48
        .size:           8
        .value_kind:     global_buffer
      - .offset:         56
        .size:           4
        .value_kind:     by_value
      - .offset:         64
        .size:           8
        .value_kind:     by_value
      - .offset:         72
        .size:           16
        .value_kind:     by_value
      - .address_space:  global
        .offset:         88
        .size:           8
        .value_kind:     global_buffer
      - .offset:         96
        .size:           4
        .value_kind:     by_value
      - .offset:         104
        .size:           8
        .value_kind:     by_value
      - .offset:         112
        .size:           4
        .value_kind:     by_value
    .group_segment_fixed_size: 8192
    .kernarg_segment_align: 8
    .kernarg_segment_size: 116
    .language:       OpenCL C
    .language_version:
      - 2
      - 0
    .max_flat_workgroup_size: 256
    .name:           _ZL34rocblas_syrkx_herkx_general_kernelIi19rocblas_complex_numIdELi16ELi32ELi8ELb1ELb0ELc78ELc85EKPKS1_KPS1_EviT_T0_PT8_S7_lSA_S7_lS8_PT9_S7_li
    .private_segment_fixed_size: 0
    .sgpr_count:     30
    .sgpr_spill_count: 0
    .symbol:         _ZL34rocblas_syrkx_herkx_general_kernelIi19rocblas_complex_numIdELi16ELi32ELi8ELb1ELb0ELc78ELc85EKPKS1_KPS1_EviT_T0_PT8_S7_lSA_S7_lS8_PT9_S7_li.kd
    .uniform_work_group_size: 1
    .uses_dynamic_stack: false
    .vgpr_count:     59
    .vgpr_spill_count: 0
    .wavefront_size: 64
  - .args:
      - .offset:         0
        .size:           4
        .value_kind:     by_value
      - .offset:         4
        .size:           4
        .value_kind:     by_value
      - .offset:         8
        .size:           16
        .value_kind:     by_value
      - .address_space:  global
        .offset:         24
        .size:           8
        .value_kind:     global_buffer
      - .offset:         32
        .size:           4
        .value_kind:     by_value
      - .offset:         40
        .size:           8
        .value_kind:     by_value
      - .address_space:  global
        .offset:         48
        .size:           8
        .value_kind:     global_buffer
      - .offset:         56
        .size:           4
        .value_kind:     by_value
      - .offset:         64
        .size:           8
        .value_kind:     by_value
      - .offset:         72
        .size:           16
        .value_kind:     by_value
      - .address_space:  global
        .offset:         88
        .size:           8
        .value_kind:     global_buffer
      - .offset:         96
        .size:           4
        .value_kind:     by_value
      - .offset:         104
        .size:           8
        .value_kind:     by_value
      - .offset:         112
        .size:           4
        .value_kind:     by_value
    .group_segment_fixed_size: 8192
    .kernarg_segment_align: 8
    .kernarg_segment_size: 116
    .language:       OpenCL C
    .language_version:
      - 2
      - 0
    .max_flat_workgroup_size: 256
    .name:           _ZL34rocblas_syrkx_herkx_general_kernelIi19rocblas_complex_numIdELi16ELi32ELi8ELb0ELb0ELc84ELc76EKPKS1_KPS1_EviT_T0_PT8_S7_lSA_S7_lS8_PT9_S7_li
    .private_segment_fixed_size: 0
    .sgpr_count:     31
    .sgpr_spill_count: 0
    .symbol:         _ZL34rocblas_syrkx_herkx_general_kernelIi19rocblas_complex_numIdELi16ELi32ELi8ELb0ELb0ELc84ELc76EKPKS1_KPS1_EviT_T0_PT8_S7_lSA_S7_lS8_PT9_S7_li.kd
    .uniform_work_group_size: 1
    .uses_dynamic_stack: false
    .vgpr_count:     56
    .vgpr_spill_count: 0
    .wavefront_size: 64
  - .args:
      - .offset:         0
        .size:           4
        .value_kind:     by_value
      - .offset:         4
        .size:           4
        .value_kind:     by_value
      - .offset:         8
        .size:           16
        .value_kind:     by_value
      - .address_space:  global
        .offset:         24
        .size:           8
        .value_kind:     global_buffer
      - .offset:         32
        .size:           4
        .value_kind:     by_value
      - .offset:         40
        .size:           8
        .value_kind:     by_value
      - .address_space:  global
        .offset:         48
        .size:           8
        .value_kind:     global_buffer
      - .offset:         56
        .size:           4
        .value_kind:     by_value
      - .offset:         64
        .size:           8
        .value_kind:     by_value
      - .offset:         72
        .size:           16
        .value_kind:     by_value
      - .address_space:  global
        .offset:         88
        .size:           8
        .value_kind:     global_buffer
      - .offset:         96
        .size:           4
        .value_kind:     by_value
      - .offset:         104
        .size:           8
        .value_kind:     by_value
      - .offset:         112
        .size:           4
        .value_kind:     by_value
    .group_segment_fixed_size: 8192
    .kernarg_segment_align: 8
    .kernarg_segment_size: 116
    .language:       OpenCL C
    .language_version:
      - 2
      - 0
    .max_flat_workgroup_size: 256
    .name:           _ZL34rocblas_syrkx_herkx_general_kernelIi19rocblas_complex_numIdELi16ELi32ELi8ELb0ELb0ELc67ELc76EKPKS1_KPS1_EviT_T0_PT8_S7_lSA_S7_lS8_PT9_S7_li
    .private_segment_fixed_size: 0
    .sgpr_count:     31
    .sgpr_spill_count: 0
    .symbol:         _ZL34rocblas_syrkx_herkx_general_kernelIi19rocblas_complex_numIdELi16ELi32ELi8ELb0ELb0ELc67ELc76EKPKS1_KPS1_EviT_T0_PT8_S7_lSA_S7_lS8_PT9_S7_li.kd
    .uniform_work_group_size: 1
    .uses_dynamic_stack: false
    .vgpr_count:     57
    .vgpr_spill_count: 0
    .wavefront_size: 64
  - .args:
      - .offset:         0
        .size:           4
        .value_kind:     by_value
      - .offset:         4
        .size:           4
        .value_kind:     by_value
      - .offset:         8
        .size:           16
        .value_kind:     by_value
      - .address_space:  global
        .offset:         24
        .size:           8
        .value_kind:     global_buffer
      - .offset:         32
        .size:           4
        .value_kind:     by_value
      - .offset:         40
        .size:           8
        .value_kind:     by_value
      - .address_space:  global
        .offset:         48
        .size:           8
        .value_kind:     global_buffer
      - .offset:         56
        .size:           4
        .value_kind:     by_value
      - .offset:         64
        .size:           8
        .value_kind:     by_value
      - .offset:         72
        .size:           16
        .value_kind:     by_value
      - .address_space:  global
        .offset:         88
        .size:           8
        .value_kind:     global_buffer
      - .offset:         96
        .size:           4
        .value_kind:     by_value
      - .offset:         104
        .size:           8
        .value_kind:     by_value
      - .offset:         112
        .size:           4
        .value_kind:     by_value
    .group_segment_fixed_size: 8192
    .kernarg_segment_align: 8
    .kernarg_segment_size: 116
    .language:       OpenCL C
    .language_version:
      - 2
      - 0
    .max_flat_workgroup_size: 256
    .name:           _ZL34rocblas_syrkx_herkx_general_kernelIi19rocblas_complex_numIdELi16ELi32ELi8ELb0ELb0ELc78ELc76EKPKS1_KPS1_EviT_T0_PT8_S7_lSA_S7_lS8_PT9_S7_li
    .private_segment_fixed_size: 0
    .sgpr_count:     34
    .sgpr_spill_count: 0
    .symbol:         _ZL34rocblas_syrkx_herkx_general_kernelIi19rocblas_complex_numIdELi16ELi32ELi8ELb0ELb0ELc78ELc76EKPKS1_KPS1_EviT_T0_PT8_S7_lSA_S7_lS8_PT9_S7_li.kd
    .uniform_work_group_size: 1
    .uses_dynamic_stack: false
    .vgpr_count:     59
    .vgpr_spill_count: 0
    .wavefront_size: 64
  - .args:
      - .offset:         0
        .size:           4
        .value_kind:     by_value
      - .offset:         4
        .size:           4
        .value_kind:     by_value
      - .offset:         8
        .size:           16
        .value_kind:     by_value
      - .address_space:  global
        .offset:         24
        .size:           8
        .value_kind:     global_buffer
      - .offset:         32
        .size:           4
        .value_kind:     by_value
      - .offset:         40
        .size:           8
        .value_kind:     by_value
      - .address_space:  global
        .offset:         48
        .size:           8
        .value_kind:     global_buffer
      - .offset:         56
        .size:           4
        .value_kind:     by_value
      - .offset:         64
        .size:           8
        .value_kind:     by_value
      - .offset:         72
        .size:           16
        .value_kind:     by_value
      - .address_space:  global
        .offset:         88
        .size:           8
        .value_kind:     global_buffer
      - .offset:         96
        .size:           4
        .value_kind:     by_value
      - .offset:         104
        .size:           8
        .value_kind:     by_value
      - .offset:         112
        .size:           4
        .value_kind:     by_value
    .group_segment_fixed_size: 8192
    .kernarg_segment_align: 8
    .kernarg_segment_size: 116
    .language:       OpenCL C
    .language_version:
      - 2
      - 0
    .max_flat_workgroup_size: 256
    .name:           _ZL34rocblas_syrkx_herkx_general_kernelIi19rocblas_complex_numIdELi16ELi32ELi8ELb0ELb0ELc84ELc85EKPKS1_KPS1_EviT_T0_PT8_S7_lSA_S7_lS8_PT9_S7_li
    .private_segment_fixed_size: 0
    .sgpr_count:     31
    .sgpr_spill_count: 0
    .symbol:         _ZL34rocblas_syrkx_herkx_general_kernelIi19rocblas_complex_numIdELi16ELi32ELi8ELb0ELb0ELc84ELc85EKPKS1_KPS1_EviT_T0_PT8_S7_lSA_S7_lS8_PT9_S7_li.kd
    .uniform_work_group_size: 1
    .uses_dynamic_stack: false
    .vgpr_count:     56
    .vgpr_spill_count: 0
    .wavefront_size: 64
  - .args:
      - .offset:         0
        .size:           4
        .value_kind:     by_value
      - .offset:         4
        .size:           4
        .value_kind:     by_value
      - .offset:         8
        .size:           16
        .value_kind:     by_value
      - .address_space:  global
        .offset:         24
        .size:           8
        .value_kind:     global_buffer
      - .offset:         32
        .size:           4
        .value_kind:     by_value
      - .offset:         40
        .size:           8
        .value_kind:     by_value
      - .address_space:  global
        .offset:         48
        .size:           8
        .value_kind:     global_buffer
      - .offset:         56
        .size:           4
        .value_kind:     by_value
      - .offset:         64
        .size:           8
        .value_kind:     by_value
      - .offset:         72
        .size:           16
        .value_kind:     by_value
      - .address_space:  global
        .offset:         88
        .size:           8
        .value_kind:     global_buffer
      - .offset:         96
        .size:           4
        .value_kind:     by_value
      - .offset:         104
        .size:           8
        .value_kind:     by_value
      - .offset:         112
        .size:           4
        .value_kind:     by_value
    .group_segment_fixed_size: 8192
    .kernarg_segment_align: 8
    .kernarg_segment_size: 116
    .language:       OpenCL C
    .language_version:
      - 2
      - 0
    .max_flat_workgroup_size: 256
    .name:           _ZL34rocblas_syrkx_herkx_general_kernelIi19rocblas_complex_numIdELi16ELi32ELi8ELb0ELb0ELc67ELc85EKPKS1_KPS1_EviT_T0_PT8_S7_lSA_S7_lS8_PT9_S7_li
    .private_segment_fixed_size: 0
    .sgpr_count:     31
    .sgpr_spill_count: 0
    .symbol:         _ZL34rocblas_syrkx_herkx_general_kernelIi19rocblas_complex_numIdELi16ELi32ELi8ELb0ELb0ELc67ELc85EKPKS1_KPS1_EviT_T0_PT8_S7_lSA_S7_lS8_PT9_S7_li.kd
    .uniform_work_group_size: 1
    .uses_dynamic_stack: false
    .vgpr_count:     57
    .vgpr_spill_count: 0
    .wavefront_size: 64
  - .args:
      - .offset:         0
        .size:           4
        .value_kind:     by_value
      - .offset:         4
        .size:           4
        .value_kind:     by_value
      - .offset:         8
        .size:           16
        .value_kind:     by_value
      - .address_space:  global
        .offset:         24
        .size:           8
        .value_kind:     global_buffer
      - .offset:         32
        .size:           4
        .value_kind:     by_value
      - .offset:         40
        .size:           8
        .value_kind:     by_value
      - .address_space:  global
        .offset:         48
        .size:           8
        .value_kind:     global_buffer
      - .offset:         56
        .size:           4
        .value_kind:     by_value
      - .offset:         64
        .size:           8
        .value_kind:     by_value
      - .offset:         72
        .size:           16
        .value_kind:     by_value
      - .address_space:  global
        .offset:         88
        .size:           8
        .value_kind:     global_buffer
      - .offset:         96
        .size:           4
        .value_kind:     by_value
      - .offset:         104
        .size:           8
        .value_kind:     by_value
      - .offset:         112
        .size:           4
        .value_kind:     by_value
    .group_segment_fixed_size: 8192
    .kernarg_segment_align: 8
    .kernarg_segment_size: 116
    .language:       OpenCL C
    .language_version:
      - 2
      - 0
    .max_flat_workgroup_size: 256
    .name:           _ZL34rocblas_syrkx_herkx_general_kernelIi19rocblas_complex_numIdELi16ELi32ELi8ELb0ELb0ELc78ELc85EKPKS1_KPS1_EviT_T0_PT8_S7_lSA_S7_lS8_PT9_S7_li
    .private_segment_fixed_size: 0
    .sgpr_count:     34
    .sgpr_spill_count: 0
    .symbol:         _ZL34rocblas_syrkx_herkx_general_kernelIi19rocblas_complex_numIdELi16ELi32ELi8ELb0ELb0ELc78ELc85EKPKS1_KPS1_EviT_T0_PT8_S7_lSA_S7_lS8_PT9_S7_li.kd
    .uniform_work_group_size: 1
    .uses_dynamic_stack: false
    .vgpr_count:     59
    .vgpr_spill_count: 0
    .wavefront_size: 64
  - .args:
      - .offset:         0
        .size:           1
        .value_kind:     by_value
      - .offset:         4
        .size:           4
        .value_kind:     by_value
      - .offset:         8
        .size:           4
        .value_kind:     by_value
      - .offset:         16
        .size:           16
        .value_kind:     by_value
      - .offset:         32
        .size:           16
        .value_kind:     by_value
      - .address_space:  global
        .offset:         48
        .size:           8
        .value_kind:     global_buffer
      - .offset:         56
        .size:           4
        .value_kind:     by_value
      - .offset:         64
        .size:           8
        .value_kind:     by_value
      - .offset:         72
        .size:           4
        .value_kind:     by_value
      - .offset:         80
        .size:           4
        .value_kind:     hidden_block_count_x
      - .offset:         84
        .size:           4
        .value_kind:     hidden_block_count_y
      - .offset:         88
        .size:           4
        .value_kind:     hidden_block_count_z
      - .offset:         92
        .size:           2
        .value_kind:     hidden_group_size_x
      - .offset:         94
        .size:           2
        .value_kind:     hidden_group_size_y
      - .offset:         96
        .size:           2
        .value_kind:     hidden_group_size_z
      - .offset:         98
        .size:           2
        .value_kind:     hidden_remainder_x
      - .offset:         100
        .size:           2
        .value_kind:     hidden_remainder_y
      - .offset:         102
        .size:           2
        .value_kind:     hidden_remainder_z
      - .offset:         120
        .size:           8
        .value_kind:     hidden_global_offset_x
      - .offset:         128
        .size:           8
        .value_kind:     hidden_global_offset_y
      - .offset:         136
        .size:           8
        .value_kind:     hidden_global_offset_z
      - .offset:         144
        .size:           2
        .value_kind:     hidden_grid_dims
    .group_segment_fixed_size: 0
    .kernarg_segment_align: 8
    .kernarg_segment_size: 336
    .language:       OpenCL C
    .language_version:
      - 2
      - 0
    .max_flat_workgroup_size: 1024
    .name:           _ZL26rocblas_syr2k_scale_kernelIiLi128ELi8ELb0E19rocblas_complex_numIdES1_PKPS1_EvbiT_T3_T4_T5_S5_li
    .private_segment_fixed_size: 0
    .sgpr_count:     20
    .sgpr_spill_count: 0
    .symbol:         _ZL26rocblas_syr2k_scale_kernelIiLi128ELi8ELb0E19rocblas_complex_numIdES1_PKPS1_EvbiT_T3_T4_T5_S5_li.kd
    .uniform_work_group_size: 1
    .uses_dynamic_stack: false
    .vgpr_count:     10
    .vgpr_spill_count: 0
    .wavefront_size: 64
  - .args:
      - .offset:         0
        .size:           1
        .value_kind:     by_value
      - .offset:         4
        .size:           4
        .value_kind:     by_value
      - .offset:         8
        .size:           4
        .value_kind:     by_value
      - .address_space:  global
        .offset:         16
        .size:           8
        .value_kind:     global_buffer
      - .address_space:  global
        .offset:         24
        .size:           8
        .value_kind:     global_buffer
      - .offset:         32
        .size:           4
        .value_kind:     by_value
      - .offset:         40
        .size:           8
        .value_kind:     by_value
      - .address_space:  global
        .offset:         48
        .size:           8
        .value_kind:     global_buffer
      - .offset:         56
        .size:           4
        .value_kind:     by_value
      - .offset:         64
        .size:           8
        .value_kind:     by_value
      - .address_space:  global
        .offset:         72
        .size:           8
        .value_kind:     global_buffer
      - .offset:         80
        .size:           4
        .value_kind:     by_value
      - .offset:         88
        .size:           8
        .value_kind:     by_value
      - .offset:         96
        .size:           4
        .value_kind:     by_value
    .group_segment_fixed_size: 32768
    .kernarg_segment_align: 8
    .kernarg_segment_size: 100
    .language:       OpenCL C
    .language_version:
      - 2
      - 0
    .max_flat_workgroup_size: 1024
    .name:           _ZL26rocblas_syr2k_her2k_kernelIiLb0ELb0ELb0ELi32EPK19rocblas_complex_numIdEPKS3_PKPS1_EvbiT_T4_T5_S9_lSB_S9_lT6_S9_li
    .private_segment_fixed_size: 0
    .sgpr_count:     32
    .sgpr_spill_count: 0
    .symbol:         _ZL26rocblas_syr2k_her2k_kernelIiLb0ELb0ELb0ELi32EPK19rocblas_complex_numIdEPKS3_PKPS1_EvbiT_T4_T5_S9_lSB_S9_lT6_S9_li.kd
    .uniform_work_group_size: 1
    .uses_dynamic_stack: false
    .vgpr_count:     34
    .vgpr_spill_count: 0
    .wavefront_size: 64
  - .args:
      - .offset:         0
        .size:           1
        .value_kind:     by_value
      - .offset:         4
        .size:           4
        .value_kind:     by_value
      - .offset:         8
        .size:           4
        .value_kind:     by_value
      - .address_space:  global
        .offset:         16
        .size:           8
        .value_kind:     global_buffer
      - .address_space:  global
        .offset:         24
        .size:           8
        .value_kind:     global_buffer
      - .offset:         32
        .size:           4
        .value_kind:     by_value
      - .offset:         40
        .size:           8
        .value_kind:     by_value
      - .address_space:  global
        .offset:         48
        .size:           8
        .value_kind:     global_buffer
      - .offset:         56
        .size:           4
        .value_kind:     by_value
      - .offset:         64
        .size:           8
        .value_kind:     by_value
      - .address_space:  global
        .offset:         72
        .size:           8
        .value_kind:     global_buffer
      - .offset:         80
        .size:           4
        .value_kind:     by_value
      - .offset:         88
        .size:           8
        .value_kind:     by_value
      - .offset:         96
        .size:           4
        .value_kind:     by_value
    .group_segment_fixed_size: 32768
    .kernarg_segment_align: 8
    .kernarg_segment_size: 100
    .language:       OpenCL C
    .language_version:
      - 2
      - 0
    .max_flat_workgroup_size: 1024
    .name:           _ZL26rocblas_syr2k_her2k_kernelIiLb0ELb0ELb1ELi32EPK19rocblas_complex_numIdEPKS3_PKPS1_EvbiT_T4_T5_S9_lSB_S9_lT6_S9_li
    .private_segment_fixed_size: 0
    .sgpr_count:     33
    .sgpr_spill_count: 0
    .symbol:         _ZL26rocblas_syr2k_her2k_kernelIiLb0ELb0ELb1ELi32EPK19rocblas_complex_numIdEPKS3_PKPS1_EvbiT_T4_T5_S9_lSB_S9_lT6_S9_li.kd
    .uniform_work_group_size: 1
    .uses_dynamic_stack: false
    .vgpr_count:     36
    .vgpr_spill_count: 0
    .wavefront_size: 64
  - .args:
      - .offset:         0
        .size:           1
        .value_kind:     by_value
      - .offset:         4
        .size:           4
        .value_kind:     by_value
      - .offset:         8
        .size:           4
        .value_kind:     by_value
      - .offset:         12
        .size:           8
        .value_kind:     by_value
      - .address_space:  global
        .offset:         24
        .size:           8
        .value_kind:     global_buffer
      - .offset:         32
        .size:           4
        .value_kind:     by_value
      - .offset:         40
        .size:           8
        .value_kind:     by_value
      - .address_space:  global
        .offset:         48
        .size:           8
        .value_kind:     global_buffer
      - .offset:         56
        .size:           4
        .value_kind:     by_value
      - .offset:         64
        .size:           8
        .value_kind:     by_value
      - .address_space:  global
        .offset:         72
        .size:           8
        .value_kind:     global_buffer
      - .offset:         80
        .size:           4
        .value_kind:     by_value
      - .offset:         88
        .size:           8
        .value_kind:     by_value
      - .offset:         96
        .size:           4
        .value_kind:     by_value
    .group_segment_fixed_size: 16384
    .kernarg_segment_align: 8
    .kernarg_segment_size: 100
    .language:       OpenCL C
    .language_version:
      - 2
      - 0
    .max_flat_workgroup_size: 1024
    .name:           _ZL26rocblas_syr2k_her2k_kernelIiLb0ELb1ELb0ELi32E19rocblas_complex_numIfEPKPKS1_PKPS1_EvbiT_T4_T5_S9_lSB_S9_lT6_S9_li
    .private_segment_fixed_size: 0
    .sgpr_count:     28
    .sgpr_spill_count: 0
    .symbol:         _ZL26rocblas_syr2k_her2k_kernelIiLb0ELb1ELb0ELi32E19rocblas_complex_numIfEPKPKS1_PKPS1_EvbiT_T4_T5_S9_lSB_S9_lT6_S9_li.kd
    .uniform_work_group_size: 1
    .uses_dynamic_stack: false
    .vgpr_count:     38
    .vgpr_spill_count: 0
    .wavefront_size: 64
  - .args:
      - .offset:         0
        .size:           1
        .value_kind:     by_value
      - .offset:         4
        .size:           4
        .value_kind:     by_value
      - .offset:         8
        .size:           4
        .value_kind:     by_value
      - .offset:         12
        .size:           8
        .value_kind:     by_value
      - .address_space:  global
        .offset:         24
        .size:           8
        .value_kind:     global_buffer
      - .offset:         32
        .size:           4
        .value_kind:     by_value
      - .offset:         40
        .size:           8
        .value_kind:     by_value
      - .address_space:  global
        .offset:         48
        .size:           8
        .value_kind:     global_buffer
      - .offset:         56
        .size:           4
        .value_kind:     by_value
      - .offset:         64
        .size:           8
        .value_kind:     by_value
      - .address_space:  global
        .offset:         72
        .size:           8
        .value_kind:     global_buffer
      - .offset:         80
        .size:           4
        .value_kind:     by_value
      - .offset:         88
        .size:           8
        .value_kind:     by_value
      - .offset:         96
        .size:           4
        .value_kind:     by_value
    .group_segment_fixed_size: 16384
    .kernarg_segment_align: 8
    .kernarg_segment_size: 100
    .language:       OpenCL C
    .language_version:
      - 2
      - 0
    .max_flat_workgroup_size: 1024
    .name:           _ZL26rocblas_syr2k_her2k_kernelIiLb0ELb1ELb1ELi32E19rocblas_complex_numIfEPKPKS1_PKPS1_EvbiT_T4_T5_S9_lSB_S9_lT6_S9_li
    .private_segment_fixed_size: 0
    .sgpr_count:     28
    .sgpr_spill_count: 0
    .symbol:         _ZL26rocblas_syr2k_her2k_kernelIiLb0ELb1ELb1ELi32E19rocblas_complex_numIfEPKPKS1_PKPS1_EvbiT_T4_T5_S9_lSB_S9_lT6_S9_li.kd
    .uniform_work_group_size: 1
    .uses_dynamic_stack: false
    .vgpr_count:     38
    .vgpr_spill_count: 0
    .wavefront_size: 64
  - .args:
      - .offset:         0
        .size:           4
        .value_kind:     by_value
      - .offset:         4
        .size:           4
        .value_kind:     by_value
      - .address_space:  global
        .offset:         8
        .size:           8
        .value_kind:     global_buffer
      - .offset:         16
        .size:           4
        .value_kind:     by_value
      - .offset:         24
        .size:           8
        .value_kind:     by_value
      - .address_space:  global
        .offset:         32
        .size:           8
        .value_kind:     global_buffer
      - .offset:         40
        .size:           4
        .value_kind:     by_value
      - .offset:         48
        .size:           8
        .value_kind:     by_value
      - .address_space:  global
        .offset:         56
        .size:           8
        .value_kind:     global_buffer
      - .offset:         64
        .size:           4
        .value_kind:     by_value
      - .offset:         72
        .size:           8
        .value_kind:     by_value
      - .offset:         80
        .size:           4
        .value_kind:     by_value
    .group_segment_fixed_size: 4096
    .kernarg_segment_align: 8
    .kernarg_segment_size: 84
    .language:       OpenCL C
    .language_version:
      - 2
      - 0
    .max_flat_workgroup_size: 256
    .name:           _ZL37rocblas_syrkx_herkx_restricted_kernelIi19rocblas_complex_numIfELi16ELi32ELi8ELi1ELi1ELb1ELc84ELc76EKPKS1_KPS1_EviT_PT9_S7_lS9_S7_lPT10_S7_li
    .private_segment_fixed_size: 0
    .sgpr_count:     21
    .sgpr_spill_count: 0
    .symbol:         _ZL37rocblas_syrkx_herkx_restricted_kernelIi19rocblas_complex_numIfELi16ELi32ELi8ELi1ELi1ELb1ELc84ELc76EKPKS1_KPS1_EviT_PT9_S7_lS9_S7_lPT10_S7_li.kd
    .uniform_work_group_size: 1
    .uses_dynamic_stack: false
    .vgpr_count:     41
    .vgpr_spill_count: 0
    .wavefront_size: 64
  - .args:
      - .offset:         0
        .size:           4
        .value_kind:     by_value
      - .offset:         4
        .size:           4
        .value_kind:     by_value
      - .address_space:  global
        .offset:         8
        .size:           8
        .value_kind:     global_buffer
      - .offset:         16
        .size:           4
        .value_kind:     by_value
      - .offset:         24
        .size:           8
        .value_kind:     by_value
      - .address_space:  global
        .offset:         32
        .size:           8
        .value_kind:     global_buffer
      - .offset:         40
        .size:           4
        .value_kind:     by_value
      - .offset:         48
        .size:           8
        .value_kind:     by_value
      - .address_space:  global
        .offset:         56
        .size:           8
        .value_kind:     global_buffer
      - .offset:         64
        .size:           4
        .value_kind:     by_value
      - .offset:         72
        .size:           8
        .value_kind:     by_value
      - .offset:         80
        .size:           4
        .value_kind:     by_value
    .group_segment_fixed_size: 4096
    .kernarg_segment_align: 8
    .kernarg_segment_size: 84
    .language:       OpenCL C
    .language_version:
      - 2
      - 0
    .max_flat_workgroup_size: 256
    .name:           _ZL37rocblas_syrkx_herkx_restricted_kernelIi19rocblas_complex_numIfELi16ELi32ELi8ELi1ELi1ELb1ELc67ELc76EKPKS1_KPS1_EviT_PT9_S7_lS9_S7_lPT10_S7_li
    .private_segment_fixed_size: 0
    .sgpr_count:     21
    .sgpr_spill_count: 0
    .symbol:         _ZL37rocblas_syrkx_herkx_restricted_kernelIi19rocblas_complex_numIfELi16ELi32ELi8ELi1ELi1ELb1ELc67ELc76EKPKS1_KPS1_EviT_PT9_S7_lS9_S7_lPT10_S7_li.kd
    .uniform_work_group_size: 1
    .uses_dynamic_stack: false
    .vgpr_count:     41
    .vgpr_spill_count: 0
    .wavefront_size: 64
  - .args:
      - .offset:         0
        .size:           4
        .value_kind:     by_value
      - .offset:         4
        .size:           4
        .value_kind:     by_value
      - .address_space:  global
        .offset:         8
        .size:           8
        .value_kind:     global_buffer
      - .offset:         16
        .size:           4
        .value_kind:     by_value
      - .offset:         24
        .size:           8
        .value_kind:     by_value
      - .address_space:  global
        .offset:         32
        .size:           8
        .value_kind:     global_buffer
      - .offset:         40
        .size:           4
        .value_kind:     by_value
      - .offset:         48
        .size:           8
        .value_kind:     by_value
      - .address_space:  global
        .offset:         56
        .size:           8
        .value_kind:     global_buffer
      - .offset:         64
        .size:           4
        .value_kind:     by_value
      - .offset:         72
        .size:           8
        .value_kind:     by_value
      - .offset:         80
        .size:           4
        .value_kind:     by_value
    .group_segment_fixed_size: 4096
    .kernarg_segment_align: 8
    .kernarg_segment_size: 84
    .language:       OpenCL C
    .language_version:
      - 2
      - 0
    .max_flat_workgroup_size: 256
    .name:           _ZL37rocblas_syrkx_herkx_restricted_kernelIi19rocblas_complex_numIfELi16ELi32ELi8ELi1ELi1ELb1ELc78ELc76EKPKS1_KPS1_EviT_PT9_S7_lS9_S7_lPT10_S7_li
    .private_segment_fixed_size: 0
    .sgpr_count:     24
    .sgpr_spill_count: 0
    .symbol:         _ZL37rocblas_syrkx_herkx_restricted_kernelIi19rocblas_complex_numIfELi16ELi32ELi8ELi1ELi1ELb1ELc78ELc76EKPKS1_KPS1_EviT_PT9_S7_lS9_S7_lPT10_S7_li.kd
    .uniform_work_group_size: 1
    .uses_dynamic_stack: false
    .vgpr_count:     43
    .vgpr_spill_count: 0
    .wavefront_size: 64
  - .args:
      - .offset:         0
        .size:           4
        .value_kind:     by_value
      - .offset:         4
        .size:           4
        .value_kind:     by_value
      - .address_space:  global
        .offset:         8
        .size:           8
        .value_kind:     global_buffer
      - .offset:         16
        .size:           4
        .value_kind:     by_value
      - .offset:         24
        .size:           8
        .value_kind:     by_value
      - .address_space:  global
        .offset:         32
        .size:           8
        .value_kind:     global_buffer
      - .offset:         40
        .size:           4
        .value_kind:     by_value
      - .offset:         48
        .size:           8
        .value_kind:     by_value
      - .address_space:  global
        .offset:         56
        .size:           8
        .value_kind:     global_buffer
      - .offset:         64
        .size:           4
        .value_kind:     by_value
      - .offset:         72
        .size:           8
        .value_kind:     by_value
      - .offset:         80
        .size:           4
        .value_kind:     by_value
    .group_segment_fixed_size: 4096
    .kernarg_segment_align: 8
    .kernarg_segment_size: 84
    .language:       OpenCL C
    .language_version:
      - 2
      - 0
    .max_flat_workgroup_size: 256
    .name:           _ZL37rocblas_syrkx_herkx_restricted_kernelIi19rocblas_complex_numIfELi16ELi32ELi8ELi1ELi1ELb1ELc84ELc85EKPKS1_KPS1_EviT_PT9_S7_lS9_S7_lPT10_S7_li
    .private_segment_fixed_size: 0
    .sgpr_count:     21
    .sgpr_spill_count: 0
    .symbol:         _ZL37rocblas_syrkx_herkx_restricted_kernelIi19rocblas_complex_numIfELi16ELi32ELi8ELi1ELi1ELb1ELc84ELc85EKPKS1_KPS1_EviT_PT9_S7_lS9_S7_lPT10_S7_li.kd
    .uniform_work_group_size: 1
    .uses_dynamic_stack: false
    .vgpr_count:     41
    .vgpr_spill_count: 0
    .wavefront_size: 64
  - .args:
      - .offset:         0
        .size:           4
        .value_kind:     by_value
      - .offset:         4
        .size:           4
        .value_kind:     by_value
      - .address_space:  global
        .offset:         8
        .size:           8
        .value_kind:     global_buffer
      - .offset:         16
        .size:           4
        .value_kind:     by_value
      - .offset:         24
        .size:           8
        .value_kind:     by_value
      - .address_space:  global
        .offset:         32
        .size:           8
        .value_kind:     global_buffer
      - .offset:         40
        .size:           4
        .value_kind:     by_value
      - .offset:         48
        .size:           8
        .value_kind:     by_value
      - .address_space:  global
        .offset:         56
        .size:           8
        .value_kind:     global_buffer
      - .offset:         64
        .size:           4
        .value_kind:     by_value
      - .offset:         72
        .size:           8
        .value_kind:     by_value
      - .offset:         80
        .size:           4
        .value_kind:     by_value
    .group_segment_fixed_size: 4096
    .kernarg_segment_align: 8
    .kernarg_segment_size: 84
    .language:       OpenCL C
    .language_version:
      - 2
      - 0
    .max_flat_workgroup_size: 256
    .name:           _ZL37rocblas_syrkx_herkx_restricted_kernelIi19rocblas_complex_numIfELi16ELi32ELi8ELi1ELi1ELb1ELc67ELc85EKPKS1_KPS1_EviT_PT9_S7_lS9_S7_lPT10_S7_li
    .private_segment_fixed_size: 0
    .sgpr_count:     21
    .sgpr_spill_count: 0
    .symbol:         _ZL37rocblas_syrkx_herkx_restricted_kernelIi19rocblas_complex_numIfELi16ELi32ELi8ELi1ELi1ELb1ELc67ELc85EKPKS1_KPS1_EviT_PT9_S7_lS9_S7_lPT10_S7_li.kd
    .uniform_work_group_size: 1
    .uses_dynamic_stack: false
    .vgpr_count:     41
    .vgpr_spill_count: 0
    .wavefront_size: 64
  - .args:
      - .offset:         0
        .size:           4
        .value_kind:     by_value
      - .offset:         4
        .size:           4
        .value_kind:     by_value
      - .address_space:  global
        .offset:         8
        .size:           8
        .value_kind:     global_buffer
      - .offset:         16
        .size:           4
        .value_kind:     by_value
      - .offset:         24
        .size:           8
        .value_kind:     by_value
      - .address_space:  global
        .offset:         32
        .size:           8
        .value_kind:     global_buffer
      - .offset:         40
        .size:           4
        .value_kind:     by_value
      - .offset:         48
        .size:           8
        .value_kind:     by_value
      - .address_space:  global
        .offset:         56
        .size:           8
        .value_kind:     global_buffer
      - .offset:         64
        .size:           4
        .value_kind:     by_value
      - .offset:         72
        .size:           8
        .value_kind:     by_value
      - .offset:         80
        .size:           4
        .value_kind:     by_value
    .group_segment_fixed_size: 4096
    .kernarg_segment_align: 8
    .kernarg_segment_size: 84
    .language:       OpenCL C
    .language_version:
      - 2
      - 0
    .max_flat_workgroup_size: 256
    .name:           _ZL37rocblas_syrkx_herkx_restricted_kernelIi19rocblas_complex_numIfELi16ELi32ELi8ELi1ELi1ELb1ELc78ELc85EKPKS1_KPS1_EviT_PT9_S7_lS9_S7_lPT10_S7_li
    .private_segment_fixed_size: 0
    .sgpr_count:     24
    .sgpr_spill_count: 0
    .symbol:         _ZL37rocblas_syrkx_herkx_restricted_kernelIi19rocblas_complex_numIfELi16ELi32ELi8ELi1ELi1ELb1ELc78ELc85EKPKS1_KPS1_EviT_PT9_S7_lS9_S7_lPT10_S7_li.kd
    .uniform_work_group_size: 1
    .uses_dynamic_stack: false
    .vgpr_count:     43
    .vgpr_spill_count: 0
    .wavefront_size: 64
  - .args:
      - .offset:         0
        .size:           4
        .value_kind:     by_value
      - .offset:         4
        .size:           4
        .value_kind:     by_value
      - .address_space:  global
        .offset:         8
        .size:           8
        .value_kind:     global_buffer
      - .offset:         16
        .size:           4
        .value_kind:     by_value
      - .offset:         24
        .size:           8
        .value_kind:     by_value
      - .address_space:  global
        .offset:         32
        .size:           8
        .value_kind:     global_buffer
      - .offset:         40
        .size:           4
        .value_kind:     by_value
      - .offset:         48
        .size:           8
        .value_kind:     by_value
      - .address_space:  global
        .offset:         56
        .size:           8
        .value_kind:     global_buffer
      - .offset:         64
        .size:           4
        .value_kind:     by_value
      - .offset:         72
        .size:           8
        .value_kind:     by_value
      - .offset:         80
        .size:           4
        .value_kind:     by_value
    .group_segment_fixed_size: 4096
    .kernarg_segment_align: 8
    .kernarg_segment_size: 84
    .language:       OpenCL C
    .language_version:
      - 2
      - 0
    .max_flat_workgroup_size: 256
    .name:           _ZL37rocblas_syrkx_herkx_restricted_kernelIi19rocblas_complex_numIfELi16ELi32ELi8ELi1ELin1ELb1ELc84ELc76EKPKS1_KPS1_EviT_PT9_S7_lS9_S7_lPT10_S7_li
    .private_segment_fixed_size: 0
    .sgpr_count:     21
    .sgpr_spill_count: 0
    .symbol:         _ZL37rocblas_syrkx_herkx_restricted_kernelIi19rocblas_complex_numIfELi16ELi32ELi8ELi1ELin1ELb1ELc84ELc76EKPKS1_KPS1_EviT_PT9_S7_lS9_S7_lPT10_S7_li.kd
    .uniform_work_group_size: 1
    .uses_dynamic_stack: false
    .vgpr_count:     41
    .vgpr_spill_count: 0
    .wavefront_size: 64
  - .args:
      - .offset:         0
        .size:           4
        .value_kind:     by_value
      - .offset:         4
        .size:           4
        .value_kind:     by_value
      - .address_space:  global
        .offset:         8
        .size:           8
        .value_kind:     global_buffer
      - .offset:         16
        .size:           4
        .value_kind:     by_value
      - .offset:         24
        .size:           8
        .value_kind:     by_value
      - .address_space:  global
        .offset:         32
        .size:           8
        .value_kind:     global_buffer
      - .offset:         40
        .size:           4
        .value_kind:     by_value
      - .offset:         48
        .size:           8
        .value_kind:     by_value
      - .address_space:  global
        .offset:         56
        .size:           8
        .value_kind:     global_buffer
      - .offset:         64
        .size:           4
        .value_kind:     by_value
      - .offset:         72
        .size:           8
        .value_kind:     by_value
      - .offset:         80
        .size:           4
        .value_kind:     by_value
    .group_segment_fixed_size: 4096
    .kernarg_segment_align: 8
    .kernarg_segment_size: 84
    .language:       OpenCL C
    .language_version:
      - 2
      - 0
    .max_flat_workgroup_size: 256
    .name:           _ZL37rocblas_syrkx_herkx_restricted_kernelIi19rocblas_complex_numIfELi16ELi32ELi8ELi1ELin1ELb1ELc67ELc76EKPKS1_KPS1_EviT_PT9_S7_lS9_S7_lPT10_S7_li
    .private_segment_fixed_size: 0
    .sgpr_count:     21
    .sgpr_spill_count: 0
    .symbol:         _ZL37rocblas_syrkx_herkx_restricted_kernelIi19rocblas_complex_numIfELi16ELi32ELi8ELi1ELin1ELb1ELc67ELc76EKPKS1_KPS1_EviT_PT9_S7_lS9_S7_lPT10_S7_li.kd
    .uniform_work_group_size: 1
    .uses_dynamic_stack: false
    .vgpr_count:     41
    .vgpr_spill_count: 0
    .wavefront_size: 64
  - .args:
      - .offset:         0
        .size:           4
        .value_kind:     by_value
      - .offset:         4
        .size:           4
        .value_kind:     by_value
      - .address_space:  global
        .offset:         8
        .size:           8
        .value_kind:     global_buffer
      - .offset:         16
        .size:           4
        .value_kind:     by_value
      - .offset:         24
        .size:           8
        .value_kind:     by_value
      - .address_space:  global
        .offset:         32
        .size:           8
        .value_kind:     global_buffer
      - .offset:         40
        .size:           4
        .value_kind:     by_value
      - .offset:         48
        .size:           8
        .value_kind:     by_value
      - .address_space:  global
        .offset:         56
        .size:           8
        .value_kind:     global_buffer
      - .offset:         64
        .size:           4
        .value_kind:     by_value
      - .offset:         72
        .size:           8
        .value_kind:     by_value
      - .offset:         80
        .size:           4
        .value_kind:     by_value
    .group_segment_fixed_size: 4096
    .kernarg_segment_align: 8
    .kernarg_segment_size: 84
    .language:       OpenCL C
    .language_version:
      - 2
      - 0
    .max_flat_workgroup_size: 256
    .name:           _ZL37rocblas_syrkx_herkx_restricted_kernelIi19rocblas_complex_numIfELi16ELi32ELi8ELi1ELin1ELb1ELc78ELc76EKPKS1_KPS1_EviT_PT9_S7_lS9_S7_lPT10_S7_li
    .private_segment_fixed_size: 0
    .sgpr_count:     24
    .sgpr_spill_count: 0
    .symbol:         _ZL37rocblas_syrkx_herkx_restricted_kernelIi19rocblas_complex_numIfELi16ELi32ELi8ELi1ELin1ELb1ELc78ELc76EKPKS1_KPS1_EviT_PT9_S7_lS9_S7_lPT10_S7_li.kd
    .uniform_work_group_size: 1
    .uses_dynamic_stack: false
    .vgpr_count:     43
    .vgpr_spill_count: 0
    .wavefront_size: 64
  - .args:
      - .offset:         0
        .size:           4
        .value_kind:     by_value
      - .offset:         4
        .size:           4
        .value_kind:     by_value
      - .address_space:  global
        .offset:         8
        .size:           8
        .value_kind:     global_buffer
      - .offset:         16
        .size:           4
        .value_kind:     by_value
      - .offset:         24
        .size:           8
        .value_kind:     by_value
      - .address_space:  global
        .offset:         32
        .size:           8
        .value_kind:     global_buffer
      - .offset:         40
        .size:           4
        .value_kind:     by_value
      - .offset:         48
        .size:           8
        .value_kind:     by_value
      - .address_space:  global
        .offset:         56
        .size:           8
        .value_kind:     global_buffer
      - .offset:         64
        .size:           4
        .value_kind:     by_value
      - .offset:         72
        .size:           8
        .value_kind:     by_value
      - .offset:         80
        .size:           4
        .value_kind:     by_value
    .group_segment_fixed_size: 4096
    .kernarg_segment_align: 8
    .kernarg_segment_size: 84
    .language:       OpenCL C
    .language_version:
      - 2
      - 0
    .max_flat_workgroup_size: 256
    .name:           _ZL37rocblas_syrkx_herkx_restricted_kernelIi19rocblas_complex_numIfELi16ELi32ELi8ELi1ELin1ELb1ELc84ELc85EKPKS1_KPS1_EviT_PT9_S7_lS9_S7_lPT10_S7_li
    .private_segment_fixed_size: 0
    .sgpr_count:     21
    .sgpr_spill_count: 0
    .symbol:         _ZL37rocblas_syrkx_herkx_restricted_kernelIi19rocblas_complex_numIfELi16ELi32ELi8ELi1ELin1ELb1ELc84ELc85EKPKS1_KPS1_EviT_PT9_S7_lS9_S7_lPT10_S7_li.kd
    .uniform_work_group_size: 1
    .uses_dynamic_stack: false
    .vgpr_count:     41
    .vgpr_spill_count: 0
    .wavefront_size: 64
  - .args:
      - .offset:         0
        .size:           4
        .value_kind:     by_value
      - .offset:         4
        .size:           4
        .value_kind:     by_value
      - .address_space:  global
        .offset:         8
        .size:           8
        .value_kind:     global_buffer
      - .offset:         16
        .size:           4
        .value_kind:     by_value
      - .offset:         24
        .size:           8
        .value_kind:     by_value
      - .address_space:  global
        .offset:         32
        .size:           8
        .value_kind:     global_buffer
      - .offset:         40
        .size:           4
        .value_kind:     by_value
      - .offset:         48
        .size:           8
        .value_kind:     by_value
      - .address_space:  global
        .offset:         56
        .size:           8
        .value_kind:     global_buffer
      - .offset:         64
        .size:           4
        .value_kind:     by_value
      - .offset:         72
        .size:           8
        .value_kind:     by_value
      - .offset:         80
        .size:           4
        .value_kind:     by_value
    .group_segment_fixed_size: 4096
    .kernarg_segment_align: 8
    .kernarg_segment_size: 84
    .language:       OpenCL C
    .language_version:
      - 2
      - 0
    .max_flat_workgroup_size: 256
    .name:           _ZL37rocblas_syrkx_herkx_restricted_kernelIi19rocblas_complex_numIfELi16ELi32ELi8ELi1ELin1ELb1ELc67ELc85EKPKS1_KPS1_EviT_PT9_S7_lS9_S7_lPT10_S7_li
    .private_segment_fixed_size: 0
    .sgpr_count:     21
    .sgpr_spill_count: 0
    .symbol:         _ZL37rocblas_syrkx_herkx_restricted_kernelIi19rocblas_complex_numIfELi16ELi32ELi8ELi1ELin1ELb1ELc67ELc85EKPKS1_KPS1_EviT_PT9_S7_lS9_S7_lPT10_S7_li.kd
    .uniform_work_group_size: 1
    .uses_dynamic_stack: false
    .vgpr_count:     41
    .vgpr_spill_count: 0
    .wavefront_size: 64
  - .args:
      - .offset:         0
        .size:           4
        .value_kind:     by_value
      - .offset:         4
        .size:           4
        .value_kind:     by_value
      - .address_space:  global
        .offset:         8
        .size:           8
        .value_kind:     global_buffer
      - .offset:         16
        .size:           4
        .value_kind:     by_value
      - .offset:         24
        .size:           8
        .value_kind:     by_value
      - .address_space:  global
        .offset:         32
        .size:           8
        .value_kind:     global_buffer
      - .offset:         40
        .size:           4
        .value_kind:     by_value
      - .offset:         48
        .size:           8
        .value_kind:     by_value
      - .address_space:  global
        .offset:         56
        .size:           8
        .value_kind:     global_buffer
      - .offset:         64
        .size:           4
        .value_kind:     by_value
      - .offset:         72
        .size:           8
        .value_kind:     by_value
      - .offset:         80
        .size:           4
        .value_kind:     by_value
    .group_segment_fixed_size: 4096
    .kernarg_segment_align: 8
    .kernarg_segment_size: 84
    .language:       OpenCL C
    .language_version:
      - 2
      - 0
    .max_flat_workgroup_size: 256
    .name:           _ZL37rocblas_syrkx_herkx_restricted_kernelIi19rocblas_complex_numIfELi16ELi32ELi8ELi1ELin1ELb1ELc78ELc85EKPKS1_KPS1_EviT_PT9_S7_lS9_S7_lPT10_S7_li
    .private_segment_fixed_size: 0
    .sgpr_count:     24
    .sgpr_spill_count: 0
    .symbol:         _ZL37rocblas_syrkx_herkx_restricted_kernelIi19rocblas_complex_numIfELi16ELi32ELi8ELi1ELin1ELb1ELc78ELc85EKPKS1_KPS1_EviT_PT9_S7_lS9_S7_lPT10_S7_li.kd
    .uniform_work_group_size: 1
    .uses_dynamic_stack: false
    .vgpr_count:     43
    .vgpr_spill_count: 0
    .wavefront_size: 64
  - .args:
      - .offset:         0
        .size:           4
        .value_kind:     by_value
      - .offset:         4
        .size:           4
        .value_kind:     by_value
      - .address_space:  global
        .offset:         8
        .size:           8
        .value_kind:     global_buffer
      - .offset:         16
        .size:           4
        .value_kind:     by_value
      - .offset:         24
        .size:           8
        .value_kind:     by_value
      - .address_space:  global
        .offset:         32
        .size:           8
        .value_kind:     global_buffer
      - .offset:         40
        .size:           4
        .value_kind:     by_value
      - .offset:         48
        .size:           8
        .value_kind:     by_value
      - .address_space:  global
        .offset:         56
        .size:           8
        .value_kind:     global_buffer
      - .offset:         64
        .size:           4
        .value_kind:     by_value
      - .offset:         72
        .size:           8
        .value_kind:     by_value
      - .offset:         80
        .size:           4
        .value_kind:     by_value
    .group_segment_fixed_size: 4096
    .kernarg_segment_align: 8
    .kernarg_segment_size: 84
    .language:       OpenCL C
    .language_version:
      - 2
      - 0
    .max_flat_workgroup_size: 256
    .name:           _ZL37rocblas_syrkx_herkx_restricted_kernelIi19rocblas_complex_numIfELi16ELi32ELi8ELi1ELi0ELb1ELc84ELc76EKPKS1_KPS1_EviT_PT9_S7_lS9_S7_lPT10_S7_li
    .private_segment_fixed_size: 0
    .sgpr_count:     21
    .sgpr_spill_count: 0
    .symbol:         _ZL37rocblas_syrkx_herkx_restricted_kernelIi19rocblas_complex_numIfELi16ELi32ELi8ELi1ELi0ELb1ELc84ELc76EKPKS1_KPS1_EviT_PT9_S7_lS9_S7_lPT10_S7_li.kd
    .uniform_work_group_size: 1
    .uses_dynamic_stack: false
    .vgpr_count:     41
    .vgpr_spill_count: 0
    .wavefront_size: 64
  - .args:
      - .offset:         0
        .size:           4
        .value_kind:     by_value
      - .offset:         4
        .size:           4
        .value_kind:     by_value
      - .address_space:  global
        .offset:         8
        .size:           8
        .value_kind:     global_buffer
      - .offset:         16
        .size:           4
        .value_kind:     by_value
      - .offset:         24
        .size:           8
        .value_kind:     by_value
      - .address_space:  global
        .offset:         32
        .size:           8
        .value_kind:     global_buffer
      - .offset:         40
        .size:           4
        .value_kind:     by_value
      - .offset:         48
        .size:           8
        .value_kind:     by_value
      - .address_space:  global
        .offset:         56
        .size:           8
        .value_kind:     global_buffer
      - .offset:         64
        .size:           4
        .value_kind:     by_value
      - .offset:         72
        .size:           8
        .value_kind:     by_value
      - .offset:         80
        .size:           4
        .value_kind:     by_value
    .group_segment_fixed_size: 4096
    .kernarg_segment_align: 8
    .kernarg_segment_size: 84
    .language:       OpenCL C
    .language_version:
      - 2
      - 0
    .max_flat_workgroup_size: 256
    .name:           _ZL37rocblas_syrkx_herkx_restricted_kernelIi19rocblas_complex_numIfELi16ELi32ELi8ELi1ELi0ELb1ELc67ELc76EKPKS1_KPS1_EviT_PT9_S7_lS9_S7_lPT10_S7_li
    .private_segment_fixed_size: 0
    .sgpr_count:     21
    .sgpr_spill_count: 0
    .symbol:         _ZL37rocblas_syrkx_herkx_restricted_kernelIi19rocblas_complex_numIfELi16ELi32ELi8ELi1ELi0ELb1ELc67ELc76EKPKS1_KPS1_EviT_PT9_S7_lS9_S7_lPT10_S7_li.kd
    .uniform_work_group_size: 1
    .uses_dynamic_stack: false
    .vgpr_count:     41
    .vgpr_spill_count: 0
    .wavefront_size: 64
  - .args:
      - .offset:         0
        .size:           4
        .value_kind:     by_value
      - .offset:         4
        .size:           4
        .value_kind:     by_value
      - .address_space:  global
        .offset:         8
        .size:           8
        .value_kind:     global_buffer
      - .offset:         16
        .size:           4
        .value_kind:     by_value
      - .offset:         24
        .size:           8
        .value_kind:     by_value
      - .address_space:  global
        .offset:         32
        .size:           8
        .value_kind:     global_buffer
      - .offset:         40
        .size:           4
        .value_kind:     by_value
      - .offset:         48
        .size:           8
        .value_kind:     by_value
      - .address_space:  global
        .offset:         56
        .size:           8
        .value_kind:     global_buffer
      - .offset:         64
        .size:           4
        .value_kind:     by_value
      - .offset:         72
        .size:           8
        .value_kind:     by_value
      - .offset:         80
        .size:           4
        .value_kind:     by_value
    .group_segment_fixed_size: 4096
    .kernarg_segment_align: 8
    .kernarg_segment_size: 84
    .language:       OpenCL C
    .language_version:
      - 2
      - 0
    .max_flat_workgroup_size: 256
    .name:           _ZL37rocblas_syrkx_herkx_restricted_kernelIi19rocblas_complex_numIfELi16ELi32ELi8ELi1ELi0ELb1ELc78ELc76EKPKS1_KPS1_EviT_PT9_S7_lS9_S7_lPT10_S7_li
    .private_segment_fixed_size: 0
    .sgpr_count:     24
    .sgpr_spill_count: 0
    .symbol:         _ZL37rocblas_syrkx_herkx_restricted_kernelIi19rocblas_complex_numIfELi16ELi32ELi8ELi1ELi0ELb1ELc78ELc76EKPKS1_KPS1_EviT_PT9_S7_lS9_S7_lPT10_S7_li.kd
    .uniform_work_group_size: 1
    .uses_dynamic_stack: false
    .vgpr_count:     44
    .vgpr_spill_count: 0
    .wavefront_size: 64
  - .args:
      - .offset:         0
        .size:           4
        .value_kind:     by_value
      - .offset:         4
        .size:           4
        .value_kind:     by_value
      - .address_space:  global
        .offset:         8
        .size:           8
        .value_kind:     global_buffer
      - .offset:         16
        .size:           4
        .value_kind:     by_value
      - .offset:         24
        .size:           8
        .value_kind:     by_value
      - .address_space:  global
        .offset:         32
        .size:           8
        .value_kind:     global_buffer
      - .offset:         40
        .size:           4
        .value_kind:     by_value
      - .offset:         48
        .size:           8
        .value_kind:     by_value
      - .address_space:  global
        .offset:         56
        .size:           8
        .value_kind:     global_buffer
      - .offset:         64
        .size:           4
        .value_kind:     by_value
      - .offset:         72
        .size:           8
        .value_kind:     by_value
      - .offset:         80
        .size:           4
        .value_kind:     by_value
    .group_segment_fixed_size: 4096
    .kernarg_segment_align: 8
    .kernarg_segment_size: 84
    .language:       OpenCL C
    .language_version:
      - 2
      - 0
    .max_flat_workgroup_size: 256
    .name:           _ZL37rocblas_syrkx_herkx_restricted_kernelIi19rocblas_complex_numIfELi16ELi32ELi8ELi1ELi0ELb1ELc84ELc85EKPKS1_KPS1_EviT_PT9_S7_lS9_S7_lPT10_S7_li
    .private_segment_fixed_size: 0
    .sgpr_count:     21
    .sgpr_spill_count: 0
    .symbol:         _ZL37rocblas_syrkx_herkx_restricted_kernelIi19rocblas_complex_numIfELi16ELi32ELi8ELi1ELi0ELb1ELc84ELc85EKPKS1_KPS1_EviT_PT9_S7_lS9_S7_lPT10_S7_li.kd
    .uniform_work_group_size: 1
    .uses_dynamic_stack: false
    .vgpr_count:     41
    .vgpr_spill_count: 0
    .wavefront_size: 64
  - .args:
      - .offset:         0
        .size:           4
        .value_kind:     by_value
      - .offset:         4
        .size:           4
        .value_kind:     by_value
      - .address_space:  global
        .offset:         8
        .size:           8
        .value_kind:     global_buffer
      - .offset:         16
        .size:           4
        .value_kind:     by_value
      - .offset:         24
        .size:           8
        .value_kind:     by_value
      - .address_space:  global
        .offset:         32
        .size:           8
        .value_kind:     global_buffer
      - .offset:         40
        .size:           4
        .value_kind:     by_value
      - .offset:         48
        .size:           8
        .value_kind:     by_value
      - .address_space:  global
        .offset:         56
        .size:           8
        .value_kind:     global_buffer
      - .offset:         64
        .size:           4
        .value_kind:     by_value
      - .offset:         72
        .size:           8
        .value_kind:     by_value
      - .offset:         80
        .size:           4
        .value_kind:     by_value
    .group_segment_fixed_size: 4096
    .kernarg_segment_align: 8
    .kernarg_segment_size: 84
    .language:       OpenCL C
    .language_version:
      - 2
      - 0
    .max_flat_workgroup_size: 256
    .name:           _ZL37rocblas_syrkx_herkx_restricted_kernelIi19rocblas_complex_numIfELi16ELi32ELi8ELi1ELi0ELb1ELc67ELc85EKPKS1_KPS1_EviT_PT9_S7_lS9_S7_lPT10_S7_li
    .private_segment_fixed_size: 0
    .sgpr_count:     21
    .sgpr_spill_count: 0
    .symbol:         _ZL37rocblas_syrkx_herkx_restricted_kernelIi19rocblas_complex_numIfELi16ELi32ELi8ELi1ELi0ELb1ELc67ELc85EKPKS1_KPS1_EviT_PT9_S7_lS9_S7_lPT10_S7_li.kd
    .uniform_work_group_size: 1
    .uses_dynamic_stack: false
    .vgpr_count:     41
    .vgpr_spill_count: 0
    .wavefront_size: 64
  - .args:
      - .offset:         0
        .size:           4
        .value_kind:     by_value
      - .offset:         4
        .size:           4
        .value_kind:     by_value
      - .address_space:  global
        .offset:         8
        .size:           8
        .value_kind:     global_buffer
      - .offset:         16
        .size:           4
        .value_kind:     by_value
      - .offset:         24
        .size:           8
        .value_kind:     by_value
      - .address_space:  global
        .offset:         32
        .size:           8
        .value_kind:     global_buffer
      - .offset:         40
        .size:           4
        .value_kind:     by_value
      - .offset:         48
        .size:           8
        .value_kind:     by_value
      - .address_space:  global
        .offset:         56
        .size:           8
        .value_kind:     global_buffer
      - .offset:         64
        .size:           4
        .value_kind:     by_value
      - .offset:         72
        .size:           8
        .value_kind:     by_value
      - .offset:         80
        .size:           4
        .value_kind:     by_value
    .group_segment_fixed_size: 4096
    .kernarg_segment_align: 8
    .kernarg_segment_size: 84
    .language:       OpenCL C
    .language_version:
      - 2
      - 0
    .max_flat_workgroup_size: 256
    .name:           _ZL37rocblas_syrkx_herkx_restricted_kernelIi19rocblas_complex_numIfELi16ELi32ELi8ELi1ELi0ELb1ELc78ELc85EKPKS1_KPS1_EviT_PT9_S7_lS9_S7_lPT10_S7_li
    .private_segment_fixed_size: 0
    .sgpr_count:     24
    .sgpr_spill_count: 0
    .symbol:         _ZL37rocblas_syrkx_herkx_restricted_kernelIi19rocblas_complex_numIfELi16ELi32ELi8ELi1ELi0ELb1ELc78ELc85EKPKS1_KPS1_EviT_PT9_S7_lS9_S7_lPT10_S7_li.kd
    .uniform_work_group_size: 1
    .uses_dynamic_stack: false
    .vgpr_count:     44
    .vgpr_spill_count: 0
    .wavefront_size: 64
  - .args:
      - .offset:         0
        .size:           4
        .value_kind:     by_value
      - .offset:         4
        .size:           4
        .value_kind:     by_value
      - .address_space:  global
        .offset:         8
        .size:           8
        .value_kind:     global_buffer
      - .offset:         16
        .size:           4
        .value_kind:     by_value
      - .offset:         24
        .size:           8
        .value_kind:     by_value
      - .address_space:  global
        .offset:         32
        .size:           8
        .value_kind:     global_buffer
      - .offset:         40
        .size:           4
        .value_kind:     by_value
      - .offset:         48
        .size:           8
        .value_kind:     by_value
      - .address_space:  global
        .offset:         56
        .size:           8
        .value_kind:     global_buffer
      - .offset:         64
        .size:           4
        .value_kind:     by_value
      - .offset:         72
        .size:           8
        .value_kind:     by_value
      - .offset:         80
        .size:           4
        .value_kind:     by_value
    .group_segment_fixed_size: 4096
    .kernarg_segment_align: 8
    .kernarg_segment_size: 84
    .language:       OpenCL C
    .language_version:
      - 2
      - 0
    .max_flat_workgroup_size: 256
    .name:           _ZL37rocblas_syrkx_herkx_restricted_kernelIi19rocblas_complex_numIfELi16ELi32ELi8ELin1ELi0ELb1ELc84ELc76EKPKS1_KPS1_EviT_PT9_S7_lS9_S7_lPT10_S7_li
    .private_segment_fixed_size: 0
    .sgpr_count:     21
    .sgpr_spill_count: 0
    .symbol:         _ZL37rocblas_syrkx_herkx_restricted_kernelIi19rocblas_complex_numIfELi16ELi32ELi8ELin1ELi0ELb1ELc84ELc76EKPKS1_KPS1_EviT_PT9_S7_lS9_S7_lPT10_S7_li.kd
    .uniform_work_group_size: 1
    .uses_dynamic_stack: false
    .vgpr_count:     41
    .vgpr_spill_count: 0
    .wavefront_size: 64
  - .args:
      - .offset:         0
        .size:           4
        .value_kind:     by_value
      - .offset:         4
        .size:           4
        .value_kind:     by_value
      - .address_space:  global
        .offset:         8
        .size:           8
        .value_kind:     global_buffer
      - .offset:         16
        .size:           4
        .value_kind:     by_value
      - .offset:         24
        .size:           8
        .value_kind:     by_value
      - .address_space:  global
        .offset:         32
        .size:           8
        .value_kind:     global_buffer
      - .offset:         40
        .size:           4
        .value_kind:     by_value
      - .offset:         48
        .size:           8
        .value_kind:     by_value
      - .address_space:  global
        .offset:         56
        .size:           8
        .value_kind:     global_buffer
      - .offset:         64
        .size:           4
        .value_kind:     by_value
      - .offset:         72
        .size:           8
        .value_kind:     by_value
      - .offset:         80
        .size:           4
        .value_kind:     by_value
    .group_segment_fixed_size: 4096
    .kernarg_segment_align: 8
    .kernarg_segment_size: 84
    .language:       OpenCL C
    .language_version:
      - 2
      - 0
    .max_flat_workgroup_size: 256
    .name:           _ZL37rocblas_syrkx_herkx_restricted_kernelIi19rocblas_complex_numIfELi16ELi32ELi8ELin1ELi0ELb1ELc67ELc76EKPKS1_KPS1_EviT_PT9_S7_lS9_S7_lPT10_S7_li
    .private_segment_fixed_size: 0
    .sgpr_count:     21
    .sgpr_spill_count: 0
    .symbol:         _ZL37rocblas_syrkx_herkx_restricted_kernelIi19rocblas_complex_numIfELi16ELi32ELi8ELin1ELi0ELb1ELc67ELc76EKPKS1_KPS1_EviT_PT9_S7_lS9_S7_lPT10_S7_li.kd
    .uniform_work_group_size: 1
    .uses_dynamic_stack: false
    .vgpr_count:     41
    .vgpr_spill_count: 0
    .wavefront_size: 64
  - .args:
      - .offset:         0
        .size:           4
        .value_kind:     by_value
      - .offset:         4
        .size:           4
        .value_kind:     by_value
      - .address_space:  global
        .offset:         8
        .size:           8
        .value_kind:     global_buffer
      - .offset:         16
        .size:           4
        .value_kind:     by_value
      - .offset:         24
        .size:           8
        .value_kind:     by_value
      - .address_space:  global
        .offset:         32
        .size:           8
        .value_kind:     global_buffer
      - .offset:         40
        .size:           4
        .value_kind:     by_value
      - .offset:         48
        .size:           8
        .value_kind:     by_value
      - .address_space:  global
        .offset:         56
        .size:           8
        .value_kind:     global_buffer
      - .offset:         64
        .size:           4
        .value_kind:     by_value
      - .offset:         72
        .size:           8
        .value_kind:     by_value
      - .offset:         80
        .size:           4
        .value_kind:     by_value
    .group_segment_fixed_size: 4096
    .kernarg_segment_align: 8
    .kernarg_segment_size: 84
    .language:       OpenCL C
    .language_version:
      - 2
      - 0
    .max_flat_workgroup_size: 256
    .name:           _ZL37rocblas_syrkx_herkx_restricted_kernelIi19rocblas_complex_numIfELi16ELi32ELi8ELin1ELi0ELb1ELc78ELc76EKPKS1_KPS1_EviT_PT9_S7_lS9_S7_lPT10_S7_li
    .private_segment_fixed_size: 0
    .sgpr_count:     24
    .sgpr_spill_count: 0
    .symbol:         _ZL37rocblas_syrkx_herkx_restricted_kernelIi19rocblas_complex_numIfELi16ELi32ELi8ELin1ELi0ELb1ELc78ELc76EKPKS1_KPS1_EviT_PT9_S7_lS9_S7_lPT10_S7_li.kd
    .uniform_work_group_size: 1
    .uses_dynamic_stack: false
    .vgpr_count:     43
    .vgpr_spill_count: 0
    .wavefront_size: 64
  - .args:
      - .offset:         0
        .size:           4
        .value_kind:     by_value
      - .offset:         4
        .size:           4
        .value_kind:     by_value
      - .address_space:  global
        .offset:         8
        .size:           8
        .value_kind:     global_buffer
      - .offset:         16
        .size:           4
        .value_kind:     by_value
      - .offset:         24
        .size:           8
        .value_kind:     by_value
      - .address_space:  global
        .offset:         32
        .size:           8
        .value_kind:     global_buffer
      - .offset:         40
        .size:           4
        .value_kind:     by_value
      - .offset:         48
        .size:           8
        .value_kind:     by_value
      - .address_space:  global
        .offset:         56
        .size:           8
        .value_kind:     global_buffer
      - .offset:         64
        .size:           4
        .value_kind:     by_value
      - .offset:         72
        .size:           8
        .value_kind:     by_value
      - .offset:         80
        .size:           4
        .value_kind:     by_value
    .group_segment_fixed_size: 4096
    .kernarg_segment_align: 8
    .kernarg_segment_size: 84
    .language:       OpenCL C
    .language_version:
      - 2
      - 0
    .max_flat_workgroup_size: 256
    .name:           _ZL37rocblas_syrkx_herkx_restricted_kernelIi19rocblas_complex_numIfELi16ELi32ELi8ELin1ELi0ELb1ELc84ELc85EKPKS1_KPS1_EviT_PT9_S7_lS9_S7_lPT10_S7_li
    .private_segment_fixed_size: 0
    .sgpr_count:     21
    .sgpr_spill_count: 0
    .symbol:         _ZL37rocblas_syrkx_herkx_restricted_kernelIi19rocblas_complex_numIfELi16ELi32ELi8ELin1ELi0ELb1ELc84ELc85EKPKS1_KPS1_EviT_PT9_S7_lS9_S7_lPT10_S7_li.kd
    .uniform_work_group_size: 1
    .uses_dynamic_stack: false
    .vgpr_count:     41
    .vgpr_spill_count: 0
    .wavefront_size: 64
  - .args:
      - .offset:         0
        .size:           4
        .value_kind:     by_value
      - .offset:         4
        .size:           4
        .value_kind:     by_value
      - .address_space:  global
        .offset:         8
        .size:           8
        .value_kind:     global_buffer
      - .offset:         16
        .size:           4
        .value_kind:     by_value
      - .offset:         24
        .size:           8
        .value_kind:     by_value
      - .address_space:  global
        .offset:         32
        .size:           8
        .value_kind:     global_buffer
      - .offset:         40
        .size:           4
        .value_kind:     by_value
      - .offset:         48
        .size:           8
        .value_kind:     by_value
      - .address_space:  global
        .offset:         56
        .size:           8
        .value_kind:     global_buffer
      - .offset:         64
        .size:           4
        .value_kind:     by_value
      - .offset:         72
        .size:           8
        .value_kind:     by_value
      - .offset:         80
        .size:           4
        .value_kind:     by_value
    .group_segment_fixed_size: 4096
    .kernarg_segment_align: 8
    .kernarg_segment_size: 84
    .language:       OpenCL C
    .language_version:
      - 2
      - 0
    .max_flat_workgroup_size: 256
    .name:           _ZL37rocblas_syrkx_herkx_restricted_kernelIi19rocblas_complex_numIfELi16ELi32ELi8ELin1ELi0ELb1ELc67ELc85EKPKS1_KPS1_EviT_PT9_S7_lS9_S7_lPT10_S7_li
    .private_segment_fixed_size: 0
    .sgpr_count:     21
    .sgpr_spill_count: 0
    .symbol:         _ZL37rocblas_syrkx_herkx_restricted_kernelIi19rocblas_complex_numIfELi16ELi32ELi8ELin1ELi0ELb1ELc67ELc85EKPKS1_KPS1_EviT_PT9_S7_lS9_S7_lPT10_S7_li.kd
    .uniform_work_group_size: 1
    .uses_dynamic_stack: false
    .vgpr_count:     41
    .vgpr_spill_count: 0
    .wavefront_size: 64
  - .args:
      - .offset:         0
        .size:           4
        .value_kind:     by_value
      - .offset:         4
        .size:           4
        .value_kind:     by_value
      - .address_space:  global
        .offset:         8
        .size:           8
        .value_kind:     global_buffer
      - .offset:         16
        .size:           4
        .value_kind:     by_value
      - .offset:         24
        .size:           8
        .value_kind:     by_value
      - .address_space:  global
        .offset:         32
        .size:           8
        .value_kind:     global_buffer
      - .offset:         40
        .size:           4
        .value_kind:     by_value
      - .offset:         48
        .size:           8
        .value_kind:     by_value
      - .address_space:  global
        .offset:         56
        .size:           8
        .value_kind:     global_buffer
      - .offset:         64
        .size:           4
        .value_kind:     by_value
      - .offset:         72
        .size:           8
        .value_kind:     by_value
      - .offset:         80
        .size:           4
        .value_kind:     by_value
    .group_segment_fixed_size: 4096
    .kernarg_segment_align: 8
    .kernarg_segment_size: 84
    .language:       OpenCL C
    .language_version:
      - 2
      - 0
    .max_flat_workgroup_size: 256
    .name:           _ZL37rocblas_syrkx_herkx_restricted_kernelIi19rocblas_complex_numIfELi16ELi32ELi8ELin1ELi0ELb1ELc78ELc85EKPKS1_KPS1_EviT_PT9_S7_lS9_S7_lPT10_S7_li
    .private_segment_fixed_size: 0
    .sgpr_count:     24
    .sgpr_spill_count: 0
    .symbol:         _ZL37rocblas_syrkx_herkx_restricted_kernelIi19rocblas_complex_numIfELi16ELi32ELi8ELin1ELi0ELb1ELc78ELc85EKPKS1_KPS1_EviT_PT9_S7_lS9_S7_lPT10_S7_li.kd
    .uniform_work_group_size: 1
    .uses_dynamic_stack: false
    .vgpr_count:     43
    .vgpr_spill_count: 0
    .wavefront_size: 64
  - .args:
      - .offset:         0
        .size:           4
        .value_kind:     by_value
      - .offset:         4
        .size:           4
        .value_kind:     by_value
      - .offset:         8
        .size:           8
        .value_kind:     by_value
      - .address_space:  global
        .offset:         16
        .size:           8
        .value_kind:     global_buffer
      - .offset:         24
        .size:           4
        .value_kind:     by_value
      - .offset:         32
        .size:           8
        .value_kind:     by_value
      - .address_space:  global
        .offset:         40
        .size:           8
        .value_kind:     global_buffer
      - .offset:         48
        .size:           4
        .value_kind:     by_value
      - .offset:         56
        .size:           8
        .value_kind:     by_value
      - .offset:         64
        .size:           8
        .value_kind:     by_value
      - .address_space:  global
        .offset:         72
        .size:           8
        .value_kind:     global_buffer
      - .offset:         80
        .size:           4
        .value_kind:     by_value
      - .offset:         88
        .size:           8
        .value_kind:     by_value
      - .offset:         96
        .size:           4
        .value_kind:     by_value
    .group_segment_fixed_size: 4096
    .kernarg_segment_align: 8
    .kernarg_segment_size: 100
    .language:       OpenCL C
    .language_version:
      - 2
      - 0
    .max_flat_workgroup_size: 256
    .name:           _ZL37rocblas_syrkx_herkx_restricted_kernelIi19rocblas_complex_numIfELi16ELi32ELi8ELb1ELb1ELc84ELc76EKPKS1_KPS1_EviT_T0_PT8_S7_lSA_S7_lS8_PT9_S7_li
    .private_segment_fixed_size: 0
    .sgpr_count:     23
    .sgpr_spill_count: 0
    .symbol:         _ZL37rocblas_syrkx_herkx_restricted_kernelIi19rocblas_complex_numIfELi16ELi32ELi8ELb1ELb1ELc84ELc76EKPKS1_KPS1_EviT_T0_PT8_S7_lSA_S7_lS8_PT9_S7_li.kd
    .uniform_work_group_size: 1
    .uses_dynamic_stack: false
    .vgpr_count:     41
    .vgpr_spill_count: 0
    .wavefront_size: 64
  - .args:
      - .offset:         0
        .size:           4
        .value_kind:     by_value
      - .offset:         4
        .size:           4
        .value_kind:     by_value
      - .offset:         8
        .size:           8
        .value_kind:     by_value
      - .address_space:  global
        .offset:         16
        .size:           8
        .value_kind:     global_buffer
      - .offset:         24
        .size:           4
        .value_kind:     by_value
      - .offset:         32
        .size:           8
        .value_kind:     by_value
      - .address_space:  global
        .offset:         40
        .size:           8
        .value_kind:     global_buffer
      - .offset:         48
        .size:           4
        .value_kind:     by_value
      - .offset:         56
        .size:           8
        .value_kind:     by_value
      - .offset:         64
        .size:           8
        .value_kind:     by_value
      - .address_space:  global
        .offset:         72
        .size:           8
        .value_kind:     global_buffer
      - .offset:         80
        .size:           4
        .value_kind:     by_value
      - .offset:         88
        .size:           8
        .value_kind:     by_value
      - .offset:         96
        .size:           4
        .value_kind:     by_value
    .group_segment_fixed_size: 4096
    .kernarg_segment_align: 8
    .kernarg_segment_size: 100
    .language:       OpenCL C
    .language_version:
      - 2
      - 0
    .max_flat_workgroup_size: 256
    .name:           _ZL37rocblas_syrkx_herkx_restricted_kernelIi19rocblas_complex_numIfELi16ELi32ELi8ELb1ELb1ELc67ELc76EKPKS1_KPS1_EviT_T0_PT8_S7_lSA_S7_lS8_PT9_S7_li
    .private_segment_fixed_size: 0
    .sgpr_count:     23
    .sgpr_spill_count: 0
    .symbol:         _ZL37rocblas_syrkx_herkx_restricted_kernelIi19rocblas_complex_numIfELi16ELi32ELi8ELb1ELb1ELc67ELc76EKPKS1_KPS1_EviT_T0_PT8_S7_lSA_S7_lS8_PT9_S7_li.kd
    .uniform_work_group_size: 1
    .uses_dynamic_stack: false
    .vgpr_count:     41
    .vgpr_spill_count: 0
    .wavefront_size: 64
  - .args:
      - .offset:         0
        .size:           4
        .value_kind:     by_value
      - .offset:         4
        .size:           4
        .value_kind:     by_value
      - .offset:         8
        .size:           8
        .value_kind:     by_value
      - .address_space:  global
        .offset:         16
        .size:           8
        .value_kind:     global_buffer
      - .offset:         24
        .size:           4
        .value_kind:     by_value
      - .offset:         32
        .size:           8
        .value_kind:     by_value
      - .address_space:  global
        .offset:         40
        .size:           8
        .value_kind:     global_buffer
      - .offset:         48
        .size:           4
        .value_kind:     by_value
      - .offset:         56
        .size:           8
        .value_kind:     by_value
      - .offset:         64
        .size:           8
        .value_kind:     by_value
      - .address_space:  global
        .offset:         72
        .size:           8
        .value_kind:     global_buffer
      - .offset:         80
        .size:           4
        .value_kind:     by_value
      - .offset:         88
        .size:           8
        .value_kind:     by_value
      - .offset:         96
        .size:           4
        .value_kind:     by_value
    .group_segment_fixed_size: 4096
    .kernarg_segment_align: 8
    .kernarg_segment_size: 100
    .language:       OpenCL C
    .language_version:
      - 2
      - 0
    .max_flat_workgroup_size: 256
    .name:           _ZL37rocblas_syrkx_herkx_restricted_kernelIi19rocblas_complex_numIfELi16ELi32ELi8ELb1ELb1ELc78ELc76EKPKS1_KPS1_EviT_T0_PT8_S7_lSA_S7_lS8_PT9_S7_li
    .private_segment_fixed_size: 0
    .sgpr_count:     26
    .sgpr_spill_count: 0
    .symbol:         _ZL37rocblas_syrkx_herkx_restricted_kernelIi19rocblas_complex_numIfELi16ELi32ELi8ELb1ELb1ELc78ELc76EKPKS1_KPS1_EviT_T0_PT8_S7_lSA_S7_lS8_PT9_S7_li.kd
    .uniform_work_group_size: 1
    .uses_dynamic_stack: false
    .vgpr_count:     43
    .vgpr_spill_count: 0
    .wavefront_size: 64
  - .args:
      - .offset:         0
        .size:           4
        .value_kind:     by_value
      - .offset:         4
        .size:           4
        .value_kind:     by_value
      - .offset:         8
        .size:           8
        .value_kind:     by_value
      - .address_space:  global
        .offset:         16
        .size:           8
        .value_kind:     global_buffer
      - .offset:         24
        .size:           4
        .value_kind:     by_value
      - .offset:         32
        .size:           8
        .value_kind:     by_value
      - .address_space:  global
        .offset:         40
        .size:           8
        .value_kind:     global_buffer
      - .offset:         48
        .size:           4
        .value_kind:     by_value
      - .offset:         56
        .size:           8
        .value_kind:     by_value
      - .offset:         64
        .size:           8
        .value_kind:     by_value
      - .address_space:  global
        .offset:         72
        .size:           8
        .value_kind:     global_buffer
      - .offset:         80
        .size:           4
        .value_kind:     by_value
      - .offset:         88
        .size:           8
        .value_kind:     by_value
      - .offset:         96
        .size:           4
        .value_kind:     by_value
    .group_segment_fixed_size: 4096
    .kernarg_segment_align: 8
    .kernarg_segment_size: 100
    .language:       OpenCL C
    .language_version:
      - 2
      - 0
    .max_flat_workgroup_size: 256
    .name:           _ZL37rocblas_syrkx_herkx_restricted_kernelIi19rocblas_complex_numIfELi16ELi32ELi8ELb1ELb1ELc84ELc85EKPKS1_KPS1_EviT_T0_PT8_S7_lSA_S7_lS8_PT9_S7_li
    .private_segment_fixed_size: 0
    .sgpr_count:     23
    .sgpr_spill_count: 0
    .symbol:         _ZL37rocblas_syrkx_herkx_restricted_kernelIi19rocblas_complex_numIfELi16ELi32ELi8ELb1ELb1ELc84ELc85EKPKS1_KPS1_EviT_T0_PT8_S7_lSA_S7_lS8_PT9_S7_li.kd
    .uniform_work_group_size: 1
    .uses_dynamic_stack: false
    .vgpr_count:     41
    .vgpr_spill_count: 0
    .wavefront_size: 64
  - .args:
      - .offset:         0
        .size:           4
        .value_kind:     by_value
      - .offset:         4
        .size:           4
        .value_kind:     by_value
      - .offset:         8
        .size:           8
        .value_kind:     by_value
      - .address_space:  global
        .offset:         16
        .size:           8
        .value_kind:     global_buffer
      - .offset:         24
        .size:           4
        .value_kind:     by_value
      - .offset:         32
        .size:           8
        .value_kind:     by_value
      - .address_space:  global
        .offset:         40
        .size:           8
        .value_kind:     global_buffer
      - .offset:         48
        .size:           4
        .value_kind:     by_value
      - .offset:         56
        .size:           8
        .value_kind:     by_value
      - .offset:         64
        .size:           8
        .value_kind:     by_value
      - .address_space:  global
        .offset:         72
        .size:           8
        .value_kind:     global_buffer
      - .offset:         80
        .size:           4
        .value_kind:     by_value
      - .offset:         88
        .size:           8
        .value_kind:     by_value
      - .offset:         96
        .size:           4
        .value_kind:     by_value
    .group_segment_fixed_size: 4096
    .kernarg_segment_align: 8
    .kernarg_segment_size: 100
    .language:       OpenCL C
    .language_version:
      - 2
      - 0
    .max_flat_workgroup_size: 256
    .name:           _ZL37rocblas_syrkx_herkx_restricted_kernelIi19rocblas_complex_numIfELi16ELi32ELi8ELb1ELb1ELc67ELc85EKPKS1_KPS1_EviT_T0_PT8_S7_lSA_S7_lS8_PT9_S7_li
    .private_segment_fixed_size: 0
    .sgpr_count:     23
    .sgpr_spill_count: 0
    .symbol:         _ZL37rocblas_syrkx_herkx_restricted_kernelIi19rocblas_complex_numIfELi16ELi32ELi8ELb1ELb1ELc67ELc85EKPKS1_KPS1_EviT_T0_PT8_S7_lSA_S7_lS8_PT9_S7_li.kd
    .uniform_work_group_size: 1
    .uses_dynamic_stack: false
    .vgpr_count:     41
    .vgpr_spill_count: 0
    .wavefront_size: 64
  - .args:
      - .offset:         0
        .size:           4
        .value_kind:     by_value
      - .offset:         4
        .size:           4
        .value_kind:     by_value
      - .offset:         8
        .size:           8
        .value_kind:     by_value
      - .address_space:  global
        .offset:         16
        .size:           8
        .value_kind:     global_buffer
      - .offset:         24
        .size:           4
        .value_kind:     by_value
      - .offset:         32
        .size:           8
        .value_kind:     by_value
      - .address_space:  global
        .offset:         40
        .size:           8
        .value_kind:     global_buffer
      - .offset:         48
        .size:           4
        .value_kind:     by_value
      - .offset:         56
        .size:           8
        .value_kind:     by_value
      - .offset:         64
        .size:           8
        .value_kind:     by_value
      - .address_space:  global
        .offset:         72
        .size:           8
        .value_kind:     global_buffer
      - .offset:         80
        .size:           4
        .value_kind:     by_value
      - .offset:         88
        .size:           8
        .value_kind:     by_value
      - .offset:         96
        .size:           4
        .value_kind:     by_value
    .group_segment_fixed_size: 4096
    .kernarg_segment_align: 8
    .kernarg_segment_size: 100
    .language:       OpenCL C
    .language_version:
      - 2
      - 0
    .max_flat_workgroup_size: 256
    .name:           _ZL37rocblas_syrkx_herkx_restricted_kernelIi19rocblas_complex_numIfELi16ELi32ELi8ELb1ELb1ELc78ELc85EKPKS1_KPS1_EviT_T0_PT8_S7_lSA_S7_lS8_PT9_S7_li
    .private_segment_fixed_size: 0
    .sgpr_count:     26
    .sgpr_spill_count: 0
    .symbol:         _ZL37rocblas_syrkx_herkx_restricted_kernelIi19rocblas_complex_numIfELi16ELi32ELi8ELb1ELb1ELc78ELc85EKPKS1_KPS1_EviT_T0_PT8_S7_lSA_S7_lS8_PT9_S7_li.kd
    .uniform_work_group_size: 1
    .uses_dynamic_stack: false
    .vgpr_count:     43
    .vgpr_spill_count: 0
    .wavefront_size: 64
  - .args:
      - .offset:         0
        .size:           4
        .value_kind:     by_value
      - .offset:         4
        .size:           4
        .value_kind:     by_value
      - .offset:         8
        .size:           8
        .value_kind:     by_value
      - .address_space:  global
        .offset:         16
        .size:           8
        .value_kind:     global_buffer
      - .offset:         24
        .size:           4
        .value_kind:     by_value
      - .offset:         32
        .size:           8
        .value_kind:     by_value
      - .address_space:  global
        .offset:         40
        .size:           8
        .value_kind:     global_buffer
      - .offset:         48
        .size:           4
        .value_kind:     by_value
      - .offset:         56
        .size:           8
        .value_kind:     by_value
      - .offset:         64
        .size:           8
        .value_kind:     by_value
      - .address_space:  global
        .offset:         72
        .size:           8
        .value_kind:     global_buffer
      - .offset:         80
        .size:           4
        .value_kind:     by_value
      - .offset:         88
        .size:           8
        .value_kind:     by_value
      - .offset:         96
        .size:           4
        .value_kind:     by_value
    .group_segment_fixed_size: 4096
    .kernarg_segment_align: 8
    .kernarg_segment_size: 100
    .language:       OpenCL C
    .language_version:
      - 2
      - 0
    .max_flat_workgroup_size: 256
    .name:           _ZL37rocblas_syrkx_herkx_restricted_kernelIi19rocblas_complex_numIfELi16ELi32ELi8ELb0ELb1ELc84ELc76EKPKS1_KPS1_EviT_T0_PT8_S7_lSA_S7_lS8_PT9_S7_li
    .private_segment_fixed_size: 0
    .sgpr_count:     27
    .sgpr_spill_count: 0
    .symbol:         _ZL37rocblas_syrkx_herkx_restricted_kernelIi19rocblas_complex_numIfELi16ELi32ELi8ELb0ELb1ELc84ELc76EKPKS1_KPS1_EviT_T0_PT8_S7_lSA_S7_lS8_PT9_S7_li.kd
    .uniform_work_group_size: 1
    .uses_dynamic_stack: false
    .vgpr_count:     41
    .vgpr_spill_count: 0
    .wavefront_size: 64
  - .args:
      - .offset:         0
        .size:           4
        .value_kind:     by_value
      - .offset:         4
        .size:           4
        .value_kind:     by_value
      - .offset:         8
        .size:           8
        .value_kind:     by_value
      - .address_space:  global
        .offset:         16
        .size:           8
        .value_kind:     global_buffer
      - .offset:         24
        .size:           4
        .value_kind:     by_value
      - .offset:         32
        .size:           8
        .value_kind:     by_value
      - .address_space:  global
        .offset:         40
        .size:           8
        .value_kind:     global_buffer
      - .offset:         48
        .size:           4
        .value_kind:     by_value
      - .offset:         56
        .size:           8
        .value_kind:     by_value
      - .offset:         64
        .size:           8
        .value_kind:     by_value
      - .address_space:  global
        .offset:         72
        .size:           8
        .value_kind:     global_buffer
      - .offset:         80
        .size:           4
        .value_kind:     by_value
      - .offset:         88
        .size:           8
        .value_kind:     by_value
      - .offset:         96
        .size:           4
        .value_kind:     by_value
    .group_segment_fixed_size: 4096
    .kernarg_segment_align: 8
    .kernarg_segment_size: 100
    .language:       OpenCL C
    .language_version:
      - 2
      - 0
    .max_flat_workgroup_size: 256
    .name:           _ZL37rocblas_syrkx_herkx_restricted_kernelIi19rocblas_complex_numIfELi16ELi32ELi8ELb0ELb1ELc67ELc76EKPKS1_KPS1_EviT_T0_PT8_S7_lSA_S7_lS8_PT9_S7_li
    .private_segment_fixed_size: 0
    .sgpr_count:     27
    .sgpr_spill_count: 0
    .symbol:         _ZL37rocblas_syrkx_herkx_restricted_kernelIi19rocblas_complex_numIfELi16ELi32ELi8ELb0ELb1ELc67ELc76EKPKS1_KPS1_EviT_T0_PT8_S7_lSA_S7_lS8_PT9_S7_li.kd
    .uniform_work_group_size: 1
    .uses_dynamic_stack: false
    .vgpr_count:     41
    .vgpr_spill_count: 0
    .wavefront_size: 64
  - .args:
      - .offset:         0
        .size:           4
        .value_kind:     by_value
      - .offset:         4
        .size:           4
        .value_kind:     by_value
      - .offset:         8
        .size:           8
        .value_kind:     by_value
      - .address_space:  global
        .offset:         16
        .size:           8
        .value_kind:     global_buffer
      - .offset:         24
        .size:           4
        .value_kind:     by_value
      - .offset:         32
        .size:           8
        .value_kind:     by_value
      - .address_space:  global
        .offset:         40
        .size:           8
        .value_kind:     global_buffer
      - .offset:         48
        .size:           4
        .value_kind:     by_value
      - .offset:         56
        .size:           8
        .value_kind:     by_value
      - .offset:         64
        .size:           8
        .value_kind:     by_value
      - .address_space:  global
        .offset:         72
        .size:           8
        .value_kind:     global_buffer
      - .offset:         80
        .size:           4
        .value_kind:     by_value
      - .offset:         88
        .size:           8
        .value_kind:     by_value
      - .offset:         96
        .size:           4
        .value_kind:     by_value
    .group_segment_fixed_size: 4096
    .kernarg_segment_align: 8
    .kernarg_segment_size: 100
    .language:       OpenCL C
    .language_version:
      - 2
      - 0
    .max_flat_workgroup_size: 256
    .name:           _ZL37rocblas_syrkx_herkx_restricted_kernelIi19rocblas_complex_numIfELi16ELi32ELi8ELb0ELb1ELc78ELc76EKPKS1_KPS1_EviT_T0_PT8_S7_lSA_S7_lS8_PT9_S7_li
    .private_segment_fixed_size: 0
    .sgpr_count:     28
    .sgpr_spill_count: 0
    .symbol:         _ZL37rocblas_syrkx_herkx_restricted_kernelIi19rocblas_complex_numIfELi16ELi32ELi8ELb0ELb1ELc78ELc76EKPKS1_KPS1_EviT_T0_PT8_S7_lSA_S7_lS8_PT9_S7_li.kd
    .uniform_work_group_size: 1
    .uses_dynamic_stack: false
    .vgpr_count:     43
    .vgpr_spill_count: 0
    .wavefront_size: 64
  - .args:
      - .offset:         0
        .size:           4
        .value_kind:     by_value
      - .offset:         4
        .size:           4
        .value_kind:     by_value
      - .offset:         8
        .size:           8
        .value_kind:     by_value
      - .address_space:  global
        .offset:         16
        .size:           8
        .value_kind:     global_buffer
      - .offset:         24
        .size:           4
        .value_kind:     by_value
      - .offset:         32
        .size:           8
        .value_kind:     by_value
      - .address_space:  global
        .offset:         40
        .size:           8
        .value_kind:     global_buffer
      - .offset:         48
        .size:           4
        .value_kind:     by_value
      - .offset:         56
        .size:           8
        .value_kind:     by_value
      - .offset:         64
        .size:           8
        .value_kind:     by_value
      - .address_space:  global
        .offset:         72
        .size:           8
        .value_kind:     global_buffer
      - .offset:         80
        .size:           4
        .value_kind:     by_value
      - .offset:         88
        .size:           8
        .value_kind:     by_value
      - .offset:         96
        .size:           4
        .value_kind:     by_value
    .group_segment_fixed_size: 4096
    .kernarg_segment_align: 8
    .kernarg_segment_size: 100
    .language:       OpenCL C
    .language_version:
      - 2
      - 0
    .max_flat_workgroup_size: 256
    .name:           _ZL37rocblas_syrkx_herkx_restricted_kernelIi19rocblas_complex_numIfELi16ELi32ELi8ELb0ELb1ELc84ELc85EKPKS1_KPS1_EviT_T0_PT8_S7_lSA_S7_lS8_PT9_S7_li
    .private_segment_fixed_size: 0
    .sgpr_count:     25
    .sgpr_spill_count: 0
    .symbol:         _ZL37rocblas_syrkx_herkx_restricted_kernelIi19rocblas_complex_numIfELi16ELi32ELi8ELb0ELb1ELc84ELc85EKPKS1_KPS1_EviT_T0_PT8_S7_lSA_S7_lS8_PT9_S7_li.kd
    .uniform_work_group_size: 1
    .uses_dynamic_stack: false
    .vgpr_count:     41
    .vgpr_spill_count: 0
    .wavefront_size: 64
  - .args:
      - .offset:         0
        .size:           4
        .value_kind:     by_value
      - .offset:         4
        .size:           4
        .value_kind:     by_value
      - .offset:         8
        .size:           8
        .value_kind:     by_value
      - .address_space:  global
        .offset:         16
        .size:           8
        .value_kind:     global_buffer
      - .offset:         24
        .size:           4
        .value_kind:     by_value
      - .offset:         32
        .size:           8
        .value_kind:     by_value
      - .address_space:  global
        .offset:         40
        .size:           8
        .value_kind:     global_buffer
      - .offset:         48
        .size:           4
        .value_kind:     by_value
      - .offset:         56
        .size:           8
        .value_kind:     by_value
      - .offset:         64
        .size:           8
        .value_kind:     by_value
      - .address_space:  global
        .offset:         72
        .size:           8
        .value_kind:     global_buffer
      - .offset:         80
        .size:           4
        .value_kind:     by_value
      - .offset:         88
        .size:           8
        .value_kind:     by_value
      - .offset:         96
        .size:           4
        .value_kind:     by_value
    .group_segment_fixed_size: 4096
    .kernarg_segment_align: 8
    .kernarg_segment_size: 100
    .language:       OpenCL C
    .language_version:
      - 2
      - 0
    .max_flat_workgroup_size: 256
    .name:           _ZL37rocblas_syrkx_herkx_restricted_kernelIi19rocblas_complex_numIfELi16ELi32ELi8ELb0ELb1ELc67ELc85EKPKS1_KPS1_EviT_T0_PT8_S7_lSA_S7_lS8_PT9_S7_li
    .private_segment_fixed_size: 0
    .sgpr_count:     25
    .sgpr_spill_count: 0
    .symbol:         _ZL37rocblas_syrkx_herkx_restricted_kernelIi19rocblas_complex_numIfELi16ELi32ELi8ELb0ELb1ELc67ELc85EKPKS1_KPS1_EviT_T0_PT8_S7_lSA_S7_lS8_PT9_S7_li.kd
    .uniform_work_group_size: 1
    .uses_dynamic_stack: false
    .vgpr_count:     41
    .vgpr_spill_count: 0
    .wavefront_size: 64
  - .args:
      - .offset:         0
        .size:           4
        .value_kind:     by_value
      - .offset:         4
        .size:           4
        .value_kind:     by_value
      - .offset:         8
        .size:           8
        .value_kind:     by_value
      - .address_space:  global
        .offset:         16
        .size:           8
        .value_kind:     global_buffer
      - .offset:         24
        .size:           4
        .value_kind:     by_value
      - .offset:         32
        .size:           8
        .value_kind:     by_value
      - .address_space:  global
        .offset:         40
        .size:           8
        .value_kind:     global_buffer
      - .offset:         48
        .size:           4
        .value_kind:     by_value
      - .offset:         56
        .size:           8
        .value_kind:     by_value
      - .offset:         64
        .size:           8
        .value_kind:     by_value
      - .address_space:  global
        .offset:         72
        .size:           8
        .value_kind:     global_buffer
      - .offset:         80
        .size:           4
        .value_kind:     by_value
      - .offset:         88
        .size:           8
        .value_kind:     by_value
      - .offset:         96
        .size:           4
        .value_kind:     by_value
    .group_segment_fixed_size: 4096
    .kernarg_segment_align: 8
    .kernarg_segment_size: 100
    .language:       OpenCL C
    .language_version:
      - 2
      - 0
    .max_flat_workgroup_size: 256
    .name:           _ZL37rocblas_syrkx_herkx_restricted_kernelIi19rocblas_complex_numIfELi16ELi32ELi8ELb0ELb1ELc78ELc85EKPKS1_KPS1_EviT_T0_PT8_S7_lSA_S7_lS8_PT9_S7_li
    .private_segment_fixed_size: 0
    .sgpr_count:     28
    .sgpr_spill_count: 0
    .symbol:         _ZL37rocblas_syrkx_herkx_restricted_kernelIi19rocblas_complex_numIfELi16ELi32ELi8ELb0ELb1ELc78ELc85EKPKS1_KPS1_EviT_T0_PT8_S7_lSA_S7_lS8_PT9_S7_li.kd
    .uniform_work_group_size: 1
    .uses_dynamic_stack: false
    .vgpr_count:     43
    .vgpr_spill_count: 0
    .wavefront_size: 64
  - .args:
      - .offset:         0
        .size:           4
        .value_kind:     by_value
      - .offset:         4
        .size:           4
        .value_kind:     by_value
      - .offset:         8
        .size:           8
        .value_kind:     by_value
      - .address_space:  global
        .offset:         16
        .size:           8
        .value_kind:     global_buffer
      - .offset:         24
        .size:           4
        .value_kind:     by_value
      - .offset:         32
        .size:           8
        .value_kind:     by_value
      - .address_space:  global
        .offset:         40
        .size:           8
        .value_kind:     global_buffer
      - .offset:         48
        .size:           4
        .value_kind:     by_value
      - .offset:         56
        .size:           8
        .value_kind:     by_value
      - .offset:         64
        .size:           8
        .value_kind:     by_value
      - .address_space:  global
        .offset:         72
        .size:           8
        .value_kind:     global_buffer
      - .offset:         80
        .size:           4
        .value_kind:     by_value
      - .offset:         88
        .size:           8
        .value_kind:     by_value
      - .offset:         96
        .size:           4
        .value_kind:     by_value
    .group_segment_fixed_size: 4096
    .kernarg_segment_align: 8
    .kernarg_segment_size: 100
    .language:       OpenCL C
    .language_version:
      - 2
      - 0
    .max_flat_workgroup_size: 256
    .name:           _ZL41rocblas_syrkx_herkx_small_restrict_kernelIi19rocblas_complex_numIfELi16ELb1ELb1ELc84ELc76EKPKS1_KPS1_EviT_T0_PT6_S7_lSA_S7_lS8_PT7_S7_li
    .private_segment_fixed_size: 0
    .sgpr_count:     20
    .sgpr_spill_count: 0
    .symbol:         _ZL41rocblas_syrkx_herkx_small_restrict_kernelIi19rocblas_complex_numIfELi16ELb1ELb1ELc84ELc76EKPKS1_KPS1_EviT_T0_PT6_S7_lSA_S7_lS8_PT7_S7_li.kd
    .uniform_work_group_size: 1
    .uses_dynamic_stack: false
    .vgpr_count:     66
    .vgpr_spill_count: 0
    .wavefront_size: 64
  - .args:
      - .offset:         0
        .size:           4
        .value_kind:     by_value
      - .offset:         4
        .size:           4
        .value_kind:     by_value
      - .offset:         8
        .size:           8
        .value_kind:     by_value
      - .address_space:  global
        .offset:         16
        .size:           8
        .value_kind:     global_buffer
      - .offset:         24
        .size:           4
        .value_kind:     by_value
      - .offset:         32
        .size:           8
        .value_kind:     by_value
      - .address_space:  global
        .offset:         40
        .size:           8
        .value_kind:     global_buffer
      - .offset:         48
        .size:           4
        .value_kind:     by_value
      - .offset:         56
        .size:           8
        .value_kind:     by_value
      - .offset:         64
        .size:           8
        .value_kind:     by_value
      - .address_space:  global
        .offset:         72
        .size:           8
        .value_kind:     global_buffer
      - .offset:         80
        .size:           4
        .value_kind:     by_value
      - .offset:         88
        .size:           8
        .value_kind:     by_value
      - .offset:         96
        .size:           4
        .value_kind:     by_value
    .group_segment_fixed_size: 4096
    .kernarg_segment_align: 8
    .kernarg_segment_size: 100
    .language:       OpenCL C
    .language_version:
      - 2
      - 0
    .max_flat_workgroup_size: 256
    .name:           _ZL41rocblas_syrkx_herkx_small_restrict_kernelIi19rocblas_complex_numIfELi16ELb1ELb1ELc67ELc76EKPKS1_KPS1_EviT_T0_PT6_S7_lSA_S7_lS8_PT7_S7_li
    .private_segment_fixed_size: 0
    .sgpr_count:     20
    .sgpr_spill_count: 0
    .symbol:         _ZL41rocblas_syrkx_herkx_small_restrict_kernelIi19rocblas_complex_numIfELi16ELb1ELb1ELc67ELc76EKPKS1_KPS1_EviT_T0_PT6_S7_lSA_S7_lS8_PT7_S7_li.kd
    .uniform_work_group_size: 1
    .uses_dynamic_stack: false
    .vgpr_count:     66
    .vgpr_spill_count: 0
    .wavefront_size: 64
  - .args:
      - .offset:         0
        .size:           4
        .value_kind:     by_value
      - .offset:         4
        .size:           4
        .value_kind:     by_value
      - .offset:         8
        .size:           8
        .value_kind:     by_value
      - .address_space:  global
        .offset:         16
        .size:           8
        .value_kind:     global_buffer
      - .offset:         24
        .size:           4
        .value_kind:     by_value
      - .offset:         32
        .size:           8
        .value_kind:     by_value
      - .address_space:  global
        .offset:         40
        .size:           8
        .value_kind:     global_buffer
      - .offset:         48
        .size:           4
        .value_kind:     by_value
      - .offset:         56
        .size:           8
        .value_kind:     by_value
      - .offset:         64
        .size:           8
        .value_kind:     by_value
      - .address_space:  global
        .offset:         72
        .size:           8
        .value_kind:     global_buffer
      - .offset:         80
        .size:           4
        .value_kind:     by_value
      - .offset:         88
        .size:           8
        .value_kind:     by_value
      - .offset:         96
        .size:           4
        .value_kind:     by_value
    .group_segment_fixed_size: 4096
    .kernarg_segment_align: 8
    .kernarg_segment_size: 100
    .language:       OpenCL C
    .language_version:
      - 2
      - 0
    .max_flat_workgroup_size: 256
    .name:           _ZL41rocblas_syrkx_herkx_small_restrict_kernelIi19rocblas_complex_numIfELi16ELb1ELb1ELc78ELc76EKPKS1_KPS1_EviT_T0_PT6_S7_lSA_S7_lS8_PT7_S7_li
    .private_segment_fixed_size: 0
    .sgpr_count:     24
    .sgpr_spill_count: 0
    .symbol:         _ZL41rocblas_syrkx_herkx_small_restrict_kernelIi19rocblas_complex_numIfELi16ELb1ELb1ELc78ELc76EKPKS1_KPS1_EviT_T0_PT6_S7_lSA_S7_lS8_PT7_S7_li.kd
    .uniform_work_group_size: 1
    .uses_dynamic_stack: false
    .vgpr_count:     69
    .vgpr_spill_count: 0
    .wavefront_size: 64
  - .args:
      - .offset:         0
        .size:           4
        .value_kind:     by_value
      - .offset:         4
        .size:           4
        .value_kind:     by_value
      - .offset:         8
        .size:           8
        .value_kind:     by_value
      - .address_space:  global
        .offset:         16
        .size:           8
        .value_kind:     global_buffer
      - .offset:         24
        .size:           4
        .value_kind:     by_value
      - .offset:         32
        .size:           8
        .value_kind:     by_value
      - .address_space:  global
        .offset:         40
        .size:           8
        .value_kind:     global_buffer
      - .offset:         48
        .size:           4
        .value_kind:     by_value
      - .offset:         56
        .size:           8
        .value_kind:     by_value
      - .offset:         64
        .size:           8
        .value_kind:     by_value
      - .address_space:  global
        .offset:         72
        .size:           8
        .value_kind:     global_buffer
      - .offset:         80
        .size:           4
        .value_kind:     by_value
      - .offset:         88
        .size:           8
        .value_kind:     by_value
      - .offset:         96
        .size:           4
        .value_kind:     by_value
    .group_segment_fixed_size: 4096
    .kernarg_segment_align: 8
    .kernarg_segment_size: 100
    .language:       OpenCL C
    .language_version:
      - 2
      - 0
    .max_flat_workgroup_size: 256
    .name:           _ZL41rocblas_syrkx_herkx_small_restrict_kernelIi19rocblas_complex_numIfELi16ELb1ELb1ELc84ELc85EKPKS1_KPS1_EviT_T0_PT6_S7_lSA_S7_lS8_PT7_S7_li
    .private_segment_fixed_size: 0
    .sgpr_count:     20
    .sgpr_spill_count: 0
    .symbol:         _ZL41rocblas_syrkx_herkx_small_restrict_kernelIi19rocblas_complex_numIfELi16ELb1ELb1ELc84ELc85EKPKS1_KPS1_EviT_T0_PT6_S7_lSA_S7_lS8_PT7_S7_li.kd
    .uniform_work_group_size: 1
    .uses_dynamic_stack: false
    .vgpr_count:     66
    .vgpr_spill_count: 0
    .wavefront_size: 64
  - .args:
      - .offset:         0
        .size:           4
        .value_kind:     by_value
      - .offset:         4
        .size:           4
        .value_kind:     by_value
      - .offset:         8
        .size:           8
        .value_kind:     by_value
      - .address_space:  global
        .offset:         16
        .size:           8
        .value_kind:     global_buffer
      - .offset:         24
        .size:           4
        .value_kind:     by_value
      - .offset:         32
        .size:           8
        .value_kind:     by_value
      - .address_space:  global
        .offset:         40
        .size:           8
        .value_kind:     global_buffer
      - .offset:         48
        .size:           4
        .value_kind:     by_value
      - .offset:         56
        .size:           8
        .value_kind:     by_value
      - .offset:         64
        .size:           8
        .value_kind:     by_value
      - .address_space:  global
        .offset:         72
        .size:           8
        .value_kind:     global_buffer
      - .offset:         80
        .size:           4
        .value_kind:     by_value
      - .offset:         88
        .size:           8
        .value_kind:     by_value
      - .offset:         96
        .size:           4
        .value_kind:     by_value
    .group_segment_fixed_size: 4096
    .kernarg_segment_align: 8
    .kernarg_segment_size: 100
    .language:       OpenCL C
    .language_version:
      - 2
      - 0
    .max_flat_workgroup_size: 256
    .name:           _ZL41rocblas_syrkx_herkx_small_restrict_kernelIi19rocblas_complex_numIfELi16ELb1ELb1ELc67ELc85EKPKS1_KPS1_EviT_T0_PT6_S7_lSA_S7_lS8_PT7_S7_li
    .private_segment_fixed_size: 0
    .sgpr_count:     20
    .sgpr_spill_count: 0
    .symbol:         _ZL41rocblas_syrkx_herkx_small_restrict_kernelIi19rocblas_complex_numIfELi16ELb1ELb1ELc67ELc85EKPKS1_KPS1_EviT_T0_PT6_S7_lSA_S7_lS8_PT7_S7_li.kd
    .uniform_work_group_size: 1
    .uses_dynamic_stack: false
    .vgpr_count:     66
    .vgpr_spill_count: 0
    .wavefront_size: 64
  - .args:
      - .offset:         0
        .size:           4
        .value_kind:     by_value
      - .offset:         4
        .size:           4
        .value_kind:     by_value
      - .offset:         8
        .size:           8
        .value_kind:     by_value
      - .address_space:  global
        .offset:         16
        .size:           8
        .value_kind:     global_buffer
      - .offset:         24
        .size:           4
        .value_kind:     by_value
      - .offset:         32
        .size:           8
        .value_kind:     by_value
      - .address_space:  global
        .offset:         40
        .size:           8
        .value_kind:     global_buffer
      - .offset:         48
        .size:           4
        .value_kind:     by_value
      - .offset:         56
        .size:           8
        .value_kind:     by_value
      - .offset:         64
        .size:           8
        .value_kind:     by_value
      - .address_space:  global
        .offset:         72
        .size:           8
        .value_kind:     global_buffer
      - .offset:         80
        .size:           4
        .value_kind:     by_value
      - .offset:         88
        .size:           8
        .value_kind:     by_value
      - .offset:         96
        .size:           4
        .value_kind:     by_value
    .group_segment_fixed_size: 4096
    .kernarg_segment_align: 8
    .kernarg_segment_size: 100
    .language:       OpenCL C
    .language_version:
      - 2
      - 0
    .max_flat_workgroup_size: 256
    .name:           _ZL41rocblas_syrkx_herkx_small_restrict_kernelIi19rocblas_complex_numIfELi16ELb1ELb1ELc78ELc85EKPKS1_KPS1_EviT_T0_PT6_S7_lSA_S7_lS8_PT7_S7_li
    .private_segment_fixed_size: 0
    .sgpr_count:     24
    .sgpr_spill_count: 0
    .symbol:         _ZL41rocblas_syrkx_herkx_small_restrict_kernelIi19rocblas_complex_numIfELi16ELb1ELb1ELc78ELc85EKPKS1_KPS1_EviT_T0_PT6_S7_lSA_S7_lS8_PT7_S7_li.kd
    .uniform_work_group_size: 1
    .uses_dynamic_stack: false
    .vgpr_count:     69
    .vgpr_spill_count: 0
    .wavefront_size: 64
  - .args:
      - .offset:         0
        .size:           4
        .value_kind:     by_value
      - .offset:         4
        .size:           4
        .value_kind:     by_value
      - .offset:         8
        .size:           8
        .value_kind:     by_value
      - .address_space:  global
        .offset:         16
        .size:           8
        .value_kind:     global_buffer
      - .offset:         24
        .size:           4
        .value_kind:     by_value
      - .offset:         32
        .size:           8
        .value_kind:     by_value
      - .address_space:  global
        .offset:         40
        .size:           8
        .value_kind:     global_buffer
      - .offset:         48
        .size:           4
        .value_kind:     by_value
      - .offset:         56
        .size:           8
        .value_kind:     by_value
      - .offset:         64
        .size:           8
        .value_kind:     by_value
      - .address_space:  global
        .offset:         72
        .size:           8
        .value_kind:     global_buffer
      - .offset:         80
        .size:           4
        .value_kind:     by_value
      - .offset:         88
        .size:           8
        .value_kind:     by_value
      - .offset:         96
        .size:           4
        .value_kind:     by_value
    .group_segment_fixed_size: 4096
    .kernarg_segment_align: 8
    .kernarg_segment_size: 100
    .language:       OpenCL C
    .language_version:
      - 2
      - 0
    .max_flat_workgroup_size: 256
    .name:           _ZL41rocblas_syrkx_herkx_small_restrict_kernelIi19rocblas_complex_numIfELi16ELb0ELb1ELc84ELc76EKPKS1_KPS1_EviT_T0_PT6_S7_lSA_S7_lS8_PT7_S7_li
    .private_segment_fixed_size: 0
    .sgpr_count:     24
    .sgpr_spill_count: 0
    .symbol:         _ZL41rocblas_syrkx_herkx_small_restrict_kernelIi19rocblas_complex_numIfELi16ELb0ELb1ELc84ELc76EKPKS1_KPS1_EviT_T0_PT6_S7_lSA_S7_lS8_PT7_S7_li.kd
    .uniform_work_group_size: 1
    .uses_dynamic_stack: false
    .vgpr_count:     66
    .vgpr_spill_count: 0
    .wavefront_size: 64
  - .args:
      - .offset:         0
        .size:           4
        .value_kind:     by_value
      - .offset:         4
        .size:           4
        .value_kind:     by_value
      - .offset:         8
        .size:           8
        .value_kind:     by_value
      - .address_space:  global
        .offset:         16
        .size:           8
        .value_kind:     global_buffer
      - .offset:         24
        .size:           4
        .value_kind:     by_value
      - .offset:         32
        .size:           8
        .value_kind:     by_value
      - .address_space:  global
        .offset:         40
        .size:           8
        .value_kind:     global_buffer
      - .offset:         48
        .size:           4
        .value_kind:     by_value
      - .offset:         56
        .size:           8
        .value_kind:     by_value
      - .offset:         64
        .size:           8
        .value_kind:     by_value
      - .address_space:  global
        .offset:         72
        .size:           8
        .value_kind:     global_buffer
      - .offset:         80
        .size:           4
        .value_kind:     by_value
      - .offset:         88
        .size:           8
        .value_kind:     by_value
      - .offset:         96
        .size:           4
        .value_kind:     by_value
    .group_segment_fixed_size: 4096
    .kernarg_segment_align: 8
    .kernarg_segment_size: 100
    .language:       OpenCL C
    .language_version:
      - 2
      - 0
    .max_flat_workgroup_size: 256
    .name:           _ZL41rocblas_syrkx_herkx_small_restrict_kernelIi19rocblas_complex_numIfELi16ELb0ELb1ELc67ELc76EKPKS1_KPS1_EviT_T0_PT6_S7_lSA_S7_lS8_PT7_S7_li
    .private_segment_fixed_size: 0
    .sgpr_count:     24
    .sgpr_spill_count: 0
    .symbol:         _ZL41rocblas_syrkx_herkx_small_restrict_kernelIi19rocblas_complex_numIfELi16ELb0ELb1ELc67ELc76EKPKS1_KPS1_EviT_T0_PT6_S7_lSA_S7_lS8_PT7_S7_li.kd
    .uniform_work_group_size: 1
    .uses_dynamic_stack: false
    .vgpr_count:     66
    .vgpr_spill_count: 0
    .wavefront_size: 64
  - .args:
      - .offset:         0
        .size:           4
        .value_kind:     by_value
      - .offset:         4
        .size:           4
        .value_kind:     by_value
      - .offset:         8
        .size:           8
        .value_kind:     by_value
      - .address_space:  global
        .offset:         16
        .size:           8
        .value_kind:     global_buffer
      - .offset:         24
        .size:           4
        .value_kind:     by_value
      - .offset:         32
        .size:           8
        .value_kind:     by_value
      - .address_space:  global
        .offset:         40
        .size:           8
        .value_kind:     global_buffer
      - .offset:         48
        .size:           4
        .value_kind:     by_value
      - .offset:         56
        .size:           8
        .value_kind:     by_value
      - .offset:         64
        .size:           8
        .value_kind:     by_value
      - .address_space:  global
        .offset:         72
        .size:           8
        .value_kind:     global_buffer
      - .offset:         80
        .size:           4
        .value_kind:     by_value
      - .offset:         88
        .size:           8
        .value_kind:     by_value
      - .offset:         96
        .size:           4
        .value_kind:     by_value
    .group_segment_fixed_size: 4096
    .kernarg_segment_align: 8
    .kernarg_segment_size: 100
    .language:       OpenCL C
    .language_version:
      - 2
      - 0
    .max_flat_workgroup_size: 256
    .name:           _ZL41rocblas_syrkx_herkx_small_restrict_kernelIi19rocblas_complex_numIfELi16ELb0ELb1ELc78ELc76EKPKS1_KPS1_EviT_T0_PT6_S7_lSA_S7_lS8_PT7_S7_li
    .private_segment_fixed_size: 0
    .sgpr_count:     26
    .sgpr_spill_count: 0
    .symbol:         _ZL41rocblas_syrkx_herkx_small_restrict_kernelIi19rocblas_complex_numIfELi16ELb0ELb1ELc78ELc76EKPKS1_KPS1_EviT_T0_PT6_S7_lSA_S7_lS8_PT7_S7_li.kd
    .uniform_work_group_size: 1
    .uses_dynamic_stack: false
    .vgpr_count:     69
    .vgpr_spill_count: 0
    .wavefront_size: 64
  - .args:
      - .offset:         0
        .size:           4
        .value_kind:     by_value
      - .offset:         4
        .size:           4
        .value_kind:     by_value
      - .offset:         8
        .size:           8
        .value_kind:     by_value
      - .address_space:  global
        .offset:         16
        .size:           8
        .value_kind:     global_buffer
      - .offset:         24
        .size:           4
        .value_kind:     by_value
      - .offset:         32
        .size:           8
        .value_kind:     by_value
      - .address_space:  global
        .offset:         40
        .size:           8
        .value_kind:     global_buffer
      - .offset:         48
        .size:           4
        .value_kind:     by_value
      - .offset:         56
        .size:           8
        .value_kind:     by_value
      - .offset:         64
        .size:           8
        .value_kind:     by_value
      - .address_space:  global
        .offset:         72
        .size:           8
        .value_kind:     global_buffer
      - .offset:         80
        .size:           4
        .value_kind:     by_value
      - .offset:         88
        .size:           8
        .value_kind:     by_value
      - .offset:         96
        .size:           4
        .value_kind:     by_value
    .group_segment_fixed_size: 4096
    .kernarg_segment_align: 8
    .kernarg_segment_size: 100
    .language:       OpenCL C
    .language_version:
      - 2
      - 0
    .max_flat_workgroup_size: 256
    .name:           _ZL41rocblas_syrkx_herkx_small_restrict_kernelIi19rocblas_complex_numIfELi16ELb0ELb1ELc84ELc85EKPKS1_KPS1_EviT_T0_PT6_S7_lSA_S7_lS8_PT7_S7_li
    .private_segment_fixed_size: 0
    .sgpr_count:     24
    .sgpr_spill_count: 0
    .symbol:         _ZL41rocblas_syrkx_herkx_small_restrict_kernelIi19rocblas_complex_numIfELi16ELb0ELb1ELc84ELc85EKPKS1_KPS1_EviT_T0_PT6_S7_lSA_S7_lS8_PT7_S7_li.kd
    .uniform_work_group_size: 1
    .uses_dynamic_stack: false
    .vgpr_count:     66
    .vgpr_spill_count: 0
    .wavefront_size: 64
  - .args:
      - .offset:         0
        .size:           4
        .value_kind:     by_value
      - .offset:         4
        .size:           4
        .value_kind:     by_value
      - .offset:         8
        .size:           8
        .value_kind:     by_value
      - .address_space:  global
        .offset:         16
        .size:           8
        .value_kind:     global_buffer
      - .offset:         24
        .size:           4
        .value_kind:     by_value
      - .offset:         32
        .size:           8
        .value_kind:     by_value
      - .address_space:  global
        .offset:         40
        .size:           8
        .value_kind:     global_buffer
      - .offset:         48
        .size:           4
        .value_kind:     by_value
      - .offset:         56
        .size:           8
        .value_kind:     by_value
      - .offset:         64
        .size:           8
        .value_kind:     by_value
      - .address_space:  global
        .offset:         72
        .size:           8
        .value_kind:     global_buffer
      - .offset:         80
        .size:           4
        .value_kind:     by_value
      - .offset:         88
        .size:           8
        .value_kind:     by_value
      - .offset:         96
        .size:           4
        .value_kind:     by_value
    .group_segment_fixed_size: 4096
    .kernarg_segment_align: 8
    .kernarg_segment_size: 100
    .language:       OpenCL C
    .language_version:
      - 2
      - 0
    .max_flat_workgroup_size: 256
    .name:           _ZL41rocblas_syrkx_herkx_small_restrict_kernelIi19rocblas_complex_numIfELi16ELb0ELb1ELc67ELc85EKPKS1_KPS1_EviT_T0_PT6_S7_lSA_S7_lS8_PT7_S7_li
    .private_segment_fixed_size: 0
    .sgpr_count:     24
    .sgpr_spill_count: 0
    .symbol:         _ZL41rocblas_syrkx_herkx_small_restrict_kernelIi19rocblas_complex_numIfELi16ELb0ELb1ELc67ELc85EKPKS1_KPS1_EviT_T0_PT6_S7_lSA_S7_lS8_PT7_S7_li.kd
    .uniform_work_group_size: 1
    .uses_dynamic_stack: false
    .vgpr_count:     66
    .vgpr_spill_count: 0
    .wavefront_size: 64
  - .args:
      - .offset:         0
        .size:           4
        .value_kind:     by_value
      - .offset:         4
        .size:           4
        .value_kind:     by_value
      - .offset:         8
        .size:           8
        .value_kind:     by_value
      - .address_space:  global
        .offset:         16
        .size:           8
        .value_kind:     global_buffer
      - .offset:         24
        .size:           4
        .value_kind:     by_value
      - .offset:         32
        .size:           8
        .value_kind:     by_value
      - .address_space:  global
        .offset:         40
        .size:           8
        .value_kind:     global_buffer
      - .offset:         48
        .size:           4
        .value_kind:     by_value
      - .offset:         56
        .size:           8
        .value_kind:     by_value
      - .offset:         64
        .size:           8
        .value_kind:     by_value
      - .address_space:  global
        .offset:         72
        .size:           8
        .value_kind:     global_buffer
      - .offset:         80
        .size:           4
        .value_kind:     by_value
      - .offset:         88
        .size:           8
        .value_kind:     by_value
      - .offset:         96
        .size:           4
        .value_kind:     by_value
    .group_segment_fixed_size: 4096
    .kernarg_segment_align: 8
    .kernarg_segment_size: 100
    .language:       OpenCL C
    .language_version:
      - 2
      - 0
    .max_flat_workgroup_size: 256
    .name:           _ZL41rocblas_syrkx_herkx_small_restrict_kernelIi19rocblas_complex_numIfELi16ELb0ELb1ELc78ELc85EKPKS1_KPS1_EviT_T0_PT6_S7_lSA_S7_lS8_PT7_S7_li
    .private_segment_fixed_size: 0
    .sgpr_count:     26
    .sgpr_spill_count: 0
    .symbol:         _ZL41rocblas_syrkx_herkx_small_restrict_kernelIi19rocblas_complex_numIfELi16ELb0ELb1ELc78ELc85EKPKS1_KPS1_EviT_T0_PT6_S7_lSA_S7_lS8_PT7_S7_li.kd
    .uniform_work_group_size: 1
    .uses_dynamic_stack: false
    .vgpr_count:     69
    .vgpr_spill_count: 0
    .wavefront_size: 64
  - .args:
      - .offset:         0
        .size:           4
        .value_kind:     by_value
      - .offset:         4
        .size:           4
        .value_kind:     by_value
      - .offset:         8
        .size:           8
        .value_kind:     by_value
      - .address_space:  global
        .offset:         16
        .size:           8
        .value_kind:     global_buffer
      - .offset:         24
        .size:           4
        .value_kind:     by_value
      - .offset:         32
        .size:           8
        .value_kind:     by_value
      - .address_space:  global
        .offset:         40
        .size:           8
        .value_kind:     global_buffer
      - .offset:         48
        .size:           4
        .value_kind:     by_value
      - .offset:         56
        .size:           8
        .value_kind:     by_value
      - .offset:         64
        .size:           8
        .value_kind:     by_value
      - .address_space:  global
        .offset:         72
        .size:           8
        .value_kind:     global_buffer
      - .offset:         80
        .size:           4
        .value_kind:     by_value
      - .offset:         88
        .size:           8
        .value_kind:     by_value
      - .offset:         96
        .size:           4
        .value_kind:     by_value
    .group_segment_fixed_size: 4096
    .kernarg_segment_align: 8
    .kernarg_segment_size: 100
    .language:       OpenCL C
    .language_version:
      - 2
      - 0
    .max_flat_workgroup_size: 256
    .name:           _ZL32rocblas_syrkx_herkx_small_kernelIi19rocblas_complex_numIfELi16ELb1ELb1ELc84ELc76EKPKS1_KPS1_EviT_T0_PT6_S7_lSA_S7_lS8_PT7_S7_li
    .private_segment_fixed_size: 0
    .sgpr_count:     23
    .sgpr_spill_count: 0
    .symbol:         _ZL32rocblas_syrkx_herkx_small_kernelIi19rocblas_complex_numIfELi16ELb1ELb1ELc84ELc76EKPKS1_KPS1_EviT_T0_PT6_S7_lSA_S7_lS8_PT7_S7_li.kd
    .uniform_work_group_size: 1
    .uses_dynamic_stack: false
    .vgpr_count:     52
    .vgpr_spill_count: 0
    .wavefront_size: 64
  - .args:
      - .offset:         0
        .size:           4
        .value_kind:     by_value
      - .offset:         4
        .size:           4
        .value_kind:     by_value
      - .offset:         8
        .size:           8
        .value_kind:     by_value
      - .address_space:  global
        .offset:         16
        .size:           8
        .value_kind:     global_buffer
      - .offset:         24
        .size:           4
        .value_kind:     by_value
      - .offset:         32
        .size:           8
        .value_kind:     by_value
      - .address_space:  global
        .offset:         40
        .size:           8
        .value_kind:     global_buffer
      - .offset:         48
        .size:           4
        .value_kind:     by_value
      - .offset:         56
        .size:           8
        .value_kind:     by_value
      - .offset:         64
        .size:           8
        .value_kind:     by_value
      - .address_space:  global
        .offset:         72
        .size:           8
        .value_kind:     global_buffer
      - .offset:         80
        .size:           4
        .value_kind:     by_value
      - .offset:         88
        .size:           8
        .value_kind:     by_value
      - .offset:         96
        .size:           4
        .value_kind:     by_value
    .group_segment_fixed_size: 4096
    .kernarg_segment_align: 8
    .kernarg_segment_size: 100
    .language:       OpenCL C
    .language_version:
      - 2
      - 0
    .max_flat_workgroup_size: 256
    .name:           _ZL32rocblas_syrkx_herkx_small_kernelIi19rocblas_complex_numIfELi16ELb1ELb1ELc67ELc76EKPKS1_KPS1_EviT_T0_PT6_S7_lSA_S7_lS8_PT7_S7_li
    .private_segment_fixed_size: 0
    .sgpr_count:     23
    .sgpr_spill_count: 0
    .symbol:         _ZL32rocblas_syrkx_herkx_small_kernelIi19rocblas_complex_numIfELi16ELb1ELb1ELc67ELc76EKPKS1_KPS1_EviT_T0_PT6_S7_lSA_S7_lS8_PT7_S7_li.kd
    .uniform_work_group_size: 1
    .uses_dynamic_stack: false
    .vgpr_count:     52
    .vgpr_spill_count: 0
    .wavefront_size: 64
  - .args:
      - .offset:         0
        .size:           4
        .value_kind:     by_value
      - .offset:         4
        .size:           4
        .value_kind:     by_value
      - .offset:         8
        .size:           8
        .value_kind:     by_value
      - .address_space:  global
        .offset:         16
        .size:           8
        .value_kind:     global_buffer
      - .offset:         24
        .size:           4
        .value_kind:     by_value
      - .offset:         32
        .size:           8
        .value_kind:     by_value
      - .address_space:  global
        .offset:         40
        .size:           8
        .value_kind:     global_buffer
      - .offset:         48
        .size:           4
        .value_kind:     by_value
      - .offset:         56
        .size:           8
        .value_kind:     by_value
      - .offset:         64
        .size:           8
        .value_kind:     by_value
      - .address_space:  global
        .offset:         72
        .size:           8
        .value_kind:     global_buffer
      - .offset:         80
        .size:           4
        .value_kind:     by_value
      - .offset:         88
        .size:           8
        .value_kind:     by_value
      - .offset:         96
        .size:           4
        .value_kind:     by_value
    .group_segment_fixed_size: 4096
    .kernarg_segment_align: 8
    .kernarg_segment_size: 100
    .language:       OpenCL C
    .language_version:
      - 2
      - 0
    .max_flat_workgroup_size: 256
    .name:           _ZL32rocblas_syrkx_herkx_small_kernelIi19rocblas_complex_numIfELi16ELb1ELb1ELc78ELc76EKPKS1_KPS1_EviT_T0_PT6_S7_lSA_S7_lS8_PT7_S7_li
    .private_segment_fixed_size: 0
    .sgpr_count:     26
    .sgpr_spill_count: 0
    .symbol:         _ZL32rocblas_syrkx_herkx_small_kernelIi19rocblas_complex_numIfELi16ELb1ELb1ELc78ELc76EKPKS1_KPS1_EviT_T0_PT6_S7_lSA_S7_lS8_PT7_S7_li.kd
    .uniform_work_group_size: 1
    .uses_dynamic_stack: false
    .vgpr_count:     59
    .vgpr_spill_count: 0
    .wavefront_size: 64
  - .args:
      - .offset:         0
        .size:           4
        .value_kind:     by_value
      - .offset:         4
        .size:           4
        .value_kind:     by_value
      - .offset:         8
        .size:           8
        .value_kind:     by_value
      - .address_space:  global
        .offset:         16
        .size:           8
        .value_kind:     global_buffer
      - .offset:         24
        .size:           4
        .value_kind:     by_value
      - .offset:         32
        .size:           8
        .value_kind:     by_value
      - .address_space:  global
        .offset:         40
        .size:           8
        .value_kind:     global_buffer
      - .offset:         48
        .size:           4
        .value_kind:     by_value
      - .offset:         56
        .size:           8
        .value_kind:     by_value
      - .offset:         64
        .size:           8
        .value_kind:     by_value
      - .address_space:  global
        .offset:         72
        .size:           8
        .value_kind:     global_buffer
      - .offset:         80
        .size:           4
        .value_kind:     by_value
      - .offset:         88
        .size:           8
        .value_kind:     by_value
      - .offset:         96
        .size:           4
        .value_kind:     by_value
    .group_segment_fixed_size: 4096
    .kernarg_segment_align: 8
    .kernarg_segment_size: 100
    .language:       OpenCL C
    .language_version:
      - 2
      - 0
    .max_flat_workgroup_size: 256
    .name:           _ZL32rocblas_syrkx_herkx_small_kernelIi19rocblas_complex_numIfELi16ELb1ELb1ELc84ELc85EKPKS1_KPS1_EviT_T0_PT6_S7_lSA_S7_lS8_PT7_S7_li
    .private_segment_fixed_size: 0
    .sgpr_count:     23
    .sgpr_spill_count: 0
    .symbol:         _ZL32rocblas_syrkx_herkx_small_kernelIi19rocblas_complex_numIfELi16ELb1ELb1ELc84ELc85EKPKS1_KPS1_EviT_T0_PT6_S7_lSA_S7_lS8_PT7_S7_li.kd
    .uniform_work_group_size: 1
    .uses_dynamic_stack: false
    .vgpr_count:     52
    .vgpr_spill_count: 0
    .wavefront_size: 64
  - .args:
      - .offset:         0
        .size:           4
        .value_kind:     by_value
      - .offset:         4
        .size:           4
        .value_kind:     by_value
      - .offset:         8
        .size:           8
        .value_kind:     by_value
      - .address_space:  global
        .offset:         16
        .size:           8
        .value_kind:     global_buffer
      - .offset:         24
        .size:           4
        .value_kind:     by_value
      - .offset:         32
        .size:           8
        .value_kind:     by_value
      - .address_space:  global
        .offset:         40
        .size:           8
        .value_kind:     global_buffer
      - .offset:         48
        .size:           4
        .value_kind:     by_value
      - .offset:         56
        .size:           8
        .value_kind:     by_value
      - .offset:         64
        .size:           8
        .value_kind:     by_value
      - .address_space:  global
        .offset:         72
        .size:           8
        .value_kind:     global_buffer
      - .offset:         80
        .size:           4
        .value_kind:     by_value
      - .offset:         88
        .size:           8
        .value_kind:     by_value
      - .offset:         96
        .size:           4
        .value_kind:     by_value
    .group_segment_fixed_size: 4096
    .kernarg_segment_align: 8
    .kernarg_segment_size: 100
    .language:       OpenCL C
    .language_version:
      - 2
      - 0
    .max_flat_workgroup_size: 256
    .name:           _ZL32rocblas_syrkx_herkx_small_kernelIi19rocblas_complex_numIfELi16ELb1ELb1ELc67ELc85EKPKS1_KPS1_EviT_T0_PT6_S7_lSA_S7_lS8_PT7_S7_li
    .private_segment_fixed_size: 0
    .sgpr_count:     23
    .sgpr_spill_count: 0
    .symbol:         _ZL32rocblas_syrkx_herkx_small_kernelIi19rocblas_complex_numIfELi16ELb1ELb1ELc67ELc85EKPKS1_KPS1_EviT_T0_PT6_S7_lSA_S7_lS8_PT7_S7_li.kd
    .uniform_work_group_size: 1
    .uses_dynamic_stack: false
    .vgpr_count:     52
    .vgpr_spill_count: 0
    .wavefront_size: 64
  - .args:
      - .offset:         0
        .size:           4
        .value_kind:     by_value
      - .offset:         4
        .size:           4
        .value_kind:     by_value
      - .offset:         8
        .size:           8
        .value_kind:     by_value
      - .address_space:  global
        .offset:         16
        .size:           8
        .value_kind:     global_buffer
      - .offset:         24
        .size:           4
        .value_kind:     by_value
      - .offset:         32
        .size:           8
        .value_kind:     by_value
      - .address_space:  global
        .offset:         40
        .size:           8
        .value_kind:     global_buffer
      - .offset:         48
        .size:           4
        .value_kind:     by_value
      - .offset:         56
        .size:           8
        .value_kind:     by_value
      - .offset:         64
        .size:           8
        .value_kind:     by_value
      - .address_space:  global
        .offset:         72
        .size:           8
        .value_kind:     global_buffer
      - .offset:         80
        .size:           4
        .value_kind:     by_value
      - .offset:         88
        .size:           8
        .value_kind:     by_value
      - .offset:         96
        .size:           4
        .value_kind:     by_value
    .group_segment_fixed_size: 4096
    .kernarg_segment_align: 8
    .kernarg_segment_size: 100
    .language:       OpenCL C
    .language_version:
      - 2
      - 0
    .max_flat_workgroup_size: 256
    .name:           _ZL32rocblas_syrkx_herkx_small_kernelIi19rocblas_complex_numIfELi16ELb1ELb1ELc78ELc85EKPKS1_KPS1_EviT_T0_PT6_S7_lSA_S7_lS8_PT7_S7_li
    .private_segment_fixed_size: 0
    .sgpr_count:     26
    .sgpr_spill_count: 0
    .symbol:         _ZL32rocblas_syrkx_herkx_small_kernelIi19rocblas_complex_numIfELi16ELb1ELb1ELc78ELc85EKPKS1_KPS1_EviT_T0_PT6_S7_lSA_S7_lS8_PT7_S7_li.kd
    .uniform_work_group_size: 1
    .uses_dynamic_stack: false
    .vgpr_count:     59
    .vgpr_spill_count: 0
    .wavefront_size: 64
  - .args:
      - .offset:         0
        .size:           4
        .value_kind:     by_value
      - .offset:         4
        .size:           4
        .value_kind:     by_value
      - .offset:         8
        .size:           8
        .value_kind:     by_value
      - .address_space:  global
        .offset:         16
        .size:           8
        .value_kind:     global_buffer
      - .offset:         24
        .size:           4
        .value_kind:     by_value
      - .offset:         32
        .size:           8
        .value_kind:     by_value
      - .address_space:  global
        .offset:         40
        .size:           8
        .value_kind:     global_buffer
      - .offset:         48
        .size:           4
        .value_kind:     by_value
      - .offset:         56
        .size:           8
        .value_kind:     by_value
      - .offset:         64
        .size:           8
        .value_kind:     by_value
      - .address_space:  global
        .offset:         72
        .size:           8
        .value_kind:     global_buffer
      - .offset:         80
        .size:           4
        .value_kind:     by_value
      - .offset:         88
        .size:           8
        .value_kind:     by_value
      - .offset:         96
        .size:           4
        .value_kind:     by_value
    .group_segment_fixed_size: 4096
    .kernarg_segment_align: 8
    .kernarg_segment_size: 100
    .language:       OpenCL C
    .language_version:
      - 2
      - 0
    .max_flat_workgroup_size: 256
    .name:           _ZL32rocblas_syrkx_herkx_small_kernelIi19rocblas_complex_numIfELi16ELb0ELb1ELc84ELc76EKPKS1_KPS1_EviT_T0_PT6_S7_lSA_S7_lS8_PT7_S7_li
    .private_segment_fixed_size: 0
    .sgpr_count:     27
    .sgpr_spill_count: 0
    .symbol:         _ZL32rocblas_syrkx_herkx_small_kernelIi19rocblas_complex_numIfELi16ELb0ELb1ELc84ELc76EKPKS1_KPS1_EviT_T0_PT6_S7_lSA_S7_lS8_PT7_S7_li.kd
    .uniform_work_group_size: 1
    .uses_dynamic_stack: false
    .vgpr_count:     52
    .vgpr_spill_count: 0
    .wavefront_size: 64
  - .args:
      - .offset:         0
        .size:           4
        .value_kind:     by_value
      - .offset:         4
        .size:           4
        .value_kind:     by_value
      - .offset:         8
        .size:           8
        .value_kind:     by_value
      - .address_space:  global
        .offset:         16
        .size:           8
        .value_kind:     global_buffer
      - .offset:         24
        .size:           4
        .value_kind:     by_value
      - .offset:         32
        .size:           8
        .value_kind:     by_value
      - .address_space:  global
        .offset:         40
        .size:           8
        .value_kind:     global_buffer
      - .offset:         48
        .size:           4
        .value_kind:     by_value
      - .offset:         56
        .size:           8
        .value_kind:     by_value
      - .offset:         64
        .size:           8
        .value_kind:     by_value
      - .address_space:  global
        .offset:         72
        .size:           8
        .value_kind:     global_buffer
      - .offset:         80
        .size:           4
        .value_kind:     by_value
      - .offset:         88
        .size:           8
        .value_kind:     by_value
      - .offset:         96
        .size:           4
        .value_kind:     by_value
    .group_segment_fixed_size: 4096
    .kernarg_segment_align: 8
    .kernarg_segment_size: 100
    .language:       OpenCL C
    .language_version:
      - 2
      - 0
    .max_flat_workgroup_size: 256
    .name:           _ZL32rocblas_syrkx_herkx_small_kernelIi19rocblas_complex_numIfELi16ELb0ELb1ELc67ELc76EKPKS1_KPS1_EviT_T0_PT6_S7_lSA_S7_lS8_PT7_S7_li
    .private_segment_fixed_size: 0
    .sgpr_count:     27
    .sgpr_spill_count: 0
    .symbol:         _ZL32rocblas_syrkx_herkx_small_kernelIi19rocblas_complex_numIfELi16ELb0ELb1ELc67ELc76EKPKS1_KPS1_EviT_T0_PT6_S7_lSA_S7_lS8_PT7_S7_li.kd
    .uniform_work_group_size: 1
    .uses_dynamic_stack: false
    .vgpr_count:     52
    .vgpr_spill_count: 0
    .wavefront_size: 64
  - .args:
      - .offset:         0
        .size:           4
        .value_kind:     by_value
      - .offset:         4
        .size:           4
        .value_kind:     by_value
      - .offset:         8
        .size:           8
        .value_kind:     by_value
      - .address_space:  global
        .offset:         16
        .size:           8
        .value_kind:     global_buffer
      - .offset:         24
        .size:           4
        .value_kind:     by_value
      - .offset:         32
        .size:           8
        .value_kind:     by_value
      - .address_space:  global
        .offset:         40
        .size:           8
        .value_kind:     global_buffer
      - .offset:         48
        .size:           4
        .value_kind:     by_value
      - .offset:         56
        .size:           8
        .value_kind:     by_value
      - .offset:         64
        .size:           8
        .value_kind:     by_value
      - .address_space:  global
        .offset:         72
        .size:           8
        .value_kind:     global_buffer
      - .offset:         80
        .size:           4
        .value_kind:     by_value
      - .offset:         88
        .size:           8
        .value_kind:     by_value
      - .offset:         96
        .size:           4
        .value_kind:     by_value
    .group_segment_fixed_size: 4096
    .kernarg_segment_align: 8
    .kernarg_segment_size: 100
    .language:       OpenCL C
    .language_version:
      - 2
      - 0
    .max_flat_workgroup_size: 256
    .name:           _ZL32rocblas_syrkx_herkx_small_kernelIi19rocblas_complex_numIfELi16ELb0ELb1ELc78ELc76EKPKS1_KPS1_EviT_T0_PT6_S7_lSA_S7_lS8_PT7_S7_li
    .private_segment_fixed_size: 0
    .sgpr_count:     28
    .sgpr_spill_count: 0
    .symbol:         _ZL32rocblas_syrkx_herkx_small_kernelIi19rocblas_complex_numIfELi16ELb0ELb1ELc78ELc76EKPKS1_KPS1_EviT_T0_PT6_S7_lSA_S7_lS8_PT7_S7_li.kd
    .uniform_work_group_size: 1
    .uses_dynamic_stack: false
    .vgpr_count:     59
    .vgpr_spill_count: 0
    .wavefront_size: 64
  - .args:
      - .offset:         0
        .size:           4
        .value_kind:     by_value
      - .offset:         4
        .size:           4
        .value_kind:     by_value
      - .offset:         8
        .size:           8
        .value_kind:     by_value
      - .address_space:  global
        .offset:         16
        .size:           8
        .value_kind:     global_buffer
      - .offset:         24
        .size:           4
        .value_kind:     by_value
      - .offset:         32
        .size:           8
        .value_kind:     by_value
      - .address_space:  global
        .offset:         40
        .size:           8
        .value_kind:     global_buffer
      - .offset:         48
        .size:           4
        .value_kind:     by_value
      - .offset:         56
        .size:           8
        .value_kind:     by_value
      - .offset:         64
        .size:           8
        .value_kind:     by_value
      - .address_space:  global
        .offset:         72
        .size:           8
        .value_kind:     global_buffer
      - .offset:         80
        .size:           4
        .value_kind:     by_value
      - .offset:         88
        .size:           8
        .value_kind:     by_value
      - .offset:         96
        .size:           4
        .value_kind:     by_value
    .group_segment_fixed_size: 4096
    .kernarg_segment_align: 8
    .kernarg_segment_size: 100
    .language:       OpenCL C
    .language_version:
      - 2
      - 0
    .max_flat_workgroup_size: 256
    .name:           _ZL32rocblas_syrkx_herkx_small_kernelIi19rocblas_complex_numIfELi16ELb0ELb1ELc84ELc85EKPKS1_KPS1_EviT_T0_PT6_S7_lSA_S7_lS8_PT7_S7_li
    .private_segment_fixed_size: 0
    .sgpr_count:     27
    .sgpr_spill_count: 0
    .symbol:         _ZL32rocblas_syrkx_herkx_small_kernelIi19rocblas_complex_numIfELi16ELb0ELb1ELc84ELc85EKPKS1_KPS1_EviT_T0_PT6_S7_lSA_S7_lS8_PT7_S7_li.kd
    .uniform_work_group_size: 1
    .uses_dynamic_stack: false
    .vgpr_count:     52
    .vgpr_spill_count: 0
    .wavefront_size: 64
  - .args:
      - .offset:         0
        .size:           4
        .value_kind:     by_value
      - .offset:         4
        .size:           4
        .value_kind:     by_value
      - .offset:         8
        .size:           8
        .value_kind:     by_value
      - .address_space:  global
        .offset:         16
        .size:           8
        .value_kind:     global_buffer
      - .offset:         24
        .size:           4
        .value_kind:     by_value
      - .offset:         32
        .size:           8
        .value_kind:     by_value
      - .address_space:  global
        .offset:         40
        .size:           8
        .value_kind:     global_buffer
      - .offset:         48
        .size:           4
        .value_kind:     by_value
      - .offset:         56
        .size:           8
        .value_kind:     by_value
      - .offset:         64
        .size:           8
        .value_kind:     by_value
      - .address_space:  global
        .offset:         72
        .size:           8
        .value_kind:     global_buffer
      - .offset:         80
        .size:           4
        .value_kind:     by_value
      - .offset:         88
        .size:           8
        .value_kind:     by_value
      - .offset:         96
        .size:           4
        .value_kind:     by_value
    .group_segment_fixed_size: 4096
    .kernarg_segment_align: 8
    .kernarg_segment_size: 100
    .language:       OpenCL C
    .language_version:
      - 2
      - 0
    .max_flat_workgroup_size: 256
    .name:           _ZL32rocblas_syrkx_herkx_small_kernelIi19rocblas_complex_numIfELi16ELb0ELb1ELc67ELc85EKPKS1_KPS1_EviT_T0_PT6_S7_lSA_S7_lS8_PT7_S7_li
    .private_segment_fixed_size: 0
    .sgpr_count:     27
    .sgpr_spill_count: 0
    .symbol:         _ZL32rocblas_syrkx_herkx_small_kernelIi19rocblas_complex_numIfELi16ELb0ELb1ELc67ELc85EKPKS1_KPS1_EviT_T0_PT6_S7_lSA_S7_lS8_PT7_S7_li.kd
    .uniform_work_group_size: 1
    .uses_dynamic_stack: false
    .vgpr_count:     52
    .vgpr_spill_count: 0
    .wavefront_size: 64
  - .args:
      - .offset:         0
        .size:           4
        .value_kind:     by_value
      - .offset:         4
        .size:           4
        .value_kind:     by_value
      - .offset:         8
        .size:           8
        .value_kind:     by_value
      - .address_space:  global
        .offset:         16
        .size:           8
        .value_kind:     global_buffer
      - .offset:         24
        .size:           4
        .value_kind:     by_value
      - .offset:         32
        .size:           8
        .value_kind:     by_value
      - .address_space:  global
        .offset:         40
        .size:           8
        .value_kind:     global_buffer
      - .offset:         48
        .size:           4
        .value_kind:     by_value
      - .offset:         56
        .size:           8
        .value_kind:     by_value
      - .offset:         64
        .size:           8
        .value_kind:     by_value
      - .address_space:  global
        .offset:         72
        .size:           8
        .value_kind:     global_buffer
      - .offset:         80
        .size:           4
        .value_kind:     by_value
      - .offset:         88
        .size:           8
        .value_kind:     by_value
      - .offset:         96
        .size:           4
        .value_kind:     by_value
    .group_segment_fixed_size: 4096
    .kernarg_segment_align: 8
    .kernarg_segment_size: 100
    .language:       OpenCL C
    .language_version:
      - 2
      - 0
    .max_flat_workgroup_size: 256
    .name:           _ZL32rocblas_syrkx_herkx_small_kernelIi19rocblas_complex_numIfELi16ELb0ELb1ELc78ELc85EKPKS1_KPS1_EviT_T0_PT6_S7_lSA_S7_lS8_PT7_S7_li
    .private_segment_fixed_size: 0
    .sgpr_count:     28
    .sgpr_spill_count: 0
    .symbol:         _ZL32rocblas_syrkx_herkx_small_kernelIi19rocblas_complex_numIfELi16ELb0ELb1ELc78ELc85EKPKS1_KPS1_EviT_T0_PT6_S7_lSA_S7_lS8_PT7_S7_li.kd
    .uniform_work_group_size: 1
    .uses_dynamic_stack: false
    .vgpr_count:     59
    .vgpr_spill_count: 0
    .wavefront_size: 64
  - .args:
      - .offset:         0
        .size:           4
        .value_kind:     by_value
      - .offset:         4
        .size:           4
        .value_kind:     by_value
      - .offset:         8
        .size:           8
        .value_kind:     by_value
      - .address_space:  global
        .offset:         16
        .size:           8
        .value_kind:     global_buffer
      - .offset:         24
        .size:           4
        .value_kind:     by_value
      - .offset:         32
        .size:           8
        .value_kind:     by_value
      - .address_space:  global
        .offset:         40
        .size:           8
        .value_kind:     global_buffer
      - .offset:         48
        .size:           4
        .value_kind:     by_value
      - .offset:         56
        .size:           8
        .value_kind:     by_value
      - .offset:         64
        .size:           8
        .value_kind:     by_value
      - .address_space:  global
        .offset:         72
        .size:           8
        .value_kind:     global_buffer
      - .offset:         80
        .size:           4
        .value_kind:     by_value
      - .offset:         88
        .size:           8
        .value_kind:     by_value
      - .offset:         96
        .size:           4
        .value_kind:     by_value
    .group_segment_fixed_size: 4096
    .kernarg_segment_align: 8
    .kernarg_segment_size: 100
    .language:       OpenCL C
    .language_version:
      - 2
      - 0
    .max_flat_workgroup_size: 256
    .name:           _ZL34rocblas_syrkx_herkx_general_kernelIi19rocblas_complex_numIfELi16ELi32ELi8ELb1ELb1ELc84ELc76EKPKS1_KPS1_EviT_T0_PT8_S7_lSA_S7_lS8_PT9_S7_li
    .private_segment_fixed_size: 0
    .sgpr_count:     25
    .sgpr_spill_count: 0
    .symbol:         _ZL34rocblas_syrkx_herkx_general_kernelIi19rocblas_complex_numIfELi16ELi32ELi8ELb1ELb1ELc84ELc76EKPKS1_KPS1_EviT_T0_PT8_S7_lSA_S7_lS8_PT9_S7_li.kd
    .uniform_work_group_size: 1
    .uses_dynamic_stack: false
    .vgpr_count:     48
    .vgpr_spill_count: 0
    .wavefront_size: 64
  - .args:
      - .offset:         0
        .size:           4
        .value_kind:     by_value
      - .offset:         4
        .size:           4
        .value_kind:     by_value
      - .offset:         8
        .size:           8
        .value_kind:     by_value
      - .address_space:  global
        .offset:         16
        .size:           8
        .value_kind:     global_buffer
      - .offset:         24
        .size:           4
        .value_kind:     by_value
      - .offset:         32
        .size:           8
        .value_kind:     by_value
      - .address_space:  global
        .offset:         40
        .size:           8
        .value_kind:     global_buffer
      - .offset:         48
        .size:           4
        .value_kind:     by_value
      - .offset:         56
        .size:           8
        .value_kind:     by_value
      - .offset:         64
        .size:           8
        .value_kind:     by_value
      - .address_space:  global
        .offset:         72
        .size:           8
        .value_kind:     global_buffer
      - .offset:         80
        .size:           4
        .value_kind:     by_value
      - .offset:         88
        .size:           8
        .value_kind:     by_value
      - .offset:         96
        .size:           4
        .value_kind:     by_value
    .group_segment_fixed_size: 4096
    .kernarg_segment_align: 8
    .kernarg_segment_size: 100
    .language:       OpenCL C
    .language_version:
      - 2
      - 0
    .max_flat_workgroup_size: 256
    .name:           _ZL34rocblas_syrkx_herkx_general_kernelIi19rocblas_complex_numIfELi16ELi32ELi8ELb1ELb1ELc67ELc76EKPKS1_KPS1_EviT_T0_PT8_S7_lSA_S7_lS8_PT9_S7_li
    .private_segment_fixed_size: 0
    .sgpr_count:     25
    .sgpr_spill_count: 0
    .symbol:         _ZL34rocblas_syrkx_herkx_general_kernelIi19rocblas_complex_numIfELi16ELi32ELi8ELb1ELb1ELc67ELc76EKPKS1_KPS1_EviT_T0_PT8_S7_lSA_S7_lS8_PT9_S7_li.kd
    .uniform_work_group_size: 1
    .uses_dynamic_stack: false
    .vgpr_count:     48
    .vgpr_spill_count: 0
    .wavefront_size: 64
  - .args:
      - .offset:         0
        .size:           4
        .value_kind:     by_value
      - .offset:         4
        .size:           4
        .value_kind:     by_value
      - .offset:         8
        .size:           8
        .value_kind:     by_value
      - .address_space:  global
        .offset:         16
        .size:           8
        .value_kind:     global_buffer
      - .offset:         24
        .size:           4
        .value_kind:     by_value
      - .offset:         32
        .size:           8
        .value_kind:     by_value
      - .address_space:  global
        .offset:         40
        .size:           8
        .value_kind:     global_buffer
      - .offset:         48
        .size:           4
        .value_kind:     by_value
      - .offset:         56
        .size:           8
        .value_kind:     by_value
      - .offset:         64
        .size:           8
        .value_kind:     by_value
      - .address_space:  global
        .offset:         72
        .size:           8
        .value_kind:     global_buffer
      - .offset:         80
        .size:           4
        .value_kind:     by_value
      - .offset:         88
        .size:           8
        .value_kind:     by_value
      - .offset:         96
        .size:           4
        .value_kind:     by_value
    .group_segment_fixed_size: 4096
    .kernarg_segment_align: 8
    .kernarg_segment_size: 100
    .language:       OpenCL C
    .language_version:
      - 2
      - 0
    .max_flat_workgroup_size: 256
    .name:           _ZL34rocblas_syrkx_herkx_general_kernelIi19rocblas_complex_numIfELi16ELi32ELi8ELb1ELb1ELc78ELc76EKPKS1_KPS1_EviT_T0_PT8_S7_lSA_S7_lS8_PT9_S7_li
    .private_segment_fixed_size: 0
    .sgpr_count:     28
    .sgpr_spill_count: 0
    .symbol:         _ZL34rocblas_syrkx_herkx_general_kernelIi19rocblas_complex_numIfELi16ELi32ELi8ELb1ELb1ELc78ELc76EKPKS1_KPS1_EviT_T0_PT8_S7_lSA_S7_lS8_PT9_S7_li.kd
    .uniform_work_group_size: 1
    .uses_dynamic_stack: false
    .vgpr_count:     53
    .vgpr_spill_count: 0
    .wavefront_size: 64
  - .args:
      - .offset:         0
        .size:           4
        .value_kind:     by_value
      - .offset:         4
        .size:           4
        .value_kind:     by_value
      - .offset:         8
        .size:           8
        .value_kind:     by_value
      - .address_space:  global
        .offset:         16
        .size:           8
        .value_kind:     global_buffer
      - .offset:         24
        .size:           4
        .value_kind:     by_value
      - .offset:         32
        .size:           8
        .value_kind:     by_value
      - .address_space:  global
        .offset:         40
        .size:           8
        .value_kind:     global_buffer
      - .offset:         48
        .size:           4
        .value_kind:     by_value
      - .offset:         56
        .size:           8
        .value_kind:     by_value
      - .offset:         64
        .size:           8
        .value_kind:     by_value
      - .address_space:  global
        .offset:         72
        .size:           8
        .value_kind:     global_buffer
      - .offset:         80
        .size:           4
        .value_kind:     by_value
      - .offset:         88
        .size:           8
        .value_kind:     by_value
      - .offset:         96
        .size:           4
        .value_kind:     by_value
    .group_segment_fixed_size: 4096
    .kernarg_segment_align: 8
    .kernarg_segment_size: 100
    .language:       OpenCL C
    .language_version:
      - 2
      - 0
    .max_flat_workgroup_size: 256
    .name:           _ZL34rocblas_syrkx_herkx_general_kernelIi19rocblas_complex_numIfELi16ELi32ELi8ELb1ELb1ELc84ELc85EKPKS1_KPS1_EviT_T0_PT8_S7_lSA_S7_lS8_PT9_S7_li
    .private_segment_fixed_size: 0
    .sgpr_count:     25
    .sgpr_spill_count: 0
    .symbol:         _ZL34rocblas_syrkx_herkx_general_kernelIi19rocblas_complex_numIfELi16ELi32ELi8ELb1ELb1ELc84ELc85EKPKS1_KPS1_EviT_T0_PT8_S7_lSA_S7_lS8_PT9_S7_li.kd
    .uniform_work_group_size: 1
    .uses_dynamic_stack: false
    .vgpr_count:     48
    .vgpr_spill_count: 0
    .wavefront_size: 64
  - .args:
      - .offset:         0
        .size:           4
        .value_kind:     by_value
      - .offset:         4
        .size:           4
        .value_kind:     by_value
      - .offset:         8
        .size:           8
        .value_kind:     by_value
      - .address_space:  global
        .offset:         16
        .size:           8
        .value_kind:     global_buffer
      - .offset:         24
        .size:           4
        .value_kind:     by_value
      - .offset:         32
        .size:           8
        .value_kind:     by_value
      - .address_space:  global
        .offset:         40
        .size:           8
        .value_kind:     global_buffer
      - .offset:         48
        .size:           4
        .value_kind:     by_value
      - .offset:         56
        .size:           8
        .value_kind:     by_value
      - .offset:         64
        .size:           8
        .value_kind:     by_value
      - .address_space:  global
        .offset:         72
        .size:           8
        .value_kind:     global_buffer
      - .offset:         80
        .size:           4
        .value_kind:     by_value
      - .offset:         88
        .size:           8
        .value_kind:     by_value
      - .offset:         96
        .size:           4
        .value_kind:     by_value
    .group_segment_fixed_size: 4096
    .kernarg_segment_align: 8
    .kernarg_segment_size: 100
    .language:       OpenCL C
    .language_version:
      - 2
      - 0
    .max_flat_workgroup_size: 256
    .name:           _ZL34rocblas_syrkx_herkx_general_kernelIi19rocblas_complex_numIfELi16ELi32ELi8ELb1ELb1ELc67ELc85EKPKS1_KPS1_EviT_T0_PT8_S7_lSA_S7_lS8_PT9_S7_li
    .private_segment_fixed_size: 0
    .sgpr_count:     25
    .sgpr_spill_count: 0
    .symbol:         _ZL34rocblas_syrkx_herkx_general_kernelIi19rocblas_complex_numIfELi16ELi32ELi8ELb1ELb1ELc67ELc85EKPKS1_KPS1_EviT_T0_PT8_S7_lSA_S7_lS8_PT9_S7_li.kd
    .uniform_work_group_size: 1
    .uses_dynamic_stack: false
    .vgpr_count:     48
    .vgpr_spill_count: 0
    .wavefront_size: 64
  - .args:
      - .offset:         0
        .size:           4
        .value_kind:     by_value
      - .offset:         4
        .size:           4
        .value_kind:     by_value
      - .offset:         8
        .size:           8
        .value_kind:     by_value
      - .address_space:  global
        .offset:         16
        .size:           8
        .value_kind:     global_buffer
      - .offset:         24
        .size:           4
        .value_kind:     by_value
      - .offset:         32
        .size:           8
        .value_kind:     by_value
      - .address_space:  global
        .offset:         40
        .size:           8
        .value_kind:     global_buffer
      - .offset:         48
        .size:           4
        .value_kind:     by_value
      - .offset:         56
        .size:           8
        .value_kind:     by_value
      - .offset:         64
        .size:           8
        .value_kind:     by_value
      - .address_space:  global
        .offset:         72
        .size:           8
        .value_kind:     global_buffer
      - .offset:         80
        .size:           4
        .value_kind:     by_value
      - .offset:         88
        .size:           8
        .value_kind:     by_value
      - .offset:         96
        .size:           4
        .value_kind:     by_value
    .group_segment_fixed_size: 4096
    .kernarg_segment_align: 8
    .kernarg_segment_size: 100
    .language:       OpenCL C
    .language_version:
      - 2
      - 0
    .max_flat_workgroup_size: 256
    .name:           _ZL34rocblas_syrkx_herkx_general_kernelIi19rocblas_complex_numIfELi16ELi32ELi8ELb1ELb1ELc78ELc85EKPKS1_KPS1_EviT_T0_PT8_S7_lSA_S7_lS8_PT9_S7_li
    .private_segment_fixed_size: 0
    .sgpr_count:     28
    .sgpr_spill_count: 0
    .symbol:         _ZL34rocblas_syrkx_herkx_general_kernelIi19rocblas_complex_numIfELi16ELi32ELi8ELb1ELb1ELc78ELc85EKPKS1_KPS1_EviT_T0_PT8_S7_lSA_S7_lS8_PT9_S7_li.kd
    .uniform_work_group_size: 1
    .uses_dynamic_stack: false
    .vgpr_count:     53
    .vgpr_spill_count: 0
    .wavefront_size: 64
  - .args:
      - .offset:         0
        .size:           4
        .value_kind:     by_value
      - .offset:         4
        .size:           4
        .value_kind:     by_value
      - .offset:         8
        .size:           8
        .value_kind:     by_value
      - .address_space:  global
        .offset:         16
        .size:           8
        .value_kind:     global_buffer
      - .offset:         24
        .size:           4
        .value_kind:     by_value
      - .offset:         32
        .size:           8
        .value_kind:     by_value
      - .address_space:  global
        .offset:         40
        .size:           8
        .value_kind:     global_buffer
      - .offset:         48
        .size:           4
        .value_kind:     by_value
      - .offset:         56
        .size:           8
        .value_kind:     by_value
      - .offset:         64
        .size:           8
        .value_kind:     by_value
      - .address_space:  global
        .offset:         72
        .size:           8
        .value_kind:     global_buffer
      - .offset:         80
        .size:           4
        .value_kind:     by_value
      - .offset:         88
        .size:           8
        .value_kind:     by_value
      - .offset:         96
        .size:           4
        .value_kind:     by_value
    .group_segment_fixed_size: 4096
    .kernarg_segment_align: 8
    .kernarg_segment_size: 100
    .language:       OpenCL C
    .language_version:
      - 2
      - 0
    .max_flat_workgroup_size: 256
    .name:           _ZL34rocblas_syrkx_herkx_general_kernelIi19rocblas_complex_numIfELi16ELi32ELi8ELb0ELb1ELc84ELc76EKPKS1_KPS1_EviT_T0_PT8_S7_lSA_S7_lS8_PT9_S7_li
    .private_segment_fixed_size: 0
    .sgpr_count:     27
    .sgpr_spill_count: 0
    .symbol:         _ZL34rocblas_syrkx_herkx_general_kernelIi19rocblas_complex_numIfELi16ELi32ELi8ELb0ELb1ELc84ELc76EKPKS1_KPS1_EviT_T0_PT8_S7_lSA_S7_lS8_PT9_S7_li.kd
    .uniform_work_group_size: 1
    .uses_dynamic_stack: false
    .vgpr_count:     48
    .vgpr_spill_count: 0
    .wavefront_size: 64
  - .args:
      - .offset:         0
        .size:           4
        .value_kind:     by_value
      - .offset:         4
        .size:           4
        .value_kind:     by_value
      - .offset:         8
        .size:           8
        .value_kind:     by_value
      - .address_space:  global
        .offset:         16
        .size:           8
        .value_kind:     global_buffer
      - .offset:         24
        .size:           4
        .value_kind:     by_value
      - .offset:         32
        .size:           8
        .value_kind:     by_value
      - .address_space:  global
        .offset:         40
        .size:           8
        .value_kind:     global_buffer
      - .offset:         48
        .size:           4
        .value_kind:     by_value
      - .offset:         56
        .size:           8
        .value_kind:     by_value
      - .offset:         64
        .size:           8
        .value_kind:     by_value
      - .address_space:  global
        .offset:         72
        .size:           8
        .value_kind:     global_buffer
      - .offset:         80
        .size:           4
        .value_kind:     by_value
      - .offset:         88
        .size:           8
        .value_kind:     by_value
      - .offset:         96
        .size:           4
        .value_kind:     by_value
    .group_segment_fixed_size: 4096
    .kernarg_segment_align: 8
    .kernarg_segment_size: 100
    .language:       OpenCL C
    .language_version:
      - 2
      - 0
    .max_flat_workgroup_size: 256
    .name:           _ZL34rocblas_syrkx_herkx_general_kernelIi19rocblas_complex_numIfELi16ELi32ELi8ELb0ELb1ELc67ELc76EKPKS1_KPS1_EviT_T0_PT8_S7_lSA_S7_lS8_PT9_S7_li
    .private_segment_fixed_size: 0
    .sgpr_count:     27
    .sgpr_spill_count: 0
    .symbol:         _ZL34rocblas_syrkx_herkx_general_kernelIi19rocblas_complex_numIfELi16ELi32ELi8ELb0ELb1ELc67ELc76EKPKS1_KPS1_EviT_T0_PT8_S7_lSA_S7_lS8_PT9_S7_li.kd
    .uniform_work_group_size: 1
    .uses_dynamic_stack: false
    .vgpr_count:     48
    .vgpr_spill_count: 0
    .wavefront_size: 64
  - .args:
      - .offset:         0
        .size:           4
        .value_kind:     by_value
      - .offset:         4
        .size:           4
        .value_kind:     by_value
      - .offset:         8
        .size:           8
        .value_kind:     by_value
      - .address_space:  global
        .offset:         16
        .size:           8
        .value_kind:     global_buffer
      - .offset:         24
        .size:           4
        .value_kind:     by_value
      - .offset:         32
        .size:           8
        .value_kind:     by_value
      - .address_space:  global
        .offset:         40
        .size:           8
        .value_kind:     global_buffer
      - .offset:         48
        .size:           4
        .value_kind:     by_value
      - .offset:         56
        .size:           8
        .value_kind:     by_value
      - .offset:         64
        .size:           8
        .value_kind:     by_value
      - .address_space:  global
        .offset:         72
        .size:           8
        .value_kind:     global_buffer
      - .offset:         80
        .size:           4
        .value_kind:     by_value
      - .offset:         88
        .size:           8
        .value_kind:     by_value
      - .offset:         96
        .size:           4
        .value_kind:     by_value
    .group_segment_fixed_size: 4096
    .kernarg_segment_align: 8
    .kernarg_segment_size: 100
    .language:       OpenCL C
    .language_version:
      - 2
      - 0
    .max_flat_workgroup_size: 256
    .name:           _ZL34rocblas_syrkx_herkx_general_kernelIi19rocblas_complex_numIfELi16ELi32ELi8ELb0ELb1ELc78ELc76EKPKS1_KPS1_EviT_T0_PT8_S7_lSA_S7_lS8_PT9_S7_li
    .private_segment_fixed_size: 0
    .sgpr_count:     30
    .sgpr_spill_count: 0
    .symbol:         _ZL34rocblas_syrkx_herkx_general_kernelIi19rocblas_complex_numIfELi16ELi32ELi8ELb0ELb1ELc78ELc76EKPKS1_KPS1_EviT_T0_PT8_S7_lSA_S7_lS8_PT9_S7_li.kd
    .uniform_work_group_size: 1
    .uses_dynamic_stack: false
    .vgpr_count:     53
    .vgpr_spill_count: 0
    .wavefront_size: 64
  - .args:
      - .offset:         0
        .size:           4
        .value_kind:     by_value
      - .offset:         4
        .size:           4
        .value_kind:     by_value
      - .offset:         8
        .size:           8
        .value_kind:     by_value
      - .address_space:  global
        .offset:         16
        .size:           8
        .value_kind:     global_buffer
      - .offset:         24
        .size:           4
        .value_kind:     by_value
      - .offset:         32
        .size:           8
        .value_kind:     by_value
      - .address_space:  global
        .offset:         40
        .size:           8
        .value_kind:     global_buffer
      - .offset:         48
        .size:           4
        .value_kind:     by_value
      - .offset:         56
        .size:           8
        .value_kind:     by_value
      - .offset:         64
        .size:           8
        .value_kind:     by_value
      - .address_space:  global
        .offset:         72
        .size:           8
        .value_kind:     global_buffer
      - .offset:         80
        .size:           4
        .value_kind:     by_value
      - .offset:         88
        .size:           8
        .value_kind:     by_value
      - .offset:         96
        .size:           4
        .value_kind:     by_value
    .group_segment_fixed_size: 4096
    .kernarg_segment_align: 8
    .kernarg_segment_size: 100
    .language:       OpenCL C
    .language_version:
      - 2
      - 0
    .max_flat_workgroup_size: 256
    .name:           _ZL34rocblas_syrkx_herkx_general_kernelIi19rocblas_complex_numIfELi16ELi32ELi8ELb0ELb1ELc84ELc85EKPKS1_KPS1_EviT_T0_PT8_S7_lSA_S7_lS8_PT9_S7_li
    .private_segment_fixed_size: 0
    .sgpr_count:     27
    .sgpr_spill_count: 0
    .symbol:         _ZL34rocblas_syrkx_herkx_general_kernelIi19rocblas_complex_numIfELi16ELi32ELi8ELb0ELb1ELc84ELc85EKPKS1_KPS1_EviT_T0_PT8_S7_lSA_S7_lS8_PT9_S7_li.kd
    .uniform_work_group_size: 1
    .uses_dynamic_stack: false
    .vgpr_count:     48
    .vgpr_spill_count: 0
    .wavefront_size: 64
  - .args:
      - .offset:         0
        .size:           4
        .value_kind:     by_value
      - .offset:         4
        .size:           4
        .value_kind:     by_value
      - .offset:         8
        .size:           8
        .value_kind:     by_value
      - .address_space:  global
        .offset:         16
        .size:           8
        .value_kind:     global_buffer
      - .offset:         24
        .size:           4
        .value_kind:     by_value
      - .offset:         32
        .size:           8
        .value_kind:     by_value
      - .address_space:  global
        .offset:         40
        .size:           8
        .value_kind:     global_buffer
      - .offset:         48
        .size:           4
        .value_kind:     by_value
      - .offset:         56
        .size:           8
        .value_kind:     by_value
      - .offset:         64
        .size:           8
        .value_kind:     by_value
      - .address_space:  global
        .offset:         72
        .size:           8
        .value_kind:     global_buffer
      - .offset:         80
        .size:           4
        .value_kind:     by_value
      - .offset:         88
        .size:           8
        .value_kind:     by_value
      - .offset:         96
        .size:           4
        .value_kind:     by_value
    .group_segment_fixed_size: 4096
    .kernarg_segment_align: 8
    .kernarg_segment_size: 100
    .language:       OpenCL C
    .language_version:
      - 2
      - 0
    .max_flat_workgroup_size: 256
    .name:           _ZL34rocblas_syrkx_herkx_general_kernelIi19rocblas_complex_numIfELi16ELi32ELi8ELb0ELb1ELc67ELc85EKPKS1_KPS1_EviT_T0_PT8_S7_lSA_S7_lS8_PT9_S7_li
    .private_segment_fixed_size: 0
    .sgpr_count:     27
    .sgpr_spill_count: 0
    .symbol:         _ZL34rocblas_syrkx_herkx_general_kernelIi19rocblas_complex_numIfELi16ELi32ELi8ELb0ELb1ELc67ELc85EKPKS1_KPS1_EviT_T0_PT8_S7_lSA_S7_lS8_PT9_S7_li.kd
    .uniform_work_group_size: 1
    .uses_dynamic_stack: false
    .vgpr_count:     48
    .vgpr_spill_count: 0
    .wavefront_size: 64
  - .args:
      - .offset:         0
        .size:           4
        .value_kind:     by_value
      - .offset:         4
        .size:           4
        .value_kind:     by_value
      - .offset:         8
        .size:           8
        .value_kind:     by_value
      - .address_space:  global
        .offset:         16
        .size:           8
        .value_kind:     global_buffer
      - .offset:         24
        .size:           4
        .value_kind:     by_value
      - .offset:         32
        .size:           8
        .value_kind:     by_value
      - .address_space:  global
        .offset:         40
        .size:           8
        .value_kind:     global_buffer
      - .offset:         48
        .size:           4
        .value_kind:     by_value
      - .offset:         56
        .size:           8
        .value_kind:     by_value
      - .offset:         64
        .size:           8
        .value_kind:     by_value
      - .address_space:  global
        .offset:         72
        .size:           8
        .value_kind:     global_buffer
      - .offset:         80
        .size:           4
        .value_kind:     by_value
      - .offset:         88
        .size:           8
        .value_kind:     by_value
      - .offset:         96
        .size:           4
        .value_kind:     by_value
    .group_segment_fixed_size: 4096
    .kernarg_segment_align: 8
    .kernarg_segment_size: 100
    .language:       OpenCL C
    .language_version:
      - 2
      - 0
    .max_flat_workgroup_size: 256
    .name:           _ZL34rocblas_syrkx_herkx_general_kernelIi19rocblas_complex_numIfELi16ELi32ELi8ELb0ELb1ELc78ELc85EKPKS1_KPS1_EviT_T0_PT8_S7_lSA_S7_lS8_PT9_S7_li
    .private_segment_fixed_size: 0
    .sgpr_count:     30
    .sgpr_spill_count: 0
    .symbol:         _ZL34rocblas_syrkx_herkx_general_kernelIi19rocblas_complex_numIfELi16ELi32ELi8ELb0ELb1ELc78ELc85EKPKS1_KPS1_EviT_T0_PT8_S7_lSA_S7_lS8_PT9_S7_li.kd
    .uniform_work_group_size: 1
    .uses_dynamic_stack: false
    .vgpr_count:     53
    .vgpr_spill_count: 0
    .wavefront_size: 64
  - .args:
      - .offset:         0
        .size:           1
        .value_kind:     by_value
      - .offset:         4
        .size:           4
        .value_kind:     by_value
      - .offset:         8
        .size:           4
        .value_kind:     by_value
      - .offset:         12
        .size:           8
        .value_kind:     by_value
      - .offset:         20
        .size:           8
        .value_kind:     by_value
      - .address_space:  global
        .offset:         32
        .size:           8
        .value_kind:     global_buffer
      - .offset:         40
        .size:           4
        .value_kind:     by_value
      - .offset:         48
        .size:           8
        .value_kind:     by_value
      - .offset:         56
        .size:           4
        .value_kind:     by_value
      - .offset:         64
        .size:           4
        .value_kind:     hidden_block_count_x
      - .offset:         68
        .size:           4
        .value_kind:     hidden_block_count_y
      - .offset:         72
        .size:           4
        .value_kind:     hidden_block_count_z
      - .offset:         76
        .size:           2
        .value_kind:     hidden_group_size_x
      - .offset:         78
        .size:           2
        .value_kind:     hidden_group_size_y
      - .offset:         80
        .size:           2
        .value_kind:     hidden_group_size_z
      - .offset:         82
        .size:           2
        .value_kind:     hidden_remainder_x
      - .offset:         84
        .size:           2
        .value_kind:     hidden_remainder_y
      - .offset:         86
        .size:           2
        .value_kind:     hidden_remainder_z
      - .offset:         104
        .size:           8
        .value_kind:     hidden_global_offset_x
      - .offset:         112
        .size:           8
        .value_kind:     hidden_global_offset_y
      - .offset:         120
        .size:           8
        .value_kind:     hidden_global_offset_z
      - .offset:         128
        .size:           2
        .value_kind:     hidden_grid_dims
    .group_segment_fixed_size: 0
    .kernarg_segment_align: 8
    .kernarg_segment_size: 320
    .language:       OpenCL C
    .language_version:
      - 2
      - 0
    .max_flat_workgroup_size: 1024
    .name:           _ZL26rocblas_syr2k_scale_kernelIiLi128ELi8ELb1E19rocblas_complex_numIfES1_PKPS1_EvbiT_T3_T4_T5_S5_li
    .private_segment_fixed_size: 0
    .sgpr_count:     24
    .sgpr_spill_count: 0
    .symbol:         _ZL26rocblas_syr2k_scale_kernelIiLi128ELi8ELb1E19rocblas_complex_numIfES1_PKPS1_EvbiT_T3_T4_T5_S5_li.kd
    .uniform_work_group_size: 1
    .uses_dynamic_stack: false
    .vgpr_count:     8
    .vgpr_spill_count: 0
    .wavefront_size: 64
  - .args:
      - .offset:         0
        .size:           1
        .value_kind:     by_value
      - .offset:         4
        .size:           4
        .value_kind:     by_value
      - .offset:         8
        .size:           4
        .value_kind:     by_value
      - .address_space:  global
        .offset:         16
        .size:           8
        .value_kind:     global_buffer
      - .address_space:  global
        .offset:         24
        .size:           8
        .value_kind:     global_buffer
      - .offset:         32
        .size:           4
        .value_kind:     by_value
      - .offset:         40
        .size:           8
        .value_kind:     by_value
      - .address_space:  global
        .offset:         48
        .size:           8
        .value_kind:     global_buffer
      - .offset:         56
        .size:           4
        .value_kind:     by_value
      - .offset:         64
        .size:           8
        .value_kind:     by_value
      - .address_space:  global
        .offset:         72
        .size:           8
        .value_kind:     global_buffer
      - .offset:         80
        .size:           4
        .value_kind:     by_value
      - .offset:         88
        .size:           8
        .value_kind:     by_value
      - .offset:         96
        .size:           4
        .value_kind:     by_value
    .group_segment_fixed_size: 16384
    .kernarg_segment_align: 8
    .kernarg_segment_size: 100
    .language:       OpenCL C
    .language_version:
      - 2
      - 0
    .max_flat_workgroup_size: 1024
    .name:           _ZL26rocblas_syr2k_her2k_kernelIiLb0ELb1ELb0ELi32EPK19rocblas_complex_numIfEPKS3_PKPS1_EvbiT_T4_T5_S9_lSB_S9_lT6_S9_li
    .private_segment_fixed_size: 0
    .sgpr_count:     28
    .sgpr_spill_count: 0
    .symbol:         _ZL26rocblas_syr2k_her2k_kernelIiLb0ELb1ELb0ELi32EPK19rocblas_complex_numIfEPKS3_PKPS1_EvbiT_T4_T5_S9_lSB_S9_lT6_S9_li.kd
    .uniform_work_group_size: 1
    .uses_dynamic_stack: false
    .vgpr_count:     38
    .vgpr_spill_count: 0
    .wavefront_size: 64
  - .args:
      - .offset:         0
        .size:           1
        .value_kind:     by_value
      - .offset:         4
        .size:           4
        .value_kind:     by_value
      - .offset:         8
        .size:           4
        .value_kind:     by_value
      - .address_space:  global
        .offset:         16
        .size:           8
        .value_kind:     global_buffer
      - .address_space:  global
        .offset:         24
        .size:           8
        .value_kind:     global_buffer
      - .offset:         32
        .size:           4
        .value_kind:     by_value
      - .offset:         40
        .size:           8
        .value_kind:     by_value
      - .address_space:  global
        .offset:         48
        .size:           8
        .value_kind:     global_buffer
      - .offset:         56
        .size:           4
        .value_kind:     by_value
      - .offset:         64
        .size:           8
        .value_kind:     by_value
      - .address_space:  global
        .offset:         72
        .size:           8
        .value_kind:     global_buffer
      - .offset:         80
        .size:           4
        .value_kind:     by_value
      - .offset:         88
        .size:           8
        .value_kind:     by_value
      - .offset:         96
        .size:           4
        .value_kind:     by_value
    .group_segment_fixed_size: 16384
    .kernarg_segment_align: 8
    .kernarg_segment_size: 100
    .language:       OpenCL C
    .language_version:
      - 2
      - 0
    .max_flat_workgroup_size: 1024
    .name:           _ZL26rocblas_syr2k_her2k_kernelIiLb0ELb1ELb1ELi32EPK19rocblas_complex_numIfEPKS3_PKPS1_EvbiT_T4_T5_S9_lSB_S9_lT6_S9_li
    .private_segment_fixed_size: 0
    .sgpr_count:     28
    .sgpr_spill_count: 0
    .symbol:         _ZL26rocblas_syr2k_her2k_kernelIiLb0ELb1ELb1ELi32EPK19rocblas_complex_numIfEPKS3_PKPS1_EvbiT_T4_T5_S9_lSB_S9_lT6_S9_li.kd
    .uniform_work_group_size: 1
    .uses_dynamic_stack: false
    .vgpr_count:     38
    .vgpr_spill_count: 0
    .wavefront_size: 64
  - .args:
      - .offset:         0
        .size:           1
        .value_kind:     by_value
      - .offset:         4
        .size:           4
        .value_kind:     by_value
      - .offset:         8
        .size:           4
        .value_kind:     by_value
      - .offset:         16
        .size:           16
        .value_kind:     by_value
      - .address_space:  global
        .offset:         32
        .size:           8
        .value_kind:     global_buffer
      - .offset:         40
        .size:           4
        .value_kind:     by_value
      - .offset:         48
        .size:           8
        .value_kind:     by_value
      - .address_space:  global
        .offset:         56
        .size:           8
        .value_kind:     global_buffer
      - .offset:         64
        .size:           4
        .value_kind:     by_value
      - .offset:         72
        .size:           8
        .value_kind:     by_value
      - .address_space:  global
        .offset:         80
        .size:           8
        .value_kind:     global_buffer
      - .offset:         88
        .size:           4
        .value_kind:     by_value
      - .offset:         96
        .size:           8
        .value_kind:     by_value
      - .offset:         104
        .size:           4
        .value_kind:     by_value
    .group_segment_fixed_size: 32768
    .kernarg_segment_align: 8
    .kernarg_segment_size: 108
    .language:       OpenCL C
    .language_version:
      - 2
      - 0
    .max_flat_workgroup_size: 1024
    .name:           _ZL26rocblas_syr2k_her2k_kernelIiLb0ELb1ELb0ELi32E19rocblas_complex_numIdEPKPKS1_PKPS1_EvbiT_T4_T5_S9_lSB_S9_lT6_S9_li
    .private_segment_fixed_size: 0
    .sgpr_count:     32
    .sgpr_spill_count: 0
    .symbol:         _ZL26rocblas_syr2k_her2k_kernelIiLb0ELb1ELb0ELi32E19rocblas_complex_numIdEPKPKS1_PKPS1_EvbiT_T4_T5_S9_lSB_S9_lT6_S9_li.kd
    .uniform_work_group_size: 1
    .uses_dynamic_stack: false
    .vgpr_count:     37
    .vgpr_spill_count: 0
    .wavefront_size: 64
  - .args:
      - .offset:         0
        .size:           1
        .value_kind:     by_value
      - .offset:         4
        .size:           4
        .value_kind:     by_value
      - .offset:         8
        .size:           4
        .value_kind:     by_value
      - .offset:         16
        .size:           16
        .value_kind:     by_value
      - .address_space:  global
        .offset:         32
        .size:           8
        .value_kind:     global_buffer
      - .offset:         40
        .size:           4
        .value_kind:     by_value
      - .offset:         48
        .size:           8
        .value_kind:     by_value
      - .address_space:  global
        .offset:         56
        .size:           8
        .value_kind:     global_buffer
      - .offset:         64
        .size:           4
        .value_kind:     by_value
      - .offset:         72
        .size:           8
        .value_kind:     by_value
      - .address_space:  global
        .offset:         80
        .size:           8
        .value_kind:     global_buffer
      - .offset:         88
        .size:           4
        .value_kind:     by_value
      - .offset:         96
        .size:           8
        .value_kind:     by_value
      - .offset:         104
        .size:           4
        .value_kind:     by_value
    .group_segment_fixed_size: 32768
    .kernarg_segment_align: 8
    .kernarg_segment_size: 108
    .language:       OpenCL C
    .language_version:
      - 2
      - 0
    .max_flat_workgroup_size: 1024
    .name:           _ZL26rocblas_syr2k_her2k_kernelIiLb0ELb1ELb1ELi32E19rocblas_complex_numIdEPKPKS1_PKPS1_EvbiT_T4_T5_S9_lSB_S9_lT6_S9_li
    .private_segment_fixed_size: 0
    .sgpr_count:     32
    .sgpr_spill_count: 0
    .symbol:         _ZL26rocblas_syr2k_her2k_kernelIiLb0ELb1ELb1ELi32E19rocblas_complex_numIdEPKPKS1_PKPS1_EvbiT_T4_T5_S9_lSB_S9_lT6_S9_li.kd
    .uniform_work_group_size: 1
    .uses_dynamic_stack: false
    .vgpr_count:     39
    .vgpr_spill_count: 0
    .wavefront_size: 64
  - .args:
      - .offset:         0
        .size:           4
        .value_kind:     by_value
      - .offset:         4
        .size:           4
        .value_kind:     by_value
      - .address_space:  global
        .offset:         8
        .size:           8
        .value_kind:     global_buffer
      - .offset:         16
        .size:           4
        .value_kind:     by_value
      - .offset:         24
        .size:           8
        .value_kind:     by_value
      - .address_space:  global
        .offset:         32
        .size:           8
        .value_kind:     global_buffer
      - .offset:         40
        .size:           4
        .value_kind:     by_value
      - .offset:         48
        .size:           8
        .value_kind:     by_value
      - .address_space:  global
        .offset:         56
        .size:           8
        .value_kind:     global_buffer
      - .offset:         64
        .size:           4
        .value_kind:     by_value
      - .offset:         72
        .size:           8
        .value_kind:     by_value
      - .offset:         80
        .size:           4
        .value_kind:     by_value
    .group_segment_fixed_size: 8192
    .kernarg_segment_align: 8
    .kernarg_segment_size: 84
    .language:       OpenCL C
    .language_version:
      - 2
      - 0
    .max_flat_workgroup_size: 256
    .name:           _ZL37rocblas_syrkx_herkx_restricted_kernelIi19rocblas_complex_numIdELi16ELi32ELi8ELi1ELi1ELb1ELc84ELc76EKPKS1_KPS1_EviT_PT9_S7_lS9_S7_lPT10_S7_li
    .private_segment_fixed_size: 0
    .sgpr_count:     21
    .sgpr_spill_count: 0
    .symbol:         _ZL37rocblas_syrkx_herkx_restricted_kernelIi19rocblas_complex_numIdELi16ELi32ELi8ELi1ELi1ELb1ELc84ELc76EKPKS1_KPS1_EviT_PT9_S7_lS9_S7_lPT10_S7_li.kd
    .uniform_work_group_size: 1
    .uses_dynamic_stack: false
    .vgpr_count:     52
    .vgpr_spill_count: 0
    .wavefront_size: 64
  - .args:
      - .offset:         0
        .size:           4
        .value_kind:     by_value
      - .offset:         4
        .size:           4
        .value_kind:     by_value
      - .address_space:  global
        .offset:         8
        .size:           8
        .value_kind:     global_buffer
      - .offset:         16
        .size:           4
        .value_kind:     by_value
      - .offset:         24
        .size:           8
        .value_kind:     by_value
      - .address_space:  global
        .offset:         32
        .size:           8
        .value_kind:     global_buffer
      - .offset:         40
        .size:           4
        .value_kind:     by_value
      - .offset:         48
        .size:           8
        .value_kind:     by_value
      - .address_space:  global
        .offset:         56
        .size:           8
        .value_kind:     global_buffer
      - .offset:         64
        .size:           4
        .value_kind:     by_value
      - .offset:         72
        .size:           8
        .value_kind:     by_value
      - .offset:         80
        .size:           4
        .value_kind:     by_value
    .group_segment_fixed_size: 8192
    .kernarg_segment_align: 8
    .kernarg_segment_size: 84
    .language:       OpenCL C
    .language_version:
      - 2
      - 0
    .max_flat_workgroup_size: 256
    .name:           _ZL37rocblas_syrkx_herkx_restricted_kernelIi19rocblas_complex_numIdELi16ELi32ELi8ELi1ELi1ELb1ELc67ELc76EKPKS1_KPS1_EviT_PT9_S7_lS9_S7_lPT10_S7_li
    .private_segment_fixed_size: 0
    .sgpr_count:     21
    .sgpr_spill_count: 0
    .symbol:         _ZL37rocblas_syrkx_herkx_restricted_kernelIi19rocblas_complex_numIdELi16ELi32ELi8ELi1ELi1ELb1ELc67ELc76EKPKS1_KPS1_EviT_PT9_S7_lS9_S7_lPT10_S7_li.kd
    .uniform_work_group_size: 1
    .uses_dynamic_stack: false
    .vgpr_count:     52
    .vgpr_spill_count: 0
    .wavefront_size: 64
  - .args:
      - .offset:         0
        .size:           4
        .value_kind:     by_value
      - .offset:         4
        .size:           4
        .value_kind:     by_value
      - .address_space:  global
        .offset:         8
        .size:           8
        .value_kind:     global_buffer
      - .offset:         16
        .size:           4
        .value_kind:     by_value
      - .offset:         24
        .size:           8
        .value_kind:     by_value
      - .address_space:  global
        .offset:         32
        .size:           8
        .value_kind:     global_buffer
      - .offset:         40
        .size:           4
        .value_kind:     by_value
      - .offset:         48
        .size:           8
        .value_kind:     by_value
      - .address_space:  global
        .offset:         56
        .size:           8
        .value_kind:     global_buffer
      - .offset:         64
        .size:           4
        .value_kind:     by_value
      - .offset:         72
        .size:           8
        .value_kind:     by_value
      - .offset:         80
        .size:           4
        .value_kind:     by_value
    .group_segment_fixed_size: 8192
    .kernarg_segment_align: 8
    .kernarg_segment_size: 84
    .language:       OpenCL C
    .language_version:
      - 2
      - 0
    .max_flat_workgroup_size: 256
    .name:           _ZL37rocblas_syrkx_herkx_restricted_kernelIi19rocblas_complex_numIdELi16ELi32ELi8ELi1ELi1ELb1ELc78ELc76EKPKS1_KPS1_EviT_PT9_S7_lS9_S7_lPT10_S7_li
    .private_segment_fixed_size: 0
    .sgpr_count:     24
    .sgpr_spill_count: 0
    .symbol:         _ZL37rocblas_syrkx_herkx_restricted_kernelIi19rocblas_complex_numIdELi16ELi32ELi8ELi1ELi1ELb1ELc78ELc76EKPKS1_KPS1_EviT_PT9_S7_lS9_S7_lPT10_S7_li.kd
    .uniform_work_group_size: 1
    .uses_dynamic_stack: false
    .vgpr_count:     54
    .vgpr_spill_count: 0
    .wavefront_size: 64
  - .args:
      - .offset:         0
        .size:           4
        .value_kind:     by_value
      - .offset:         4
        .size:           4
        .value_kind:     by_value
      - .address_space:  global
        .offset:         8
        .size:           8
        .value_kind:     global_buffer
      - .offset:         16
        .size:           4
        .value_kind:     by_value
      - .offset:         24
        .size:           8
        .value_kind:     by_value
      - .address_space:  global
        .offset:         32
        .size:           8
        .value_kind:     global_buffer
      - .offset:         40
        .size:           4
        .value_kind:     by_value
      - .offset:         48
        .size:           8
        .value_kind:     by_value
      - .address_space:  global
        .offset:         56
        .size:           8
        .value_kind:     global_buffer
      - .offset:         64
        .size:           4
        .value_kind:     by_value
      - .offset:         72
        .size:           8
        .value_kind:     by_value
      - .offset:         80
        .size:           4
        .value_kind:     by_value
    .group_segment_fixed_size: 8192
    .kernarg_segment_align: 8
    .kernarg_segment_size: 84
    .language:       OpenCL C
    .language_version:
      - 2
      - 0
    .max_flat_workgroup_size: 256
    .name:           _ZL37rocblas_syrkx_herkx_restricted_kernelIi19rocblas_complex_numIdELi16ELi32ELi8ELi1ELi1ELb1ELc84ELc85EKPKS1_KPS1_EviT_PT9_S7_lS9_S7_lPT10_S7_li
    .private_segment_fixed_size: 0
    .sgpr_count:     21
    .sgpr_spill_count: 0
    .symbol:         _ZL37rocblas_syrkx_herkx_restricted_kernelIi19rocblas_complex_numIdELi16ELi32ELi8ELi1ELi1ELb1ELc84ELc85EKPKS1_KPS1_EviT_PT9_S7_lS9_S7_lPT10_S7_li.kd
    .uniform_work_group_size: 1
    .uses_dynamic_stack: false
    .vgpr_count:     52
    .vgpr_spill_count: 0
    .wavefront_size: 64
  - .args:
      - .offset:         0
        .size:           4
        .value_kind:     by_value
      - .offset:         4
        .size:           4
        .value_kind:     by_value
      - .address_space:  global
        .offset:         8
        .size:           8
        .value_kind:     global_buffer
      - .offset:         16
        .size:           4
        .value_kind:     by_value
      - .offset:         24
        .size:           8
        .value_kind:     by_value
      - .address_space:  global
        .offset:         32
        .size:           8
        .value_kind:     global_buffer
      - .offset:         40
        .size:           4
        .value_kind:     by_value
      - .offset:         48
        .size:           8
        .value_kind:     by_value
      - .address_space:  global
        .offset:         56
        .size:           8
        .value_kind:     global_buffer
      - .offset:         64
        .size:           4
        .value_kind:     by_value
      - .offset:         72
        .size:           8
        .value_kind:     by_value
      - .offset:         80
        .size:           4
        .value_kind:     by_value
    .group_segment_fixed_size: 8192
    .kernarg_segment_align: 8
    .kernarg_segment_size: 84
    .language:       OpenCL C
    .language_version:
      - 2
      - 0
    .max_flat_workgroup_size: 256
    .name:           _ZL37rocblas_syrkx_herkx_restricted_kernelIi19rocblas_complex_numIdELi16ELi32ELi8ELi1ELi1ELb1ELc67ELc85EKPKS1_KPS1_EviT_PT9_S7_lS9_S7_lPT10_S7_li
    .private_segment_fixed_size: 0
    .sgpr_count:     21
    .sgpr_spill_count: 0
    .symbol:         _ZL37rocblas_syrkx_herkx_restricted_kernelIi19rocblas_complex_numIdELi16ELi32ELi8ELi1ELi1ELb1ELc67ELc85EKPKS1_KPS1_EviT_PT9_S7_lS9_S7_lPT10_S7_li.kd
    .uniform_work_group_size: 1
    .uses_dynamic_stack: false
    .vgpr_count:     52
    .vgpr_spill_count: 0
    .wavefront_size: 64
  - .args:
      - .offset:         0
        .size:           4
        .value_kind:     by_value
      - .offset:         4
        .size:           4
        .value_kind:     by_value
      - .address_space:  global
        .offset:         8
        .size:           8
        .value_kind:     global_buffer
      - .offset:         16
        .size:           4
        .value_kind:     by_value
      - .offset:         24
        .size:           8
        .value_kind:     by_value
      - .address_space:  global
        .offset:         32
        .size:           8
        .value_kind:     global_buffer
      - .offset:         40
        .size:           4
        .value_kind:     by_value
      - .offset:         48
        .size:           8
        .value_kind:     by_value
      - .address_space:  global
        .offset:         56
        .size:           8
        .value_kind:     global_buffer
      - .offset:         64
        .size:           4
        .value_kind:     by_value
      - .offset:         72
        .size:           8
        .value_kind:     by_value
      - .offset:         80
        .size:           4
        .value_kind:     by_value
    .group_segment_fixed_size: 8192
    .kernarg_segment_align: 8
    .kernarg_segment_size: 84
    .language:       OpenCL C
    .language_version:
      - 2
      - 0
    .max_flat_workgroup_size: 256
    .name:           _ZL37rocblas_syrkx_herkx_restricted_kernelIi19rocblas_complex_numIdELi16ELi32ELi8ELi1ELi1ELb1ELc78ELc85EKPKS1_KPS1_EviT_PT9_S7_lS9_S7_lPT10_S7_li
    .private_segment_fixed_size: 0
    .sgpr_count:     24
    .sgpr_spill_count: 0
    .symbol:         _ZL37rocblas_syrkx_herkx_restricted_kernelIi19rocblas_complex_numIdELi16ELi32ELi8ELi1ELi1ELb1ELc78ELc85EKPKS1_KPS1_EviT_PT9_S7_lS9_S7_lPT10_S7_li.kd
    .uniform_work_group_size: 1
    .uses_dynamic_stack: false
    .vgpr_count:     54
    .vgpr_spill_count: 0
    .wavefront_size: 64
  - .args:
      - .offset:         0
        .size:           4
        .value_kind:     by_value
      - .offset:         4
        .size:           4
        .value_kind:     by_value
      - .address_space:  global
        .offset:         8
        .size:           8
        .value_kind:     global_buffer
      - .offset:         16
        .size:           4
        .value_kind:     by_value
      - .offset:         24
        .size:           8
        .value_kind:     by_value
      - .address_space:  global
        .offset:         32
        .size:           8
        .value_kind:     global_buffer
      - .offset:         40
        .size:           4
        .value_kind:     by_value
      - .offset:         48
        .size:           8
        .value_kind:     by_value
      - .address_space:  global
        .offset:         56
        .size:           8
        .value_kind:     global_buffer
      - .offset:         64
        .size:           4
        .value_kind:     by_value
      - .offset:         72
        .size:           8
        .value_kind:     by_value
      - .offset:         80
        .size:           4
        .value_kind:     by_value
    .group_segment_fixed_size: 8192
    .kernarg_segment_align: 8
    .kernarg_segment_size: 84
    .language:       OpenCL C
    .language_version:
      - 2
      - 0
    .max_flat_workgroup_size: 256
    .name:           _ZL37rocblas_syrkx_herkx_restricted_kernelIi19rocblas_complex_numIdELi16ELi32ELi8ELi1ELin1ELb1ELc84ELc76EKPKS1_KPS1_EviT_PT9_S7_lS9_S7_lPT10_S7_li
    .private_segment_fixed_size: 0
    .sgpr_count:     21
    .sgpr_spill_count: 0
    .symbol:         _ZL37rocblas_syrkx_herkx_restricted_kernelIi19rocblas_complex_numIdELi16ELi32ELi8ELi1ELin1ELb1ELc84ELc76EKPKS1_KPS1_EviT_PT9_S7_lS9_S7_lPT10_S7_li.kd
    .uniform_work_group_size: 1
    .uses_dynamic_stack: false
    .vgpr_count:     52
    .vgpr_spill_count: 0
    .wavefront_size: 64
  - .args:
      - .offset:         0
        .size:           4
        .value_kind:     by_value
      - .offset:         4
        .size:           4
        .value_kind:     by_value
      - .address_space:  global
        .offset:         8
        .size:           8
        .value_kind:     global_buffer
      - .offset:         16
        .size:           4
        .value_kind:     by_value
      - .offset:         24
        .size:           8
        .value_kind:     by_value
      - .address_space:  global
        .offset:         32
        .size:           8
        .value_kind:     global_buffer
      - .offset:         40
        .size:           4
        .value_kind:     by_value
      - .offset:         48
        .size:           8
        .value_kind:     by_value
      - .address_space:  global
        .offset:         56
        .size:           8
        .value_kind:     global_buffer
      - .offset:         64
        .size:           4
        .value_kind:     by_value
      - .offset:         72
        .size:           8
        .value_kind:     by_value
      - .offset:         80
        .size:           4
        .value_kind:     by_value
    .group_segment_fixed_size: 8192
    .kernarg_segment_align: 8
    .kernarg_segment_size: 84
    .language:       OpenCL C
    .language_version:
      - 2
      - 0
    .max_flat_workgroup_size: 256
    .name:           _ZL37rocblas_syrkx_herkx_restricted_kernelIi19rocblas_complex_numIdELi16ELi32ELi8ELi1ELin1ELb1ELc67ELc76EKPKS1_KPS1_EviT_PT9_S7_lS9_S7_lPT10_S7_li
    .private_segment_fixed_size: 0
    .sgpr_count:     21
    .sgpr_spill_count: 0
    .symbol:         _ZL37rocblas_syrkx_herkx_restricted_kernelIi19rocblas_complex_numIdELi16ELi32ELi8ELi1ELin1ELb1ELc67ELc76EKPKS1_KPS1_EviT_PT9_S7_lS9_S7_lPT10_S7_li.kd
    .uniform_work_group_size: 1
    .uses_dynamic_stack: false
    .vgpr_count:     52
    .vgpr_spill_count: 0
    .wavefront_size: 64
  - .args:
      - .offset:         0
        .size:           4
        .value_kind:     by_value
      - .offset:         4
        .size:           4
        .value_kind:     by_value
      - .address_space:  global
        .offset:         8
        .size:           8
        .value_kind:     global_buffer
      - .offset:         16
        .size:           4
        .value_kind:     by_value
      - .offset:         24
        .size:           8
        .value_kind:     by_value
      - .address_space:  global
        .offset:         32
        .size:           8
        .value_kind:     global_buffer
      - .offset:         40
        .size:           4
        .value_kind:     by_value
      - .offset:         48
        .size:           8
        .value_kind:     by_value
      - .address_space:  global
        .offset:         56
        .size:           8
        .value_kind:     global_buffer
      - .offset:         64
        .size:           4
        .value_kind:     by_value
      - .offset:         72
        .size:           8
        .value_kind:     by_value
      - .offset:         80
        .size:           4
        .value_kind:     by_value
    .group_segment_fixed_size: 8192
    .kernarg_segment_align: 8
    .kernarg_segment_size: 84
    .language:       OpenCL C
    .language_version:
      - 2
      - 0
    .max_flat_workgroup_size: 256
    .name:           _ZL37rocblas_syrkx_herkx_restricted_kernelIi19rocblas_complex_numIdELi16ELi32ELi8ELi1ELin1ELb1ELc78ELc76EKPKS1_KPS1_EviT_PT9_S7_lS9_S7_lPT10_S7_li
    .private_segment_fixed_size: 0
    .sgpr_count:     24
    .sgpr_spill_count: 0
    .symbol:         _ZL37rocblas_syrkx_herkx_restricted_kernelIi19rocblas_complex_numIdELi16ELi32ELi8ELi1ELin1ELb1ELc78ELc76EKPKS1_KPS1_EviT_PT9_S7_lS9_S7_lPT10_S7_li.kd
    .uniform_work_group_size: 1
    .uses_dynamic_stack: false
    .vgpr_count:     54
    .vgpr_spill_count: 0
    .wavefront_size: 64
  - .args:
      - .offset:         0
        .size:           4
        .value_kind:     by_value
      - .offset:         4
        .size:           4
        .value_kind:     by_value
      - .address_space:  global
        .offset:         8
        .size:           8
        .value_kind:     global_buffer
      - .offset:         16
        .size:           4
        .value_kind:     by_value
      - .offset:         24
        .size:           8
        .value_kind:     by_value
      - .address_space:  global
        .offset:         32
        .size:           8
        .value_kind:     global_buffer
      - .offset:         40
        .size:           4
        .value_kind:     by_value
      - .offset:         48
        .size:           8
        .value_kind:     by_value
      - .address_space:  global
        .offset:         56
        .size:           8
        .value_kind:     global_buffer
      - .offset:         64
        .size:           4
        .value_kind:     by_value
      - .offset:         72
        .size:           8
        .value_kind:     by_value
      - .offset:         80
        .size:           4
        .value_kind:     by_value
    .group_segment_fixed_size: 8192
    .kernarg_segment_align: 8
    .kernarg_segment_size: 84
    .language:       OpenCL C
    .language_version:
      - 2
      - 0
    .max_flat_workgroup_size: 256
    .name:           _ZL37rocblas_syrkx_herkx_restricted_kernelIi19rocblas_complex_numIdELi16ELi32ELi8ELi1ELin1ELb1ELc84ELc85EKPKS1_KPS1_EviT_PT9_S7_lS9_S7_lPT10_S7_li
    .private_segment_fixed_size: 0
    .sgpr_count:     21
    .sgpr_spill_count: 0
    .symbol:         _ZL37rocblas_syrkx_herkx_restricted_kernelIi19rocblas_complex_numIdELi16ELi32ELi8ELi1ELin1ELb1ELc84ELc85EKPKS1_KPS1_EviT_PT9_S7_lS9_S7_lPT10_S7_li.kd
    .uniform_work_group_size: 1
    .uses_dynamic_stack: false
    .vgpr_count:     52
    .vgpr_spill_count: 0
    .wavefront_size: 64
  - .args:
      - .offset:         0
        .size:           4
        .value_kind:     by_value
      - .offset:         4
        .size:           4
        .value_kind:     by_value
      - .address_space:  global
        .offset:         8
        .size:           8
        .value_kind:     global_buffer
      - .offset:         16
        .size:           4
        .value_kind:     by_value
      - .offset:         24
        .size:           8
        .value_kind:     by_value
      - .address_space:  global
        .offset:         32
        .size:           8
        .value_kind:     global_buffer
      - .offset:         40
        .size:           4
        .value_kind:     by_value
      - .offset:         48
        .size:           8
        .value_kind:     by_value
      - .address_space:  global
        .offset:         56
        .size:           8
        .value_kind:     global_buffer
      - .offset:         64
        .size:           4
        .value_kind:     by_value
      - .offset:         72
        .size:           8
        .value_kind:     by_value
      - .offset:         80
        .size:           4
        .value_kind:     by_value
    .group_segment_fixed_size: 8192
    .kernarg_segment_align: 8
    .kernarg_segment_size: 84
    .language:       OpenCL C
    .language_version:
      - 2
      - 0
    .max_flat_workgroup_size: 256
    .name:           _ZL37rocblas_syrkx_herkx_restricted_kernelIi19rocblas_complex_numIdELi16ELi32ELi8ELi1ELin1ELb1ELc67ELc85EKPKS1_KPS1_EviT_PT9_S7_lS9_S7_lPT10_S7_li
    .private_segment_fixed_size: 0
    .sgpr_count:     21
    .sgpr_spill_count: 0
    .symbol:         _ZL37rocblas_syrkx_herkx_restricted_kernelIi19rocblas_complex_numIdELi16ELi32ELi8ELi1ELin1ELb1ELc67ELc85EKPKS1_KPS1_EviT_PT9_S7_lS9_S7_lPT10_S7_li.kd
    .uniform_work_group_size: 1
    .uses_dynamic_stack: false
    .vgpr_count:     52
    .vgpr_spill_count: 0
    .wavefront_size: 64
  - .args:
      - .offset:         0
        .size:           4
        .value_kind:     by_value
      - .offset:         4
        .size:           4
        .value_kind:     by_value
      - .address_space:  global
        .offset:         8
        .size:           8
        .value_kind:     global_buffer
      - .offset:         16
        .size:           4
        .value_kind:     by_value
      - .offset:         24
        .size:           8
        .value_kind:     by_value
      - .address_space:  global
        .offset:         32
        .size:           8
        .value_kind:     global_buffer
      - .offset:         40
        .size:           4
        .value_kind:     by_value
      - .offset:         48
        .size:           8
        .value_kind:     by_value
      - .address_space:  global
        .offset:         56
        .size:           8
        .value_kind:     global_buffer
      - .offset:         64
        .size:           4
        .value_kind:     by_value
      - .offset:         72
        .size:           8
        .value_kind:     by_value
      - .offset:         80
        .size:           4
        .value_kind:     by_value
    .group_segment_fixed_size: 8192
    .kernarg_segment_align: 8
    .kernarg_segment_size: 84
    .language:       OpenCL C
    .language_version:
      - 2
      - 0
    .max_flat_workgroup_size: 256
    .name:           _ZL37rocblas_syrkx_herkx_restricted_kernelIi19rocblas_complex_numIdELi16ELi32ELi8ELi1ELin1ELb1ELc78ELc85EKPKS1_KPS1_EviT_PT9_S7_lS9_S7_lPT10_S7_li
    .private_segment_fixed_size: 0
    .sgpr_count:     24
    .sgpr_spill_count: 0
    .symbol:         _ZL37rocblas_syrkx_herkx_restricted_kernelIi19rocblas_complex_numIdELi16ELi32ELi8ELi1ELin1ELb1ELc78ELc85EKPKS1_KPS1_EviT_PT9_S7_lS9_S7_lPT10_S7_li.kd
    .uniform_work_group_size: 1
    .uses_dynamic_stack: false
    .vgpr_count:     54
    .vgpr_spill_count: 0
    .wavefront_size: 64
  - .args:
      - .offset:         0
        .size:           4
        .value_kind:     by_value
      - .offset:         4
        .size:           4
        .value_kind:     by_value
      - .address_space:  global
        .offset:         8
        .size:           8
        .value_kind:     global_buffer
      - .offset:         16
        .size:           4
        .value_kind:     by_value
      - .offset:         24
        .size:           8
        .value_kind:     by_value
      - .address_space:  global
        .offset:         32
        .size:           8
        .value_kind:     global_buffer
      - .offset:         40
        .size:           4
        .value_kind:     by_value
      - .offset:         48
        .size:           8
        .value_kind:     by_value
      - .address_space:  global
        .offset:         56
        .size:           8
        .value_kind:     global_buffer
      - .offset:         64
        .size:           4
        .value_kind:     by_value
      - .offset:         72
        .size:           8
        .value_kind:     by_value
      - .offset:         80
        .size:           4
        .value_kind:     by_value
    .group_segment_fixed_size: 8192
    .kernarg_segment_align: 8
    .kernarg_segment_size: 84
    .language:       OpenCL C
    .language_version:
      - 2
      - 0
    .max_flat_workgroup_size: 256
    .name:           _ZL37rocblas_syrkx_herkx_restricted_kernelIi19rocblas_complex_numIdELi16ELi32ELi8ELi1ELi0ELb1ELc84ELc76EKPKS1_KPS1_EviT_PT9_S7_lS9_S7_lPT10_S7_li
    .private_segment_fixed_size: 0
    .sgpr_count:     21
    .sgpr_spill_count: 0
    .symbol:         _ZL37rocblas_syrkx_herkx_restricted_kernelIi19rocblas_complex_numIdELi16ELi32ELi8ELi1ELi0ELb1ELc84ELc76EKPKS1_KPS1_EviT_PT9_S7_lS9_S7_lPT10_S7_li.kd
    .uniform_work_group_size: 1
    .uses_dynamic_stack: false
    .vgpr_count:     52
    .vgpr_spill_count: 0
    .wavefront_size: 64
  - .args:
      - .offset:         0
        .size:           4
        .value_kind:     by_value
      - .offset:         4
        .size:           4
        .value_kind:     by_value
      - .address_space:  global
        .offset:         8
        .size:           8
        .value_kind:     global_buffer
      - .offset:         16
        .size:           4
        .value_kind:     by_value
      - .offset:         24
        .size:           8
        .value_kind:     by_value
      - .address_space:  global
        .offset:         32
        .size:           8
        .value_kind:     global_buffer
      - .offset:         40
        .size:           4
        .value_kind:     by_value
      - .offset:         48
        .size:           8
        .value_kind:     by_value
      - .address_space:  global
        .offset:         56
        .size:           8
        .value_kind:     global_buffer
      - .offset:         64
        .size:           4
        .value_kind:     by_value
      - .offset:         72
        .size:           8
        .value_kind:     by_value
      - .offset:         80
        .size:           4
        .value_kind:     by_value
    .group_segment_fixed_size: 8192
    .kernarg_segment_align: 8
    .kernarg_segment_size: 84
    .language:       OpenCL C
    .language_version:
      - 2
      - 0
    .max_flat_workgroup_size: 256
    .name:           _ZL37rocblas_syrkx_herkx_restricted_kernelIi19rocblas_complex_numIdELi16ELi32ELi8ELi1ELi0ELb1ELc67ELc76EKPKS1_KPS1_EviT_PT9_S7_lS9_S7_lPT10_S7_li
    .private_segment_fixed_size: 0
    .sgpr_count:     21
    .sgpr_spill_count: 0
    .symbol:         _ZL37rocblas_syrkx_herkx_restricted_kernelIi19rocblas_complex_numIdELi16ELi32ELi8ELi1ELi0ELb1ELc67ELc76EKPKS1_KPS1_EviT_PT9_S7_lS9_S7_lPT10_S7_li.kd
    .uniform_work_group_size: 1
    .uses_dynamic_stack: false
    .vgpr_count:     52
    .vgpr_spill_count: 0
    .wavefront_size: 64
  - .args:
      - .offset:         0
        .size:           4
        .value_kind:     by_value
      - .offset:         4
        .size:           4
        .value_kind:     by_value
      - .address_space:  global
        .offset:         8
        .size:           8
        .value_kind:     global_buffer
      - .offset:         16
        .size:           4
        .value_kind:     by_value
      - .offset:         24
        .size:           8
        .value_kind:     by_value
      - .address_space:  global
        .offset:         32
        .size:           8
        .value_kind:     global_buffer
      - .offset:         40
        .size:           4
        .value_kind:     by_value
      - .offset:         48
        .size:           8
        .value_kind:     by_value
      - .address_space:  global
        .offset:         56
        .size:           8
        .value_kind:     global_buffer
      - .offset:         64
        .size:           4
        .value_kind:     by_value
      - .offset:         72
        .size:           8
        .value_kind:     by_value
      - .offset:         80
        .size:           4
        .value_kind:     by_value
    .group_segment_fixed_size: 8192
    .kernarg_segment_align: 8
    .kernarg_segment_size: 84
    .language:       OpenCL C
    .language_version:
      - 2
      - 0
    .max_flat_workgroup_size: 256
    .name:           _ZL37rocblas_syrkx_herkx_restricted_kernelIi19rocblas_complex_numIdELi16ELi32ELi8ELi1ELi0ELb1ELc78ELc76EKPKS1_KPS1_EviT_PT9_S7_lS9_S7_lPT10_S7_li
    .private_segment_fixed_size: 0
    .sgpr_count:     24
    .sgpr_spill_count: 0
    .symbol:         _ZL37rocblas_syrkx_herkx_restricted_kernelIi19rocblas_complex_numIdELi16ELi32ELi8ELi1ELi0ELb1ELc78ELc76EKPKS1_KPS1_EviT_PT9_S7_lS9_S7_lPT10_S7_li.kd
    .uniform_work_group_size: 1
    .uses_dynamic_stack: false
    .vgpr_count:     54
    .vgpr_spill_count: 0
    .wavefront_size: 64
  - .args:
      - .offset:         0
        .size:           4
        .value_kind:     by_value
      - .offset:         4
        .size:           4
        .value_kind:     by_value
      - .address_space:  global
        .offset:         8
        .size:           8
        .value_kind:     global_buffer
      - .offset:         16
        .size:           4
        .value_kind:     by_value
      - .offset:         24
        .size:           8
        .value_kind:     by_value
      - .address_space:  global
        .offset:         32
        .size:           8
        .value_kind:     global_buffer
      - .offset:         40
        .size:           4
        .value_kind:     by_value
      - .offset:         48
        .size:           8
        .value_kind:     by_value
      - .address_space:  global
        .offset:         56
        .size:           8
        .value_kind:     global_buffer
      - .offset:         64
        .size:           4
        .value_kind:     by_value
      - .offset:         72
        .size:           8
        .value_kind:     by_value
      - .offset:         80
        .size:           4
        .value_kind:     by_value
    .group_segment_fixed_size: 8192
    .kernarg_segment_align: 8
    .kernarg_segment_size: 84
    .language:       OpenCL C
    .language_version:
      - 2
      - 0
    .max_flat_workgroup_size: 256
    .name:           _ZL37rocblas_syrkx_herkx_restricted_kernelIi19rocblas_complex_numIdELi16ELi32ELi8ELi1ELi0ELb1ELc84ELc85EKPKS1_KPS1_EviT_PT9_S7_lS9_S7_lPT10_S7_li
    .private_segment_fixed_size: 0
    .sgpr_count:     21
    .sgpr_spill_count: 0
    .symbol:         _ZL37rocblas_syrkx_herkx_restricted_kernelIi19rocblas_complex_numIdELi16ELi32ELi8ELi1ELi0ELb1ELc84ELc85EKPKS1_KPS1_EviT_PT9_S7_lS9_S7_lPT10_S7_li.kd
    .uniform_work_group_size: 1
    .uses_dynamic_stack: false
    .vgpr_count:     52
    .vgpr_spill_count: 0
    .wavefront_size: 64
  - .args:
      - .offset:         0
        .size:           4
        .value_kind:     by_value
      - .offset:         4
        .size:           4
        .value_kind:     by_value
      - .address_space:  global
        .offset:         8
        .size:           8
        .value_kind:     global_buffer
      - .offset:         16
        .size:           4
        .value_kind:     by_value
      - .offset:         24
        .size:           8
        .value_kind:     by_value
      - .address_space:  global
        .offset:         32
        .size:           8
        .value_kind:     global_buffer
      - .offset:         40
        .size:           4
        .value_kind:     by_value
      - .offset:         48
        .size:           8
        .value_kind:     by_value
      - .address_space:  global
        .offset:         56
        .size:           8
        .value_kind:     global_buffer
      - .offset:         64
        .size:           4
        .value_kind:     by_value
      - .offset:         72
        .size:           8
        .value_kind:     by_value
      - .offset:         80
        .size:           4
        .value_kind:     by_value
    .group_segment_fixed_size: 8192
    .kernarg_segment_align: 8
    .kernarg_segment_size: 84
    .language:       OpenCL C
    .language_version:
      - 2
      - 0
    .max_flat_workgroup_size: 256
    .name:           _ZL37rocblas_syrkx_herkx_restricted_kernelIi19rocblas_complex_numIdELi16ELi32ELi8ELi1ELi0ELb1ELc67ELc85EKPKS1_KPS1_EviT_PT9_S7_lS9_S7_lPT10_S7_li
    .private_segment_fixed_size: 0
    .sgpr_count:     21
    .sgpr_spill_count: 0
    .symbol:         _ZL37rocblas_syrkx_herkx_restricted_kernelIi19rocblas_complex_numIdELi16ELi32ELi8ELi1ELi0ELb1ELc67ELc85EKPKS1_KPS1_EviT_PT9_S7_lS9_S7_lPT10_S7_li.kd
    .uniform_work_group_size: 1
    .uses_dynamic_stack: false
    .vgpr_count:     52
    .vgpr_spill_count: 0
    .wavefront_size: 64
  - .args:
      - .offset:         0
        .size:           4
        .value_kind:     by_value
      - .offset:         4
        .size:           4
        .value_kind:     by_value
      - .address_space:  global
        .offset:         8
        .size:           8
        .value_kind:     global_buffer
      - .offset:         16
        .size:           4
        .value_kind:     by_value
      - .offset:         24
        .size:           8
        .value_kind:     by_value
      - .address_space:  global
        .offset:         32
        .size:           8
        .value_kind:     global_buffer
      - .offset:         40
        .size:           4
        .value_kind:     by_value
      - .offset:         48
        .size:           8
        .value_kind:     by_value
      - .address_space:  global
        .offset:         56
        .size:           8
        .value_kind:     global_buffer
      - .offset:         64
        .size:           4
        .value_kind:     by_value
      - .offset:         72
        .size:           8
        .value_kind:     by_value
      - .offset:         80
        .size:           4
        .value_kind:     by_value
    .group_segment_fixed_size: 8192
    .kernarg_segment_align: 8
    .kernarg_segment_size: 84
    .language:       OpenCL C
    .language_version:
      - 2
      - 0
    .max_flat_workgroup_size: 256
    .name:           _ZL37rocblas_syrkx_herkx_restricted_kernelIi19rocblas_complex_numIdELi16ELi32ELi8ELi1ELi0ELb1ELc78ELc85EKPKS1_KPS1_EviT_PT9_S7_lS9_S7_lPT10_S7_li
    .private_segment_fixed_size: 0
    .sgpr_count:     24
    .sgpr_spill_count: 0
    .symbol:         _ZL37rocblas_syrkx_herkx_restricted_kernelIi19rocblas_complex_numIdELi16ELi32ELi8ELi1ELi0ELb1ELc78ELc85EKPKS1_KPS1_EviT_PT9_S7_lS9_S7_lPT10_S7_li.kd
    .uniform_work_group_size: 1
    .uses_dynamic_stack: false
    .vgpr_count:     54
    .vgpr_spill_count: 0
    .wavefront_size: 64
  - .args:
      - .offset:         0
        .size:           4
        .value_kind:     by_value
      - .offset:         4
        .size:           4
        .value_kind:     by_value
      - .address_space:  global
        .offset:         8
        .size:           8
        .value_kind:     global_buffer
      - .offset:         16
        .size:           4
        .value_kind:     by_value
      - .offset:         24
        .size:           8
        .value_kind:     by_value
      - .address_space:  global
        .offset:         32
        .size:           8
        .value_kind:     global_buffer
      - .offset:         40
        .size:           4
        .value_kind:     by_value
      - .offset:         48
        .size:           8
        .value_kind:     by_value
      - .address_space:  global
        .offset:         56
        .size:           8
        .value_kind:     global_buffer
      - .offset:         64
        .size:           4
        .value_kind:     by_value
      - .offset:         72
        .size:           8
        .value_kind:     by_value
      - .offset:         80
        .size:           4
        .value_kind:     by_value
    .group_segment_fixed_size: 8192
    .kernarg_segment_align: 8
    .kernarg_segment_size: 84
    .language:       OpenCL C
    .language_version:
      - 2
      - 0
    .max_flat_workgroup_size: 256
    .name:           _ZL37rocblas_syrkx_herkx_restricted_kernelIi19rocblas_complex_numIdELi16ELi32ELi8ELin1ELi0ELb1ELc84ELc76EKPKS1_KPS1_EviT_PT9_S7_lS9_S7_lPT10_S7_li
    .private_segment_fixed_size: 0
    .sgpr_count:     21
    .sgpr_spill_count: 0
    .symbol:         _ZL37rocblas_syrkx_herkx_restricted_kernelIi19rocblas_complex_numIdELi16ELi32ELi8ELin1ELi0ELb1ELc84ELc76EKPKS1_KPS1_EviT_PT9_S7_lS9_S7_lPT10_S7_li.kd
    .uniform_work_group_size: 1
    .uses_dynamic_stack: false
    .vgpr_count:     52
    .vgpr_spill_count: 0
    .wavefront_size: 64
  - .args:
      - .offset:         0
        .size:           4
        .value_kind:     by_value
      - .offset:         4
        .size:           4
        .value_kind:     by_value
      - .address_space:  global
        .offset:         8
        .size:           8
        .value_kind:     global_buffer
      - .offset:         16
        .size:           4
        .value_kind:     by_value
      - .offset:         24
        .size:           8
        .value_kind:     by_value
      - .address_space:  global
        .offset:         32
        .size:           8
        .value_kind:     global_buffer
      - .offset:         40
        .size:           4
        .value_kind:     by_value
      - .offset:         48
        .size:           8
        .value_kind:     by_value
      - .address_space:  global
        .offset:         56
        .size:           8
        .value_kind:     global_buffer
      - .offset:         64
        .size:           4
        .value_kind:     by_value
      - .offset:         72
        .size:           8
        .value_kind:     by_value
      - .offset:         80
        .size:           4
        .value_kind:     by_value
    .group_segment_fixed_size: 8192
    .kernarg_segment_align: 8
    .kernarg_segment_size: 84
    .language:       OpenCL C
    .language_version:
      - 2
      - 0
    .max_flat_workgroup_size: 256
    .name:           _ZL37rocblas_syrkx_herkx_restricted_kernelIi19rocblas_complex_numIdELi16ELi32ELi8ELin1ELi0ELb1ELc67ELc76EKPKS1_KPS1_EviT_PT9_S7_lS9_S7_lPT10_S7_li
    .private_segment_fixed_size: 0
    .sgpr_count:     21
    .sgpr_spill_count: 0
    .symbol:         _ZL37rocblas_syrkx_herkx_restricted_kernelIi19rocblas_complex_numIdELi16ELi32ELi8ELin1ELi0ELb1ELc67ELc76EKPKS1_KPS1_EviT_PT9_S7_lS9_S7_lPT10_S7_li.kd
    .uniform_work_group_size: 1
    .uses_dynamic_stack: false
    .vgpr_count:     52
    .vgpr_spill_count: 0
    .wavefront_size: 64
  - .args:
      - .offset:         0
        .size:           4
        .value_kind:     by_value
      - .offset:         4
        .size:           4
        .value_kind:     by_value
      - .address_space:  global
        .offset:         8
        .size:           8
        .value_kind:     global_buffer
      - .offset:         16
        .size:           4
        .value_kind:     by_value
      - .offset:         24
        .size:           8
        .value_kind:     by_value
      - .address_space:  global
        .offset:         32
        .size:           8
        .value_kind:     global_buffer
      - .offset:         40
        .size:           4
        .value_kind:     by_value
      - .offset:         48
        .size:           8
        .value_kind:     by_value
      - .address_space:  global
        .offset:         56
        .size:           8
        .value_kind:     global_buffer
      - .offset:         64
        .size:           4
        .value_kind:     by_value
      - .offset:         72
        .size:           8
        .value_kind:     by_value
      - .offset:         80
        .size:           4
        .value_kind:     by_value
    .group_segment_fixed_size: 8192
    .kernarg_segment_align: 8
    .kernarg_segment_size: 84
    .language:       OpenCL C
    .language_version:
      - 2
      - 0
    .max_flat_workgroup_size: 256
    .name:           _ZL37rocblas_syrkx_herkx_restricted_kernelIi19rocblas_complex_numIdELi16ELi32ELi8ELin1ELi0ELb1ELc78ELc76EKPKS1_KPS1_EviT_PT9_S7_lS9_S7_lPT10_S7_li
    .private_segment_fixed_size: 0
    .sgpr_count:     24
    .sgpr_spill_count: 0
    .symbol:         _ZL37rocblas_syrkx_herkx_restricted_kernelIi19rocblas_complex_numIdELi16ELi32ELi8ELin1ELi0ELb1ELc78ELc76EKPKS1_KPS1_EviT_PT9_S7_lS9_S7_lPT10_S7_li.kd
    .uniform_work_group_size: 1
    .uses_dynamic_stack: false
    .vgpr_count:     54
    .vgpr_spill_count: 0
    .wavefront_size: 64
  - .args:
      - .offset:         0
        .size:           4
        .value_kind:     by_value
      - .offset:         4
        .size:           4
        .value_kind:     by_value
      - .address_space:  global
        .offset:         8
        .size:           8
        .value_kind:     global_buffer
      - .offset:         16
        .size:           4
        .value_kind:     by_value
      - .offset:         24
        .size:           8
        .value_kind:     by_value
      - .address_space:  global
        .offset:         32
        .size:           8
        .value_kind:     global_buffer
      - .offset:         40
        .size:           4
        .value_kind:     by_value
      - .offset:         48
        .size:           8
        .value_kind:     by_value
      - .address_space:  global
        .offset:         56
        .size:           8
        .value_kind:     global_buffer
      - .offset:         64
        .size:           4
        .value_kind:     by_value
      - .offset:         72
        .size:           8
        .value_kind:     by_value
      - .offset:         80
        .size:           4
        .value_kind:     by_value
    .group_segment_fixed_size: 8192
    .kernarg_segment_align: 8
    .kernarg_segment_size: 84
    .language:       OpenCL C
    .language_version:
      - 2
      - 0
    .max_flat_workgroup_size: 256
    .name:           _ZL37rocblas_syrkx_herkx_restricted_kernelIi19rocblas_complex_numIdELi16ELi32ELi8ELin1ELi0ELb1ELc84ELc85EKPKS1_KPS1_EviT_PT9_S7_lS9_S7_lPT10_S7_li
    .private_segment_fixed_size: 0
    .sgpr_count:     21
    .sgpr_spill_count: 0
    .symbol:         _ZL37rocblas_syrkx_herkx_restricted_kernelIi19rocblas_complex_numIdELi16ELi32ELi8ELin1ELi0ELb1ELc84ELc85EKPKS1_KPS1_EviT_PT9_S7_lS9_S7_lPT10_S7_li.kd
    .uniform_work_group_size: 1
    .uses_dynamic_stack: false
    .vgpr_count:     52
    .vgpr_spill_count: 0
    .wavefront_size: 64
  - .args:
      - .offset:         0
        .size:           4
        .value_kind:     by_value
      - .offset:         4
        .size:           4
        .value_kind:     by_value
      - .address_space:  global
        .offset:         8
        .size:           8
        .value_kind:     global_buffer
      - .offset:         16
        .size:           4
        .value_kind:     by_value
      - .offset:         24
        .size:           8
        .value_kind:     by_value
      - .address_space:  global
        .offset:         32
        .size:           8
        .value_kind:     global_buffer
      - .offset:         40
        .size:           4
        .value_kind:     by_value
      - .offset:         48
        .size:           8
        .value_kind:     by_value
      - .address_space:  global
        .offset:         56
        .size:           8
        .value_kind:     global_buffer
      - .offset:         64
        .size:           4
        .value_kind:     by_value
      - .offset:         72
        .size:           8
        .value_kind:     by_value
      - .offset:         80
        .size:           4
        .value_kind:     by_value
    .group_segment_fixed_size: 8192
    .kernarg_segment_align: 8
    .kernarg_segment_size: 84
    .language:       OpenCL C
    .language_version:
      - 2
      - 0
    .max_flat_workgroup_size: 256
    .name:           _ZL37rocblas_syrkx_herkx_restricted_kernelIi19rocblas_complex_numIdELi16ELi32ELi8ELin1ELi0ELb1ELc67ELc85EKPKS1_KPS1_EviT_PT9_S7_lS9_S7_lPT10_S7_li
    .private_segment_fixed_size: 0
    .sgpr_count:     21
    .sgpr_spill_count: 0
    .symbol:         _ZL37rocblas_syrkx_herkx_restricted_kernelIi19rocblas_complex_numIdELi16ELi32ELi8ELin1ELi0ELb1ELc67ELc85EKPKS1_KPS1_EviT_PT9_S7_lS9_S7_lPT10_S7_li.kd
    .uniform_work_group_size: 1
    .uses_dynamic_stack: false
    .vgpr_count:     52
    .vgpr_spill_count: 0
    .wavefront_size: 64
  - .args:
      - .offset:         0
        .size:           4
        .value_kind:     by_value
      - .offset:         4
        .size:           4
        .value_kind:     by_value
      - .address_space:  global
        .offset:         8
        .size:           8
        .value_kind:     global_buffer
      - .offset:         16
        .size:           4
        .value_kind:     by_value
      - .offset:         24
        .size:           8
        .value_kind:     by_value
      - .address_space:  global
        .offset:         32
        .size:           8
        .value_kind:     global_buffer
      - .offset:         40
        .size:           4
        .value_kind:     by_value
      - .offset:         48
        .size:           8
        .value_kind:     by_value
      - .address_space:  global
        .offset:         56
        .size:           8
        .value_kind:     global_buffer
      - .offset:         64
        .size:           4
        .value_kind:     by_value
      - .offset:         72
        .size:           8
        .value_kind:     by_value
      - .offset:         80
        .size:           4
        .value_kind:     by_value
    .group_segment_fixed_size: 8192
    .kernarg_segment_align: 8
    .kernarg_segment_size: 84
    .language:       OpenCL C
    .language_version:
      - 2
      - 0
    .max_flat_workgroup_size: 256
    .name:           _ZL37rocblas_syrkx_herkx_restricted_kernelIi19rocblas_complex_numIdELi16ELi32ELi8ELin1ELi0ELb1ELc78ELc85EKPKS1_KPS1_EviT_PT9_S7_lS9_S7_lPT10_S7_li
    .private_segment_fixed_size: 0
    .sgpr_count:     24
    .sgpr_spill_count: 0
    .symbol:         _ZL37rocblas_syrkx_herkx_restricted_kernelIi19rocblas_complex_numIdELi16ELi32ELi8ELin1ELi0ELb1ELc78ELc85EKPKS1_KPS1_EviT_PT9_S7_lS9_S7_lPT10_S7_li.kd
    .uniform_work_group_size: 1
    .uses_dynamic_stack: false
    .vgpr_count:     54
    .vgpr_spill_count: 0
    .wavefront_size: 64
  - .args:
      - .offset:         0
        .size:           4
        .value_kind:     by_value
      - .offset:         4
        .size:           4
        .value_kind:     by_value
      - .offset:         8
        .size:           16
        .value_kind:     by_value
      - .address_space:  global
        .offset:         24
        .size:           8
        .value_kind:     global_buffer
      - .offset:         32
        .size:           4
        .value_kind:     by_value
      - .offset:         40
        .size:           8
        .value_kind:     by_value
      - .address_space:  global
        .offset:         48
        .size:           8
        .value_kind:     global_buffer
      - .offset:         56
        .size:           4
        .value_kind:     by_value
      - .offset:         64
        .size:           8
        .value_kind:     by_value
      - .offset:         72
        .size:           16
        .value_kind:     by_value
      - .address_space:  global
        .offset:         88
        .size:           8
        .value_kind:     global_buffer
      - .offset:         96
        .size:           4
        .value_kind:     by_value
      - .offset:         104
        .size:           8
        .value_kind:     by_value
      - .offset:         112
        .size:           4
        .value_kind:     by_value
    .group_segment_fixed_size: 8192
    .kernarg_segment_align: 8
    .kernarg_segment_size: 116
    .language:       OpenCL C
    .language_version:
      - 2
      - 0
    .max_flat_workgroup_size: 256
    .name:           _ZL37rocblas_syrkx_herkx_restricted_kernelIi19rocblas_complex_numIdELi16ELi32ELi8ELb1ELb1ELc84ELc76EKPKS1_KPS1_EviT_T0_PT8_S7_lSA_S7_lS8_PT9_S7_li
    .private_segment_fixed_size: 0
    .sgpr_count:     25
    .sgpr_spill_count: 0
    .symbol:         _ZL37rocblas_syrkx_herkx_restricted_kernelIi19rocblas_complex_numIdELi16ELi32ELi8ELb1ELb1ELc84ELc76EKPKS1_KPS1_EviT_T0_PT8_S7_lSA_S7_lS8_PT9_S7_li.kd
    .uniform_work_group_size: 1
    .uses_dynamic_stack: false
    .vgpr_count:     52
    .vgpr_spill_count: 0
    .wavefront_size: 64
  - .args:
      - .offset:         0
        .size:           4
        .value_kind:     by_value
      - .offset:         4
        .size:           4
        .value_kind:     by_value
      - .offset:         8
        .size:           16
        .value_kind:     by_value
      - .address_space:  global
        .offset:         24
        .size:           8
        .value_kind:     global_buffer
      - .offset:         32
        .size:           4
        .value_kind:     by_value
      - .offset:         40
        .size:           8
        .value_kind:     by_value
      - .address_space:  global
        .offset:         48
        .size:           8
        .value_kind:     global_buffer
      - .offset:         56
        .size:           4
        .value_kind:     by_value
      - .offset:         64
        .size:           8
        .value_kind:     by_value
      - .offset:         72
        .size:           16
        .value_kind:     by_value
      - .address_space:  global
        .offset:         88
        .size:           8
        .value_kind:     global_buffer
      - .offset:         96
        .size:           4
        .value_kind:     by_value
      - .offset:         104
        .size:           8
        .value_kind:     by_value
      - .offset:         112
        .size:           4
        .value_kind:     by_value
    .group_segment_fixed_size: 8192
    .kernarg_segment_align: 8
    .kernarg_segment_size: 116
    .language:       OpenCL C
    .language_version:
      - 2
      - 0
    .max_flat_workgroup_size: 256
    .name:           _ZL37rocblas_syrkx_herkx_restricted_kernelIi19rocblas_complex_numIdELi16ELi32ELi8ELb1ELb1ELc67ELc76EKPKS1_KPS1_EviT_T0_PT8_S7_lSA_S7_lS8_PT9_S7_li
    .private_segment_fixed_size: 0
    .sgpr_count:     25
    .sgpr_spill_count: 0
    .symbol:         _ZL37rocblas_syrkx_herkx_restricted_kernelIi19rocblas_complex_numIdELi16ELi32ELi8ELb1ELb1ELc67ELc76EKPKS1_KPS1_EviT_T0_PT8_S7_lSA_S7_lS8_PT9_S7_li.kd
    .uniform_work_group_size: 1
    .uses_dynamic_stack: false
    .vgpr_count:     52
    .vgpr_spill_count: 0
    .wavefront_size: 64
  - .args:
      - .offset:         0
        .size:           4
        .value_kind:     by_value
      - .offset:         4
        .size:           4
        .value_kind:     by_value
      - .offset:         8
        .size:           16
        .value_kind:     by_value
      - .address_space:  global
        .offset:         24
        .size:           8
        .value_kind:     global_buffer
      - .offset:         32
        .size:           4
        .value_kind:     by_value
      - .offset:         40
        .size:           8
        .value_kind:     by_value
      - .address_space:  global
        .offset:         48
        .size:           8
        .value_kind:     global_buffer
      - .offset:         56
        .size:           4
        .value_kind:     by_value
      - .offset:         64
        .size:           8
        .value_kind:     by_value
      - .offset:         72
        .size:           16
        .value_kind:     by_value
      - .address_space:  global
        .offset:         88
        .size:           8
        .value_kind:     global_buffer
      - .offset:         96
        .size:           4
        .value_kind:     by_value
      - .offset:         104
        .size:           8
        .value_kind:     by_value
      - .offset:         112
        .size:           4
        .value_kind:     by_value
    .group_segment_fixed_size: 8192
    .kernarg_segment_align: 8
    .kernarg_segment_size: 116
    .language:       OpenCL C
    .language_version:
      - 2
      - 0
    .max_flat_workgroup_size: 256
    .name:           _ZL37rocblas_syrkx_herkx_restricted_kernelIi19rocblas_complex_numIdELi16ELi32ELi8ELb1ELb1ELc78ELc76EKPKS1_KPS1_EviT_T0_PT8_S7_lSA_S7_lS8_PT9_S7_li
    .private_segment_fixed_size: 0
    .sgpr_count:     28
    .sgpr_spill_count: 0
    .symbol:         _ZL37rocblas_syrkx_herkx_restricted_kernelIi19rocblas_complex_numIdELi16ELi32ELi8ELb1ELb1ELc78ELc76EKPKS1_KPS1_EviT_T0_PT8_S7_lSA_S7_lS8_PT9_S7_li.kd
    .uniform_work_group_size: 1
    .uses_dynamic_stack: false
    .vgpr_count:     54
    .vgpr_spill_count: 0
    .wavefront_size: 64
  - .args:
      - .offset:         0
        .size:           4
        .value_kind:     by_value
      - .offset:         4
        .size:           4
        .value_kind:     by_value
      - .offset:         8
        .size:           16
        .value_kind:     by_value
      - .address_space:  global
        .offset:         24
        .size:           8
        .value_kind:     global_buffer
      - .offset:         32
        .size:           4
        .value_kind:     by_value
      - .offset:         40
        .size:           8
        .value_kind:     by_value
      - .address_space:  global
        .offset:         48
        .size:           8
        .value_kind:     global_buffer
      - .offset:         56
        .size:           4
        .value_kind:     by_value
      - .offset:         64
        .size:           8
        .value_kind:     by_value
      - .offset:         72
        .size:           16
        .value_kind:     by_value
      - .address_space:  global
        .offset:         88
        .size:           8
        .value_kind:     global_buffer
      - .offset:         96
        .size:           4
        .value_kind:     by_value
      - .offset:         104
        .size:           8
        .value_kind:     by_value
      - .offset:         112
        .size:           4
        .value_kind:     by_value
    .group_segment_fixed_size: 8192
    .kernarg_segment_align: 8
    .kernarg_segment_size: 116
    .language:       OpenCL C
    .language_version:
      - 2
      - 0
    .max_flat_workgroup_size: 256
    .name:           _ZL37rocblas_syrkx_herkx_restricted_kernelIi19rocblas_complex_numIdELi16ELi32ELi8ELb1ELb1ELc84ELc85EKPKS1_KPS1_EviT_T0_PT8_S7_lSA_S7_lS8_PT9_S7_li
    .private_segment_fixed_size: 0
    .sgpr_count:     25
    .sgpr_spill_count: 0
    .symbol:         _ZL37rocblas_syrkx_herkx_restricted_kernelIi19rocblas_complex_numIdELi16ELi32ELi8ELb1ELb1ELc84ELc85EKPKS1_KPS1_EviT_T0_PT8_S7_lSA_S7_lS8_PT9_S7_li.kd
    .uniform_work_group_size: 1
    .uses_dynamic_stack: false
    .vgpr_count:     52
    .vgpr_spill_count: 0
    .wavefront_size: 64
  - .args:
      - .offset:         0
        .size:           4
        .value_kind:     by_value
      - .offset:         4
        .size:           4
        .value_kind:     by_value
      - .offset:         8
        .size:           16
        .value_kind:     by_value
      - .address_space:  global
        .offset:         24
        .size:           8
        .value_kind:     global_buffer
      - .offset:         32
        .size:           4
        .value_kind:     by_value
      - .offset:         40
        .size:           8
        .value_kind:     by_value
      - .address_space:  global
        .offset:         48
        .size:           8
        .value_kind:     global_buffer
      - .offset:         56
        .size:           4
        .value_kind:     by_value
      - .offset:         64
        .size:           8
        .value_kind:     by_value
      - .offset:         72
        .size:           16
        .value_kind:     by_value
      - .address_space:  global
        .offset:         88
        .size:           8
        .value_kind:     global_buffer
      - .offset:         96
        .size:           4
        .value_kind:     by_value
      - .offset:         104
        .size:           8
        .value_kind:     by_value
      - .offset:         112
        .size:           4
        .value_kind:     by_value
    .group_segment_fixed_size: 8192
    .kernarg_segment_align: 8
    .kernarg_segment_size: 116
    .language:       OpenCL C
    .language_version:
      - 2
      - 0
    .max_flat_workgroup_size: 256
    .name:           _ZL37rocblas_syrkx_herkx_restricted_kernelIi19rocblas_complex_numIdELi16ELi32ELi8ELb1ELb1ELc67ELc85EKPKS1_KPS1_EviT_T0_PT8_S7_lSA_S7_lS8_PT9_S7_li
    .private_segment_fixed_size: 0
    .sgpr_count:     25
    .sgpr_spill_count: 0
    .symbol:         _ZL37rocblas_syrkx_herkx_restricted_kernelIi19rocblas_complex_numIdELi16ELi32ELi8ELb1ELb1ELc67ELc85EKPKS1_KPS1_EviT_T0_PT8_S7_lSA_S7_lS8_PT9_S7_li.kd
    .uniform_work_group_size: 1
    .uses_dynamic_stack: false
    .vgpr_count:     52
    .vgpr_spill_count: 0
    .wavefront_size: 64
  - .args:
      - .offset:         0
        .size:           4
        .value_kind:     by_value
      - .offset:         4
        .size:           4
        .value_kind:     by_value
      - .offset:         8
        .size:           16
        .value_kind:     by_value
      - .address_space:  global
        .offset:         24
        .size:           8
        .value_kind:     global_buffer
      - .offset:         32
        .size:           4
        .value_kind:     by_value
      - .offset:         40
        .size:           8
        .value_kind:     by_value
      - .address_space:  global
        .offset:         48
        .size:           8
        .value_kind:     global_buffer
      - .offset:         56
        .size:           4
        .value_kind:     by_value
      - .offset:         64
        .size:           8
        .value_kind:     by_value
      - .offset:         72
        .size:           16
        .value_kind:     by_value
      - .address_space:  global
        .offset:         88
        .size:           8
        .value_kind:     global_buffer
      - .offset:         96
        .size:           4
        .value_kind:     by_value
      - .offset:         104
        .size:           8
        .value_kind:     by_value
      - .offset:         112
        .size:           4
        .value_kind:     by_value
    .group_segment_fixed_size: 8192
    .kernarg_segment_align: 8
    .kernarg_segment_size: 116
    .language:       OpenCL C
    .language_version:
      - 2
      - 0
    .max_flat_workgroup_size: 256
    .name:           _ZL37rocblas_syrkx_herkx_restricted_kernelIi19rocblas_complex_numIdELi16ELi32ELi8ELb1ELb1ELc78ELc85EKPKS1_KPS1_EviT_T0_PT8_S7_lSA_S7_lS8_PT9_S7_li
    .private_segment_fixed_size: 0
    .sgpr_count:     28
    .sgpr_spill_count: 0
    .symbol:         _ZL37rocblas_syrkx_herkx_restricted_kernelIi19rocblas_complex_numIdELi16ELi32ELi8ELb1ELb1ELc78ELc85EKPKS1_KPS1_EviT_T0_PT8_S7_lSA_S7_lS8_PT9_S7_li.kd
    .uniform_work_group_size: 1
    .uses_dynamic_stack: false
    .vgpr_count:     54
    .vgpr_spill_count: 0
    .wavefront_size: 64
  - .args:
      - .offset:         0
        .size:           4
        .value_kind:     by_value
      - .offset:         4
        .size:           4
        .value_kind:     by_value
      - .offset:         8
        .size:           16
        .value_kind:     by_value
      - .address_space:  global
        .offset:         24
        .size:           8
        .value_kind:     global_buffer
      - .offset:         32
        .size:           4
        .value_kind:     by_value
      - .offset:         40
        .size:           8
        .value_kind:     by_value
      - .address_space:  global
        .offset:         48
        .size:           8
        .value_kind:     global_buffer
      - .offset:         56
        .size:           4
        .value_kind:     by_value
      - .offset:         64
        .size:           8
        .value_kind:     by_value
      - .offset:         72
        .size:           16
        .value_kind:     by_value
      - .address_space:  global
        .offset:         88
        .size:           8
        .value_kind:     global_buffer
      - .offset:         96
        .size:           4
        .value_kind:     by_value
      - .offset:         104
        .size:           8
        .value_kind:     by_value
      - .offset:         112
        .size:           4
        .value_kind:     by_value
    .group_segment_fixed_size: 8192
    .kernarg_segment_align: 8
    .kernarg_segment_size: 116
    .language:       OpenCL C
    .language_version:
      - 2
      - 0
    .max_flat_workgroup_size: 256
    .name:           _ZL37rocblas_syrkx_herkx_restricted_kernelIi19rocblas_complex_numIdELi16ELi32ELi8ELb0ELb1ELc84ELc76EKPKS1_KPS1_EviT_T0_PT8_S7_lSA_S7_lS8_PT9_S7_li
    .private_segment_fixed_size: 0
    .sgpr_count:     29
    .sgpr_spill_count: 0
    .symbol:         _ZL37rocblas_syrkx_herkx_restricted_kernelIi19rocblas_complex_numIdELi16ELi32ELi8ELb0ELb1ELc84ELc76EKPKS1_KPS1_EviT_T0_PT8_S7_lSA_S7_lS8_PT9_S7_li.kd
    .uniform_work_group_size: 1
    .uses_dynamic_stack: false
    .vgpr_count:     54
    .vgpr_spill_count: 0
    .wavefront_size: 64
  - .args:
      - .offset:         0
        .size:           4
        .value_kind:     by_value
      - .offset:         4
        .size:           4
        .value_kind:     by_value
      - .offset:         8
        .size:           16
        .value_kind:     by_value
      - .address_space:  global
        .offset:         24
        .size:           8
        .value_kind:     global_buffer
      - .offset:         32
        .size:           4
        .value_kind:     by_value
      - .offset:         40
        .size:           8
        .value_kind:     by_value
      - .address_space:  global
        .offset:         48
        .size:           8
        .value_kind:     global_buffer
      - .offset:         56
        .size:           4
        .value_kind:     by_value
      - .offset:         64
        .size:           8
        .value_kind:     by_value
      - .offset:         72
        .size:           16
        .value_kind:     by_value
      - .address_space:  global
        .offset:         88
        .size:           8
        .value_kind:     global_buffer
      - .offset:         96
        .size:           4
        .value_kind:     by_value
      - .offset:         104
        .size:           8
        .value_kind:     by_value
      - .offset:         112
        .size:           4
        .value_kind:     by_value
    .group_segment_fixed_size: 8192
    .kernarg_segment_align: 8
    .kernarg_segment_size: 116
    .language:       OpenCL C
    .language_version:
      - 2
      - 0
    .max_flat_workgroup_size: 256
    .name:           _ZL37rocblas_syrkx_herkx_restricted_kernelIi19rocblas_complex_numIdELi16ELi32ELi8ELb0ELb1ELc67ELc76EKPKS1_KPS1_EviT_T0_PT8_S7_lSA_S7_lS8_PT9_S7_li
    .private_segment_fixed_size: 0
    .sgpr_count:     29
    .sgpr_spill_count: 0
    .symbol:         _ZL37rocblas_syrkx_herkx_restricted_kernelIi19rocblas_complex_numIdELi16ELi32ELi8ELb0ELb1ELc67ELc76EKPKS1_KPS1_EviT_T0_PT8_S7_lSA_S7_lS8_PT9_S7_li.kd
    .uniform_work_group_size: 1
    .uses_dynamic_stack: false
    .vgpr_count:     54
    .vgpr_spill_count: 0
    .wavefront_size: 64
  - .args:
      - .offset:         0
        .size:           4
        .value_kind:     by_value
      - .offset:         4
        .size:           4
        .value_kind:     by_value
      - .offset:         8
        .size:           16
        .value_kind:     by_value
      - .address_space:  global
        .offset:         24
        .size:           8
        .value_kind:     global_buffer
      - .offset:         32
        .size:           4
        .value_kind:     by_value
      - .offset:         40
        .size:           8
        .value_kind:     by_value
      - .address_space:  global
        .offset:         48
        .size:           8
        .value_kind:     global_buffer
      - .offset:         56
        .size:           4
        .value_kind:     by_value
      - .offset:         64
        .size:           8
        .value_kind:     by_value
      - .offset:         72
        .size:           16
        .value_kind:     by_value
      - .address_space:  global
        .offset:         88
        .size:           8
        .value_kind:     global_buffer
      - .offset:         96
        .size:           4
        .value_kind:     by_value
      - .offset:         104
        .size:           8
        .value_kind:     by_value
      - .offset:         112
        .size:           4
        .value_kind:     by_value
    .group_segment_fixed_size: 8192
    .kernarg_segment_align: 8
    .kernarg_segment_size: 116
    .language:       OpenCL C
    .language_version:
      - 2
      - 0
    .max_flat_workgroup_size: 256
    .name:           _ZL37rocblas_syrkx_herkx_restricted_kernelIi19rocblas_complex_numIdELi16ELi32ELi8ELb0ELb1ELc78ELc76EKPKS1_KPS1_EviT_T0_PT8_S7_lSA_S7_lS8_PT9_S7_li
    .private_segment_fixed_size: 0
    .sgpr_count:     32
    .sgpr_spill_count: 0
    .symbol:         _ZL37rocblas_syrkx_herkx_restricted_kernelIi19rocblas_complex_numIdELi16ELi32ELi8ELb0ELb1ELc78ELc76EKPKS1_KPS1_EviT_T0_PT8_S7_lSA_S7_lS8_PT9_S7_li.kd
    .uniform_work_group_size: 1
    .uses_dynamic_stack: false
    .vgpr_count:     54
    .vgpr_spill_count: 0
    .wavefront_size: 64
  - .args:
      - .offset:         0
        .size:           4
        .value_kind:     by_value
      - .offset:         4
        .size:           4
        .value_kind:     by_value
      - .offset:         8
        .size:           16
        .value_kind:     by_value
      - .address_space:  global
        .offset:         24
        .size:           8
        .value_kind:     global_buffer
      - .offset:         32
        .size:           4
        .value_kind:     by_value
      - .offset:         40
        .size:           8
        .value_kind:     by_value
      - .address_space:  global
        .offset:         48
        .size:           8
        .value_kind:     global_buffer
      - .offset:         56
        .size:           4
        .value_kind:     by_value
      - .offset:         64
        .size:           8
        .value_kind:     by_value
      - .offset:         72
        .size:           16
        .value_kind:     by_value
      - .address_space:  global
        .offset:         88
        .size:           8
        .value_kind:     global_buffer
      - .offset:         96
        .size:           4
        .value_kind:     by_value
      - .offset:         104
        .size:           8
        .value_kind:     by_value
      - .offset:         112
        .size:           4
        .value_kind:     by_value
    .group_segment_fixed_size: 8192
    .kernarg_segment_align: 8
    .kernarg_segment_size: 116
    .language:       OpenCL C
    .language_version:
      - 2
      - 0
    .max_flat_workgroup_size: 256
    .name:           _ZL37rocblas_syrkx_herkx_restricted_kernelIi19rocblas_complex_numIdELi16ELi32ELi8ELb0ELb1ELc84ELc85EKPKS1_KPS1_EviT_T0_PT8_S7_lSA_S7_lS8_PT9_S7_li
    .private_segment_fixed_size: 0
    .sgpr_count:     29
    .sgpr_spill_count: 0
    .symbol:         _ZL37rocblas_syrkx_herkx_restricted_kernelIi19rocblas_complex_numIdELi16ELi32ELi8ELb0ELb1ELc84ELc85EKPKS1_KPS1_EviT_T0_PT8_S7_lSA_S7_lS8_PT9_S7_li.kd
    .uniform_work_group_size: 1
    .uses_dynamic_stack: false
    .vgpr_count:     54
    .vgpr_spill_count: 0
    .wavefront_size: 64
  - .args:
      - .offset:         0
        .size:           4
        .value_kind:     by_value
      - .offset:         4
        .size:           4
        .value_kind:     by_value
      - .offset:         8
        .size:           16
        .value_kind:     by_value
      - .address_space:  global
        .offset:         24
        .size:           8
        .value_kind:     global_buffer
      - .offset:         32
        .size:           4
        .value_kind:     by_value
      - .offset:         40
        .size:           8
        .value_kind:     by_value
      - .address_space:  global
        .offset:         48
        .size:           8
        .value_kind:     global_buffer
      - .offset:         56
        .size:           4
        .value_kind:     by_value
      - .offset:         64
        .size:           8
        .value_kind:     by_value
      - .offset:         72
        .size:           16
        .value_kind:     by_value
      - .address_space:  global
        .offset:         88
        .size:           8
        .value_kind:     global_buffer
      - .offset:         96
        .size:           4
        .value_kind:     by_value
      - .offset:         104
        .size:           8
        .value_kind:     by_value
      - .offset:         112
        .size:           4
        .value_kind:     by_value
    .group_segment_fixed_size: 8192
    .kernarg_segment_align: 8
    .kernarg_segment_size: 116
    .language:       OpenCL C
    .language_version:
      - 2
      - 0
    .max_flat_workgroup_size: 256
    .name:           _ZL37rocblas_syrkx_herkx_restricted_kernelIi19rocblas_complex_numIdELi16ELi32ELi8ELb0ELb1ELc67ELc85EKPKS1_KPS1_EviT_T0_PT8_S7_lSA_S7_lS8_PT9_S7_li
    .private_segment_fixed_size: 0
    .sgpr_count:     29
    .sgpr_spill_count: 0
    .symbol:         _ZL37rocblas_syrkx_herkx_restricted_kernelIi19rocblas_complex_numIdELi16ELi32ELi8ELb0ELb1ELc67ELc85EKPKS1_KPS1_EviT_T0_PT8_S7_lSA_S7_lS8_PT9_S7_li.kd
    .uniform_work_group_size: 1
    .uses_dynamic_stack: false
    .vgpr_count:     54
    .vgpr_spill_count: 0
    .wavefront_size: 64
  - .args:
      - .offset:         0
        .size:           4
        .value_kind:     by_value
      - .offset:         4
        .size:           4
        .value_kind:     by_value
      - .offset:         8
        .size:           16
        .value_kind:     by_value
      - .address_space:  global
        .offset:         24
        .size:           8
        .value_kind:     global_buffer
      - .offset:         32
        .size:           4
        .value_kind:     by_value
      - .offset:         40
        .size:           8
        .value_kind:     by_value
      - .address_space:  global
        .offset:         48
        .size:           8
        .value_kind:     global_buffer
      - .offset:         56
        .size:           4
        .value_kind:     by_value
      - .offset:         64
        .size:           8
        .value_kind:     by_value
      - .offset:         72
        .size:           16
        .value_kind:     by_value
      - .address_space:  global
        .offset:         88
        .size:           8
        .value_kind:     global_buffer
      - .offset:         96
        .size:           4
        .value_kind:     by_value
      - .offset:         104
        .size:           8
        .value_kind:     by_value
      - .offset:         112
        .size:           4
        .value_kind:     by_value
    .group_segment_fixed_size: 8192
    .kernarg_segment_align: 8
    .kernarg_segment_size: 116
    .language:       OpenCL C
    .language_version:
      - 2
      - 0
    .max_flat_workgroup_size: 256
    .name:           _ZL37rocblas_syrkx_herkx_restricted_kernelIi19rocblas_complex_numIdELi16ELi32ELi8ELb0ELb1ELc78ELc85EKPKS1_KPS1_EviT_T0_PT8_S7_lSA_S7_lS8_PT9_S7_li
    .private_segment_fixed_size: 0
    .sgpr_count:     32
    .sgpr_spill_count: 0
    .symbol:         _ZL37rocblas_syrkx_herkx_restricted_kernelIi19rocblas_complex_numIdELi16ELi32ELi8ELb0ELb1ELc78ELc85EKPKS1_KPS1_EviT_T0_PT8_S7_lSA_S7_lS8_PT9_S7_li.kd
    .uniform_work_group_size: 1
    .uses_dynamic_stack: false
    .vgpr_count:     54
    .vgpr_spill_count: 0
    .wavefront_size: 64
  - .args:
      - .offset:         0
        .size:           4
        .value_kind:     by_value
      - .offset:         4
        .size:           4
        .value_kind:     by_value
      - .offset:         8
        .size:           16
        .value_kind:     by_value
      - .address_space:  global
        .offset:         24
        .size:           8
        .value_kind:     global_buffer
      - .offset:         32
        .size:           4
        .value_kind:     by_value
      - .offset:         40
        .size:           8
        .value_kind:     by_value
      - .address_space:  global
        .offset:         48
        .size:           8
        .value_kind:     global_buffer
      - .offset:         56
        .size:           4
        .value_kind:     by_value
      - .offset:         64
        .size:           8
        .value_kind:     by_value
      - .offset:         72
        .size:           16
        .value_kind:     by_value
      - .address_space:  global
        .offset:         88
        .size:           8
        .value_kind:     global_buffer
      - .offset:         96
        .size:           4
        .value_kind:     by_value
      - .offset:         104
        .size:           8
        .value_kind:     by_value
      - .offset:         112
        .size:           4
        .value_kind:     by_value
    .group_segment_fixed_size: 8192
    .kernarg_segment_align: 8
    .kernarg_segment_size: 116
    .language:       OpenCL C
    .language_version:
      - 2
      - 0
    .max_flat_workgroup_size: 256
    .name:           _ZL41rocblas_syrkx_herkx_small_restrict_kernelIi19rocblas_complex_numIdELi16ELb1ELb1ELc84ELc76EKPKS1_KPS1_EviT_T0_PT6_S7_lSA_S7_lS8_PT7_S7_li
    .private_segment_fixed_size: 0
    .sgpr_count:     22
    .sgpr_spill_count: 0
    .symbol:         _ZL41rocblas_syrkx_herkx_small_restrict_kernelIi19rocblas_complex_numIdELi16ELb1ELb1ELc84ELc76EKPKS1_KPS1_EviT_T0_PT6_S7_lSA_S7_lS8_PT7_S7_li.kd
    .uniform_work_group_size: 1
    .uses_dynamic_stack: false
    .vgpr_count:     36
    .vgpr_spill_count: 0
    .wavefront_size: 64
  - .args:
      - .offset:         0
        .size:           4
        .value_kind:     by_value
      - .offset:         4
        .size:           4
        .value_kind:     by_value
      - .offset:         8
        .size:           16
        .value_kind:     by_value
      - .address_space:  global
        .offset:         24
        .size:           8
        .value_kind:     global_buffer
      - .offset:         32
        .size:           4
        .value_kind:     by_value
      - .offset:         40
        .size:           8
        .value_kind:     by_value
      - .address_space:  global
        .offset:         48
        .size:           8
        .value_kind:     global_buffer
      - .offset:         56
        .size:           4
        .value_kind:     by_value
      - .offset:         64
        .size:           8
        .value_kind:     by_value
      - .offset:         72
        .size:           16
        .value_kind:     by_value
      - .address_space:  global
        .offset:         88
        .size:           8
        .value_kind:     global_buffer
      - .offset:         96
        .size:           4
        .value_kind:     by_value
      - .offset:         104
        .size:           8
        .value_kind:     by_value
      - .offset:         112
        .size:           4
        .value_kind:     by_value
    .group_segment_fixed_size: 8192
    .kernarg_segment_align: 8
    .kernarg_segment_size: 116
    .language:       OpenCL C
    .language_version:
      - 2
      - 0
    .max_flat_workgroup_size: 256
    .name:           _ZL41rocblas_syrkx_herkx_small_restrict_kernelIi19rocblas_complex_numIdELi16ELb1ELb1ELc67ELc76EKPKS1_KPS1_EviT_T0_PT6_S7_lSA_S7_lS8_PT7_S7_li
    .private_segment_fixed_size: 0
    .sgpr_count:     22
    .sgpr_spill_count: 0
    .symbol:         _ZL41rocblas_syrkx_herkx_small_restrict_kernelIi19rocblas_complex_numIdELi16ELb1ELb1ELc67ELc76EKPKS1_KPS1_EviT_T0_PT6_S7_lSA_S7_lS8_PT7_S7_li.kd
    .uniform_work_group_size: 1
    .uses_dynamic_stack: false
    .vgpr_count:     36
    .vgpr_spill_count: 0
    .wavefront_size: 64
  - .args:
      - .offset:         0
        .size:           4
        .value_kind:     by_value
      - .offset:         4
        .size:           4
        .value_kind:     by_value
      - .offset:         8
        .size:           16
        .value_kind:     by_value
      - .address_space:  global
        .offset:         24
        .size:           8
        .value_kind:     global_buffer
      - .offset:         32
        .size:           4
        .value_kind:     by_value
      - .offset:         40
        .size:           8
        .value_kind:     by_value
      - .address_space:  global
        .offset:         48
        .size:           8
        .value_kind:     global_buffer
      - .offset:         56
        .size:           4
        .value_kind:     by_value
      - .offset:         64
        .size:           8
        .value_kind:     by_value
      - .offset:         72
        .size:           16
        .value_kind:     by_value
      - .address_space:  global
        .offset:         88
        .size:           8
        .value_kind:     global_buffer
      - .offset:         96
        .size:           4
        .value_kind:     by_value
      - .offset:         104
        .size:           8
        .value_kind:     by_value
      - .offset:         112
        .size:           4
        .value_kind:     by_value
    .group_segment_fixed_size: 8192
    .kernarg_segment_align: 8
    .kernarg_segment_size: 116
    .language:       OpenCL C
    .language_version:
      - 2
      - 0
    .max_flat_workgroup_size: 256
    .name:           _ZL41rocblas_syrkx_herkx_small_restrict_kernelIi19rocblas_complex_numIdELi16ELb1ELb1ELc78ELc76EKPKS1_KPS1_EviT_T0_PT6_S7_lSA_S7_lS8_PT7_S7_li
    .private_segment_fixed_size: 0
    .sgpr_count:     26
    .sgpr_spill_count: 0
    .symbol:         _ZL41rocblas_syrkx_herkx_small_restrict_kernelIi19rocblas_complex_numIdELi16ELb1ELb1ELc78ELc76EKPKS1_KPS1_EviT_T0_PT6_S7_lSA_S7_lS8_PT7_S7_li.kd
    .uniform_work_group_size: 1
    .uses_dynamic_stack: false
    .vgpr_count:     38
    .vgpr_spill_count: 0
    .wavefront_size: 64
  - .args:
      - .offset:         0
        .size:           4
        .value_kind:     by_value
      - .offset:         4
        .size:           4
        .value_kind:     by_value
      - .offset:         8
        .size:           16
        .value_kind:     by_value
      - .address_space:  global
        .offset:         24
        .size:           8
        .value_kind:     global_buffer
      - .offset:         32
        .size:           4
        .value_kind:     by_value
      - .offset:         40
        .size:           8
        .value_kind:     by_value
      - .address_space:  global
        .offset:         48
        .size:           8
        .value_kind:     global_buffer
      - .offset:         56
        .size:           4
        .value_kind:     by_value
      - .offset:         64
        .size:           8
        .value_kind:     by_value
      - .offset:         72
        .size:           16
        .value_kind:     by_value
      - .address_space:  global
        .offset:         88
        .size:           8
        .value_kind:     global_buffer
      - .offset:         96
        .size:           4
        .value_kind:     by_value
      - .offset:         104
        .size:           8
        .value_kind:     by_value
      - .offset:         112
        .size:           4
        .value_kind:     by_value
    .group_segment_fixed_size: 8192
    .kernarg_segment_align: 8
    .kernarg_segment_size: 116
    .language:       OpenCL C
    .language_version:
      - 2
      - 0
    .max_flat_workgroup_size: 256
    .name:           _ZL41rocblas_syrkx_herkx_small_restrict_kernelIi19rocblas_complex_numIdELi16ELb1ELb1ELc84ELc85EKPKS1_KPS1_EviT_T0_PT6_S7_lSA_S7_lS8_PT7_S7_li
    .private_segment_fixed_size: 0
    .sgpr_count:     22
    .sgpr_spill_count: 0
    .symbol:         _ZL41rocblas_syrkx_herkx_small_restrict_kernelIi19rocblas_complex_numIdELi16ELb1ELb1ELc84ELc85EKPKS1_KPS1_EviT_T0_PT6_S7_lSA_S7_lS8_PT7_S7_li.kd
    .uniform_work_group_size: 1
    .uses_dynamic_stack: false
    .vgpr_count:     36
    .vgpr_spill_count: 0
    .wavefront_size: 64
  - .args:
      - .offset:         0
        .size:           4
        .value_kind:     by_value
      - .offset:         4
        .size:           4
        .value_kind:     by_value
      - .offset:         8
        .size:           16
        .value_kind:     by_value
      - .address_space:  global
        .offset:         24
        .size:           8
        .value_kind:     global_buffer
      - .offset:         32
        .size:           4
        .value_kind:     by_value
      - .offset:         40
        .size:           8
        .value_kind:     by_value
      - .address_space:  global
        .offset:         48
        .size:           8
        .value_kind:     global_buffer
      - .offset:         56
        .size:           4
        .value_kind:     by_value
      - .offset:         64
        .size:           8
        .value_kind:     by_value
      - .offset:         72
        .size:           16
        .value_kind:     by_value
      - .address_space:  global
        .offset:         88
        .size:           8
        .value_kind:     global_buffer
      - .offset:         96
        .size:           4
        .value_kind:     by_value
      - .offset:         104
        .size:           8
        .value_kind:     by_value
      - .offset:         112
        .size:           4
        .value_kind:     by_value
    .group_segment_fixed_size: 8192
    .kernarg_segment_align: 8
    .kernarg_segment_size: 116
    .language:       OpenCL C
    .language_version:
      - 2
      - 0
    .max_flat_workgroup_size: 256
    .name:           _ZL41rocblas_syrkx_herkx_small_restrict_kernelIi19rocblas_complex_numIdELi16ELb1ELb1ELc67ELc85EKPKS1_KPS1_EviT_T0_PT6_S7_lSA_S7_lS8_PT7_S7_li
    .private_segment_fixed_size: 0
    .sgpr_count:     22
    .sgpr_spill_count: 0
    .symbol:         _ZL41rocblas_syrkx_herkx_small_restrict_kernelIi19rocblas_complex_numIdELi16ELb1ELb1ELc67ELc85EKPKS1_KPS1_EviT_T0_PT6_S7_lSA_S7_lS8_PT7_S7_li.kd
    .uniform_work_group_size: 1
    .uses_dynamic_stack: false
    .vgpr_count:     36
    .vgpr_spill_count: 0
    .wavefront_size: 64
  - .args:
      - .offset:         0
        .size:           4
        .value_kind:     by_value
      - .offset:         4
        .size:           4
        .value_kind:     by_value
      - .offset:         8
        .size:           16
        .value_kind:     by_value
      - .address_space:  global
        .offset:         24
        .size:           8
        .value_kind:     global_buffer
      - .offset:         32
        .size:           4
        .value_kind:     by_value
      - .offset:         40
        .size:           8
        .value_kind:     by_value
      - .address_space:  global
        .offset:         48
        .size:           8
        .value_kind:     global_buffer
      - .offset:         56
        .size:           4
        .value_kind:     by_value
      - .offset:         64
        .size:           8
        .value_kind:     by_value
      - .offset:         72
        .size:           16
        .value_kind:     by_value
      - .address_space:  global
        .offset:         88
        .size:           8
        .value_kind:     global_buffer
      - .offset:         96
        .size:           4
        .value_kind:     by_value
      - .offset:         104
        .size:           8
        .value_kind:     by_value
      - .offset:         112
        .size:           4
        .value_kind:     by_value
    .group_segment_fixed_size: 8192
    .kernarg_segment_align: 8
    .kernarg_segment_size: 116
    .language:       OpenCL C
    .language_version:
      - 2
      - 0
    .max_flat_workgroup_size: 256
    .name:           _ZL41rocblas_syrkx_herkx_small_restrict_kernelIi19rocblas_complex_numIdELi16ELb1ELb1ELc78ELc85EKPKS1_KPS1_EviT_T0_PT6_S7_lSA_S7_lS8_PT7_S7_li
    .private_segment_fixed_size: 0
    .sgpr_count:     26
    .sgpr_spill_count: 0
    .symbol:         _ZL41rocblas_syrkx_herkx_small_restrict_kernelIi19rocblas_complex_numIdELi16ELb1ELb1ELc78ELc85EKPKS1_KPS1_EviT_T0_PT6_S7_lSA_S7_lS8_PT7_S7_li.kd
    .uniform_work_group_size: 1
    .uses_dynamic_stack: false
    .vgpr_count:     38
    .vgpr_spill_count: 0
    .wavefront_size: 64
  - .args:
      - .offset:         0
        .size:           4
        .value_kind:     by_value
      - .offset:         4
        .size:           4
        .value_kind:     by_value
      - .offset:         8
        .size:           16
        .value_kind:     by_value
      - .address_space:  global
        .offset:         24
        .size:           8
        .value_kind:     global_buffer
      - .offset:         32
        .size:           4
        .value_kind:     by_value
      - .offset:         40
        .size:           8
        .value_kind:     by_value
      - .address_space:  global
        .offset:         48
        .size:           8
        .value_kind:     global_buffer
      - .offset:         56
        .size:           4
        .value_kind:     by_value
      - .offset:         64
        .size:           8
        .value_kind:     by_value
      - .offset:         72
        .size:           16
        .value_kind:     by_value
      - .address_space:  global
        .offset:         88
        .size:           8
        .value_kind:     global_buffer
      - .offset:         96
        .size:           4
        .value_kind:     by_value
      - .offset:         104
        .size:           8
        .value_kind:     by_value
      - .offset:         112
        .size:           4
        .value_kind:     by_value
    .group_segment_fixed_size: 8192
    .kernarg_segment_align: 8
    .kernarg_segment_size: 116
    .language:       OpenCL C
    .language_version:
      - 2
      - 0
    .max_flat_workgroup_size: 256
    .name:           _ZL41rocblas_syrkx_herkx_small_restrict_kernelIi19rocblas_complex_numIdELi16ELb0ELb1ELc84ELc76EKPKS1_KPS1_EviT_T0_PT6_S7_lSA_S7_lS8_PT7_S7_li
    .private_segment_fixed_size: 0
    .sgpr_count:     26
    .sgpr_spill_count: 0
    .symbol:         _ZL41rocblas_syrkx_herkx_small_restrict_kernelIi19rocblas_complex_numIdELi16ELb0ELb1ELc84ELc76EKPKS1_KPS1_EviT_T0_PT6_S7_lSA_S7_lS8_PT7_S7_li.kd
    .uniform_work_group_size: 1
    .uses_dynamic_stack: false
    .vgpr_count:     36
    .vgpr_spill_count: 0
    .wavefront_size: 64
  - .args:
      - .offset:         0
        .size:           4
        .value_kind:     by_value
      - .offset:         4
        .size:           4
        .value_kind:     by_value
      - .offset:         8
        .size:           16
        .value_kind:     by_value
      - .address_space:  global
        .offset:         24
        .size:           8
        .value_kind:     global_buffer
      - .offset:         32
        .size:           4
        .value_kind:     by_value
      - .offset:         40
        .size:           8
        .value_kind:     by_value
      - .address_space:  global
        .offset:         48
        .size:           8
        .value_kind:     global_buffer
      - .offset:         56
        .size:           4
        .value_kind:     by_value
      - .offset:         64
        .size:           8
        .value_kind:     by_value
      - .offset:         72
        .size:           16
        .value_kind:     by_value
      - .address_space:  global
        .offset:         88
        .size:           8
        .value_kind:     global_buffer
      - .offset:         96
        .size:           4
        .value_kind:     by_value
      - .offset:         104
        .size:           8
        .value_kind:     by_value
      - .offset:         112
        .size:           4
        .value_kind:     by_value
    .group_segment_fixed_size: 8192
    .kernarg_segment_align: 8
    .kernarg_segment_size: 116
    .language:       OpenCL C
    .language_version:
      - 2
      - 0
    .max_flat_workgroup_size: 256
    .name:           _ZL41rocblas_syrkx_herkx_small_restrict_kernelIi19rocblas_complex_numIdELi16ELb0ELb1ELc67ELc76EKPKS1_KPS1_EviT_T0_PT6_S7_lSA_S7_lS8_PT7_S7_li
    .private_segment_fixed_size: 0
    .sgpr_count:     26
    .sgpr_spill_count: 0
    .symbol:         _ZL41rocblas_syrkx_herkx_small_restrict_kernelIi19rocblas_complex_numIdELi16ELb0ELb1ELc67ELc76EKPKS1_KPS1_EviT_T0_PT6_S7_lSA_S7_lS8_PT7_S7_li.kd
    .uniform_work_group_size: 1
    .uses_dynamic_stack: false
    .vgpr_count:     36
    .vgpr_spill_count: 0
    .wavefront_size: 64
  - .args:
      - .offset:         0
        .size:           4
        .value_kind:     by_value
      - .offset:         4
        .size:           4
        .value_kind:     by_value
      - .offset:         8
        .size:           16
        .value_kind:     by_value
      - .address_space:  global
        .offset:         24
        .size:           8
        .value_kind:     global_buffer
      - .offset:         32
        .size:           4
        .value_kind:     by_value
      - .offset:         40
        .size:           8
        .value_kind:     by_value
      - .address_space:  global
        .offset:         48
        .size:           8
        .value_kind:     global_buffer
      - .offset:         56
        .size:           4
        .value_kind:     by_value
      - .offset:         64
        .size:           8
        .value_kind:     by_value
      - .offset:         72
        .size:           16
        .value_kind:     by_value
      - .address_space:  global
        .offset:         88
        .size:           8
        .value_kind:     global_buffer
      - .offset:         96
        .size:           4
        .value_kind:     by_value
      - .offset:         104
        .size:           8
        .value_kind:     by_value
      - .offset:         112
        .size:           4
        .value_kind:     by_value
    .group_segment_fixed_size: 8192
    .kernarg_segment_align: 8
    .kernarg_segment_size: 116
    .language:       OpenCL C
    .language_version:
      - 2
      - 0
    .max_flat_workgroup_size: 256
    .name:           _ZL41rocblas_syrkx_herkx_small_restrict_kernelIi19rocblas_complex_numIdELi16ELb0ELb1ELc78ELc76EKPKS1_KPS1_EviT_T0_PT6_S7_lSA_S7_lS8_PT7_S7_li
    .private_segment_fixed_size: 0
    .sgpr_count:     30
    .sgpr_spill_count: 0
    .symbol:         _ZL41rocblas_syrkx_herkx_small_restrict_kernelIi19rocblas_complex_numIdELi16ELb0ELb1ELc78ELc76EKPKS1_KPS1_EviT_T0_PT6_S7_lSA_S7_lS8_PT7_S7_li.kd
    .uniform_work_group_size: 1
    .uses_dynamic_stack: false
    .vgpr_count:     38
    .vgpr_spill_count: 0
    .wavefront_size: 64
  - .args:
      - .offset:         0
        .size:           4
        .value_kind:     by_value
      - .offset:         4
        .size:           4
        .value_kind:     by_value
      - .offset:         8
        .size:           16
        .value_kind:     by_value
      - .address_space:  global
        .offset:         24
        .size:           8
        .value_kind:     global_buffer
      - .offset:         32
        .size:           4
        .value_kind:     by_value
      - .offset:         40
        .size:           8
        .value_kind:     by_value
      - .address_space:  global
        .offset:         48
        .size:           8
        .value_kind:     global_buffer
      - .offset:         56
        .size:           4
        .value_kind:     by_value
      - .offset:         64
        .size:           8
        .value_kind:     by_value
      - .offset:         72
        .size:           16
        .value_kind:     by_value
      - .address_space:  global
        .offset:         88
        .size:           8
        .value_kind:     global_buffer
      - .offset:         96
        .size:           4
        .value_kind:     by_value
      - .offset:         104
        .size:           8
        .value_kind:     by_value
      - .offset:         112
        .size:           4
        .value_kind:     by_value
    .group_segment_fixed_size: 8192
    .kernarg_segment_align: 8
    .kernarg_segment_size: 116
    .language:       OpenCL C
    .language_version:
      - 2
      - 0
    .max_flat_workgroup_size: 256
    .name:           _ZL41rocblas_syrkx_herkx_small_restrict_kernelIi19rocblas_complex_numIdELi16ELb0ELb1ELc84ELc85EKPKS1_KPS1_EviT_T0_PT6_S7_lSA_S7_lS8_PT7_S7_li
    .private_segment_fixed_size: 0
    .sgpr_count:     26
    .sgpr_spill_count: 0
    .symbol:         _ZL41rocblas_syrkx_herkx_small_restrict_kernelIi19rocblas_complex_numIdELi16ELb0ELb1ELc84ELc85EKPKS1_KPS1_EviT_T0_PT6_S7_lSA_S7_lS8_PT7_S7_li.kd
    .uniform_work_group_size: 1
    .uses_dynamic_stack: false
    .vgpr_count:     36
    .vgpr_spill_count: 0
    .wavefront_size: 64
  - .args:
      - .offset:         0
        .size:           4
        .value_kind:     by_value
      - .offset:         4
        .size:           4
        .value_kind:     by_value
      - .offset:         8
        .size:           16
        .value_kind:     by_value
      - .address_space:  global
        .offset:         24
        .size:           8
        .value_kind:     global_buffer
      - .offset:         32
        .size:           4
        .value_kind:     by_value
      - .offset:         40
        .size:           8
        .value_kind:     by_value
      - .address_space:  global
        .offset:         48
        .size:           8
        .value_kind:     global_buffer
      - .offset:         56
        .size:           4
        .value_kind:     by_value
      - .offset:         64
        .size:           8
        .value_kind:     by_value
      - .offset:         72
        .size:           16
        .value_kind:     by_value
      - .address_space:  global
        .offset:         88
        .size:           8
        .value_kind:     global_buffer
      - .offset:         96
        .size:           4
        .value_kind:     by_value
      - .offset:         104
        .size:           8
        .value_kind:     by_value
      - .offset:         112
        .size:           4
        .value_kind:     by_value
    .group_segment_fixed_size: 8192
    .kernarg_segment_align: 8
    .kernarg_segment_size: 116
    .language:       OpenCL C
    .language_version:
      - 2
      - 0
    .max_flat_workgroup_size: 256
    .name:           _ZL41rocblas_syrkx_herkx_small_restrict_kernelIi19rocblas_complex_numIdELi16ELb0ELb1ELc67ELc85EKPKS1_KPS1_EviT_T0_PT6_S7_lSA_S7_lS8_PT7_S7_li
    .private_segment_fixed_size: 0
    .sgpr_count:     26
    .sgpr_spill_count: 0
    .symbol:         _ZL41rocblas_syrkx_herkx_small_restrict_kernelIi19rocblas_complex_numIdELi16ELb0ELb1ELc67ELc85EKPKS1_KPS1_EviT_T0_PT6_S7_lSA_S7_lS8_PT7_S7_li.kd
    .uniform_work_group_size: 1
    .uses_dynamic_stack: false
    .vgpr_count:     36
    .vgpr_spill_count: 0
    .wavefront_size: 64
  - .args:
      - .offset:         0
        .size:           4
        .value_kind:     by_value
      - .offset:         4
        .size:           4
        .value_kind:     by_value
      - .offset:         8
        .size:           16
        .value_kind:     by_value
      - .address_space:  global
        .offset:         24
        .size:           8
        .value_kind:     global_buffer
      - .offset:         32
        .size:           4
        .value_kind:     by_value
      - .offset:         40
        .size:           8
        .value_kind:     by_value
      - .address_space:  global
        .offset:         48
        .size:           8
        .value_kind:     global_buffer
      - .offset:         56
        .size:           4
        .value_kind:     by_value
      - .offset:         64
        .size:           8
        .value_kind:     by_value
      - .offset:         72
        .size:           16
        .value_kind:     by_value
      - .address_space:  global
        .offset:         88
        .size:           8
        .value_kind:     global_buffer
      - .offset:         96
        .size:           4
        .value_kind:     by_value
      - .offset:         104
        .size:           8
        .value_kind:     by_value
      - .offset:         112
        .size:           4
        .value_kind:     by_value
    .group_segment_fixed_size: 8192
    .kernarg_segment_align: 8
    .kernarg_segment_size: 116
    .language:       OpenCL C
    .language_version:
      - 2
      - 0
    .max_flat_workgroup_size: 256
    .name:           _ZL41rocblas_syrkx_herkx_small_restrict_kernelIi19rocblas_complex_numIdELi16ELb0ELb1ELc78ELc85EKPKS1_KPS1_EviT_T0_PT6_S7_lSA_S7_lS8_PT7_S7_li
    .private_segment_fixed_size: 0
    .sgpr_count:     30
    .sgpr_spill_count: 0
    .symbol:         _ZL41rocblas_syrkx_herkx_small_restrict_kernelIi19rocblas_complex_numIdELi16ELb0ELb1ELc78ELc85EKPKS1_KPS1_EviT_T0_PT6_S7_lSA_S7_lS8_PT7_S7_li.kd
    .uniform_work_group_size: 1
    .uses_dynamic_stack: false
    .vgpr_count:     38
    .vgpr_spill_count: 0
    .wavefront_size: 64
  - .args:
      - .offset:         0
        .size:           4
        .value_kind:     by_value
      - .offset:         4
        .size:           4
        .value_kind:     by_value
      - .offset:         8
        .size:           16
        .value_kind:     by_value
      - .address_space:  global
        .offset:         24
        .size:           8
        .value_kind:     global_buffer
      - .offset:         32
        .size:           4
        .value_kind:     by_value
      - .offset:         40
        .size:           8
        .value_kind:     by_value
      - .address_space:  global
        .offset:         48
        .size:           8
        .value_kind:     global_buffer
      - .offset:         56
        .size:           4
        .value_kind:     by_value
      - .offset:         64
        .size:           8
        .value_kind:     by_value
      - .offset:         72
        .size:           16
        .value_kind:     by_value
      - .address_space:  global
        .offset:         88
        .size:           8
        .value_kind:     global_buffer
      - .offset:         96
        .size:           4
        .value_kind:     by_value
      - .offset:         104
        .size:           8
        .value_kind:     by_value
      - .offset:         112
        .size:           4
        .value_kind:     by_value
    .group_segment_fixed_size: 8192
    .kernarg_segment_align: 8
    .kernarg_segment_size: 116
    .language:       OpenCL C
    .language_version:
      - 2
      - 0
    .max_flat_workgroup_size: 256
    .name:           _ZL32rocblas_syrkx_herkx_small_kernelIi19rocblas_complex_numIdELi16ELb1ELb1ELc84ELc76EKPKS1_KPS1_EviT_T0_PT6_S7_lSA_S7_lS8_PT7_S7_li
    .private_segment_fixed_size: 0
    .sgpr_count:     25
    .sgpr_spill_count: 0
    .symbol:         _ZL32rocblas_syrkx_herkx_small_kernelIi19rocblas_complex_numIdELi16ELb1ELb1ELc84ELc76EKPKS1_KPS1_EviT_T0_PT6_S7_lSA_S7_lS8_PT7_S7_li.kd
    .uniform_work_group_size: 1
    .uses_dynamic_stack: false
    .vgpr_count:     50
    .vgpr_spill_count: 0
    .wavefront_size: 64
  - .args:
      - .offset:         0
        .size:           4
        .value_kind:     by_value
      - .offset:         4
        .size:           4
        .value_kind:     by_value
      - .offset:         8
        .size:           16
        .value_kind:     by_value
      - .address_space:  global
        .offset:         24
        .size:           8
        .value_kind:     global_buffer
      - .offset:         32
        .size:           4
        .value_kind:     by_value
      - .offset:         40
        .size:           8
        .value_kind:     by_value
      - .address_space:  global
        .offset:         48
        .size:           8
        .value_kind:     global_buffer
      - .offset:         56
        .size:           4
        .value_kind:     by_value
      - .offset:         64
        .size:           8
        .value_kind:     by_value
      - .offset:         72
        .size:           16
        .value_kind:     by_value
      - .address_space:  global
        .offset:         88
        .size:           8
        .value_kind:     global_buffer
      - .offset:         96
        .size:           4
        .value_kind:     by_value
      - .offset:         104
        .size:           8
        .value_kind:     by_value
      - .offset:         112
        .size:           4
        .value_kind:     by_value
    .group_segment_fixed_size: 8192
    .kernarg_segment_align: 8
    .kernarg_segment_size: 116
    .language:       OpenCL C
    .language_version:
      - 2
      - 0
    .max_flat_workgroup_size: 256
    .name:           _ZL32rocblas_syrkx_herkx_small_kernelIi19rocblas_complex_numIdELi16ELb1ELb1ELc67ELc76EKPKS1_KPS1_EviT_T0_PT6_S7_lSA_S7_lS8_PT7_S7_li
    .private_segment_fixed_size: 0
    .sgpr_count:     25
    .sgpr_spill_count: 0
    .symbol:         _ZL32rocblas_syrkx_herkx_small_kernelIi19rocblas_complex_numIdELi16ELb1ELb1ELc67ELc76EKPKS1_KPS1_EviT_T0_PT6_S7_lSA_S7_lS8_PT7_S7_li.kd
    .uniform_work_group_size: 1
    .uses_dynamic_stack: false
    .vgpr_count:     49
    .vgpr_spill_count: 0
    .wavefront_size: 64
  - .args:
      - .offset:         0
        .size:           4
        .value_kind:     by_value
      - .offset:         4
        .size:           4
        .value_kind:     by_value
      - .offset:         8
        .size:           16
        .value_kind:     by_value
      - .address_space:  global
        .offset:         24
        .size:           8
        .value_kind:     global_buffer
      - .offset:         32
        .size:           4
        .value_kind:     by_value
      - .offset:         40
        .size:           8
        .value_kind:     by_value
      - .address_space:  global
        .offset:         48
        .size:           8
        .value_kind:     global_buffer
      - .offset:         56
        .size:           4
        .value_kind:     by_value
      - .offset:         64
        .size:           8
        .value_kind:     by_value
      - .offset:         72
        .size:           16
        .value_kind:     by_value
      - .address_space:  global
        .offset:         88
        .size:           8
        .value_kind:     global_buffer
      - .offset:         96
        .size:           4
        .value_kind:     by_value
      - .offset:         104
        .size:           8
        .value_kind:     by_value
      - .offset:         112
        .size:           4
        .value_kind:     by_value
    .group_segment_fixed_size: 8192
    .kernarg_segment_align: 8
    .kernarg_segment_size: 116
    .language:       OpenCL C
    .language_version:
      - 2
      - 0
    .max_flat_workgroup_size: 256
    .name:           _ZL32rocblas_syrkx_herkx_small_kernelIi19rocblas_complex_numIdELi16ELb1ELb1ELc78ELc76EKPKS1_KPS1_EviT_T0_PT6_S7_lSA_S7_lS8_PT7_S7_li
    .private_segment_fixed_size: 0
    .sgpr_count:     28
    .sgpr_spill_count: 0
    .symbol:         _ZL32rocblas_syrkx_herkx_small_kernelIi19rocblas_complex_numIdELi16ELb1ELb1ELc78ELc76EKPKS1_KPS1_EviT_T0_PT6_S7_lSA_S7_lS8_PT7_S7_li.kd
    .uniform_work_group_size: 1
    .uses_dynamic_stack: false
    .vgpr_count:     46
    .vgpr_spill_count: 0
    .wavefront_size: 64
  - .args:
      - .offset:         0
        .size:           4
        .value_kind:     by_value
      - .offset:         4
        .size:           4
        .value_kind:     by_value
      - .offset:         8
        .size:           16
        .value_kind:     by_value
      - .address_space:  global
        .offset:         24
        .size:           8
        .value_kind:     global_buffer
      - .offset:         32
        .size:           4
        .value_kind:     by_value
      - .offset:         40
        .size:           8
        .value_kind:     by_value
      - .address_space:  global
        .offset:         48
        .size:           8
        .value_kind:     global_buffer
      - .offset:         56
        .size:           4
        .value_kind:     by_value
      - .offset:         64
        .size:           8
        .value_kind:     by_value
      - .offset:         72
        .size:           16
        .value_kind:     by_value
      - .address_space:  global
        .offset:         88
        .size:           8
        .value_kind:     global_buffer
      - .offset:         96
        .size:           4
        .value_kind:     by_value
      - .offset:         104
        .size:           8
        .value_kind:     by_value
      - .offset:         112
        .size:           4
        .value_kind:     by_value
    .group_segment_fixed_size: 8192
    .kernarg_segment_align: 8
    .kernarg_segment_size: 116
    .language:       OpenCL C
    .language_version:
      - 2
      - 0
    .max_flat_workgroup_size: 256
    .name:           _ZL32rocblas_syrkx_herkx_small_kernelIi19rocblas_complex_numIdELi16ELb1ELb1ELc84ELc85EKPKS1_KPS1_EviT_T0_PT6_S7_lSA_S7_lS8_PT7_S7_li
    .private_segment_fixed_size: 0
    .sgpr_count:     25
    .sgpr_spill_count: 0
    .symbol:         _ZL32rocblas_syrkx_herkx_small_kernelIi19rocblas_complex_numIdELi16ELb1ELb1ELc84ELc85EKPKS1_KPS1_EviT_T0_PT6_S7_lSA_S7_lS8_PT7_S7_li.kd
    .uniform_work_group_size: 1
    .uses_dynamic_stack: false
    .vgpr_count:     50
    .vgpr_spill_count: 0
    .wavefront_size: 64
  - .args:
      - .offset:         0
        .size:           4
        .value_kind:     by_value
      - .offset:         4
        .size:           4
        .value_kind:     by_value
      - .offset:         8
        .size:           16
        .value_kind:     by_value
      - .address_space:  global
        .offset:         24
        .size:           8
        .value_kind:     global_buffer
      - .offset:         32
        .size:           4
        .value_kind:     by_value
      - .offset:         40
        .size:           8
        .value_kind:     by_value
      - .address_space:  global
        .offset:         48
        .size:           8
        .value_kind:     global_buffer
      - .offset:         56
        .size:           4
        .value_kind:     by_value
      - .offset:         64
        .size:           8
        .value_kind:     by_value
      - .offset:         72
        .size:           16
        .value_kind:     by_value
      - .address_space:  global
        .offset:         88
        .size:           8
        .value_kind:     global_buffer
      - .offset:         96
        .size:           4
        .value_kind:     by_value
      - .offset:         104
        .size:           8
        .value_kind:     by_value
      - .offset:         112
        .size:           4
        .value_kind:     by_value
    .group_segment_fixed_size: 8192
    .kernarg_segment_align: 8
    .kernarg_segment_size: 116
    .language:       OpenCL C
    .language_version:
      - 2
      - 0
    .max_flat_workgroup_size: 256
    .name:           _ZL32rocblas_syrkx_herkx_small_kernelIi19rocblas_complex_numIdELi16ELb1ELb1ELc67ELc85EKPKS1_KPS1_EviT_T0_PT6_S7_lSA_S7_lS8_PT7_S7_li
    .private_segment_fixed_size: 0
    .sgpr_count:     25
    .sgpr_spill_count: 0
    .symbol:         _ZL32rocblas_syrkx_herkx_small_kernelIi19rocblas_complex_numIdELi16ELb1ELb1ELc67ELc85EKPKS1_KPS1_EviT_T0_PT6_S7_lSA_S7_lS8_PT7_S7_li.kd
    .uniform_work_group_size: 1
    .uses_dynamic_stack: false
    .vgpr_count:     49
    .vgpr_spill_count: 0
    .wavefront_size: 64
  - .args:
      - .offset:         0
        .size:           4
        .value_kind:     by_value
      - .offset:         4
        .size:           4
        .value_kind:     by_value
      - .offset:         8
        .size:           16
        .value_kind:     by_value
      - .address_space:  global
        .offset:         24
        .size:           8
        .value_kind:     global_buffer
      - .offset:         32
        .size:           4
        .value_kind:     by_value
      - .offset:         40
        .size:           8
        .value_kind:     by_value
      - .address_space:  global
        .offset:         48
        .size:           8
        .value_kind:     global_buffer
      - .offset:         56
        .size:           4
        .value_kind:     by_value
      - .offset:         64
        .size:           8
        .value_kind:     by_value
      - .offset:         72
        .size:           16
        .value_kind:     by_value
      - .address_space:  global
        .offset:         88
        .size:           8
        .value_kind:     global_buffer
      - .offset:         96
        .size:           4
        .value_kind:     by_value
      - .offset:         104
        .size:           8
        .value_kind:     by_value
      - .offset:         112
        .size:           4
        .value_kind:     by_value
    .group_segment_fixed_size: 8192
    .kernarg_segment_align: 8
    .kernarg_segment_size: 116
    .language:       OpenCL C
    .language_version:
      - 2
      - 0
    .max_flat_workgroup_size: 256
    .name:           _ZL32rocblas_syrkx_herkx_small_kernelIi19rocblas_complex_numIdELi16ELb1ELb1ELc78ELc85EKPKS1_KPS1_EviT_T0_PT6_S7_lSA_S7_lS8_PT7_S7_li
    .private_segment_fixed_size: 0
    .sgpr_count:     28
    .sgpr_spill_count: 0
    .symbol:         _ZL32rocblas_syrkx_herkx_small_kernelIi19rocblas_complex_numIdELi16ELb1ELb1ELc78ELc85EKPKS1_KPS1_EviT_T0_PT6_S7_lSA_S7_lS8_PT7_S7_li.kd
    .uniform_work_group_size: 1
    .uses_dynamic_stack: false
    .vgpr_count:     46
    .vgpr_spill_count: 0
    .wavefront_size: 64
  - .args:
      - .offset:         0
        .size:           4
        .value_kind:     by_value
      - .offset:         4
        .size:           4
        .value_kind:     by_value
      - .offset:         8
        .size:           16
        .value_kind:     by_value
      - .address_space:  global
        .offset:         24
        .size:           8
        .value_kind:     global_buffer
      - .offset:         32
        .size:           4
        .value_kind:     by_value
      - .offset:         40
        .size:           8
        .value_kind:     by_value
      - .address_space:  global
        .offset:         48
        .size:           8
        .value_kind:     global_buffer
      - .offset:         56
        .size:           4
        .value_kind:     by_value
      - .offset:         64
        .size:           8
        .value_kind:     by_value
      - .offset:         72
        .size:           16
        .value_kind:     by_value
      - .address_space:  global
        .offset:         88
        .size:           8
        .value_kind:     global_buffer
      - .offset:         96
        .size:           4
        .value_kind:     by_value
      - .offset:         104
        .size:           8
        .value_kind:     by_value
      - .offset:         112
        .size:           4
        .value_kind:     by_value
    .group_segment_fixed_size: 8192
    .kernarg_segment_align: 8
    .kernarg_segment_size: 116
    .language:       OpenCL C
    .language_version:
      - 2
      - 0
    .max_flat_workgroup_size: 256
    .name:           _ZL32rocblas_syrkx_herkx_small_kernelIi19rocblas_complex_numIdELi16ELb0ELb1ELc84ELc76EKPKS1_KPS1_EviT_T0_PT6_S7_lSA_S7_lS8_PT7_S7_li
    .private_segment_fixed_size: 0
    .sgpr_count:     29
    .sgpr_spill_count: 0
    .symbol:         _ZL32rocblas_syrkx_herkx_small_kernelIi19rocblas_complex_numIdELi16ELb0ELb1ELc84ELc76EKPKS1_KPS1_EviT_T0_PT6_S7_lSA_S7_lS8_PT7_S7_li.kd
    .uniform_work_group_size: 1
    .uses_dynamic_stack: false
    .vgpr_count:     50
    .vgpr_spill_count: 0
    .wavefront_size: 64
  - .args:
      - .offset:         0
        .size:           4
        .value_kind:     by_value
      - .offset:         4
        .size:           4
        .value_kind:     by_value
      - .offset:         8
        .size:           16
        .value_kind:     by_value
      - .address_space:  global
        .offset:         24
        .size:           8
        .value_kind:     global_buffer
      - .offset:         32
        .size:           4
        .value_kind:     by_value
      - .offset:         40
        .size:           8
        .value_kind:     by_value
      - .address_space:  global
        .offset:         48
        .size:           8
        .value_kind:     global_buffer
      - .offset:         56
        .size:           4
        .value_kind:     by_value
      - .offset:         64
        .size:           8
        .value_kind:     by_value
      - .offset:         72
        .size:           16
        .value_kind:     by_value
      - .address_space:  global
        .offset:         88
        .size:           8
        .value_kind:     global_buffer
      - .offset:         96
        .size:           4
        .value_kind:     by_value
      - .offset:         104
        .size:           8
        .value_kind:     by_value
      - .offset:         112
        .size:           4
        .value_kind:     by_value
    .group_segment_fixed_size: 8192
    .kernarg_segment_align: 8
    .kernarg_segment_size: 116
    .language:       OpenCL C
    .language_version:
      - 2
      - 0
    .max_flat_workgroup_size: 256
    .name:           _ZL32rocblas_syrkx_herkx_small_kernelIi19rocblas_complex_numIdELi16ELb0ELb1ELc67ELc76EKPKS1_KPS1_EviT_T0_PT6_S7_lSA_S7_lS8_PT7_S7_li
    .private_segment_fixed_size: 0
    .sgpr_count:     29
    .sgpr_spill_count: 0
    .symbol:         _ZL32rocblas_syrkx_herkx_small_kernelIi19rocblas_complex_numIdELi16ELb0ELb1ELc67ELc76EKPKS1_KPS1_EviT_T0_PT6_S7_lSA_S7_lS8_PT7_S7_li.kd
    .uniform_work_group_size: 1
    .uses_dynamic_stack: false
    .vgpr_count:     49
    .vgpr_spill_count: 0
    .wavefront_size: 64
  - .args:
      - .offset:         0
        .size:           4
        .value_kind:     by_value
      - .offset:         4
        .size:           4
        .value_kind:     by_value
      - .offset:         8
        .size:           16
        .value_kind:     by_value
      - .address_space:  global
        .offset:         24
        .size:           8
        .value_kind:     global_buffer
      - .offset:         32
        .size:           4
        .value_kind:     by_value
      - .offset:         40
        .size:           8
        .value_kind:     by_value
      - .address_space:  global
        .offset:         48
        .size:           8
        .value_kind:     global_buffer
      - .offset:         56
        .size:           4
        .value_kind:     by_value
      - .offset:         64
        .size:           8
        .value_kind:     by_value
      - .offset:         72
        .size:           16
        .value_kind:     by_value
      - .address_space:  global
        .offset:         88
        .size:           8
        .value_kind:     global_buffer
      - .offset:         96
        .size:           4
        .value_kind:     by_value
      - .offset:         104
        .size:           8
        .value_kind:     by_value
      - .offset:         112
        .size:           4
        .value_kind:     by_value
    .group_segment_fixed_size: 8192
    .kernarg_segment_align: 8
    .kernarg_segment_size: 116
    .language:       OpenCL C
    .language_version:
      - 2
      - 0
    .max_flat_workgroup_size: 256
    .name:           _ZL32rocblas_syrkx_herkx_small_kernelIi19rocblas_complex_numIdELi16ELb0ELb1ELc78ELc76EKPKS1_KPS1_EviT_T0_PT6_S7_lSA_S7_lS8_PT7_S7_li
    .private_segment_fixed_size: 0
    .sgpr_count:     32
    .sgpr_spill_count: 0
    .symbol:         _ZL32rocblas_syrkx_herkx_small_kernelIi19rocblas_complex_numIdELi16ELb0ELb1ELc78ELc76EKPKS1_KPS1_EviT_T0_PT6_S7_lSA_S7_lS8_PT7_S7_li.kd
    .uniform_work_group_size: 1
    .uses_dynamic_stack: false
    .vgpr_count:     46
    .vgpr_spill_count: 0
    .wavefront_size: 64
  - .args:
      - .offset:         0
        .size:           4
        .value_kind:     by_value
      - .offset:         4
        .size:           4
        .value_kind:     by_value
      - .offset:         8
        .size:           16
        .value_kind:     by_value
      - .address_space:  global
        .offset:         24
        .size:           8
        .value_kind:     global_buffer
      - .offset:         32
        .size:           4
        .value_kind:     by_value
      - .offset:         40
        .size:           8
        .value_kind:     by_value
      - .address_space:  global
        .offset:         48
        .size:           8
        .value_kind:     global_buffer
      - .offset:         56
        .size:           4
        .value_kind:     by_value
      - .offset:         64
        .size:           8
        .value_kind:     by_value
      - .offset:         72
        .size:           16
        .value_kind:     by_value
      - .address_space:  global
        .offset:         88
        .size:           8
        .value_kind:     global_buffer
      - .offset:         96
        .size:           4
        .value_kind:     by_value
      - .offset:         104
        .size:           8
        .value_kind:     by_value
      - .offset:         112
        .size:           4
        .value_kind:     by_value
    .group_segment_fixed_size: 8192
    .kernarg_segment_align: 8
    .kernarg_segment_size: 116
    .language:       OpenCL C
    .language_version:
      - 2
      - 0
    .max_flat_workgroup_size: 256
    .name:           _ZL32rocblas_syrkx_herkx_small_kernelIi19rocblas_complex_numIdELi16ELb0ELb1ELc84ELc85EKPKS1_KPS1_EviT_T0_PT6_S7_lSA_S7_lS8_PT7_S7_li
    .private_segment_fixed_size: 0
    .sgpr_count:     29
    .sgpr_spill_count: 0
    .symbol:         _ZL32rocblas_syrkx_herkx_small_kernelIi19rocblas_complex_numIdELi16ELb0ELb1ELc84ELc85EKPKS1_KPS1_EviT_T0_PT6_S7_lSA_S7_lS8_PT7_S7_li.kd
    .uniform_work_group_size: 1
    .uses_dynamic_stack: false
    .vgpr_count:     50
    .vgpr_spill_count: 0
    .wavefront_size: 64
  - .args:
      - .offset:         0
        .size:           4
        .value_kind:     by_value
      - .offset:         4
        .size:           4
        .value_kind:     by_value
      - .offset:         8
        .size:           16
        .value_kind:     by_value
      - .address_space:  global
        .offset:         24
        .size:           8
        .value_kind:     global_buffer
      - .offset:         32
        .size:           4
        .value_kind:     by_value
      - .offset:         40
        .size:           8
        .value_kind:     by_value
      - .address_space:  global
        .offset:         48
        .size:           8
        .value_kind:     global_buffer
      - .offset:         56
        .size:           4
        .value_kind:     by_value
      - .offset:         64
        .size:           8
        .value_kind:     by_value
      - .offset:         72
        .size:           16
        .value_kind:     by_value
      - .address_space:  global
        .offset:         88
        .size:           8
        .value_kind:     global_buffer
      - .offset:         96
        .size:           4
        .value_kind:     by_value
      - .offset:         104
        .size:           8
        .value_kind:     by_value
      - .offset:         112
        .size:           4
        .value_kind:     by_value
    .group_segment_fixed_size: 8192
    .kernarg_segment_align: 8
    .kernarg_segment_size: 116
    .language:       OpenCL C
    .language_version:
      - 2
      - 0
    .max_flat_workgroup_size: 256
    .name:           _ZL32rocblas_syrkx_herkx_small_kernelIi19rocblas_complex_numIdELi16ELb0ELb1ELc67ELc85EKPKS1_KPS1_EviT_T0_PT6_S7_lSA_S7_lS8_PT7_S7_li
    .private_segment_fixed_size: 0
    .sgpr_count:     29
    .sgpr_spill_count: 0
    .symbol:         _ZL32rocblas_syrkx_herkx_small_kernelIi19rocblas_complex_numIdELi16ELb0ELb1ELc67ELc85EKPKS1_KPS1_EviT_T0_PT6_S7_lSA_S7_lS8_PT7_S7_li.kd
    .uniform_work_group_size: 1
    .uses_dynamic_stack: false
    .vgpr_count:     49
    .vgpr_spill_count: 0
    .wavefront_size: 64
  - .args:
      - .offset:         0
        .size:           4
        .value_kind:     by_value
      - .offset:         4
        .size:           4
        .value_kind:     by_value
      - .offset:         8
        .size:           16
        .value_kind:     by_value
      - .address_space:  global
        .offset:         24
        .size:           8
        .value_kind:     global_buffer
      - .offset:         32
        .size:           4
        .value_kind:     by_value
      - .offset:         40
        .size:           8
        .value_kind:     by_value
      - .address_space:  global
        .offset:         48
        .size:           8
        .value_kind:     global_buffer
      - .offset:         56
        .size:           4
        .value_kind:     by_value
      - .offset:         64
        .size:           8
        .value_kind:     by_value
      - .offset:         72
        .size:           16
        .value_kind:     by_value
      - .address_space:  global
        .offset:         88
        .size:           8
        .value_kind:     global_buffer
      - .offset:         96
        .size:           4
        .value_kind:     by_value
      - .offset:         104
        .size:           8
        .value_kind:     by_value
      - .offset:         112
        .size:           4
        .value_kind:     by_value
    .group_segment_fixed_size: 8192
    .kernarg_segment_align: 8
    .kernarg_segment_size: 116
    .language:       OpenCL C
    .language_version:
      - 2
      - 0
    .max_flat_workgroup_size: 256
    .name:           _ZL32rocblas_syrkx_herkx_small_kernelIi19rocblas_complex_numIdELi16ELb0ELb1ELc78ELc85EKPKS1_KPS1_EviT_T0_PT6_S7_lSA_S7_lS8_PT7_S7_li
    .private_segment_fixed_size: 0
    .sgpr_count:     32
    .sgpr_spill_count: 0
    .symbol:         _ZL32rocblas_syrkx_herkx_small_kernelIi19rocblas_complex_numIdELi16ELb0ELb1ELc78ELc85EKPKS1_KPS1_EviT_T0_PT6_S7_lSA_S7_lS8_PT7_S7_li.kd
    .uniform_work_group_size: 1
    .uses_dynamic_stack: false
    .vgpr_count:     46
    .vgpr_spill_count: 0
    .wavefront_size: 64
  - .args:
      - .offset:         0
        .size:           4
        .value_kind:     by_value
      - .offset:         4
        .size:           4
        .value_kind:     by_value
      - .offset:         8
        .size:           16
        .value_kind:     by_value
      - .address_space:  global
        .offset:         24
        .size:           8
        .value_kind:     global_buffer
      - .offset:         32
        .size:           4
        .value_kind:     by_value
      - .offset:         40
        .size:           8
        .value_kind:     by_value
      - .address_space:  global
        .offset:         48
        .size:           8
        .value_kind:     global_buffer
      - .offset:         56
        .size:           4
        .value_kind:     by_value
      - .offset:         64
        .size:           8
        .value_kind:     by_value
      - .offset:         72
        .size:           16
        .value_kind:     by_value
      - .address_space:  global
        .offset:         88
        .size:           8
        .value_kind:     global_buffer
      - .offset:         96
        .size:           4
        .value_kind:     by_value
      - .offset:         104
        .size:           8
        .value_kind:     by_value
      - .offset:         112
        .size:           4
        .value_kind:     by_value
    .group_segment_fixed_size: 8192
    .kernarg_segment_align: 8
    .kernarg_segment_size: 116
    .language:       OpenCL C
    .language_version:
      - 2
      - 0
    .max_flat_workgroup_size: 256
    .name:           _ZL34rocblas_syrkx_herkx_general_kernelIi19rocblas_complex_numIdELi16ELi32ELi8ELb1ELb1ELc84ELc76EKPKS1_KPS1_EviT_T0_PT8_S7_lSA_S7_lS8_PT9_S7_li
    .private_segment_fixed_size: 0
    .sgpr_count:     27
    .sgpr_spill_count: 0
    .symbol:         _ZL34rocblas_syrkx_herkx_general_kernelIi19rocblas_complex_numIdELi16ELi32ELi8ELb1ELb1ELc84ELc76EKPKS1_KPS1_EviT_T0_PT8_S7_lSA_S7_lS8_PT9_S7_li.kd
    .uniform_work_group_size: 1
    .uses_dynamic_stack: false
    .vgpr_count:     56
    .vgpr_spill_count: 0
    .wavefront_size: 64
  - .args:
      - .offset:         0
        .size:           4
        .value_kind:     by_value
      - .offset:         4
        .size:           4
        .value_kind:     by_value
      - .offset:         8
        .size:           16
        .value_kind:     by_value
      - .address_space:  global
        .offset:         24
        .size:           8
        .value_kind:     global_buffer
      - .offset:         32
        .size:           4
        .value_kind:     by_value
      - .offset:         40
        .size:           8
        .value_kind:     by_value
      - .address_space:  global
        .offset:         48
        .size:           8
        .value_kind:     global_buffer
      - .offset:         56
        .size:           4
        .value_kind:     by_value
      - .offset:         64
        .size:           8
        .value_kind:     by_value
      - .offset:         72
        .size:           16
        .value_kind:     by_value
      - .address_space:  global
        .offset:         88
        .size:           8
        .value_kind:     global_buffer
      - .offset:         96
        .size:           4
        .value_kind:     by_value
      - .offset:         104
        .size:           8
        .value_kind:     by_value
      - .offset:         112
        .size:           4
        .value_kind:     by_value
    .group_segment_fixed_size: 8192
    .kernarg_segment_align: 8
    .kernarg_segment_size: 116
    .language:       OpenCL C
    .language_version:
      - 2
      - 0
    .max_flat_workgroup_size: 256
    .name:           _ZL34rocblas_syrkx_herkx_general_kernelIi19rocblas_complex_numIdELi16ELi32ELi8ELb1ELb1ELc67ELc76EKPKS1_KPS1_EviT_T0_PT8_S7_lSA_S7_lS8_PT9_S7_li
    .private_segment_fixed_size: 0
    .sgpr_count:     27
    .sgpr_spill_count: 0
    .symbol:         _ZL34rocblas_syrkx_herkx_general_kernelIi19rocblas_complex_numIdELi16ELi32ELi8ELb1ELb1ELc67ELc76EKPKS1_KPS1_EviT_T0_PT8_S7_lSA_S7_lS8_PT9_S7_li.kd
    .uniform_work_group_size: 1
    .uses_dynamic_stack: false
    .vgpr_count:     57
    .vgpr_spill_count: 0
    .wavefront_size: 64
  - .args:
      - .offset:         0
        .size:           4
        .value_kind:     by_value
      - .offset:         4
        .size:           4
        .value_kind:     by_value
      - .offset:         8
        .size:           16
        .value_kind:     by_value
      - .address_space:  global
        .offset:         24
        .size:           8
        .value_kind:     global_buffer
      - .offset:         32
        .size:           4
        .value_kind:     by_value
      - .offset:         40
        .size:           8
        .value_kind:     by_value
      - .address_space:  global
        .offset:         48
        .size:           8
        .value_kind:     global_buffer
      - .offset:         56
        .size:           4
        .value_kind:     by_value
      - .offset:         64
        .size:           8
        .value_kind:     by_value
      - .offset:         72
        .size:           16
        .value_kind:     by_value
      - .address_space:  global
        .offset:         88
        .size:           8
        .value_kind:     global_buffer
      - .offset:         96
        .size:           4
        .value_kind:     by_value
      - .offset:         104
        .size:           8
        .value_kind:     by_value
      - .offset:         112
        .size:           4
        .value_kind:     by_value
    .group_segment_fixed_size: 8192
    .kernarg_segment_align: 8
    .kernarg_segment_size: 116
    .language:       OpenCL C
    .language_version:
      - 2
      - 0
    .max_flat_workgroup_size: 256
    .name:           _ZL34rocblas_syrkx_herkx_general_kernelIi19rocblas_complex_numIdELi16ELi32ELi8ELb1ELb1ELc78ELc76EKPKS1_KPS1_EviT_T0_PT8_S7_lSA_S7_lS8_PT9_S7_li
    .private_segment_fixed_size: 0
    .sgpr_count:     30
    .sgpr_spill_count: 0
    .symbol:         _ZL34rocblas_syrkx_herkx_general_kernelIi19rocblas_complex_numIdELi16ELi32ELi8ELb1ELb1ELc78ELc76EKPKS1_KPS1_EviT_T0_PT8_S7_lSA_S7_lS8_PT9_S7_li.kd
    .uniform_work_group_size: 1
    .uses_dynamic_stack: false
    .vgpr_count:     59
    .vgpr_spill_count: 0
    .wavefront_size: 64
  - .args:
      - .offset:         0
        .size:           4
        .value_kind:     by_value
      - .offset:         4
        .size:           4
        .value_kind:     by_value
      - .offset:         8
        .size:           16
        .value_kind:     by_value
      - .address_space:  global
        .offset:         24
        .size:           8
        .value_kind:     global_buffer
      - .offset:         32
        .size:           4
        .value_kind:     by_value
      - .offset:         40
        .size:           8
        .value_kind:     by_value
      - .address_space:  global
        .offset:         48
        .size:           8
        .value_kind:     global_buffer
      - .offset:         56
        .size:           4
        .value_kind:     by_value
      - .offset:         64
        .size:           8
        .value_kind:     by_value
      - .offset:         72
        .size:           16
        .value_kind:     by_value
      - .address_space:  global
        .offset:         88
        .size:           8
        .value_kind:     global_buffer
      - .offset:         96
        .size:           4
        .value_kind:     by_value
      - .offset:         104
        .size:           8
        .value_kind:     by_value
      - .offset:         112
        .size:           4
        .value_kind:     by_value
    .group_segment_fixed_size: 8192
    .kernarg_segment_align: 8
    .kernarg_segment_size: 116
    .language:       OpenCL C
    .language_version:
      - 2
      - 0
    .max_flat_workgroup_size: 256
    .name:           _ZL34rocblas_syrkx_herkx_general_kernelIi19rocblas_complex_numIdELi16ELi32ELi8ELb1ELb1ELc84ELc85EKPKS1_KPS1_EviT_T0_PT8_S7_lSA_S7_lS8_PT9_S7_li
    .private_segment_fixed_size: 0
    .sgpr_count:     27
    .sgpr_spill_count: 0
    .symbol:         _ZL34rocblas_syrkx_herkx_general_kernelIi19rocblas_complex_numIdELi16ELi32ELi8ELb1ELb1ELc84ELc85EKPKS1_KPS1_EviT_T0_PT8_S7_lSA_S7_lS8_PT9_S7_li.kd
    .uniform_work_group_size: 1
    .uses_dynamic_stack: false
    .vgpr_count:     56
    .vgpr_spill_count: 0
    .wavefront_size: 64
  - .args:
      - .offset:         0
        .size:           4
        .value_kind:     by_value
      - .offset:         4
        .size:           4
        .value_kind:     by_value
      - .offset:         8
        .size:           16
        .value_kind:     by_value
      - .address_space:  global
        .offset:         24
        .size:           8
        .value_kind:     global_buffer
      - .offset:         32
        .size:           4
        .value_kind:     by_value
      - .offset:         40
        .size:           8
        .value_kind:     by_value
      - .address_space:  global
        .offset:         48
        .size:           8
        .value_kind:     global_buffer
      - .offset:         56
        .size:           4
        .value_kind:     by_value
      - .offset:         64
        .size:           8
        .value_kind:     by_value
      - .offset:         72
        .size:           16
        .value_kind:     by_value
      - .address_space:  global
        .offset:         88
        .size:           8
        .value_kind:     global_buffer
      - .offset:         96
        .size:           4
        .value_kind:     by_value
      - .offset:         104
        .size:           8
        .value_kind:     by_value
      - .offset:         112
        .size:           4
        .value_kind:     by_value
    .group_segment_fixed_size: 8192
    .kernarg_segment_align: 8
    .kernarg_segment_size: 116
    .language:       OpenCL C
    .language_version:
      - 2
      - 0
    .max_flat_workgroup_size: 256
    .name:           _ZL34rocblas_syrkx_herkx_general_kernelIi19rocblas_complex_numIdELi16ELi32ELi8ELb1ELb1ELc67ELc85EKPKS1_KPS1_EviT_T0_PT8_S7_lSA_S7_lS8_PT9_S7_li
    .private_segment_fixed_size: 0
    .sgpr_count:     27
    .sgpr_spill_count: 0
    .symbol:         _ZL34rocblas_syrkx_herkx_general_kernelIi19rocblas_complex_numIdELi16ELi32ELi8ELb1ELb1ELc67ELc85EKPKS1_KPS1_EviT_T0_PT8_S7_lSA_S7_lS8_PT9_S7_li.kd
    .uniform_work_group_size: 1
    .uses_dynamic_stack: false
    .vgpr_count:     57
    .vgpr_spill_count: 0
    .wavefront_size: 64
  - .args:
      - .offset:         0
        .size:           4
        .value_kind:     by_value
      - .offset:         4
        .size:           4
        .value_kind:     by_value
      - .offset:         8
        .size:           16
        .value_kind:     by_value
      - .address_space:  global
        .offset:         24
        .size:           8
        .value_kind:     global_buffer
      - .offset:         32
        .size:           4
        .value_kind:     by_value
      - .offset:         40
        .size:           8
        .value_kind:     by_value
      - .address_space:  global
        .offset:         48
        .size:           8
        .value_kind:     global_buffer
      - .offset:         56
        .size:           4
        .value_kind:     by_value
      - .offset:         64
        .size:           8
        .value_kind:     by_value
      - .offset:         72
        .size:           16
        .value_kind:     by_value
      - .address_space:  global
        .offset:         88
        .size:           8
        .value_kind:     global_buffer
      - .offset:         96
        .size:           4
        .value_kind:     by_value
      - .offset:         104
        .size:           8
        .value_kind:     by_value
      - .offset:         112
        .size:           4
        .value_kind:     by_value
    .group_segment_fixed_size: 8192
    .kernarg_segment_align: 8
    .kernarg_segment_size: 116
    .language:       OpenCL C
    .language_version:
      - 2
      - 0
    .max_flat_workgroup_size: 256
    .name:           _ZL34rocblas_syrkx_herkx_general_kernelIi19rocblas_complex_numIdELi16ELi32ELi8ELb1ELb1ELc78ELc85EKPKS1_KPS1_EviT_T0_PT8_S7_lSA_S7_lS8_PT9_S7_li
    .private_segment_fixed_size: 0
    .sgpr_count:     30
    .sgpr_spill_count: 0
    .symbol:         _ZL34rocblas_syrkx_herkx_general_kernelIi19rocblas_complex_numIdELi16ELi32ELi8ELb1ELb1ELc78ELc85EKPKS1_KPS1_EviT_T0_PT8_S7_lSA_S7_lS8_PT9_S7_li.kd
    .uniform_work_group_size: 1
    .uses_dynamic_stack: false
    .vgpr_count:     59
    .vgpr_spill_count: 0
    .wavefront_size: 64
  - .args:
      - .offset:         0
        .size:           4
        .value_kind:     by_value
      - .offset:         4
        .size:           4
        .value_kind:     by_value
      - .offset:         8
        .size:           16
        .value_kind:     by_value
      - .address_space:  global
        .offset:         24
        .size:           8
        .value_kind:     global_buffer
      - .offset:         32
        .size:           4
        .value_kind:     by_value
      - .offset:         40
        .size:           8
        .value_kind:     by_value
      - .address_space:  global
        .offset:         48
        .size:           8
        .value_kind:     global_buffer
      - .offset:         56
        .size:           4
        .value_kind:     by_value
      - .offset:         64
        .size:           8
        .value_kind:     by_value
      - .offset:         72
        .size:           16
        .value_kind:     by_value
      - .address_space:  global
        .offset:         88
        .size:           8
        .value_kind:     global_buffer
      - .offset:         96
        .size:           4
        .value_kind:     by_value
      - .offset:         104
        .size:           8
        .value_kind:     by_value
      - .offset:         112
        .size:           4
        .value_kind:     by_value
    .group_segment_fixed_size: 8192
    .kernarg_segment_align: 8
    .kernarg_segment_size: 116
    .language:       OpenCL C
    .language_version:
      - 2
      - 0
    .max_flat_workgroup_size: 256
    .name:           _ZL34rocblas_syrkx_herkx_general_kernelIi19rocblas_complex_numIdELi16ELi32ELi8ELb0ELb1ELc84ELc76EKPKS1_KPS1_EviT_T0_PT8_S7_lSA_S7_lS8_PT9_S7_li
    .private_segment_fixed_size: 0
    .sgpr_count:     31
    .sgpr_spill_count: 0
    .symbol:         _ZL34rocblas_syrkx_herkx_general_kernelIi19rocblas_complex_numIdELi16ELi32ELi8ELb0ELb1ELc84ELc76EKPKS1_KPS1_EviT_T0_PT8_S7_lSA_S7_lS8_PT9_S7_li.kd
    .uniform_work_group_size: 1
    .uses_dynamic_stack: false
    .vgpr_count:     56
    .vgpr_spill_count: 0
    .wavefront_size: 64
  - .args:
      - .offset:         0
        .size:           4
        .value_kind:     by_value
      - .offset:         4
        .size:           4
        .value_kind:     by_value
      - .offset:         8
        .size:           16
        .value_kind:     by_value
      - .address_space:  global
        .offset:         24
        .size:           8
        .value_kind:     global_buffer
      - .offset:         32
        .size:           4
        .value_kind:     by_value
      - .offset:         40
        .size:           8
        .value_kind:     by_value
      - .address_space:  global
        .offset:         48
        .size:           8
        .value_kind:     global_buffer
      - .offset:         56
        .size:           4
        .value_kind:     by_value
      - .offset:         64
        .size:           8
        .value_kind:     by_value
      - .offset:         72
        .size:           16
        .value_kind:     by_value
      - .address_space:  global
        .offset:         88
        .size:           8
        .value_kind:     global_buffer
      - .offset:         96
        .size:           4
        .value_kind:     by_value
      - .offset:         104
        .size:           8
        .value_kind:     by_value
      - .offset:         112
        .size:           4
        .value_kind:     by_value
    .group_segment_fixed_size: 8192
    .kernarg_segment_align: 8
    .kernarg_segment_size: 116
    .language:       OpenCL C
    .language_version:
      - 2
      - 0
    .max_flat_workgroup_size: 256
    .name:           _ZL34rocblas_syrkx_herkx_general_kernelIi19rocblas_complex_numIdELi16ELi32ELi8ELb0ELb1ELc67ELc76EKPKS1_KPS1_EviT_T0_PT8_S7_lSA_S7_lS8_PT9_S7_li
    .private_segment_fixed_size: 0
    .sgpr_count:     31
    .sgpr_spill_count: 0
    .symbol:         _ZL34rocblas_syrkx_herkx_general_kernelIi19rocblas_complex_numIdELi16ELi32ELi8ELb0ELb1ELc67ELc76EKPKS1_KPS1_EviT_T0_PT8_S7_lSA_S7_lS8_PT9_S7_li.kd
    .uniform_work_group_size: 1
    .uses_dynamic_stack: false
    .vgpr_count:     57
    .vgpr_spill_count: 0
    .wavefront_size: 64
  - .args:
      - .offset:         0
        .size:           4
        .value_kind:     by_value
      - .offset:         4
        .size:           4
        .value_kind:     by_value
      - .offset:         8
        .size:           16
        .value_kind:     by_value
      - .address_space:  global
        .offset:         24
        .size:           8
        .value_kind:     global_buffer
      - .offset:         32
        .size:           4
        .value_kind:     by_value
      - .offset:         40
        .size:           8
        .value_kind:     by_value
      - .address_space:  global
        .offset:         48
        .size:           8
        .value_kind:     global_buffer
      - .offset:         56
        .size:           4
        .value_kind:     by_value
      - .offset:         64
        .size:           8
        .value_kind:     by_value
      - .offset:         72
        .size:           16
        .value_kind:     by_value
      - .address_space:  global
        .offset:         88
        .size:           8
        .value_kind:     global_buffer
      - .offset:         96
        .size:           4
        .value_kind:     by_value
      - .offset:         104
        .size:           8
        .value_kind:     by_value
      - .offset:         112
        .size:           4
        .value_kind:     by_value
    .group_segment_fixed_size: 8192
    .kernarg_segment_align: 8
    .kernarg_segment_size: 116
    .language:       OpenCL C
    .language_version:
      - 2
      - 0
    .max_flat_workgroup_size: 256
    .name:           _ZL34rocblas_syrkx_herkx_general_kernelIi19rocblas_complex_numIdELi16ELi32ELi8ELb0ELb1ELc78ELc76EKPKS1_KPS1_EviT_T0_PT8_S7_lSA_S7_lS8_PT9_S7_li
    .private_segment_fixed_size: 0
    .sgpr_count:     34
    .sgpr_spill_count: 0
    .symbol:         _ZL34rocblas_syrkx_herkx_general_kernelIi19rocblas_complex_numIdELi16ELi32ELi8ELb0ELb1ELc78ELc76EKPKS1_KPS1_EviT_T0_PT8_S7_lSA_S7_lS8_PT9_S7_li.kd
    .uniform_work_group_size: 1
    .uses_dynamic_stack: false
    .vgpr_count:     59
    .vgpr_spill_count: 0
    .wavefront_size: 64
  - .args:
      - .offset:         0
        .size:           4
        .value_kind:     by_value
      - .offset:         4
        .size:           4
        .value_kind:     by_value
      - .offset:         8
        .size:           16
        .value_kind:     by_value
      - .address_space:  global
        .offset:         24
        .size:           8
        .value_kind:     global_buffer
      - .offset:         32
        .size:           4
        .value_kind:     by_value
      - .offset:         40
        .size:           8
        .value_kind:     by_value
      - .address_space:  global
        .offset:         48
        .size:           8
        .value_kind:     global_buffer
      - .offset:         56
        .size:           4
        .value_kind:     by_value
      - .offset:         64
        .size:           8
        .value_kind:     by_value
      - .offset:         72
        .size:           16
        .value_kind:     by_value
      - .address_space:  global
        .offset:         88
        .size:           8
        .value_kind:     global_buffer
      - .offset:         96
        .size:           4
        .value_kind:     by_value
      - .offset:         104
        .size:           8
        .value_kind:     by_value
      - .offset:         112
        .size:           4
        .value_kind:     by_value
    .group_segment_fixed_size: 8192
    .kernarg_segment_align: 8
    .kernarg_segment_size: 116
    .language:       OpenCL C
    .language_version:
      - 2
      - 0
    .max_flat_workgroup_size: 256
    .name:           _ZL34rocblas_syrkx_herkx_general_kernelIi19rocblas_complex_numIdELi16ELi32ELi8ELb0ELb1ELc84ELc85EKPKS1_KPS1_EviT_T0_PT8_S7_lSA_S7_lS8_PT9_S7_li
    .private_segment_fixed_size: 0
    .sgpr_count:     31
    .sgpr_spill_count: 0
    .symbol:         _ZL34rocblas_syrkx_herkx_general_kernelIi19rocblas_complex_numIdELi16ELi32ELi8ELb0ELb1ELc84ELc85EKPKS1_KPS1_EviT_T0_PT8_S7_lSA_S7_lS8_PT9_S7_li.kd
    .uniform_work_group_size: 1
    .uses_dynamic_stack: false
    .vgpr_count:     56
    .vgpr_spill_count: 0
    .wavefront_size: 64
  - .args:
      - .offset:         0
        .size:           4
        .value_kind:     by_value
      - .offset:         4
        .size:           4
        .value_kind:     by_value
      - .offset:         8
        .size:           16
        .value_kind:     by_value
      - .address_space:  global
        .offset:         24
        .size:           8
        .value_kind:     global_buffer
      - .offset:         32
        .size:           4
        .value_kind:     by_value
      - .offset:         40
        .size:           8
        .value_kind:     by_value
      - .address_space:  global
        .offset:         48
        .size:           8
        .value_kind:     global_buffer
      - .offset:         56
        .size:           4
        .value_kind:     by_value
      - .offset:         64
        .size:           8
        .value_kind:     by_value
      - .offset:         72
        .size:           16
        .value_kind:     by_value
      - .address_space:  global
        .offset:         88
        .size:           8
        .value_kind:     global_buffer
      - .offset:         96
        .size:           4
        .value_kind:     by_value
      - .offset:         104
        .size:           8
        .value_kind:     by_value
      - .offset:         112
        .size:           4
        .value_kind:     by_value
    .group_segment_fixed_size: 8192
    .kernarg_segment_align: 8
    .kernarg_segment_size: 116
    .language:       OpenCL C
    .language_version:
      - 2
      - 0
    .max_flat_workgroup_size: 256
    .name:           _ZL34rocblas_syrkx_herkx_general_kernelIi19rocblas_complex_numIdELi16ELi32ELi8ELb0ELb1ELc67ELc85EKPKS1_KPS1_EviT_T0_PT8_S7_lSA_S7_lS8_PT9_S7_li
    .private_segment_fixed_size: 0
    .sgpr_count:     31
    .sgpr_spill_count: 0
    .symbol:         _ZL34rocblas_syrkx_herkx_general_kernelIi19rocblas_complex_numIdELi16ELi32ELi8ELb0ELb1ELc67ELc85EKPKS1_KPS1_EviT_T0_PT8_S7_lSA_S7_lS8_PT9_S7_li.kd
    .uniform_work_group_size: 1
    .uses_dynamic_stack: false
    .vgpr_count:     57
    .vgpr_spill_count: 0
    .wavefront_size: 64
  - .args:
      - .offset:         0
        .size:           4
        .value_kind:     by_value
      - .offset:         4
        .size:           4
        .value_kind:     by_value
      - .offset:         8
        .size:           16
        .value_kind:     by_value
      - .address_space:  global
        .offset:         24
        .size:           8
        .value_kind:     global_buffer
      - .offset:         32
        .size:           4
        .value_kind:     by_value
      - .offset:         40
        .size:           8
        .value_kind:     by_value
      - .address_space:  global
        .offset:         48
        .size:           8
        .value_kind:     global_buffer
      - .offset:         56
        .size:           4
        .value_kind:     by_value
      - .offset:         64
        .size:           8
        .value_kind:     by_value
      - .offset:         72
        .size:           16
        .value_kind:     by_value
      - .address_space:  global
        .offset:         88
        .size:           8
        .value_kind:     global_buffer
      - .offset:         96
        .size:           4
        .value_kind:     by_value
      - .offset:         104
        .size:           8
        .value_kind:     by_value
      - .offset:         112
        .size:           4
        .value_kind:     by_value
    .group_segment_fixed_size: 8192
    .kernarg_segment_align: 8
    .kernarg_segment_size: 116
    .language:       OpenCL C
    .language_version:
      - 2
      - 0
    .max_flat_workgroup_size: 256
    .name:           _ZL34rocblas_syrkx_herkx_general_kernelIi19rocblas_complex_numIdELi16ELi32ELi8ELb0ELb1ELc78ELc85EKPKS1_KPS1_EviT_T0_PT8_S7_lSA_S7_lS8_PT9_S7_li
    .private_segment_fixed_size: 0
    .sgpr_count:     34
    .sgpr_spill_count: 0
    .symbol:         _ZL34rocblas_syrkx_herkx_general_kernelIi19rocblas_complex_numIdELi16ELi32ELi8ELb0ELb1ELc78ELc85EKPKS1_KPS1_EviT_T0_PT8_S7_lSA_S7_lS8_PT9_S7_li.kd
    .uniform_work_group_size: 1
    .uses_dynamic_stack: false
    .vgpr_count:     59
    .vgpr_spill_count: 0
    .wavefront_size: 64
  - .args:
      - .offset:         0
        .size:           1
        .value_kind:     by_value
      - .offset:         4
        .size:           4
        .value_kind:     by_value
      - .offset:         8
        .size:           4
        .value_kind:     by_value
      - .offset:         16
        .size:           16
        .value_kind:     by_value
      - .offset:         32
        .size:           16
        .value_kind:     by_value
      - .address_space:  global
        .offset:         48
        .size:           8
        .value_kind:     global_buffer
      - .offset:         56
        .size:           4
        .value_kind:     by_value
      - .offset:         64
        .size:           8
        .value_kind:     by_value
      - .offset:         72
        .size:           4
        .value_kind:     by_value
      - .offset:         80
        .size:           4
        .value_kind:     hidden_block_count_x
      - .offset:         84
        .size:           4
        .value_kind:     hidden_block_count_y
      - .offset:         88
        .size:           4
        .value_kind:     hidden_block_count_z
      - .offset:         92
        .size:           2
        .value_kind:     hidden_group_size_x
      - .offset:         94
        .size:           2
        .value_kind:     hidden_group_size_y
      - .offset:         96
        .size:           2
        .value_kind:     hidden_group_size_z
      - .offset:         98
        .size:           2
        .value_kind:     hidden_remainder_x
      - .offset:         100
        .size:           2
        .value_kind:     hidden_remainder_y
      - .offset:         102
        .size:           2
        .value_kind:     hidden_remainder_z
      - .offset:         120
        .size:           8
        .value_kind:     hidden_global_offset_x
      - .offset:         128
        .size:           8
        .value_kind:     hidden_global_offset_y
      - .offset:         136
        .size:           8
        .value_kind:     hidden_global_offset_z
      - .offset:         144
        .size:           2
        .value_kind:     hidden_grid_dims
    .group_segment_fixed_size: 0
    .kernarg_segment_align: 8
    .kernarg_segment_size: 336
    .language:       OpenCL C
    .language_version:
      - 2
      - 0
    .max_flat_workgroup_size: 1024
    .name:           _ZL26rocblas_syr2k_scale_kernelIiLi128ELi8ELb1E19rocblas_complex_numIdES1_PKPS1_EvbiT_T3_T4_T5_S5_li
    .private_segment_fixed_size: 0
    .sgpr_count:     30
    .sgpr_spill_count: 0
    .symbol:         _ZL26rocblas_syr2k_scale_kernelIiLi128ELi8ELb1E19rocblas_complex_numIdES1_PKPS1_EvbiT_T3_T4_T5_S5_li.kd
    .uniform_work_group_size: 1
    .uses_dynamic_stack: false
    .vgpr_count:     13
    .vgpr_spill_count: 0
    .wavefront_size: 64
  - .args:
      - .offset:         0
        .size:           1
        .value_kind:     by_value
      - .offset:         4
        .size:           4
        .value_kind:     by_value
      - .offset:         8
        .size:           4
        .value_kind:     by_value
      - .address_space:  global
        .offset:         16
        .size:           8
        .value_kind:     global_buffer
      - .address_space:  global
        .offset:         24
        .size:           8
        .value_kind:     global_buffer
      - .offset:         32
        .size:           4
        .value_kind:     by_value
      - .offset:         40
        .size:           8
        .value_kind:     by_value
      - .address_space:  global
        .offset:         48
        .size:           8
        .value_kind:     global_buffer
      - .offset:         56
        .size:           4
        .value_kind:     by_value
      - .offset:         64
        .size:           8
        .value_kind:     by_value
      - .address_space:  global
        .offset:         72
        .size:           8
        .value_kind:     global_buffer
      - .offset:         80
        .size:           4
        .value_kind:     by_value
      - .offset:         88
        .size:           8
        .value_kind:     by_value
      - .offset:         96
        .size:           4
        .value_kind:     by_value
    .group_segment_fixed_size: 32768
    .kernarg_segment_align: 8
    .kernarg_segment_size: 100
    .language:       OpenCL C
    .language_version:
      - 2
      - 0
    .max_flat_workgroup_size: 1024
    .name:           _ZL26rocblas_syr2k_her2k_kernelIiLb0ELb1ELb0ELi32EPK19rocblas_complex_numIdEPKS3_PKPS1_EvbiT_T4_T5_S9_lSB_S9_lT6_S9_li
    .private_segment_fixed_size: 0
    .sgpr_count:     32
    .sgpr_spill_count: 0
    .symbol:         _ZL26rocblas_syr2k_her2k_kernelIiLb0ELb1ELb0ELi32EPK19rocblas_complex_numIdEPKS3_PKPS1_EvbiT_T4_T5_S9_lSB_S9_lT6_S9_li.kd
    .uniform_work_group_size: 1
    .uses_dynamic_stack: false
    .vgpr_count:     37
    .vgpr_spill_count: 0
    .wavefront_size: 64
  - .args:
      - .offset:         0
        .size:           1
        .value_kind:     by_value
      - .offset:         4
        .size:           4
        .value_kind:     by_value
      - .offset:         8
        .size:           4
        .value_kind:     by_value
      - .address_space:  global
        .offset:         16
        .size:           8
        .value_kind:     global_buffer
      - .address_space:  global
        .offset:         24
        .size:           8
        .value_kind:     global_buffer
      - .offset:         32
        .size:           4
        .value_kind:     by_value
      - .offset:         40
        .size:           8
        .value_kind:     by_value
      - .address_space:  global
        .offset:         48
        .size:           8
        .value_kind:     global_buffer
      - .offset:         56
        .size:           4
        .value_kind:     by_value
      - .offset:         64
        .size:           8
        .value_kind:     by_value
      - .address_space:  global
        .offset:         72
        .size:           8
        .value_kind:     global_buffer
      - .offset:         80
        .size:           4
        .value_kind:     by_value
      - .offset:         88
        .size:           8
        .value_kind:     by_value
      - .offset:         96
        .size:           4
        .value_kind:     by_value
    .group_segment_fixed_size: 32768
    .kernarg_segment_align: 8
    .kernarg_segment_size: 100
    .language:       OpenCL C
    .language_version:
      - 2
      - 0
    .max_flat_workgroup_size: 1024
    .name:           _ZL26rocblas_syr2k_her2k_kernelIiLb0ELb1ELb1ELi32EPK19rocblas_complex_numIdEPKS3_PKPS1_EvbiT_T4_T5_S9_lSB_S9_lT6_S9_li
    .private_segment_fixed_size: 0
    .sgpr_count:     32
    .sgpr_spill_count: 0
    .symbol:         _ZL26rocblas_syr2k_her2k_kernelIiLb0ELb1ELb1ELi32EPK19rocblas_complex_numIdEPKS3_PKPS1_EvbiT_T4_T5_S9_lSB_S9_lT6_S9_li.kd
    .uniform_work_group_size: 1
    .uses_dynamic_stack: false
    .vgpr_count:     39
    .vgpr_spill_count: 0
    .wavefront_size: 64
  - .args:
      - .offset:         0
        .size:           1
        .value_kind:     by_value
      - .offset:         4
        .size:           4
        .value_kind:     by_value
      - .offset:         8
        .size:           8
        .value_kind:     by_value
      - .offset:         16
        .size:           4
        .value_kind:     by_value
      - .address_space:  global
        .offset:         24
        .size:           8
        .value_kind:     global_buffer
      - .offset:         32
        .size:           8
        .value_kind:     by_value
      - .offset:         40
        .size:           8
        .value_kind:     by_value
      - .address_space:  global
        .offset:         48
        .size:           8
        .value_kind:     global_buffer
      - .offset:         56
        .size:           8
        .value_kind:     by_value
      - .offset:         64
        .size:           8
        .value_kind:     by_value
      - .address_space:  global
        .offset:         72
        .size:           8
        .value_kind:     global_buffer
      - .offset:         80
        .size:           8
        .value_kind:     by_value
      - .offset:         88
        .size:           8
        .value_kind:     by_value
      - .offset:         96
        .size:           4
        .value_kind:     by_value
    .group_segment_fixed_size: 8192
    .kernarg_segment_align: 8
    .kernarg_segment_size: 100
    .language:       OpenCL C
    .language_version:
      - 2
      - 0
    .max_flat_workgroup_size: 1024
    .name:           _ZL26rocblas_syr2k_her2k_kernelIlLb0ELb0ELb0ELi32EfPKfPfEvbiT_T4_T5_S3_lS5_S3_lT6_S3_li
    .private_segment_fixed_size: 0
    .sgpr_count:     38
    .sgpr_spill_count: 0
    .symbol:         _ZL26rocblas_syr2k_her2k_kernelIlLb0ELb0ELb0ELi32EfPKfPfEvbiT_T4_T5_S3_lS5_S3_lT6_S3_li.kd
    .uniform_work_group_size: 1
    .uses_dynamic_stack: false
    .vgpr_count:     29
    .vgpr_spill_count: 0
    .wavefront_size: 64
  - .args:
      - .offset:         0
        .size:           1
        .value_kind:     by_value
      - .offset:         4
        .size:           4
        .value_kind:     by_value
      - .offset:         8
        .size:           8
        .value_kind:     by_value
      - .offset:         16
        .size:           4
        .value_kind:     by_value
      - .address_space:  global
        .offset:         24
        .size:           8
        .value_kind:     global_buffer
      - .offset:         32
        .size:           8
        .value_kind:     by_value
      - .offset:         40
        .size:           8
        .value_kind:     by_value
      - .address_space:  global
        .offset:         48
        .size:           8
        .value_kind:     global_buffer
      - .offset:         56
        .size:           8
        .value_kind:     by_value
      - .offset:         64
        .size:           8
        .value_kind:     by_value
      - .address_space:  global
        .offset:         72
        .size:           8
        .value_kind:     global_buffer
      - .offset:         80
        .size:           8
        .value_kind:     by_value
      - .offset:         88
        .size:           8
        .value_kind:     by_value
      - .offset:         96
        .size:           4
        .value_kind:     by_value
    .group_segment_fixed_size: 8192
    .kernarg_segment_align: 8
    .kernarg_segment_size: 100
    .language:       OpenCL C
    .language_version:
      - 2
      - 0
    .max_flat_workgroup_size: 1024
    .name:           _ZL26rocblas_syr2k_her2k_kernelIlLb0ELb0ELb1ELi32EfPKfPfEvbiT_T4_T5_S3_lS5_S3_lT6_S3_li
    .private_segment_fixed_size: 0
    .sgpr_count:     36
    .sgpr_spill_count: 0
    .symbol:         _ZL26rocblas_syr2k_her2k_kernelIlLb0ELb0ELb1ELi32EfPKfPfEvbiT_T4_T5_S3_lS5_S3_lT6_S3_li.kd
    .uniform_work_group_size: 1
    .uses_dynamic_stack: false
    .vgpr_count:     29
    .vgpr_spill_count: 0
    .wavefront_size: 64
  - .args:
      - .offset:         0
        .size:           4
        .value_kind:     by_value
      - .offset:         8
        .size:           8
        .value_kind:     by_value
      - .address_space:  global
        .offset:         16
        .size:           8
        .value_kind:     global_buffer
      - .offset:         24
        .size:           8
        .value_kind:     by_value
      - .offset:         32
        .size:           8
        .value_kind:     by_value
      - .address_space:  global
        .offset:         40
        .size:           8
        .value_kind:     global_buffer
      - .offset:         48
        .size:           8
        .value_kind:     by_value
      - .offset:         56
        .size:           8
        .value_kind:     by_value
      - .address_space:  global
        .offset:         64
        .size:           8
        .value_kind:     global_buffer
      - .offset:         72
        .size:           8
        .value_kind:     by_value
      - .offset:         80
        .size:           8
        .value_kind:     by_value
      - .offset:         88
        .size:           4
        .value_kind:     by_value
    .group_segment_fixed_size: 2048
    .kernarg_segment_align: 8
    .kernarg_segment_size: 92
    .language:       OpenCL C
    .language_version:
      - 2
      - 0
    .max_flat_workgroup_size: 256
    .name:           _ZL37rocblas_syrkx_herkx_restricted_kernelIlfLi16ELi32ELi8ELi1ELi1ELb0ELc84ELc76EKffEviT_PT9_S1_lS3_S1_lPT10_S1_li
    .private_segment_fixed_size: 0
    .sgpr_count:     32
    .sgpr_spill_count: 0
    .symbol:         _ZL37rocblas_syrkx_herkx_restricted_kernelIlfLi16ELi32ELi8ELi1ELi1ELb0ELc84ELc76EKffEviT_PT9_S1_lS3_S1_lPT10_S1_li.kd
    .uniform_work_group_size: 1
    .uses_dynamic_stack: false
    .vgpr_count:     34
    .vgpr_spill_count: 0
    .wavefront_size: 64
  - .args:
      - .offset:         0
        .size:           4
        .value_kind:     by_value
      - .offset:         8
        .size:           8
        .value_kind:     by_value
      - .address_space:  global
        .offset:         16
        .size:           8
        .value_kind:     global_buffer
      - .offset:         24
        .size:           8
        .value_kind:     by_value
      - .offset:         32
        .size:           8
        .value_kind:     by_value
      - .address_space:  global
        .offset:         40
        .size:           8
        .value_kind:     global_buffer
      - .offset:         48
        .size:           8
        .value_kind:     by_value
      - .offset:         56
        .size:           8
        .value_kind:     by_value
      - .address_space:  global
        .offset:         64
        .size:           8
        .value_kind:     global_buffer
      - .offset:         72
        .size:           8
        .value_kind:     by_value
      - .offset:         80
        .size:           8
        .value_kind:     by_value
      - .offset:         88
        .size:           4
        .value_kind:     by_value
    .group_segment_fixed_size: 2048
    .kernarg_segment_align: 8
    .kernarg_segment_size: 92
    .language:       OpenCL C
    .language_version:
      - 2
      - 0
    .max_flat_workgroup_size: 256
    .name:           _ZL37rocblas_syrkx_herkx_restricted_kernelIlfLi16ELi32ELi8ELi1ELi1ELb0ELc67ELc76EKffEviT_PT9_S1_lS3_S1_lPT10_S1_li
    .private_segment_fixed_size: 0
    .sgpr_count:     32
    .sgpr_spill_count: 0
    .symbol:         _ZL37rocblas_syrkx_herkx_restricted_kernelIlfLi16ELi32ELi8ELi1ELi1ELb0ELc67ELc76EKffEviT_PT9_S1_lS3_S1_lPT10_S1_li.kd
    .uniform_work_group_size: 1
    .uses_dynamic_stack: false
    .vgpr_count:     34
    .vgpr_spill_count: 0
    .wavefront_size: 64
  - .args:
      - .offset:         0
        .size:           4
        .value_kind:     by_value
      - .offset:         8
        .size:           8
        .value_kind:     by_value
      - .address_space:  global
        .offset:         16
        .size:           8
        .value_kind:     global_buffer
      - .offset:         24
        .size:           8
        .value_kind:     by_value
      - .offset:         32
        .size:           8
        .value_kind:     by_value
      - .address_space:  global
        .offset:         40
        .size:           8
        .value_kind:     global_buffer
      - .offset:         48
        .size:           8
        .value_kind:     by_value
      - .offset:         56
        .size:           8
        .value_kind:     by_value
      - .address_space:  global
        .offset:         64
        .size:           8
        .value_kind:     global_buffer
      - .offset:         72
        .size:           8
        .value_kind:     by_value
      - .offset:         80
        .size:           8
        .value_kind:     by_value
      - .offset:         88
        .size:           4
        .value_kind:     by_value
    .group_segment_fixed_size: 2048
    .kernarg_segment_align: 8
    .kernarg_segment_size: 92
    .language:       OpenCL C
    .language_version:
      - 2
      - 0
    .max_flat_workgroup_size: 256
    .name:           _ZL37rocblas_syrkx_herkx_restricted_kernelIlfLi16ELi32ELi8ELi1ELi1ELb0ELc78ELc76EKffEviT_PT9_S1_lS3_S1_lPT10_S1_li
    .private_segment_fixed_size: 0
    .sgpr_count:     33
    .sgpr_spill_count: 0
    .symbol:         _ZL37rocblas_syrkx_herkx_restricted_kernelIlfLi16ELi32ELi8ELi1ELi1ELb0ELc78ELc76EKffEviT_PT9_S1_lS3_S1_lPT10_S1_li.kd
    .uniform_work_group_size: 1
    .uses_dynamic_stack: false
    .vgpr_count:     34
    .vgpr_spill_count: 0
    .wavefront_size: 64
  - .args:
      - .offset:         0
        .size:           4
        .value_kind:     by_value
      - .offset:         8
        .size:           8
        .value_kind:     by_value
      - .address_space:  global
        .offset:         16
        .size:           8
        .value_kind:     global_buffer
      - .offset:         24
        .size:           8
        .value_kind:     by_value
      - .offset:         32
        .size:           8
        .value_kind:     by_value
      - .address_space:  global
        .offset:         40
        .size:           8
        .value_kind:     global_buffer
      - .offset:         48
        .size:           8
        .value_kind:     by_value
      - .offset:         56
        .size:           8
        .value_kind:     by_value
      - .address_space:  global
        .offset:         64
        .size:           8
        .value_kind:     global_buffer
      - .offset:         72
        .size:           8
        .value_kind:     by_value
      - .offset:         80
        .size:           8
        .value_kind:     by_value
      - .offset:         88
        .size:           4
        .value_kind:     by_value
    .group_segment_fixed_size: 2048
    .kernarg_segment_align: 8
    .kernarg_segment_size: 92
    .language:       OpenCL C
    .language_version:
      - 2
      - 0
    .max_flat_workgroup_size: 256
    .name:           _ZL37rocblas_syrkx_herkx_restricted_kernelIlfLi16ELi32ELi8ELi1ELi1ELb0ELc84ELc85EKffEviT_PT9_S1_lS3_S1_lPT10_S1_li
    .private_segment_fixed_size: 0
    .sgpr_count:     32
    .sgpr_spill_count: 0
    .symbol:         _ZL37rocblas_syrkx_herkx_restricted_kernelIlfLi16ELi32ELi8ELi1ELi1ELb0ELc84ELc85EKffEviT_PT9_S1_lS3_S1_lPT10_S1_li.kd
    .uniform_work_group_size: 1
    .uses_dynamic_stack: false
    .vgpr_count:     34
    .vgpr_spill_count: 0
    .wavefront_size: 64
  - .args:
      - .offset:         0
        .size:           4
        .value_kind:     by_value
      - .offset:         8
        .size:           8
        .value_kind:     by_value
      - .address_space:  global
        .offset:         16
        .size:           8
        .value_kind:     global_buffer
      - .offset:         24
        .size:           8
        .value_kind:     by_value
      - .offset:         32
        .size:           8
        .value_kind:     by_value
      - .address_space:  global
        .offset:         40
        .size:           8
        .value_kind:     global_buffer
      - .offset:         48
        .size:           8
        .value_kind:     by_value
      - .offset:         56
        .size:           8
        .value_kind:     by_value
      - .address_space:  global
        .offset:         64
        .size:           8
        .value_kind:     global_buffer
      - .offset:         72
        .size:           8
        .value_kind:     by_value
      - .offset:         80
        .size:           8
        .value_kind:     by_value
      - .offset:         88
        .size:           4
        .value_kind:     by_value
    .group_segment_fixed_size: 2048
    .kernarg_segment_align: 8
    .kernarg_segment_size: 92
    .language:       OpenCL C
    .language_version:
      - 2
      - 0
    .max_flat_workgroup_size: 256
    .name:           _ZL37rocblas_syrkx_herkx_restricted_kernelIlfLi16ELi32ELi8ELi1ELi1ELb0ELc67ELc85EKffEviT_PT9_S1_lS3_S1_lPT10_S1_li
    .private_segment_fixed_size: 0
    .sgpr_count:     32
    .sgpr_spill_count: 0
    .symbol:         _ZL37rocblas_syrkx_herkx_restricted_kernelIlfLi16ELi32ELi8ELi1ELi1ELb0ELc67ELc85EKffEviT_PT9_S1_lS3_S1_lPT10_S1_li.kd
    .uniform_work_group_size: 1
    .uses_dynamic_stack: false
    .vgpr_count:     34
    .vgpr_spill_count: 0
    .wavefront_size: 64
  - .args:
      - .offset:         0
        .size:           4
        .value_kind:     by_value
      - .offset:         8
        .size:           8
        .value_kind:     by_value
      - .address_space:  global
        .offset:         16
        .size:           8
        .value_kind:     global_buffer
      - .offset:         24
        .size:           8
        .value_kind:     by_value
      - .offset:         32
        .size:           8
        .value_kind:     by_value
      - .address_space:  global
        .offset:         40
        .size:           8
        .value_kind:     global_buffer
      - .offset:         48
        .size:           8
        .value_kind:     by_value
      - .offset:         56
        .size:           8
        .value_kind:     by_value
      - .address_space:  global
        .offset:         64
        .size:           8
        .value_kind:     global_buffer
      - .offset:         72
        .size:           8
        .value_kind:     by_value
      - .offset:         80
        .size:           8
        .value_kind:     by_value
      - .offset:         88
        .size:           4
        .value_kind:     by_value
    .group_segment_fixed_size: 2048
    .kernarg_segment_align: 8
    .kernarg_segment_size: 92
    .language:       OpenCL C
    .language_version:
      - 2
      - 0
    .max_flat_workgroup_size: 256
    .name:           _ZL37rocblas_syrkx_herkx_restricted_kernelIlfLi16ELi32ELi8ELi1ELi1ELb0ELc78ELc85EKffEviT_PT9_S1_lS3_S1_lPT10_S1_li
    .private_segment_fixed_size: 0
    .sgpr_count:     33
    .sgpr_spill_count: 0
    .symbol:         _ZL37rocblas_syrkx_herkx_restricted_kernelIlfLi16ELi32ELi8ELi1ELi1ELb0ELc78ELc85EKffEviT_PT9_S1_lS3_S1_lPT10_S1_li.kd
    .uniform_work_group_size: 1
    .uses_dynamic_stack: false
    .vgpr_count:     34
    .vgpr_spill_count: 0
    .wavefront_size: 64
  - .args:
      - .offset:         0
        .size:           4
        .value_kind:     by_value
      - .offset:         8
        .size:           8
        .value_kind:     by_value
      - .address_space:  global
        .offset:         16
        .size:           8
        .value_kind:     global_buffer
      - .offset:         24
        .size:           8
        .value_kind:     by_value
      - .offset:         32
        .size:           8
        .value_kind:     by_value
      - .address_space:  global
        .offset:         40
        .size:           8
        .value_kind:     global_buffer
      - .offset:         48
        .size:           8
        .value_kind:     by_value
      - .offset:         56
        .size:           8
        .value_kind:     by_value
      - .address_space:  global
        .offset:         64
        .size:           8
        .value_kind:     global_buffer
      - .offset:         72
        .size:           8
        .value_kind:     by_value
      - .offset:         80
        .size:           8
        .value_kind:     by_value
      - .offset:         88
        .size:           4
        .value_kind:     by_value
    .group_segment_fixed_size: 2048
    .kernarg_segment_align: 8
    .kernarg_segment_size: 92
    .language:       OpenCL C
    .language_version:
      - 2
      - 0
    .max_flat_workgroup_size: 256
    .name:           _ZL37rocblas_syrkx_herkx_restricted_kernelIlfLi16ELi32ELi8ELi1ELin1ELb0ELc84ELc76EKffEviT_PT9_S1_lS3_S1_lPT10_S1_li
    .private_segment_fixed_size: 0
    .sgpr_count:     32
    .sgpr_spill_count: 0
    .symbol:         _ZL37rocblas_syrkx_herkx_restricted_kernelIlfLi16ELi32ELi8ELi1ELin1ELb0ELc84ELc76EKffEviT_PT9_S1_lS3_S1_lPT10_S1_li.kd
    .uniform_work_group_size: 1
    .uses_dynamic_stack: false
    .vgpr_count:     34
    .vgpr_spill_count: 0
    .wavefront_size: 64
  - .args:
      - .offset:         0
        .size:           4
        .value_kind:     by_value
      - .offset:         8
        .size:           8
        .value_kind:     by_value
      - .address_space:  global
        .offset:         16
        .size:           8
        .value_kind:     global_buffer
      - .offset:         24
        .size:           8
        .value_kind:     by_value
      - .offset:         32
        .size:           8
        .value_kind:     by_value
      - .address_space:  global
        .offset:         40
        .size:           8
        .value_kind:     global_buffer
      - .offset:         48
        .size:           8
        .value_kind:     by_value
      - .offset:         56
        .size:           8
        .value_kind:     by_value
      - .address_space:  global
        .offset:         64
        .size:           8
        .value_kind:     global_buffer
      - .offset:         72
        .size:           8
        .value_kind:     by_value
      - .offset:         80
        .size:           8
        .value_kind:     by_value
      - .offset:         88
        .size:           4
        .value_kind:     by_value
    .group_segment_fixed_size: 2048
    .kernarg_segment_align: 8
    .kernarg_segment_size: 92
    .language:       OpenCL C
    .language_version:
      - 2
      - 0
    .max_flat_workgroup_size: 256
    .name:           _ZL37rocblas_syrkx_herkx_restricted_kernelIlfLi16ELi32ELi8ELi1ELin1ELb0ELc67ELc76EKffEviT_PT9_S1_lS3_S1_lPT10_S1_li
    .private_segment_fixed_size: 0
    .sgpr_count:     32
    .sgpr_spill_count: 0
    .symbol:         _ZL37rocblas_syrkx_herkx_restricted_kernelIlfLi16ELi32ELi8ELi1ELin1ELb0ELc67ELc76EKffEviT_PT9_S1_lS3_S1_lPT10_S1_li.kd
    .uniform_work_group_size: 1
    .uses_dynamic_stack: false
    .vgpr_count:     34
    .vgpr_spill_count: 0
    .wavefront_size: 64
  - .args:
      - .offset:         0
        .size:           4
        .value_kind:     by_value
      - .offset:         8
        .size:           8
        .value_kind:     by_value
      - .address_space:  global
        .offset:         16
        .size:           8
        .value_kind:     global_buffer
      - .offset:         24
        .size:           8
        .value_kind:     by_value
      - .offset:         32
        .size:           8
        .value_kind:     by_value
      - .address_space:  global
        .offset:         40
        .size:           8
        .value_kind:     global_buffer
      - .offset:         48
        .size:           8
        .value_kind:     by_value
      - .offset:         56
        .size:           8
        .value_kind:     by_value
      - .address_space:  global
        .offset:         64
        .size:           8
        .value_kind:     global_buffer
      - .offset:         72
        .size:           8
        .value_kind:     by_value
      - .offset:         80
        .size:           8
        .value_kind:     by_value
      - .offset:         88
        .size:           4
        .value_kind:     by_value
    .group_segment_fixed_size: 2048
    .kernarg_segment_align: 8
    .kernarg_segment_size: 92
    .language:       OpenCL C
    .language_version:
      - 2
      - 0
    .max_flat_workgroup_size: 256
    .name:           _ZL37rocblas_syrkx_herkx_restricted_kernelIlfLi16ELi32ELi8ELi1ELin1ELb0ELc78ELc76EKffEviT_PT9_S1_lS3_S1_lPT10_S1_li
    .private_segment_fixed_size: 0
    .sgpr_count:     33
    .sgpr_spill_count: 0
    .symbol:         _ZL37rocblas_syrkx_herkx_restricted_kernelIlfLi16ELi32ELi8ELi1ELin1ELb0ELc78ELc76EKffEviT_PT9_S1_lS3_S1_lPT10_S1_li.kd
    .uniform_work_group_size: 1
    .uses_dynamic_stack: false
    .vgpr_count:     34
    .vgpr_spill_count: 0
    .wavefront_size: 64
  - .args:
      - .offset:         0
        .size:           4
        .value_kind:     by_value
      - .offset:         8
        .size:           8
        .value_kind:     by_value
      - .address_space:  global
        .offset:         16
        .size:           8
        .value_kind:     global_buffer
      - .offset:         24
        .size:           8
        .value_kind:     by_value
      - .offset:         32
        .size:           8
        .value_kind:     by_value
      - .address_space:  global
        .offset:         40
        .size:           8
        .value_kind:     global_buffer
      - .offset:         48
        .size:           8
        .value_kind:     by_value
      - .offset:         56
        .size:           8
        .value_kind:     by_value
      - .address_space:  global
        .offset:         64
        .size:           8
        .value_kind:     global_buffer
      - .offset:         72
        .size:           8
        .value_kind:     by_value
      - .offset:         80
        .size:           8
        .value_kind:     by_value
      - .offset:         88
        .size:           4
        .value_kind:     by_value
    .group_segment_fixed_size: 2048
    .kernarg_segment_align: 8
    .kernarg_segment_size: 92
    .language:       OpenCL C
    .language_version:
      - 2
      - 0
    .max_flat_workgroup_size: 256
    .name:           _ZL37rocblas_syrkx_herkx_restricted_kernelIlfLi16ELi32ELi8ELi1ELin1ELb0ELc84ELc85EKffEviT_PT9_S1_lS3_S1_lPT10_S1_li
    .private_segment_fixed_size: 0
    .sgpr_count:     32
    .sgpr_spill_count: 0
    .symbol:         _ZL37rocblas_syrkx_herkx_restricted_kernelIlfLi16ELi32ELi8ELi1ELin1ELb0ELc84ELc85EKffEviT_PT9_S1_lS3_S1_lPT10_S1_li.kd
    .uniform_work_group_size: 1
    .uses_dynamic_stack: false
    .vgpr_count:     34
    .vgpr_spill_count: 0
    .wavefront_size: 64
  - .args:
      - .offset:         0
        .size:           4
        .value_kind:     by_value
      - .offset:         8
        .size:           8
        .value_kind:     by_value
      - .address_space:  global
        .offset:         16
        .size:           8
        .value_kind:     global_buffer
      - .offset:         24
        .size:           8
        .value_kind:     by_value
      - .offset:         32
        .size:           8
        .value_kind:     by_value
      - .address_space:  global
        .offset:         40
        .size:           8
        .value_kind:     global_buffer
      - .offset:         48
        .size:           8
        .value_kind:     by_value
      - .offset:         56
        .size:           8
        .value_kind:     by_value
      - .address_space:  global
        .offset:         64
        .size:           8
        .value_kind:     global_buffer
      - .offset:         72
        .size:           8
        .value_kind:     by_value
      - .offset:         80
        .size:           8
        .value_kind:     by_value
      - .offset:         88
        .size:           4
        .value_kind:     by_value
    .group_segment_fixed_size: 2048
    .kernarg_segment_align: 8
    .kernarg_segment_size: 92
    .language:       OpenCL C
    .language_version:
      - 2
      - 0
    .max_flat_workgroup_size: 256
    .name:           _ZL37rocblas_syrkx_herkx_restricted_kernelIlfLi16ELi32ELi8ELi1ELin1ELb0ELc67ELc85EKffEviT_PT9_S1_lS3_S1_lPT10_S1_li
    .private_segment_fixed_size: 0
    .sgpr_count:     32
    .sgpr_spill_count: 0
    .symbol:         _ZL37rocblas_syrkx_herkx_restricted_kernelIlfLi16ELi32ELi8ELi1ELin1ELb0ELc67ELc85EKffEviT_PT9_S1_lS3_S1_lPT10_S1_li.kd
    .uniform_work_group_size: 1
    .uses_dynamic_stack: false
    .vgpr_count:     34
    .vgpr_spill_count: 0
    .wavefront_size: 64
  - .args:
      - .offset:         0
        .size:           4
        .value_kind:     by_value
      - .offset:         8
        .size:           8
        .value_kind:     by_value
      - .address_space:  global
        .offset:         16
        .size:           8
        .value_kind:     global_buffer
      - .offset:         24
        .size:           8
        .value_kind:     by_value
      - .offset:         32
        .size:           8
        .value_kind:     by_value
      - .address_space:  global
        .offset:         40
        .size:           8
        .value_kind:     global_buffer
      - .offset:         48
        .size:           8
        .value_kind:     by_value
      - .offset:         56
        .size:           8
        .value_kind:     by_value
      - .address_space:  global
        .offset:         64
        .size:           8
        .value_kind:     global_buffer
      - .offset:         72
        .size:           8
        .value_kind:     by_value
      - .offset:         80
        .size:           8
        .value_kind:     by_value
      - .offset:         88
        .size:           4
        .value_kind:     by_value
    .group_segment_fixed_size: 2048
    .kernarg_segment_align: 8
    .kernarg_segment_size: 92
    .language:       OpenCL C
    .language_version:
      - 2
      - 0
    .max_flat_workgroup_size: 256
    .name:           _ZL37rocblas_syrkx_herkx_restricted_kernelIlfLi16ELi32ELi8ELi1ELin1ELb0ELc78ELc85EKffEviT_PT9_S1_lS3_S1_lPT10_S1_li
    .private_segment_fixed_size: 0
    .sgpr_count:     33
    .sgpr_spill_count: 0
    .symbol:         _ZL37rocblas_syrkx_herkx_restricted_kernelIlfLi16ELi32ELi8ELi1ELin1ELb0ELc78ELc85EKffEviT_PT9_S1_lS3_S1_lPT10_S1_li.kd
    .uniform_work_group_size: 1
    .uses_dynamic_stack: false
    .vgpr_count:     34
    .vgpr_spill_count: 0
    .wavefront_size: 64
  - .args:
      - .offset:         0
        .size:           4
        .value_kind:     by_value
      - .offset:         8
        .size:           8
        .value_kind:     by_value
      - .address_space:  global
        .offset:         16
        .size:           8
        .value_kind:     global_buffer
      - .offset:         24
        .size:           8
        .value_kind:     by_value
      - .offset:         32
        .size:           8
        .value_kind:     by_value
      - .address_space:  global
        .offset:         40
        .size:           8
        .value_kind:     global_buffer
      - .offset:         48
        .size:           8
        .value_kind:     by_value
      - .offset:         56
        .size:           8
        .value_kind:     by_value
      - .address_space:  global
        .offset:         64
        .size:           8
        .value_kind:     global_buffer
      - .offset:         72
        .size:           8
        .value_kind:     by_value
      - .offset:         80
        .size:           8
        .value_kind:     by_value
      - .offset:         88
        .size:           4
        .value_kind:     by_value
    .group_segment_fixed_size: 2048
    .kernarg_segment_align: 8
    .kernarg_segment_size: 92
    .language:       OpenCL C
    .language_version:
      - 2
      - 0
    .max_flat_workgroup_size: 256
    .name:           _ZL37rocblas_syrkx_herkx_restricted_kernelIlfLi16ELi32ELi8ELi1ELi0ELb0ELc84ELc76EKffEviT_PT9_S1_lS3_S1_lPT10_S1_li
    .private_segment_fixed_size: 0
    .sgpr_count:     32
    .sgpr_spill_count: 0
    .symbol:         _ZL37rocblas_syrkx_herkx_restricted_kernelIlfLi16ELi32ELi8ELi1ELi0ELb0ELc84ELc76EKffEviT_PT9_S1_lS3_S1_lPT10_S1_li.kd
    .uniform_work_group_size: 1
    .uses_dynamic_stack: false
    .vgpr_count:     34
    .vgpr_spill_count: 0
    .wavefront_size: 64
  - .args:
      - .offset:         0
        .size:           4
        .value_kind:     by_value
      - .offset:         8
        .size:           8
        .value_kind:     by_value
      - .address_space:  global
        .offset:         16
        .size:           8
        .value_kind:     global_buffer
      - .offset:         24
        .size:           8
        .value_kind:     by_value
      - .offset:         32
        .size:           8
        .value_kind:     by_value
      - .address_space:  global
        .offset:         40
        .size:           8
        .value_kind:     global_buffer
      - .offset:         48
        .size:           8
        .value_kind:     by_value
      - .offset:         56
        .size:           8
        .value_kind:     by_value
      - .address_space:  global
        .offset:         64
        .size:           8
        .value_kind:     global_buffer
      - .offset:         72
        .size:           8
        .value_kind:     by_value
      - .offset:         80
        .size:           8
        .value_kind:     by_value
      - .offset:         88
        .size:           4
        .value_kind:     by_value
    .group_segment_fixed_size: 2048
    .kernarg_segment_align: 8
    .kernarg_segment_size: 92
    .language:       OpenCL C
    .language_version:
      - 2
      - 0
    .max_flat_workgroup_size: 256
    .name:           _ZL37rocblas_syrkx_herkx_restricted_kernelIlfLi16ELi32ELi8ELi1ELi0ELb0ELc67ELc76EKffEviT_PT9_S1_lS3_S1_lPT10_S1_li
    .private_segment_fixed_size: 0
    .sgpr_count:     32
    .sgpr_spill_count: 0
    .symbol:         _ZL37rocblas_syrkx_herkx_restricted_kernelIlfLi16ELi32ELi8ELi1ELi0ELb0ELc67ELc76EKffEviT_PT9_S1_lS3_S1_lPT10_S1_li.kd
    .uniform_work_group_size: 1
    .uses_dynamic_stack: false
    .vgpr_count:     34
    .vgpr_spill_count: 0
    .wavefront_size: 64
  - .args:
      - .offset:         0
        .size:           4
        .value_kind:     by_value
      - .offset:         8
        .size:           8
        .value_kind:     by_value
      - .address_space:  global
        .offset:         16
        .size:           8
        .value_kind:     global_buffer
      - .offset:         24
        .size:           8
        .value_kind:     by_value
      - .offset:         32
        .size:           8
        .value_kind:     by_value
      - .address_space:  global
        .offset:         40
        .size:           8
        .value_kind:     global_buffer
      - .offset:         48
        .size:           8
        .value_kind:     by_value
      - .offset:         56
        .size:           8
        .value_kind:     by_value
      - .address_space:  global
        .offset:         64
        .size:           8
        .value_kind:     global_buffer
      - .offset:         72
        .size:           8
        .value_kind:     by_value
      - .offset:         80
        .size:           8
        .value_kind:     by_value
      - .offset:         88
        .size:           4
        .value_kind:     by_value
    .group_segment_fixed_size: 2048
    .kernarg_segment_align: 8
    .kernarg_segment_size: 92
    .language:       OpenCL C
    .language_version:
      - 2
      - 0
    .max_flat_workgroup_size: 256
    .name:           _ZL37rocblas_syrkx_herkx_restricted_kernelIlfLi16ELi32ELi8ELi1ELi0ELb0ELc78ELc76EKffEviT_PT9_S1_lS3_S1_lPT10_S1_li
    .private_segment_fixed_size: 0
    .sgpr_count:     33
    .sgpr_spill_count: 0
    .symbol:         _ZL37rocblas_syrkx_herkx_restricted_kernelIlfLi16ELi32ELi8ELi1ELi0ELb0ELc78ELc76EKffEviT_PT9_S1_lS3_S1_lPT10_S1_li.kd
    .uniform_work_group_size: 1
    .uses_dynamic_stack: false
    .vgpr_count:     34
    .vgpr_spill_count: 0
    .wavefront_size: 64
  - .args:
      - .offset:         0
        .size:           4
        .value_kind:     by_value
      - .offset:         8
        .size:           8
        .value_kind:     by_value
      - .address_space:  global
        .offset:         16
        .size:           8
        .value_kind:     global_buffer
      - .offset:         24
        .size:           8
        .value_kind:     by_value
      - .offset:         32
        .size:           8
        .value_kind:     by_value
      - .address_space:  global
        .offset:         40
        .size:           8
        .value_kind:     global_buffer
      - .offset:         48
        .size:           8
        .value_kind:     by_value
      - .offset:         56
        .size:           8
        .value_kind:     by_value
      - .address_space:  global
        .offset:         64
        .size:           8
        .value_kind:     global_buffer
      - .offset:         72
        .size:           8
        .value_kind:     by_value
      - .offset:         80
        .size:           8
        .value_kind:     by_value
      - .offset:         88
        .size:           4
        .value_kind:     by_value
    .group_segment_fixed_size: 2048
    .kernarg_segment_align: 8
    .kernarg_segment_size: 92
    .language:       OpenCL C
    .language_version:
      - 2
      - 0
    .max_flat_workgroup_size: 256
    .name:           _ZL37rocblas_syrkx_herkx_restricted_kernelIlfLi16ELi32ELi8ELi1ELi0ELb0ELc84ELc85EKffEviT_PT9_S1_lS3_S1_lPT10_S1_li
    .private_segment_fixed_size: 0
    .sgpr_count:     32
    .sgpr_spill_count: 0
    .symbol:         _ZL37rocblas_syrkx_herkx_restricted_kernelIlfLi16ELi32ELi8ELi1ELi0ELb0ELc84ELc85EKffEviT_PT9_S1_lS3_S1_lPT10_S1_li.kd
    .uniform_work_group_size: 1
    .uses_dynamic_stack: false
    .vgpr_count:     34
    .vgpr_spill_count: 0
    .wavefront_size: 64
  - .args:
      - .offset:         0
        .size:           4
        .value_kind:     by_value
      - .offset:         8
        .size:           8
        .value_kind:     by_value
      - .address_space:  global
        .offset:         16
        .size:           8
        .value_kind:     global_buffer
      - .offset:         24
        .size:           8
        .value_kind:     by_value
      - .offset:         32
        .size:           8
        .value_kind:     by_value
      - .address_space:  global
        .offset:         40
        .size:           8
        .value_kind:     global_buffer
      - .offset:         48
        .size:           8
        .value_kind:     by_value
      - .offset:         56
        .size:           8
        .value_kind:     by_value
      - .address_space:  global
        .offset:         64
        .size:           8
        .value_kind:     global_buffer
      - .offset:         72
        .size:           8
        .value_kind:     by_value
      - .offset:         80
        .size:           8
        .value_kind:     by_value
      - .offset:         88
        .size:           4
        .value_kind:     by_value
    .group_segment_fixed_size: 2048
    .kernarg_segment_align: 8
    .kernarg_segment_size: 92
    .language:       OpenCL C
    .language_version:
      - 2
      - 0
    .max_flat_workgroup_size: 256
    .name:           _ZL37rocblas_syrkx_herkx_restricted_kernelIlfLi16ELi32ELi8ELi1ELi0ELb0ELc67ELc85EKffEviT_PT9_S1_lS3_S1_lPT10_S1_li
    .private_segment_fixed_size: 0
    .sgpr_count:     32
    .sgpr_spill_count: 0
    .symbol:         _ZL37rocblas_syrkx_herkx_restricted_kernelIlfLi16ELi32ELi8ELi1ELi0ELb0ELc67ELc85EKffEviT_PT9_S1_lS3_S1_lPT10_S1_li.kd
    .uniform_work_group_size: 1
    .uses_dynamic_stack: false
    .vgpr_count:     34
    .vgpr_spill_count: 0
    .wavefront_size: 64
  - .args:
      - .offset:         0
        .size:           4
        .value_kind:     by_value
      - .offset:         8
        .size:           8
        .value_kind:     by_value
      - .address_space:  global
        .offset:         16
        .size:           8
        .value_kind:     global_buffer
      - .offset:         24
        .size:           8
        .value_kind:     by_value
      - .offset:         32
        .size:           8
        .value_kind:     by_value
      - .address_space:  global
        .offset:         40
        .size:           8
        .value_kind:     global_buffer
      - .offset:         48
        .size:           8
        .value_kind:     by_value
      - .offset:         56
        .size:           8
        .value_kind:     by_value
      - .address_space:  global
        .offset:         64
        .size:           8
        .value_kind:     global_buffer
      - .offset:         72
        .size:           8
        .value_kind:     by_value
      - .offset:         80
        .size:           8
        .value_kind:     by_value
      - .offset:         88
        .size:           4
        .value_kind:     by_value
    .group_segment_fixed_size: 2048
    .kernarg_segment_align: 8
    .kernarg_segment_size: 92
    .language:       OpenCL C
    .language_version:
      - 2
      - 0
    .max_flat_workgroup_size: 256
    .name:           _ZL37rocblas_syrkx_herkx_restricted_kernelIlfLi16ELi32ELi8ELi1ELi0ELb0ELc78ELc85EKffEviT_PT9_S1_lS3_S1_lPT10_S1_li
    .private_segment_fixed_size: 0
    .sgpr_count:     33
    .sgpr_spill_count: 0
    .symbol:         _ZL37rocblas_syrkx_herkx_restricted_kernelIlfLi16ELi32ELi8ELi1ELi0ELb0ELc78ELc85EKffEviT_PT9_S1_lS3_S1_lPT10_S1_li.kd
    .uniform_work_group_size: 1
    .uses_dynamic_stack: false
    .vgpr_count:     34
    .vgpr_spill_count: 0
    .wavefront_size: 64
  - .args:
      - .offset:         0
        .size:           4
        .value_kind:     by_value
      - .offset:         8
        .size:           8
        .value_kind:     by_value
      - .address_space:  global
        .offset:         16
        .size:           8
        .value_kind:     global_buffer
      - .offset:         24
        .size:           8
        .value_kind:     by_value
      - .offset:         32
        .size:           8
        .value_kind:     by_value
      - .address_space:  global
        .offset:         40
        .size:           8
        .value_kind:     global_buffer
      - .offset:         48
        .size:           8
        .value_kind:     by_value
      - .offset:         56
        .size:           8
        .value_kind:     by_value
      - .address_space:  global
        .offset:         64
        .size:           8
        .value_kind:     global_buffer
      - .offset:         72
        .size:           8
        .value_kind:     by_value
      - .offset:         80
        .size:           8
        .value_kind:     by_value
      - .offset:         88
        .size:           4
        .value_kind:     by_value
    .group_segment_fixed_size: 2048
    .kernarg_segment_align: 8
    .kernarg_segment_size: 92
    .language:       OpenCL C
    .language_version:
      - 2
      - 0
    .max_flat_workgroup_size: 256
    .name:           _ZL37rocblas_syrkx_herkx_restricted_kernelIlfLi16ELi32ELi8ELin1ELi0ELb0ELc84ELc76EKffEviT_PT9_S1_lS3_S1_lPT10_S1_li
    .private_segment_fixed_size: 0
    .sgpr_count:     32
    .sgpr_spill_count: 0
    .symbol:         _ZL37rocblas_syrkx_herkx_restricted_kernelIlfLi16ELi32ELi8ELin1ELi0ELb0ELc84ELc76EKffEviT_PT9_S1_lS3_S1_lPT10_S1_li.kd
    .uniform_work_group_size: 1
    .uses_dynamic_stack: false
    .vgpr_count:     34
    .vgpr_spill_count: 0
    .wavefront_size: 64
  - .args:
      - .offset:         0
        .size:           4
        .value_kind:     by_value
      - .offset:         8
        .size:           8
        .value_kind:     by_value
      - .address_space:  global
        .offset:         16
        .size:           8
        .value_kind:     global_buffer
      - .offset:         24
        .size:           8
        .value_kind:     by_value
      - .offset:         32
        .size:           8
        .value_kind:     by_value
      - .address_space:  global
        .offset:         40
        .size:           8
        .value_kind:     global_buffer
      - .offset:         48
        .size:           8
        .value_kind:     by_value
      - .offset:         56
        .size:           8
        .value_kind:     by_value
      - .address_space:  global
        .offset:         64
        .size:           8
        .value_kind:     global_buffer
      - .offset:         72
        .size:           8
        .value_kind:     by_value
      - .offset:         80
        .size:           8
        .value_kind:     by_value
      - .offset:         88
        .size:           4
        .value_kind:     by_value
    .group_segment_fixed_size: 2048
    .kernarg_segment_align: 8
    .kernarg_segment_size: 92
    .language:       OpenCL C
    .language_version:
      - 2
      - 0
    .max_flat_workgroup_size: 256
    .name:           _ZL37rocblas_syrkx_herkx_restricted_kernelIlfLi16ELi32ELi8ELin1ELi0ELb0ELc67ELc76EKffEviT_PT9_S1_lS3_S1_lPT10_S1_li
    .private_segment_fixed_size: 0
    .sgpr_count:     32
    .sgpr_spill_count: 0
    .symbol:         _ZL37rocblas_syrkx_herkx_restricted_kernelIlfLi16ELi32ELi8ELin1ELi0ELb0ELc67ELc76EKffEviT_PT9_S1_lS3_S1_lPT10_S1_li.kd
    .uniform_work_group_size: 1
    .uses_dynamic_stack: false
    .vgpr_count:     34
    .vgpr_spill_count: 0
    .wavefront_size: 64
  - .args:
      - .offset:         0
        .size:           4
        .value_kind:     by_value
      - .offset:         8
        .size:           8
        .value_kind:     by_value
      - .address_space:  global
        .offset:         16
        .size:           8
        .value_kind:     global_buffer
      - .offset:         24
        .size:           8
        .value_kind:     by_value
      - .offset:         32
        .size:           8
        .value_kind:     by_value
      - .address_space:  global
        .offset:         40
        .size:           8
        .value_kind:     global_buffer
      - .offset:         48
        .size:           8
        .value_kind:     by_value
      - .offset:         56
        .size:           8
        .value_kind:     by_value
      - .address_space:  global
        .offset:         64
        .size:           8
        .value_kind:     global_buffer
      - .offset:         72
        .size:           8
        .value_kind:     by_value
      - .offset:         80
        .size:           8
        .value_kind:     by_value
      - .offset:         88
        .size:           4
        .value_kind:     by_value
    .group_segment_fixed_size: 2048
    .kernarg_segment_align: 8
    .kernarg_segment_size: 92
    .language:       OpenCL C
    .language_version:
      - 2
      - 0
    .max_flat_workgroup_size: 256
    .name:           _ZL37rocblas_syrkx_herkx_restricted_kernelIlfLi16ELi32ELi8ELin1ELi0ELb0ELc78ELc76EKffEviT_PT9_S1_lS3_S1_lPT10_S1_li
    .private_segment_fixed_size: 0
    .sgpr_count:     33
    .sgpr_spill_count: 0
    .symbol:         _ZL37rocblas_syrkx_herkx_restricted_kernelIlfLi16ELi32ELi8ELin1ELi0ELb0ELc78ELc76EKffEviT_PT9_S1_lS3_S1_lPT10_S1_li.kd
    .uniform_work_group_size: 1
    .uses_dynamic_stack: false
    .vgpr_count:     34
    .vgpr_spill_count: 0
    .wavefront_size: 64
  - .args:
      - .offset:         0
        .size:           4
        .value_kind:     by_value
      - .offset:         8
        .size:           8
        .value_kind:     by_value
      - .address_space:  global
        .offset:         16
        .size:           8
        .value_kind:     global_buffer
      - .offset:         24
        .size:           8
        .value_kind:     by_value
      - .offset:         32
        .size:           8
        .value_kind:     by_value
      - .address_space:  global
        .offset:         40
        .size:           8
        .value_kind:     global_buffer
      - .offset:         48
        .size:           8
        .value_kind:     by_value
      - .offset:         56
        .size:           8
        .value_kind:     by_value
      - .address_space:  global
        .offset:         64
        .size:           8
        .value_kind:     global_buffer
      - .offset:         72
        .size:           8
        .value_kind:     by_value
      - .offset:         80
        .size:           8
        .value_kind:     by_value
      - .offset:         88
        .size:           4
        .value_kind:     by_value
    .group_segment_fixed_size: 2048
    .kernarg_segment_align: 8
    .kernarg_segment_size: 92
    .language:       OpenCL C
    .language_version:
      - 2
      - 0
    .max_flat_workgroup_size: 256
    .name:           _ZL37rocblas_syrkx_herkx_restricted_kernelIlfLi16ELi32ELi8ELin1ELi0ELb0ELc84ELc85EKffEviT_PT9_S1_lS3_S1_lPT10_S1_li
    .private_segment_fixed_size: 0
    .sgpr_count:     32
    .sgpr_spill_count: 0
    .symbol:         _ZL37rocblas_syrkx_herkx_restricted_kernelIlfLi16ELi32ELi8ELin1ELi0ELb0ELc84ELc85EKffEviT_PT9_S1_lS3_S1_lPT10_S1_li.kd
    .uniform_work_group_size: 1
    .uses_dynamic_stack: false
    .vgpr_count:     34
    .vgpr_spill_count: 0
    .wavefront_size: 64
  - .args:
      - .offset:         0
        .size:           4
        .value_kind:     by_value
      - .offset:         8
        .size:           8
        .value_kind:     by_value
      - .address_space:  global
        .offset:         16
        .size:           8
        .value_kind:     global_buffer
      - .offset:         24
        .size:           8
        .value_kind:     by_value
      - .offset:         32
        .size:           8
        .value_kind:     by_value
      - .address_space:  global
        .offset:         40
        .size:           8
        .value_kind:     global_buffer
      - .offset:         48
        .size:           8
        .value_kind:     by_value
      - .offset:         56
        .size:           8
        .value_kind:     by_value
      - .address_space:  global
        .offset:         64
        .size:           8
        .value_kind:     global_buffer
      - .offset:         72
        .size:           8
        .value_kind:     by_value
      - .offset:         80
        .size:           8
        .value_kind:     by_value
      - .offset:         88
        .size:           4
        .value_kind:     by_value
    .group_segment_fixed_size: 2048
    .kernarg_segment_align: 8
    .kernarg_segment_size: 92
    .language:       OpenCL C
    .language_version:
      - 2
      - 0
    .max_flat_workgroup_size: 256
    .name:           _ZL37rocblas_syrkx_herkx_restricted_kernelIlfLi16ELi32ELi8ELin1ELi0ELb0ELc67ELc85EKffEviT_PT9_S1_lS3_S1_lPT10_S1_li
    .private_segment_fixed_size: 0
    .sgpr_count:     32
    .sgpr_spill_count: 0
    .symbol:         _ZL37rocblas_syrkx_herkx_restricted_kernelIlfLi16ELi32ELi8ELin1ELi0ELb0ELc67ELc85EKffEviT_PT9_S1_lS3_S1_lPT10_S1_li.kd
    .uniform_work_group_size: 1
    .uses_dynamic_stack: false
    .vgpr_count:     34
    .vgpr_spill_count: 0
    .wavefront_size: 64
  - .args:
      - .offset:         0
        .size:           4
        .value_kind:     by_value
      - .offset:         8
        .size:           8
        .value_kind:     by_value
      - .address_space:  global
        .offset:         16
        .size:           8
        .value_kind:     global_buffer
      - .offset:         24
        .size:           8
        .value_kind:     by_value
      - .offset:         32
        .size:           8
        .value_kind:     by_value
      - .address_space:  global
        .offset:         40
        .size:           8
        .value_kind:     global_buffer
      - .offset:         48
        .size:           8
        .value_kind:     by_value
      - .offset:         56
        .size:           8
        .value_kind:     by_value
      - .address_space:  global
        .offset:         64
        .size:           8
        .value_kind:     global_buffer
      - .offset:         72
        .size:           8
        .value_kind:     by_value
      - .offset:         80
        .size:           8
        .value_kind:     by_value
      - .offset:         88
        .size:           4
        .value_kind:     by_value
    .group_segment_fixed_size: 2048
    .kernarg_segment_align: 8
    .kernarg_segment_size: 92
    .language:       OpenCL C
    .language_version:
      - 2
      - 0
    .max_flat_workgroup_size: 256
    .name:           _ZL37rocblas_syrkx_herkx_restricted_kernelIlfLi16ELi32ELi8ELin1ELi0ELb0ELc78ELc85EKffEviT_PT9_S1_lS3_S1_lPT10_S1_li
    .private_segment_fixed_size: 0
    .sgpr_count:     33
    .sgpr_spill_count: 0
    .symbol:         _ZL37rocblas_syrkx_herkx_restricted_kernelIlfLi16ELi32ELi8ELin1ELi0ELb0ELc78ELc85EKffEviT_PT9_S1_lS3_S1_lPT10_S1_li.kd
    .uniform_work_group_size: 1
    .uses_dynamic_stack: false
    .vgpr_count:     34
    .vgpr_spill_count: 0
    .wavefront_size: 64
  - .args:
      - .offset:         0
        .size:           4
        .value_kind:     by_value
      - .offset:         8
        .size:           8
        .value_kind:     by_value
      - .offset:         16
        .size:           4
        .value_kind:     by_value
      - .address_space:  global
        .offset:         24
        .size:           8
        .value_kind:     global_buffer
      - .offset:         32
        .size:           8
        .value_kind:     by_value
      - .offset:         40
        .size:           8
        .value_kind:     by_value
      - .address_space:  global
        .offset:         48
        .size:           8
        .value_kind:     global_buffer
      - .offset:         56
        .size:           8
        .value_kind:     by_value
      - .offset:         64
        .size:           8
        .value_kind:     by_value
      - .offset:         72
        .size:           4
        .value_kind:     by_value
      - .address_space:  global
        .offset:         80
        .size:           8
        .value_kind:     global_buffer
      - .offset:         88
        .size:           8
        .value_kind:     by_value
      - .offset:         96
        .size:           8
        .value_kind:     by_value
      - .offset:         104
        .size:           4
        .value_kind:     by_value
    .group_segment_fixed_size: 2048
    .kernarg_segment_align: 8
    .kernarg_segment_size: 108
    .language:       OpenCL C
    .language_version:
      - 2
      - 0
    .max_flat_workgroup_size: 256
    .name:           _ZL37rocblas_syrkx_herkx_restricted_kernelIlfLi16ELi32ELi8ELb1ELb0ELc84ELc76EKffEviT_T0_PT8_S1_lS4_S1_lS2_PT9_S1_li
    .private_segment_fixed_size: 0
    .sgpr_count:     25
    .sgpr_spill_count: 0
    .symbol:         _ZL37rocblas_syrkx_herkx_restricted_kernelIlfLi16ELi32ELi8ELb1ELb0ELc84ELc76EKffEviT_T0_PT8_S1_lS4_S1_lS2_PT9_S1_li.kd
    .uniform_work_group_size: 1
    .uses_dynamic_stack: false
    .vgpr_count:     26
    .vgpr_spill_count: 0
    .wavefront_size: 64
  - .args:
      - .offset:         0
        .size:           4
        .value_kind:     by_value
      - .offset:         8
        .size:           8
        .value_kind:     by_value
      - .offset:         16
        .size:           4
        .value_kind:     by_value
      - .address_space:  global
        .offset:         24
        .size:           8
        .value_kind:     global_buffer
      - .offset:         32
        .size:           8
        .value_kind:     by_value
      - .offset:         40
        .size:           8
        .value_kind:     by_value
      - .address_space:  global
        .offset:         48
        .size:           8
        .value_kind:     global_buffer
      - .offset:         56
        .size:           8
        .value_kind:     by_value
      - .offset:         64
        .size:           8
        .value_kind:     by_value
      - .offset:         72
        .size:           4
        .value_kind:     by_value
      - .address_space:  global
        .offset:         80
        .size:           8
        .value_kind:     global_buffer
      - .offset:         88
        .size:           8
        .value_kind:     by_value
      - .offset:         96
        .size:           8
        .value_kind:     by_value
      - .offset:         104
        .size:           4
        .value_kind:     by_value
    .group_segment_fixed_size: 2048
    .kernarg_segment_align: 8
    .kernarg_segment_size: 108
    .language:       OpenCL C
    .language_version:
      - 2
      - 0
    .max_flat_workgroup_size: 256
    .name:           _ZL37rocblas_syrkx_herkx_restricted_kernelIlfLi16ELi32ELi8ELb1ELb0ELc67ELc76EKffEviT_T0_PT8_S1_lS4_S1_lS2_PT9_S1_li
    .private_segment_fixed_size: 0
    .sgpr_count:     25
    .sgpr_spill_count: 0
    .symbol:         _ZL37rocblas_syrkx_herkx_restricted_kernelIlfLi16ELi32ELi8ELb1ELb0ELc67ELc76EKffEviT_T0_PT8_S1_lS4_S1_lS2_PT9_S1_li.kd
    .uniform_work_group_size: 1
    .uses_dynamic_stack: false
    .vgpr_count:     26
    .vgpr_spill_count: 0
    .wavefront_size: 64
  - .args:
      - .offset:         0
        .size:           4
        .value_kind:     by_value
      - .offset:         8
        .size:           8
        .value_kind:     by_value
      - .offset:         16
        .size:           4
        .value_kind:     by_value
      - .address_space:  global
        .offset:         24
        .size:           8
        .value_kind:     global_buffer
      - .offset:         32
        .size:           8
        .value_kind:     by_value
      - .offset:         40
        .size:           8
        .value_kind:     by_value
      - .address_space:  global
        .offset:         48
        .size:           8
        .value_kind:     global_buffer
      - .offset:         56
        .size:           8
        .value_kind:     by_value
      - .offset:         64
        .size:           8
        .value_kind:     by_value
      - .offset:         72
        .size:           4
        .value_kind:     by_value
      - .address_space:  global
        .offset:         80
        .size:           8
        .value_kind:     global_buffer
      - .offset:         88
        .size:           8
        .value_kind:     by_value
      - .offset:         96
        .size:           8
        .value_kind:     by_value
      - .offset:         104
        .size:           4
        .value_kind:     by_value
    .group_segment_fixed_size: 2048
    .kernarg_segment_align: 8
    .kernarg_segment_size: 108
    .language:       OpenCL C
    .language_version:
      - 2
      - 0
    .max_flat_workgroup_size: 256
    .name:           _ZL37rocblas_syrkx_herkx_restricted_kernelIlfLi16ELi32ELi8ELb1ELb0ELc78ELc76EKffEviT_T0_PT8_S1_lS4_S1_lS2_PT9_S1_li
    .private_segment_fixed_size: 0
    .sgpr_count:     26
    .sgpr_spill_count: 0
    .symbol:         _ZL37rocblas_syrkx_herkx_restricted_kernelIlfLi16ELi32ELi8ELb1ELb0ELc78ELc76EKffEviT_T0_PT8_S1_lS4_S1_lS2_PT9_S1_li.kd
    .uniform_work_group_size: 1
    .uses_dynamic_stack: false
    .vgpr_count:     26
    .vgpr_spill_count: 0
    .wavefront_size: 64
  - .args:
      - .offset:         0
        .size:           4
        .value_kind:     by_value
      - .offset:         8
        .size:           8
        .value_kind:     by_value
      - .offset:         16
        .size:           4
        .value_kind:     by_value
      - .address_space:  global
        .offset:         24
        .size:           8
        .value_kind:     global_buffer
      - .offset:         32
        .size:           8
        .value_kind:     by_value
      - .offset:         40
        .size:           8
        .value_kind:     by_value
      - .address_space:  global
        .offset:         48
        .size:           8
        .value_kind:     global_buffer
      - .offset:         56
        .size:           8
        .value_kind:     by_value
      - .offset:         64
        .size:           8
        .value_kind:     by_value
      - .offset:         72
        .size:           4
        .value_kind:     by_value
      - .address_space:  global
        .offset:         80
        .size:           8
        .value_kind:     global_buffer
      - .offset:         88
        .size:           8
        .value_kind:     by_value
      - .offset:         96
        .size:           8
        .value_kind:     by_value
      - .offset:         104
        .size:           4
        .value_kind:     by_value
    .group_segment_fixed_size: 2048
    .kernarg_segment_align: 8
    .kernarg_segment_size: 108
    .language:       OpenCL C
    .language_version:
      - 2
      - 0
    .max_flat_workgroup_size: 256
    .name:           _ZL37rocblas_syrkx_herkx_restricted_kernelIlfLi16ELi32ELi8ELb1ELb0ELc84ELc85EKffEviT_T0_PT8_S1_lS4_S1_lS2_PT9_S1_li
    .private_segment_fixed_size: 0
    .sgpr_count:     25
    .sgpr_spill_count: 0
    .symbol:         _ZL37rocblas_syrkx_herkx_restricted_kernelIlfLi16ELi32ELi8ELb1ELb0ELc84ELc85EKffEviT_T0_PT8_S1_lS4_S1_lS2_PT9_S1_li.kd
    .uniform_work_group_size: 1
    .uses_dynamic_stack: false
    .vgpr_count:     26
    .vgpr_spill_count: 0
    .wavefront_size: 64
  - .args:
      - .offset:         0
        .size:           4
        .value_kind:     by_value
      - .offset:         8
        .size:           8
        .value_kind:     by_value
      - .offset:         16
        .size:           4
        .value_kind:     by_value
      - .address_space:  global
        .offset:         24
        .size:           8
        .value_kind:     global_buffer
      - .offset:         32
        .size:           8
        .value_kind:     by_value
      - .offset:         40
        .size:           8
        .value_kind:     by_value
      - .address_space:  global
        .offset:         48
        .size:           8
        .value_kind:     global_buffer
      - .offset:         56
        .size:           8
        .value_kind:     by_value
      - .offset:         64
        .size:           8
        .value_kind:     by_value
      - .offset:         72
        .size:           4
        .value_kind:     by_value
      - .address_space:  global
        .offset:         80
        .size:           8
        .value_kind:     global_buffer
      - .offset:         88
        .size:           8
        .value_kind:     by_value
      - .offset:         96
        .size:           8
        .value_kind:     by_value
      - .offset:         104
        .size:           4
        .value_kind:     by_value
    .group_segment_fixed_size: 2048
    .kernarg_segment_align: 8
    .kernarg_segment_size: 108
    .language:       OpenCL C
    .language_version:
      - 2
      - 0
    .max_flat_workgroup_size: 256
    .name:           _ZL37rocblas_syrkx_herkx_restricted_kernelIlfLi16ELi32ELi8ELb1ELb0ELc67ELc85EKffEviT_T0_PT8_S1_lS4_S1_lS2_PT9_S1_li
    .private_segment_fixed_size: 0
    .sgpr_count:     25
    .sgpr_spill_count: 0
    .symbol:         _ZL37rocblas_syrkx_herkx_restricted_kernelIlfLi16ELi32ELi8ELb1ELb0ELc67ELc85EKffEviT_T0_PT8_S1_lS4_S1_lS2_PT9_S1_li.kd
    .uniform_work_group_size: 1
    .uses_dynamic_stack: false
    .vgpr_count:     26
    .vgpr_spill_count: 0
    .wavefront_size: 64
  - .args:
      - .offset:         0
        .size:           4
        .value_kind:     by_value
      - .offset:         8
        .size:           8
        .value_kind:     by_value
      - .offset:         16
        .size:           4
        .value_kind:     by_value
      - .address_space:  global
        .offset:         24
        .size:           8
        .value_kind:     global_buffer
      - .offset:         32
        .size:           8
        .value_kind:     by_value
      - .offset:         40
        .size:           8
        .value_kind:     by_value
      - .address_space:  global
        .offset:         48
        .size:           8
        .value_kind:     global_buffer
      - .offset:         56
        .size:           8
        .value_kind:     by_value
      - .offset:         64
        .size:           8
        .value_kind:     by_value
      - .offset:         72
        .size:           4
        .value_kind:     by_value
      - .address_space:  global
        .offset:         80
        .size:           8
        .value_kind:     global_buffer
      - .offset:         88
        .size:           8
        .value_kind:     by_value
      - .offset:         96
        .size:           8
        .value_kind:     by_value
      - .offset:         104
        .size:           4
        .value_kind:     by_value
    .group_segment_fixed_size: 2048
    .kernarg_segment_align: 8
    .kernarg_segment_size: 108
    .language:       OpenCL C
    .language_version:
      - 2
      - 0
    .max_flat_workgroup_size: 256
    .name:           _ZL37rocblas_syrkx_herkx_restricted_kernelIlfLi16ELi32ELi8ELb1ELb0ELc78ELc85EKffEviT_T0_PT8_S1_lS4_S1_lS2_PT9_S1_li
    .private_segment_fixed_size: 0
    .sgpr_count:     26
    .sgpr_spill_count: 0
    .symbol:         _ZL37rocblas_syrkx_herkx_restricted_kernelIlfLi16ELi32ELi8ELb1ELb0ELc78ELc85EKffEviT_T0_PT8_S1_lS4_S1_lS2_PT9_S1_li.kd
    .uniform_work_group_size: 1
    .uses_dynamic_stack: false
    .vgpr_count:     26
    .vgpr_spill_count: 0
    .wavefront_size: 64
  - .args:
      - .offset:         0
        .size:           4
        .value_kind:     by_value
      - .offset:         8
        .size:           8
        .value_kind:     by_value
      - .offset:         16
        .size:           4
        .value_kind:     by_value
      - .address_space:  global
        .offset:         24
        .size:           8
        .value_kind:     global_buffer
      - .offset:         32
        .size:           8
        .value_kind:     by_value
      - .offset:         40
        .size:           8
        .value_kind:     by_value
      - .address_space:  global
        .offset:         48
        .size:           8
        .value_kind:     global_buffer
      - .offset:         56
        .size:           8
        .value_kind:     by_value
      - .offset:         64
        .size:           8
        .value_kind:     by_value
      - .offset:         72
        .size:           4
        .value_kind:     by_value
      - .address_space:  global
        .offset:         80
        .size:           8
        .value_kind:     global_buffer
      - .offset:         88
        .size:           8
        .value_kind:     by_value
      - .offset:         96
        .size:           8
        .value_kind:     by_value
      - .offset:         104
        .size:           4
        .value_kind:     by_value
    .group_segment_fixed_size: 2048
    .kernarg_segment_align: 8
    .kernarg_segment_size: 108
    .language:       OpenCL C
    .language_version:
      - 2
      - 0
    .max_flat_workgroup_size: 256
    .name:           _ZL37rocblas_syrkx_herkx_restricted_kernelIlfLi16ELi32ELi8ELb0ELb0ELc84ELc76EKffEviT_T0_PT8_S1_lS4_S1_lS2_PT9_S1_li
    .private_segment_fixed_size: 0
    .sgpr_count:     25
    .sgpr_spill_count: 0
    .symbol:         _ZL37rocblas_syrkx_herkx_restricted_kernelIlfLi16ELi32ELi8ELb0ELb0ELc84ELc76EKffEviT_T0_PT8_S1_lS4_S1_lS2_PT9_S1_li.kd
    .uniform_work_group_size: 1
    .uses_dynamic_stack: false
    .vgpr_count:     26
    .vgpr_spill_count: 0
    .wavefront_size: 64
  - .args:
      - .offset:         0
        .size:           4
        .value_kind:     by_value
      - .offset:         8
        .size:           8
        .value_kind:     by_value
      - .offset:         16
        .size:           4
        .value_kind:     by_value
      - .address_space:  global
        .offset:         24
        .size:           8
        .value_kind:     global_buffer
      - .offset:         32
        .size:           8
        .value_kind:     by_value
      - .offset:         40
        .size:           8
        .value_kind:     by_value
      - .address_space:  global
        .offset:         48
        .size:           8
        .value_kind:     global_buffer
      - .offset:         56
        .size:           8
        .value_kind:     by_value
      - .offset:         64
        .size:           8
        .value_kind:     by_value
      - .offset:         72
        .size:           4
        .value_kind:     by_value
      - .address_space:  global
        .offset:         80
        .size:           8
        .value_kind:     global_buffer
      - .offset:         88
        .size:           8
        .value_kind:     by_value
      - .offset:         96
        .size:           8
        .value_kind:     by_value
      - .offset:         104
        .size:           4
        .value_kind:     by_value
    .group_segment_fixed_size: 2048
    .kernarg_segment_align: 8
    .kernarg_segment_size: 108
    .language:       OpenCL C
    .language_version:
      - 2
      - 0
    .max_flat_workgroup_size: 256
    .name:           _ZL37rocblas_syrkx_herkx_restricted_kernelIlfLi16ELi32ELi8ELb0ELb0ELc67ELc76EKffEviT_T0_PT8_S1_lS4_S1_lS2_PT9_S1_li
    .private_segment_fixed_size: 0
    .sgpr_count:     25
    .sgpr_spill_count: 0
    .symbol:         _ZL37rocblas_syrkx_herkx_restricted_kernelIlfLi16ELi32ELi8ELb0ELb0ELc67ELc76EKffEviT_T0_PT8_S1_lS4_S1_lS2_PT9_S1_li.kd
    .uniform_work_group_size: 1
    .uses_dynamic_stack: false
    .vgpr_count:     26
    .vgpr_spill_count: 0
    .wavefront_size: 64
  - .args:
      - .offset:         0
        .size:           4
        .value_kind:     by_value
      - .offset:         8
        .size:           8
        .value_kind:     by_value
      - .offset:         16
        .size:           4
        .value_kind:     by_value
      - .address_space:  global
        .offset:         24
        .size:           8
        .value_kind:     global_buffer
      - .offset:         32
        .size:           8
        .value_kind:     by_value
      - .offset:         40
        .size:           8
        .value_kind:     by_value
      - .address_space:  global
        .offset:         48
        .size:           8
        .value_kind:     global_buffer
      - .offset:         56
        .size:           8
        .value_kind:     by_value
      - .offset:         64
        .size:           8
        .value_kind:     by_value
      - .offset:         72
        .size:           4
        .value_kind:     by_value
      - .address_space:  global
        .offset:         80
        .size:           8
        .value_kind:     global_buffer
      - .offset:         88
        .size:           8
        .value_kind:     by_value
      - .offset:         96
        .size:           8
        .value_kind:     by_value
      - .offset:         104
        .size:           4
        .value_kind:     by_value
    .group_segment_fixed_size: 2048
    .kernarg_segment_align: 8
    .kernarg_segment_size: 108
    .language:       OpenCL C
    .language_version:
      - 2
      - 0
    .max_flat_workgroup_size: 256
    .name:           _ZL37rocblas_syrkx_herkx_restricted_kernelIlfLi16ELi32ELi8ELb0ELb0ELc78ELc76EKffEviT_T0_PT8_S1_lS4_S1_lS2_PT9_S1_li
    .private_segment_fixed_size: 0
    .sgpr_count:     26
    .sgpr_spill_count: 0
    .symbol:         _ZL37rocblas_syrkx_herkx_restricted_kernelIlfLi16ELi32ELi8ELb0ELb0ELc78ELc76EKffEviT_T0_PT8_S1_lS4_S1_lS2_PT9_S1_li.kd
    .uniform_work_group_size: 1
    .uses_dynamic_stack: false
    .vgpr_count:     26
    .vgpr_spill_count: 0
    .wavefront_size: 64
  - .args:
      - .offset:         0
        .size:           4
        .value_kind:     by_value
      - .offset:         8
        .size:           8
        .value_kind:     by_value
      - .offset:         16
        .size:           4
        .value_kind:     by_value
      - .address_space:  global
        .offset:         24
        .size:           8
        .value_kind:     global_buffer
      - .offset:         32
        .size:           8
        .value_kind:     by_value
      - .offset:         40
        .size:           8
        .value_kind:     by_value
      - .address_space:  global
        .offset:         48
        .size:           8
        .value_kind:     global_buffer
      - .offset:         56
        .size:           8
        .value_kind:     by_value
      - .offset:         64
        .size:           8
        .value_kind:     by_value
      - .offset:         72
        .size:           4
        .value_kind:     by_value
      - .address_space:  global
        .offset:         80
        .size:           8
        .value_kind:     global_buffer
      - .offset:         88
        .size:           8
        .value_kind:     by_value
      - .offset:         96
        .size:           8
        .value_kind:     by_value
      - .offset:         104
        .size:           4
        .value_kind:     by_value
    .group_segment_fixed_size: 2048
    .kernarg_segment_align: 8
    .kernarg_segment_size: 108
    .language:       OpenCL C
    .language_version:
      - 2
      - 0
    .max_flat_workgroup_size: 256
    .name:           _ZL37rocblas_syrkx_herkx_restricted_kernelIlfLi16ELi32ELi8ELb0ELb0ELc84ELc85EKffEviT_T0_PT8_S1_lS4_S1_lS2_PT9_S1_li
    .private_segment_fixed_size: 0
    .sgpr_count:     25
    .sgpr_spill_count: 0
    .symbol:         _ZL37rocblas_syrkx_herkx_restricted_kernelIlfLi16ELi32ELi8ELb0ELb0ELc84ELc85EKffEviT_T0_PT8_S1_lS4_S1_lS2_PT9_S1_li.kd
    .uniform_work_group_size: 1
    .uses_dynamic_stack: false
    .vgpr_count:     26
    .vgpr_spill_count: 0
    .wavefront_size: 64
  - .args:
      - .offset:         0
        .size:           4
        .value_kind:     by_value
      - .offset:         8
        .size:           8
        .value_kind:     by_value
      - .offset:         16
        .size:           4
        .value_kind:     by_value
      - .address_space:  global
        .offset:         24
        .size:           8
        .value_kind:     global_buffer
      - .offset:         32
        .size:           8
        .value_kind:     by_value
      - .offset:         40
        .size:           8
        .value_kind:     by_value
      - .address_space:  global
        .offset:         48
        .size:           8
        .value_kind:     global_buffer
      - .offset:         56
        .size:           8
        .value_kind:     by_value
      - .offset:         64
        .size:           8
        .value_kind:     by_value
      - .offset:         72
        .size:           4
        .value_kind:     by_value
      - .address_space:  global
        .offset:         80
        .size:           8
        .value_kind:     global_buffer
      - .offset:         88
        .size:           8
        .value_kind:     by_value
      - .offset:         96
        .size:           8
        .value_kind:     by_value
      - .offset:         104
        .size:           4
        .value_kind:     by_value
    .group_segment_fixed_size: 2048
    .kernarg_segment_align: 8
    .kernarg_segment_size: 108
    .language:       OpenCL C
    .language_version:
      - 2
      - 0
    .max_flat_workgroup_size: 256
    .name:           _ZL37rocblas_syrkx_herkx_restricted_kernelIlfLi16ELi32ELi8ELb0ELb0ELc67ELc85EKffEviT_T0_PT8_S1_lS4_S1_lS2_PT9_S1_li
    .private_segment_fixed_size: 0
    .sgpr_count:     25
    .sgpr_spill_count: 0
    .symbol:         _ZL37rocblas_syrkx_herkx_restricted_kernelIlfLi16ELi32ELi8ELb0ELb0ELc67ELc85EKffEviT_T0_PT8_S1_lS4_S1_lS2_PT9_S1_li.kd
    .uniform_work_group_size: 1
    .uses_dynamic_stack: false
    .vgpr_count:     26
    .vgpr_spill_count: 0
    .wavefront_size: 64
  - .args:
      - .offset:         0
        .size:           4
        .value_kind:     by_value
      - .offset:         8
        .size:           8
        .value_kind:     by_value
      - .offset:         16
        .size:           4
        .value_kind:     by_value
      - .address_space:  global
        .offset:         24
        .size:           8
        .value_kind:     global_buffer
      - .offset:         32
        .size:           8
        .value_kind:     by_value
      - .offset:         40
        .size:           8
        .value_kind:     by_value
      - .address_space:  global
        .offset:         48
        .size:           8
        .value_kind:     global_buffer
      - .offset:         56
        .size:           8
        .value_kind:     by_value
      - .offset:         64
        .size:           8
        .value_kind:     by_value
      - .offset:         72
        .size:           4
        .value_kind:     by_value
      - .address_space:  global
        .offset:         80
        .size:           8
        .value_kind:     global_buffer
      - .offset:         88
        .size:           8
        .value_kind:     by_value
      - .offset:         96
        .size:           8
        .value_kind:     by_value
      - .offset:         104
        .size:           4
        .value_kind:     by_value
    .group_segment_fixed_size: 2048
    .kernarg_segment_align: 8
    .kernarg_segment_size: 108
    .language:       OpenCL C
    .language_version:
      - 2
      - 0
    .max_flat_workgroup_size: 256
    .name:           _ZL37rocblas_syrkx_herkx_restricted_kernelIlfLi16ELi32ELi8ELb0ELb0ELc78ELc85EKffEviT_T0_PT8_S1_lS4_S1_lS2_PT9_S1_li
    .private_segment_fixed_size: 0
    .sgpr_count:     26
    .sgpr_spill_count: 0
    .symbol:         _ZL37rocblas_syrkx_herkx_restricted_kernelIlfLi16ELi32ELi8ELb0ELb0ELc78ELc85EKffEviT_T0_PT8_S1_lS4_S1_lS2_PT9_S1_li.kd
    .uniform_work_group_size: 1
    .uses_dynamic_stack: false
    .vgpr_count:     26
    .vgpr_spill_count: 0
    .wavefront_size: 64
  - .args:
      - .offset:         0
        .size:           4
        .value_kind:     by_value
      - .offset:         8
        .size:           8
        .value_kind:     by_value
      - .offset:         16
        .size:           4
        .value_kind:     by_value
      - .address_space:  global
        .offset:         24
        .size:           8
        .value_kind:     global_buffer
      - .offset:         32
        .size:           8
        .value_kind:     by_value
      - .offset:         40
        .size:           8
        .value_kind:     by_value
      - .address_space:  global
        .offset:         48
        .size:           8
        .value_kind:     global_buffer
      - .offset:         56
        .size:           8
        .value_kind:     by_value
      - .offset:         64
        .size:           8
        .value_kind:     by_value
      - .offset:         72
        .size:           4
        .value_kind:     by_value
      - .address_space:  global
        .offset:         80
        .size:           8
        .value_kind:     global_buffer
      - .offset:         88
        .size:           8
        .value_kind:     by_value
      - .offset:         96
        .size:           8
        .value_kind:     by_value
      - .offset:         104
        .size:           4
        .value_kind:     by_value
    .group_segment_fixed_size: 2048
    .kernarg_segment_align: 8
    .kernarg_segment_size: 108
    .language:       OpenCL C
    .language_version:
      - 2
      - 0
    .max_flat_workgroup_size: 256
    .name:           _ZL41rocblas_syrkx_herkx_small_restrict_kernelIlfLi16ELb1ELb0ELc84ELc76EKffEviT_T0_PT6_S1_lS4_S1_lS2_PT7_S1_li
    .private_segment_fixed_size: 0
    .sgpr_count:     28
    .sgpr_spill_count: 0
    .symbol:         _ZL41rocblas_syrkx_herkx_small_restrict_kernelIlfLi16ELb1ELb0ELc84ELc76EKffEviT_T0_PT6_S1_lS4_S1_lS2_PT7_S1_li.kd
    .uniform_work_group_size: 1
    .uses_dynamic_stack: false
    .vgpr_count:     21
    .vgpr_spill_count: 0
    .wavefront_size: 64
  - .args:
      - .offset:         0
        .size:           4
        .value_kind:     by_value
      - .offset:         8
        .size:           8
        .value_kind:     by_value
      - .offset:         16
        .size:           4
        .value_kind:     by_value
      - .address_space:  global
        .offset:         24
        .size:           8
        .value_kind:     global_buffer
      - .offset:         32
        .size:           8
        .value_kind:     by_value
      - .offset:         40
        .size:           8
        .value_kind:     by_value
      - .address_space:  global
        .offset:         48
        .size:           8
        .value_kind:     global_buffer
      - .offset:         56
        .size:           8
        .value_kind:     by_value
      - .offset:         64
        .size:           8
        .value_kind:     by_value
      - .offset:         72
        .size:           4
        .value_kind:     by_value
      - .address_space:  global
        .offset:         80
        .size:           8
        .value_kind:     global_buffer
      - .offset:         88
        .size:           8
        .value_kind:     by_value
      - .offset:         96
        .size:           8
        .value_kind:     by_value
      - .offset:         104
        .size:           4
        .value_kind:     by_value
    .group_segment_fixed_size: 2048
    .kernarg_segment_align: 8
    .kernarg_segment_size: 108
    .language:       OpenCL C
    .language_version:
      - 2
      - 0
    .max_flat_workgroup_size: 256
    .name:           _ZL41rocblas_syrkx_herkx_small_restrict_kernelIlfLi16ELb1ELb0ELc67ELc76EKffEviT_T0_PT6_S1_lS4_S1_lS2_PT7_S1_li
    .private_segment_fixed_size: 0
    .sgpr_count:     28
    .sgpr_spill_count: 0
    .symbol:         _ZL41rocblas_syrkx_herkx_small_restrict_kernelIlfLi16ELb1ELb0ELc67ELc76EKffEviT_T0_PT6_S1_lS4_S1_lS2_PT7_S1_li.kd
    .uniform_work_group_size: 1
    .uses_dynamic_stack: false
    .vgpr_count:     21
    .vgpr_spill_count: 0
    .wavefront_size: 64
  - .args:
      - .offset:         0
        .size:           4
        .value_kind:     by_value
      - .offset:         8
        .size:           8
        .value_kind:     by_value
      - .offset:         16
        .size:           4
        .value_kind:     by_value
      - .address_space:  global
        .offset:         24
        .size:           8
        .value_kind:     global_buffer
      - .offset:         32
        .size:           8
        .value_kind:     by_value
      - .offset:         40
        .size:           8
        .value_kind:     by_value
      - .address_space:  global
        .offset:         48
        .size:           8
        .value_kind:     global_buffer
      - .offset:         56
        .size:           8
        .value_kind:     by_value
      - .offset:         64
        .size:           8
        .value_kind:     by_value
      - .offset:         72
        .size:           4
        .value_kind:     by_value
      - .address_space:  global
        .offset:         80
        .size:           8
        .value_kind:     global_buffer
      - .offset:         88
        .size:           8
        .value_kind:     by_value
      - .offset:         96
        .size:           8
        .value_kind:     by_value
      - .offset:         104
        .size:           4
        .value_kind:     by_value
    .group_segment_fixed_size: 2048
    .kernarg_segment_align: 8
    .kernarg_segment_size: 108
    .language:       OpenCL C
    .language_version:
      - 2
      - 0
    .max_flat_workgroup_size: 256
    .name:           _ZL41rocblas_syrkx_herkx_small_restrict_kernelIlfLi16ELb1ELb0ELc78ELc76EKffEviT_T0_PT6_S1_lS4_S1_lS2_PT7_S1_li
    .private_segment_fixed_size: 0
    .sgpr_count:     24
    .sgpr_spill_count: 0
    .symbol:         _ZL41rocblas_syrkx_herkx_small_restrict_kernelIlfLi16ELb1ELb0ELc78ELc76EKffEviT_T0_PT6_S1_lS4_S1_lS2_PT7_S1_li.kd
    .uniform_work_group_size: 1
    .uses_dynamic_stack: false
    .vgpr_count:     23
    .vgpr_spill_count: 0
    .wavefront_size: 64
  - .args:
      - .offset:         0
        .size:           4
        .value_kind:     by_value
      - .offset:         8
        .size:           8
        .value_kind:     by_value
      - .offset:         16
        .size:           4
        .value_kind:     by_value
      - .address_space:  global
        .offset:         24
        .size:           8
        .value_kind:     global_buffer
      - .offset:         32
        .size:           8
        .value_kind:     by_value
      - .offset:         40
        .size:           8
        .value_kind:     by_value
      - .address_space:  global
        .offset:         48
        .size:           8
        .value_kind:     global_buffer
      - .offset:         56
        .size:           8
        .value_kind:     by_value
      - .offset:         64
        .size:           8
        .value_kind:     by_value
      - .offset:         72
        .size:           4
        .value_kind:     by_value
      - .address_space:  global
        .offset:         80
        .size:           8
        .value_kind:     global_buffer
      - .offset:         88
        .size:           8
        .value_kind:     by_value
      - .offset:         96
        .size:           8
        .value_kind:     by_value
      - .offset:         104
        .size:           4
        .value_kind:     by_value
    .group_segment_fixed_size: 2048
    .kernarg_segment_align: 8
    .kernarg_segment_size: 108
    .language:       OpenCL C
    .language_version:
      - 2
      - 0
    .max_flat_workgroup_size: 256
    .name:           _ZL41rocblas_syrkx_herkx_small_restrict_kernelIlfLi16ELb1ELb0ELc84ELc85EKffEviT_T0_PT6_S1_lS4_S1_lS2_PT7_S1_li
    .private_segment_fixed_size: 0
    .sgpr_count:     28
    .sgpr_spill_count: 0
    .symbol:         _ZL41rocblas_syrkx_herkx_small_restrict_kernelIlfLi16ELb1ELb0ELc84ELc85EKffEviT_T0_PT6_S1_lS4_S1_lS2_PT7_S1_li.kd
    .uniform_work_group_size: 1
    .uses_dynamic_stack: false
    .vgpr_count:     21
    .vgpr_spill_count: 0
    .wavefront_size: 64
  - .args:
      - .offset:         0
        .size:           4
        .value_kind:     by_value
      - .offset:         8
        .size:           8
        .value_kind:     by_value
      - .offset:         16
        .size:           4
        .value_kind:     by_value
      - .address_space:  global
        .offset:         24
        .size:           8
        .value_kind:     global_buffer
      - .offset:         32
        .size:           8
        .value_kind:     by_value
      - .offset:         40
        .size:           8
        .value_kind:     by_value
      - .address_space:  global
        .offset:         48
        .size:           8
        .value_kind:     global_buffer
      - .offset:         56
        .size:           8
        .value_kind:     by_value
      - .offset:         64
        .size:           8
        .value_kind:     by_value
      - .offset:         72
        .size:           4
        .value_kind:     by_value
      - .address_space:  global
        .offset:         80
        .size:           8
        .value_kind:     global_buffer
      - .offset:         88
        .size:           8
        .value_kind:     by_value
      - .offset:         96
        .size:           8
        .value_kind:     by_value
      - .offset:         104
        .size:           4
        .value_kind:     by_value
    .group_segment_fixed_size: 2048
    .kernarg_segment_align: 8
    .kernarg_segment_size: 108
    .language:       OpenCL C
    .language_version:
      - 2
      - 0
    .max_flat_workgroup_size: 256
    .name:           _ZL41rocblas_syrkx_herkx_small_restrict_kernelIlfLi16ELb1ELb0ELc67ELc85EKffEviT_T0_PT6_S1_lS4_S1_lS2_PT7_S1_li
    .private_segment_fixed_size: 0
    .sgpr_count:     28
    .sgpr_spill_count: 0
    .symbol:         _ZL41rocblas_syrkx_herkx_small_restrict_kernelIlfLi16ELb1ELb0ELc67ELc85EKffEviT_T0_PT6_S1_lS4_S1_lS2_PT7_S1_li.kd
    .uniform_work_group_size: 1
    .uses_dynamic_stack: false
    .vgpr_count:     21
    .vgpr_spill_count: 0
    .wavefront_size: 64
  - .args:
      - .offset:         0
        .size:           4
        .value_kind:     by_value
      - .offset:         8
        .size:           8
        .value_kind:     by_value
      - .offset:         16
        .size:           4
        .value_kind:     by_value
      - .address_space:  global
        .offset:         24
        .size:           8
        .value_kind:     global_buffer
      - .offset:         32
        .size:           8
        .value_kind:     by_value
      - .offset:         40
        .size:           8
        .value_kind:     by_value
      - .address_space:  global
        .offset:         48
        .size:           8
        .value_kind:     global_buffer
      - .offset:         56
        .size:           8
        .value_kind:     by_value
      - .offset:         64
        .size:           8
        .value_kind:     by_value
      - .offset:         72
        .size:           4
        .value_kind:     by_value
      - .address_space:  global
        .offset:         80
        .size:           8
        .value_kind:     global_buffer
      - .offset:         88
        .size:           8
        .value_kind:     by_value
      - .offset:         96
        .size:           8
        .value_kind:     by_value
      - .offset:         104
        .size:           4
        .value_kind:     by_value
    .group_segment_fixed_size: 2048
    .kernarg_segment_align: 8
    .kernarg_segment_size: 108
    .language:       OpenCL C
    .language_version:
      - 2
      - 0
    .max_flat_workgroup_size: 256
    .name:           _ZL41rocblas_syrkx_herkx_small_restrict_kernelIlfLi16ELb1ELb0ELc78ELc85EKffEviT_T0_PT6_S1_lS4_S1_lS2_PT7_S1_li
    .private_segment_fixed_size: 0
    .sgpr_count:     24
    .sgpr_spill_count: 0
    .symbol:         _ZL41rocblas_syrkx_herkx_small_restrict_kernelIlfLi16ELb1ELb0ELc78ELc85EKffEviT_T0_PT6_S1_lS4_S1_lS2_PT7_S1_li.kd
    .uniform_work_group_size: 1
    .uses_dynamic_stack: false
    .vgpr_count:     23
    .vgpr_spill_count: 0
    .wavefront_size: 64
  - .args:
      - .offset:         0
        .size:           4
        .value_kind:     by_value
      - .offset:         8
        .size:           8
        .value_kind:     by_value
      - .offset:         16
        .size:           4
        .value_kind:     by_value
      - .address_space:  global
        .offset:         24
        .size:           8
        .value_kind:     global_buffer
      - .offset:         32
        .size:           8
        .value_kind:     by_value
      - .offset:         40
        .size:           8
        .value_kind:     by_value
      - .address_space:  global
        .offset:         48
        .size:           8
        .value_kind:     global_buffer
      - .offset:         56
        .size:           8
        .value_kind:     by_value
      - .offset:         64
        .size:           8
        .value_kind:     by_value
      - .offset:         72
        .size:           4
        .value_kind:     by_value
      - .address_space:  global
        .offset:         80
        .size:           8
        .value_kind:     global_buffer
      - .offset:         88
        .size:           8
        .value_kind:     by_value
      - .offset:         96
        .size:           8
        .value_kind:     by_value
      - .offset:         104
        .size:           4
        .value_kind:     by_value
    .group_segment_fixed_size: 2048
    .kernarg_segment_align: 8
    .kernarg_segment_size: 108
    .language:       OpenCL C
    .language_version:
      - 2
      - 0
    .max_flat_workgroup_size: 256
    .name:           _ZL41rocblas_syrkx_herkx_small_restrict_kernelIlfLi16ELb0ELb0ELc84ELc76EKffEviT_T0_PT6_S1_lS4_S1_lS2_PT7_S1_li
    .private_segment_fixed_size: 0
    .sgpr_count:     28
    .sgpr_spill_count: 0
    .symbol:         _ZL41rocblas_syrkx_herkx_small_restrict_kernelIlfLi16ELb0ELb0ELc84ELc76EKffEviT_T0_PT6_S1_lS4_S1_lS2_PT7_S1_li.kd
    .uniform_work_group_size: 1
    .uses_dynamic_stack: false
    .vgpr_count:     21
    .vgpr_spill_count: 0
    .wavefront_size: 64
  - .args:
      - .offset:         0
        .size:           4
        .value_kind:     by_value
      - .offset:         8
        .size:           8
        .value_kind:     by_value
      - .offset:         16
        .size:           4
        .value_kind:     by_value
      - .address_space:  global
        .offset:         24
        .size:           8
        .value_kind:     global_buffer
      - .offset:         32
        .size:           8
        .value_kind:     by_value
      - .offset:         40
        .size:           8
        .value_kind:     by_value
      - .address_space:  global
        .offset:         48
        .size:           8
        .value_kind:     global_buffer
      - .offset:         56
        .size:           8
        .value_kind:     by_value
      - .offset:         64
        .size:           8
        .value_kind:     by_value
      - .offset:         72
        .size:           4
        .value_kind:     by_value
      - .address_space:  global
        .offset:         80
        .size:           8
        .value_kind:     global_buffer
      - .offset:         88
        .size:           8
        .value_kind:     by_value
      - .offset:         96
        .size:           8
        .value_kind:     by_value
      - .offset:         104
        .size:           4
        .value_kind:     by_value
    .group_segment_fixed_size: 2048
    .kernarg_segment_align: 8
    .kernarg_segment_size: 108
    .language:       OpenCL C
    .language_version:
      - 2
      - 0
    .max_flat_workgroup_size: 256
    .name:           _ZL41rocblas_syrkx_herkx_small_restrict_kernelIlfLi16ELb0ELb0ELc67ELc76EKffEviT_T0_PT6_S1_lS4_S1_lS2_PT7_S1_li
    .private_segment_fixed_size: 0
    .sgpr_count:     28
    .sgpr_spill_count: 0
    .symbol:         _ZL41rocblas_syrkx_herkx_small_restrict_kernelIlfLi16ELb0ELb0ELc67ELc76EKffEviT_T0_PT6_S1_lS4_S1_lS2_PT7_S1_li.kd
    .uniform_work_group_size: 1
    .uses_dynamic_stack: false
    .vgpr_count:     21
    .vgpr_spill_count: 0
    .wavefront_size: 64
  - .args:
      - .offset:         0
        .size:           4
        .value_kind:     by_value
      - .offset:         8
        .size:           8
        .value_kind:     by_value
      - .offset:         16
        .size:           4
        .value_kind:     by_value
      - .address_space:  global
        .offset:         24
        .size:           8
        .value_kind:     global_buffer
      - .offset:         32
        .size:           8
        .value_kind:     by_value
      - .offset:         40
        .size:           8
        .value_kind:     by_value
      - .address_space:  global
        .offset:         48
        .size:           8
        .value_kind:     global_buffer
      - .offset:         56
        .size:           8
        .value_kind:     by_value
      - .offset:         64
        .size:           8
        .value_kind:     by_value
      - .offset:         72
        .size:           4
        .value_kind:     by_value
      - .address_space:  global
        .offset:         80
        .size:           8
        .value_kind:     global_buffer
      - .offset:         88
        .size:           8
        .value_kind:     by_value
      - .offset:         96
        .size:           8
        .value_kind:     by_value
      - .offset:         104
        .size:           4
        .value_kind:     by_value
    .group_segment_fixed_size: 2048
    .kernarg_segment_align: 8
    .kernarg_segment_size: 108
    .language:       OpenCL C
    .language_version:
      - 2
      - 0
    .max_flat_workgroup_size: 256
    .name:           _ZL41rocblas_syrkx_herkx_small_restrict_kernelIlfLi16ELb0ELb0ELc78ELc76EKffEviT_T0_PT6_S1_lS4_S1_lS2_PT7_S1_li
    .private_segment_fixed_size: 0
    .sgpr_count:     24
    .sgpr_spill_count: 0
    .symbol:         _ZL41rocblas_syrkx_herkx_small_restrict_kernelIlfLi16ELb0ELb0ELc78ELc76EKffEviT_T0_PT6_S1_lS4_S1_lS2_PT7_S1_li.kd
    .uniform_work_group_size: 1
    .uses_dynamic_stack: false
    .vgpr_count:     23
    .vgpr_spill_count: 0
    .wavefront_size: 64
  - .args:
      - .offset:         0
        .size:           4
        .value_kind:     by_value
      - .offset:         8
        .size:           8
        .value_kind:     by_value
      - .offset:         16
        .size:           4
        .value_kind:     by_value
      - .address_space:  global
        .offset:         24
        .size:           8
        .value_kind:     global_buffer
      - .offset:         32
        .size:           8
        .value_kind:     by_value
      - .offset:         40
        .size:           8
        .value_kind:     by_value
      - .address_space:  global
        .offset:         48
        .size:           8
        .value_kind:     global_buffer
      - .offset:         56
        .size:           8
        .value_kind:     by_value
      - .offset:         64
        .size:           8
        .value_kind:     by_value
      - .offset:         72
        .size:           4
        .value_kind:     by_value
      - .address_space:  global
        .offset:         80
        .size:           8
        .value_kind:     global_buffer
      - .offset:         88
        .size:           8
        .value_kind:     by_value
      - .offset:         96
        .size:           8
        .value_kind:     by_value
      - .offset:         104
        .size:           4
        .value_kind:     by_value
    .group_segment_fixed_size: 2048
    .kernarg_segment_align: 8
    .kernarg_segment_size: 108
    .language:       OpenCL C
    .language_version:
      - 2
      - 0
    .max_flat_workgroup_size: 256
    .name:           _ZL41rocblas_syrkx_herkx_small_restrict_kernelIlfLi16ELb0ELb0ELc84ELc85EKffEviT_T0_PT6_S1_lS4_S1_lS2_PT7_S1_li
    .private_segment_fixed_size: 0
    .sgpr_count:     28
    .sgpr_spill_count: 0
    .symbol:         _ZL41rocblas_syrkx_herkx_small_restrict_kernelIlfLi16ELb0ELb0ELc84ELc85EKffEviT_T0_PT6_S1_lS4_S1_lS2_PT7_S1_li.kd
    .uniform_work_group_size: 1
    .uses_dynamic_stack: false
    .vgpr_count:     21
    .vgpr_spill_count: 0
    .wavefront_size: 64
  - .args:
      - .offset:         0
        .size:           4
        .value_kind:     by_value
      - .offset:         8
        .size:           8
        .value_kind:     by_value
      - .offset:         16
        .size:           4
        .value_kind:     by_value
      - .address_space:  global
        .offset:         24
        .size:           8
        .value_kind:     global_buffer
      - .offset:         32
        .size:           8
        .value_kind:     by_value
      - .offset:         40
        .size:           8
        .value_kind:     by_value
      - .address_space:  global
        .offset:         48
        .size:           8
        .value_kind:     global_buffer
      - .offset:         56
        .size:           8
        .value_kind:     by_value
      - .offset:         64
        .size:           8
        .value_kind:     by_value
      - .offset:         72
        .size:           4
        .value_kind:     by_value
      - .address_space:  global
        .offset:         80
        .size:           8
        .value_kind:     global_buffer
      - .offset:         88
        .size:           8
        .value_kind:     by_value
      - .offset:         96
        .size:           8
        .value_kind:     by_value
      - .offset:         104
        .size:           4
        .value_kind:     by_value
    .group_segment_fixed_size: 2048
    .kernarg_segment_align: 8
    .kernarg_segment_size: 108
    .language:       OpenCL C
    .language_version:
      - 2
      - 0
    .max_flat_workgroup_size: 256
    .name:           _ZL41rocblas_syrkx_herkx_small_restrict_kernelIlfLi16ELb0ELb0ELc67ELc85EKffEviT_T0_PT6_S1_lS4_S1_lS2_PT7_S1_li
    .private_segment_fixed_size: 0
    .sgpr_count:     28
    .sgpr_spill_count: 0
    .symbol:         _ZL41rocblas_syrkx_herkx_small_restrict_kernelIlfLi16ELb0ELb0ELc67ELc85EKffEviT_T0_PT6_S1_lS4_S1_lS2_PT7_S1_li.kd
    .uniform_work_group_size: 1
    .uses_dynamic_stack: false
    .vgpr_count:     21
    .vgpr_spill_count: 0
    .wavefront_size: 64
  - .args:
      - .offset:         0
        .size:           4
        .value_kind:     by_value
      - .offset:         8
        .size:           8
        .value_kind:     by_value
      - .offset:         16
        .size:           4
        .value_kind:     by_value
      - .address_space:  global
        .offset:         24
        .size:           8
        .value_kind:     global_buffer
      - .offset:         32
        .size:           8
        .value_kind:     by_value
      - .offset:         40
        .size:           8
        .value_kind:     by_value
      - .address_space:  global
        .offset:         48
        .size:           8
        .value_kind:     global_buffer
      - .offset:         56
        .size:           8
        .value_kind:     by_value
      - .offset:         64
        .size:           8
        .value_kind:     by_value
      - .offset:         72
        .size:           4
        .value_kind:     by_value
      - .address_space:  global
        .offset:         80
        .size:           8
        .value_kind:     global_buffer
      - .offset:         88
        .size:           8
        .value_kind:     by_value
      - .offset:         96
        .size:           8
        .value_kind:     by_value
      - .offset:         104
        .size:           4
        .value_kind:     by_value
    .group_segment_fixed_size: 2048
    .kernarg_segment_align: 8
    .kernarg_segment_size: 108
    .language:       OpenCL C
    .language_version:
      - 2
      - 0
    .max_flat_workgroup_size: 256
    .name:           _ZL41rocblas_syrkx_herkx_small_restrict_kernelIlfLi16ELb0ELb0ELc78ELc85EKffEviT_T0_PT6_S1_lS4_S1_lS2_PT7_S1_li
    .private_segment_fixed_size: 0
    .sgpr_count:     24
    .sgpr_spill_count: 0
    .symbol:         _ZL41rocblas_syrkx_herkx_small_restrict_kernelIlfLi16ELb0ELb0ELc78ELc85EKffEviT_T0_PT6_S1_lS4_S1_lS2_PT7_S1_li.kd
    .uniform_work_group_size: 1
    .uses_dynamic_stack: false
    .vgpr_count:     23
    .vgpr_spill_count: 0
    .wavefront_size: 64
  - .args:
      - .offset:         0
        .size:           4
        .value_kind:     by_value
      - .offset:         8
        .size:           8
        .value_kind:     by_value
      - .offset:         16
        .size:           4
        .value_kind:     by_value
      - .address_space:  global
        .offset:         24
        .size:           8
        .value_kind:     global_buffer
      - .offset:         32
        .size:           8
        .value_kind:     by_value
      - .offset:         40
        .size:           8
        .value_kind:     by_value
      - .address_space:  global
        .offset:         48
        .size:           8
        .value_kind:     global_buffer
      - .offset:         56
        .size:           8
        .value_kind:     by_value
      - .offset:         64
        .size:           8
        .value_kind:     by_value
      - .offset:         72
        .size:           4
        .value_kind:     by_value
      - .address_space:  global
        .offset:         80
        .size:           8
        .value_kind:     global_buffer
      - .offset:         88
        .size:           8
        .value_kind:     by_value
      - .offset:         96
        .size:           8
        .value_kind:     by_value
      - .offset:         104
        .size:           4
        .value_kind:     by_value
    .group_segment_fixed_size: 2048
    .kernarg_segment_align: 8
    .kernarg_segment_size: 108
    .language:       OpenCL C
    .language_version:
      - 2
      - 0
    .max_flat_workgroup_size: 256
    .name:           _ZL32rocblas_syrkx_herkx_small_kernelIlfLi16ELb1ELb0ELc84ELc76EKffEviT_T0_PT6_S1_lS4_S1_lS2_PT7_S1_li
    .private_segment_fixed_size: 0
    .sgpr_count:     28
    .sgpr_spill_count: 0
    .symbol:         _ZL32rocblas_syrkx_herkx_small_kernelIlfLi16ELb1ELb0ELc84ELc76EKffEviT_T0_PT6_S1_lS4_S1_lS2_PT7_S1_li.kd
    .uniform_work_group_size: 1
    .uses_dynamic_stack: false
    .vgpr_count:     27
    .vgpr_spill_count: 0
    .wavefront_size: 64
  - .args:
      - .offset:         0
        .size:           4
        .value_kind:     by_value
      - .offset:         8
        .size:           8
        .value_kind:     by_value
      - .offset:         16
        .size:           4
        .value_kind:     by_value
      - .address_space:  global
        .offset:         24
        .size:           8
        .value_kind:     global_buffer
      - .offset:         32
        .size:           8
        .value_kind:     by_value
      - .offset:         40
        .size:           8
        .value_kind:     by_value
      - .address_space:  global
        .offset:         48
        .size:           8
        .value_kind:     global_buffer
      - .offset:         56
        .size:           8
        .value_kind:     by_value
      - .offset:         64
        .size:           8
        .value_kind:     by_value
      - .offset:         72
        .size:           4
        .value_kind:     by_value
      - .address_space:  global
        .offset:         80
        .size:           8
        .value_kind:     global_buffer
      - .offset:         88
        .size:           8
        .value_kind:     by_value
      - .offset:         96
        .size:           8
        .value_kind:     by_value
      - .offset:         104
        .size:           4
        .value_kind:     by_value
    .group_segment_fixed_size: 2048
    .kernarg_segment_align: 8
    .kernarg_segment_size: 108
    .language:       OpenCL C
    .language_version:
      - 2
      - 0
    .max_flat_workgroup_size: 256
    .name:           _ZL32rocblas_syrkx_herkx_small_kernelIlfLi16ELb1ELb0ELc67ELc76EKffEviT_T0_PT6_S1_lS4_S1_lS2_PT7_S1_li
    .private_segment_fixed_size: 0
    .sgpr_count:     28
    .sgpr_spill_count: 0
    .symbol:         _ZL32rocblas_syrkx_herkx_small_kernelIlfLi16ELb1ELb0ELc67ELc76EKffEviT_T0_PT6_S1_lS4_S1_lS2_PT7_S1_li.kd
    .uniform_work_group_size: 1
    .uses_dynamic_stack: false
    .vgpr_count:     27
    .vgpr_spill_count: 0
    .wavefront_size: 64
  - .args:
      - .offset:         0
        .size:           4
        .value_kind:     by_value
      - .offset:         8
        .size:           8
        .value_kind:     by_value
      - .offset:         16
        .size:           4
        .value_kind:     by_value
      - .address_space:  global
        .offset:         24
        .size:           8
        .value_kind:     global_buffer
      - .offset:         32
        .size:           8
        .value_kind:     by_value
      - .offset:         40
        .size:           8
        .value_kind:     by_value
      - .address_space:  global
        .offset:         48
        .size:           8
        .value_kind:     global_buffer
      - .offset:         56
        .size:           8
        .value_kind:     by_value
      - .offset:         64
        .size:           8
        .value_kind:     by_value
      - .offset:         72
        .size:           4
        .value_kind:     by_value
      - .address_space:  global
        .offset:         80
        .size:           8
        .value_kind:     global_buffer
      - .offset:         88
        .size:           8
        .value_kind:     by_value
      - .offset:         96
        .size:           8
        .value_kind:     by_value
      - .offset:         104
        .size:           4
        .value_kind:     by_value
    .group_segment_fixed_size: 2048
    .kernarg_segment_align: 8
    .kernarg_segment_size: 108
    .language:       OpenCL C
    .language_version:
      - 2
      - 0
    .max_flat_workgroup_size: 256
    .name:           _ZL32rocblas_syrkx_herkx_small_kernelIlfLi16ELb1ELb0ELc78ELc76EKffEviT_T0_PT6_S1_lS4_S1_lS2_PT7_S1_li
    .private_segment_fixed_size: 0
    .sgpr_count:     29
    .sgpr_spill_count: 0
    .symbol:         _ZL32rocblas_syrkx_herkx_small_kernelIlfLi16ELb1ELb0ELc78ELc76EKffEviT_T0_PT6_S1_lS4_S1_lS2_PT7_S1_li.kd
    .uniform_work_group_size: 1
    .uses_dynamic_stack: false
    .vgpr_count:     27
    .vgpr_spill_count: 0
    .wavefront_size: 64
  - .args:
      - .offset:         0
        .size:           4
        .value_kind:     by_value
      - .offset:         8
        .size:           8
        .value_kind:     by_value
      - .offset:         16
        .size:           4
        .value_kind:     by_value
      - .address_space:  global
        .offset:         24
        .size:           8
        .value_kind:     global_buffer
      - .offset:         32
        .size:           8
        .value_kind:     by_value
      - .offset:         40
        .size:           8
        .value_kind:     by_value
      - .address_space:  global
        .offset:         48
        .size:           8
        .value_kind:     global_buffer
      - .offset:         56
        .size:           8
        .value_kind:     by_value
      - .offset:         64
        .size:           8
        .value_kind:     by_value
      - .offset:         72
        .size:           4
        .value_kind:     by_value
      - .address_space:  global
        .offset:         80
        .size:           8
        .value_kind:     global_buffer
      - .offset:         88
        .size:           8
        .value_kind:     by_value
      - .offset:         96
        .size:           8
        .value_kind:     by_value
      - .offset:         104
        .size:           4
        .value_kind:     by_value
    .group_segment_fixed_size: 2048
    .kernarg_segment_align: 8
    .kernarg_segment_size: 108
    .language:       OpenCL C
    .language_version:
      - 2
      - 0
    .max_flat_workgroup_size: 256
    .name:           _ZL32rocblas_syrkx_herkx_small_kernelIlfLi16ELb1ELb0ELc84ELc85EKffEviT_T0_PT6_S1_lS4_S1_lS2_PT7_S1_li
    .private_segment_fixed_size: 0
    .sgpr_count:     28
    .sgpr_spill_count: 0
    .symbol:         _ZL32rocblas_syrkx_herkx_small_kernelIlfLi16ELb1ELb0ELc84ELc85EKffEviT_T0_PT6_S1_lS4_S1_lS2_PT7_S1_li.kd
    .uniform_work_group_size: 1
    .uses_dynamic_stack: false
    .vgpr_count:     27
    .vgpr_spill_count: 0
    .wavefront_size: 64
  - .args:
      - .offset:         0
        .size:           4
        .value_kind:     by_value
      - .offset:         8
        .size:           8
        .value_kind:     by_value
      - .offset:         16
        .size:           4
        .value_kind:     by_value
      - .address_space:  global
        .offset:         24
        .size:           8
        .value_kind:     global_buffer
      - .offset:         32
        .size:           8
        .value_kind:     by_value
      - .offset:         40
        .size:           8
        .value_kind:     by_value
      - .address_space:  global
        .offset:         48
        .size:           8
        .value_kind:     global_buffer
      - .offset:         56
        .size:           8
        .value_kind:     by_value
      - .offset:         64
        .size:           8
        .value_kind:     by_value
      - .offset:         72
        .size:           4
        .value_kind:     by_value
      - .address_space:  global
        .offset:         80
        .size:           8
        .value_kind:     global_buffer
      - .offset:         88
        .size:           8
        .value_kind:     by_value
      - .offset:         96
        .size:           8
        .value_kind:     by_value
      - .offset:         104
        .size:           4
        .value_kind:     by_value
    .group_segment_fixed_size: 2048
    .kernarg_segment_align: 8
    .kernarg_segment_size: 108
    .language:       OpenCL C
    .language_version:
      - 2
      - 0
    .max_flat_workgroup_size: 256
    .name:           _ZL32rocblas_syrkx_herkx_small_kernelIlfLi16ELb1ELb0ELc67ELc85EKffEviT_T0_PT6_S1_lS4_S1_lS2_PT7_S1_li
    .private_segment_fixed_size: 0
    .sgpr_count:     28
    .sgpr_spill_count: 0
    .symbol:         _ZL32rocblas_syrkx_herkx_small_kernelIlfLi16ELb1ELb0ELc67ELc85EKffEviT_T0_PT6_S1_lS4_S1_lS2_PT7_S1_li.kd
    .uniform_work_group_size: 1
    .uses_dynamic_stack: false
    .vgpr_count:     27
    .vgpr_spill_count: 0
    .wavefront_size: 64
  - .args:
      - .offset:         0
        .size:           4
        .value_kind:     by_value
      - .offset:         8
        .size:           8
        .value_kind:     by_value
      - .offset:         16
        .size:           4
        .value_kind:     by_value
      - .address_space:  global
        .offset:         24
        .size:           8
        .value_kind:     global_buffer
      - .offset:         32
        .size:           8
        .value_kind:     by_value
      - .offset:         40
        .size:           8
        .value_kind:     by_value
      - .address_space:  global
        .offset:         48
        .size:           8
        .value_kind:     global_buffer
      - .offset:         56
        .size:           8
        .value_kind:     by_value
      - .offset:         64
        .size:           8
        .value_kind:     by_value
      - .offset:         72
        .size:           4
        .value_kind:     by_value
      - .address_space:  global
        .offset:         80
        .size:           8
        .value_kind:     global_buffer
      - .offset:         88
        .size:           8
        .value_kind:     by_value
      - .offset:         96
        .size:           8
        .value_kind:     by_value
      - .offset:         104
        .size:           4
        .value_kind:     by_value
    .group_segment_fixed_size: 2048
    .kernarg_segment_align: 8
    .kernarg_segment_size: 108
    .language:       OpenCL C
    .language_version:
      - 2
      - 0
    .max_flat_workgroup_size: 256
    .name:           _ZL32rocblas_syrkx_herkx_small_kernelIlfLi16ELb1ELb0ELc78ELc85EKffEviT_T0_PT6_S1_lS4_S1_lS2_PT7_S1_li
    .private_segment_fixed_size: 0
    .sgpr_count:     29
    .sgpr_spill_count: 0
    .symbol:         _ZL32rocblas_syrkx_herkx_small_kernelIlfLi16ELb1ELb0ELc78ELc85EKffEviT_T0_PT6_S1_lS4_S1_lS2_PT7_S1_li.kd
    .uniform_work_group_size: 1
    .uses_dynamic_stack: false
    .vgpr_count:     27
    .vgpr_spill_count: 0
    .wavefront_size: 64
  - .args:
      - .offset:         0
        .size:           4
        .value_kind:     by_value
      - .offset:         8
        .size:           8
        .value_kind:     by_value
      - .offset:         16
        .size:           4
        .value_kind:     by_value
      - .address_space:  global
        .offset:         24
        .size:           8
        .value_kind:     global_buffer
      - .offset:         32
        .size:           8
        .value_kind:     by_value
      - .offset:         40
        .size:           8
        .value_kind:     by_value
      - .address_space:  global
        .offset:         48
        .size:           8
        .value_kind:     global_buffer
      - .offset:         56
        .size:           8
        .value_kind:     by_value
      - .offset:         64
        .size:           8
        .value_kind:     by_value
      - .offset:         72
        .size:           4
        .value_kind:     by_value
      - .address_space:  global
        .offset:         80
        .size:           8
        .value_kind:     global_buffer
      - .offset:         88
        .size:           8
        .value_kind:     by_value
      - .offset:         96
        .size:           8
        .value_kind:     by_value
      - .offset:         104
        .size:           4
        .value_kind:     by_value
    .group_segment_fixed_size: 2048
    .kernarg_segment_align: 8
    .kernarg_segment_size: 108
    .language:       OpenCL C
    .language_version:
      - 2
      - 0
    .max_flat_workgroup_size: 256
    .name:           _ZL32rocblas_syrkx_herkx_small_kernelIlfLi16ELb0ELb0ELc84ELc76EKffEviT_T0_PT6_S1_lS4_S1_lS2_PT7_S1_li
    .private_segment_fixed_size: 0
    .sgpr_count:     28
    .sgpr_spill_count: 0
    .symbol:         _ZL32rocblas_syrkx_herkx_small_kernelIlfLi16ELb0ELb0ELc84ELc76EKffEviT_T0_PT6_S1_lS4_S1_lS2_PT7_S1_li.kd
    .uniform_work_group_size: 1
    .uses_dynamic_stack: false
    .vgpr_count:     27
    .vgpr_spill_count: 0
    .wavefront_size: 64
  - .args:
      - .offset:         0
        .size:           4
        .value_kind:     by_value
      - .offset:         8
        .size:           8
        .value_kind:     by_value
      - .offset:         16
        .size:           4
        .value_kind:     by_value
      - .address_space:  global
        .offset:         24
        .size:           8
        .value_kind:     global_buffer
      - .offset:         32
        .size:           8
        .value_kind:     by_value
      - .offset:         40
        .size:           8
        .value_kind:     by_value
      - .address_space:  global
        .offset:         48
        .size:           8
        .value_kind:     global_buffer
      - .offset:         56
        .size:           8
        .value_kind:     by_value
      - .offset:         64
        .size:           8
        .value_kind:     by_value
      - .offset:         72
        .size:           4
        .value_kind:     by_value
      - .address_space:  global
        .offset:         80
        .size:           8
        .value_kind:     global_buffer
      - .offset:         88
        .size:           8
        .value_kind:     by_value
      - .offset:         96
        .size:           8
        .value_kind:     by_value
      - .offset:         104
        .size:           4
        .value_kind:     by_value
    .group_segment_fixed_size: 2048
    .kernarg_segment_align: 8
    .kernarg_segment_size: 108
    .language:       OpenCL C
    .language_version:
      - 2
      - 0
    .max_flat_workgroup_size: 256
    .name:           _ZL32rocblas_syrkx_herkx_small_kernelIlfLi16ELb0ELb0ELc67ELc76EKffEviT_T0_PT6_S1_lS4_S1_lS2_PT7_S1_li
    .private_segment_fixed_size: 0
    .sgpr_count:     28
    .sgpr_spill_count: 0
    .symbol:         _ZL32rocblas_syrkx_herkx_small_kernelIlfLi16ELb0ELb0ELc67ELc76EKffEviT_T0_PT6_S1_lS4_S1_lS2_PT7_S1_li.kd
    .uniform_work_group_size: 1
    .uses_dynamic_stack: false
    .vgpr_count:     27
    .vgpr_spill_count: 0
    .wavefront_size: 64
  - .args:
      - .offset:         0
        .size:           4
        .value_kind:     by_value
      - .offset:         8
        .size:           8
        .value_kind:     by_value
      - .offset:         16
        .size:           4
        .value_kind:     by_value
      - .address_space:  global
        .offset:         24
        .size:           8
        .value_kind:     global_buffer
      - .offset:         32
        .size:           8
        .value_kind:     by_value
      - .offset:         40
        .size:           8
        .value_kind:     by_value
      - .address_space:  global
        .offset:         48
        .size:           8
        .value_kind:     global_buffer
      - .offset:         56
        .size:           8
        .value_kind:     by_value
      - .offset:         64
        .size:           8
        .value_kind:     by_value
      - .offset:         72
        .size:           4
        .value_kind:     by_value
      - .address_space:  global
        .offset:         80
        .size:           8
        .value_kind:     global_buffer
      - .offset:         88
        .size:           8
        .value_kind:     by_value
      - .offset:         96
        .size:           8
        .value_kind:     by_value
      - .offset:         104
        .size:           4
        .value_kind:     by_value
    .group_segment_fixed_size: 2048
    .kernarg_segment_align: 8
    .kernarg_segment_size: 108
    .language:       OpenCL C
    .language_version:
      - 2
      - 0
    .max_flat_workgroup_size: 256
    .name:           _ZL32rocblas_syrkx_herkx_small_kernelIlfLi16ELb0ELb0ELc78ELc76EKffEviT_T0_PT6_S1_lS4_S1_lS2_PT7_S1_li
    .private_segment_fixed_size: 0
    .sgpr_count:     29
    .sgpr_spill_count: 0
    .symbol:         _ZL32rocblas_syrkx_herkx_small_kernelIlfLi16ELb0ELb0ELc78ELc76EKffEviT_T0_PT6_S1_lS4_S1_lS2_PT7_S1_li.kd
    .uniform_work_group_size: 1
    .uses_dynamic_stack: false
    .vgpr_count:     27
    .vgpr_spill_count: 0
    .wavefront_size: 64
  - .args:
      - .offset:         0
        .size:           4
        .value_kind:     by_value
      - .offset:         8
        .size:           8
        .value_kind:     by_value
      - .offset:         16
        .size:           4
        .value_kind:     by_value
      - .address_space:  global
        .offset:         24
        .size:           8
        .value_kind:     global_buffer
      - .offset:         32
        .size:           8
        .value_kind:     by_value
      - .offset:         40
        .size:           8
        .value_kind:     by_value
      - .address_space:  global
        .offset:         48
        .size:           8
        .value_kind:     global_buffer
      - .offset:         56
        .size:           8
        .value_kind:     by_value
      - .offset:         64
        .size:           8
        .value_kind:     by_value
      - .offset:         72
        .size:           4
        .value_kind:     by_value
      - .address_space:  global
        .offset:         80
        .size:           8
        .value_kind:     global_buffer
      - .offset:         88
        .size:           8
        .value_kind:     by_value
      - .offset:         96
        .size:           8
        .value_kind:     by_value
      - .offset:         104
        .size:           4
        .value_kind:     by_value
    .group_segment_fixed_size: 2048
    .kernarg_segment_align: 8
    .kernarg_segment_size: 108
    .language:       OpenCL C
    .language_version:
      - 2
      - 0
    .max_flat_workgroup_size: 256
    .name:           _ZL32rocblas_syrkx_herkx_small_kernelIlfLi16ELb0ELb0ELc84ELc85EKffEviT_T0_PT6_S1_lS4_S1_lS2_PT7_S1_li
    .private_segment_fixed_size: 0
    .sgpr_count:     28
    .sgpr_spill_count: 0
    .symbol:         _ZL32rocblas_syrkx_herkx_small_kernelIlfLi16ELb0ELb0ELc84ELc85EKffEviT_T0_PT6_S1_lS4_S1_lS2_PT7_S1_li.kd
    .uniform_work_group_size: 1
    .uses_dynamic_stack: false
    .vgpr_count:     27
    .vgpr_spill_count: 0
    .wavefront_size: 64
  - .args:
      - .offset:         0
        .size:           4
        .value_kind:     by_value
      - .offset:         8
        .size:           8
        .value_kind:     by_value
      - .offset:         16
        .size:           4
        .value_kind:     by_value
      - .address_space:  global
        .offset:         24
        .size:           8
        .value_kind:     global_buffer
      - .offset:         32
        .size:           8
        .value_kind:     by_value
      - .offset:         40
        .size:           8
        .value_kind:     by_value
      - .address_space:  global
        .offset:         48
        .size:           8
        .value_kind:     global_buffer
      - .offset:         56
        .size:           8
        .value_kind:     by_value
      - .offset:         64
        .size:           8
        .value_kind:     by_value
      - .offset:         72
        .size:           4
        .value_kind:     by_value
      - .address_space:  global
        .offset:         80
        .size:           8
        .value_kind:     global_buffer
      - .offset:         88
        .size:           8
        .value_kind:     by_value
      - .offset:         96
        .size:           8
        .value_kind:     by_value
      - .offset:         104
        .size:           4
        .value_kind:     by_value
    .group_segment_fixed_size: 2048
    .kernarg_segment_align: 8
    .kernarg_segment_size: 108
    .language:       OpenCL C
    .language_version:
      - 2
      - 0
    .max_flat_workgroup_size: 256
    .name:           _ZL32rocblas_syrkx_herkx_small_kernelIlfLi16ELb0ELb0ELc67ELc85EKffEviT_T0_PT6_S1_lS4_S1_lS2_PT7_S1_li
    .private_segment_fixed_size: 0
    .sgpr_count:     28
    .sgpr_spill_count: 0
    .symbol:         _ZL32rocblas_syrkx_herkx_small_kernelIlfLi16ELb0ELb0ELc67ELc85EKffEviT_T0_PT6_S1_lS4_S1_lS2_PT7_S1_li.kd
    .uniform_work_group_size: 1
    .uses_dynamic_stack: false
    .vgpr_count:     27
    .vgpr_spill_count: 0
    .wavefront_size: 64
  - .args:
      - .offset:         0
        .size:           4
        .value_kind:     by_value
      - .offset:         8
        .size:           8
        .value_kind:     by_value
      - .offset:         16
        .size:           4
        .value_kind:     by_value
      - .address_space:  global
        .offset:         24
        .size:           8
        .value_kind:     global_buffer
      - .offset:         32
        .size:           8
        .value_kind:     by_value
      - .offset:         40
        .size:           8
        .value_kind:     by_value
      - .address_space:  global
        .offset:         48
        .size:           8
        .value_kind:     global_buffer
      - .offset:         56
        .size:           8
        .value_kind:     by_value
      - .offset:         64
        .size:           8
        .value_kind:     by_value
      - .offset:         72
        .size:           4
        .value_kind:     by_value
      - .address_space:  global
        .offset:         80
        .size:           8
        .value_kind:     global_buffer
      - .offset:         88
        .size:           8
        .value_kind:     by_value
      - .offset:         96
        .size:           8
        .value_kind:     by_value
      - .offset:         104
        .size:           4
        .value_kind:     by_value
    .group_segment_fixed_size: 2048
    .kernarg_segment_align: 8
    .kernarg_segment_size: 108
    .language:       OpenCL C
    .language_version:
      - 2
      - 0
    .max_flat_workgroup_size: 256
    .name:           _ZL32rocblas_syrkx_herkx_small_kernelIlfLi16ELb0ELb0ELc78ELc85EKffEviT_T0_PT6_S1_lS4_S1_lS2_PT7_S1_li
    .private_segment_fixed_size: 0
    .sgpr_count:     29
    .sgpr_spill_count: 0
    .symbol:         _ZL32rocblas_syrkx_herkx_small_kernelIlfLi16ELb0ELb0ELc78ELc85EKffEviT_T0_PT6_S1_lS4_S1_lS2_PT7_S1_li.kd
    .uniform_work_group_size: 1
    .uses_dynamic_stack: false
    .vgpr_count:     27
    .vgpr_spill_count: 0
    .wavefront_size: 64
  - .args:
      - .offset:         0
        .size:           4
        .value_kind:     by_value
      - .offset:         8
        .size:           8
        .value_kind:     by_value
      - .offset:         16
        .size:           4
        .value_kind:     by_value
      - .address_space:  global
        .offset:         24
        .size:           8
        .value_kind:     global_buffer
      - .offset:         32
        .size:           8
        .value_kind:     by_value
      - .offset:         40
        .size:           8
        .value_kind:     by_value
      - .address_space:  global
        .offset:         48
        .size:           8
        .value_kind:     global_buffer
      - .offset:         56
        .size:           8
        .value_kind:     by_value
      - .offset:         64
        .size:           8
        .value_kind:     by_value
      - .offset:         72
        .size:           4
        .value_kind:     by_value
      - .address_space:  global
        .offset:         80
        .size:           8
        .value_kind:     global_buffer
      - .offset:         88
        .size:           8
        .value_kind:     by_value
      - .offset:         96
        .size:           8
        .value_kind:     by_value
      - .offset:         104
        .size:           4
        .value_kind:     by_value
    .group_segment_fixed_size: 2048
    .kernarg_segment_align: 8
    .kernarg_segment_size: 108
    .language:       OpenCL C
    .language_version:
      - 2
      - 0
    .max_flat_workgroup_size: 256
    .name:           _ZL34rocblas_syrkx_herkx_general_kernelIlfLi16ELi32ELi8ELb1ELb0ELc84ELc76EKffEviT_T0_PT8_S1_lS4_S1_lS2_PT9_S1_li
    .private_segment_fixed_size: 0
    .sgpr_count:     30
    .sgpr_spill_count: 0
    .symbol:         _ZL34rocblas_syrkx_herkx_general_kernelIlfLi16ELi32ELi8ELb1ELb0ELc84ELc76EKffEviT_T0_PT8_S1_lS4_S1_lS2_PT9_S1_li.kd
    .uniform_work_group_size: 1
    .uses_dynamic_stack: false
    .vgpr_count:     28
    .vgpr_spill_count: 0
    .wavefront_size: 64
  - .args:
      - .offset:         0
        .size:           4
        .value_kind:     by_value
      - .offset:         8
        .size:           8
        .value_kind:     by_value
      - .offset:         16
        .size:           4
        .value_kind:     by_value
      - .address_space:  global
        .offset:         24
        .size:           8
        .value_kind:     global_buffer
      - .offset:         32
        .size:           8
        .value_kind:     by_value
      - .offset:         40
        .size:           8
        .value_kind:     by_value
      - .address_space:  global
        .offset:         48
        .size:           8
        .value_kind:     global_buffer
      - .offset:         56
        .size:           8
        .value_kind:     by_value
      - .offset:         64
        .size:           8
        .value_kind:     by_value
      - .offset:         72
        .size:           4
        .value_kind:     by_value
      - .address_space:  global
        .offset:         80
        .size:           8
        .value_kind:     global_buffer
      - .offset:         88
        .size:           8
        .value_kind:     by_value
      - .offset:         96
        .size:           8
        .value_kind:     by_value
      - .offset:         104
        .size:           4
        .value_kind:     by_value
    .group_segment_fixed_size: 2048
    .kernarg_segment_align: 8
    .kernarg_segment_size: 108
    .language:       OpenCL C
    .language_version:
      - 2
      - 0
    .max_flat_workgroup_size: 256
    .name:           _ZL34rocblas_syrkx_herkx_general_kernelIlfLi16ELi32ELi8ELb1ELb0ELc67ELc76EKffEviT_T0_PT8_S1_lS4_S1_lS2_PT9_S1_li
    .private_segment_fixed_size: 0
    .sgpr_count:     30
    .sgpr_spill_count: 0
    .symbol:         _ZL34rocblas_syrkx_herkx_general_kernelIlfLi16ELi32ELi8ELb1ELb0ELc67ELc76EKffEviT_T0_PT8_S1_lS4_S1_lS2_PT9_S1_li.kd
    .uniform_work_group_size: 1
    .uses_dynamic_stack: false
    .vgpr_count:     28
    .vgpr_spill_count: 0
    .wavefront_size: 64
  - .args:
      - .offset:         0
        .size:           4
        .value_kind:     by_value
      - .offset:         8
        .size:           8
        .value_kind:     by_value
      - .offset:         16
        .size:           4
        .value_kind:     by_value
      - .address_space:  global
        .offset:         24
        .size:           8
        .value_kind:     global_buffer
      - .offset:         32
        .size:           8
        .value_kind:     by_value
      - .offset:         40
        .size:           8
        .value_kind:     by_value
      - .address_space:  global
        .offset:         48
        .size:           8
        .value_kind:     global_buffer
      - .offset:         56
        .size:           8
        .value_kind:     by_value
      - .offset:         64
        .size:           8
        .value_kind:     by_value
      - .offset:         72
        .size:           4
        .value_kind:     by_value
      - .address_space:  global
        .offset:         80
        .size:           8
        .value_kind:     global_buffer
      - .offset:         88
        .size:           8
        .value_kind:     by_value
      - .offset:         96
        .size:           8
        .value_kind:     by_value
      - .offset:         104
        .size:           4
        .value_kind:     by_value
    .group_segment_fixed_size: 2048
    .kernarg_segment_align: 8
    .kernarg_segment_size: 108
    .language:       OpenCL C
    .language_version:
      - 2
      - 0
    .max_flat_workgroup_size: 256
    .name:           _ZL34rocblas_syrkx_herkx_general_kernelIlfLi16ELi32ELi8ELb1ELb0ELc78ELc76EKffEviT_T0_PT8_S1_lS4_S1_lS2_PT9_S1_li
    .private_segment_fixed_size: 0
    .sgpr_count:     30
    .sgpr_spill_count: 0
    .symbol:         _ZL34rocblas_syrkx_herkx_general_kernelIlfLi16ELi32ELi8ELb1ELb0ELc78ELc76EKffEviT_T0_PT8_S1_lS4_S1_lS2_PT9_S1_li.kd
    .uniform_work_group_size: 1
    .uses_dynamic_stack: false
    .vgpr_count:     28
    .vgpr_spill_count: 0
    .wavefront_size: 64
  - .args:
      - .offset:         0
        .size:           4
        .value_kind:     by_value
      - .offset:         8
        .size:           8
        .value_kind:     by_value
      - .offset:         16
        .size:           4
        .value_kind:     by_value
      - .address_space:  global
        .offset:         24
        .size:           8
        .value_kind:     global_buffer
      - .offset:         32
        .size:           8
        .value_kind:     by_value
      - .offset:         40
        .size:           8
        .value_kind:     by_value
      - .address_space:  global
        .offset:         48
        .size:           8
        .value_kind:     global_buffer
      - .offset:         56
        .size:           8
        .value_kind:     by_value
      - .offset:         64
        .size:           8
        .value_kind:     by_value
      - .offset:         72
        .size:           4
        .value_kind:     by_value
      - .address_space:  global
        .offset:         80
        .size:           8
        .value_kind:     global_buffer
      - .offset:         88
        .size:           8
        .value_kind:     by_value
      - .offset:         96
        .size:           8
        .value_kind:     by_value
      - .offset:         104
        .size:           4
        .value_kind:     by_value
    .group_segment_fixed_size: 2048
    .kernarg_segment_align: 8
    .kernarg_segment_size: 108
    .language:       OpenCL C
    .language_version:
      - 2
      - 0
    .max_flat_workgroup_size: 256
    .name:           _ZL34rocblas_syrkx_herkx_general_kernelIlfLi16ELi32ELi8ELb1ELb0ELc84ELc85EKffEviT_T0_PT8_S1_lS4_S1_lS2_PT9_S1_li
    .private_segment_fixed_size: 0
    .sgpr_count:     30
    .sgpr_spill_count: 0
    .symbol:         _ZL34rocblas_syrkx_herkx_general_kernelIlfLi16ELi32ELi8ELb1ELb0ELc84ELc85EKffEviT_T0_PT8_S1_lS4_S1_lS2_PT9_S1_li.kd
    .uniform_work_group_size: 1
    .uses_dynamic_stack: false
    .vgpr_count:     28
    .vgpr_spill_count: 0
    .wavefront_size: 64
  - .args:
      - .offset:         0
        .size:           4
        .value_kind:     by_value
      - .offset:         8
        .size:           8
        .value_kind:     by_value
      - .offset:         16
        .size:           4
        .value_kind:     by_value
      - .address_space:  global
        .offset:         24
        .size:           8
        .value_kind:     global_buffer
      - .offset:         32
        .size:           8
        .value_kind:     by_value
      - .offset:         40
        .size:           8
        .value_kind:     by_value
      - .address_space:  global
        .offset:         48
        .size:           8
        .value_kind:     global_buffer
      - .offset:         56
        .size:           8
        .value_kind:     by_value
      - .offset:         64
        .size:           8
        .value_kind:     by_value
      - .offset:         72
        .size:           4
        .value_kind:     by_value
      - .address_space:  global
        .offset:         80
        .size:           8
        .value_kind:     global_buffer
      - .offset:         88
        .size:           8
        .value_kind:     by_value
      - .offset:         96
        .size:           8
        .value_kind:     by_value
      - .offset:         104
        .size:           4
        .value_kind:     by_value
    .group_segment_fixed_size: 2048
    .kernarg_segment_align: 8
    .kernarg_segment_size: 108
    .language:       OpenCL C
    .language_version:
      - 2
      - 0
    .max_flat_workgroup_size: 256
    .name:           _ZL34rocblas_syrkx_herkx_general_kernelIlfLi16ELi32ELi8ELb1ELb0ELc67ELc85EKffEviT_T0_PT8_S1_lS4_S1_lS2_PT9_S1_li
    .private_segment_fixed_size: 0
    .sgpr_count:     30
    .sgpr_spill_count: 0
    .symbol:         _ZL34rocblas_syrkx_herkx_general_kernelIlfLi16ELi32ELi8ELb1ELb0ELc67ELc85EKffEviT_T0_PT8_S1_lS4_S1_lS2_PT9_S1_li.kd
    .uniform_work_group_size: 1
    .uses_dynamic_stack: false
    .vgpr_count:     28
    .vgpr_spill_count: 0
    .wavefront_size: 64
  - .args:
      - .offset:         0
        .size:           4
        .value_kind:     by_value
      - .offset:         8
        .size:           8
        .value_kind:     by_value
      - .offset:         16
        .size:           4
        .value_kind:     by_value
      - .address_space:  global
        .offset:         24
        .size:           8
        .value_kind:     global_buffer
      - .offset:         32
        .size:           8
        .value_kind:     by_value
      - .offset:         40
        .size:           8
        .value_kind:     by_value
      - .address_space:  global
        .offset:         48
        .size:           8
        .value_kind:     global_buffer
      - .offset:         56
        .size:           8
        .value_kind:     by_value
      - .offset:         64
        .size:           8
        .value_kind:     by_value
      - .offset:         72
        .size:           4
        .value_kind:     by_value
      - .address_space:  global
        .offset:         80
        .size:           8
        .value_kind:     global_buffer
      - .offset:         88
        .size:           8
        .value_kind:     by_value
      - .offset:         96
        .size:           8
        .value_kind:     by_value
      - .offset:         104
        .size:           4
        .value_kind:     by_value
    .group_segment_fixed_size: 2048
    .kernarg_segment_align: 8
    .kernarg_segment_size: 108
    .language:       OpenCL C
    .language_version:
      - 2
      - 0
    .max_flat_workgroup_size: 256
    .name:           _ZL34rocblas_syrkx_herkx_general_kernelIlfLi16ELi32ELi8ELb1ELb0ELc78ELc85EKffEviT_T0_PT8_S1_lS4_S1_lS2_PT9_S1_li
    .private_segment_fixed_size: 0
    .sgpr_count:     30
    .sgpr_spill_count: 0
    .symbol:         _ZL34rocblas_syrkx_herkx_general_kernelIlfLi16ELi32ELi8ELb1ELb0ELc78ELc85EKffEviT_T0_PT8_S1_lS4_S1_lS2_PT9_S1_li.kd
    .uniform_work_group_size: 1
    .uses_dynamic_stack: false
    .vgpr_count:     28
    .vgpr_spill_count: 0
    .wavefront_size: 64
  - .args:
      - .offset:         0
        .size:           4
        .value_kind:     by_value
      - .offset:         8
        .size:           8
        .value_kind:     by_value
      - .offset:         16
        .size:           4
        .value_kind:     by_value
      - .address_space:  global
        .offset:         24
        .size:           8
        .value_kind:     global_buffer
      - .offset:         32
        .size:           8
        .value_kind:     by_value
      - .offset:         40
        .size:           8
        .value_kind:     by_value
      - .address_space:  global
        .offset:         48
        .size:           8
        .value_kind:     global_buffer
      - .offset:         56
        .size:           8
        .value_kind:     by_value
      - .offset:         64
        .size:           8
        .value_kind:     by_value
      - .offset:         72
        .size:           4
        .value_kind:     by_value
      - .address_space:  global
        .offset:         80
        .size:           8
        .value_kind:     global_buffer
      - .offset:         88
        .size:           8
        .value_kind:     by_value
      - .offset:         96
        .size:           8
        .value_kind:     by_value
      - .offset:         104
        .size:           4
        .value_kind:     by_value
    .group_segment_fixed_size: 2048
    .kernarg_segment_align: 8
    .kernarg_segment_size: 108
    .language:       OpenCL C
    .language_version:
      - 2
      - 0
    .max_flat_workgroup_size: 256
    .name:           _ZL34rocblas_syrkx_herkx_general_kernelIlfLi16ELi32ELi8ELb0ELb0ELc84ELc76EKffEviT_T0_PT8_S1_lS4_S1_lS2_PT9_S1_li
    .private_segment_fixed_size: 0
    .sgpr_count:     30
    .sgpr_spill_count: 0
    .symbol:         _ZL34rocblas_syrkx_herkx_general_kernelIlfLi16ELi32ELi8ELb0ELb0ELc84ELc76EKffEviT_T0_PT8_S1_lS4_S1_lS2_PT9_S1_li.kd
    .uniform_work_group_size: 1
    .uses_dynamic_stack: false
    .vgpr_count:     28
    .vgpr_spill_count: 0
    .wavefront_size: 64
  - .args:
      - .offset:         0
        .size:           4
        .value_kind:     by_value
      - .offset:         8
        .size:           8
        .value_kind:     by_value
      - .offset:         16
        .size:           4
        .value_kind:     by_value
      - .address_space:  global
        .offset:         24
        .size:           8
        .value_kind:     global_buffer
      - .offset:         32
        .size:           8
        .value_kind:     by_value
      - .offset:         40
        .size:           8
        .value_kind:     by_value
      - .address_space:  global
        .offset:         48
        .size:           8
        .value_kind:     global_buffer
      - .offset:         56
        .size:           8
        .value_kind:     by_value
      - .offset:         64
        .size:           8
        .value_kind:     by_value
      - .offset:         72
        .size:           4
        .value_kind:     by_value
      - .address_space:  global
        .offset:         80
        .size:           8
        .value_kind:     global_buffer
      - .offset:         88
        .size:           8
        .value_kind:     by_value
      - .offset:         96
        .size:           8
        .value_kind:     by_value
      - .offset:         104
        .size:           4
        .value_kind:     by_value
    .group_segment_fixed_size: 2048
    .kernarg_segment_align: 8
    .kernarg_segment_size: 108
    .language:       OpenCL C
    .language_version:
      - 2
      - 0
    .max_flat_workgroup_size: 256
    .name:           _ZL34rocblas_syrkx_herkx_general_kernelIlfLi16ELi32ELi8ELb0ELb0ELc67ELc76EKffEviT_T0_PT8_S1_lS4_S1_lS2_PT9_S1_li
    .private_segment_fixed_size: 0
    .sgpr_count:     30
    .sgpr_spill_count: 0
    .symbol:         _ZL34rocblas_syrkx_herkx_general_kernelIlfLi16ELi32ELi8ELb0ELb0ELc67ELc76EKffEviT_T0_PT8_S1_lS4_S1_lS2_PT9_S1_li.kd
    .uniform_work_group_size: 1
    .uses_dynamic_stack: false
    .vgpr_count:     28
    .vgpr_spill_count: 0
    .wavefront_size: 64
  - .args:
      - .offset:         0
        .size:           4
        .value_kind:     by_value
      - .offset:         8
        .size:           8
        .value_kind:     by_value
      - .offset:         16
        .size:           4
        .value_kind:     by_value
      - .address_space:  global
        .offset:         24
        .size:           8
        .value_kind:     global_buffer
      - .offset:         32
        .size:           8
        .value_kind:     by_value
      - .offset:         40
        .size:           8
        .value_kind:     by_value
      - .address_space:  global
        .offset:         48
        .size:           8
        .value_kind:     global_buffer
      - .offset:         56
        .size:           8
        .value_kind:     by_value
      - .offset:         64
        .size:           8
        .value_kind:     by_value
      - .offset:         72
        .size:           4
        .value_kind:     by_value
      - .address_space:  global
        .offset:         80
        .size:           8
        .value_kind:     global_buffer
      - .offset:         88
        .size:           8
        .value_kind:     by_value
      - .offset:         96
        .size:           8
        .value_kind:     by_value
      - .offset:         104
        .size:           4
        .value_kind:     by_value
    .group_segment_fixed_size: 2048
    .kernarg_segment_align: 8
    .kernarg_segment_size: 108
    .language:       OpenCL C
    .language_version:
      - 2
      - 0
    .max_flat_workgroup_size: 256
    .name:           _ZL34rocblas_syrkx_herkx_general_kernelIlfLi16ELi32ELi8ELb0ELb0ELc78ELc76EKffEviT_T0_PT8_S1_lS4_S1_lS2_PT9_S1_li
    .private_segment_fixed_size: 0
    .sgpr_count:     30
    .sgpr_spill_count: 0
    .symbol:         _ZL34rocblas_syrkx_herkx_general_kernelIlfLi16ELi32ELi8ELb0ELb0ELc78ELc76EKffEviT_T0_PT8_S1_lS4_S1_lS2_PT9_S1_li.kd
    .uniform_work_group_size: 1
    .uses_dynamic_stack: false
    .vgpr_count:     28
    .vgpr_spill_count: 0
    .wavefront_size: 64
  - .args:
      - .offset:         0
        .size:           4
        .value_kind:     by_value
      - .offset:         8
        .size:           8
        .value_kind:     by_value
      - .offset:         16
        .size:           4
        .value_kind:     by_value
      - .address_space:  global
        .offset:         24
        .size:           8
        .value_kind:     global_buffer
      - .offset:         32
        .size:           8
        .value_kind:     by_value
      - .offset:         40
        .size:           8
        .value_kind:     by_value
      - .address_space:  global
        .offset:         48
        .size:           8
        .value_kind:     global_buffer
      - .offset:         56
        .size:           8
        .value_kind:     by_value
      - .offset:         64
        .size:           8
        .value_kind:     by_value
      - .offset:         72
        .size:           4
        .value_kind:     by_value
      - .address_space:  global
        .offset:         80
        .size:           8
        .value_kind:     global_buffer
      - .offset:         88
        .size:           8
        .value_kind:     by_value
      - .offset:         96
        .size:           8
        .value_kind:     by_value
      - .offset:         104
        .size:           4
        .value_kind:     by_value
    .group_segment_fixed_size: 2048
    .kernarg_segment_align: 8
    .kernarg_segment_size: 108
    .language:       OpenCL C
    .language_version:
      - 2
      - 0
    .max_flat_workgroup_size: 256
    .name:           _ZL34rocblas_syrkx_herkx_general_kernelIlfLi16ELi32ELi8ELb0ELb0ELc84ELc85EKffEviT_T0_PT8_S1_lS4_S1_lS2_PT9_S1_li
    .private_segment_fixed_size: 0
    .sgpr_count:     30
    .sgpr_spill_count: 0
    .symbol:         _ZL34rocblas_syrkx_herkx_general_kernelIlfLi16ELi32ELi8ELb0ELb0ELc84ELc85EKffEviT_T0_PT8_S1_lS4_S1_lS2_PT9_S1_li.kd
    .uniform_work_group_size: 1
    .uses_dynamic_stack: false
    .vgpr_count:     28
    .vgpr_spill_count: 0
    .wavefront_size: 64
  - .args:
      - .offset:         0
        .size:           4
        .value_kind:     by_value
      - .offset:         8
        .size:           8
        .value_kind:     by_value
      - .offset:         16
        .size:           4
        .value_kind:     by_value
      - .address_space:  global
        .offset:         24
        .size:           8
        .value_kind:     global_buffer
      - .offset:         32
        .size:           8
        .value_kind:     by_value
      - .offset:         40
        .size:           8
        .value_kind:     by_value
      - .address_space:  global
        .offset:         48
        .size:           8
        .value_kind:     global_buffer
      - .offset:         56
        .size:           8
        .value_kind:     by_value
      - .offset:         64
        .size:           8
        .value_kind:     by_value
      - .offset:         72
        .size:           4
        .value_kind:     by_value
      - .address_space:  global
        .offset:         80
        .size:           8
        .value_kind:     global_buffer
      - .offset:         88
        .size:           8
        .value_kind:     by_value
      - .offset:         96
        .size:           8
        .value_kind:     by_value
      - .offset:         104
        .size:           4
        .value_kind:     by_value
    .group_segment_fixed_size: 2048
    .kernarg_segment_align: 8
    .kernarg_segment_size: 108
    .language:       OpenCL C
    .language_version:
      - 2
      - 0
    .max_flat_workgroup_size: 256
    .name:           _ZL34rocblas_syrkx_herkx_general_kernelIlfLi16ELi32ELi8ELb0ELb0ELc67ELc85EKffEviT_T0_PT8_S1_lS4_S1_lS2_PT9_S1_li
    .private_segment_fixed_size: 0
    .sgpr_count:     30
    .sgpr_spill_count: 0
    .symbol:         _ZL34rocblas_syrkx_herkx_general_kernelIlfLi16ELi32ELi8ELb0ELb0ELc67ELc85EKffEviT_T0_PT8_S1_lS4_S1_lS2_PT9_S1_li.kd
    .uniform_work_group_size: 1
    .uses_dynamic_stack: false
    .vgpr_count:     28
    .vgpr_spill_count: 0
    .wavefront_size: 64
  - .args:
      - .offset:         0
        .size:           4
        .value_kind:     by_value
      - .offset:         8
        .size:           8
        .value_kind:     by_value
      - .offset:         16
        .size:           4
        .value_kind:     by_value
      - .address_space:  global
        .offset:         24
        .size:           8
        .value_kind:     global_buffer
      - .offset:         32
        .size:           8
        .value_kind:     by_value
      - .offset:         40
        .size:           8
        .value_kind:     by_value
      - .address_space:  global
        .offset:         48
        .size:           8
        .value_kind:     global_buffer
      - .offset:         56
        .size:           8
        .value_kind:     by_value
      - .offset:         64
        .size:           8
        .value_kind:     by_value
      - .offset:         72
        .size:           4
        .value_kind:     by_value
      - .address_space:  global
        .offset:         80
        .size:           8
        .value_kind:     global_buffer
      - .offset:         88
        .size:           8
        .value_kind:     by_value
      - .offset:         96
        .size:           8
        .value_kind:     by_value
      - .offset:         104
        .size:           4
        .value_kind:     by_value
    .group_segment_fixed_size: 2048
    .kernarg_segment_align: 8
    .kernarg_segment_size: 108
    .language:       OpenCL C
    .language_version:
      - 2
      - 0
    .max_flat_workgroup_size: 256
    .name:           _ZL34rocblas_syrkx_herkx_general_kernelIlfLi16ELi32ELi8ELb0ELb0ELc78ELc85EKffEviT_T0_PT8_S1_lS4_S1_lS2_PT9_S1_li
    .private_segment_fixed_size: 0
    .sgpr_count:     30
    .sgpr_spill_count: 0
    .symbol:         _ZL34rocblas_syrkx_herkx_general_kernelIlfLi16ELi32ELi8ELb0ELb0ELc78ELc85EKffEviT_T0_PT8_S1_lS4_S1_lS2_PT9_S1_li.kd
    .uniform_work_group_size: 1
    .uses_dynamic_stack: false
    .vgpr_count:     28
    .vgpr_spill_count: 0
    .wavefront_size: 64
  - .args:
      - .offset:         0
        .size:           1
        .value_kind:     by_value
      - .offset:         4
        .size:           4
        .value_kind:     by_value
      - .offset:         8
        .size:           8
        .value_kind:     by_value
      - .offset:         16
        .size:           4
        .value_kind:     by_value
      - .offset:         20
        .size:           4
        .value_kind:     by_value
      - .address_space:  global
        .offset:         24
        .size:           8
        .value_kind:     global_buffer
      - .offset:         32
        .size:           8
        .value_kind:     by_value
      - .offset:         40
        .size:           8
        .value_kind:     by_value
      - .offset:         48
        .size:           4
        .value_kind:     by_value
      - .offset:         56
        .size:           4
        .value_kind:     hidden_block_count_x
      - .offset:         60
        .size:           4
        .value_kind:     hidden_block_count_y
      - .offset:         64
        .size:           4
        .value_kind:     hidden_block_count_z
      - .offset:         68
        .size:           2
        .value_kind:     hidden_group_size_x
      - .offset:         70
        .size:           2
        .value_kind:     hidden_group_size_y
      - .offset:         72
        .size:           2
        .value_kind:     hidden_group_size_z
      - .offset:         74
        .size:           2
        .value_kind:     hidden_remainder_x
      - .offset:         76
        .size:           2
        .value_kind:     hidden_remainder_y
      - .offset:         78
        .size:           2
        .value_kind:     hidden_remainder_z
      - .offset:         96
        .size:           8
        .value_kind:     hidden_global_offset_x
      - .offset:         104
        .size:           8
        .value_kind:     hidden_global_offset_y
      - .offset:         112
        .size:           8
        .value_kind:     hidden_global_offset_z
      - .offset:         120
        .size:           2
        .value_kind:     hidden_grid_dims
    .group_segment_fixed_size: 0
    .kernarg_segment_align: 8
    .kernarg_segment_size: 312
    .language:       OpenCL C
    .language_version:
      - 2
      - 0
    .max_flat_workgroup_size: 1024
    .name:           _ZL26rocblas_syr2k_scale_kernelIlLi128ELi8ELb0EffPfEvbiT_T3_T4_T5_S1_li
    .private_segment_fixed_size: 0
    .sgpr_count:     20
    .sgpr_spill_count: 0
    .symbol:         _ZL26rocblas_syr2k_scale_kernelIlLi128ELi8ELb0EffPfEvbiT_T3_T4_T5_S1_li.kd
    .uniform_work_group_size: 1
    .uses_dynamic_stack: false
    .vgpr_count:     6
    .vgpr_spill_count: 0
    .wavefront_size: 64
  - .args:
      - .offset:         0
        .size:           1
        .value_kind:     by_value
      - .offset:         4
        .size:           4
        .value_kind:     by_value
      - .offset:         8
        .size:           8
        .value_kind:     by_value
      - .address_space:  global
        .offset:         16
        .size:           8
        .value_kind:     global_buffer
      - .address_space:  global
        .offset:         24
        .size:           8
        .value_kind:     global_buffer
      - .offset:         32
        .size:           8
        .value_kind:     by_value
      - .offset:         40
        .size:           8
        .value_kind:     by_value
      - .address_space:  global
        .offset:         48
        .size:           8
        .value_kind:     global_buffer
      - .offset:         56
        .size:           8
        .value_kind:     by_value
      - .offset:         64
        .size:           8
        .value_kind:     by_value
      - .address_space:  global
        .offset:         72
        .size:           8
        .value_kind:     global_buffer
      - .offset:         80
        .size:           8
        .value_kind:     by_value
      - .offset:         88
        .size:           8
        .value_kind:     by_value
      - .offset:         96
        .size:           4
        .value_kind:     by_value
    .group_segment_fixed_size: 8192
    .kernarg_segment_align: 8
    .kernarg_segment_size: 100
    .language:       OpenCL C
    .language_version:
      - 2
      - 0
    .max_flat_workgroup_size: 1024
    .name:           _ZL26rocblas_syr2k_her2k_kernelIlLb0ELb0ELb0ELi32EPKfS1_PfEvbiT_T4_T5_S3_lS5_S3_lT6_S3_li
    .private_segment_fixed_size: 0
    .sgpr_count:     44
    .sgpr_spill_count: 0
    .symbol:         _ZL26rocblas_syr2k_her2k_kernelIlLb0ELb0ELb0ELi32EPKfS1_PfEvbiT_T4_T5_S3_lS5_S3_lT6_S3_li.kd
    .uniform_work_group_size: 1
    .uses_dynamic_stack: false
    .vgpr_count:     29
    .vgpr_spill_count: 0
    .wavefront_size: 64
  - .args:
      - .offset:         0
        .size:           1
        .value_kind:     by_value
      - .offset:         4
        .size:           4
        .value_kind:     by_value
      - .offset:         8
        .size:           8
        .value_kind:     by_value
      - .address_space:  global
        .offset:         16
        .size:           8
        .value_kind:     global_buffer
      - .address_space:  global
        .offset:         24
        .size:           8
        .value_kind:     global_buffer
      - .offset:         32
        .size:           8
        .value_kind:     by_value
      - .offset:         40
        .size:           8
        .value_kind:     by_value
      - .address_space:  global
        .offset:         48
        .size:           8
        .value_kind:     global_buffer
      - .offset:         56
        .size:           8
        .value_kind:     by_value
      - .offset:         64
        .size:           8
        .value_kind:     by_value
      - .address_space:  global
        .offset:         72
        .size:           8
        .value_kind:     global_buffer
      - .offset:         80
        .size:           8
        .value_kind:     by_value
      - .offset:         88
        .size:           8
        .value_kind:     by_value
      - .offset:         96
        .size:           4
        .value_kind:     by_value
    .group_segment_fixed_size: 8192
    .kernarg_segment_align: 8
    .kernarg_segment_size: 100
    .language:       OpenCL C
    .language_version:
      - 2
      - 0
    .max_flat_workgroup_size: 1024
    .name:           _ZL26rocblas_syr2k_her2k_kernelIlLb0ELb0ELb1ELi32EPKfS1_PfEvbiT_T4_T5_S3_lS5_S3_lT6_S3_li
    .private_segment_fixed_size: 0
    .sgpr_count:     36
    .sgpr_spill_count: 0
    .symbol:         _ZL26rocblas_syr2k_her2k_kernelIlLb0ELb0ELb1ELi32EPKfS1_PfEvbiT_T4_T5_S3_lS5_S3_lT6_S3_li.kd
    .uniform_work_group_size: 1
    .uses_dynamic_stack: false
    .vgpr_count:     29
    .vgpr_spill_count: 0
    .wavefront_size: 64
  - .args:
      - .offset:         0
        .size:           1
        .value_kind:     by_value
      - .offset:         4
        .size:           4
        .value_kind:     by_value
      - .offset:         8
        .size:           8
        .value_kind:     by_value
      - .offset:         16
        .size:           8
        .value_kind:     by_value
      - .address_space:  global
        .offset:         24
        .size:           8
        .value_kind:     global_buffer
      - .offset:         32
        .size:           8
        .value_kind:     by_value
      - .offset:         40
        .size:           8
        .value_kind:     by_value
      - .address_space:  global
        .offset:         48
        .size:           8
        .value_kind:     global_buffer
      - .offset:         56
        .size:           8
        .value_kind:     by_value
      - .offset:         64
        .size:           8
        .value_kind:     by_value
      - .address_space:  global
        .offset:         72
        .size:           8
        .value_kind:     global_buffer
      - .offset:         80
        .size:           8
        .value_kind:     by_value
      - .offset:         88
        .size:           8
        .value_kind:     by_value
      - .offset:         96
        .size:           4
        .value_kind:     by_value
    .group_segment_fixed_size: 16384
    .kernarg_segment_align: 8
    .kernarg_segment_size: 100
    .language:       OpenCL C
    .language_version:
      - 2
      - 0
    .max_flat_workgroup_size: 1024
    .name:           _ZL26rocblas_syr2k_her2k_kernelIlLb0ELb0ELb0ELi32EdPKdPdEvbiT_T4_T5_S3_lS5_S3_lT6_S3_li
    .private_segment_fixed_size: 0
    .sgpr_count:     36
    .sgpr_spill_count: 0
    .symbol:         _ZL26rocblas_syr2k_her2k_kernelIlLb0ELb0ELb0ELi32EdPKdPdEvbiT_T4_T5_S3_lS5_S3_lT6_S3_li.kd
    .uniform_work_group_size: 1
    .uses_dynamic_stack: false
    .vgpr_count:     27
    .vgpr_spill_count: 0
    .wavefront_size: 64
  - .args:
      - .offset:         0
        .size:           1
        .value_kind:     by_value
      - .offset:         4
        .size:           4
        .value_kind:     by_value
      - .offset:         8
        .size:           8
        .value_kind:     by_value
      - .offset:         16
        .size:           8
        .value_kind:     by_value
      - .address_space:  global
        .offset:         24
        .size:           8
        .value_kind:     global_buffer
      - .offset:         32
        .size:           8
        .value_kind:     by_value
      - .offset:         40
        .size:           8
        .value_kind:     by_value
      - .address_space:  global
        .offset:         48
        .size:           8
        .value_kind:     global_buffer
      - .offset:         56
        .size:           8
        .value_kind:     by_value
      - .offset:         64
        .size:           8
        .value_kind:     by_value
      - .address_space:  global
        .offset:         72
        .size:           8
        .value_kind:     global_buffer
      - .offset:         80
        .size:           8
        .value_kind:     by_value
      - .offset:         88
        .size:           8
        .value_kind:     by_value
      - .offset:         96
        .size:           4
        .value_kind:     by_value
    .group_segment_fixed_size: 16384
    .kernarg_segment_align: 8
    .kernarg_segment_size: 100
    .language:       OpenCL C
    .language_version:
      - 2
      - 0
    .max_flat_workgroup_size: 1024
    .name:           _ZL26rocblas_syr2k_her2k_kernelIlLb0ELb0ELb1ELi32EdPKdPdEvbiT_T4_T5_S3_lS5_S3_lT6_S3_li
    .private_segment_fixed_size: 0
    .sgpr_count:     36
    .sgpr_spill_count: 0
    .symbol:         _ZL26rocblas_syr2k_her2k_kernelIlLb0ELb0ELb1ELi32EdPKdPdEvbiT_T4_T5_S3_lS5_S3_lT6_S3_li.kd
    .uniform_work_group_size: 1
    .uses_dynamic_stack: false
    .vgpr_count:     27
    .vgpr_spill_count: 0
    .wavefront_size: 64
  - .args:
      - .offset:         0
        .size:           4
        .value_kind:     by_value
      - .offset:         8
        .size:           8
        .value_kind:     by_value
      - .address_space:  global
        .offset:         16
        .size:           8
        .value_kind:     global_buffer
      - .offset:         24
        .size:           8
        .value_kind:     by_value
      - .offset:         32
        .size:           8
        .value_kind:     by_value
      - .address_space:  global
        .offset:         40
        .size:           8
        .value_kind:     global_buffer
      - .offset:         48
        .size:           8
        .value_kind:     by_value
      - .offset:         56
        .size:           8
        .value_kind:     by_value
      - .address_space:  global
        .offset:         64
        .size:           8
        .value_kind:     global_buffer
      - .offset:         72
        .size:           8
        .value_kind:     by_value
      - .offset:         80
        .size:           8
        .value_kind:     by_value
      - .offset:         88
        .size:           4
        .value_kind:     by_value
    .group_segment_fixed_size: 4096
    .kernarg_segment_align: 8
    .kernarg_segment_size: 92
    .language:       OpenCL C
    .language_version:
      - 2
      - 0
    .max_flat_workgroup_size: 256
    .name:           _ZL37rocblas_syrkx_herkx_restricted_kernelIldLi16ELi32ELi8ELi1ELi1ELb0ELc84ELc76EKddEviT_PT9_S1_lS3_S1_lPT10_S1_li
    .private_segment_fixed_size: 0
    .sgpr_count:     32
    .sgpr_spill_count: 0
    .symbol:         _ZL37rocblas_syrkx_herkx_restricted_kernelIldLi16ELi32ELi8ELi1ELi1ELb0ELc84ELc76EKddEviT_PT9_S1_lS3_S1_lPT10_S1_li.kd
    .uniform_work_group_size: 1
    .uses_dynamic_stack: false
    .vgpr_count:     38
    .vgpr_spill_count: 0
    .wavefront_size: 64
  - .args:
      - .offset:         0
        .size:           4
        .value_kind:     by_value
      - .offset:         8
        .size:           8
        .value_kind:     by_value
      - .address_space:  global
        .offset:         16
        .size:           8
        .value_kind:     global_buffer
      - .offset:         24
        .size:           8
        .value_kind:     by_value
      - .offset:         32
        .size:           8
        .value_kind:     by_value
      - .address_space:  global
        .offset:         40
        .size:           8
        .value_kind:     global_buffer
      - .offset:         48
        .size:           8
        .value_kind:     by_value
      - .offset:         56
        .size:           8
        .value_kind:     by_value
      - .address_space:  global
        .offset:         64
        .size:           8
        .value_kind:     global_buffer
      - .offset:         72
        .size:           8
        .value_kind:     by_value
      - .offset:         80
        .size:           8
        .value_kind:     by_value
      - .offset:         88
        .size:           4
        .value_kind:     by_value
    .group_segment_fixed_size: 4096
    .kernarg_segment_align: 8
    .kernarg_segment_size: 92
    .language:       OpenCL C
    .language_version:
      - 2
      - 0
    .max_flat_workgroup_size: 256
    .name:           _ZL37rocblas_syrkx_herkx_restricted_kernelIldLi16ELi32ELi8ELi1ELi1ELb0ELc67ELc76EKddEviT_PT9_S1_lS3_S1_lPT10_S1_li
    .private_segment_fixed_size: 0
    .sgpr_count:     32
    .sgpr_spill_count: 0
    .symbol:         _ZL37rocblas_syrkx_herkx_restricted_kernelIldLi16ELi32ELi8ELi1ELi1ELb0ELc67ELc76EKddEviT_PT9_S1_lS3_S1_lPT10_S1_li.kd
    .uniform_work_group_size: 1
    .uses_dynamic_stack: false
    .vgpr_count:     38
    .vgpr_spill_count: 0
    .wavefront_size: 64
  - .args:
      - .offset:         0
        .size:           4
        .value_kind:     by_value
      - .offset:         8
        .size:           8
        .value_kind:     by_value
      - .address_space:  global
        .offset:         16
        .size:           8
        .value_kind:     global_buffer
      - .offset:         24
        .size:           8
        .value_kind:     by_value
      - .offset:         32
        .size:           8
        .value_kind:     by_value
      - .address_space:  global
        .offset:         40
        .size:           8
        .value_kind:     global_buffer
      - .offset:         48
        .size:           8
        .value_kind:     by_value
      - .offset:         56
        .size:           8
        .value_kind:     by_value
      - .address_space:  global
        .offset:         64
        .size:           8
        .value_kind:     global_buffer
      - .offset:         72
        .size:           8
        .value_kind:     by_value
      - .offset:         80
        .size:           8
        .value_kind:     by_value
      - .offset:         88
        .size:           4
        .value_kind:     by_value
    .group_segment_fixed_size: 4096
    .kernarg_segment_align: 8
    .kernarg_segment_size: 92
    .language:       OpenCL C
    .language_version:
      - 2
      - 0
    .max_flat_workgroup_size: 256
    .name:           _ZL37rocblas_syrkx_herkx_restricted_kernelIldLi16ELi32ELi8ELi1ELi1ELb0ELc78ELc76EKddEviT_PT9_S1_lS3_S1_lPT10_S1_li
    .private_segment_fixed_size: 0
    .sgpr_count:     32
    .sgpr_spill_count: 0
    .symbol:         _ZL37rocblas_syrkx_herkx_restricted_kernelIldLi16ELi32ELi8ELi1ELi1ELb0ELc78ELc76EKddEviT_PT9_S1_lS3_S1_lPT10_S1_li.kd
    .uniform_work_group_size: 1
    .uses_dynamic_stack: false
    .vgpr_count:     38
    .vgpr_spill_count: 0
    .wavefront_size: 64
  - .args:
      - .offset:         0
        .size:           4
        .value_kind:     by_value
      - .offset:         8
        .size:           8
        .value_kind:     by_value
      - .address_space:  global
        .offset:         16
        .size:           8
        .value_kind:     global_buffer
      - .offset:         24
        .size:           8
        .value_kind:     by_value
      - .offset:         32
        .size:           8
        .value_kind:     by_value
      - .address_space:  global
        .offset:         40
        .size:           8
        .value_kind:     global_buffer
      - .offset:         48
        .size:           8
        .value_kind:     by_value
      - .offset:         56
        .size:           8
        .value_kind:     by_value
      - .address_space:  global
        .offset:         64
        .size:           8
        .value_kind:     global_buffer
      - .offset:         72
        .size:           8
        .value_kind:     by_value
      - .offset:         80
        .size:           8
        .value_kind:     by_value
      - .offset:         88
        .size:           4
        .value_kind:     by_value
    .group_segment_fixed_size: 4096
    .kernarg_segment_align: 8
    .kernarg_segment_size: 92
    .language:       OpenCL C
    .language_version:
      - 2
      - 0
    .max_flat_workgroup_size: 256
    .name:           _ZL37rocblas_syrkx_herkx_restricted_kernelIldLi16ELi32ELi8ELi1ELi1ELb0ELc84ELc85EKddEviT_PT9_S1_lS3_S1_lPT10_S1_li
    .private_segment_fixed_size: 0
    .sgpr_count:     32
    .sgpr_spill_count: 0
    .symbol:         _ZL37rocblas_syrkx_herkx_restricted_kernelIldLi16ELi32ELi8ELi1ELi1ELb0ELc84ELc85EKddEviT_PT9_S1_lS3_S1_lPT10_S1_li.kd
    .uniform_work_group_size: 1
    .uses_dynamic_stack: false
    .vgpr_count:     36
    .vgpr_spill_count: 0
    .wavefront_size: 64
  - .args:
      - .offset:         0
        .size:           4
        .value_kind:     by_value
      - .offset:         8
        .size:           8
        .value_kind:     by_value
      - .address_space:  global
        .offset:         16
        .size:           8
        .value_kind:     global_buffer
      - .offset:         24
        .size:           8
        .value_kind:     by_value
      - .offset:         32
        .size:           8
        .value_kind:     by_value
      - .address_space:  global
        .offset:         40
        .size:           8
        .value_kind:     global_buffer
      - .offset:         48
        .size:           8
        .value_kind:     by_value
      - .offset:         56
        .size:           8
        .value_kind:     by_value
      - .address_space:  global
        .offset:         64
        .size:           8
        .value_kind:     global_buffer
      - .offset:         72
        .size:           8
        .value_kind:     by_value
      - .offset:         80
        .size:           8
        .value_kind:     by_value
      - .offset:         88
        .size:           4
        .value_kind:     by_value
    .group_segment_fixed_size: 4096
    .kernarg_segment_align: 8
    .kernarg_segment_size: 92
    .language:       OpenCL C
    .language_version:
      - 2
      - 0
    .max_flat_workgroup_size: 256
    .name:           _ZL37rocblas_syrkx_herkx_restricted_kernelIldLi16ELi32ELi8ELi1ELi1ELb0ELc67ELc85EKddEviT_PT9_S1_lS3_S1_lPT10_S1_li
    .private_segment_fixed_size: 0
    .sgpr_count:     32
    .sgpr_spill_count: 0
    .symbol:         _ZL37rocblas_syrkx_herkx_restricted_kernelIldLi16ELi32ELi8ELi1ELi1ELb0ELc67ELc85EKddEviT_PT9_S1_lS3_S1_lPT10_S1_li.kd
    .uniform_work_group_size: 1
    .uses_dynamic_stack: false
    .vgpr_count:     36
    .vgpr_spill_count: 0
    .wavefront_size: 64
  - .args:
      - .offset:         0
        .size:           4
        .value_kind:     by_value
      - .offset:         8
        .size:           8
        .value_kind:     by_value
      - .address_space:  global
        .offset:         16
        .size:           8
        .value_kind:     global_buffer
      - .offset:         24
        .size:           8
        .value_kind:     by_value
      - .offset:         32
        .size:           8
        .value_kind:     by_value
      - .address_space:  global
        .offset:         40
        .size:           8
        .value_kind:     global_buffer
      - .offset:         48
        .size:           8
        .value_kind:     by_value
      - .offset:         56
        .size:           8
        .value_kind:     by_value
      - .address_space:  global
        .offset:         64
        .size:           8
        .value_kind:     global_buffer
      - .offset:         72
        .size:           8
        .value_kind:     by_value
      - .offset:         80
        .size:           8
        .value_kind:     by_value
      - .offset:         88
        .size:           4
        .value_kind:     by_value
    .group_segment_fixed_size: 4096
    .kernarg_segment_align: 8
    .kernarg_segment_size: 92
    .language:       OpenCL C
    .language_version:
      - 2
      - 0
    .max_flat_workgroup_size: 256
    .name:           _ZL37rocblas_syrkx_herkx_restricted_kernelIldLi16ELi32ELi8ELi1ELi1ELb0ELc78ELc85EKddEviT_PT9_S1_lS3_S1_lPT10_S1_li
    .private_segment_fixed_size: 0
    .sgpr_count:     32
    .sgpr_spill_count: 0
    .symbol:         _ZL37rocblas_syrkx_herkx_restricted_kernelIldLi16ELi32ELi8ELi1ELi1ELb0ELc78ELc85EKddEviT_PT9_S1_lS3_S1_lPT10_S1_li.kd
    .uniform_work_group_size: 1
    .uses_dynamic_stack: false
    .vgpr_count:     38
    .vgpr_spill_count: 0
    .wavefront_size: 64
  - .args:
      - .offset:         0
        .size:           4
        .value_kind:     by_value
      - .offset:         8
        .size:           8
        .value_kind:     by_value
      - .address_space:  global
        .offset:         16
        .size:           8
        .value_kind:     global_buffer
      - .offset:         24
        .size:           8
        .value_kind:     by_value
      - .offset:         32
        .size:           8
        .value_kind:     by_value
      - .address_space:  global
        .offset:         40
        .size:           8
        .value_kind:     global_buffer
      - .offset:         48
        .size:           8
        .value_kind:     by_value
      - .offset:         56
        .size:           8
        .value_kind:     by_value
      - .address_space:  global
        .offset:         64
        .size:           8
        .value_kind:     global_buffer
      - .offset:         72
        .size:           8
        .value_kind:     by_value
      - .offset:         80
        .size:           8
        .value_kind:     by_value
      - .offset:         88
        .size:           4
        .value_kind:     by_value
    .group_segment_fixed_size: 4096
    .kernarg_segment_align: 8
    .kernarg_segment_size: 92
    .language:       OpenCL C
    .language_version:
      - 2
      - 0
    .max_flat_workgroup_size: 256
    .name:           _ZL37rocblas_syrkx_herkx_restricted_kernelIldLi16ELi32ELi8ELi1ELin1ELb0ELc84ELc76EKddEviT_PT9_S1_lS3_S1_lPT10_S1_li
    .private_segment_fixed_size: 0
    .sgpr_count:     32
    .sgpr_spill_count: 0
    .symbol:         _ZL37rocblas_syrkx_herkx_restricted_kernelIldLi16ELi32ELi8ELi1ELin1ELb0ELc84ELc76EKddEviT_PT9_S1_lS3_S1_lPT10_S1_li.kd
    .uniform_work_group_size: 1
    .uses_dynamic_stack: false
    .vgpr_count:     38
    .vgpr_spill_count: 0
    .wavefront_size: 64
  - .args:
      - .offset:         0
        .size:           4
        .value_kind:     by_value
      - .offset:         8
        .size:           8
        .value_kind:     by_value
      - .address_space:  global
        .offset:         16
        .size:           8
        .value_kind:     global_buffer
      - .offset:         24
        .size:           8
        .value_kind:     by_value
      - .offset:         32
        .size:           8
        .value_kind:     by_value
      - .address_space:  global
        .offset:         40
        .size:           8
        .value_kind:     global_buffer
      - .offset:         48
        .size:           8
        .value_kind:     by_value
      - .offset:         56
        .size:           8
        .value_kind:     by_value
      - .address_space:  global
        .offset:         64
        .size:           8
        .value_kind:     global_buffer
      - .offset:         72
        .size:           8
        .value_kind:     by_value
      - .offset:         80
        .size:           8
        .value_kind:     by_value
      - .offset:         88
        .size:           4
        .value_kind:     by_value
    .group_segment_fixed_size: 4096
    .kernarg_segment_align: 8
    .kernarg_segment_size: 92
    .language:       OpenCL C
    .language_version:
      - 2
      - 0
    .max_flat_workgroup_size: 256
    .name:           _ZL37rocblas_syrkx_herkx_restricted_kernelIldLi16ELi32ELi8ELi1ELin1ELb0ELc67ELc76EKddEviT_PT9_S1_lS3_S1_lPT10_S1_li
    .private_segment_fixed_size: 0
    .sgpr_count:     32
    .sgpr_spill_count: 0
    .symbol:         _ZL37rocblas_syrkx_herkx_restricted_kernelIldLi16ELi32ELi8ELi1ELin1ELb0ELc67ELc76EKddEviT_PT9_S1_lS3_S1_lPT10_S1_li.kd
    .uniform_work_group_size: 1
    .uses_dynamic_stack: false
    .vgpr_count:     38
    .vgpr_spill_count: 0
    .wavefront_size: 64
  - .args:
      - .offset:         0
        .size:           4
        .value_kind:     by_value
      - .offset:         8
        .size:           8
        .value_kind:     by_value
      - .address_space:  global
        .offset:         16
        .size:           8
        .value_kind:     global_buffer
      - .offset:         24
        .size:           8
        .value_kind:     by_value
      - .offset:         32
        .size:           8
        .value_kind:     by_value
      - .address_space:  global
        .offset:         40
        .size:           8
        .value_kind:     global_buffer
      - .offset:         48
        .size:           8
        .value_kind:     by_value
      - .offset:         56
        .size:           8
        .value_kind:     by_value
      - .address_space:  global
        .offset:         64
        .size:           8
        .value_kind:     global_buffer
      - .offset:         72
        .size:           8
        .value_kind:     by_value
      - .offset:         80
        .size:           8
        .value_kind:     by_value
      - .offset:         88
        .size:           4
        .value_kind:     by_value
    .group_segment_fixed_size: 4096
    .kernarg_segment_align: 8
    .kernarg_segment_size: 92
    .language:       OpenCL C
    .language_version:
      - 2
      - 0
    .max_flat_workgroup_size: 256
    .name:           _ZL37rocblas_syrkx_herkx_restricted_kernelIldLi16ELi32ELi8ELi1ELin1ELb0ELc78ELc76EKddEviT_PT9_S1_lS3_S1_lPT10_S1_li
    .private_segment_fixed_size: 0
    .sgpr_count:     32
    .sgpr_spill_count: 0
    .symbol:         _ZL37rocblas_syrkx_herkx_restricted_kernelIldLi16ELi32ELi8ELi1ELin1ELb0ELc78ELc76EKddEviT_PT9_S1_lS3_S1_lPT10_S1_li.kd
    .uniform_work_group_size: 1
    .uses_dynamic_stack: false
    .vgpr_count:     38
    .vgpr_spill_count: 0
    .wavefront_size: 64
  - .args:
      - .offset:         0
        .size:           4
        .value_kind:     by_value
      - .offset:         8
        .size:           8
        .value_kind:     by_value
      - .address_space:  global
        .offset:         16
        .size:           8
        .value_kind:     global_buffer
      - .offset:         24
        .size:           8
        .value_kind:     by_value
      - .offset:         32
        .size:           8
        .value_kind:     by_value
      - .address_space:  global
        .offset:         40
        .size:           8
        .value_kind:     global_buffer
      - .offset:         48
        .size:           8
        .value_kind:     by_value
      - .offset:         56
        .size:           8
        .value_kind:     by_value
      - .address_space:  global
        .offset:         64
        .size:           8
        .value_kind:     global_buffer
      - .offset:         72
        .size:           8
        .value_kind:     by_value
      - .offset:         80
        .size:           8
        .value_kind:     by_value
      - .offset:         88
        .size:           4
        .value_kind:     by_value
    .group_segment_fixed_size: 4096
    .kernarg_segment_align: 8
    .kernarg_segment_size: 92
    .language:       OpenCL C
    .language_version:
      - 2
      - 0
    .max_flat_workgroup_size: 256
    .name:           _ZL37rocblas_syrkx_herkx_restricted_kernelIldLi16ELi32ELi8ELi1ELin1ELb0ELc84ELc85EKddEviT_PT9_S1_lS3_S1_lPT10_S1_li
    .private_segment_fixed_size: 0
    .sgpr_count:     32
    .sgpr_spill_count: 0
    .symbol:         _ZL37rocblas_syrkx_herkx_restricted_kernelIldLi16ELi32ELi8ELi1ELin1ELb0ELc84ELc85EKddEviT_PT9_S1_lS3_S1_lPT10_S1_li.kd
    .uniform_work_group_size: 1
    .uses_dynamic_stack: false
    .vgpr_count:     36
    .vgpr_spill_count: 0
    .wavefront_size: 64
  - .args:
      - .offset:         0
        .size:           4
        .value_kind:     by_value
      - .offset:         8
        .size:           8
        .value_kind:     by_value
      - .address_space:  global
        .offset:         16
        .size:           8
        .value_kind:     global_buffer
      - .offset:         24
        .size:           8
        .value_kind:     by_value
      - .offset:         32
        .size:           8
        .value_kind:     by_value
      - .address_space:  global
        .offset:         40
        .size:           8
        .value_kind:     global_buffer
      - .offset:         48
        .size:           8
        .value_kind:     by_value
      - .offset:         56
        .size:           8
        .value_kind:     by_value
      - .address_space:  global
        .offset:         64
        .size:           8
        .value_kind:     global_buffer
      - .offset:         72
        .size:           8
        .value_kind:     by_value
      - .offset:         80
        .size:           8
        .value_kind:     by_value
      - .offset:         88
        .size:           4
        .value_kind:     by_value
    .group_segment_fixed_size: 4096
    .kernarg_segment_align: 8
    .kernarg_segment_size: 92
    .language:       OpenCL C
    .language_version:
      - 2
      - 0
    .max_flat_workgroup_size: 256
    .name:           _ZL37rocblas_syrkx_herkx_restricted_kernelIldLi16ELi32ELi8ELi1ELin1ELb0ELc67ELc85EKddEviT_PT9_S1_lS3_S1_lPT10_S1_li
    .private_segment_fixed_size: 0
    .sgpr_count:     32
    .sgpr_spill_count: 0
    .symbol:         _ZL37rocblas_syrkx_herkx_restricted_kernelIldLi16ELi32ELi8ELi1ELin1ELb0ELc67ELc85EKddEviT_PT9_S1_lS3_S1_lPT10_S1_li.kd
    .uniform_work_group_size: 1
    .uses_dynamic_stack: false
    .vgpr_count:     36
    .vgpr_spill_count: 0
    .wavefront_size: 64
  - .args:
      - .offset:         0
        .size:           4
        .value_kind:     by_value
      - .offset:         8
        .size:           8
        .value_kind:     by_value
      - .address_space:  global
        .offset:         16
        .size:           8
        .value_kind:     global_buffer
      - .offset:         24
        .size:           8
        .value_kind:     by_value
      - .offset:         32
        .size:           8
        .value_kind:     by_value
      - .address_space:  global
        .offset:         40
        .size:           8
        .value_kind:     global_buffer
      - .offset:         48
        .size:           8
        .value_kind:     by_value
      - .offset:         56
        .size:           8
        .value_kind:     by_value
      - .address_space:  global
        .offset:         64
        .size:           8
        .value_kind:     global_buffer
      - .offset:         72
        .size:           8
        .value_kind:     by_value
      - .offset:         80
        .size:           8
        .value_kind:     by_value
      - .offset:         88
        .size:           4
        .value_kind:     by_value
    .group_segment_fixed_size: 4096
    .kernarg_segment_align: 8
    .kernarg_segment_size: 92
    .language:       OpenCL C
    .language_version:
      - 2
      - 0
    .max_flat_workgroup_size: 256
    .name:           _ZL37rocblas_syrkx_herkx_restricted_kernelIldLi16ELi32ELi8ELi1ELin1ELb0ELc78ELc85EKddEviT_PT9_S1_lS3_S1_lPT10_S1_li
    .private_segment_fixed_size: 0
    .sgpr_count:     32
    .sgpr_spill_count: 0
    .symbol:         _ZL37rocblas_syrkx_herkx_restricted_kernelIldLi16ELi32ELi8ELi1ELin1ELb0ELc78ELc85EKddEviT_PT9_S1_lS3_S1_lPT10_S1_li.kd
    .uniform_work_group_size: 1
    .uses_dynamic_stack: false
    .vgpr_count:     38
    .vgpr_spill_count: 0
    .wavefront_size: 64
  - .args:
      - .offset:         0
        .size:           4
        .value_kind:     by_value
      - .offset:         8
        .size:           8
        .value_kind:     by_value
      - .address_space:  global
        .offset:         16
        .size:           8
        .value_kind:     global_buffer
      - .offset:         24
        .size:           8
        .value_kind:     by_value
      - .offset:         32
        .size:           8
        .value_kind:     by_value
      - .address_space:  global
        .offset:         40
        .size:           8
        .value_kind:     global_buffer
      - .offset:         48
        .size:           8
        .value_kind:     by_value
      - .offset:         56
        .size:           8
        .value_kind:     by_value
      - .address_space:  global
        .offset:         64
        .size:           8
        .value_kind:     global_buffer
      - .offset:         72
        .size:           8
        .value_kind:     by_value
      - .offset:         80
        .size:           8
        .value_kind:     by_value
      - .offset:         88
        .size:           4
        .value_kind:     by_value
    .group_segment_fixed_size: 4096
    .kernarg_segment_align: 8
    .kernarg_segment_size: 92
    .language:       OpenCL C
    .language_version:
      - 2
      - 0
    .max_flat_workgroup_size: 256
    .name:           _ZL37rocblas_syrkx_herkx_restricted_kernelIldLi16ELi32ELi8ELi1ELi0ELb0ELc84ELc76EKddEviT_PT9_S1_lS3_S1_lPT10_S1_li
    .private_segment_fixed_size: 0
    .sgpr_count:     32
    .sgpr_spill_count: 0
    .symbol:         _ZL37rocblas_syrkx_herkx_restricted_kernelIldLi16ELi32ELi8ELi1ELi0ELb0ELc84ELc76EKddEviT_PT9_S1_lS3_S1_lPT10_S1_li.kd
    .uniform_work_group_size: 1
    .uses_dynamic_stack: false
    .vgpr_count:     38
    .vgpr_spill_count: 0
    .wavefront_size: 64
  - .args:
      - .offset:         0
        .size:           4
        .value_kind:     by_value
      - .offset:         8
        .size:           8
        .value_kind:     by_value
      - .address_space:  global
        .offset:         16
        .size:           8
        .value_kind:     global_buffer
      - .offset:         24
        .size:           8
        .value_kind:     by_value
      - .offset:         32
        .size:           8
        .value_kind:     by_value
      - .address_space:  global
        .offset:         40
        .size:           8
        .value_kind:     global_buffer
      - .offset:         48
        .size:           8
        .value_kind:     by_value
      - .offset:         56
        .size:           8
        .value_kind:     by_value
      - .address_space:  global
        .offset:         64
        .size:           8
        .value_kind:     global_buffer
      - .offset:         72
        .size:           8
        .value_kind:     by_value
      - .offset:         80
        .size:           8
        .value_kind:     by_value
      - .offset:         88
        .size:           4
        .value_kind:     by_value
    .group_segment_fixed_size: 4096
    .kernarg_segment_align: 8
    .kernarg_segment_size: 92
    .language:       OpenCL C
    .language_version:
      - 2
      - 0
    .max_flat_workgroup_size: 256
    .name:           _ZL37rocblas_syrkx_herkx_restricted_kernelIldLi16ELi32ELi8ELi1ELi0ELb0ELc67ELc76EKddEviT_PT9_S1_lS3_S1_lPT10_S1_li
    .private_segment_fixed_size: 0
    .sgpr_count:     32
    .sgpr_spill_count: 0
    .symbol:         _ZL37rocblas_syrkx_herkx_restricted_kernelIldLi16ELi32ELi8ELi1ELi0ELb0ELc67ELc76EKddEviT_PT9_S1_lS3_S1_lPT10_S1_li.kd
    .uniform_work_group_size: 1
    .uses_dynamic_stack: false
    .vgpr_count:     38
    .vgpr_spill_count: 0
    .wavefront_size: 64
  - .args:
      - .offset:         0
        .size:           4
        .value_kind:     by_value
      - .offset:         8
        .size:           8
        .value_kind:     by_value
      - .address_space:  global
        .offset:         16
        .size:           8
        .value_kind:     global_buffer
      - .offset:         24
        .size:           8
        .value_kind:     by_value
      - .offset:         32
        .size:           8
        .value_kind:     by_value
      - .address_space:  global
        .offset:         40
        .size:           8
        .value_kind:     global_buffer
      - .offset:         48
        .size:           8
        .value_kind:     by_value
      - .offset:         56
        .size:           8
        .value_kind:     by_value
      - .address_space:  global
        .offset:         64
        .size:           8
        .value_kind:     global_buffer
      - .offset:         72
        .size:           8
        .value_kind:     by_value
      - .offset:         80
        .size:           8
        .value_kind:     by_value
      - .offset:         88
        .size:           4
        .value_kind:     by_value
    .group_segment_fixed_size: 4096
    .kernarg_segment_align: 8
    .kernarg_segment_size: 92
    .language:       OpenCL C
    .language_version:
      - 2
      - 0
    .max_flat_workgroup_size: 256
    .name:           _ZL37rocblas_syrkx_herkx_restricted_kernelIldLi16ELi32ELi8ELi1ELi0ELb0ELc78ELc76EKddEviT_PT9_S1_lS3_S1_lPT10_S1_li
    .private_segment_fixed_size: 0
    .sgpr_count:     32
    .sgpr_spill_count: 0
    .symbol:         _ZL37rocblas_syrkx_herkx_restricted_kernelIldLi16ELi32ELi8ELi1ELi0ELb0ELc78ELc76EKddEviT_PT9_S1_lS3_S1_lPT10_S1_li.kd
    .uniform_work_group_size: 1
    .uses_dynamic_stack: false
    .vgpr_count:     38
    .vgpr_spill_count: 0
    .wavefront_size: 64
  - .args:
      - .offset:         0
        .size:           4
        .value_kind:     by_value
      - .offset:         8
        .size:           8
        .value_kind:     by_value
      - .address_space:  global
        .offset:         16
        .size:           8
        .value_kind:     global_buffer
      - .offset:         24
        .size:           8
        .value_kind:     by_value
      - .offset:         32
        .size:           8
        .value_kind:     by_value
      - .address_space:  global
        .offset:         40
        .size:           8
        .value_kind:     global_buffer
      - .offset:         48
        .size:           8
        .value_kind:     by_value
      - .offset:         56
        .size:           8
        .value_kind:     by_value
      - .address_space:  global
        .offset:         64
        .size:           8
        .value_kind:     global_buffer
      - .offset:         72
        .size:           8
        .value_kind:     by_value
      - .offset:         80
        .size:           8
        .value_kind:     by_value
      - .offset:         88
        .size:           4
        .value_kind:     by_value
    .group_segment_fixed_size: 4096
    .kernarg_segment_align: 8
    .kernarg_segment_size: 92
    .language:       OpenCL C
    .language_version:
      - 2
      - 0
    .max_flat_workgroup_size: 256
    .name:           _ZL37rocblas_syrkx_herkx_restricted_kernelIldLi16ELi32ELi8ELi1ELi0ELb0ELc84ELc85EKddEviT_PT9_S1_lS3_S1_lPT10_S1_li
    .private_segment_fixed_size: 0
    .sgpr_count:     32
    .sgpr_spill_count: 0
    .symbol:         _ZL37rocblas_syrkx_herkx_restricted_kernelIldLi16ELi32ELi8ELi1ELi0ELb0ELc84ELc85EKddEviT_PT9_S1_lS3_S1_lPT10_S1_li.kd
    .uniform_work_group_size: 1
    .uses_dynamic_stack: false
    .vgpr_count:     38
    .vgpr_spill_count: 0
    .wavefront_size: 64
  - .args:
      - .offset:         0
        .size:           4
        .value_kind:     by_value
      - .offset:         8
        .size:           8
        .value_kind:     by_value
      - .address_space:  global
        .offset:         16
        .size:           8
        .value_kind:     global_buffer
      - .offset:         24
        .size:           8
        .value_kind:     by_value
      - .offset:         32
        .size:           8
        .value_kind:     by_value
      - .address_space:  global
        .offset:         40
        .size:           8
        .value_kind:     global_buffer
      - .offset:         48
        .size:           8
        .value_kind:     by_value
      - .offset:         56
        .size:           8
        .value_kind:     by_value
      - .address_space:  global
        .offset:         64
        .size:           8
        .value_kind:     global_buffer
      - .offset:         72
        .size:           8
        .value_kind:     by_value
      - .offset:         80
        .size:           8
        .value_kind:     by_value
      - .offset:         88
        .size:           4
        .value_kind:     by_value
    .group_segment_fixed_size: 4096
    .kernarg_segment_align: 8
    .kernarg_segment_size: 92
    .language:       OpenCL C
    .language_version:
      - 2
      - 0
    .max_flat_workgroup_size: 256
    .name:           _ZL37rocblas_syrkx_herkx_restricted_kernelIldLi16ELi32ELi8ELi1ELi0ELb0ELc67ELc85EKddEviT_PT9_S1_lS3_S1_lPT10_S1_li
    .private_segment_fixed_size: 0
    .sgpr_count:     32
    .sgpr_spill_count: 0
    .symbol:         _ZL37rocblas_syrkx_herkx_restricted_kernelIldLi16ELi32ELi8ELi1ELi0ELb0ELc67ELc85EKddEviT_PT9_S1_lS3_S1_lPT10_S1_li.kd
    .uniform_work_group_size: 1
    .uses_dynamic_stack: false
    .vgpr_count:     38
    .vgpr_spill_count: 0
    .wavefront_size: 64
  - .args:
      - .offset:         0
        .size:           4
        .value_kind:     by_value
      - .offset:         8
        .size:           8
        .value_kind:     by_value
      - .address_space:  global
        .offset:         16
        .size:           8
        .value_kind:     global_buffer
      - .offset:         24
        .size:           8
        .value_kind:     by_value
      - .offset:         32
        .size:           8
        .value_kind:     by_value
      - .address_space:  global
        .offset:         40
        .size:           8
        .value_kind:     global_buffer
      - .offset:         48
        .size:           8
        .value_kind:     by_value
      - .offset:         56
        .size:           8
        .value_kind:     by_value
      - .address_space:  global
        .offset:         64
        .size:           8
        .value_kind:     global_buffer
      - .offset:         72
        .size:           8
        .value_kind:     by_value
      - .offset:         80
        .size:           8
        .value_kind:     by_value
      - .offset:         88
        .size:           4
        .value_kind:     by_value
    .group_segment_fixed_size: 4096
    .kernarg_segment_align: 8
    .kernarg_segment_size: 92
    .language:       OpenCL C
    .language_version:
      - 2
      - 0
    .max_flat_workgroup_size: 256
    .name:           _ZL37rocblas_syrkx_herkx_restricted_kernelIldLi16ELi32ELi8ELi1ELi0ELb0ELc78ELc85EKddEviT_PT9_S1_lS3_S1_lPT10_S1_li
    .private_segment_fixed_size: 0
    .sgpr_count:     32
    .sgpr_spill_count: 0
    .symbol:         _ZL37rocblas_syrkx_herkx_restricted_kernelIldLi16ELi32ELi8ELi1ELi0ELb0ELc78ELc85EKddEviT_PT9_S1_lS3_S1_lPT10_S1_li.kd
    .uniform_work_group_size: 1
    .uses_dynamic_stack: false
    .vgpr_count:     38
    .vgpr_spill_count: 0
    .wavefront_size: 64
  - .args:
      - .offset:         0
        .size:           4
        .value_kind:     by_value
      - .offset:         8
        .size:           8
        .value_kind:     by_value
      - .address_space:  global
        .offset:         16
        .size:           8
        .value_kind:     global_buffer
      - .offset:         24
        .size:           8
        .value_kind:     by_value
      - .offset:         32
        .size:           8
        .value_kind:     by_value
      - .address_space:  global
        .offset:         40
        .size:           8
        .value_kind:     global_buffer
      - .offset:         48
        .size:           8
        .value_kind:     by_value
      - .offset:         56
        .size:           8
        .value_kind:     by_value
      - .address_space:  global
        .offset:         64
        .size:           8
        .value_kind:     global_buffer
      - .offset:         72
        .size:           8
        .value_kind:     by_value
      - .offset:         80
        .size:           8
        .value_kind:     by_value
      - .offset:         88
        .size:           4
        .value_kind:     by_value
    .group_segment_fixed_size: 4096
    .kernarg_segment_align: 8
    .kernarg_segment_size: 92
    .language:       OpenCL C
    .language_version:
      - 2
      - 0
    .max_flat_workgroup_size: 256
    .name:           _ZL37rocblas_syrkx_herkx_restricted_kernelIldLi16ELi32ELi8ELin1ELi0ELb0ELc84ELc76EKddEviT_PT9_S1_lS3_S1_lPT10_S1_li
    .private_segment_fixed_size: 0
    .sgpr_count:     32
    .sgpr_spill_count: 0
    .symbol:         _ZL37rocblas_syrkx_herkx_restricted_kernelIldLi16ELi32ELi8ELin1ELi0ELb0ELc84ELc76EKddEviT_PT9_S1_lS3_S1_lPT10_S1_li.kd
    .uniform_work_group_size: 1
    .uses_dynamic_stack: false
    .vgpr_count:     36
    .vgpr_spill_count: 0
    .wavefront_size: 64
  - .args:
      - .offset:         0
        .size:           4
        .value_kind:     by_value
      - .offset:         8
        .size:           8
        .value_kind:     by_value
      - .address_space:  global
        .offset:         16
        .size:           8
        .value_kind:     global_buffer
      - .offset:         24
        .size:           8
        .value_kind:     by_value
      - .offset:         32
        .size:           8
        .value_kind:     by_value
      - .address_space:  global
        .offset:         40
        .size:           8
        .value_kind:     global_buffer
      - .offset:         48
        .size:           8
        .value_kind:     by_value
      - .offset:         56
        .size:           8
        .value_kind:     by_value
      - .address_space:  global
        .offset:         64
        .size:           8
        .value_kind:     global_buffer
      - .offset:         72
        .size:           8
        .value_kind:     by_value
      - .offset:         80
        .size:           8
        .value_kind:     by_value
      - .offset:         88
        .size:           4
        .value_kind:     by_value
    .group_segment_fixed_size: 4096
    .kernarg_segment_align: 8
    .kernarg_segment_size: 92
    .language:       OpenCL C
    .language_version:
      - 2
      - 0
    .max_flat_workgroup_size: 256
    .name:           _ZL37rocblas_syrkx_herkx_restricted_kernelIldLi16ELi32ELi8ELin1ELi0ELb0ELc67ELc76EKddEviT_PT9_S1_lS3_S1_lPT10_S1_li
    .private_segment_fixed_size: 0
    .sgpr_count:     32
    .sgpr_spill_count: 0
    .symbol:         _ZL37rocblas_syrkx_herkx_restricted_kernelIldLi16ELi32ELi8ELin1ELi0ELb0ELc67ELc76EKddEviT_PT9_S1_lS3_S1_lPT10_S1_li.kd
    .uniform_work_group_size: 1
    .uses_dynamic_stack: false
    .vgpr_count:     36
    .vgpr_spill_count: 0
    .wavefront_size: 64
  - .args:
      - .offset:         0
        .size:           4
        .value_kind:     by_value
      - .offset:         8
        .size:           8
        .value_kind:     by_value
      - .address_space:  global
        .offset:         16
        .size:           8
        .value_kind:     global_buffer
      - .offset:         24
        .size:           8
        .value_kind:     by_value
      - .offset:         32
        .size:           8
        .value_kind:     by_value
      - .address_space:  global
        .offset:         40
        .size:           8
        .value_kind:     global_buffer
      - .offset:         48
        .size:           8
        .value_kind:     by_value
      - .offset:         56
        .size:           8
        .value_kind:     by_value
      - .address_space:  global
        .offset:         64
        .size:           8
        .value_kind:     global_buffer
      - .offset:         72
        .size:           8
        .value_kind:     by_value
      - .offset:         80
        .size:           8
        .value_kind:     by_value
      - .offset:         88
        .size:           4
        .value_kind:     by_value
    .group_segment_fixed_size: 4096
    .kernarg_segment_align: 8
    .kernarg_segment_size: 92
    .language:       OpenCL C
    .language_version:
      - 2
      - 0
    .max_flat_workgroup_size: 256
    .name:           _ZL37rocblas_syrkx_herkx_restricted_kernelIldLi16ELi32ELi8ELin1ELi0ELb0ELc78ELc76EKddEviT_PT9_S1_lS3_S1_lPT10_S1_li
    .private_segment_fixed_size: 0
    .sgpr_count:     32
    .sgpr_spill_count: 0
    .symbol:         _ZL37rocblas_syrkx_herkx_restricted_kernelIldLi16ELi32ELi8ELin1ELi0ELb0ELc78ELc76EKddEviT_PT9_S1_lS3_S1_lPT10_S1_li.kd
    .uniform_work_group_size: 1
    .uses_dynamic_stack: false
    .vgpr_count:     38
    .vgpr_spill_count: 0
    .wavefront_size: 64
  - .args:
      - .offset:         0
        .size:           4
        .value_kind:     by_value
      - .offset:         8
        .size:           8
        .value_kind:     by_value
      - .address_space:  global
        .offset:         16
        .size:           8
        .value_kind:     global_buffer
      - .offset:         24
        .size:           8
        .value_kind:     by_value
      - .offset:         32
        .size:           8
        .value_kind:     by_value
      - .address_space:  global
        .offset:         40
        .size:           8
        .value_kind:     global_buffer
      - .offset:         48
        .size:           8
        .value_kind:     by_value
      - .offset:         56
        .size:           8
        .value_kind:     by_value
      - .address_space:  global
        .offset:         64
        .size:           8
        .value_kind:     global_buffer
      - .offset:         72
        .size:           8
        .value_kind:     by_value
      - .offset:         80
        .size:           8
        .value_kind:     by_value
      - .offset:         88
        .size:           4
        .value_kind:     by_value
    .group_segment_fixed_size: 4096
    .kernarg_segment_align: 8
    .kernarg_segment_size: 92
    .language:       OpenCL C
    .language_version:
      - 2
      - 0
    .max_flat_workgroup_size: 256
    .name:           _ZL37rocblas_syrkx_herkx_restricted_kernelIldLi16ELi32ELi8ELin1ELi0ELb0ELc84ELc85EKddEviT_PT9_S1_lS3_S1_lPT10_S1_li
    .private_segment_fixed_size: 0
    .sgpr_count:     32
    .sgpr_spill_count: 0
    .symbol:         _ZL37rocblas_syrkx_herkx_restricted_kernelIldLi16ELi32ELi8ELin1ELi0ELb0ELc84ELc85EKddEviT_PT9_S1_lS3_S1_lPT10_S1_li.kd
    .uniform_work_group_size: 1
    .uses_dynamic_stack: false
    .vgpr_count:     36
    .vgpr_spill_count: 0
    .wavefront_size: 64
  - .args:
      - .offset:         0
        .size:           4
        .value_kind:     by_value
      - .offset:         8
        .size:           8
        .value_kind:     by_value
      - .address_space:  global
        .offset:         16
        .size:           8
        .value_kind:     global_buffer
      - .offset:         24
        .size:           8
        .value_kind:     by_value
      - .offset:         32
        .size:           8
        .value_kind:     by_value
      - .address_space:  global
        .offset:         40
        .size:           8
        .value_kind:     global_buffer
      - .offset:         48
        .size:           8
        .value_kind:     by_value
      - .offset:         56
        .size:           8
        .value_kind:     by_value
      - .address_space:  global
        .offset:         64
        .size:           8
        .value_kind:     global_buffer
      - .offset:         72
        .size:           8
        .value_kind:     by_value
      - .offset:         80
        .size:           8
        .value_kind:     by_value
      - .offset:         88
        .size:           4
        .value_kind:     by_value
    .group_segment_fixed_size: 4096
    .kernarg_segment_align: 8
    .kernarg_segment_size: 92
    .language:       OpenCL C
    .language_version:
      - 2
      - 0
    .max_flat_workgroup_size: 256
    .name:           _ZL37rocblas_syrkx_herkx_restricted_kernelIldLi16ELi32ELi8ELin1ELi0ELb0ELc67ELc85EKddEviT_PT9_S1_lS3_S1_lPT10_S1_li
    .private_segment_fixed_size: 0
    .sgpr_count:     32
    .sgpr_spill_count: 0
    .symbol:         _ZL37rocblas_syrkx_herkx_restricted_kernelIldLi16ELi32ELi8ELin1ELi0ELb0ELc67ELc85EKddEviT_PT9_S1_lS3_S1_lPT10_S1_li.kd
    .uniform_work_group_size: 1
    .uses_dynamic_stack: false
    .vgpr_count:     36
    .vgpr_spill_count: 0
    .wavefront_size: 64
  - .args:
      - .offset:         0
        .size:           4
        .value_kind:     by_value
      - .offset:         8
        .size:           8
        .value_kind:     by_value
      - .address_space:  global
        .offset:         16
        .size:           8
        .value_kind:     global_buffer
      - .offset:         24
        .size:           8
        .value_kind:     by_value
      - .offset:         32
        .size:           8
        .value_kind:     by_value
      - .address_space:  global
        .offset:         40
        .size:           8
        .value_kind:     global_buffer
      - .offset:         48
        .size:           8
        .value_kind:     by_value
      - .offset:         56
        .size:           8
        .value_kind:     by_value
      - .address_space:  global
        .offset:         64
        .size:           8
        .value_kind:     global_buffer
      - .offset:         72
        .size:           8
        .value_kind:     by_value
      - .offset:         80
        .size:           8
        .value_kind:     by_value
      - .offset:         88
        .size:           4
        .value_kind:     by_value
    .group_segment_fixed_size: 4096
    .kernarg_segment_align: 8
    .kernarg_segment_size: 92
    .language:       OpenCL C
    .language_version:
      - 2
      - 0
    .max_flat_workgroup_size: 256
    .name:           _ZL37rocblas_syrkx_herkx_restricted_kernelIldLi16ELi32ELi8ELin1ELi0ELb0ELc78ELc85EKddEviT_PT9_S1_lS3_S1_lPT10_S1_li
    .private_segment_fixed_size: 0
    .sgpr_count:     32
    .sgpr_spill_count: 0
    .symbol:         _ZL37rocblas_syrkx_herkx_restricted_kernelIldLi16ELi32ELi8ELin1ELi0ELb0ELc78ELc85EKddEviT_PT9_S1_lS3_S1_lPT10_S1_li.kd
    .uniform_work_group_size: 1
    .uses_dynamic_stack: false
    .vgpr_count:     38
    .vgpr_spill_count: 0
    .wavefront_size: 64
  - .args:
      - .offset:         0
        .size:           4
        .value_kind:     by_value
      - .offset:         8
        .size:           8
        .value_kind:     by_value
      - .offset:         16
        .size:           8
        .value_kind:     by_value
      - .address_space:  global
        .offset:         24
        .size:           8
        .value_kind:     global_buffer
      - .offset:         32
        .size:           8
        .value_kind:     by_value
      - .offset:         40
        .size:           8
        .value_kind:     by_value
      - .address_space:  global
        .offset:         48
        .size:           8
        .value_kind:     global_buffer
      - .offset:         56
        .size:           8
        .value_kind:     by_value
      - .offset:         64
        .size:           8
        .value_kind:     by_value
      - .offset:         72
        .size:           8
        .value_kind:     by_value
      - .address_space:  global
        .offset:         80
        .size:           8
        .value_kind:     global_buffer
      - .offset:         88
        .size:           8
        .value_kind:     by_value
      - .offset:         96
        .size:           8
        .value_kind:     by_value
      - .offset:         104
        .size:           4
        .value_kind:     by_value
    .group_segment_fixed_size: 4096
    .kernarg_segment_align: 8
    .kernarg_segment_size: 108
    .language:       OpenCL C
    .language_version:
      - 2
      - 0
    .max_flat_workgroup_size: 256
    .name:           _ZL37rocblas_syrkx_herkx_restricted_kernelIldLi16ELi32ELi8ELb1ELb0ELc84ELc76EKddEviT_T0_PT8_S1_lS4_S1_lS2_PT9_S1_li
    .private_segment_fixed_size: 0
    .sgpr_count:     32
    .sgpr_spill_count: 0
    .symbol:         _ZL37rocblas_syrkx_herkx_restricted_kernelIldLi16ELi32ELi8ELb1ELb0ELc84ELc76EKddEviT_T0_PT8_S1_lS4_S1_lS2_PT9_S1_li.kd
    .uniform_work_group_size: 1
    .uses_dynamic_stack: false
    .vgpr_count:     38
    .vgpr_spill_count: 0
    .wavefront_size: 64
  - .args:
      - .offset:         0
        .size:           4
        .value_kind:     by_value
      - .offset:         8
        .size:           8
        .value_kind:     by_value
      - .offset:         16
        .size:           8
        .value_kind:     by_value
      - .address_space:  global
        .offset:         24
        .size:           8
        .value_kind:     global_buffer
      - .offset:         32
        .size:           8
        .value_kind:     by_value
      - .offset:         40
        .size:           8
        .value_kind:     by_value
      - .address_space:  global
        .offset:         48
        .size:           8
        .value_kind:     global_buffer
      - .offset:         56
        .size:           8
        .value_kind:     by_value
      - .offset:         64
        .size:           8
        .value_kind:     by_value
      - .offset:         72
        .size:           8
        .value_kind:     by_value
      - .address_space:  global
        .offset:         80
        .size:           8
        .value_kind:     global_buffer
      - .offset:         88
        .size:           8
        .value_kind:     by_value
      - .offset:         96
        .size:           8
        .value_kind:     by_value
      - .offset:         104
        .size:           4
        .value_kind:     by_value
    .group_segment_fixed_size: 4096
    .kernarg_segment_align: 8
    .kernarg_segment_size: 108
    .language:       OpenCL C
    .language_version:
      - 2
      - 0
    .max_flat_workgroup_size: 256
    .name:           _ZL37rocblas_syrkx_herkx_restricted_kernelIldLi16ELi32ELi8ELb1ELb0ELc67ELc76EKddEviT_T0_PT8_S1_lS4_S1_lS2_PT9_S1_li
    .private_segment_fixed_size: 0
    .sgpr_count:     32
    .sgpr_spill_count: 0
    .symbol:         _ZL37rocblas_syrkx_herkx_restricted_kernelIldLi16ELi32ELi8ELb1ELb0ELc67ELc76EKddEviT_T0_PT8_S1_lS4_S1_lS2_PT9_S1_li.kd
    .uniform_work_group_size: 1
    .uses_dynamic_stack: false
    .vgpr_count:     38
    .vgpr_spill_count: 0
    .wavefront_size: 64
  - .args:
      - .offset:         0
        .size:           4
        .value_kind:     by_value
      - .offset:         8
        .size:           8
        .value_kind:     by_value
      - .offset:         16
        .size:           8
        .value_kind:     by_value
      - .address_space:  global
        .offset:         24
        .size:           8
        .value_kind:     global_buffer
      - .offset:         32
        .size:           8
        .value_kind:     by_value
      - .offset:         40
        .size:           8
        .value_kind:     by_value
      - .address_space:  global
        .offset:         48
        .size:           8
        .value_kind:     global_buffer
      - .offset:         56
        .size:           8
        .value_kind:     by_value
      - .offset:         64
        .size:           8
        .value_kind:     by_value
      - .offset:         72
        .size:           8
        .value_kind:     by_value
      - .address_space:  global
        .offset:         80
        .size:           8
        .value_kind:     global_buffer
      - .offset:         88
        .size:           8
        .value_kind:     by_value
      - .offset:         96
        .size:           8
        .value_kind:     by_value
      - .offset:         104
        .size:           4
        .value_kind:     by_value
    .group_segment_fixed_size: 4096
    .kernarg_segment_align: 8
    .kernarg_segment_size: 108
    .language:       OpenCL C
    .language_version:
      - 2
      - 0
    .max_flat_workgroup_size: 256
    .name:           _ZL37rocblas_syrkx_herkx_restricted_kernelIldLi16ELi32ELi8ELb1ELb0ELc78ELc76EKddEviT_T0_PT8_S1_lS4_S1_lS2_PT9_S1_li
    .private_segment_fixed_size: 0
    .sgpr_count:     32
    .sgpr_spill_count: 0
    .symbol:         _ZL37rocblas_syrkx_herkx_restricted_kernelIldLi16ELi32ELi8ELb1ELb0ELc78ELc76EKddEviT_T0_PT8_S1_lS4_S1_lS2_PT9_S1_li.kd
    .uniform_work_group_size: 1
    .uses_dynamic_stack: false
    .vgpr_count:     38
    .vgpr_spill_count: 0
    .wavefront_size: 64
  - .args:
      - .offset:         0
        .size:           4
        .value_kind:     by_value
      - .offset:         8
        .size:           8
        .value_kind:     by_value
      - .offset:         16
        .size:           8
        .value_kind:     by_value
      - .address_space:  global
        .offset:         24
        .size:           8
        .value_kind:     global_buffer
      - .offset:         32
        .size:           8
        .value_kind:     by_value
      - .offset:         40
        .size:           8
        .value_kind:     by_value
      - .address_space:  global
        .offset:         48
        .size:           8
        .value_kind:     global_buffer
      - .offset:         56
        .size:           8
        .value_kind:     by_value
      - .offset:         64
        .size:           8
        .value_kind:     by_value
      - .offset:         72
        .size:           8
        .value_kind:     by_value
      - .address_space:  global
        .offset:         80
        .size:           8
        .value_kind:     global_buffer
      - .offset:         88
        .size:           8
        .value_kind:     by_value
      - .offset:         96
        .size:           8
        .value_kind:     by_value
      - .offset:         104
        .size:           4
        .value_kind:     by_value
    .group_segment_fixed_size: 4096
    .kernarg_segment_align: 8
    .kernarg_segment_size: 108
    .language:       OpenCL C
    .language_version:
      - 2
      - 0
    .max_flat_workgroup_size: 256
    .name:           _ZL37rocblas_syrkx_herkx_restricted_kernelIldLi16ELi32ELi8ELb1ELb0ELc84ELc85EKddEviT_T0_PT8_S1_lS4_S1_lS2_PT9_S1_li
    .private_segment_fixed_size: 0
    .sgpr_count:     32
    .sgpr_spill_count: 0
    .symbol:         _ZL37rocblas_syrkx_herkx_restricted_kernelIldLi16ELi32ELi8ELb1ELb0ELc84ELc85EKddEviT_T0_PT8_S1_lS4_S1_lS2_PT9_S1_li.kd
    .uniform_work_group_size: 1
    .uses_dynamic_stack: false
    .vgpr_count:     38
    .vgpr_spill_count: 0
    .wavefront_size: 64
  - .args:
      - .offset:         0
        .size:           4
        .value_kind:     by_value
      - .offset:         8
        .size:           8
        .value_kind:     by_value
      - .offset:         16
        .size:           8
        .value_kind:     by_value
      - .address_space:  global
        .offset:         24
        .size:           8
        .value_kind:     global_buffer
      - .offset:         32
        .size:           8
        .value_kind:     by_value
      - .offset:         40
        .size:           8
        .value_kind:     by_value
      - .address_space:  global
        .offset:         48
        .size:           8
        .value_kind:     global_buffer
      - .offset:         56
        .size:           8
        .value_kind:     by_value
      - .offset:         64
        .size:           8
        .value_kind:     by_value
      - .offset:         72
        .size:           8
        .value_kind:     by_value
      - .address_space:  global
        .offset:         80
        .size:           8
        .value_kind:     global_buffer
      - .offset:         88
        .size:           8
        .value_kind:     by_value
      - .offset:         96
        .size:           8
        .value_kind:     by_value
      - .offset:         104
        .size:           4
        .value_kind:     by_value
    .group_segment_fixed_size: 4096
    .kernarg_segment_align: 8
    .kernarg_segment_size: 108
    .language:       OpenCL C
    .language_version:
      - 2
      - 0
    .max_flat_workgroup_size: 256
    .name:           _ZL37rocblas_syrkx_herkx_restricted_kernelIldLi16ELi32ELi8ELb1ELb0ELc67ELc85EKddEviT_T0_PT8_S1_lS4_S1_lS2_PT9_S1_li
    .private_segment_fixed_size: 0
    .sgpr_count:     32
    .sgpr_spill_count: 0
    .symbol:         _ZL37rocblas_syrkx_herkx_restricted_kernelIldLi16ELi32ELi8ELb1ELb0ELc67ELc85EKddEviT_T0_PT8_S1_lS4_S1_lS2_PT9_S1_li.kd
    .uniform_work_group_size: 1
    .uses_dynamic_stack: false
    .vgpr_count:     38
    .vgpr_spill_count: 0
    .wavefront_size: 64
  - .args:
      - .offset:         0
        .size:           4
        .value_kind:     by_value
      - .offset:         8
        .size:           8
        .value_kind:     by_value
      - .offset:         16
        .size:           8
        .value_kind:     by_value
      - .address_space:  global
        .offset:         24
        .size:           8
        .value_kind:     global_buffer
      - .offset:         32
        .size:           8
        .value_kind:     by_value
      - .offset:         40
        .size:           8
        .value_kind:     by_value
      - .address_space:  global
        .offset:         48
        .size:           8
        .value_kind:     global_buffer
      - .offset:         56
        .size:           8
        .value_kind:     by_value
      - .offset:         64
        .size:           8
        .value_kind:     by_value
      - .offset:         72
        .size:           8
        .value_kind:     by_value
      - .address_space:  global
        .offset:         80
        .size:           8
        .value_kind:     global_buffer
      - .offset:         88
        .size:           8
        .value_kind:     by_value
      - .offset:         96
        .size:           8
        .value_kind:     by_value
      - .offset:         104
        .size:           4
        .value_kind:     by_value
    .group_segment_fixed_size: 4096
    .kernarg_segment_align: 8
    .kernarg_segment_size: 108
    .language:       OpenCL C
    .language_version:
      - 2
      - 0
    .max_flat_workgroup_size: 256
    .name:           _ZL37rocblas_syrkx_herkx_restricted_kernelIldLi16ELi32ELi8ELb1ELb0ELc78ELc85EKddEviT_T0_PT8_S1_lS4_S1_lS2_PT9_S1_li
    .private_segment_fixed_size: 0
    .sgpr_count:     32
    .sgpr_spill_count: 0
    .symbol:         _ZL37rocblas_syrkx_herkx_restricted_kernelIldLi16ELi32ELi8ELb1ELb0ELc78ELc85EKddEviT_T0_PT8_S1_lS4_S1_lS2_PT9_S1_li.kd
    .uniform_work_group_size: 1
    .uses_dynamic_stack: false
    .vgpr_count:     38
    .vgpr_spill_count: 0
    .wavefront_size: 64
  - .args:
      - .offset:         0
        .size:           4
        .value_kind:     by_value
      - .offset:         8
        .size:           8
        .value_kind:     by_value
      - .offset:         16
        .size:           8
        .value_kind:     by_value
      - .address_space:  global
        .offset:         24
        .size:           8
        .value_kind:     global_buffer
      - .offset:         32
        .size:           8
        .value_kind:     by_value
      - .offset:         40
        .size:           8
        .value_kind:     by_value
      - .address_space:  global
        .offset:         48
        .size:           8
        .value_kind:     global_buffer
      - .offset:         56
        .size:           8
        .value_kind:     by_value
      - .offset:         64
        .size:           8
        .value_kind:     by_value
      - .offset:         72
        .size:           8
        .value_kind:     by_value
      - .address_space:  global
        .offset:         80
        .size:           8
        .value_kind:     global_buffer
      - .offset:         88
        .size:           8
        .value_kind:     by_value
      - .offset:         96
        .size:           8
        .value_kind:     by_value
      - .offset:         104
        .size:           4
        .value_kind:     by_value
    .group_segment_fixed_size: 4096
    .kernarg_segment_align: 8
    .kernarg_segment_size: 108
    .language:       OpenCL C
    .language_version:
      - 2
      - 0
    .max_flat_workgroup_size: 256
    .name:           _ZL37rocblas_syrkx_herkx_restricted_kernelIldLi16ELi32ELi8ELb0ELb0ELc84ELc76EKddEviT_T0_PT8_S1_lS4_S1_lS2_PT9_S1_li
    .private_segment_fixed_size: 0
    .sgpr_count:     32
    .sgpr_spill_count: 0
    .symbol:         _ZL37rocblas_syrkx_herkx_restricted_kernelIldLi16ELi32ELi8ELb0ELb0ELc84ELc76EKddEviT_T0_PT8_S1_lS4_S1_lS2_PT9_S1_li.kd
    .uniform_work_group_size: 1
    .uses_dynamic_stack: false
    .vgpr_count:     36
    .vgpr_spill_count: 0
    .wavefront_size: 64
  - .args:
      - .offset:         0
        .size:           4
        .value_kind:     by_value
      - .offset:         8
        .size:           8
        .value_kind:     by_value
      - .offset:         16
        .size:           8
        .value_kind:     by_value
      - .address_space:  global
        .offset:         24
        .size:           8
        .value_kind:     global_buffer
      - .offset:         32
        .size:           8
        .value_kind:     by_value
      - .offset:         40
        .size:           8
        .value_kind:     by_value
      - .address_space:  global
        .offset:         48
        .size:           8
        .value_kind:     global_buffer
      - .offset:         56
        .size:           8
        .value_kind:     by_value
      - .offset:         64
        .size:           8
        .value_kind:     by_value
      - .offset:         72
        .size:           8
        .value_kind:     by_value
      - .address_space:  global
        .offset:         80
        .size:           8
        .value_kind:     global_buffer
      - .offset:         88
        .size:           8
        .value_kind:     by_value
      - .offset:         96
        .size:           8
        .value_kind:     by_value
      - .offset:         104
        .size:           4
        .value_kind:     by_value
    .group_segment_fixed_size: 4096
    .kernarg_segment_align: 8
    .kernarg_segment_size: 108
    .language:       OpenCL C
    .language_version:
      - 2
      - 0
    .max_flat_workgroup_size: 256
    .name:           _ZL37rocblas_syrkx_herkx_restricted_kernelIldLi16ELi32ELi8ELb0ELb0ELc67ELc76EKddEviT_T0_PT8_S1_lS4_S1_lS2_PT9_S1_li
    .private_segment_fixed_size: 0
    .sgpr_count:     32
    .sgpr_spill_count: 0
    .symbol:         _ZL37rocblas_syrkx_herkx_restricted_kernelIldLi16ELi32ELi8ELb0ELb0ELc67ELc76EKddEviT_T0_PT8_S1_lS4_S1_lS2_PT9_S1_li.kd
    .uniform_work_group_size: 1
    .uses_dynamic_stack: false
    .vgpr_count:     36
    .vgpr_spill_count: 0
    .wavefront_size: 64
  - .args:
      - .offset:         0
        .size:           4
        .value_kind:     by_value
      - .offset:         8
        .size:           8
        .value_kind:     by_value
      - .offset:         16
        .size:           8
        .value_kind:     by_value
      - .address_space:  global
        .offset:         24
        .size:           8
        .value_kind:     global_buffer
      - .offset:         32
        .size:           8
        .value_kind:     by_value
      - .offset:         40
        .size:           8
        .value_kind:     by_value
      - .address_space:  global
        .offset:         48
        .size:           8
        .value_kind:     global_buffer
      - .offset:         56
        .size:           8
        .value_kind:     by_value
      - .offset:         64
        .size:           8
        .value_kind:     by_value
      - .offset:         72
        .size:           8
        .value_kind:     by_value
      - .address_space:  global
        .offset:         80
        .size:           8
        .value_kind:     global_buffer
      - .offset:         88
        .size:           8
        .value_kind:     by_value
      - .offset:         96
        .size:           8
        .value_kind:     by_value
      - .offset:         104
        .size:           4
        .value_kind:     by_value
    .group_segment_fixed_size: 4096
    .kernarg_segment_align: 8
    .kernarg_segment_size: 108
    .language:       OpenCL C
    .language_version:
      - 2
      - 0
    .max_flat_workgroup_size: 256
    .name:           _ZL37rocblas_syrkx_herkx_restricted_kernelIldLi16ELi32ELi8ELb0ELb0ELc78ELc76EKddEviT_T0_PT8_S1_lS4_S1_lS2_PT9_S1_li
    .private_segment_fixed_size: 0
    .sgpr_count:     32
    .sgpr_spill_count: 0
    .symbol:         _ZL37rocblas_syrkx_herkx_restricted_kernelIldLi16ELi32ELi8ELb0ELb0ELc78ELc76EKddEviT_T0_PT8_S1_lS4_S1_lS2_PT9_S1_li.kd
    .uniform_work_group_size: 1
    .uses_dynamic_stack: false
    .vgpr_count:     38
    .vgpr_spill_count: 0
    .wavefront_size: 64
  - .args:
      - .offset:         0
        .size:           4
        .value_kind:     by_value
      - .offset:         8
        .size:           8
        .value_kind:     by_value
      - .offset:         16
        .size:           8
        .value_kind:     by_value
      - .address_space:  global
        .offset:         24
        .size:           8
        .value_kind:     global_buffer
      - .offset:         32
        .size:           8
        .value_kind:     by_value
      - .offset:         40
        .size:           8
        .value_kind:     by_value
      - .address_space:  global
        .offset:         48
        .size:           8
        .value_kind:     global_buffer
      - .offset:         56
        .size:           8
        .value_kind:     by_value
      - .offset:         64
        .size:           8
        .value_kind:     by_value
      - .offset:         72
        .size:           8
        .value_kind:     by_value
      - .address_space:  global
        .offset:         80
        .size:           8
        .value_kind:     global_buffer
      - .offset:         88
        .size:           8
        .value_kind:     by_value
      - .offset:         96
        .size:           8
        .value_kind:     by_value
      - .offset:         104
        .size:           4
        .value_kind:     by_value
    .group_segment_fixed_size: 4096
    .kernarg_segment_align: 8
    .kernarg_segment_size: 108
    .language:       OpenCL C
    .language_version:
      - 2
      - 0
    .max_flat_workgroup_size: 256
    .name:           _ZL37rocblas_syrkx_herkx_restricted_kernelIldLi16ELi32ELi8ELb0ELb0ELc84ELc85EKddEviT_T0_PT8_S1_lS4_S1_lS2_PT9_S1_li
    .private_segment_fixed_size: 0
    .sgpr_count:     32
    .sgpr_spill_count: 0
    .symbol:         _ZL37rocblas_syrkx_herkx_restricted_kernelIldLi16ELi32ELi8ELb0ELb0ELc84ELc85EKddEviT_T0_PT8_S1_lS4_S1_lS2_PT9_S1_li.kd
    .uniform_work_group_size: 1
    .uses_dynamic_stack: false
    .vgpr_count:     36
    .vgpr_spill_count: 0
    .wavefront_size: 64
  - .args:
      - .offset:         0
        .size:           4
        .value_kind:     by_value
      - .offset:         8
        .size:           8
        .value_kind:     by_value
      - .offset:         16
        .size:           8
        .value_kind:     by_value
      - .address_space:  global
        .offset:         24
        .size:           8
        .value_kind:     global_buffer
      - .offset:         32
        .size:           8
        .value_kind:     by_value
      - .offset:         40
        .size:           8
        .value_kind:     by_value
      - .address_space:  global
        .offset:         48
        .size:           8
        .value_kind:     global_buffer
      - .offset:         56
        .size:           8
        .value_kind:     by_value
      - .offset:         64
        .size:           8
        .value_kind:     by_value
      - .offset:         72
        .size:           8
        .value_kind:     by_value
      - .address_space:  global
        .offset:         80
        .size:           8
        .value_kind:     global_buffer
      - .offset:         88
        .size:           8
        .value_kind:     by_value
      - .offset:         96
        .size:           8
        .value_kind:     by_value
      - .offset:         104
        .size:           4
        .value_kind:     by_value
    .group_segment_fixed_size: 4096
    .kernarg_segment_align: 8
    .kernarg_segment_size: 108
    .language:       OpenCL C
    .language_version:
      - 2
      - 0
    .max_flat_workgroup_size: 256
    .name:           _ZL37rocblas_syrkx_herkx_restricted_kernelIldLi16ELi32ELi8ELb0ELb0ELc67ELc85EKddEviT_T0_PT8_S1_lS4_S1_lS2_PT9_S1_li
    .private_segment_fixed_size: 0
    .sgpr_count:     32
    .sgpr_spill_count: 0
    .symbol:         _ZL37rocblas_syrkx_herkx_restricted_kernelIldLi16ELi32ELi8ELb0ELb0ELc67ELc85EKddEviT_T0_PT8_S1_lS4_S1_lS2_PT9_S1_li.kd
    .uniform_work_group_size: 1
    .uses_dynamic_stack: false
    .vgpr_count:     36
    .vgpr_spill_count: 0
    .wavefront_size: 64
  - .args:
      - .offset:         0
        .size:           4
        .value_kind:     by_value
      - .offset:         8
        .size:           8
        .value_kind:     by_value
      - .offset:         16
        .size:           8
        .value_kind:     by_value
      - .address_space:  global
        .offset:         24
        .size:           8
        .value_kind:     global_buffer
      - .offset:         32
        .size:           8
        .value_kind:     by_value
      - .offset:         40
        .size:           8
        .value_kind:     by_value
      - .address_space:  global
        .offset:         48
        .size:           8
        .value_kind:     global_buffer
      - .offset:         56
        .size:           8
        .value_kind:     by_value
      - .offset:         64
        .size:           8
        .value_kind:     by_value
      - .offset:         72
        .size:           8
        .value_kind:     by_value
      - .address_space:  global
        .offset:         80
        .size:           8
        .value_kind:     global_buffer
      - .offset:         88
        .size:           8
        .value_kind:     by_value
      - .offset:         96
        .size:           8
        .value_kind:     by_value
      - .offset:         104
        .size:           4
        .value_kind:     by_value
    .group_segment_fixed_size: 4096
    .kernarg_segment_align: 8
    .kernarg_segment_size: 108
    .language:       OpenCL C
    .language_version:
      - 2
      - 0
    .max_flat_workgroup_size: 256
    .name:           _ZL37rocblas_syrkx_herkx_restricted_kernelIldLi16ELi32ELi8ELb0ELb0ELc78ELc85EKddEviT_T0_PT8_S1_lS4_S1_lS2_PT9_S1_li
    .private_segment_fixed_size: 0
    .sgpr_count:     32
    .sgpr_spill_count: 0
    .symbol:         _ZL37rocblas_syrkx_herkx_restricted_kernelIldLi16ELi32ELi8ELb0ELb0ELc78ELc85EKddEviT_T0_PT8_S1_lS4_S1_lS2_PT9_S1_li.kd
    .uniform_work_group_size: 1
    .uses_dynamic_stack: false
    .vgpr_count:     38
    .vgpr_spill_count: 0
    .wavefront_size: 64
  - .args:
      - .offset:         0
        .size:           4
        .value_kind:     by_value
      - .offset:         8
        .size:           8
        .value_kind:     by_value
      - .offset:         16
        .size:           8
        .value_kind:     by_value
      - .address_space:  global
        .offset:         24
        .size:           8
        .value_kind:     global_buffer
      - .offset:         32
        .size:           8
        .value_kind:     by_value
      - .offset:         40
        .size:           8
        .value_kind:     by_value
      - .address_space:  global
        .offset:         48
        .size:           8
        .value_kind:     global_buffer
      - .offset:         56
        .size:           8
        .value_kind:     by_value
      - .offset:         64
        .size:           8
        .value_kind:     by_value
      - .offset:         72
        .size:           8
        .value_kind:     by_value
      - .address_space:  global
        .offset:         80
        .size:           8
        .value_kind:     global_buffer
      - .offset:         88
        .size:           8
        .value_kind:     by_value
      - .offset:         96
        .size:           8
        .value_kind:     by_value
      - .offset:         104
        .size:           4
        .value_kind:     by_value
    .group_segment_fixed_size: 4096
    .kernarg_segment_align: 8
    .kernarg_segment_size: 108
    .language:       OpenCL C
    .language_version:
      - 2
      - 0
    .max_flat_workgroup_size: 256
    .name:           _ZL41rocblas_syrkx_herkx_small_restrict_kernelIldLi16ELb1ELb0ELc84ELc76EKddEviT_T0_PT6_S1_lS4_S1_lS2_PT7_S1_li
    .private_segment_fixed_size: 0
    .sgpr_count:     32
    .sgpr_spill_count: 0
    .symbol:         _ZL41rocblas_syrkx_herkx_small_restrict_kernelIldLi16ELb1ELb0ELc84ELc76EKddEviT_T0_PT6_S1_lS4_S1_lS2_PT7_S1_li.kd
    .uniform_work_group_size: 1
    .uses_dynamic_stack: false
    .vgpr_count:     24
    .vgpr_spill_count: 0
    .wavefront_size: 64
  - .args:
      - .offset:         0
        .size:           4
        .value_kind:     by_value
      - .offset:         8
        .size:           8
        .value_kind:     by_value
      - .offset:         16
        .size:           8
        .value_kind:     by_value
      - .address_space:  global
        .offset:         24
        .size:           8
        .value_kind:     global_buffer
      - .offset:         32
        .size:           8
        .value_kind:     by_value
      - .offset:         40
        .size:           8
        .value_kind:     by_value
      - .address_space:  global
        .offset:         48
        .size:           8
        .value_kind:     global_buffer
      - .offset:         56
        .size:           8
        .value_kind:     by_value
      - .offset:         64
        .size:           8
        .value_kind:     by_value
      - .offset:         72
        .size:           8
        .value_kind:     by_value
      - .address_space:  global
        .offset:         80
        .size:           8
        .value_kind:     global_buffer
      - .offset:         88
        .size:           8
        .value_kind:     by_value
      - .offset:         96
        .size:           8
        .value_kind:     by_value
      - .offset:         104
        .size:           4
        .value_kind:     by_value
    .group_segment_fixed_size: 4096
    .kernarg_segment_align: 8
    .kernarg_segment_size: 108
    .language:       OpenCL C
    .language_version:
      - 2
      - 0
    .max_flat_workgroup_size: 256
    .name:           _ZL41rocblas_syrkx_herkx_small_restrict_kernelIldLi16ELb1ELb0ELc67ELc76EKddEviT_T0_PT6_S1_lS4_S1_lS2_PT7_S1_li
    .private_segment_fixed_size: 0
    .sgpr_count:     32
    .sgpr_spill_count: 0
    .symbol:         _ZL41rocblas_syrkx_herkx_small_restrict_kernelIldLi16ELb1ELb0ELc67ELc76EKddEviT_T0_PT6_S1_lS4_S1_lS2_PT7_S1_li.kd
    .uniform_work_group_size: 1
    .uses_dynamic_stack: false
    .vgpr_count:     24
    .vgpr_spill_count: 0
    .wavefront_size: 64
  - .args:
      - .offset:         0
        .size:           4
        .value_kind:     by_value
      - .offset:         8
        .size:           8
        .value_kind:     by_value
      - .offset:         16
        .size:           8
        .value_kind:     by_value
      - .address_space:  global
        .offset:         24
        .size:           8
        .value_kind:     global_buffer
      - .offset:         32
        .size:           8
        .value_kind:     by_value
      - .offset:         40
        .size:           8
        .value_kind:     by_value
      - .address_space:  global
        .offset:         48
        .size:           8
        .value_kind:     global_buffer
      - .offset:         56
        .size:           8
        .value_kind:     by_value
      - .offset:         64
        .size:           8
        .value_kind:     by_value
      - .offset:         72
        .size:           8
        .value_kind:     by_value
      - .address_space:  global
        .offset:         80
        .size:           8
        .value_kind:     global_buffer
      - .offset:         88
        .size:           8
        .value_kind:     by_value
      - .offset:         96
        .size:           8
        .value_kind:     by_value
      - .offset:         104
        .size:           4
        .value_kind:     by_value
    .group_segment_fixed_size: 4096
    .kernarg_segment_align: 8
    .kernarg_segment_size: 108
    .language:       OpenCL C
    .language_version:
      - 2
      - 0
    .max_flat_workgroup_size: 256
    .name:           _ZL41rocblas_syrkx_herkx_small_restrict_kernelIldLi16ELb1ELb0ELc78ELc76EKddEviT_T0_PT6_S1_lS4_S1_lS2_PT7_S1_li
    .private_segment_fixed_size: 0
    .sgpr_count:     32
    .sgpr_spill_count: 0
    .symbol:         _ZL41rocblas_syrkx_herkx_small_restrict_kernelIldLi16ELb1ELb0ELc78ELc76EKddEviT_T0_PT6_S1_lS4_S1_lS2_PT7_S1_li.kd
    .uniform_work_group_size: 1
    .uses_dynamic_stack: false
    .vgpr_count:     26
    .vgpr_spill_count: 0
    .wavefront_size: 64
  - .args:
      - .offset:         0
        .size:           4
        .value_kind:     by_value
      - .offset:         8
        .size:           8
        .value_kind:     by_value
      - .offset:         16
        .size:           8
        .value_kind:     by_value
      - .address_space:  global
        .offset:         24
        .size:           8
        .value_kind:     global_buffer
      - .offset:         32
        .size:           8
        .value_kind:     by_value
      - .offset:         40
        .size:           8
        .value_kind:     by_value
      - .address_space:  global
        .offset:         48
        .size:           8
        .value_kind:     global_buffer
      - .offset:         56
        .size:           8
        .value_kind:     by_value
      - .offset:         64
        .size:           8
        .value_kind:     by_value
      - .offset:         72
        .size:           8
        .value_kind:     by_value
      - .address_space:  global
        .offset:         80
        .size:           8
        .value_kind:     global_buffer
      - .offset:         88
        .size:           8
        .value_kind:     by_value
      - .offset:         96
        .size:           8
        .value_kind:     by_value
      - .offset:         104
        .size:           4
        .value_kind:     by_value
    .group_segment_fixed_size: 4096
    .kernarg_segment_align: 8
    .kernarg_segment_size: 108
    .language:       OpenCL C
    .language_version:
      - 2
      - 0
    .max_flat_workgroup_size: 256
    .name:           _ZL41rocblas_syrkx_herkx_small_restrict_kernelIldLi16ELb1ELb0ELc84ELc85EKddEviT_T0_PT6_S1_lS4_S1_lS2_PT7_S1_li
    .private_segment_fixed_size: 0
    .sgpr_count:     32
    .sgpr_spill_count: 0
    .symbol:         _ZL41rocblas_syrkx_herkx_small_restrict_kernelIldLi16ELb1ELb0ELc84ELc85EKddEviT_T0_PT6_S1_lS4_S1_lS2_PT7_S1_li.kd
    .uniform_work_group_size: 1
    .uses_dynamic_stack: false
    .vgpr_count:     24
    .vgpr_spill_count: 0
    .wavefront_size: 64
  - .args:
      - .offset:         0
        .size:           4
        .value_kind:     by_value
      - .offset:         8
        .size:           8
        .value_kind:     by_value
      - .offset:         16
        .size:           8
        .value_kind:     by_value
      - .address_space:  global
        .offset:         24
        .size:           8
        .value_kind:     global_buffer
      - .offset:         32
        .size:           8
        .value_kind:     by_value
      - .offset:         40
        .size:           8
        .value_kind:     by_value
      - .address_space:  global
        .offset:         48
        .size:           8
        .value_kind:     global_buffer
      - .offset:         56
        .size:           8
        .value_kind:     by_value
      - .offset:         64
        .size:           8
        .value_kind:     by_value
      - .offset:         72
        .size:           8
        .value_kind:     by_value
      - .address_space:  global
        .offset:         80
        .size:           8
        .value_kind:     global_buffer
      - .offset:         88
        .size:           8
        .value_kind:     by_value
      - .offset:         96
        .size:           8
        .value_kind:     by_value
      - .offset:         104
        .size:           4
        .value_kind:     by_value
    .group_segment_fixed_size: 4096
    .kernarg_segment_align: 8
    .kernarg_segment_size: 108
    .language:       OpenCL C
    .language_version:
      - 2
      - 0
    .max_flat_workgroup_size: 256
    .name:           _ZL41rocblas_syrkx_herkx_small_restrict_kernelIldLi16ELb1ELb0ELc67ELc85EKddEviT_T0_PT6_S1_lS4_S1_lS2_PT7_S1_li
    .private_segment_fixed_size: 0
    .sgpr_count:     32
    .sgpr_spill_count: 0
    .symbol:         _ZL41rocblas_syrkx_herkx_small_restrict_kernelIldLi16ELb1ELb0ELc67ELc85EKddEviT_T0_PT6_S1_lS4_S1_lS2_PT7_S1_li.kd
    .uniform_work_group_size: 1
    .uses_dynamic_stack: false
    .vgpr_count:     24
    .vgpr_spill_count: 0
    .wavefront_size: 64
  - .args:
      - .offset:         0
        .size:           4
        .value_kind:     by_value
      - .offset:         8
        .size:           8
        .value_kind:     by_value
      - .offset:         16
        .size:           8
        .value_kind:     by_value
      - .address_space:  global
        .offset:         24
        .size:           8
        .value_kind:     global_buffer
      - .offset:         32
        .size:           8
        .value_kind:     by_value
      - .offset:         40
        .size:           8
        .value_kind:     by_value
      - .address_space:  global
        .offset:         48
        .size:           8
        .value_kind:     global_buffer
      - .offset:         56
        .size:           8
        .value_kind:     by_value
      - .offset:         64
        .size:           8
        .value_kind:     by_value
      - .offset:         72
        .size:           8
        .value_kind:     by_value
      - .address_space:  global
        .offset:         80
        .size:           8
        .value_kind:     global_buffer
      - .offset:         88
        .size:           8
        .value_kind:     by_value
      - .offset:         96
        .size:           8
        .value_kind:     by_value
      - .offset:         104
        .size:           4
        .value_kind:     by_value
    .group_segment_fixed_size: 4096
    .kernarg_segment_align: 8
    .kernarg_segment_size: 108
    .language:       OpenCL C
    .language_version:
      - 2
      - 0
    .max_flat_workgroup_size: 256
    .name:           _ZL41rocblas_syrkx_herkx_small_restrict_kernelIldLi16ELb1ELb0ELc78ELc85EKddEviT_T0_PT6_S1_lS4_S1_lS2_PT7_S1_li
    .private_segment_fixed_size: 0
    .sgpr_count:     32
    .sgpr_spill_count: 0
    .symbol:         _ZL41rocblas_syrkx_herkx_small_restrict_kernelIldLi16ELb1ELb0ELc78ELc85EKddEviT_T0_PT6_S1_lS4_S1_lS2_PT7_S1_li.kd
    .uniform_work_group_size: 1
    .uses_dynamic_stack: false
    .vgpr_count:     26
    .vgpr_spill_count: 0
    .wavefront_size: 64
  - .args:
      - .offset:         0
        .size:           4
        .value_kind:     by_value
      - .offset:         8
        .size:           8
        .value_kind:     by_value
      - .offset:         16
        .size:           8
        .value_kind:     by_value
      - .address_space:  global
        .offset:         24
        .size:           8
        .value_kind:     global_buffer
      - .offset:         32
        .size:           8
        .value_kind:     by_value
      - .offset:         40
        .size:           8
        .value_kind:     by_value
      - .address_space:  global
        .offset:         48
        .size:           8
        .value_kind:     global_buffer
      - .offset:         56
        .size:           8
        .value_kind:     by_value
      - .offset:         64
        .size:           8
        .value_kind:     by_value
      - .offset:         72
        .size:           8
        .value_kind:     by_value
      - .address_space:  global
        .offset:         80
        .size:           8
        .value_kind:     global_buffer
      - .offset:         88
        .size:           8
        .value_kind:     by_value
      - .offset:         96
        .size:           8
        .value_kind:     by_value
      - .offset:         104
        .size:           4
        .value_kind:     by_value
    .group_segment_fixed_size: 4096
    .kernarg_segment_align: 8
    .kernarg_segment_size: 108
    .language:       OpenCL C
    .language_version:
      - 2
      - 0
    .max_flat_workgroup_size: 256
    .name:           _ZL41rocblas_syrkx_herkx_small_restrict_kernelIldLi16ELb0ELb0ELc84ELc76EKddEviT_T0_PT6_S1_lS4_S1_lS2_PT7_S1_li
    .private_segment_fixed_size: 0
    .sgpr_count:     32
    .sgpr_spill_count: 0
    .symbol:         _ZL41rocblas_syrkx_herkx_small_restrict_kernelIldLi16ELb0ELb0ELc84ELc76EKddEviT_T0_PT6_S1_lS4_S1_lS2_PT7_S1_li.kd
    .uniform_work_group_size: 1
    .uses_dynamic_stack: false
    .vgpr_count:     24
    .vgpr_spill_count: 0
    .wavefront_size: 64
  - .args:
      - .offset:         0
        .size:           4
        .value_kind:     by_value
      - .offset:         8
        .size:           8
        .value_kind:     by_value
      - .offset:         16
        .size:           8
        .value_kind:     by_value
      - .address_space:  global
        .offset:         24
        .size:           8
        .value_kind:     global_buffer
      - .offset:         32
        .size:           8
        .value_kind:     by_value
      - .offset:         40
        .size:           8
        .value_kind:     by_value
      - .address_space:  global
        .offset:         48
        .size:           8
        .value_kind:     global_buffer
      - .offset:         56
        .size:           8
        .value_kind:     by_value
      - .offset:         64
        .size:           8
        .value_kind:     by_value
      - .offset:         72
        .size:           8
        .value_kind:     by_value
      - .address_space:  global
        .offset:         80
        .size:           8
        .value_kind:     global_buffer
      - .offset:         88
        .size:           8
        .value_kind:     by_value
      - .offset:         96
        .size:           8
        .value_kind:     by_value
      - .offset:         104
        .size:           4
        .value_kind:     by_value
    .group_segment_fixed_size: 4096
    .kernarg_segment_align: 8
    .kernarg_segment_size: 108
    .language:       OpenCL C
    .language_version:
      - 2
      - 0
    .max_flat_workgroup_size: 256
    .name:           _ZL41rocblas_syrkx_herkx_small_restrict_kernelIldLi16ELb0ELb0ELc67ELc76EKddEviT_T0_PT6_S1_lS4_S1_lS2_PT7_S1_li
    .private_segment_fixed_size: 0
    .sgpr_count:     32
    .sgpr_spill_count: 0
    .symbol:         _ZL41rocblas_syrkx_herkx_small_restrict_kernelIldLi16ELb0ELb0ELc67ELc76EKddEviT_T0_PT6_S1_lS4_S1_lS2_PT7_S1_li.kd
    .uniform_work_group_size: 1
    .uses_dynamic_stack: false
    .vgpr_count:     24
    .vgpr_spill_count: 0
    .wavefront_size: 64
  - .args:
      - .offset:         0
        .size:           4
        .value_kind:     by_value
      - .offset:         8
        .size:           8
        .value_kind:     by_value
      - .offset:         16
        .size:           8
        .value_kind:     by_value
      - .address_space:  global
        .offset:         24
        .size:           8
        .value_kind:     global_buffer
      - .offset:         32
        .size:           8
        .value_kind:     by_value
      - .offset:         40
        .size:           8
        .value_kind:     by_value
      - .address_space:  global
        .offset:         48
        .size:           8
        .value_kind:     global_buffer
      - .offset:         56
        .size:           8
        .value_kind:     by_value
      - .offset:         64
        .size:           8
        .value_kind:     by_value
      - .offset:         72
        .size:           8
        .value_kind:     by_value
      - .address_space:  global
        .offset:         80
        .size:           8
        .value_kind:     global_buffer
      - .offset:         88
        .size:           8
        .value_kind:     by_value
      - .offset:         96
        .size:           8
        .value_kind:     by_value
      - .offset:         104
        .size:           4
        .value_kind:     by_value
    .group_segment_fixed_size: 4096
    .kernarg_segment_align: 8
    .kernarg_segment_size: 108
    .language:       OpenCL C
    .language_version:
      - 2
      - 0
    .max_flat_workgroup_size: 256
    .name:           _ZL41rocblas_syrkx_herkx_small_restrict_kernelIldLi16ELb0ELb0ELc78ELc76EKddEviT_T0_PT6_S1_lS4_S1_lS2_PT7_S1_li
    .private_segment_fixed_size: 0
    .sgpr_count:     32
    .sgpr_spill_count: 0
    .symbol:         _ZL41rocblas_syrkx_herkx_small_restrict_kernelIldLi16ELb0ELb0ELc78ELc76EKddEviT_T0_PT6_S1_lS4_S1_lS2_PT7_S1_li.kd
    .uniform_work_group_size: 1
    .uses_dynamic_stack: false
    .vgpr_count:     26
    .vgpr_spill_count: 0
    .wavefront_size: 64
  - .args:
      - .offset:         0
        .size:           4
        .value_kind:     by_value
      - .offset:         8
        .size:           8
        .value_kind:     by_value
      - .offset:         16
        .size:           8
        .value_kind:     by_value
      - .address_space:  global
        .offset:         24
        .size:           8
        .value_kind:     global_buffer
      - .offset:         32
        .size:           8
        .value_kind:     by_value
      - .offset:         40
        .size:           8
        .value_kind:     by_value
      - .address_space:  global
        .offset:         48
        .size:           8
        .value_kind:     global_buffer
      - .offset:         56
        .size:           8
        .value_kind:     by_value
      - .offset:         64
        .size:           8
        .value_kind:     by_value
      - .offset:         72
        .size:           8
        .value_kind:     by_value
      - .address_space:  global
        .offset:         80
        .size:           8
        .value_kind:     global_buffer
      - .offset:         88
        .size:           8
        .value_kind:     by_value
      - .offset:         96
        .size:           8
        .value_kind:     by_value
      - .offset:         104
        .size:           4
        .value_kind:     by_value
    .group_segment_fixed_size: 4096
    .kernarg_segment_align: 8
    .kernarg_segment_size: 108
    .language:       OpenCL C
    .language_version:
      - 2
      - 0
    .max_flat_workgroup_size: 256
    .name:           _ZL41rocblas_syrkx_herkx_small_restrict_kernelIldLi16ELb0ELb0ELc84ELc85EKddEviT_T0_PT6_S1_lS4_S1_lS2_PT7_S1_li
    .private_segment_fixed_size: 0
    .sgpr_count:     32
    .sgpr_spill_count: 0
    .symbol:         _ZL41rocblas_syrkx_herkx_small_restrict_kernelIldLi16ELb0ELb0ELc84ELc85EKddEviT_T0_PT6_S1_lS4_S1_lS2_PT7_S1_li.kd
    .uniform_work_group_size: 1
    .uses_dynamic_stack: false
    .vgpr_count:     24
    .vgpr_spill_count: 0
    .wavefront_size: 64
  - .args:
      - .offset:         0
        .size:           4
        .value_kind:     by_value
      - .offset:         8
        .size:           8
        .value_kind:     by_value
      - .offset:         16
        .size:           8
        .value_kind:     by_value
      - .address_space:  global
        .offset:         24
        .size:           8
        .value_kind:     global_buffer
      - .offset:         32
        .size:           8
        .value_kind:     by_value
      - .offset:         40
        .size:           8
        .value_kind:     by_value
      - .address_space:  global
        .offset:         48
        .size:           8
        .value_kind:     global_buffer
      - .offset:         56
        .size:           8
        .value_kind:     by_value
      - .offset:         64
        .size:           8
        .value_kind:     by_value
      - .offset:         72
        .size:           8
        .value_kind:     by_value
      - .address_space:  global
        .offset:         80
        .size:           8
        .value_kind:     global_buffer
      - .offset:         88
        .size:           8
        .value_kind:     by_value
      - .offset:         96
        .size:           8
        .value_kind:     by_value
      - .offset:         104
        .size:           4
        .value_kind:     by_value
    .group_segment_fixed_size: 4096
    .kernarg_segment_align: 8
    .kernarg_segment_size: 108
    .language:       OpenCL C
    .language_version:
      - 2
      - 0
    .max_flat_workgroup_size: 256
    .name:           _ZL41rocblas_syrkx_herkx_small_restrict_kernelIldLi16ELb0ELb0ELc67ELc85EKddEviT_T0_PT6_S1_lS4_S1_lS2_PT7_S1_li
    .private_segment_fixed_size: 0
    .sgpr_count:     32
    .sgpr_spill_count: 0
    .symbol:         _ZL41rocblas_syrkx_herkx_small_restrict_kernelIldLi16ELb0ELb0ELc67ELc85EKddEviT_T0_PT6_S1_lS4_S1_lS2_PT7_S1_li.kd
    .uniform_work_group_size: 1
    .uses_dynamic_stack: false
    .vgpr_count:     24
    .vgpr_spill_count: 0
    .wavefront_size: 64
  - .args:
      - .offset:         0
        .size:           4
        .value_kind:     by_value
      - .offset:         8
        .size:           8
        .value_kind:     by_value
      - .offset:         16
        .size:           8
        .value_kind:     by_value
      - .address_space:  global
        .offset:         24
        .size:           8
        .value_kind:     global_buffer
      - .offset:         32
        .size:           8
        .value_kind:     by_value
      - .offset:         40
        .size:           8
        .value_kind:     by_value
      - .address_space:  global
        .offset:         48
        .size:           8
        .value_kind:     global_buffer
      - .offset:         56
        .size:           8
        .value_kind:     by_value
      - .offset:         64
        .size:           8
        .value_kind:     by_value
      - .offset:         72
        .size:           8
        .value_kind:     by_value
      - .address_space:  global
        .offset:         80
        .size:           8
        .value_kind:     global_buffer
      - .offset:         88
        .size:           8
        .value_kind:     by_value
      - .offset:         96
        .size:           8
        .value_kind:     by_value
      - .offset:         104
        .size:           4
        .value_kind:     by_value
    .group_segment_fixed_size: 4096
    .kernarg_segment_align: 8
    .kernarg_segment_size: 108
    .language:       OpenCL C
    .language_version:
      - 2
      - 0
    .max_flat_workgroup_size: 256
    .name:           _ZL41rocblas_syrkx_herkx_small_restrict_kernelIldLi16ELb0ELb0ELc78ELc85EKddEviT_T0_PT6_S1_lS4_S1_lS2_PT7_S1_li
    .private_segment_fixed_size: 0
    .sgpr_count:     32
    .sgpr_spill_count: 0
    .symbol:         _ZL41rocblas_syrkx_herkx_small_restrict_kernelIldLi16ELb0ELb0ELc78ELc85EKddEviT_T0_PT6_S1_lS4_S1_lS2_PT7_S1_li.kd
    .uniform_work_group_size: 1
    .uses_dynamic_stack: false
    .vgpr_count:     26
    .vgpr_spill_count: 0
    .wavefront_size: 64
  - .args:
      - .offset:         0
        .size:           4
        .value_kind:     by_value
      - .offset:         8
        .size:           8
        .value_kind:     by_value
      - .offset:         16
        .size:           8
        .value_kind:     by_value
      - .address_space:  global
        .offset:         24
        .size:           8
        .value_kind:     global_buffer
      - .offset:         32
        .size:           8
        .value_kind:     by_value
      - .offset:         40
        .size:           8
        .value_kind:     by_value
      - .address_space:  global
        .offset:         48
        .size:           8
        .value_kind:     global_buffer
      - .offset:         56
        .size:           8
        .value_kind:     by_value
      - .offset:         64
        .size:           8
        .value_kind:     by_value
      - .offset:         72
        .size:           8
        .value_kind:     by_value
      - .address_space:  global
        .offset:         80
        .size:           8
        .value_kind:     global_buffer
      - .offset:         88
        .size:           8
        .value_kind:     by_value
      - .offset:         96
        .size:           8
        .value_kind:     by_value
      - .offset:         104
        .size:           4
        .value_kind:     by_value
    .group_segment_fixed_size: 4096
    .kernarg_segment_align: 8
    .kernarg_segment_size: 108
    .language:       OpenCL C
    .language_version:
      - 2
      - 0
    .max_flat_workgroup_size: 256
    .name:           _ZL32rocblas_syrkx_herkx_small_kernelIldLi16ELb1ELb0ELc84ELc76EKddEviT_T0_PT6_S1_lS4_S1_lS2_PT7_S1_li
    .private_segment_fixed_size: 0
    .sgpr_count:     32
    .sgpr_spill_count: 0
    .symbol:         _ZL32rocblas_syrkx_herkx_small_kernelIldLi16ELb1ELb0ELc84ELc76EKddEviT_T0_PT6_S1_lS4_S1_lS2_PT7_S1_li.kd
    .uniform_work_group_size: 1
    .uses_dynamic_stack: false
    .vgpr_count:     28
    .vgpr_spill_count: 0
    .wavefront_size: 64
  - .args:
      - .offset:         0
        .size:           4
        .value_kind:     by_value
      - .offset:         8
        .size:           8
        .value_kind:     by_value
      - .offset:         16
        .size:           8
        .value_kind:     by_value
      - .address_space:  global
        .offset:         24
        .size:           8
        .value_kind:     global_buffer
      - .offset:         32
        .size:           8
        .value_kind:     by_value
      - .offset:         40
        .size:           8
        .value_kind:     by_value
      - .address_space:  global
        .offset:         48
        .size:           8
        .value_kind:     global_buffer
      - .offset:         56
        .size:           8
        .value_kind:     by_value
      - .offset:         64
        .size:           8
        .value_kind:     by_value
      - .offset:         72
        .size:           8
        .value_kind:     by_value
      - .address_space:  global
        .offset:         80
        .size:           8
        .value_kind:     global_buffer
      - .offset:         88
        .size:           8
        .value_kind:     by_value
      - .offset:         96
        .size:           8
        .value_kind:     by_value
      - .offset:         104
        .size:           4
        .value_kind:     by_value
    .group_segment_fixed_size: 4096
    .kernarg_segment_align: 8
    .kernarg_segment_size: 108
    .language:       OpenCL C
    .language_version:
      - 2
      - 0
    .max_flat_workgroup_size: 256
    .name:           _ZL32rocblas_syrkx_herkx_small_kernelIldLi16ELb1ELb0ELc67ELc76EKddEviT_T0_PT6_S1_lS4_S1_lS2_PT7_S1_li
    .private_segment_fixed_size: 0
    .sgpr_count:     32
    .sgpr_spill_count: 0
    .symbol:         _ZL32rocblas_syrkx_herkx_small_kernelIldLi16ELb1ELb0ELc67ELc76EKddEviT_T0_PT6_S1_lS4_S1_lS2_PT7_S1_li.kd
    .uniform_work_group_size: 1
    .uses_dynamic_stack: false
    .vgpr_count:     28
    .vgpr_spill_count: 0
    .wavefront_size: 64
  - .args:
      - .offset:         0
        .size:           4
        .value_kind:     by_value
      - .offset:         8
        .size:           8
        .value_kind:     by_value
      - .offset:         16
        .size:           8
        .value_kind:     by_value
      - .address_space:  global
        .offset:         24
        .size:           8
        .value_kind:     global_buffer
      - .offset:         32
        .size:           8
        .value_kind:     by_value
      - .offset:         40
        .size:           8
        .value_kind:     by_value
      - .address_space:  global
        .offset:         48
        .size:           8
        .value_kind:     global_buffer
      - .offset:         56
        .size:           8
        .value_kind:     by_value
      - .offset:         64
        .size:           8
        .value_kind:     by_value
      - .offset:         72
        .size:           8
        .value_kind:     by_value
      - .address_space:  global
        .offset:         80
        .size:           8
        .value_kind:     global_buffer
      - .offset:         88
        .size:           8
        .value_kind:     by_value
      - .offset:         96
        .size:           8
        .value_kind:     by_value
      - .offset:         104
        .size:           4
        .value_kind:     by_value
    .group_segment_fixed_size: 4096
    .kernarg_segment_align: 8
    .kernarg_segment_size: 108
    .language:       OpenCL C
    .language_version:
      - 2
      - 0
    .max_flat_workgroup_size: 256
    .name:           _ZL32rocblas_syrkx_herkx_small_kernelIldLi16ELb1ELb0ELc78ELc76EKddEviT_T0_PT6_S1_lS4_S1_lS2_PT7_S1_li
    .private_segment_fixed_size: 0
    .sgpr_count:     32
    .sgpr_spill_count: 0
    .symbol:         _ZL32rocblas_syrkx_herkx_small_kernelIldLi16ELb1ELb0ELc78ELc76EKddEviT_T0_PT6_S1_lS4_S1_lS2_PT7_S1_li.kd
    .uniform_work_group_size: 1
    .uses_dynamic_stack: false
    .vgpr_count:     30
    .vgpr_spill_count: 0
    .wavefront_size: 64
  - .args:
      - .offset:         0
        .size:           4
        .value_kind:     by_value
      - .offset:         8
        .size:           8
        .value_kind:     by_value
      - .offset:         16
        .size:           8
        .value_kind:     by_value
      - .address_space:  global
        .offset:         24
        .size:           8
        .value_kind:     global_buffer
      - .offset:         32
        .size:           8
        .value_kind:     by_value
      - .offset:         40
        .size:           8
        .value_kind:     by_value
      - .address_space:  global
        .offset:         48
        .size:           8
        .value_kind:     global_buffer
      - .offset:         56
        .size:           8
        .value_kind:     by_value
      - .offset:         64
        .size:           8
        .value_kind:     by_value
      - .offset:         72
        .size:           8
        .value_kind:     by_value
      - .address_space:  global
        .offset:         80
        .size:           8
        .value_kind:     global_buffer
      - .offset:         88
        .size:           8
        .value_kind:     by_value
      - .offset:         96
        .size:           8
        .value_kind:     by_value
      - .offset:         104
        .size:           4
        .value_kind:     by_value
    .group_segment_fixed_size: 4096
    .kernarg_segment_align: 8
    .kernarg_segment_size: 108
    .language:       OpenCL C
    .language_version:
      - 2
      - 0
    .max_flat_workgroup_size: 256
    .name:           _ZL32rocblas_syrkx_herkx_small_kernelIldLi16ELb1ELb0ELc84ELc85EKddEviT_T0_PT6_S1_lS4_S1_lS2_PT7_S1_li
    .private_segment_fixed_size: 0
    .sgpr_count:     32
    .sgpr_spill_count: 0
    .symbol:         _ZL32rocblas_syrkx_herkx_small_kernelIldLi16ELb1ELb0ELc84ELc85EKddEviT_T0_PT6_S1_lS4_S1_lS2_PT7_S1_li.kd
    .uniform_work_group_size: 1
    .uses_dynamic_stack: false
    .vgpr_count:     28
    .vgpr_spill_count: 0
    .wavefront_size: 64
  - .args:
      - .offset:         0
        .size:           4
        .value_kind:     by_value
      - .offset:         8
        .size:           8
        .value_kind:     by_value
      - .offset:         16
        .size:           8
        .value_kind:     by_value
      - .address_space:  global
        .offset:         24
        .size:           8
        .value_kind:     global_buffer
      - .offset:         32
        .size:           8
        .value_kind:     by_value
      - .offset:         40
        .size:           8
        .value_kind:     by_value
      - .address_space:  global
        .offset:         48
        .size:           8
        .value_kind:     global_buffer
      - .offset:         56
        .size:           8
        .value_kind:     by_value
      - .offset:         64
        .size:           8
        .value_kind:     by_value
      - .offset:         72
        .size:           8
        .value_kind:     by_value
      - .address_space:  global
        .offset:         80
        .size:           8
        .value_kind:     global_buffer
      - .offset:         88
        .size:           8
        .value_kind:     by_value
      - .offset:         96
        .size:           8
        .value_kind:     by_value
      - .offset:         104
        .size:           4
        .value_kind:     by_value
    .group_segment_fixed_size: 4096
    .kernarg_segment_align: 8
    .kernarg_segment_size: 108
    .language:       OpenCL C
    .language_version:
      - 2
      - 0
    .max_flat_workgroup_size: 256
    .name:           _ZL32rocblas_syrkx_herkx_small_kernelIldLi16ELb1ELb0ELc67ELc85EKddEviT_T0_PT6_S1_lS4_S1_lS2_PT7_S1_li
    .private_segment_fixed_size: 0
    .sgpr_count:     32
    .sgpr_spill_count: 0
    .symbol:         _ZL32rocblas_syrkx_herkx_small_kernelIldLi16ELb1ELb0ELc67ELc85EKddEviT_T0_PT6_S1_lS4_S1_lS2_PT7_S1_li.kd
    .uniform_work_group_size: 1
    .uses_dynamic_stack: false
    .vgpr_count:     28
    .vgpr_spill_count: 0
    .wavefront_size: 64
  - .args:
      - .offset:         0
        .size:           4
        .value_kind:     by_value
      - .offset:         8
        .size:           8
        .value_kind:     by_value
      - .offset:         16
        .size:           8
        .value_kind:     by_value
      - .address_space:  global
        .offset:         24
        .size:           8
        .value_kind:     global_buffer
      - .offset:         32
        .size:           8
        .value_kind:     by_value
      - .offset:         40
        .size:           8
        .value_kind:     by_value
      - .address_space:  global
        .offset:         48
        .size:           8
        .value_kind:     global_buffer
      - .offset:         56
        .size:           8
        .value_kind:     by_value
      - .offset:         64
        .size:           8
        .value_kind:     by_value
      - .offset:         72
        .size:           8
        .value_kind:     by_value
      - .address_space:  global
        .offset:         80
        .size:           8
        .value_kind:     global_buffer
      - .offset:         88
        .size:           8
        .value_kind:     by_value
      - .offset:         96
        .size:           8
        .value_kind:     by_value
      - .offset:         104
        .size:           4
        .value_kind:     by_value
    .group_segment_fixed_size: 4096
    .kernarg_segment_align: 8
    .kernarg_segment_size: 108
    .language:       OpenCL C
    .language_version:
      - 2
      - 0
    .max_flat_workgroup_size: 256
    .name:           _ZL32rocblas_syrkx_herkx_small_kernelIldLi16ELb1ELb0ELc78ELc85EKddEviT_T0_PT6_S1_lS4_S1_lS2_PT7_S1_li
    .private_segment_fixed_size: 0
    .sgpr_count:     32
    .sgpr_spill_count: 0
    .symbol:         _ZL32rocblas_syrkx_herkx_small_kernelIldLi16ELb1ELb0ELc78ELc85EKddEviT_T0_PT6_S1_lS4_S1_lS2_PT7_S1_li.kd
    .uniform_work_group_size: 1
    .uses_dynamic_stack: false
    .vgpr_count:     30
    .vgpr_spill_count: 0
    .wavefront_size: 64
  - .args:
      - .offset:         0
        .size:           4
        .value_kind:     by_value
      - .offset:         8
        .size:           8
        .value_kind:     by_value
      - .offset:         16
        .size:           8
        .value_kind:     by_value
      - .address_space:  global
        .offset:         24
        .size:           8
        .value_kind:     global_buffer
      - .offset:         32
        .size:           8
        .value_kind:     by_value
      - .offset:         40
        .size:           8
        .value_kind:     by_value
      - .address_space:  global
        .offset:         48
        .size:           8
        .value_kind:     global_buffer
      - .offset:         56
        .size:           8
        .value_kind:     by_value
      - .offset:         64
        .size:           8
        .value_kind:     by_value
      - .offset:         72
        .size:           8
        .value_kind:     by_value
      - .address_space:  global
        .offset:         80
        .size:           8
        .value_kind:     global_buffer
      - .offset:         88
        .size:           8
        .value_kind:     by_value
      - .offset:         96
        .size:           8
        .value_kind:     by_value
      - .offset:         104
        .size:           4
        .value_kind:     by_value
    .group_segment_fixed_size: 4096
    .kernarg_segment_align: 8
    .kernarg_segment_size: 108
    .language:       OpenCL C
    .language_version:
      - 2
      - 0
    .max_flat_workgroup_size: 256
    .name:           _ZL32rocblas_syrkx_herkx_small_kernelIldLi16ELb0ELb0ELc84ELc76EKddEviT_T0_PT6_S1_lS4_S1_lS2_PT7_S1_li
    .private_segment_fixed_size: 0
    .sgpr_count:     32
    .sgpr_spill_count: 0
    .symbol:         _ZL32rocblas_syrkx_herkx_small_kernelIldLi16ELb0ELb0ELc84ELc76EKddEviT_T0_PT6_S1_lS4_S1_lS2_PT7_S1_li.kd
    .uniform_work_group_size: 1
    .uses_dynamic_stack: false
    .vgpr_count:     28
    .vgpr_spill_count: 0
    .wavefront_size: 64
  - .args:
      - .offset:         0
        .size:           4
        .value_kind:     by_value
      - .offset:         8
        .size:           8
        .value_kind:     by_value
      - .offset:         16
        .size:           8
        .value_kind:     by_value
      - .address_space:  global
        .offset:         24
        .size:           8
        .value_kind:     global_buffer
      - .offset:         32
        .size:           8
        .value_kind:     by_value
      - .offset:         40
        .size:           8
        .value_kind:     by_value
      - .address_space:  global
        .offset:         48
        .size:           8
        .value_kind:     global_buffer
      - .offset:         56
        .size:           8
        .value_kind:     by_value
      - .offset:         64
        .size:           8
        .value_kind:     by_value
      - .offset:         72
        .size:           8
        .value_kind:     by_value
      - .address_space:  global
        .offset:         80
        .size:           8
        .value_kind:     global_buffer
      - .offset:         88
        .size:           8
        .value_kind:     by_value
      - .offset:         96
        .size:           8
        .value_kind:     by_value
      - .offset:         104
        .size:           4
        .value_kind:     by_value
    .group_segment_fixed_size: 4096
    .kernarg_segment_align: 8
    .kernarg_segment_size: 108
    .language:       OpenCL C
    .language_version:
      - 2
      - 0
    .max_flat_workgroup_size: 256
    .name:           _ZL32rocblas_syrkx_herkx_small_kernelIldLi16ELb0ELb0ELc67ELc76EKddEviT_T0_PT6_S1_lS4_S1_lS2_PT7_S1_li
    .private_segment_fixed_size: 0
    .sgpr_count:     32
    .sgpr_spill_count: 0
    .symbol:         _ZL32rocblas_syrkx_herkx_small_kernelIldLi16ELb0ELb0ELc67ELc76EKddEviT_T0_PT6_S1_lS4_S1_lS2_PT7_S1_li.kd
    .uniform_work_group_size: 1
    .uses_dynamic_stack: false
    .vgpr_count:     28
    .vgpr_spill_count: 0
    .wavefront_size: 64
  - .args:
      - .offset:         0
        .size:           4
        .value_kind:     by_value
      - .offset:         8
        .size:           8
        .value_kind:     by_value
      - .offset:         16
        .size:           8
        .value_kind:     by_value
      - .address_space:  global
        .offset:         24
        .size:           8
        .value_kind:     global_buffer
      - .offset:         32
        .size:           8
        .value_kind:     by_value
      - .offset:         40
        .size:           8
        .value_kind:     by_value
      - .address_space:  global
        .offset:         48
        .size:           8
        .value_kind:     global_buffer
      - .offset:         56
        .size:           8
        .value_kind:     by_value
      - .offset:         64
        .size:           8
        .value_kind:     by_value
      - .offset:         72
        .size:           8
        .value_kind:     by_value
      - .address_space:  global
        .offset:         80
        .size:           8
        .value_kind:     global_buffer
      - .offset:         88
        .size:           8
        .value_kind:     by_value
      - .offset:         96
        .size:           8
        .value_kind:     by_value
      - .offset:         104
        .size:           4
        .value_kind:     by_value
    .group_segment_fixed_size: 4096
    .kernarg_segment_align: 8
    .kernarg_segment_size: 108
    .language:       OpenCL C
    .language_version:
      - 2
      - 0
    .max_flat_workgroup_size: 256
    .name:           _ZL32rocblas_syrkx_herkx_small_kernelIldLi16ELb0ELb0ELc78ELc76EKddEviT_T0_PT6_S1_lS4_S1_lS2_PT7_S1_li
    .private_segment_fixed_size: 0
    .sgpr_count:     32
    .sgpr_spill_count: 0
    .symbol:         _ZL32rocblas_syrkx_herkx_small_kernelIldLi16ELb0ELb0ELc78ELc76EKddEviT_T0_PT6_S1_lS4_S1_lS2_PT7_S1_li.kd
    .uniform_work_group_size: 1
    .uses_dynamic_stack: false
    .vgpr_count:     30
    .vgpr_spill_count: 0
    .wavefront_size: 64
  - .args:
      - .offset:         0
        .size:           4
        .value_kind:     by_value
      - .offset:         8
        .size:           8
        .value_kind:     by_value
      - .offset:         16
        .size:           8
        .value_kind:     by_value
      - .address_space:  global
        .offset:         24
        .size:           8
        .value_kind:     global_buffer
      - .offset:         32
        .size:           8
        .value_kind:     by_value
      - .offset:         40
        .size:           8
        .value_kind:     by_value
      - .address_space:  global
        .offset:         48
        .size:           8
        .value_kind:     global_buffer
      - .offset:         56
        .size:           8
        .value_kind:     by_value
      - .offset:         64
        .size:           8
        .value_kind:     by_value
      - .offset:         72
        .size:           8
        .value_kind:     by_value
      - .address_space:  global
        .offset:         80
        .size:           8
        .value_kind:     global_buffer
      - .offset:         88
        .size:           8
        .value_kind:     by_value
      - .offset:         96
        .size:           8
        .value_kind:     by_value
      - .offset:         104
        .size:           4
        .value_kind:     by_value
    .group_segment_fixed_size: 4096
    .kernarg_segment_align: 8
    .kernarg_segment_size: 108
    .language:       OpenCL C
    .language_version:
      - 2
      - 0
    .max_flat_workgroup_size: 256
    .name:           _ZL32rocblas_syrkx_herkx_small_kernelIldLi16ELb0ELb0ELc84ELc85EKddEviT_T0_PT6_S1_lS4_S1_lS2_PT7_S1_li
    .private_segment_fixed_size: 0
    .sgpr_count:     32
    .sgpr_spill_count: 0
    .symbol:         _ZL32rocblas_syrkx_herkx_small_kernelIldLi16ELb0ELb0ELc84ELc85EKddEviT_T0_PT6_S1_lS4_S1_lS2_PT7_S1_li.kd
    .uniform_work_group_size: 1
    .uses_dynamic_stack: false
    .vgpr_count:     28
    .vgpr_spill_count: 0
    .wavefront_size: 64
  - .args:
      - .offset:         0
        .size:           4
        .value_kind:     by_value
      - .offset:         8
        .size:           8
        .value_kind:     by_value
      - .offset:         16
        .size:           8
        .value_kind:     by_value
      - .address_space:  global
        .offset:         24
        .size:           8
        .value_kind:     global_buffer
      - .offset:         32
        .size:           8
        .value_kind:     by_value
      - .offset:         40
        .size:           8
        .value_kind:     by_value
      - .address_space:  global
        .offset:         48
        .size:           8
        .value_kind:     global_buffer
      - .offset:         56
        .size:           8
        .value_kind:     by_value
      - .offset:         64
        .size:           8
        .value_kind:     by_value
      - .offset:         72
        .size:           8
        .value_kind:     by_value
      - .address_space:  global
        .offset:         80
        .size:           8
        .value_kind:     global_buffer
      - .offset:         88
        .size:           8
        .value_kind:     by_value
      - .offset:         96
        .size:           8
        .value_kind:     by_value
      - .offset:         104
        .size:           4
        .value_kind:     by_value
    .group_segment_fixed_size: 4096
    .kernarg_segment_align: 8
    .kernarg_segment_size: 108
    .language:       OpenCL C
    .language_version:
      - 2
      - 0
    .max_flat_workgroup_size: 256
    .name:           _ZL32rocblas_syrkx_herkx_small_kernelIldLi16ELb0ELb0ELc67ELc85EKddEviT_T0_PT6_S1_lS4_S1_lS2_PT7_S1_li
    .private_segment_fixed_size: 0
    .sgpr_count:     32
    .sgpr_spill_count: 0
    .symbol:         _ZL32rocblas_syrkx_herkx_small_kernelIldLi16ELb0ELb0ELc67ELc85EKddEviT_T0_PT6_S1_lS4_S1_lS2_PT7_S1_li.kd
    .uniform_work_group_size: 1
    .uses_dynamic_stack: false
    .vgpr_count:     28
    .vgpr_spill_count: 0
    .wavefront_size: 64
  - .args:
      - .offset:         0
        .size:           4
        .value_kind:     by_value
      - .offset:         8
        .size:           8
        .value_kind:     by_value
      - .offset:         16
        .size:           8
        .value_kind:     by_value
      - .address_space:  global
        .offset:         24
        .size:           8
        .value_kind:     global_buffer
      - .offset:         32
        .size:           8
        .value_kind:     by_value
      - .offset:         40
        .size:           8
        .value_kind:     by_value
      - .address_space:  global
        .offset:         48
        .size:           8
        .value_kind:     global_buffer
      - .offset:         56
        .size:           8
        .value_kind:     by_value
      - .offset:         64
        .size:           8
        .value_kind:     by_value
      - .offset:         72
        .size:           8
        .value_kind:     by_value
      - .address_space:  global
        .offset:         80
        .size:           8
        .value_kind:     global_buffer
      - .offset:         88
        .size:           8
        .value_kind:     by_value
      - .offset:         96
        .size:           8
        .value_kind:     by_value
      - .offset:         104
        .size:           4
        .value_kind:     by_value
    .group_segment_fixed_size: 4096
    .kernarg_segment_align: 8
    .kernarg_segment_size: 108
    .language:       OpenCL C
    .language_version:
      - 2
      - 0
    .max_flat_workgroup_size: 256
    .name:           _ZL32rocblas_syrkx_herkx_small_kernelIldLi16ELb0ELb0ELc78ELc85EKddEviT_T0_PT6_S1_lS4_S1_lS2_PT7_S1_li
    .private_segment_fixed_size: 0
    .sgpr_count:     32
    .sgpr_spill_count: 0
    .symbol:         _ZL32rocblas_syrkx_herkx_small_kernelIldLi16ELb0ELb0ELc78ELc85EKddEviT_T0_PT6_S1_lS4_S1_lS2_PT7_S1_li.kd
    .uniform_work_group_size: 1
    .uses_dynamic_stack: false
    .vgpr_count:     30
    .vgpr_spill_count: 0
    .wavefront_size: 64
  - .args:
      - .offset:         0
        .size:           4
        .value_kind:     by_value
      - .offset:         8
        .size:           8
        .value_kind:     by_value
      - .offset:         16
        .size:           8
        .value_kind:     by_value
      - .address_space:  global
        .offset:         24
        .size:           8
        .value_kind:     global_buffer
      - .offset:         32
        .size:           8
        .value_kind:     by_value
      - .offset:         40
        .size:           8
        .value_kind:     by_value
      - .address_space:  global
        .offset:         48
        .size:           8
        .value_kind:     global_buffer
      - .offset:         56
        .size:           8
        .value_kind:     by_value
      - .offset:         64
        .size:           8
        .value_kind:     by_value
      - .offset:         72
        .size:           8
        .value_kind:     by_value
      - .address_space:  global
        .offset:         80
        .size:           8
        .value_kind:     global_buffer
      - .offset:         88
        .size:           8
        .value_kind:     by_value
      - .offset:         96
        .size:           8
        .value_kind:     by_value
      - .offset:         104
        .size:           4
        .value_kind:     by_value
    .group_segment_fixed_size: 4096
    .kernarg_segment_align: 8
    .kernarg_segment_size: 108
    .language:       OpenCL C
    .language_version:
      - 2
      - 0
    .max_flat_workgroup_size: 256
    .name:           _ZL34rocblas_syrkx_herkx_general_kernelIldLi16ELi32ELi8ELb1ELb0ELc84ELc76EKddEviT_T0_PT8_S1_lS4_S1_lS2_PT9_S1_li
    .private_segment_fixed_size: 0
    .sgpr_count:     34
    .sgpr_spill_count: 0
    .symbol:         _ZL34rocblas_syrkx_herkx_general_kernelIldLi16ELi32ELi8ELb1ELb0ELc84ELc76EKddEviT_T0_PT8_S1_lS4_S1_lS2_PT9_S1_li.kd
    .uniform_work_group_size: 1
    .uses_dynamic_stack: false
    .vgpr_count:     36
    .vgpr_spill_count: 0
    .wavefront_size: 64
  - .args:
      - .offset:         0
        .size:           4
        .value_kind:     by_value
      - .offset:         8
        .size:           8
        .value_kind:     by_value
      - .offset:         16
        .size:           8
        .value_kind:     by_value
      - .address_space:  global
        .offset:         24
        .size:           8
        .value_kind:     global_buffer
      - .offset:         32
        .size:           8
        .value_kind:     by_value
      - .offset:         40
        .size:           8
        .value_kind:     by_value
      - .address_space:  global
        .offset:         48
        .size:           8
        .value_kind:     global_buffer
      - .offset:         56
        .size:           8
        .value_kind:     by_value
      - .offset:         64
        .size:           8
        .value_kind:     by_value
      - .offset:         72
        .size:           8
        .value_kind:     by_value
      - .address_space:  global
        .offset:         80
        .size:           8
        .value_kind:     global_buffer
      - .offset:         88
        .size:           8
        .value_kind:     by_value
      - .offset:         96
        .size:           8
        .value_kind:     by_value
      - .offset:         104
        .size:           4
        .value_kind:     by_value
    .group_segment_fixed_size: 4096
    .kernarg_segment_align: 8
    .kernarg_segment_size: 108
    .language:       OpenCL C
    .language_version:
      - 2
      - 0
    .max_flat_workgroup_size: 256
    .name:           _ZL34rocblas_syrkx_herkx_general_kernelIldLi16ELi32ELi8ELb1ELb0ELc67ELc76EKddEviT_T0_PT8_S1_lS4_S1_lS2_PT9_S1_li
    .private_segment_fixed_size: 0
    .sgpr_count:     34
    .sgpr_spill_count: 0
    .symbol:         _ZL34rocblas_syrkx_herkx_general_kernelIldLi16ELi32ELi8ELb1ELb0ELc67ELc76EKddEviT_T0_PT8_S1_lS4_S1_lS2_PT9_S1_li.kd
    .uniform_work_group_size: 1
    .uses_dynamic_stack: false
    .vgpr_count:     36
    .vgpr_spill_count: 0
    .wavefront_size: 64
  - .args:
      - .offset:         0
        .size:           4
        .value_kind:     by_value
      - .offset:         8
        .size:           8
        .value_kind:     by_value
      - .offset:         16
        .size:           8
        .value_kind:     by_value
      - .address_space:  global
        .offset:         24
        .size:           8
        .value_kind:     global_buffer
      - .offset:         32
        .size:           8
        .value_kind:     by_value
      - .offset:         40
        .size:           8
        .value_kind:     by_value
      - .address_space:  global
        .offset:         48
        .size:           8
        .value_kind:     global_buffer
      - .offset:         56
        .size:           8
        .value_kind:     by_value
      - .offset:         64
        .size:           8
        .value_kind:     by_value
      - .offset:         72
        .size:           8
        .value_kind:     by_value
      - .address_space:  global
        .offset:         80
        .size:           8
        .value_kind:     global_buffer
      - .offset:         88
        .size:           8
        .value_kind:     by_value
      - .offset:         96
        .size:           8
        .value_kind:     by_value
      - .offset:         104
        .size:           4
        .value_kind:     by_value
    .group_segment_fixed_size: 4096
    .kernarg_segment_align: 8
    .kernarg_segment_size: 108
    .language:       OpenCL C
    .language_version:
      - 2
      - 0
    .max_flat_workgroup_size: 256
    .name:           _ZL34rocblas_syrkx_herkx_general_kernelIldLi16ELi32ELi8ELb1ELb0ELc78ELc76EKddEviT_T0_PT8_S1_lS4_S1_lS2_PT9_S1_li
    .private_segment_fixed_size: 0
    .sgpr_count:     34
    .sgpr_spill_count: 0
    .symbol:         _ZL34rocblas_syrkx_herkx_general_kernelIldLi16ELi32ELi8ELb1ELb0ELc78ELc76EKddEviT_T0_PT8_S1_lS4_S1_lS2_PT9_S1_li.kd
    .uniform_work_group_size: 1
    .uses_dynamic_stack: false
    .vgpr_count:     36
    .vgpr_spill_count: 0
    .wavefront_size: 64
  - .args:
      - .offset:         0
        .size:           4
        .value_kind:     by_value
      - .offset:         8
        .size:           8
        .value_kind:     by_value
      - .offset:         16
        .size:           8
        .value_kind:     by_value
      - .address_space:  global
        .offset:         24
        .size:           8
        .value_kind:     global_buffer
      - .offset:         32
        .size:           8
        .value_kind:     by_value
      - .offset:         40
        .size:           8
        .value_kind:     by_value
      - .address_space:  global
        .offset:         48
        .size:           8
        .value_kind:     global_buffer
      - .offset:         56
        .size:           8
        .value_kind:     by_value
      - .offset:         64
        .size:           8
        .value_kind:     by_value
      - .offset:         72
        .size:           8
        .value_kind:     by_value
      - .address_space:  global
        .offset:         80
        .size:           8
        .value_kind:     global_buffer
      - .offset:         88
        .size:           8
        .value_kind:     by_value
      - .offset:         96
        .size:           8
        .value_kind:     by_value
      - .offset:         104
        .size:           4
        .value_kind:     by_value
    .group_segment_fixed_size: 4096
    .kernarg_segment_align: 8
    .kernarg_segment_size: 108
    .language:       OpenCL C
    .language_version:
      - 2
      - 0
    .max_flat_workgroup_size: 256
    .name:           _ZL34rocblas_syrkx_herkx_general_kernelIldLi16ELi32ELi8ELb1ELb0ELc84ELc85EKddEviT_T0_PT8_S1_lS4_S1_lS2_PT9_S1_li
    .private_segment_fixed_size: 0
    .sgpr_count:     34
    .sgpr_spill_count: 0
    .symbol:         _ZL34rocblas_syrkx_herkx_general_kernelIldLi16ELi32ELi8ELb1ELb0ELc84ELc85EKddEviT_T0_PT8_S1_lS4_S1_lS2_PT9_S1_li.kd
    .uniform_work_group_size: 1
    .uses_dynamic_stack: false
    .vgpr_count:     36
    .vgpr_spill_count: 0
    .wavefront_size: 64
  - .args:
      - .offset:         0
        .size:           4
        .value_kind:     by_value
      - .offset:         8
        .size:           8
        .value_kind:     by_value
      - .offset:         16
        .size:           8
        .value_kind:     by_value
      - .address_space:  global
        .offset:         24
        .size:           8
        .value_kind:     global_buffer
      - .offset:         32
        .size:           8
        .value_kind:     by_value
      - .offset:         40
        .size:           8
        .value_kind:     by_value
      - .address_space:  global
        .offset:         48
        .size:           8
        .value_kind:     global_buffer
      - .offset:         56
        .size:           8
        .value_kind:     by_value
      - .offset:         64
        .size:           8
        .value_kind:     by_value
      - .offset:         72
        .size:           8
        .value_kind:     by_value
      - .address_space:  global
        .offset:         80
        .size:           8
        .value_kind:     global_buffer
      - .offset:         88
        .size:           8
        .value_kind:     by_value
      - .offset:         96
        .size:           8
        .value_kind:     by_value
      - .offset:         104
        .size:           4
        .value_kind:     by_value
    .group_segment_fixed_size: 4096
    .kernarg_segment_align: 8
    .kernarg_segment_size: 108
    .language:       OpenCL C
    .language_version:
      - 2
      - 0
    .max_flat_workgroup_size: 256
    .name:           _ZL34rocblas_syrkx_herkx_general_kernelIldLi16ELi32ELi8ELb1ELb0ELc67ELc85EKddEviT_T0_PT8_S1_lS4_S1_lS2_PT9_S1_li
    .private_segment_fixed_size: 0
    .sgpr_count:     34
    .sgpr_spill_count: 0
    .symbol:         _ZL34rocblas_syrkx_herkx_general_kernelIldLi16ELi32ELi8ELb1ELb0ELc67ELc85EKddEviT_T0_PT8_S1_lS4_S1_lS2_PT9_S1_li.kd
    .uniform_work_group_size: 1
    .uses_dynamic_stack: false
    .vgpr_count:     36
    .vgpr_spill_count: 0
    .wavefront_size: 64
  - .args:
      - .offset:         0
        .size:           4
        .value_kind:     by_value
      - .offset:         8
        .size:           8
        .value_kind:     by_value
      - .offset:         16
        .size:           8
        .value_kind:     by_value
      - .address_space:  global
        .offset:         24
        .size:           8
        .value_kind:     global_buffer
      - .offset:         32
        .size:           8
        .value_kind:     by_value
      - .offset:         40
        .size:           8
        .value_kind:     by_value
      - .address_space:  global
        .offset:         48
        .size:           8
        .value_kind:     global_buffer
      - .offset:         56
        .size:           8
        .value_kind:     by_value
      - .offset:         64
        .size:           8
        .value_kind:     by_value
      - .offset:         72
        .size:           8
        .value_kind:     by_value
      - .address_space:  global
        .offset:         80
        .size:           8
        .value_kind:     global_buffer
      - .offset:         88
        .size:           8
        .value_kind:     by_value
      - .offset:         96
        .size:           8
        .value_kind:     by_value
      - .offset:         104
        .size:           4
        .value_kind:     by_value
    .group_segment_fixed_size: 4096
    .kernarg_segment_align: 8
    .kernarg_segment_size: 108
    .language:       OpenCL C
    .language_version:
      - 2
      - 0
    .max_flat_workgroup_size: 256
    .name:           _ZL34rocblas_syrkx_herkx_general_kernelIldLi16ELi32ELi8ELb1ELb0ELc78ELc85EKddEviT_T0_PT8_S1_lS4_S1_lS2_PT9_S1_li
    .private_segment_fixed_size: 0
    .sgpr_count:     34
    .sgpr_spill_count: 0
    .symbol:         _ZL34rocblas_syrkx_herkx_general_kernelIldLi16ELi32ELi8ELb1ELb0ELc78ELc85EKddEviT_T0_PT8_S1_lS4_S1_lS2_PT9_S1_li.kd
    .uniform_work_group_size: 1
    .uses_dynamic_stack: false
    .vgpr_count:     36
    .vgpr_spill_count: 0
    .wavefront_size: 64
  - .args:
      - .offset:         0
        .size:           4
        .value_kind:     by_value
      - .offset:         8
        .size:           8
        .value_kind:     by_value
      - .offset:         16
        .size:           8
        .value_kind:     by_value
      - .address_space:  global
        .offset:         24
        .size:           8
        .value_kind:     global_buffer
      - .offset:         32
        .size:           8
        .value_kind:     by_value
      - .offset:         40
        .size:           8
        .value_kind:     by_value
      - .address_space:  global
        .offset:         48
        .size:           8
        .value_kind:     global_buffer
      - .offset:         56
        .size:           8
        .value_kind:     by_value
      - .offset:         64
        .size:           8
        .value_kind:     by_value
      - .offset:         72
        .size:           8
        .value_kind:     by_value
      - .address_space:  global
        .offset:         80
        .size:           8
        .value_kind:     global_buffer
      - .offset:         88
        .size:           8
        .value_kind:     by_value
      - .offset:         96
        .size:           8
        .value_kind:     by_value
      - .offset:         104
        .size:           4
        .value_kind:     by_value
    .group_segment_fixed_size: 4096
    .kernarg_segment_align: 8
    .kernarg_segment_size: 108
    .language:       OpenCL C
    .language_version:
      - 2
      - 0
    .max_flat_workgroup_size: 256
    .name:           _ZL34rocblas_syrkx_herkx_general_kernelIldLi16ELi32ELi8ELb0ELb0ELc84ELc76EKddEviT_T0_PT8_S1_lS4_S1_lS2_PT9_S1_li
    .private_segment_fixed_size: 0
    .sgpr_count:     34
    .sgpr_spill_count: 0
    .symbol:         _ZL34rocblas_syrkx_herkx_general_kernelIldLi16ELi32ELi8ELb0ELb0ELc84ELc76EKddEviT_T0_PT8_S1_lS4_S1_lS2_PT9_S1_li.kd
    .uniform_work_group_size: 1
    .uses_dynamic_stack: false
    .vgpr_count:     36
    .vgpr_spill_count: 0
    .wavefront_size: 64
  - .args:
      - .offset:         0
        .size:           4
        .value_kind:     by_value
      - .offset:         8
        .size:           8
        .value_kind:     by_value
      - .offset:         16
        .size:           8
        .value_kind:     by_value
      - .address_space:  global
        .offset:         24
        .size:           8
        .value_kind:     global_buffer
      - .offset:         32
        .size:           8
        .value_kind:     by_value
      - .offset:         40
        .size:           8
        .value_kind:     by_value
      - .address_space:  global
        .offset:         48
        .size:           8
        .value_kind:     global_buffer
      - .offset:         56
        .size:           8
        .value_kind:     by_value
      - .offset:         64
        .size:           8
        .value_kind:     by_value
      - .offset:         72
        .size:           8
        .value_kind:     by_value
      - .address_space:  global
        .offset:         80
        .size:           8
        .value_kind:     global_buffer
      - .offset:         88
        .size:           8
        .value_kind:     by_value
      - .offset:         96
        .size:           8
        .value_kind:     by_value
      - .offset:         104
        .size:           4
        .value_kind:     by_value
    .group_segment_fixed_size: 4096
    .kernarg_segment_align: 8
    .kernarg_segment_size: 108
    .language:       OpenCL C
    .language_version:
      - 2
      - 0
    .max_flat_workgroup_size: 256
    .name:           _ZL34rocblas_syrkx_herkx_general_kernelIldLi16ELi32ELi8ELb0ELb0ELc67ELc76EKddEviT_T0_PT8_S1_lS4_S1_lS2_PT9_S1_li
    .private_segment_fixed_size: 0
    .sgpr_count:     34
    .sgpr_spill_count: 0
    .symbol:         _ZL34rocblas_syrkx_herkx_general_kernelIldLi16ELi32ELi8ELb0ELb0ELc67ELc76EKddEviT_T0_PT8_S1_lS4_S1_lS2_PT9_S1_li.kd
    .uniform_work_group_size: 1
    .uses_dynamic_stack: false
    .vgpr_count:     36
    .vgpr_spill_count: 0
    .wavefront_size: 64
  - .args:
      - .offset:         0
        .size:           4
        .value_kind:     by_value
      - .offset:         8
        .size:           8
        .value_kind:     by_value
      - .offset:         16
        .size:           8
        .value_kind:     by_value
      - .address_space:  global
        .offset:         24
        .size:           8
        .value_kind:     global_buffer
      - .offset:         32
        .size:           8
        .value_kind:     by_value
      - .offset:         40
        .size:           8
        .value_kind:     by_value
      - .address_space:  global
        .offset:         48
        .size:           8
        .value_kind:     global_buffer
      - .offset:         56
        .size:           8
        .value_kind:     by_value
      - .offset:         64
        .size:           8
        .value_kind:     by_value
      - .offset:         72
        .size:           8
        .value_kind:     by_value
      - .address_space:  global
        .offset:         80
        .size:           8
        .value_kind:     global_buffer
      - .offset:         88
        .size:           8
        .value_kind:     by_value
      - .offset:         96
        .size:           8
        .value_kind:     by_value
      - .offset:         104
        .size:           4
        .value_kind:     by_value
    .group_segment_fixed_size: 4096
    .kernarg_segment_align: 8
    .kernarg_segment_size: 108
    .language:       OpenCL C
    .language_version:
      - 2
      - 0
    .max_flat_workgroup_size: 256
    .name:           _ZL34rocblas_syrkx_herkx_general_kernelIldLi16ELi32ELi8ELb0ELb0ELc78ELc76EKddEviT_T0_PT8_S1_lS4_S1_lS2_PT9_S1_li
    .private_segment_fixed_size: 0
    .sgpr_count:     34
    .sgpr_spill_count: 0
    .symbol:         _ZL34rocblas_syrkx_herkx_general_kernelIldLi16ELi32ELi8ELb0ELb0ELc78ELc76EKddEviT_T0_PT8_S1_lS4_S1_lS2_PT9_S1_li.kd
    .uniform_work_group_size: 1
    .uses_dynamic_stack: false
    .vgpr_count:     36
    .vgpr_spill_count: 0
    .wavefront_size: 64
  - .args:
      - .offset:         0
        .size:           4
        .value_kind:     by_value
      - .offset:         8
        .size:           8
        .value_kind:     by_value
      - .offset:         16
        .size:           8
        .value_kind:     by_value
      - .address_space:  global
        .offset:         24
        .size:           8
        .value_kind:     global_buffer
      - .offset:         32
        .size:           8
        .value_kind:     by_value
      - .offset:         40
        .size:           8
        .value_kind:     by_value
      - .address_space:  global
        .offset:         48
        .size:           8
        .value_kind:     global_buffer
      - .offset:         56
        .size:           8
        .value_kind:     by_value
      - .offset:         64
        .size:           8
        .value_kind:     by_value
      - .offset:         72
        .size:           8
        .value_kind:     by_value
      - .address_space:  global
        .offset:         80
        .size:           8
        .value_kind:     global_buffer
      - .offset:         88
        .size:           8
        .value_kind:     by_value
      - .offset:         96
        .size:           8
        .value_kind:     by_value
      - .offset:         104
        .size:           4
        .value_kind:     by_value
    .group_segment_fixed_size: 4096
    .kernarg_segment_align: 8
    .kernarg_segment_size: 108
    .language:       OpenCL C
    .language_version:
      - 2
      - 0
    .max_flat_workgroup_size: 256
    .name:           _ZL34rocblas_syrkx_herkx_general_kernelIldLi16ELi32ELi8ELb0ELb0ELc84ELc85EKddEviT_T0_PT8_S1_lS4_S1_lS2_PT9_S1_li
    .private_segment_fixed_size: 0
    .sgpr_count:     34
    .sgpr_spill_count: 0
    .symbol:         _ZL34rocblas_syrkx_herkx_general_kernelIldLi16ELi32ELi8ELb0ELb0ELc84ELc85EKddEviT_T0_PT8_S1_lS4_S1_lS2_PT9_S1_li.kd
    .uniform_work_group_size: 1
    .uses_dynamic_stack: false
    .vgpr_count:     36
    .vgpr_spill_count: 0
    .wavefront_size: 64
  - .args:
      - .offset:         0
        .size:           4
        .value_kind:     by_value
      - .offset:         8
        .size:           8
        .value_kind:     by_value
      - .offset:         16
        .size:           8
        .value_kind:     by_value
      - .address_space:  global
        .offset:         24
        .size:           8
        .value_kind:     global_buffer
      - .offset:         32
        .size:           8
        .value_kind:     by_value
      - .offset:         40
        .size:           8
        .value_kind:     by_value
      - .address_space:  global
        .offset:         48
        .size:           8
        .value_kind:     global_buffer
      - .offset:         56
        .size:           8
        .value_kind:     by_value
      - .offset:         64
        .size:           8
        .value_kind:     by_value
      - .offset:         72
        .size:           8
        .value_kind:     by_value
      - .address_space:  global
        .offset:         80
        .size:           8
        .value_kind:     global_buffer
      - .offset:         88
        .size:           8
        .value_kind:     by_value
      - .offset:         96
        .size:           8
        .value_kind:     by_value
      - .offset:         104
        .size:           4
        .value_kind:     by_value
    .group_segment_fixed_size: 4096
    .kernarg_segment_align: 8
    .kernarg_segment_size: 108
    .language:       OpenCL C
    .language_version:
      - 2
      - 0
    .max_flat_workgroup_size: 256
    .name:           _ZL34rocblas_syrkx_herkx_general_kernelIldLi16ELi32ELi8ELb0ELb0ELc67ELc85EKddEviT_T0_PT8_S1_lS4_S1_lS2_PT9_S1_li
    .private_segment_fixed_size: 0
    .sgpr_count:     34
    .sgpr_spill_count: 0
    .symbol:         _ZL34rocblas_syrkx_herkx_general_kernelIldLi16ELi32ELi8ELb0ELb0ELc67ELc85EKddEviT_T0_PT8_S1_lS4_S1_lS2_PT9_S1_li.kd
    .uniform_work_group_size: 1
    .uses_dynamic_stack: false
    .vgpr_count:     36
    .vgpr_spill_count: 0
    .wavefront_size: 64
  - .args:
      - .offset:         0
        .size:           4
        .value_kind:     by_value
      - .offset:         8
        .size:           8
        .value_kind:     by_value
      - .offset:         16
        .size:           8
        .value_kind:     by_value
      - .address_space:  global
        .offset:         24
        .size:           8
        .value_kind:     global_buffer
      - .offset:         32
        .size:           8
        .value_kind:     by_value
      - .offset:         40
        .size:           8
        .value_kind:     by_value
      - .address_space:  global
        .offset:         48
        .size:           8
        .value_kind:     global_buffer
      - .offset:         56
        .size:           8
        .value_kind:     by_value
      - .offset:         64
        .size:           8
        .value_kind:     by_value
      - .offset:         72
        .size:           8
        .value_kind:     by_value
      - .address_space:  global
        .offset:         80
        .size:           8
        .value_kind:     global_buffer
      - .offset:         88
        .size:           8
        .value_kind:     by_value
      - .offset:         96
        .size:           8
        .value_kind:     by_value
      - .offset:         104
        .size:           4
        .value_kind:     by_value
    .group_segment_fixed_size: 4096
    .kernarg_segment_align: 8
    .kernarg_segment_size: 108
    .language:       OpenCL C
    .language_version:
      - 2
      - 0
    .max_flat_workgroup_size: 256
    .name:           _ZL34rocblas_syrkx_herkx_general_kernelIldLi16ELi32ELi8ELb0ELb0ELc78ELc85EKddEviT_T0_PT8_S1_lS4_S1_lS2_PT9_S1_li
    .private_segment_fixed_size: 0
    .sgpr_count:     34
    .sgpr_spill_count: 0
    .symbol:         _ZL34rocblas_syrkx_herkx_general_kernelIldLi16ELi32ELi8ELb0ELb0ELc78ELc85EKddEviT_T0_PT8_S1_lS4_S1_lS2_PT9_S1_li.kd
    .uniform_work_group_size: 1
    .uses_dynamic_stack: false
    .vgpr_count:     36
    .vgpr_spill_count: 0
    .wavefront_size: 64
  - .args:
      - .offset:         0
        .size:           1
        .value_kind:     by_value
      - .offset:         4
        .size:           4
        .value_kind:     by_value
      - .offset:         8
        .size:           8
        .value_kind:     by_value
      - .offset:         16
        .size:           8
        .value_kind:     by_value
      - .offset:         24
        .size:           8
        .value_kind:     by_value
      - .address_space:  global
        .offset:         32
        .size:           8
        .value_kind:     global_buffer
      - .offset:         40
        .size:           8
        .value_kind:     by_value
      - .offset:         48
        .size:           8
        .value_kind:     by_value
      - .offset:         56
        .size:           4
        .value_kind:     by_value
      - .offset:         64
        .size:           4
        .value_kind:     hidden_block_count_x
      - .offset:         68
        .size:           4
        .value_kind:     hidden_block_count_y
      - .offset:         72
        .size:           4
        .value_kind:     hidden_block_count_z
      - .offset:         76
        .size:           2
        .value_kind:     hidden_group_size_x
      - .offset:         78
        .size:           2
        .value_kind:     hidden_group_size_y
      - .offset:         80
        .size:           2
        .value_kind:     hidden_group_size_z
      - .offset:         82
        .size:           2
        .value_kind:     hidden_remainder_x
      - .offset:         84
        .size:           2
        .value_kind:     hidden_remainder_y
      - .offset:         86
        .size:           2
        .value_kind:     hidden_remainder_z
      - .offset:         104
        .size:           8
        .value_kind:     hidden_global_offset_x
      - .offset:         112
        .size:           8
        .value_kind:     hidden_global_offset_y
      - .offset:         120
        .size:           8
        .value_kind:     hidden_global_offset_z
      - .offset:         128
        .size:           2
        .value_kind:     hidden_grid_dims
    .group_segment_fixed_size: 0
    .kernarg_segment_align: 8
    .kernarg_segment_size: 320
    .language:       OpenCL C
    .language_version:
      - 2
      - 0
    .max_flat_workgroup_size: 1024
    .name:           _ZL26rocblas_syr2k_scale_kernelIlLi128ELi8ELb0EddPdEvbiT_T3_T4_T5_S1_li
    .private_segment_fixed_size: 0
    .sgpr_count:     24
    .sgpr_spill_count: 0
    .symbol:         _ZL26rocblas_syr2k_scale_kernelIlLi128ELi8ELb0EddPdEvbiT_T3_T4_T5_S1_li.kd
    .uniform_work_group_size: 1
    .uses_dynamic_stack: false
    .vgpr_count:     5
    .vgpr_spill_count: 0
    .wavefront_size: 64
  - .args:
      - .offset:         0
        .size:           1
        .value_kind:     by_value
      - .offset:         4
        .size:           4
        .value_kind:     by_value
      - .offset:         8
        .size:           8
        .value_kind:     by_value
      - .address_space:  global
        .offset:         16
        .size:           8
        .value_kind:     global_buffer
      - .address_space:  global
        .offset:         24
        .size:           8
        .value_kind:     global_buffer
      - .offset:         32
        .size:           8
        .value_kind:     by_value
      - .offset:         40
        .size:           8
        .value_kind:     by_value
      - .address_space:  global
        .offset:         48
        .size:           8
        .value_kind:     global_buffer
      - .offset:         56
        .size:           8
        .value_kind:     by_value
      - .offset:         64
        .size:           8
        .value_kind:     by_value
      - .address_space:  global
        .offset:         72
        .size:           8
        .value_kind:     global_buffer
      - .offset:         80
        .size:           8
        .value_kind:     by_value
      - .offset:         88
        .size:           8
        .value_kind:     by_value
      - .offset:         96
        .size:           4
        .value_kind:     by_value
    .group_segment_fixed_size: 16384
    .kernarg_segment_align: 8
    .kernarg_segment_size: 100
    .language:       OpenCL C
    .language_version:
      - 2
      - 0
    .max_flat_workgroup_size: 1024
    .name:           _ZL26rocblas_syr2k_her2k_kernelIlLb0ELb0ELb0ELi32EPKdS1_PdEvbiT_T4_T5_S3_lS5_S3_lT6_S3_li
    .private_segment_fixed_size: 0
    .sgpr_count:     36
    .sgpr_spill_count: 0
    .symbol:         _ZL26rocblas_syr2k_her2k_kernelIlLb0ELb0ELb0ELi32EPKdS1_PdEvbiT_T4_T5_S3_lS5_S3_lT6_S3_li.kd
    .uniform_work_group_size: 1
    .uses_dynamic_stack: false
    .vgpr_count:     27
    .vgpr_spill_count: 0
    .wavefront_size: 64
  - .args:
      - .offset:         0
        .size:           1
        .value_kind:     by_value
      - .offset:         4
        .size:           4
        .value_kind:     by_value
      - .offset:         8
        .size:           8
        .value_kind:     by_value
      - .address_space:  global
        .offset:         16
        .size:           8
        .value_kind:     global_buffer
      - .address_space:  global
        .offset:         24
        .size:           8
        .value_kind:     global_buffer
      - .offset:         32
        .size:           8
        .value_kind:     by_value
      - .offset:         40
        .size:           8
        .value_kind:     by_value
      - .address_space:  global
        .offset:         48
        .size:           8
        .value_kind:     global_buffer
      - .offset:         56
        .size:           8
        .value_kind:     by_value
      - .offset:         64
        .size:           8
        .value_kind:     by_value
      - .address_space:  global
        .offset:         72
        .size:           8
        .value_kind:     global_buffer
      - .offset:         80
        .size:           8
        .value_kind:     by_value
      - .offset:         88
        .size:           8
        .value_kind:     by_value
      - .offset:         96
        .size:           4
        .value_kind:     by_value
    .group_segment_fixed_size: 16384
    .kernarg_segment_align: 8
    .kernarg_segment_size: 100
    .language:       OpenCL C
    .language_version:
      - 2
      - 0
    .max_flat_workgroup_size: 1024
    .name:           _ZL26rocblas_syr2k_her2k_kernelIlLb0ELb0ELb1ELi32EPKdS1_PdEvbiT_T4_T5_S3_lS5_S3_lT6_S3_li
    .private_segment_fixed_size: 0
    .sgpr_count:     36
    .sgpr_spill_count: 0
    .symbol:         _ZL26rocblas_syr2k_her2k_kernelIlLb0ELb0ELb1ELi32EPKdS1_PdEvbiT_T4_T5_S3_lS5_S3_lT6_S3_li.kd
    .uniform_work_group_size: 1
    .uses_dynamic_stack: false
    .vgpr_count:     27
    .vgpr_spill_count: 0
    .wavefront_size: 64
  - .args:
      - .offset:         0
        .size:           1
        .value_kind:     by_value
      - .offset:         4
        .size:           4
        .value_kind:     by_value
      - .offset:         8
        .size:           8
        .value_kind:     by_value
      - .offset:         16
        .size:           8
        .value_kind:     by_value
      - .address_space:  global
        .offset:         24
        .size:           8
        .value_kind:     global_buffer
      - .offset:         32
        .size:           8
        .value_kind:     by_value
      - .offset:         40
        .size:           8
        .value_kind:     by_value
      - .address_space:  global
        .offset:         48
        .size:           8
        .value_kind:     global_buffer
      - .offset:         56
        .size:           8
        .value_kind:     by_value
      - .offset:         64
        .size:           8
        .value_kind:     by_value
      - .address_space:  global
        .offset:         72
        .size:           8
        .value_kind:     global_buffer
      - .offset:         80
        .size:           8
        .value_kind:     by_value
      - .offset:         88
        .size:           8
        .value_kind:     by_value
      - .offset:         96
        .size:           4
        .value_kind:     by_value
    .group_segment_fixed_size: 16384
    .kernarg_segment_align: 8
    .kernarg_segment_size: 100
    .language:       OpenCL C
    .language_version:
      - 2
      - 0
    .max_flat_workgroup_size: 1024
    .name:           _ZL26rocblas_syr2k_her2k_kernelIlLb0ELb0ELb0ELi32E19rocblas_complex_numIfEPKS1_PS1_EvbiT_T4_T5_S5_lS7_S5_lT6_S5_li
    .private_segment_fixed_size: 0
    .sgpr_count:     36
    .sgpr_spill_count: 0
    .symbol:         _ZL26rocblas_syr2k_her2k_kernelIlLb0ELb0ELb0ELi32E19rocblas_complex_numIfEPKS1_PS1_EvbiT_T4_T5_S5_lS7_S5_lT6_S5_li.kd
    .uniform_work_group_size: 1
    .uses_dynamic_stack: false
    .vgpr_count:     32
    .vgpr_spill_count: 0
    .wavefront_size: 64
  - .args:
      - .offset:         0
        .size:           1
        .value_kind:     by_value
      - .offset:         4
        .size:           4
        .value_kind:     by_value
      - .offset:         8
        .size:           8
        .value_kind:     by_value
      - .offset:         16
        .size:           8
        .value_kind:     by_value
      - .address_space:  global
        .offset:         24
        .size:           8
        .value_kind:     global_buffer
      - .offset:         32
        .size:           8
        .value_kind:     by_value
      - .offset:         40
        .size:           8
        .value_kind:     by_value
      - .address_space:  global
        .offset:         48
        .size:           8
        .value_kind:     global_buffer
      - .offset:         56
        .size:           8
        .value_kind:     by_value
      - .offset:         64
        .size:           8
        .value_kind:     by_value
      - .address_space:  global
        .offset:         72
        .size:           8
        .value_kind:     global_buffer
      - .offset:         80
        .size:           8
        .value_kind:     by_value
      - .offset:         88
        .size:           8
        .value_kind:     by_value
      - .offset:         96
        .size:           4
        .value_kind:     by_value
    .group_segment_fixed_size: 16384
    .kernarg_segment_align: 8
    .kernarg_segment_size: 100
    .language:       OpenCL C
    .language_version:
      - 2
      - 0
    .max_flat_workgroup_size: 1024
    .name:           _ZL26rocblas_syr2k_her2k_kernelIlLb0ELb0ELb1ELi32E19rocblas_complex_numIfEPKS1_PS1_EvbiT_T4_T5_S5_lS7_S5_lT6_S5_li
    .private_segment_fixed_size: 0
    .sgpr_count:     36
    .sgpr_spill_count: 0
    .symbol:         _ZL26rocblas_syr2k_her2k_kernelIlLb0ELb0ELb1ELi32E19rocblas_complex_numIfEPKS1_PS1_EvbiT_T4_T5_S5_lS7_S5_lT6_S5_li.kd
    .uniform_work_group_size: 1
    .uses_dynamic_stack: false
    .vgpr_count:     36
    .vgpr_spill_count: 0
    .wavefront_size: 64
  - .args:
      - .offset:         0
        .size:           4
        .value_kind:     by_value
      - .offset:         8
        .size:           8
        .value_kind:     by_value
      - .address_space:  global
        .offset:         16
        .size:           8
        .value_kind:     global_buffer
      - .offset:         24
        .size:           8
        .value_kind:     by_value
      - .offset:         32
        .size:           8
        .value_kind:     by_value
      - .address_space:  global
        .offset:         40
        .size:           8
        .value_kind:     global_buffer
      - .offset:         48
        .size:           8
        .value_kind:     by_value
      - .offset:         56
        .size:           8
        .value_kind:     by_value
      - .address_space:  global
        .offset:         64
        .size:           8
        .value_kind:     global_buffer
      - .offset:         72
        .size:           8
        .value_kind:     by_value
      - .offset:         80
        .size:           8
        .value_kind:     by_value
      - .offset:         88
        .size:           4
        .value_kind:     by_value
    .group_segment_fixed_size: 4096
    .kernarg_segment_align: 8
    .kernarg_segment_size: 92
    .language:       OpenCL C
    .language_version:
      - 2
      - 0
    .max_flat_workgroup_size: 256
    .name:           _ZL37rocblas_syrkx_herkx_restricted_kernelIl19rocblas_complex_numIfELi16ELi32ELi8ELi1ELi1ELb0ELc84ELc76EKS1_S1_EviT_PT9_S3_lS5_S3_lPT10_S3_li
    .private_segment_fixed_size: 0
    .sgpr_count:     32
    .sgpr_spill_count: 0
    .symbol:         _ZL37rocblas_syrkx_herkx_restricted_kernelIl19rocblas_complex_numIfELi16ELi32ELi8ELi1ELi1ELb0ELc84ELc76EKS1_S1_EviT_PT9_S3_lS5_S3_lPT10_S3_li.kd
    .uniform_work_group_size: 1
    .uses_dynamic_stack: false
    .vgpr_count:     41
    .vgpr_spill_count: 0
    .wavefront_size: 64
  - .args:
      - .offset:         0
        .size:           4
        .value_kind:     by_value
      - .offset:         8
        .size:           8
        .value_kind:     by_value
      - .address_space:  global
        .offset:         16
        .size:           8
        .value_kind:     global_buffer
      - .offset:         24
        .size:           8
        .value_kind:     by_value
      - .offset:         32
        .size:           8
        .value_kind:     by_value
      - .address_space:  global
        .offset:         40
        .size:           8
        .value_kind:     global_buffer
      - .offset:         48
        .size:           8
        .value_kind:     by_value
      - .offset:         56
        .size:           8
        .value_kind:     by_value
      - .address_space:  global
        .offset:         64
        .size:           8
        .value_kind:     global_buffer
      - .offset:         72
        .size:           8
        .value_kind:     by_value
      - .offset:         80
        .size:           8
        .value_kind:     by_value
      - .offset:         88
        .size:           4
        .value_kind:     by_value
    .group_segment_fixed_size: 4096
    .kernarg_segment_align: 8
    .kernarg_segment_size: 92
    .language:       OpenCL C
    .language_version:
      - 2
      - 0
    .max_flat_workgroup_size: 256
    .name:           _ZL37rocblas_syrkx_herkx_restricted_kernelIl19rocblas_complex_numIfELi16ELi32ELi8ELi1ELi1ELb0ELc67ELc76EKS1_S1_EviT_PT9_S3_lS5_S3_lPT10_S3_li
    .private_segment_fixed_size: 0
    .sgpr_count:     32
    .sgpr_spill_count: 0
    .symbol:         _ZL37rocblas_syrkx_herkx_restricted_kernelIl19rocblas_complex_numIfELi16ELi32ELi8ELi1ELi1ELb0ELc67ELc76EKS1_S1_EviT_PT9_S3_lS5_S3_lPT10_S3_li.kd
    .uniform_work_group_size: 1
    .uses_dynamic_stack: false
    .vgpr_count:     41
    .vgpr_spill_count: 0
    .wavefront_size: 64
  - .args:
      - .offset:         0
        .size:           4
        .value_kind:     by_value
      - .offset:         8
        .size:           8
        .value_kind:     by_value
      - .address_space:  global
        .offset:         16
        .size:           8
        .value_kind:     global_buffer
      - .offset:         24
        .size:           8
        .value_kind:     by_value
      - .offset:         32
        .size:           8
        .value_kind:     by_value
      - .address_space:  global
        .offset:         40
        .size:           8
        .value_kind:     global_buffer
      - .offset:         48
        .size:           8
        .value_kind:     by_value
      - .offset:         56
        .size:           8
        .value_kind:     by_value
      - .address_space:  global
        .offset:         64
        .size:           8
        .value_kind:     global_buffer
      - .offset:         72
        .size:           8
        .value_kind:     by_value
      - .offset:         80
        .size:           8
        .value_kind:     by_value
      - .offset:         88
        .size:           4
        .value_kind:     by_value
    .group_segment_fixed_size: 4096
    .kernarg_segment_align: 8
    .kernarg_segment_size: 92
    .language:       OpenCL C
    .language_version:
      - 2
      - 0
    .max_flat_workgroup_size: 256
    .name:           _ZL37rocblas_syrkx_herkx_restricted_kernelIl19rocblas_complex_numIfELi16ELi32ELi8ELi1ELi1ELb0ELc78ELc76EKS1_S1_EviT_PT9_S3_lS5_S3_lPT10_S3_li
    .private_segment_fixed_size: 0
    .sgpr_count:     32
    .sgpr_spill_count: 0
    .symbol:         _ZL37rocblas_syrkx_herkx_restricted_kernelIl19rocblas_complex_numIfELi16ELi32ELi8ELi1ELi1ELb0ELc78ELc76EKS1_S1_EviT_PT9_S3_lS5_S3_lPT10_S3_li.kd
    .uniform_work_group_size: 1
    .uses_dynamic_stack: false
    .vgpr_count:     43
    .vgpr_spill_count: 0
    .wavefront_size: 64
  - .args:
      - .offset:         0
        .size:           4
        .value_kind:     by_value
      - .offset:         8
        .size:           8
        .value_kind:     by_value
      - .address_space:  global
        .offset:         16
        .size:           8
        .value_kind:     global_buffer
      - .offset:         24
        .size:           8
        .value_kind:     by_value
      - .offset:         32
        .size:           8
        .value_kind:     by_value
      - .address_space:  global
        .offset:         40
        .size:           8
        .value_kind:     global_buffer
      - .offset:         48
        .size:           8
        .value_kind:     by_value
      - .offset:         56
        .size:           8
        .value_kind:     by_value
      - .address_space:  global
        .offset:         64
        .size:           8
        .value_kind:     global_buffer
      - .offset:         72
        .size:           8
        .value_kind:     by_value
      - .offset:         80
        .size:           8
        .value_kind:     by_value
      - .offset:         88
        .size:           4
        .value_kind:     by_value
    .group_segment_fixed_size: 4096
    .kernarg_segment_align: 8
    .kernarg_segment_size: 92
    .language:       OpenCL C
    .language_version:
      - 2
      - 0
    .max_flat_workgroup_size: 256
    .name:           _ZL37rocblas_syrkx_herkx_restricted_kernelIl19rocblas_complex_numIfELi16ELi32ELi8ELi1ELi1ELb0ELc84ELc85EKS1_S1_EviT_PT9_S3_lS5_S3_lPT10_S3_li
    .private_segment_fixed_size: 0
    .sgpr_count:     32
    .sgpr_spill_count: 0
    .symbol:         _ZL37rocblas_syrkx_herkx_restricted_kernelIl19rocblas_complex_numIfELi16ELi32ELi8ELi1ELi1ELb0ELc84ELc85EKS1_S1_EviT_PT9_S3_lS5_S3_lPT10_S3_li.kd
    .uniform_work_group_size: 1
    .uses_dynamic_stack: false
    .vgpr_count:     41
    .vgpr_spill_count: 0
    .wavefront_size: 64
  - .args:
      - .offset:         0
        .size:           4
        .value_kind:     by_value
      - .offset:         8
        .size:           8
        .value_kind:     by_value
      - .address_space:  global
        .offset:         16
        .size:           8
        .value_kind:     global_buffer
      - .offset:         24
        .size:           8
        .value_kind:     by_value
      - .offset:         32
        .size:           8
        .value_kind:     by_value
      - .address_space:  global
        .offset:         40
        .size:           8
        .value_kind:     global_buffer
      - .offset:         48
        .size:           8
        .value_kind:     by_value
      - .offset:         56
        .size:           8
        .value_kind:     by_value
      - .address_space:  global
        .offset:         64
        .size:           8
        .value_kind:     global_buffer
      - .offset:         72
        .size:           8
        .value_kind:     by_value
      - .offset:         80
        .size:           8
        .value_kind:     by_value
      - .offset:         88
        .size:           4
        .value_kind:     by_value
    .group_segment_fixed_size: 4096
    .kernarg_segment_align: 8
    .kernarg_segment_size: 92
    .language:       OpenCL C
    .language_version:
      - 2
      - 0
    .max_flat_workgroup_size: 256
    .name:           _ZL37rocblas_syrkx_herkx_restricted_kernelIl19rocblas_complex_numIfELi16ELi32ELi8ELi1ELi1ELb0ELc67ELc85EKS1_S1_EviT_PT9_S3_lS5_S3_lPT10_S3_li
    .private_segment_fixed_size: 0
    .sgpr_count:     32
    .sgpr_spill_count: 0
    .symbol:         _ZL37rocblas_syrkx_herkx_restricted_kernelIl19rocblas_complex_numIfELi16ELi32ELi8ELi1ELi1ELb0ELc67ELc85EKS1_S1_EviT_PT9_S3_lS5_S3_lPT10_S3_li.kd
    .uniform_work_group_size: 1
    .uses_dynamic_stack: false
    .vgpr_count:     41
    .vgpr_spill_count: 0
    .wavefront_size: 64
  - .args:
      - .offset:         0
        .size:           4
        .value_kind:     by_value
      - .offset:         8
        .size:           8
        .value_kind:     by_value
      - .address_space:  global
        .offset:         16
        .size:           8
        .value_kind:     global_buffer
      - .offset:         24
        .size:           8
        .value_kind:     by_value
      - .offset:         32
        .size:           8
        .value_kind:     by_value
      - .address_space:  global
        .offset:         40
        .size:           8
        .value_kind:     global_buffer
      - .offset:         48
        .size:           8
        .value_kind:     by_value
      - .offset:         56
        .size:           8
        .value_kind:     by_value
      - .address_space:  global
        .offset:         64
        .size:           8
        .value_kind:     global_buffer
      - .offset:         72
        .size:           8
        .value_kind:     by_value
      - .offset:         80
        .size:           8
        .value_kind:     by_value
      - .offset:         88
        .size:           4
        .value_kind:     by_value
    .group_segment_fixed_size: 4096
    .kernarg_segment_align: 8
    .kernarg_segment_size: 92
    .language:       OpenCL C
    .language_version:
      - 2
      - 0
    .max_flat_workgroup_size: 256
    .name:           _ZL37rocblas_syrkx_herkx_restricted_kernelIl19rocblas_complex_numIfELi16ELi32ELi8ELi1ELi1ELb0ELc78ELc85EKS1_S1_EviT_PT9_S3_lS5_S3_lPT10_S3_li
    .private_segment_fixed_size: 0
    .sgpr_count:     32
    .sgpr_spill_count: 0
    .symbol:         _ZL37rocblas_syrkx_herkx_restricted_kernelIl19rocblas_complex_numIfELi16ELi32ELi8ELi1ELi1ELb0ELc78ELc85EKS1_S1_EviT_PT9_S3_lS5_S3_lPT10_S3_li.kd
    .uniform_work_group_size: 1
    .uses_dynamic_stack: false
    .vgpr_count:     43
    .vgpr_spill_count: 0
    .wavefront_size: 64
  - .args:
      - .offset:         0
        .size:           4
        .value_kind:     by_value
      - .offset:         8
        .size:           8
        .value_kind:     by_value
      - .address_space:  global
        .offset:         16
        .size:           8
        .value_kind:     global_buffer
      - .offset:         24
        .size:           8
        .value_kind:     by_value
      - .offset:         32
        .size:           8
        .value_kind:     by_value
      - .address_space:  global
        .offset:         40
        .size:           8
        .value_kind:     global_buffer
      - .offset:         48
        .size:           8
        .value_kind:     by_value
      - .offset:         56
        .size:           8
        .value_kind:     by_value
      - .address_space:  global
        .offset:         64
        .size:           8
        .value_kind:     global_buffer
      - .offset:         72
        .size:           8
        .value_kind:     by_value
      - .offset:         80
        .size:           8
        .value_kind:     by_value
      - .offset:         88
        .size:           4
        .value_kind:     by_value
    .group_segment_fixed_size: 4096
    .kernarg_segment_align: 8
    .kernarg_segment_size: 92
    .language:       OpenCL C
    .language_version:
      - 2
      - 0
    .max_flat_workgroup_size: 256
    .name:           _ZL37rocblas_syrkx_herkx_restricted_kernelIl19rocblas_complex_numIfELi16ELi32ELi8ELi1ELin1ELb0ELc84ELc76EKS1_S1_EviT_PT9_S3_lS5_S3_lPT10_S3_li
    .private_segment_fixed_size: 0
    .sgpr_count:     32
    .sgpr_spill_count: 0
    .symbol:         _ZL37rocblas_syrkx_herkx_restricted_kernelIl19rocblas_complex_numIfELi16ELi32ELi8ELi1ELin1ELb0ELc84ELc76EKS1_S1_EviT_PT9_S3_lS5_S3_lPT10_S3_li.kd
    .uniform_work_group_size: 1
    .uses_dynamic_stack: false
    .vgpr_count:     41
    .vgpr_spill_count: 0
    .wavefront_size: 64
  - .args:
      - .offset:         0
        .size:           4
        .value_kind:     by_value
      - .offset:         8
        .size:           8
        .value_kind:     by_value
      - .address_space:  global
        .offset:         16
        .size:           8
        .value_kind:     global_buffer
      - .offset:         24
        .size:           8
        .value_kind:     by_value
      - .offset:         32
        .size:           8
        .value_kind:     by_value
      - .address_space:  global
        .offset:         40
        .size:           8
        .value_kind:     global_buffer
      - .offset:         48
        .size:           8
        .value_kind:     by_value
      - .offset:         56
        .size:           8
        .value_kind:     by_value
      - .address_space:  global
        .offset:         64
        .size:           8
        .value_kind:     global_buffer
      - .offset:         72
        .size:           8
        .value_kind:     by_value
      - .offset:         80
        .size:           8
        .value_kind:     by_value
      - .offset:         88
        .size:           4
        .value_kind:     by_value
    .group_segment_fixed_size: 4096
    .kernarg_segment_align: 8
    .kernarg_segment_size: 92
    .language:       OpenCL C
    .language_version:
      - 2
      - 0
    .max_flat_workgroup_size: 256
    .name:           _ZL37rocblas_syrkx_herkx_restricted_kernelIl19rocblas_complex_numIfELi16ELi32ELi8ELi1ELin1ELb0ELc67ELc76EKS1_S1_EviT_PT9_S3_lS5_S3_lPT10_S3_li
    .private_segment_fixed_size: 0
    .sgpr_count:     32
    .sgpr_spill_count: 0
    .symbol:         _ZL37rocblas_syrkx_herkx_restricted_kernelIl19rocblas_complex_numIfELi16ELi32ELi8ELi1ELin1ELb0ELc67ELc76EKS1_S1_EviT_PT9_S3_lS5_S3_lPT10_S3_li.kd
    .uniform_work_group_size: 1
    .uses_dynamic_stack: false
    .vgpr_count:     41
    .vgpr_spill_count: 0
    .wavefront_size: 64
  - .args:
      - .offset:         0
        .size:           4
        .value_kind:     by_value
      - .offset:         8
        .size:           8
        .value_kind:     by_value
      - .address_space:  global
        .offset:         16
        .size:           8
        .value_kind:     global_buffer
      - .offset:         24
        .size:           8
        .value_kind:     by_value
      - .offset:         32
        .size:           8
        .value_kind:     by_value
      - .address_space:  global
        .offset:         40
        .size:           8
        .value_kind:     global_buffer
      - .offset:         48
        .size:           8
        .value_kind:     by_value
      - .offset:         56
        .size:           8
        .value_kind:     by_value
      - .address_space:  global
        .offset:         64
        .size:           8
        .value_kind:     global_buffer
      - .offset:         72
        .size:           8
        .value_kind:     by_value
      - .offset:         80
        .size:           8
        .value_kind:     by_value
      - .offset:         88
        .size:           4
        .value_kind:     by_value
    .group_segment_fixed_size: 4096
    .kernarg_segment_align: 8
    .kernarg_segment_size: 92
    .language:       OpenCL C
    .language_version:
      - 2
      - 0
    .max_flat_workgroup_size: 256
    .name:           _ZL37rocblas_syrkx_herkx_restricted_kernelIl19rocblas_complex_numIfELi16ELi32ELi8ELi1ELin1ELb0ELc78ELc76EKS1_S1_EviT_PT9_S3_lS5_S3_lPT10_S3_li
    .private_segment_fixed_size: 0
    .sgpr_count:     32
    .sgpr_spill_count: 0
    .symbol:         _ZL37rocblas_syrkx_herkx_restricted_kernelIl19rocblas_complex_numIfELi16ELi32ELi8ELi1ELin1ELb0ELc78ELc76EKS1_S1_EviT_PT9_S3_lS5_S3_lPT10_S3_li.kd
    .uniform_work_group_size: 1
    .uses_dynamic_stack: false
    .vgpr_count:     43
    .vgpr_spill_count: 0
    .wavefront_size: 64
  - .args:
      - .offset:         0
        .size:           4
        .value_kind:     by_value
      - .offset:         8
        .size:           8
        .value_kind:     by_value
      - .address_space:  global
        .offset:         16
        .size:           8
        .value_kind:     global_buffer
      - .offset:         24
        .size:           8
        .value_kind:     by_value
      - .offset:         32
        .size:           8
        .value_kind:     by_value
      - .address_space:  global
        .offset:         40
        .size:           8
        .value_kind:     global_buffer
      - .offset:         48
        .size:           8
        .value_kind:     by_value
      - .offset:         56
        .size:           8
        .value_kind:     by_value
      - .address_space:  global
        .offset:         64
        .size:           8
        .value_kind:     global_buffer
      - .offset:         72
        .size:           8
        .value_kind:     by_value
      - .offset:         80
        .size:           8
        .value_kind:     by_value
      - .offset:         88
        .size:           4
        .value_kind:     by_value
    .group_segment_fixed_size: 4096
    .kernarg_segment_align: 8
    .kernarg_segment_size: 92
    .language:       OpenCL C
    .language_version:
      - 2
      - 0
    .max_flat_workgroup_size: 256
    .name:           _ZL37rocblas_syrkx_herkx_restricted_kernelIl19rocblas_complex_numIfELi16ELi32ELi8ELi1ELin1ELb0ELc84ELc85EKS1_S1_EviT_PT9_S3_lS5_S3_lPT10_S3_li
    .private_segment_fixed_size: 0
    .sgpr_count:     32
    .sgpr_spill_count: 0
    .symbol:         _ZL37rocblas_syrkx_herkx_restricted_kernelIl19rocblas_complex_numIfELi16ELi32ELi8ELi1ELin1ELb0ELc84ELc85EKS1_S1_EviT_PT9_S3_lS5_S3_lPT10_S3_li.kd
    .uniform_work_group_size: 1
    .uses_dynamic_stack: false
    .vgpr_count:     41
    .vgpr_spill_count: 0
    .wavefront_size: 64
  - .args:
      - .offset:         0
        .size:           4
        .value_kind:     by_value
      - .offset:         8
        .size:           8
        .value_kind:     by_value
      - .address_space:  global
        .offset:         16
        .size:           8
        .value_kind:     global_buffer
      - .offset:         24
        .size:           8
        .value_kind:     by_value
      - .offset:         32
        .size:           8
        .value_kind:     by_value
      - .address_space:  global
        .offset:         40
        .size:           8
        .value_kind:     global_buffer
      - .offset:         48
        .size:           8
        .value_kind:     by_value
      - .offset:         56
        .size:           8
        .value_kind:     by_value
      - .address_space:  global
        .offset:         64
        .size:           8
        .value_kind:     global_buffer
      - .offset:         72
        .size:           8
        .value_kind:     by_value
      - .offset:         80
        .size:           8
        .value_kind:     by_value
      - .offset:         88
        .size:           4
        .value_kind:     by_value
    .group_segment_fixed_size: 4096
    .kernarg_segment_align: 8
    .kernarg_segment_size: 92
    .language:       OpenCL C
    .language_version:
      - 2
      - 0
    .max_flat_workgroup_size: 256
    .name:           _ZL37rocblas_syrkx_herkx_restricted_kernelIl19rocblas_complex_numIfELi16ELi32ELi8ELi1ELin1ELb0ELc67ELc85EKS1_S1_EviT_PT9_S3_lS5_S3_lPT10_S3_li
    .private_segment_fixed_size: 0
    .sgpr_count:     32
    .sgpr_spill_count: 0
    .symbol:         _ZL37rocblas_syrkx_herkx_restricted_kernelIl19rocblas_complex_numIfELi16ELi32ELi8ELi1ELin1ELb0ELc67ELc85EKS1_S1_EviT_PT9_S3_lS5_S3_lPT10_S3_li.kd
    .uniform_work_group_size: 1
    .uses_dynamic_stack: false
    .vgpr_count:     41
    .vgpr_spill_count: 0
    .wavefront_size: 64
  - .args:
      - .offset:         0
        .size:           4
        .value_kind:     by_value
      - .offset:         8
        .size:           8
        .value_kind:     by_value
      - .address_space:  global
        .offset:         16
        .size:           8
        .value_kind:     global_buffer
      - .offset:         24
        .size:           8
        .value_kind:     by_value
      - .offset:         32
        .size:           8
        .value_kind:     by_value
      - .address_space:  global
        .offset:         40
        .size:           8
        .value_kind:     global_buffer
      - .offset:         48
        .size:           8
        .value_kind:     by_value
      - .offset:         56
        .size:           8
        .value_kind:     by_value
      - .address_space:  global
        .offset:         64
        .size:           8
        .value_kind:     global_buffer
      - .offset:         72
        .size:           8
        .value_kind:     by_value
      - .offset:         80
        .size:           8
        .value_kind:     by_value
      - .offset:         88
        .size:           4
        .value_kind:     by_value
    .group_segment_fixed_size: 4096
    .kernarg_segment_align: 8
    .kernarg_segment_size: 92
    .language:       OpenCL C
    .language_version:
      - 2
      - 0
    .max_flat_workgroup_size: 256
    .name:           _ZL37rocblas_syrkx_herkx_restricted_kernelIl19rocblas_complex_numIfELi16ELi32ELi8ELi1ELin1ELb0ELc78ELc85EKS1_S1_EviT_PT9_S3_lS5_S3_lPT10_S3_li
    .private_segment_fixed_size: 0
    .sgpr_count:     32
    .sgpr_spill_count: 0
    .symbol:         _ZL37rocblas_syrkx_herkx_restricted_kernelIl19rocblas_complex_numIfELi16ELi32ELi8ELi1ELin1ELb0ELc78ELc85EKS1_S1_EviT_PT9_S3_lS5_S3_lPT10_S3_li.kd
    .uniform_work_group_size: 1
    .uses_dynamic_stack: false
    .vgpr_count:     43
    .vgpr_spill_count: 0
    .wavefront_size: 64
  - .args:
      - .offset:         0
        .size:           4
        .value_kind:     by_value
      - .offset:         8
        .size:           8
        .value_kind:     by_value
      - .address_space:  global
        .offset:         16
        .size:           8
        .value_kind:     global_buffer
      - .offset:         24
        .size:           8
        .value_kind:     by_value
      - .offset:         32
        .size:           8
        .value_kind:     by_value
      - .address_space:  global
        .offset:         40
        .size:           8
        .value_kind:     global_buffer
      - .offset:         48
        .size:           8
        .value_kind:     by_value
      - .offset:         56
        .size:           8
        .value_kind:     by_value
      - .address_space:  global
        .offset:         64
        .size:           8
        .value_kind:     global_buffer
      - .offset:         72
        .size:           8
        .value_kind:     by_value
      - .offset:         80
        .size:           8
        .value_kind:     by_value
      - .offset:         88
        .size:           4
        .value_kind:     by_value
    .group_segment_fixed_size: 4096
    .kernarg_segment_align: 8
    .kernarg_segment_size: 92
    .language:       OpenCL C
    .language_version:
      - 2
      - 0
    .max_flat_workgroup_size: 256
    .name:           _ZL37rocblas_syrkx_herkx_restricted_kernelIl19rocblas_complex_numIfELi16ELi32ELi8ELi1ELi0ELb0ELc84ELc76EKS1_S1_EviT_PT9_S3_lS5_S3_lPT10_S3_li
    .private_segment_fixed_size: 0
    .sgpr_count:     32
    .sgpr_spill_count: 0
    .symbol:         _ZL37rocblas_syrkx_herkx_restricted_kernelIl19rocblas_complex_numIfELi16ELi32ELi8ELi1ELi0ELb0ELc84ELc76EKS1_S1_EviT_PT9_S3_lS5_S3_lPT10_S3_li.kd
    .uniform_work_group_size: 1
    .uses_dynamic_stack: false
    .vgpr_count:     41
    .vgpr_spill_count: 0
    .wavefront_size: 64
  - .args:
      - .offset:         0
        .size:           4
        .value_kind:     by_value
      - .offset:         8
        .size:           8
        .value_kind:     by_value
      - .address_space:  global
        .offset:         16
        .size:           8
        .value_kind:     global_buffer
      - .offset:         24
        .size:           8
        .value_kind:     by_value
      - .offset:         32
        .size:           8
        .value_kind:     by_value
      - .address_space:  global
        .offset:         40
        .size:           8
        .value_kind:     global_buffer
      - .offset:         48
        .size:           8
        .value_kind:     by_value
      - .offset:         56
        .size:           8
        .value_kind:     by_value
      - .address_space:  global
        .offset:         64
        .size:           8
        .value_kind:     global_buffer
      - .offset:         72
        .size:           8
        .value_kind:     by_value
      - .offset:         80
        .size:           8
        .value_kind:     by_value
      - .offset:         88
        .size:           4
        .value_kind:     by_value
    .group_segment_fixed_size: 4096
    .kernarg_segment_align: 8
    .kernarg_segment_size: 92
    .language:       OpenCL C
    .language_version:
      - 2
      - 0
    .max_flat_workgroup_size: 256
    .name:           _ZL37rocblas_syrkx_herkx_restricted_kernelIl19rocblas_complex_numIfELi16ELi32ELi8ELi1ELi0ELb0ELc67ELc76EKS1_S1_EviT_PT9_S3_lS5_S3_lPT10_S3_li
    .private_segment_fixed_size: 0
    .sgpr_count:     32
    .sgpr_spill_count: 0
    .symbol:         _ZL37rocblas_syrkx_herkx_restricted_kernelIl19rocblas_complex_numIfELi16ELi32ELi8ELi1ELi0ELb0ELc67ELc76EKS1_S1_EviT_PT9_S3_lS5_S3_lPT10_S3_li.kd
    .uniform_work_group_size: 1
    .uses_dynamic_stack: false
    .vgpr_count:     41
    .vgpr_spill_count: 0
    .wavefront_size: 64
  - .args:
      - .offset:         0
        .size:           4
        .value_kind:     by_value
      - .offset:         8
        .size:           8
        .value_kind:     by_value
      - .address_space:  global
        .offset:         16
        .size:           8
        .value_kind:     global_buffer
      - .offset:         24
        .size:           8
        .value_kind:     by_value
      - .offset:         32
        .size:           8
        .value_kind:     by_value
      - .address_space:  global
        .offset:         40
        .size:           8
        .value_kind:     global_buffer
      - .offset:         48
        .size:           8
        .value_kind:     by_value
      - .offset:         56
        .size:           8
        .value_kind:     by_value
      - .address_space:  global
        .offset:         64
        .size:           8
        .value_kind:     global_buffer
      - .offset:         72
        .size:           8
        .value_kind:     by_value
      - .offset:         80
        .size:           8
        .value_kind:     by_value
      - .offset:         88
        .size:           4
        .value_kind:     by_value
    .group_segment_fixed_size: 4096
    .kernarg_segment_align: 8
    .kernarg_segment_size: 92
    .language:       OpenCL C
    .language_version:
      - 2
      - 0
    .max_flat_workgroup_size: 256
    .name:           _ZL37rocblas_syrkx_herkx_restricted_kernelIl19rocblas_complex_numIfELi16ELi32ELi8ELi1ELi0ELb0ELc78ELc76EKS1_S1_EviT_PT9_S3_lS5_S3_lPT10_S3_li
    .private_segment_fixed_size: 0
    .sgpr_count:     32
    .sgpr_spill_count: 0
    .symbol:         _ZL37rocblas_syrkx_herkx_restricted_kernelIl19rocblas_complex_numIfELi16ELi32ELi8ELi1ELi0ELb0ELc78ELc76EKS1_S1_EviT_PT9_S3_lS5_S3_lPT10_S3_li.kd
    .uniform_work_group_size: 1
    .uses_dynamic_stack: false
    .vgpr_count:     43
    .vgpr_spill_count: 0
    .wavefront_size: 64
  - .args:
      - .offset:         0
        .size:           4
        .value_kind:     by_value
      - .offset:         8
        .size:           8
        .value_kind:     by_value
      - .address_space:  global
        .offset:         16
        .size:           8
        .value_kind:     global_buffer
      - .offset:         24
        .size:           8
        .value_kind:     by_value
      - .offset:         32
        .size:           8
        .value_kind:     by_value
      - .address_space:  global
        .offset:         40
        .size:           8
        .value_kind:     global_buffer
      - .offset:         48
        .size:           8
        .value_kind:     by_value
      - .offset:         56
        .size:           8
        .value_kind:     by_value
      - .address_space:  global
        .offset:         64
        .size:           8
        .value_kind:     global_buffer
      - .offset:         72
        .size:           8
        .value_kind:     by_value
      - .offset:         80
        .size:           8
        .value_kind:     by_value
      - .offset:         88
        .size:           4
        .value_kind:     by_value
    .group_segment_fixed_size: 4096
    .kernarg_segment_align: 8
    .kernarg_segment_size: 92
    .language:       OpenCL C
    .language_version:
      - 2
      - 0
    .max_flat_workgroup_size: 256
    .name:           _ZL37rocblas_syrkx_herkx_restricted_kernelIl19rocblas_complex_numIfELi16ELi32ELi8ELi1ELi0ELb0ELc84ELc85EKS1_S1_EviT_PT9_S3_lS5_S3_lPT10_S3_li
    .private_segment_fixed_size: 0
    .sgpr_count:     32
    .sgpr_spill_count: 0
    .symbol:         _ZL37rocblas_syrkx_herkx_restricted_kernelIl19rocblas_complex_numIfELi16ELi32ELi8ELi1ELi0ELb0ELc84ELc85EKS1_S1_EviT_PT9_S3_lS5_S3_lPT10_S3_li.kd
    .uniform_work_group_size: 1
    .uses_dynamic_stack: false
    .vgpr_count:     41
    .vgpr_spill_count: 0
    .wavefront_size: 64
  - .args:
      - .offset:         0
        .size:           4
        .value_kind:     by_value
      - .offset:         8
        .size:           8
        .value_kind:     by_value
      - .address_space:  global
        .offset:         16
        .size:           8
        .value_kind:     global_buffer
      - .offset:         24
        .size:           8
        .value_kind:     by_value
      - .offset:         32
        .size:           8
        .value_kind:     by_value
      - .address_space:  global
        .offset:         40
        .size:           8
        .value_kind:     global_buffer
      - .offset:         48
        .size:           8
        .value_kind:     by_value
      - .offset:         56
        .size:           8
        .value_kind:     by_value
      - .address_space:  global
        .offset:         64
        .size:           8
        .value_kind:     global_buffer
      - .offset:         72
        .size:           8
        .value_kind:     by_value
      - .offset:         80
        .size:           8
        .value_kind:     by_value
      - .offset:         88
        .size:           4
        .value_kind:     by_value
    .group_segment_fixed_size: 4096
    .kernarg_segment_align: 8
    .kernarg_segment_size: 92
    .language:       OpenCL C
    .language_version:
      - 2
      - 0
    .max_flat_workgroup_size: 256
    .name:           _ZL37rocblas_syrkx_herkx_restricted_kernelIl19rocblas_complex_numIfELi16ELi32ELi8ELi1ELi0ELb0ELc67ELc85EKS1_S1_EviT_PT9_S3_lS5_S3_lPT10_S3_li
    .private_segment_fixed_size: 0
    .sgpr_count:     32
    .sgpr_spill_count: 0
    .symbol:         _ZL37rocblas_syrkx_herkx_restricted_kernelIl19rocblas_complex_numIfELi16ELi32ELi8ELi1ELi0ELb0ELc67ELc85EKS1_S1_EviT_PT9_S3_lS5_S3_lPT10_S3_li.kd
    .uniform_work_group_size: 1
    .uses_dynamic_stack: false
    .vgpr_count:     41
    .vgpr_spill_count: 0
    .wavefront_size: 64
  - .args:
      - .offset:         0
        .size:           4
        .value_kind:     by_value
      - .offset:         8
        .size:           8
        .value_kind:     by_value
      - .address_space:  global
        .offset:         16
        .size:           8
        .value_kind:     global_buffer
      - .offset:         24
        .size:           8
        .value_kind:     by_value
      - .offset:         32
        .size:           8
        .value_kind:     by_value
      - .address_space:  global
        .offset:         40
        .size:           8
        .value_kind:     global_buffer
      - .offset:         48
        .size:           8
        .value_kind:     by_value
      - .offset:         56
        .size:           8
        .value_kind:     by_value
      - .address_space:  global
        .offset:         64
        .size:           8
        .value_kind:     global_buffer
      - .offset:         72
        .size:           8
        .value_kind:     by_value
      - .offset:         80
        .size:           8
        .value_kind:     by_value
      - .offset:         88
        .size:           4
        .value_kind:     by_value
    .group_segment_fixed_size: 4096
    .kernarg_segment_align: 8
    .kernarg_segment_size: 92
    .language:       OpenCL C
    .language_version:
      - 2
      - 0
    .max_flat_workgroup_size: 256
    .name:           _ZL37rocblas_syrkx_herkx_restricted_kernelIl19rocblas_complex_numIfELi16ELi32ELi8ELi1ELi0ELb0ELc78ELc85EKS1_S1_EviT_PT9_S3_lS5_S3_lPT10_S3_li
    .private_segment_fixed_size: 0
    .sgpr_count:     32
    .sgpr_spill_count: 0
    .symbol:         _ZL37rocblas_syrkx_herkx_restricted_kernelIl19rocblas_complex_numIfELi16ELi32ELi8ELi1ELi0ELb0ELc78ELc85EKS1_S1_EviT_PT9_S3_lS5_S3_lPT10_S3_li.kd
    .uniform_work_group_size: 1
    .uses_dynamic_stack: false
    .vgpr_count:     43
    .vgpr_spill_count: 0
    .wavefront_size: 64
  - .args:
      - .offset:         0
        .size:           4
        .value_kind:     by_value
      - .offset:         8
        .size:           8
        .value_kind:     by_value
      - .address_space:  global
        .offset:         16
        .size:           8
        .value_kind:     global_buffer
      - .offset:         24
        .size:           8
        .value_kind:     by_value
      - .offset:         32
        .size:           8
        .value_kind:     by_value
      - .address_space:  global
        .offset:         40
        .size:           8
        .value_kind:     global_buffer
      - .offset:         48
        .size:           8
        .value_kind:     by_value
      - .offset:         56
        .size:           8
        .value_kind:     by_value
      - .address_space:  global
        .offset:         64
        .size:           8
        .value_kind:     global_buffer
      - .offset:         72
        .size:           8
        .value_kind:     by_value
      - .offset:         80
        .size:           8
        .value_kind:     by_value
      - .offset:         88
        .size:           4
        .value_kind:     by_value
    .group_segment_fixed_size: 4096
    .kernarg_segment_align: 8
    .kernarg_segment_size: 92
    .language:       OpenCL C
    .language_version:
      - 2
      - 0
    .max_flat_workgroup_size: 256
    .name:           _ZL37rocblas_syrkx_herkx_restricted_kernelIl19rocblas_complex_numIfELi16ELi32ELi8ELin1ELi0ELb0ELc84ELc76EKS1_S1_EviT_PT9_S3_lS5_S3_lPT10_S3_li
    .private_segment_fixed_size: 0
    .sgpr_count:     32
    .sgpr_spill_count: 0
    .symbol:         _ZL37rocblas_syrkx_herkx_restricted_kernelIl19rocblas_complex_numIfELi16ELi32ELi8ELin1ELi0ELb0ELc84ELc76EKS1_S1_EviT_PT9_S3_lS5_S3_lPT10_S3_li.kd
    .uniform_work_group_size: 1
    .uses_dynamic_stack: false
    .vgpr_count:     41
    .vgpr_spill_count: 0
    .wavefront_size: 64
  - .args:
      - .offset:         0
        .size:           4
        .value_kind:     by_value
      - .offset:         8
        .size:           8
        .value_kind:     by_value
      - .address_space:  global
        .offset:         16
        .size:           8
        .value_kind:     global_buffer
      - .offset:         24
        .size:           8
        .value_kind:     by_value
      - .offset:         32
        .size:           8
        .value_kind:     by_value
      - .address_space:  global
        .offset:         40
        .size:           8
        .value_kind:     global_buffer
      - .offset:         48
        .size:           8
        .value_kind:     by_value
      - .offset:         56
        .size:           8
        .value_kind:     by_value
      - .address_space:  global
        .offset:         64
        .size:           8
        .value_kind:     global_buffer
      - .offset:         72
        .size:           8
        .value_kind:     by_value
      - .offset:         80
        .size:           8
        .value_kind:     by_value
      - .offset:         88
        .size:           4
        .value_kind:     by_value
    .group_segment_fixed_size: 4096
    .kernarg_segment_align: 8
    .kernarg_segment_size: 92
    .language:       OpenCL C
    .language_version:
      - 2
      - 0
    .max_flat_workgroup_size: 256
    .name:           _ZL37rocblas_syrkx_herkx_restricted_kernelIl19rocblas_complex_numIfELi16ELi32ELi8ELin1ELi0ELb0ELc67ELc76EKS1_S1_EviT_PT9_S3_lS5_S3_lPT10_S3_li
    .private_segment_fixed_size: 0
    .sgpr_count:     32
    .sgpr_spill_count: 0
    .symbol:         _ZL37rocblas_syrkx_herkx_restricted_kernelIl19rocblas_complex_numIfELi16ELi32ELi8ELin1ELi0ELb0ELc67ELc76EKS1_S1_EviT_PT9_S3_lS5_S3_lPT10_S3_li.kd
    .uniform_work_group_size: 1
    .uses_dynamic_stack: false
    .vgpr_count:     41
    .vgpr_spill_count: 0
    .wavefront_size: 64
  - .args:
      - .offset:         0
        .size:           4
        .value_kind:     by_value
      - .offset:         8
        .size:           8
        .value_kind:     by_value
      - .address_space:  global
        .offset:         16
        .size:           8
        .value_kind:     global_buffer
      - .offset:         24
        .size:           8
        .value_kind:     by_value
      - .offset:         32
        .size:           8
        .value_kind:     by_value
      - .address_space:  global
        .offset:         40
        .size:           8
        .value_kind:     global_buffer
      - .offset:         48
        .size:           8
        .value_kind:     by_value
      - .offset:         56
        .size:           8
        .value_kind:     by_value
      - .address_space:  global
        .offset:         64
        .size:           8
        .value_kind:     global_buffer
      - .offset:         72
        .size:           8
        .value_kind:     by_value
      - .offset:         80
        .size:           8
        .value_kind:     by_value
      - .offset:         88
        .size:           4
        .value_kind:     by_value
    .group_segment_fixed_size: 4096
    .kernarg_segment_align: 8
    .kernarg_segment_size: 92
    .language:       OpenCL C
    .language_version:
      - 2
      - 0
    .max_flat_workgroup_size: 256
    .name:           _ZL37rocblas_syrkx_herkx_restricted_kernelIl19rocblas_complex_numIfELi16ELi32ELi8ELin1ELi0ELb0ELc78ELc76EKS1_S1_EviT_PT9_S3_lS5_S3_lPT10_S3_li
    .private_segment_fixed_size: 0
    .sgpr_count:     32
    .sgpr_spill_count: 0
    .symbol:         _ZL37rocblas_syrkx_herkx_restricted_kernelIl19rocblas_complex_numIfELi16ELi32ELi8ELin1ELi0ELb0ELc78ELc76EKS1_S1_EviT_PT9_S3_lS5_S3_lPT10_S3_li.kd
    .uniform_work_group_size: 1
    .uses_dynamic_stack: false
    .vgpr_count:     43
    .vgpr_spill_count: 0
    .wavefront_size: 64
  - .args:
      - .offset:         0
        .size:           4
        .value_kind:     by_value
      - .offset:         8
        .size:           8
        .value_kind:     by_value
      - .address_space:  global
        .offset:         16
        .size:           8
        .value_kind:     global_buffer
      - .offset:         24
        .size:           8
        .value_kind:     by_value
      - .offset:         32
        .size:           8
        .value_kind:     by_value
      - .address_space:  global
        .offset:         40
        .size:           8
        .value_kind:     global_buffer
      - .offset:         48
        .size:           8
        .value_kind:     by_value
      - .offset:         56
        .size:           8
        .value_kind:     by_value
      - .address_space:  global
        .offset:         64
        .size:           8
        .value_kind:     global_buffer
      - .offset:         72
        .size:           8
        .value_kind:     by_value
      - .offset:         80
        .size:           8
        .value_kind:     by_value
      - .offset:         88
        .size:           4
        .value_kind:     by_value
    .group_segment_fixed_size: 4096
    .kernarg_segment_align: 8
    .kernarg_segment_size: 92
    .language:       OpenCL C
    .language_version:
      - 2
      - 0
    .max_flat_workgroup_size: 256
    .name:           _ZL37rocblas_syrkx_herkx_restricted_kernelIl19rocblas_complex_numIfELi16ELi32ELi8ELin1ELi0ELb0ELc84ELc85EKS1_S1_EviT_PT9_S3_lS5_S3_lPT10_S3_li
    .private_segment_fixed_size: 0
    .sgpr_count:     32
    .sgpr_spill_count: 0
    .symbol:         _ZL37rocblas_syrkx_herkx_restricted_kernelIl19rocblas_complex_numIfELi16ELi32ELi8ELin1ELi0ELb0ELc84ELc85EKS1_S1_EviT_PT9_S3_lS5_S3_lPT10_S3_li.kd
    .uniform_work_group_size: 1
    .uses_dynamic_stack: false
    .vgpr_count:     41
    .vgpr_spill_count: 0
    .wavefront_size: 64
  - .args:
      - .offset:         0
        .size:           4
        .value_kind:     by_value
      - .offset:         8
        .size:           8
        .value_kind:     by_value
      - .address_space:  global
        .offset:         16
        .size:           8
        .value_kind:     global_buffer
      - .offset:         24
        .size:           8
        .value_kind:     by_value
      - .offset:         32
        .size:           8
        .value_kind:     by_value
      - .address_space:  global
        .offset:         40
        .size:           8
        .value_kind:     global_buffer
      - .offset:         48
        .size:           8
        .value_kind:     by_value
      - .offset:         56
        .size:           8
        .value_kind:     by_value
      - .address_space:  global
        .offset:         64
        .size:           8
        .value_kind:     global_buffer
      - .offset:         72
        .size:           8
        .value_kind:     by_value
      - .offset:         80
        .size:           8
        .value_kind:     by_value
      - .offset:         88
        .size:           4
        .value_kind:     by_value
    .group_segment_fixed_size: 4096
    .kernarg_segment_align: 8
    .kernarg_segment_size: 92
    .language:       OpenCL C
    .language_version:
      - 2
      - 0
    .max_flat_workgroup_size: 256
    .name:           _ZL37rocblas_syrkx_herkx_restricted_kernelIl19rocblas_complex_numIfELi16ELi32ELi8ELin1ELi0ELb0ELc67ELc85EKS1_S1_EviT_PT9_S3_lS5_S3_lPT10_S3_li
    .private_segment_fixed_size: 0
    .sgpr_count:     32
    .sgpr_spill_count: 0
    .symbol:         _ZL37rocblas_syrkx_herkx_restricted_kernelIl19rocblas_complex_numIfELi16ELi32ELi8ELin1ELi0ELb0ELc67ELc85EKS1_S1_EviT_PT9_S3_lS5_S3_lPT10_S3_li.kd
    .uniform_work_group_size: 1
    .uses_dynamic_stack: false
    .vgpr_count:     41
    .vgpr_spill_count: 0
    .wavefront_size: 64
  - .args:
      - .offset:         0
        .size:           4
        .value_kind:     by_value
      - .offset:         8
        .size:           8
        .value_kind:     by_value
      - .address_space:  global
        .offset:         16
        .size:           8
        .value_kind:     global_buffer
      - .offset:         24
        .size:           8
        .value_kind:     by_value
      - .offset:         32
        .size:           8
        .value_kind:     by_value
      - .address_space:  global
        .offset:         40
        .size:           8
        .value_kind:     global_buffer
      - .offset:         48
        .size:           8
        .value_kind:     by_value
      - .offset:         56
        .size:           8
        .value_kind:     by_value
      - .address_space:  global
        .offset:         64
        .size:           8
        .value_kind:     global_buffer
      - .offset:         72
        .size:           8
        .value_kind:     by_value
      - .offset:         80
        .size:           8
        .value_kind:     by_value
      - .offset:         88
        .size:           4
        .value_kind:     by_value
    .group_segment_fixed_size: 4096
    .kernarg_segment_align: 8
    .kernarg_segment_size: 92
    .language:       OpenCL C
    .language_version:
      - 2
      - 0
    .max_flat_workgroup_size: 256
    .name:           _ZL37rocblas_syrkx_herkx_restricted_kernelIl19rocblas_complex_numIfELi16ELi32ELi8ELin1ELi0ELb0ELc78ELc85EKS1_S1_EviT_PT9_S3_lS5_S3_lPT10_S3_li
    .private_segment_fixed_size: 0
    .sgpr_count:     32
    .sgpr_spill_count: 0
    .symbol:         _ZL37rocblas_syrkx_herkx_restricted_kernelIl19rocblas_complex_numIfELi16ELi32ELi8ELin1ELi0ELb0ELc78ELc85EKS1_S1_EviT_PT9_S3_lS5_S3_lPT10_S3_li.kd
    .uniform_work_group_size: 1
    .uses_dynamic_stack: false
    .vgpr_count:     43
    .vgpr_spill_count: 0
    .wavefront_size: 64
  - .args:
      - .offset:         0
        .size:           4
        .value_kind:     by_value
      - .offset:         8
        .size:           8
        .value_kind:     by_value
      - .offset:         16
        .size:           8
        .value_kind:     by_value
      - .address_space:  global
        .offset:         24
        .size:           8
        .value_kind:     global_buffer
      - .offset:         32
        .size:           8
        .value_kind:     by_value
      - .offset:         40
        .size:           8
        .value_kind:     by_value
      - .address_space:  global
        .offset:         48
        .size:           8
        .value_kind:     global_buffer
      - .offset:         56
        .size:           8
        .value_kind:     by_value
      - .offset:         64
        .size:           8
        .value_kind:     by_value
      - .offset:         72
        .size:           8
        .value_kind:     by_value
      - .address_space:  global
        .offset:         80
        .size:           8
        .value_kind:     global_buffer
      - .offset:         88
        .size:           8
        .value_kind:     by_value
      - .offset:         96
        .size:           8
        .value_kind:     by_value
      - .offset:         104
        .size:           4
        .value_kind:     by_value
    .group_segment_fixed_size: 4096
    .kernarg_segment_align: 8
    .kernarg_segment_size: 108
    .language:       OpenCL C
    .language_version:
      - 2
      - 0
    .max_flat_workgroup_size: 256
    .name:           _ZL37rocblas_syrkx_herkx_restricted_kernelIl19rocblas_complex_numIfELi16ELi32ELi8ELb1ELb0ELc84ELc76EKS1_S1_EviT_T0_PT8_S3_lS6_S3_lS4_PT9_S3_li
    .private_segment_fixed_size: 0
    .sgpr_count:     32
    .sgpr_spill_count: 0
    .symbol:         _ZL37rocblas_syrkx_herkx_restricted_kernelIl19rocblas_complex_numIfELi16ELi32ELi8ELb1ELb0ELc84ELc76EKS1_S1_EviT_T0_PT8_S3_lS6_S3_lS4_PT9_S3_li.kd
    .uniform_work_group_size: 1
    .uses_dynamic_stack: false
    .vgpr_count:     41
    .vgpr_spill_count: 0
    .wavefront_size: 64
  - .args:
      - .offset:         0
        .size:           4
        .value_kind:     by_value
      - .offset:         8
        .size:           8
        .value_kind:     by_value
      - .offset:         16
        .size:           8
        .value_kind:     by_value
      - .address_space:  global
        .offset:         24
        .size:           8
        .value_kind:     global_buffer
      - .offset:         32
        .size:           8
        .value_kind:     by_value
      - .offset:         40
        .size:           8
        .value_kind:     by_value
      - .address_space:  global
        .offset:         48
        .size:           8
        .value_kind:     global_buffer
      - .offset:         56
        .size:           8
        .value_kind:     by_value
      - .offset:         64
        .size:           8
        .value_kind:     by_value
      - .offset:         72
        .size:           8
        .value_kind:     by_value
      - .address_space:  global
        .offset:         80
        .size:           8
        .value_kind:     global_buffer
      - .offset:         88
        .size:           8
        .value_kind:     by_value
      - .offset:         96
        .size:           8
        .value_kind:     by_value
      - .offset:         104
        .size:           4
        .value_kind:     by_value
    .group_segment_fixed_size: 4096
    .kernarg_segment_align: 8
    .kernarg_segment_size: 108
    .language:       OpenCL C
    .language_version:
      - 2
      - 0
    .max_flat_workgroup_size: 256
    .name:           _ZL37rocblas_syrkx_herkx_restricted_kernelIl19rocblas_complex_numIfELi16ELi32ELi8ELb1ELb0ELc67ELc76EKS1_S1_EviT_T0_PT8_S3_lS6_S3_lS4_PT9_S3_li
    .private_segment_fixed_size: 0
    .sgpr_count:     32
    .sgpr_spill_count: 0
    .symbol:         _ZL37rocblas_syrkx_herkx_restricted_kernelIl19rocblas_complex_numIfELi16ELi32ELi8ELb1ELb0ELc67ELc76EKS1_S1_EviT_T0_PT8_S3_lS6_S3_lS4_PT9_S3_li.kd
    .uniform_work_group_size: 1
    .uses_dynamic_stack: false
    .vgpr_count:     41
    .vgpr_spill_count: 0
    .wavefront_size: 64
  - .args:
      - .offset:         0
        .size:           4
        .value_kind:     by_value
      - .offset:         8
        .size:           8
        .value_kind:     by_value
      - .offset:         16
        .size:           8
        .value_kind:     by_value
      - .address_space:  global
        .offset:         24
        .size:           8
        .value_kind:     global_buffer
      - .offset:         32
        .size:           8
        .value_kind:     by_value
      - .offset:         40
        .size:           8
        .value_kind:     by_value
      - .address_space:  global
        .offset:         48
        .size:           8
        .value_kind:     global_buffer
      - .offset:         56
        .size:           8
        .value_kind:     by_value
      - .offset:         64
        .size:           8
        .value_kind:     by_value
      - .offset:         72
        .size:           8
        .value_kind:     by_value
      - .address_space:  global
        .offset:         80
        .size:           8
        .value_kind:     global_buffer
      - .offset:         88
        .size:           8
        .value_kind:     by_value
      - .offset:         96
        .size:           8
        .value_kind:     by_value
      - .offset:         104
        .size:           4
        .value_kind:     by_value
    .group_segment_fixed_size: 4096
    .kernarg_segment_align: 8
    .kernarg_segment_size: 108
    .language:       OpenCL C
    .language_version:
      - 2
      - 0
    .max_flat_workgroup_size: 256
    .name:           _ZL37rocblas_syrkx_herkx_restricted_kernelIl19rocblas_complex_numIfELi16ELi32ELi8ELb1ELb0ELc78ELc76EKS1_S1_EviT_T0_PT8_S3_lS6_S3_lS4_PT9_S3_li
    .private_segment_fixed_size: 0
    .sgpr_count:     32
    .sgpr_spill_count: 0
    .symbol:         _ZL37rocblas_syrkx_herkx_restricted_kernelIl19rocblas_complex_numIfELi16ELi32ELi8ELb1ELb0ELc78ELc76EKS1_S1_EviT_T0_PT8_S3_lS6_S3_lS4_PT9_S3_li.kd
    .uniform_work_group_size: 1
    .uses_dynamic_stack: false
    .vgpr_count:     43
    .vgpr_spill_count: 0
    .wavefront_size: 64
  - .args:
      - .offset:         0
        .size:           4
        .value_kind:     by_value
      - .offset:         8
        .size:           8
        .value_kind:     by_value
      - .offset:         16
        .size:           8
        .value_kind:     by_value
      - .address_space:  global
        .offset:         24
        .size:           8
        .value_kind:     global_buffer
      - .offset:         32
        .size:           8
        .value_kind:     by_value
      - .offset:         40
        .size:           8
        .value_kind:     by_value
      - .address_space:  global
        .offset:         48
        .size:           8
        .value_kind:     global_buffer
      - .offset:         56
        .size:           8
        .value_kind:     by_value
      - .offset:         64
        .size:           8
        .value_kind:     by_value
      - .offset:         72
        .size:           8
        .value_kind:     by_value
      - .address_space:  global
        .offset:         80
        .size:           8
        .value_kind:     global_buffer
      - .offset:         88
        .size:           8
        .value_kind:     by_value
      - .offset:         96
        .size:           8
        .value_kind:     by_value
      - .offset:         104
        .size:           4
        .value_kind:     by_value
    .group_segment_fixed_size: 4096
    .kernarg_segment_align: 8
    .kernarg_segment_size: 108
    .language:       OpenCL C
    .language_version:
      - 2
      - 0
    .max_flat_workgroup_size: 256
    .name:           _ZL37rocblas_syrkx_herkx_restricted_kernelIl19rocblas_complex_numIfELi16ELi32ELi8ELb1ELb0ELc84ELc85EKS1_S1_EviT_T0_PT8_S3_lS6_S3_lS4_PT9_S3_li
    .private_segment_fixed_size: 0
    .sgpr_count:     32
    .sgpr_spill_count: 0
    .symbol:         _ZL37rocblas_syrkx_herkx_restricted_kernelIl19rocblas_complex_numIfELi16ELi32ELi8ELb1ELb0ELc84ELc85EKS1_S1_EviT_T0_PT8_S3_lS6_S3_lS4_PT9_S3_li.kd
    .uniform_work_group_size: 1
    .uses_dynamic_stack: false
    .vgpr_count:     41
    .vgpr_spill_count: 0
    .wavefront_size: 64
  - .args:
      - .offset:         0
        .size:           4
        .value_kind:     by_value
      - .offset:         8
        .size:           8
        .value_kind:     by_value
      - .offset:         16
        .size:           8
        .value_kind:     by_value
      - .address_space:  global
        .offset:         24
        .size:           8
        .value_kind:     global_buffer
      - .offset:         32
        .size:           8
        .value_kind:     by_value
      - .offset:         40
        .size:           8
        .value_kind:     by_value
      - .address_space:  global
        .offset:         48
        .size:           8
        .value_kind:     global_buffer
      - .offset:         56
        .size:           8
        .value_kind:     by_value
      - .offset:         64
        .size:           8
        .value_kind:     by_value
      - .offset:         72
        .size:           8
        .value_kind:     by_value
      - .address_space:  global
        .offset:         80
        .size:           8
        .value_kind:     global_buffer
      - .offset:         88
        .size:           8
        .value_kind:     by_value
      - .offset:         96
        .size:           8
        .value_kind:     by_value
      - .offset:         104
        .size:           4
        .value_kind:     by_value
    .group_segment_fixed_size: 4096
    .kernarg_segment_align: 8
    .kernarg_segment_size: 108
    .language:       OpenCL C
    .language_version:
      - 2
      - 0
    .max_flat_workgroup_size: 256
    .name:           _ZL37rocblas_syrkx_herkx_restricted_kernelIl19rocblas_complex_numIfELi16ELi32ELi8ELb1ELb0ELc67ELc85EKS1_S1_EviT_T0_PT8_S3_lS6_S3_lS4_PT9_S3_li
    .private_segment_fixed_size: 0
    .sgpr_count:     32
    .sgpr_spill_count: 0
    .symbol:         _ZL37rocblas_syrkx_herkx_restricted_kernelIl19rocblas_complex_numIfELi16ELi32ELi8ELb1ELb0ELc67ELc85EKS1_S1_EviT_T0_PT8_S3_lS6_S3_lS4_PT9_S3_li.kd
    .uniform_work_group_size: 1
    .uses_dynamic_stack: false
    .vgpr_count:     41
    .vgpr_spill_count: 0
    .wavefront_size: 64
  - .args:
      - .offset:         0
        .size:           4
        .value_kind:     by_value
      - .offset:         8
        .size:           8
        .value_kind:     by_value
      - .offset:         16
        .size:           8
        .value_kind:     by_value
      - .address_space:  global
        .offset:         24
        .size:           8
        .value_kind:     global_buffer
      - .offset:         32
        .size:           8
        .value_kind:     by_value
      - .offset:         40
        .size:           8
        .value_kind:     by_value
      - .address_space:  global
        .offset:         48
        .size:           8
        .value_kind:     global_buffer
      - .offset:         56
        .size:           8
        .value_kind:     by_value
      - .offset:         64
        .size:           8
        .value_kind:     by_value
      - .offset:         72
        .size:           8
        .value_kind:     by_value
      - .address_space:  global
        .offset:         80
        .size:           8
        .value_kind:     global_buffer
      - .offset:         88
        .size:           8
        .value_kind:     by_value
      - .offset:         96
        .size:           8
        .value_kind:     by_value
      - .offset:         104
        .size:           4
        .value_kind:     by_value
    .group_segment_fixed_size: 4096
    .kernarg_segment_align: 8
    .kernarg_segment_size: 108
    .language:       OpenCL C
    .language_version:
      - 2
      - 0
    .max_flat_workgroup_size: 256
    .name:           _ZL37rocblas_syrkx_herkx_restricted_kernelIl19rocblas_complex_numIfELi16ELi32ELi8ELb1ELb0ELc78ELc85EKS1_S1_EviT_T0_PT8_S3_lS6_S3_lS4_PT9_S3_li
    .private_segment_fixed_size: 0
    .sgpr_count:     32
    .sgpr_spill_count: 0
    .symbol:         _ZL37rocblas_syrkx_herkx_restricted_kernelIl19rocblas_complex_numIfELi16ELi32ELi8ELb1ELb0ELc78ELc85EKS1_S1_EviT_T0_PT8_S3_lS6_S3_lS4_PT9_S3_li.kd
    .uniform_work_group_size: 1
    .uses_dynamic_stack: false
    .vgpr_count:     43
    .vgpr_spill_count: 0
    .wavefront_size: 64
  - .args:
      - .offset:         0
        .size:           4
        .value_kind:     by_value
      - .offset:         8
        .size:           8
        .value_kind:     by_value
      - .offset:         16
        .size:           8
        .value_kind:     by_value
      - .address_space:  global
        .offset:         24
        .size:           8
        .value_kind:     global_buffer
      - .offset:         32
        .size:           8
        .value_kind:     by_value
      - .offset:         40
        .size:           8
        .value_kind:     by_value
      - .address_space:  global
        .offset:         48
        .size:           8
        .value_kind:     global_buffer
      - .offset:         56
        .size:           8
        .value_kind:     by_value
      - .offset:         64
        .size:           8
        .value_kind:     by_value
      - .offset:         72
        .size:           8
        .value_kind:     by_value
      - .address_space:  global
        .offset:         80
        .size:           8
        .value_kind:     global_buffer
      - .offset:         88
        .size:           8
        .value_kind:     by_value
      - .offset:         96
        .size:           8
        .value_kind:     by_value
      - .offset:         104
        .size:           4
        .value_kind:     by_value
    .group_segment_fixed_size: 4096
    .kernarg_segment_align: 8
    .kernarg_segment_size: 108
    .language:       OpenCL C
    .language_version:
      - 2
      - 0
    .max_flat_workgroup_size: 256
    .name:           _ZL37rocblas_syrkx_herkx_restricted_kernelIl19rocblas_complex_numIfELi16ELi32ELi8ELb0ELb0ELc84ELc76EKS1_S1_EviT_T0_PT8_S3_lS6_S3_lS4_PT9_S3_li
    .private_segment_fixed_size: 0
    .sgpr_count:     32
    .sgpr_spill_count: 0
    .symbol:         _ZL37rocblas_syrkx_herkx_restricted_kernelIl19rocblas_complex_numIfELi16ELi32ELi8ELb0ELb0ELc84ELc76EKS1_S1_EviT_T0_PT8_S3_lS6_S3_lS4_PT9_S3_li.kd
    .uniform_work_group_size: 1
    .uses_dynamic_stack: false
    .vgpr_count:     41
    .vgpr_spill_count: 0
    .wavefront_size: 64
  - .args:
      - .offset:         0
        .size:           4
        .value_kind:     by_value
      - .offset:         8
        .size:           8
        .value_kind:     by_value
      - .offset:         16
        .size:           8
        .value_kind:     by_value
      - .address_space:  global
        .offset:         24
        .size:           8
        .value_kind:     global_buffer
      - .offset:         32
        .size:           8
        .value_kind:     by_value
      - .offset:         40
        .size:           8
        .value_kind:     by_value
      - .address_space:  global
        .offset:         48
        .size:           8
        .value_kind:     global_buffer
      - .offset:         56
        .size:           8
        .value_kind:     by_value
      - .offset:         64
        .size:           8
        .value_kind:     by_value
      - .offset:         72
        .size:           8
        .value_kind:     by_value
      - .address_space:  global
        .offset:         80
        .size:           8
        .value_kind:     global_buffer
      - .offset:         88
        .size:           8
        .value_kind:     by_value
      - .offset:         96
        .size:           8
        .value_kind:     by_value
      - .offset:         104
        .size:           4
        .value_kind:     by_value
    .group_segment_fixed_size: 4096
    .kernarg_segment_align: 8
    .kernarg_segment_size: 108
    .language:       OpenCL C
    .language_version:
      - 2
      - 0
    .max_flat_workgroup_size: 256
    .name:           _ZL37rocblas_syrkx_herkx_restricted_kernelIl19rocblas_complex_numIfELi16ELi32ELi8ELb0ELb0ELc67ELc76EKS1_S1_EviT_T0_PT8_S3_lS6_S3_lS4_PT9_S3_li
    .private_segment_fixed_size: 0
    .sgpr_count:     32
    .sgpr_spill_count: 0
    .symbol:         _ZL37rocblas_syrkx_herkx_restricted_kernelIl19rocblas_complex_numIfELi16ELi32ELi8ELb0ELb0ELc67ELc76EKS1_S1_EviT_T0_PT8_S3_lS6_S3_lS4_PT9_S3_li.kd
    .uniform_work_group_size: 1
    .uses_dynamic_stack: false
    .vgpr_count:     41
    .vgpr_spill_count: 0
    .wavefront_size: 64
  - .args:
      - .offset:         0
        .size:           4
        .value_kind:     by_value
      - .offset:         8
        .size:           8
        .value_kind:     by_value
      - .offset:         16
        .size:           8
        .value_kind:     by_value
      - .address_space:  global
        .offset:         24
        .size:           8
        .value_kind:     global_buffer
      - .offset:         32
        .size:           8
        .value_kind:     by_value
      - .offset:         40
        .size:           8
        .value_kind:     by_value
      - .address_space:  global
        .offset:         48
        .size:           8
        .value_kind:     global_buffer
      - .offset:         56
        .size:           8
        .value_kind:     by_value
      - .offset:         64
        .size:           8
        .value_kind:     by_value
      - .offset:         72
        .size:           8
        .value_kind:     by_value
      - .address_space:  global
        .offset:         80
        .size:           8
        .value_kind:     global_buffer
      - .offset:         88
        .size:           8
        .value_kind:     by_value
      - .offset:         96
        .size:           8
        .value_kind:     by_value
      - .offset:         104
        .size:           4
        .value_kind:     by_value
    .group_segment_fixed_size: 4096
    .kernarg_segment_align: 8
    .kernarg_segment_size: 108
    .language:       OpenCL C
    .language_version:
      - 2
      - 0
    .max_flat_workgroup_size: 256
    .name:           _ZL37rocblas_syrkx_herkx_restricted_kernelIl19rocblas_complex_numIfELi16ELi32ELi8ELb0ELb0ELc78ELc76EKS1_S1_EviT_T0_PT8_S3_lS6_S3_lS4_PT9_S3_li
    .private_segment_fixed_size: 0
    .sgpr_count:     32
    .sgpr_spill_count: 0
    .symbol:         _ZL37rocblas_syrkx_herkx_restricted_kernelIl19rocblas_complex_numIfELi16ELi32ELi8ELb0ELb0ELc78ELc76EKS1_S1_EviT_T0_PT8_S3_lS6_S3_lS4_PT9_S3_li.kd
    .uniform_work_group_size: 1
    .uses_dynamic_stack: false
    .vgpr_count:     43
    .vgpr_spill_count: 0
    .wavefront_size: 64
  - .args:
      - .offset:         0
        .size:           4
        .value_kind:     by_value
      - .offset:         8
        .size:           8
        .value_kind:     by_value
      - .offset:         16
        .size:           8
        .value_kind:     by_value
      - .address_space:  global
        .offset:         24
        .size:           8
        .value_kind:     global_buffer
      - .offset:         32
        .size:           8
        .value_kind:     by_value
      - .offset:         40
        .size:           8
        .value_kind:     by_value
      - .address_space:  global
        .offset:         48
        .size:           8
        .value_kind:     global_buffer
      - .offset:         56
        .size:           8
        .value_kind:     by_value
      - .offset:         64
        .size:           8
        .value_kind:     by_value
      - .offset:         72
        .size:           8
        .value_kind:     by_value
      - .address_space:  global
        .offset:         80
        .size:           8
        .value_kind:     global_buffer
      - .offset:         88
        .size:           8
        .value_kind:     by_value
      - .offset:         96
        .size:           8
        .value_kind:     by_value
      - .offset:         104
        .size:           4
        .value_kind:     by_value
    .group_segment_fixed_size: 4096
    .kernarg_segment_align: 8
    .kernarg_segment_size: 108
    .language:       OpenCL C
    .language_version:
      - 2
      - 0
    .max_flat_workgroup_size: 256
    .name:           _ZL37rocblas_syrkx_herkx_restricted_kernelIl19rocblas_complex_numIfELi16ELi32ELi8ELb0ELb0ELc84ELc85EKS1_S1_EviT_T0_PT8_S3_lS6_S3_lS4_PT9_S3_li
    .private_segment_fixed_size: 0
    .sgpr_count:     32
    .sgpr_spill_count: 0
    .symbol:         _ZL37rocblas_syrkx_herkx_restricted_kernelIl19rocblas_complex_numIfELi16ELi32ELi8ELb0ELb0ELc84ELc85EKS1_S1_EviT_T0_PT8_S3_lS6_S3_lS4_PT9_S3_li.kd
    .uniform_work_group_size: 1
    .uses_dynamic_stack: false
    .vgpr_count:     41
    .vgpr_spill_count: 0
    .wavefront_size: 64
  - .args:
      - .offset:         0
        .size:           4
        .value_kind:     by_value
      - .offset:         8
        .size:           8
        .value_kind:     by_value
      - .offset:         16
        .size:           8
        .value_kind:     by_value
      - .address_space:  global
        .offset:         24
        .size:           8
        .value_kind:     global_buffer
      - .offset:         32
        .size:           8
        .value_kind:     by_value
      - .offset:         40
        .size:           8
        .value_kind:     by_value
      - .address_space:  global
        .offset:         48
        .size:           8
        .value_kind:     global_buffer
      - .offset:         56
        .size:           8
        .value_kind:     by_value
      - .offset:         64
        .size:           8
        .value_kind:     by_value
      - .offset:         72
        .size:           8
        .value_kind:     by_value
      - .address_space:  global
        .offset:         80
        .size:           8
        .value_kind:     global_buffer
      - .offset:         88
        .size:           8
        .value_kind:     by_value
      - .offset:         96
        .size:           8
        .value_kind:     by_value
      - .offset:         104
        .size:           4
        .value_kind:     by_value
    .group_segment_fixed_size: 4096
    .kernarg_segment_align: 8
    .kernarg_segment_size: 108
    .language:       OpenCL C
    .language_version:
      - 2
      - 0
    .max_flat_workgroup_size: 256
    .name:           _ZL37rocblas_syrkx_herkx_restricted_kernelIl19rocblas_complex_numIfELi16ELi32ELi8ELb0ELb0ELc67ELc85EKS1_S1_EviT_T0_PT8_S3_lS6_S3_lS4_PT9_S3_li
    .private_segment_fixed_size: 0
    .sgpr_count:     32
    .sgpr_spill_count: 0
    .symbol:         _ZL37rocblas_syrkx_herkx_restricted_kernelIl19rocblas_complex_numIfELi16ELi32ELi8ELb0ELb0ELc67ELc85EKS1_S1_EviT_T0_PT8_S3_lS6_S3_lS4_PT9_S3_li.kd
    .uniform_work_group_size: 1
    .uses_dynamic_stack: false
    .vgpr_count:     41
    .vgpr_spill_count: 0
    .wavefront_size: 64
  - .args:
      - .offset:         0
        .size:           4
        .value_kind:     by_value
      - .offset:         8
        .size:           8
        .value_kind:     by_value
      - .offset:         16
        .size:           8
        .value_kind:     by_value
      - .address_space:  global
        .offset:         24
        .size:           8
        .value_kind:     global_buffer
      - .offset:         32
        .size:           8
        .value_kind:     by_value
      - .offset:         40
        .size:           8
        .value_kind:     by_value
      - .address_space:  global
        .offset:         48
        .size:           8
        .value_kind:     global_buffer
      - .offset:         56
        .size:           8
        .value_kind:     by_value
      - .offset:         64
        .size:           8
        .value_kind:     by_value
      - .offset:         72
        .size:           8
        .value_kind:     by_value
      - .address_space:  global
        .offset:         80
        .size:           8
        .value_kind:     global_buffer
      - .offset:         88
        .size:           8
        .value_kind:     by_value
      - .offset:         96
        .size:           8
        .value_kind:     by_value
      - .offset:         104
        .size:           4
        .value_kind:     by_value
    .group_segment_fixed_size: 4096
    .kernarg_segment_align: 8
    .kernarg_segment_size: 108
    .language:       OpenCL C
    .language_version:
      - 2
      - 0
    .max_flat_workgroup_size: 256
    .name:           _ZL37rocblas_syrkx_herkx_restricted_kernelIl19rocblas_complex_numIfELi16ELi32ELi8ELb0ELb0ELc78ELc85EKS1_S1_EviT_T0_PT8_S3_lS6_S3_lS4_PT9_S3_li
    .private_segment_fixed_size: 0
    .sgpr_count:     32
    .sgpr_spill_count: 0
    .symbol:         _ZL37rocblas_syrkx_herkx_restricted_kernelIl19rocblas_complex_numIfELi16ELi32ELi8ELb0ELb0ELc78ELc85EKS1_S1_EviT_T0_PT8_S3_lS6_S3_lS4_PT9_S3_li.kd
    .uniform_work_group_size: 1
    .uses_dynamic_stack: false
    .vgpr_count:     43
    .vgpr_spill_count: 0
    .wavefront_size: 64
  - .args:
      - .offset:         0
        .size:           4
        .value_kind:     by_value
      - .offset:         8
        .size:           8
        .value_kind:     by_value
      - .offset:         16
        .size:           8
        .value_kind:     by_value
      - .address_space:  global
        .offset:         24
        .size:           8
        .value_kind:     global_buffer
      - .offset:         32
        .size:           8
        .value_kind:     by_value
      - .offset:         40
        .size:           8
        .value_kind:     by_value
      - .address_space:  global
        .offset:         48
        .size:           8
        .value_kind:     global_buffer
      - .offset:         56
        .size:           8
        .value_kind:     by_value
      - .offset:         64
        .size:           8
        .value_kind:     by_value
      - .offset:         72
        .size:           8
        .value_kind:     by_value
      - .address_space:  global
        .offset:         80
        .size:           8
        .value_kind:     global_buffer
      - .offset:         88
        .size:           8
        .value_kind:     by_value
      - .offset:         96
        .size:           8
        .value_kind:     by_value
      - .offset:         104
        .size:           4
        .value_kind:     by_value
    .group_segment_fixed_size: 4096
    .kernarg_segment_align: 8
    .kernarg_segment_size: 108
    .language:       OpenCL C
    .language_version:
      - 2
      - 0
    .max_flat_workgroup_size: 256
    .name:           _ZL41rocblas_syrkx_herkx_small_restrict_kernelIl19rocblas_complex_numIfELi16ELb1ELb0ELc84ELc76EKS1_S1_EviT_T0_PT6_S3_lS6_S3_lS4_PT7_S3_li
    .private_segment_fixed_size: 0
    .sgpr_count:     32
    .sgpr_spill_count: 0
    .symbol:         _ZL41rocblas_syrkx_herkx_small_restrict_kernelIl19rocblas_complex_numIfELi16ELb1ELb0ELc84ELc76EKS1_S1_EviT_T0_PT6_S3_lS6_S3_lS4_PT7_S3_li.kd
    .uniform_work_group_size: 1
    .uses_dynamic_stack: false
    .vgpr_count:     37
    .vgpr_spill_count: 0
    .wavefront_size: 64
  - .args:
      - .offset:         0
        .size:           4
        .value_kind:     by_value
      - .offset:         8
        .size:           8
        .value_kind:     by_value
      - .offset:         16
        .size:           8
        .value_kind:     by_value
      - .address_space:  global
        .offset:         24
        .size:           8
        .value_kind:     global_buffer
      - .offset:         32
        .size:           8
        .value_kind:     by_value
      - .offset:         40
        .size:           8
        .value_kind:     by_value
      - .address_space:  global
        .offset:         48
        .size:           8
        .value_kind:     global_buffer
      - .offset:         56
        .size:           8
        .value_kind:     by_value
      - .offset:         64
        .size:           8
        .value_kind:     by_value
      - .offset:         72
        .size:           8
        .value_kind:     by_value
      - .address_space:  global
        .offset:         80
        .size:           8
        .value_kind:     global_buffer
      - .offset:         88
        .size:           8
        .value_kind:     by_value
      - .offset:         96
        .size:           8
        .value_kind:     by_value
      - .offset:         104
        .size:           4
        .value_kind:     by_value
    .group_segment_fixed_size: 4096
    .kernarg_segment_align: 8
    .kernarg_segment_size: 108
    .language:       OpenCL C
    .language_version:
      - 2
      - 0
    .max_flat_workgroup_size: 256
    .name:           _ZL41rocblas_syrkx_herkx_small_restrict_kernelIl19rocblas_complex_numIfELi16ELb1ELb0ELc67ELc76EKS1_S1_EviT_T0_PT6_S3_lS6_S3_lS4_PT7_S3_li
    .private_segment_fixed_size: 0
    .sgpr_count:     32
    .sgpr_spill_count: 0
    .symbol:         _ZL41rocblas_syrkx_herkx_small_restrict_kernelIl19rocblas_complex_numIfELi16ELb1ELb0ELc67ELc76EKS1_S1_EviT_T0_PT6_S3_lS6_S3_lS4_PT7_S3_li.kd
    .uniform_work_group_size: 1
    .uses_dynamic_stack: false
    .vgpr_count:     37
    .vgpr_spill_count: 0
    .wavefront_size: 64
  - .args:
      - .offset:         0
        .size:           4
        .value_kind:     by_value
      - .offset:         8
        .size:           8
        .value_kind:     by_value
      - .offset:         16
        .size:           8
        .value_kind:     by_value
      - .address_space:  global
        .offset:         24
        .size:           8
        .value_kind:     global_buffer
      - .offset:         32
        .size:           8
        .value_kind:     by_value
      - .offset:         40
        .size:           8
        .value_kind:     by_value
      - .address_space:  global
        .offset:         48
        .size:           8
        .value_kind:     global_buffer
      - .offset:         56
        .size:           8
        .value_kind:     by_value
      - .offset:         64
        .size:           8
        .value_kind:     by_value
      - .offset:         72
        .size:           8
        .value_kind:     by_value
      - .address_space:  global
        .offset:         80
        .size:           8
        .value_kind:     global_buffer
      - .offset:         88
        .size:           8
        .value_kind:     by_value
      - .offset:         96
        .size:           8
        .value_kind:     by_value
      - .offset:         104
        .size:           4
        .value_kind:     by_value
    .group_segment_fixed_size: 4096
    .kernarg_segment_align: 8
    .kernarg_segment_size: 108
    .language:       OpenCL C
    .language_version:
      - 2
      - 0
    .max_flat_workgroup_size: 256
    .name:           _ZL41rocblas_syrkx_herkx_small_restrict_kernelIl19rocblas_complex_numIfELi16ELb1ELb0ELc78ELc76EKS1_S1_EviT_T0_PT6_S3_lS6_S3_lS4_PT7_S3_li
    .private_segment_fixed_size: 0
    .sgpr_count:     32
    .sgpr_spill_count: 0
    .symbol:         _ZL41rocblas_syrkx_herkx_small_restrict_kernelIl19rocblas_complex_numIfELi16ELb1ELb0ELc78ELc76EKS1_S1_EviT_T0_PT6_S3_lS6_S3_lS4_PT7_S3_li.kd
    .uniform_work_group_size: 1
    .uses_dynamic_stack: false
    .vgpr_count:     39
    .vgpr_spill_count: 0
    .wavefront_size: 64
  - .args:
      - .offset:         0
        .size:           4
        .value_kind:     by_value
      - .offset:         8
        .size:           8
        .value_kind:     by_value
      - .offset:         16
        .size:           8
        .value_kind:     by_value
      - .address_space:  global
        .offset:         24
        .size:           8
        .value_kind:     global_buffer
      - .offset:         32
        .size:           8
        .value_kind:     by_value
      - .offset:         40
        .size:           8
        .value_kind:     by_value
      - .address_space:  global
        .offset:         48
        .size:           8
        .value_kind:     global_buffer
      - .offset:         56
        .size:           8
        .value_kind:     by_value
      - .offset:         64
        .size:           8
        .value_kind:     by_value
      - .offset:         72
        .size:           8
        .value_kind:     by_value
      - .address_space:  global
        .offset:         80
        .size:           8
        .value_kind:     global_buffer
      - .offset:         88
        .size:           8
        .value_kind:     by_value
      - .offset:         96
        .size:           8
        .value_kind:     by_value
      - .offset:         104
        .size:           4
        .value_kind:     by_value
    .group_segment_fixed_size: 4096
    .kernarg_segment_align: 8
    .kernarg_segment_size: 108
    .language:       OpenCL C
    .language_version:
      - 2
      - 0
    .max_flat_workgroup_size: 256
    .name:           _ZL41rocblas_syrkx_herkx_small_restrict_kernelIl19rocblas_complex_numIfELi16ELb1ELb0ELc84ELc85EKS1_S1_EviT_T0_PT6_S3_lS6_S3_lS4_PT7_S3_li
    .private_segment_fixed_size: 0
    .sgpr_count:     32
    .sgpr_spill_count: 0
    .symbol:         _ZL41rocblas_syrkx_herkx_small_restrict_kernelIl19rocblas_complex_numIfELi16ELb1ELb0ELc84ELc85EKS1_S1_EviT_T0_PT6_S3_lS6_S3_lS4_PT7_S3_li.kd
    .uniform_work_group_size: 1
    .uses_dynamic_stack: false
    .vgpr_count:     37
    .vgpr_spill_count: 0
    .wavefront_size: 64
  - .args:
      - .offset:         0
        .size:           4
        .value_kind:     by_value
      - .offset:         8
        .size:           8
        .value_kind:     by_value
      - .offset:         16
        .size:           8
        .value_kind:     by_value
      - .address_space:  global
        .offset:         24
        .size:           8
        .value_kind:     global_buffer
      - .offset:         32
        .size:           8
        .value_kind:     by_value
      - .offset:         40
        .size:           8
        .value_kind:     by_value
      - .address_space:  global
        .offset:         48
        .size:           8
        .value_kind:     global_buffer
      - .offset:         56
        .size:           8
        .value_kind:     by_value
      - .offset:         64
        .size:           8
        .value_kind:     by_value
      - .offset:         72
        .size:           8
        .value_kind:     by_value
      - .address_space:  global
        .offset:         80
        .size:           8
        .value_kind:     global_buffer
      - .offset:         88
        .size:           8
        .value_kind:     by_value
      - .offset:         96
        .size:           8
        .value_kind:     by_value
      - .offset:         104
        .size:           4
        .value_kind:     by_value
    .group_segment_fixed_size: 4096
    .kernarg_segment_align: 8
    .kernarg_segment_size: 108
    .language:       OpenCL C
    .language_version:
      - 2
      - 0
    .max_flat_workgroup_size: 256
    .name:           _ZL41rocblas_syrkx_herkx_small_restrict_kernelIl19rocblas_complex_numIfELi16ELb1ELb0ELc67ELc85EKS1_S1_EviT_T0_PT6_S3_lS6_S3_lS4_PT7_S3_li
    .private_segment_fixed_size: 0
    .sgpr_count:     32
    .sgpr_spill_count: 0
    .symbol:         _ZL41rocblas_syrkx_herkx_small_restrict_kernelIl19rocblas_complex_numIfELi16ELb1ELb0ELc67ELc85EKS1_S1_EviT_T0_PT6_S3_lS6_S3_lS4_PT7_S3_li.kd
    .uniform_work_group_size: 1
    .uses_dynamic_stack: false
    .vgpr_count:     37
    .vgpr_spill_count: 0
    .wavefront_size: 64
  - .args:
      - .offset:         0
        .size:           4
        .value_kind:     by_value
      - .offset:         8
        .size:           8
        .value_kind:     by_value
      - .offset:         16
        .size:           8
        .value_kind:     by_value
      - .address_space:  global
        .offset:         24
        .size:           8
        .value_kind:     global_buffer
      - .offset:         32
        .size:           8
        .value_kind:     by_value
      - .offset:         40
        .size:           8
        .value_kind:     by_value
      - .address_space:  global
        .offset:         48
        .size:           8
        .value_kind:     global_buffer
      - .offset:         56
        .size:           8
        .value_kind:     by_value
      - .offset:         64
        .size:           8
        .value_kind:     by_value
      - .offset:         72
        .size:           8
        .value_kind:     by_value
      - .address_space:  global
        .offset:         80
        .size:           8
        .value_kind:     global_buffer
      - .offset:         88
        .size:           8
        .value_kind:     by_value
      - .offset:         96
        .size:           8
        .value_kind:     by_value
      - .offset:         104
        .size:           4
        .value_kind:     by_value
    .group_segment_fixed_size: 4096
    .kernarg_segment_align: 8
    .kernarg_segment_size: 108
    .language:       OpenCL C
    .language_version:
      - 2
      - 0
    .max_flat_workgroup_size: 256
    .name:           _ZL41rocblas_syrkx_herkx_small_restrict_kernelIl19rocblas_complex_numIfELi16ELb1ELb0ELc78ELc85EKS1_S1_EviT_T0_PT6_S3_lS6_S3_lS4_PT7_S3_li
    .private_segment_fixed_size: 0
    .sgpr_count:     32
    .sgpr_spill_count: 0
    .symbol:         _ZL41rocblas_syrkx_herkx_small_restrict_kernelIl19rocblas_complex_numIfELi16ELb1ELb0ELc78ELc85EKS1_S1_EviT_T0_PT6_S3_lS6_S3_lS4_PT7_S3_li.kd
    .uniform_work_group_size: 1
    .uses_dynamic_stack: false
    .vgpr_count:     39
    .vgpr_spill_count: 0
    .wavefront_size: 64
  - .args:
      - .offset:         0
        .size:           4
        .value_kind:     by_value
      - .offset:         8
        .size:           8
        .value_kind:     by_value
      - .offset:         16
        .size:           8
        .value_kind:     by_value
      - .address_space:  global
        .offset:         24
        .size:           8
        .value_kind:     global_buffer
      - .offset:         32
        .size:           8
        .value_kind:     by_value
      - .offset:         40
        .size:           8
        .value_kind:     by_value
      - .address_space:  global
        .offset:         48
        .size:           8
        .value_kind:     global_buffer
      - .offset:         56
        .size:           8
        .value_kind:     by_value
      - .offset:         64
        .size:           8
        .value_kind:     by_value
      - .offset:         72
        .size:           8
        .value_kind:     by_value
      - .address_space:  global
        .offset:         80
        .size:           8
        .value_kind:     global_buffer
      - .offset:         88
        .size:           8
        .value_kind:     by_value
      - .offset:         96
        .size:           8
        .value_kind:     by_value
      - .offset:         104
        .size:           4
        .value_kind:     by_value
    .group_segment_fixed_size: 4096
    .kernarg_segment_align: 8
    .kernarg_segment_size: 108
    .language:       OpenCL C
    .language_version:
      - 2
      - 0
    .max_flat_workgroup_size: 256
    .name:           _ZL41rocblas_syrkx_herkx_small_restrict_kernelIl19rocblas_complex_numIfELi16ELb0ELb0ELc84ELc76EKS1_S1_EviT_T0_PT6_S3_lS6_S3_lS4_PT7_S3_li
    .private_segment_fixed_size: 0
    .sgpr_count:     32
    .sgpr_spill_count: 0
    .symbol:         _ZL41rocblas_syrkx_herkx_small_restrict_kernelIl19rocblas_complex_numIfELi16ELb0ELb0ELc84ELc76EKS1_S1_EviT_T0_PT6_S3_lS6_S3_lS4_PT7_S3_li.kd
    .uniform_work_group_size: 1
    .uses_dynamic_stack: false
    .vgpr_count:     37
    .vgpr_spill_count: 0
    .wavefront_size: 64
  - .args:
      - .offset:         0
        .size:           4
        .value_kind:     by_value
      - .offset:         8
        .size:           8
        .value_kind:     by_value
      - .offset:         16
        .size:           8
        .value_kind:     by_value
      - .address_space:  global
        .offset:         24
        .size:           8
        .value_kind:     global_buffer
      - .offset:         32
        .size:           8
        .value_kind:     by_value
      - .offset:         40
        .size:           8
        .value_kind:     by_value
      - .address_space:  global
        .offset:         48
        .size:           8
        .value_kind:     global_buffer
      - .offset:         56
        .size:           8
        .value_kind:     by_value
      - .offset:         64
        .size:           8
        .value_kind:     by_value
      - .offset:         72
        .size:           8
        .value_kind:     by_value
      - .address_space:  global
        .offset:         80
        .size:           8
        .value_kind:     global_buffer
      - .offset:         88
        .size:           8
        .value_kind:     by_value
      - .offset:         96
        .size:           8
        .value_kind:     by_value
      - .offset:         104
        .size:           4
        .value_kind:     by_value
    .group_segment_fixed_size: 4096
    .kernarg_segment_align: 8
    .kernarg_segment_size: 108
    .language:       OpenCL C
    .language_version:
      - 2
      - 0
    .max_flat_workgroup_size: 256
    .name:           _ZL41rocblas_syrkx_herkx_small_restrict_kernelIl19rocblas_complex_numIfELi16ELb0ELb0ELc67ELc76EKS1_S1_EviT_T0_PT6_S3_lS6_S3_lS4_PT7_S3_li
    .private_segment_fixed_size: 0
    .sgpr_count:     32
    .sgpr_spill_count: 0
    .symbol:         _ZL41rocblas_syrkx_herkx_small_restrict_kernelIl19rocblas_complex_numIfELi16ELb0ELb0ELc67ELc76EKS1_S1_EviT_T0_PT6_S3_lS6_S3_lS4_PT7_S3_li.kd
    .uniform_work_group_size: 1
    .uses_dynamic_stack: false
    .vgpr_count:     37
    .vgpr_spill_count: 0
    .wavefront_size: 64
  - .args:
      - .offset:         0
        .size:           4
        .value_kind:     by_value
      - .offset:         8
        .size:           8
        .value_kind:     by_value
      - .offset:         16
        .size:           8
        .value_kind:     by_value
      - .address_space:  global
        .offset:         24
        .size:           8
        .value_kind:     global_buffer
      - .offset:         32
        .size:           8
        .value_kind:     by_value
      - .offset:         40
        .size:           8
        .value_kind:     by_value
      - .address_space:  global
        .offset:         48
        .size:           8
        .value_kind:     global_buffer
      - .offset:         56
        .size:           8
        .value_kind:     by_value
      - .offset:         64
        .size:           8
        .value_kind:     by_value
      - .offset:         72
        .size:           8
        .value_kind:     by_value
      - .address_space:  global
        .offset:         80
        .size:           8
        .value_kind:     global_buffer
      - .offset:         88
        .size:           8
        .value_kind:     by_value
      - .offset:         96
        .size:           8
        .value_kind:     by_value
      - .offset:         104
        .size:           4
        .value_kind:     by_value
    .group_segment_fixed_size: 4096
    .kernarg_segment_align: 8
    .kernarg_segment_size: 108
    .language:       OpenCL C
    .language_version:
      - 2
      - 0
    .max_flat_workgroup_size: 256
    .name:           _ZL41rocblas_syrkx_herkx_small_restrict_kernelIl19rocblas_complex_numIfELi16ELb0ELb0ELc78ELc76EKS1_S1_EviT_T0_PT6_S3_lS6_S3_lS4_PT7_S3_li
    .private_segment_fixed_size: 0
    .sgpr_count:     32
    .sgpr_spill_count: 0
    .symbol:         _ZL41rocblas_syrkx_herkx_small_restrict_kernelIl19rocblas_complex_numIfELi16ELb0ELb0ELc78ELc76EKS1_S1_EviT_T0_PT6_S3_lS6_S3_lS4_PT7_S3_li.kd
    .uniform_work_group_size: 1
    .uses_dynamic_stack: false
    .vgpr_count:     39
    .vgpr_spill_count: 0
    .wavefront_size: 64
  - .args:
      - .offset:         0
        .size:           4
        .value_kind:     by_value
      - .offset:         8
        .size:           8
        .value_kind:     by_value
      - .offset:         16
        .size:           8
        .value_kind:     by_value
      - .address_space:  global
        .offset:         24
        .size:           8
        .value_kind:     global_buffer
      - .offset:         32
        .size:           8
        .value_kind:     by_value
      - .offset:         40
        .size:           8
        .value_kind:     by_value
      - .address_space:  global
        .offset:         48
        .size:           8
        .value_kind:     global_buffer
      - .offset:         56
        .size:           8
        .value_kind:     by_value
      - .offset:         64
        .size:           8
        .value_kind:     by_value
      - .offset:         72
        .size:           8
        .value_kind:     by_value
      - .address_space:  global
        .offset:         80
        .size:           8
        .value_kind:     global_buffer
      - .offset:         88
        .size:           8
        .value_kind:     by_value
      - .offset:         96
        .size:           8
        .value_kind:     by_value
      - .offset:         104
        .size:           4
        .value_kind:     by_value
    .group_segment_fixed_size: 4096
    .kernarg_segment_align: 8
    .kernarg_segment_size: 108
    .language:       OpenCL C
    .language_version:
      - 2
      - 0
    .max_flat_workgroup_size: 256
    .name:           _ZL41rocblas_syrkx_herkx_small_restrict_kernelIl19rocblas_complex_numIfELi16ELb0ELb0ELc84ELc85EKS1_S1_EviT_T0_PT6_S3_lS6_S3_lS4_PT7_S3_li
    .private_segment_fixed_size: 0
    .sgpr_count:     32
    .sgpr_spill_count: 0
    .symbol:         _ZL41rocblas_syrkx_herkx_small_restrict_kernelIl19rocblas_complex_numIfELi16ELb0ELb0ELc84ELc85EKS1_S1_EviT_T0_PT6_S3_lS6_S3_lS4_PT7_S3_li.kd
    .uniform_work_group_size: 1
    .uses_dynamic_stack: false
    .vgpr_count:     37
    .vgpr_spill_count: 0
    .wavefront_size: 64
  - .args:
      - .offset:         0
        .size:           4
        .value_kind:     by_value
      - .offset:         8
        .size:           8
        .value_kind:     by_value
      - .offset:         16
        .size:           8
        .value_kind:     by_value
      - .address_space:  global
        .offset:         24
        .size:           8
        .value_kind:     global_buffer
      - .offset:         32
        .size:           8
        .value_kind:     by_value
      - .offset:         40
        .size:           8
        .value_kind:     by_value
      - .address_space:  global
        .offset:         48
        .size:           8
        .value_kind:     global_buffer
      - .offset:         56
        .size:           8
        .value_kind:     by_value
      - .offset:         64
        .size:           8
        .value_kind:     by_value
      - .offset:         72
        .size:           8
        .value_kind:     by_value
      - .address_space:  global
        .offset:         80
        .size:           8
        .value_kind:     global_buffer
      - .offset:         88
        .size:           8
        .value_kind:     by_value
      - .offset:         96
        .size:           8
        .value_kind:     by_value
      - .offset:         104
        .size:           4
        .value_kind:     by_value
    .group_segment_fixed_size: 4096
    .kernarg_segment_align: 8
    .kernarg_segment_size: 108
    .language:       OpenCL C
    .language_version:
      - 2
      - 0
    .max_flat_workgroup_size: 256
    .name:           _ZL41rocblas_syrkx_herkx_small_restrict_kernelIl19rocblas_complex_numIfELi16ELb0ELb0ELc67ELc85EKS1_S1_EviT_T0_PT6_S3_lS6_S3_lS4_PT7_S3_li
    .private_segment_fixed_size: 0
    .sgpr_count:     32
    .sgpr_spill_count: 0
    .symbol:         _ZL41rocblas_syrkx_herkx_small_restrict_kernelIl19rocblas_complex_numIfELi16ELb0ELb0ELc67ELc85EKS1_S1_EviT_T0_PT6_S3_lS6_S3_lS4_PT7_S3_li.kd
    .uniform_work_group_size: 1
    .uses_dynamic_stack: false
    .vgpr_count:     37
    .vgpr_spill_count: 0
    .wavefront_size: 64
  - .args:
      - .offset:         0
        .size:           4
        .value_kind:     by_value
      - .offset:         8
        .size:           8
        .value_kind:     by_value
      - .offset:         16
        .size:           8
        .value_kind:     by_value
      - .address_space:  global
        .offset:         24
        .size:           8
        .value_kind:     global_buffer
      - .offset:         32
        .size:           8
        .value_kind:     by_value
      - .offset:         40
        .size:           8
        .value_kind:     by_value
      - .address_space:  global
        .offset:         48
        .size:           8
        .value_kind:     global_buffer
      - .offset:         56
        .size:           8
        .value_kind:     by_value
      - .offset:         64
        .size:           8
        .value_kind:     by_value
      - .offset:         72
        .size:           8
        .value_kind:     by_value
      - .address_space:  global
        .offset:         80
        .size:           8
        .value_kind:     global_buffer
      - .offset:         88
        .size:           8
        .value_kind:     by_value
      - .offset:         96
        .size:           8
        .value_kind:     by_value
      - .offset:         104
        .size:           4
        .value_kind:     by_value
    .group_segment_fixed_size: 4096
    .kernarg_segment_align: 8
    .kernarg_segment_size: 108
    .language:       OpenCL C
    .language_version:
      - 2
      - 0
    .max_flat_workgroup_size: 256
    .name:           _ZL41rocblas_syrkx_herkx_small_restrict_kernelIl19rocblas_complex_numIfELi16ELb0ELb0ELc78ELc85EKS1_S1_EviT_T0_PT6_S3_lS6_S3_lS4_PT7_S3_li
    .private_segment_fixed_size: 0
    .sgpr_count:     32
    .sgpr_spill_count: 0
    .symbol:         _ZL41rocblas_syrkx_herkx_small_restrict_kernelIl19rocblas_complex_numIfELi16ELb0ELb0ELc78ELc85EKS1_S1_EviT_T0_PT6_S3_lS6_S3_lS4_PT7_S3_li.kd
    .uniform_work_group_size: 1
    .uses_dynamic_stack: false
    .vgpr_count:     39
    .vgpr_spill_count: 0
    .wavefront_size: 64
  - .args:
      - .offset:         0
        .size:           4
        .value_kind:     by_value
      - .offset:         8
        .size:           8
        .value_kind:     by_value
      - .offset:         16
        .size:           8
        .value_kind:     by_value
      - .address_space:  global
        .offset:         24
        .size:           8
        .value_kind:     global_buffer
      - .offset:         32
        .size:           8
        .value_kind:     by_value
      - .offset:         40
        .size:           8
        .value_kind:     by_value
      - .address_space:  global
        .offset:         48
        .size:           8
        .value_kind:     global_buffer
      - .offset:         56
        .size:           8
        .value_kind:     by_value
      - .offset:         64
        .size:           8
        .value_kind:     by_value
      - .offset:         72
        .size:           8
        .value_kind:     by_value
      - .address_space:  global
        .offset:         80
        .size:           8
        .value_kind:     global_buffer
      - .offset:         88
        .size:           8
        .value_kind:     by_value
      - .offset:         96
        .size:           8
        .value_kind:     by_value
      - .offset:         104
        .size:           4
        .value_kind:     by_value
    .group_segment_fixed_size: 4096
    .kernarg_segment_align: 8
    .kernarg_segment_size: 108
    .language:       OpenCL C
    .language_version:
      - 2
      - 0
    .max_flat_workgroup_size: 256
    .name:           _ZL32rocblas_syrkx_herkx_small_kernelIl19rocblas_complex_numIfELi16ELb1ELb0ELc84ELc76EKS1_S1_EviT_T0_PT6_S3_lS6_S3_lS4_PT7_S3_li
    .private_segment_fixed_size: 0
    .sgpr_count:     32
    .sgpr_spill_count: 0
    .symbol:         _ZL32rocblas_syrkx_herkx_small_kernelIl19rocblas_complex_numIfELi16ELb1ELb0ELc84ELc76EKS1_S1_EviT_T0_PT6_S3_lS6_S3_lS4_PT7_S3_li.kd
    .uniform_work_group_size: 1
    .uses_dynamic_stack: false
    .vgpr_count:     56
    .vgpr_spill_count: 0
    .wavefront_size: 64
  - .args:
      - .offset:         0
        .size:           4
        .value_kind:     by_value
      - .offset:         8
        .size:           8
        .value_kind:     by_value
      - .offset:         16
        .size:           8
        .value_kind:     by_value
      - .address_space:  global
        .offset:         24
        .size:           8
        .value_kind:     global_buffer
      - .offset:         32
        .size:           8
        .value_kind:     by_value
      - .offset:         40
        .size:           8
        .value_kind:     by_value
      - .address_space:  global
        .offset:         48
        .size:           8
        .value_kind:     global_buffer
      - .offset:         56
        .size:           8
        .value_kind:     by_value
      - .offset:         64
        .size:           8
        .value_kind:     by_value
      - .offset:         72
        .size:           8
        .value_kind:     by_value
      - .address_space:  global
        .offset:         80
        .size:           8
        .value_kind:     global_buffer
      - .offset:         88
        .size:           8
        .value_kind:     by_value
      - .offset:         96
        .size:           8
        .value_kind:     by_value
      - .offset:         104
        .size:           4
        .value_kind:     by_value
    .group_segment_fixed_size: 4096
    .kernarg_segment_align: 8
    .kernarg_segment_size: 108
    .language:       OpenCL C
    .language_version:
      - 2
      - 0
    .max_flat_workgroup_size: 256
    .name:           _ZL32rocblas_syrkx_herkx_small_kernelIl19rocblas_complex_numIfELi16ELb1ELb0ELc67ELc76EKS1_S1_EviT_T0_PT6_S3_lS6_S3_lS4_PT7_S3_li
    .private_segment_fixed_size: 0
    .sgpr_count:     32
    .sgpr_spill_count: 0
    .symbol:         _ZL32rocblas_syrkx_herkx_small_kernelIl19rocblas_complex_numIfELi16ELb1ELb0ELc67ELc76EKS1_S1_EviT_T0_PT6_S3_lS6_S3_lS4_PT7_S3_li.kd
    .uniform_work_group_size: 1
    .uses_dynamic_stack: false
    .vgpr_count:     56
    .vgpr_spill_count: 0
    .wavefront_size: 64
  - .args:
      - .offset:         0
        .size:           4
        .value_kind:     by_value
      - .offset:         8
        .size:           8
        .value_kind:     by_value
      - .offset:         16
        .size:           8
        .value_kind:     by_value
      - .address_space:  global
        .offset:         24
        .size:           8
        .value_kind:     global_buffer
      - .offset:         32
        .size:           8
        .value_kind:     by_value
      - .offset:         40
        .size:           8
        .value_kind:     by_value
      - .address_space:  global
        .offset:         48
        .size:           8
        .value_kind:     global_buffer
      - .offset:         56
        .size:           8
        .value_kind:     by_value
      - .offset:         64
        .size:           8
        .value_kind:     by_value
      - .offset:         72
        .size:           8
        .value_kind:     by_value
      - .address_space:  global
        .offset:         80
        .size:           8
        .value_kind:     global_buffer
      - .offset:         88
        .size:           8
        .value_kind:     by_value
      - .offset:         96
        .size:           8
        .value_kind:     by_value
      - .offset:         104
        .size:           4
        .value_kind:     by_value
    .group_segment_fixed_size: 4096
    .kernarg_segment_align: 8
    .kernarg_segment_size: 108
    .language:       OpenCL C
    .language_version:
      - 2
      - 0
    .max_flat_workgroup_size: 256
    .name:           _ZL32rocblas_syrkx_herkx_small_kernelIl19rocblas_complex_numIfELi16ELb1ELb0ELc78ELc76EKS1_S1_EviT_T0_PT6_S3_lS6_S3_lS4_PT7_S3_li
    .private_segment_fixed_size: 0
    .sgpr_count:     32
    .sgpr_spill_count: 0
    .symbol:         _ZL32rocblas_syrkx_herkx_small_kernelIl19rocblas_complex_numIfELi16ELb1ELb0ELc78ELc76EKS1_S1_EviT_T0_PT6_S3_lS6_S3_lS4_PT7_S3_li.kd
    .uniform_work_group_size: 1
    .uses_dynamic_stack: false
    .vgpr_count:     62
    .vgpr_spill_count: 0
    .wavefront_size: 64
  - .args:
      - .offset:         0
        .size:           4
        .value_kind:     by_value
      - .offset:         8
        .size:           8
        .value_kind:     by_value
      - .offset:         16
        .size:           8
        .value_kind:     by_value
      - .address_space:  global
        .offset:         24
        .size:           8
        .value_kind:     global_buffer
      - .offset:         32
        .size:           8
        .value_kind:     by_value
      - .offset:         40
        .size:           8
        .value_kind:     by_value
      - .address_space:  global
        .offset:         48
        .size:           8
        .value_kind:     global_buffer
      - .offset:         56
        .size:           8
        .value_kind:     by_value
      - .offset:         64
        .size:           8
        .value_kind:     by_value
      - .offset:         72
        .size:           8
        .value_kind:     by_value
      - .address_space:  global
        .offset:         80
        .size:           8
        .value_kind:     global_buffer
      - .offset:         88
        .size:           8
        .value_kind:     by_value
      - .offset:         96
        .size:           8
        .value_kind:     by_value
      - .offset:         104
        .size:           4
        .value_kind:     by_value
    .group_segment_fixed_size: 4096
    .kernarg_segment_align: 8
    .kernarg_segment_size: 108
    .language:       OpenCL C
    .language_version:
      - 2
      - 0
    .max_flat_workgroup_size: 256
    .name:           _ZL32rocblas_syrkx_herkx_small_kernelIl19rocblas_complex_numIfELi16ELb1ELb0ELc84ELc85EKS1_S1_EviT_T0_PT6_S3_lS6_S3_lS4_PT7_S3_li
    .private_segment_fixed_size: 0
    .sgpr_count:     32
    .sgpr_spill_count: 0
    .symbol:         _ZL32rocblas_syrkx_herkx_small_kernelIl19rocblas_complex_numIfELi16ELb1ELb0ELc84ELc85EKS1_S1_EviT_T0_PT6_S3_lS6_S3_lS4_PT7_S3_li.kd
    .uniform_work_group_size: 1
    .uses_dynamic_stack: false
    .vgpr_count:     56
    .vgpr_spill_count: 0
    .wavefront_size: 64
  - .args:
      - .offset:         0
        .size:           4
        .value_kind:     by_value
      - .offset:         8
        .size:           8
        .value_kind:     by_value
      - .offset:         16
        .size:           8
        .value_kind:     by_value
      - .address_space:  global
        .offset:         24
        .size:           8
        .value_kind:     global_buffer
      - .offset:         32
        .size:           8
        .value_kind:     by_value
      - .offset:         40
        .size:           8
        .value_kind:     by_value
      - .address_space:  global
        .offset:         48
        .size:           8
        .value_kind:     global_buffer
      - .offset:         56
        .size:           8
        .value_kind:     by_value
      - .offset:         64
        .size:           8
        .value_kind:     by_value
      - .offset:         72
        .size:           8
        .value_kind:     by_value
      - .address_space:  global
        .offset:         80
        .size:           8
        .value_kind:     global_buffer
      - .offset:         88
        .size:           8
        .value_kind:     by_value
      - .offset:         96
        .size:           8
        .value_kind:     by_value
      - .offset:         104
        .size:           4
        .value_kind:     by_value
    .group_segment_fixed_size: 4096
    .kernarg_segment_align: 8
    .kernarg_segment_size: 108
    .language:       OpenCL C
    .language_version:
      - 2
      - 0
    .max_flat_workgroup_size: 256
    .name:           _ZL32rocblas_syrkx_herkx_small_kernelIl19rocblas_complex_numIfELi16ELb1ELb0ELc67ELc85EKS1_S1_EviT_T0_PT6_S3_lS6_S3_lS4_PT7_S3_li
    .private_segment_fixed_size: 0
    .sgpr_count:     32
    .sgpr_spill_count: 0
    .symbol:         _ZL32rocblas_syrkx_herkx_small_kernelIl19rocblas_complex_numIfELi16ELb1ELb0ELc67ELc85EKS1_S1_EviT_T0_PT6_S3_lS6_S3_lS4_PT7_S3_li.kd
    .uniform_work_group_size: 1
    .uses_dynamic_stack: false
    .vgpr_count:     56
    .vgpr_spill_count: 0
    .wavefront_size: 64
  - .args:
      - .offset:         0
        .size:           4
        .value_kind:     by_value
      - .offset:         8
        .size:           8
        .value_kind:     by_value
      - .offset:         16
        .size:           8
        .value_kind:     by_value
      - .address_space:  global
        .offset:         24
        .size:           8
        .value_kind:     global_buffer
      - .offset:         32
        .size:           8
        .value_kind:     by_value
      - .offset:         40
        .size:           8
        .value_kind:     by_value
      - .address_space:  global
        .offset:         48
        .size:           8
        .value_kind:     global_buffer
      - .offset:         56
        .size:           8
        .value_kind:     by_value
      - .offset:         64
        .size:           8
        .value_kind:     by_value
      - .offset:         72
        .size:           8
        .value_kind:     by_value
      - .address_space:  global
        .offset:         80
        .size:           8
        .value_kind:     global_buffer
      - .offset:         88
        .size:           8
        .value_kind:     by_value
      - .offset:         96
        .size:           8
        .value_kind:     by_value
      - .offset:         104
        .size:           4
        .value_kind:     by_value
    .group_segment_fixed_size: 4096
    .kernarg_segment_align: 8
    .kernarg_segment_size: 108
    .language:       OpenCL C
    .language_version:
      - 2
      - 0
    .max_flat_workgroup_size: 256
    .name:           _ZL32rocblas_syrkx_herkx_small_kernelIl19rocblas_complex_numIfELi16ELb1ELb0ELc78ELc85EKS1_S1_EviT_T0_PT6_S3_lS6_S3_lS4_PT7_S3_li
    .private_segment_fixed_size: 0
    .sgpr_count:     32
    .sgpr_spill_count: 0
    .symbol:         _ZL32rocblas_syrkx_herkx_small_kernelIl19rocblas_complex_numIfELi16ELb1ELb0ELc78ELc85EKS1_S1_EviT_T0_PT6_S3_lS6_S3_lS4_PT7_S3_li.kd
    .uniform_work_group_size: 1
    .uses_dynamic_stack: false
    .vgpr_count:     62
    .vgpr_spill_count: 0
    .wavefront_size: 64
  - .args:
      - .offset:         0
        .size:           4
        .value_kind:     by_value
      - .offset:         8
        .size:           8
        .value_kind:     by_value
      - .offset:         16
        .size:           8
        .value_kind:     by_value
      - .address_space:  global
        .offset:         24
        .size:           8
        .value_kind:     global_buffer
      - .offset:         32
        .size:           8
        .value_kind:     by_value
      - .offset:         40
        .size:           8
        .value_kind:     by_value
      - .address_space:  global
        .offset:         48
        .size:           8
        .value_kind:     global_buffer
      - .offset:         56
        .size:           8
        .value_kind:     by_value
      - .offset:         64
        .size:           8
        .value_kind:     by_value
      - .offset:         72
        .size:           8
        .value_kind:     by_value
      - .address_space:  global
        .offset:         80
        .size:           8
        .value_kind:     global_buffer
      - .offset:         88
        .size:           8
        .value_kind:     by_value
      - .offset:         96
        .size:           8
        .value_kind:     by_value
      - .offset:         104
        .size:           4
        .value_kind:     by_value
    .group_segment_fixed_size: 4096
    .kernarg_segment_align: 8
    .kernarg_segment_size: 108
    .language:       OpenCL C
    .language_version:
      - 2
      - 0
    .max_flat_workgroup_size: 256
    .name:           _ZL32rocblas_syrkx_herkx_small_kernelIl19rocblas_complex_numIfELi16ELb0ELb0ELc84ELc76EKS1_S1_EviT_T0_PT6_S3_lS6_S3_lS4_PT7_S3_li
    .private_segment_fixed_size: 0
    .sgpr_count:     32
    .sgpr_spill_count: 0
    .symbol:         _ZL32rocblas_syrkx_herkx_small_kernelIl19rocblas_complex_numIfELi16ELb0ELb0ELc84ELc76EKS1_S1_EviT_T0_PT6_S3_lS6_S3_lS4_PT7_S3_li.kd
    .uniform_work_group_size: 1
    .uses_dynamic_stack: false
    .vgpr_count:     56
    .vgpr_spill_count: 0
    .wavefront_size: 64
  - .args:
      - .offset:         0
        .size:           4
        .value_kind:     by_value
      - .offset:         8
        .size:           8
        .value_kind:     by_value
      - .offset:         16
        .size:           8
        .value_kind:     by_value
      - .address_space:  global
        .offset:         24
        .size:           8
        .value_kind:     global_buffer
      - .offset:         32
        .size:           8
        .value_kind:     by_value
      - .offset:         40
        .size:           8
        .value_kind:     by_value
      - .address_space:  global
        .offset:         48
        .size:           8
        .value_kind:     global_buffer
      - .offset:         56
        .size:           8
        .value_kind:     by_value
      - .offset:         64
        .size:           8
        .value_kind:     by_value
      - .offset:         72
        .size:           8
        .value_kind:     by_value
      - .address_space:  global
        .offset:         80
        .size:           8
        .value_kind:     global_buffer
      - .offset:         88
        .size:           8
        .value_kind:     by_value
      - .offset:         96
        .size:           8
        .value_kind:     by_value
      - .offset:         104
        .size:           4
        .value_kind:     by_value
    .group_segment_fixed_size: 4096
    .kernarg_segment_align: 8
    .kernarg_segment_size: 108
    .language:       OpenCL C
    .language_version:
      - 2
      - 0
    .max_flat_workgroup_size: 256
    .name:           _ZL32rocblas_syrkx_herkx_small_kernelIl19rocblas_complex_numIfELi16ELb0ELb0ELc67ELc76EKS1_S1_EviT_T0_PT6_S3_lS6_S3_lS4_PT7_S3_li
    .private_segment_fixed_size: 0
    .sgpr_count:     32
    .sgpr_spill_count: 0
    .symbol:         _ZL32rocblas_syrkx_herkx_small_kernelIl19rocblas_complex_numIfELi16ELb0ELb0ELc67ELc76EKS1_S1_EviT_T0_PT6_S3_lS6_S3_lS4_PT7_S3_li.kd
    .uniform_work_group_size: 1
    .uses_dynamic_stack: false
    .vgpr_count:     56
    .vgpr_spill_count: 0
    .wavefront_size: 64
  - .args:
      - .offset:         0
        .size:           4
        .value_kind:     by_value
      - .offset:         8
        .size:           8
        .value_kind:     by_value
      - .offset:         16
        .size:           8
        .value_kind:     by_value
      - .address_space:  global
        .offset:         24
        .size:           8
        .value_kind:     global_buffer
      - .offset:         32
        .size:           8
        .value_kind:     by_value
      - .offset:         40
        .size:           8
        .value_kind:     by_value
      - .address_space:  global
        .offset:         48
        .size:           8
        .value_kind:     global_buffer
      - .offset:         56
        .size:           8
        .value_kind:     by_value
      - .offset:         64
        .size:           8
        .value_kind:     by_value
      - .offset:         72
        .size:           8
        .value_kind:     by_value
      - .address_space:  global
        .offset:         80
        .size:           8
        .value_kind:     global_buffer
      - .offset:         88
        .size:           8
        .value_kind:     by_value
      - .offset:         96
        .size:           8
        .value_kind:     by_value
      - .offset:         104
        .size:           4
        .value_kind:     by_value
    .group_segment_fixed_size: 4096
    .kernarg_segment_align: 8
    .kernarg_segment_size: 108
    .language:       OpenCL C
    .language_version:
      - 2
      - 0
    .max_flat_workgroup_size: 256
    .name:           _ZL32rocblas_syrkx_herkx_small_kernelIl19rocblas_complex_numIfELi16ELb0ELb0ELc78ELc76EKS1_S1_EviT_T0_PT6_S3_lS6_S3_lS4_PT7_S3_li
    .private_segment_fixed_size: 0
    .sgpr_count:     32
    .sgpr_spill_count: 0
    .symbol:         _ZL32rocblas_syrkx_herkx_small_kernelIl19rocblas_complex_numIfELi16ELb0ELb0ELc78ELc76EKS1_S1_EviT_T0_PT6_S3_lS6_S3_lS4_PT7_S3_li.kd
    .uniform_work_group_size: 1
    .uses_dynamic_stack: false
    .vgpr_count:     62
    .vgpr_spill_count: 0
    .wavefront_size: 64
  - .args:
      - .offset:         0
        .size:           4
        .value_kind:     by_value
      - .offset:         8
        .size:           8
        .value_kind:     by_value
      - .offset:         16
        .size:           8
        .value_kind:     by_value
      - .address_space:  global
        .offset:         24
        .size:           8
        .value_kind:     global_buffer
      - .offset:         32
        .size:           8
        .value_kind:     by_value
      - .offset:         40
        .size:           8
        .value_kind:     by_value
      - .address_space:  global
        .offset:         48
        .size:           8
        .value_kind:     global_buffer
      - .offset:         56
        .size:           8
        .value_kind:     by_value
      - .offset:         64
        .size:           8
        .value_kind:     by_value
      - .offset:         72
        .size:           8
        .value_kind:     by_value
      - .address_space:  global
        .offset:         80
        .size:           8
        .value_kind:     global_buffer
      - .offset:         88
        .size:           8
        .value_kind:     by_value
      - .offset:         96
        .size:           8
        .value_kind:     by_value
      - .offset:         104
        .size:           4
        .value_kind:     by_value
    .group_segment_fixed_size: 4096
    .kernarg_segment_align: 8
    .kernarg_segment_size: 108
    .language:       OpenCL C
    .language_version:
      - 2
      - 0
    .max_flat_workgroup_size: 256
    .name:           _ZL32rocblas_syrkx_herkx_small_kernelIl19rocblas_complex_numIfELi16ELb0ELb0ELc84ELc85EKS1_S1_EviT_T0_PT6_S3_lS6_S3_lS4_PT7_S3_li
    .private_segment_fixed_size: 0
    .sgpr_count:     32
    .sgpr_spill_count: 0
    .symbol:         _ZL32rocblas_syrkx_herkx_small_kernelIl19rocblas_complex_numIfELi16ELb0ELb0ELc84ELc85EKS1_S1_EviT_T0_PT6_S3_lS6_S3_lS4_PT7_S3_li.kd
    .uniform_work_group_size: 1
    .uses_dynamic_stack: false
    .vgpr_count:     56
    .vgpr_spill_count: 0
    .wavefront_size: 64
  - .args:
      - .offset:         0
        .size:           4
        .value_kind:     by_value
      - .offset:         8
        .size:           8
        .value_kind:     by_value
      - .offset:         16
        .size:           8
        .value_kind:     by_value
      - .address_space:  global
        .offset:         24
        .size:           8
        .value_kind:     global_buffer
      - .offset:         32
        .size:           8
        .value_kind:     by_value
      - .offset:         40
        .size:           8
        .value_kind:     by_value
      - .address_space:  global
        .offset:         48
        .size:           8
        .value_kind:     global_buffer
      - .offset:         56
        .size:           8
        .value_kind:     by_value
      - .offset:         64
        .size:           8
        .value_kind:     by_value
      - .offset:         72
        .size:           8
        .value_kind:     by_value
      - .address_space:  global
        .offset:         80
        .size:           8
        .value_kind:     global_buffer
      - .offset:         88
        .size:           8
        .value_kind:     by_value
      - .offset:         96
        .size:           8
        .value_kind:     by_value
      - .offset:         104
        .size:           4
        .value_kind:     by_value
    .group_segment_fixed_size: 4096
    .kernarg_segment_align: 8
    .kernarg_segment_size: 108
    .language:       OpenCL C
    .language_version:
      - 2
      - 0
    .max_flat_workgroup_size: 256
    .name:           _ZL32rocblas_syrkx_herkx_small_kernelIl19rocblas_complex_numIfELi16ELb0ELb0ELc67ELc85EKS1_S1_EviT_T0_PT6_S3_lS6_S3_lS4_PT7_S3_li
    .private_segment_fixed_size: 0
    .sgpr_count:     32
    .sgpr_spill_count: 0
    .symbol:         _ZL32rocblas_syrkx_herkx_small_kernelIl19rocblas_complex_numIfELi16ELb0ELb0ELc67ELc85EKS1_S1_EviT_T0_PT6_S3_lS6_S3_lS4_PT7_S3_li.kd
    .uniform_work_group_size: 1
    .uses_dynamic_stack: false
    .vgpr_count:     56
    .vgpr_spill_count: 0
    .wavefront_size: 64
  - .args:
      - .offset:         0
        .size:           4
        .value_kind:     by_value
      - .offset:         8
        .size:           8
        .value_kind:     by_value
      - .offset:         16
        .size:           8
        .value_kind:     by_value
      - .address_space:  global
        .offset:         24
        .size:           8
        .value_kind:     global_buffer
      - .offset:         32
        .size:           8
        .value_kind:     by_value
      - .offset:         40
        .size:           8
        .value_kind:     by_value
      - .address_space:  global
        .offset:         48
        .size:           8
        .value_kind:     global_buffer
      - .offset:         56
        .size:           8
        .value_kind:     by_value
      - .offset:         64
        .size:           8
        .value_kind:     by_value
      - .offset:         72
        .size:           8
        .value_kind:     by_value
      - .address_space:  global
        .offset:         80
        .size:           8
        .value_kind:     global_buffer
      - .offset:         88
        .size:           8
        .value_kind:     by_value
      - .offset:         96
        .size:           8
        .value_kind:     by_value
      - .offset:         104
        .size:           4
        .value_kind:     by_value
    .group_segment_fixed_size: 4096
    .kernarg_segment_align: 8
    .kernarg_segment_size: 108
    .language:       OpenCL C
    .language_version:
      - 2
      - 0
    .max_flat_workgroup_size: 256
    .name:           _ZL32rocblas_syrkx_herkx_small_kernelIl19rocblas_complex_numIfELi16ELb0ELb0ELc78ELc85EKS1_S1_EviT_T0_PT6_S3_lS6_S3_lS4_PT7_S3_li
    .private_segment_fixed_size: 0
    .sgpr_count:     32
    .sgpr_spill_count: 0
    .symbol:         _ZL32rocblas_syrkx_herkx_small_kernelIl19rocblas_complex_numIfELi16ELb0ELb0ELc78ELc85EKS1_S1_EviT_T0_PT6_S3_lS6_S3_lS4_PT7_S3_li.kd
    .uniform_work_group_size: 1
    .uses_dynamic_stack: false
    .vgpr_count:     62
    .vgpr_spill_count: 0
    .wavefront_size: 64
  - .args:
      - .offset:         0
        .size:           4
        .value_kind:     by_value
      - .offset:         8
        .size:           8
        .value_kind:     by_value
      - .offset:         16
        .size:           8
        .value_kind:     by_value
      - .address_space:  global
        .offset:         24
        .size:           8
        .value_kind:     global_buffer
      - .offset:         32
        .size:           8
        .value_kind:     by_value
      - .offset:         40
        .size:           8
        .value_kind:     by_value
      - .address_space:  global
        .offset:         48
        .size:           8
        .value_kind:     global_buffer
      - .offset:         56
        .size:           8
        .value_kind:     by_value
      - .offset:         64
        .size:           8
        .value_kind:     by_value
      - .offset:         72
        .size:           8
        .value_kind:     by_value
      - .address_space:  global
        .offset:         80
        .size:           8
        .value_kind:     global_buffer
      - .offset:         88
        .size:           8
        .value_kind:     by_value
      - .offset:         96
        .size:           8
        .value_kind:     by_value
      - .offset:         104
        .size:           4
        .value_kind:     by_value
    .group_segment_fixed_size: 4096
    .kernarg_segment_align: 8
    .kernarg_segment_size: 108
    .language:       OpenCL C
    .language_version:
      - 2
      - 0
    .max_flat_workgroup_size: 256
    .name:           _ZL34rocblas_syrkx_herkx_general_kernelIl19rocblas_complex_numIfELi16ELi32ELi8ELb1ELb0ELc84ELc76EKS1_S1_EviT_T0_PT8_S3_lS6_S3_lS4_PT9_S3_li
    .private_segment_fixed_size: 0
    .sgpr_count:     34
    .sgpr_spill_count: 0
    .symbol:         _ZL34rocblas_syrkx_herkx_general_kernelIl19rocblas_complex_numIfELi16ELi32ELi8ELb1ELb0ELc84ELc76EKS1_S1_EviT_T0_PT8_S3_lS6_S3_lS4_PT9_S3_li.kd
    .uniform_work_group_size: 1
    .uses_dynamic_stack: false
    .vgpr_count:     50
    .vgpr_spill_count: 0
    .wavefront_size: 64
  - .args:
      - .offset:         0
        .size:           4
        .value_kind:     by_value
      - .offset:         8
        .size:           8
        .value_kind:     by_value
      - .offset:         16
        .size:           8
        .value_kind:     by_value
      - .address_space:  global
        .offset:         24
        .size:           8
        .value_kind:     global_buffer
      - .offset:         32
        .size:           8
        .value_kind:     by_value
      - .offset:         40
        .size:           8
        .value_kind:     by_value
      - .address_space:  global
        .offset:         48
        .size:           8
        .value_kind:     global_buffer
      - .offset:         56
        .size:           8
        .value_kind:     by_value
      - .offset:         64
        .size:           8
        .value_kind:     by_value
      - .offset:         72
        .size:           8
        .value_kind:     by_value
      - .address_space:  global
        .offset:         80
        .size:           8
        .value_kind:     global_buffer
      - .offset:         88
        .size:           8
        .value_kind:     by_value
      - .offset:         96
        .size:           8
        .value_kind:     by_value
      - .offset:         104
        .size:           4
        .value_kind:     by_value
    .group_segment_fixed_size: 4096
    .kernarg_segment_align: 8
    .kernarg_segment_size: 108
    .language:       OpenCL C
    .language_version:
      - 2
      - 0
    .max_flat_workgroup_size: 256
    .name:           _ZL34rocblas_syrkx_herkx_general_kernelIl19rocblas_complex_numIfELi16ELi32ELi8ELb1ELb0ELc67ELc76EKS1_S1_EviT_T0_PT8_S3_lS6_S3_lS4_PT9_S3_li
    .private_segment_fixed_size: 0
    .sgpr_count:     34
    .sgpr_spill_count: 0
    .symbol:         _ZL34rocblas_syrkx_herkx_general_kernelIl19rocblas_complex_numIfELi16ELi32ELi8ELb1ELb0ELc67ELc76EKS1_S1_EviT_T0_PT8_S3_lS6_S3_lS4_PT9_S3_li.kd
    .uniform_work_group_size: 1
    .uses_dynamic_stack: false
    .vgpr_count:     50
    .vgpr_spill_count: 0
    .wavefront_size: 64
  - .args:
      - .offset:         0
        .size:           4
        .value_kind:     by_value
      - .offset:         8
        .size:           8
        .value_kind:     by_value
      - .offset:         16
        .size:           8
        .value_kind:     by_value
      - .address_space:  global
        .offset:         24
        .size:           8
        .value_kind:     global_buffer
      - .offset:         32
        .size:           8
        .value_kind:     by_value
      - .offset:         40
        .size:           8
        .value_kind:     by_value
      - .address_space:  global
        .offset:         48
        .size:           8
        .value_kind:     global_buffer
      - .offset:         56
        .size:           8
        .value_kind:     by_value
      - .offset:         64
        .size:           8
        .value_kind:     by_value
      - .offset:         72
        .size:           8
        .value_kind:     by_value
      - .address_space:  global
        .offset:         80
        .size:           8
        .value_kind:     global_buffer
      - .offset:         88
        .size:           8
        .value_kind:     by_value
      - .offset:         96
        .size:           8
        .value_kind:     by_value
      - .offset:         104
        .size:           4
        .value_kind:     by_value
    .group_segment_fixed_size: 4096
    .kernarg_segment_align: 8
    .kernarg_segment_size: 108
    .language:       OpenCL C
    .language_version:
      - 2
      - 0
    .max_flat_workgroup_size: 256
    .name:           _ZL34rocblas_syrkx_herkx_general_kernelIl19rocblas_complex_numIfELi16ELi32ELi8ELb1ELb0ELc78ELc76EKS1_S1_EviT_T0_PT8_S3_lS6_S3_lS4_PT9_S3_li
    .private_segment_fixed_size: 0
    .sgpr_count:     34
    .sgpr_spill_count: 0
    .symbol:         _ZL34rocblas_syrkx_herkx_general_kernelIl19rocblas_complex_numIfELi16ELi32ELi8ELb1ELb0ELc78ELc76EKS1_S1_EviT_T0_PT8_S3_lS6_S3_lS4_PT9_S3_li.kd
    .uniform_work_group_size: 1
    .uses_dynamic_stack: false
    .vgpr_count:     48
    .vgpr_spill_count: 0
    .wavefront_size: 64
  - .args:
      - .offset:         0
        .size:           4
        .value_kind:     by_value
      - .offset:         8
        .size:           8
        .value_kind:     by_value
      - .offset:         16
        .size:           8
        .value_kind:     by_value
      - .address_space:  global
        .offset:         24
        .size:           8
        .value_kind:     global_buffer
      - .offset:         32
        .size:           8
        .value_kind:     by_value
      - .offset:         40
        .size:           8
        .value_kind:     by_value
      - .address_space:  global
        .offset:         48
        .size:           8
        .value_kind:     global_buffer
      - .offset:         56
        .size:           8
        .value_kind:     by_value
      - .offset:         64
        .size:           8
        .value_kind:     by_value
      - .offset:         72
        .size:           8
        .value_kind:     by_value
      - .address_space:  global
        .offset:         80
        .size:           8
        .value_kind:     global_buffer
      - .offset:         88
        .size:           8
        .value_kind:     by_value
      - .offset:         96
        .size:           8
        .value_kind:     by_value
      - .offset:         104
        .size:           4
        .value_kind:     by_value
    .group_segment_fixed_size: 4096
    .kernarg_segment_align: 8
    .kernarg_segment_size: 108
    .language:       OpenCL C
    .language_version:
      - 2
      - 0
    .max_flat_workgroup_size: 256
    .name:           _ZL34rocblas_syrkx_herkx_general_kernelIl19rocblas_complex_numIfELi16ELi32ELi8ELb1ELb0ELc84ELc85EKS1_S1_EviT_T0_PT8_S3_lS6_S3_lS4_PT9_S3_li
    .private_segment_fixed_size: 0
    .sgpr_count:     34
    .sgpr_spill_count: 0
    .symbol:         _ZL34rocblas_syrkx_herkx_general_kernelIl19rocblas_complex_numIfELi16ELi32ELi8ELb1ELb0ELc84ELc85EKS1_S1_EviT_T0_PT8_S3_lS6_S3_lS4_PT9_S3_li.kd
    .uniform_work_group_size: 1
    .uses_dynamic_stack: false
    .vgpr_count:     50
    .vgpr_spill_count: 0
    .wavefront_size: 64
  - .args:
      - .offset:         0
        .size:           4
        .value_kind:     by_value
      - .offset:         8
        .size:           8
        .value_kind:     by_value
      - .offset:         16
        .size:           8
        .value_kind:     by_value
      - .address_space:  global
        .offset:         24
        .size:           8
        .value_kind:     global_buffer
      - .offset:         32
        .size:           8
        .value_kind:     by_value
      - .offset:         40
        .size:           8
        .value_kind:     by_value
      - .address_space:  global
        .offset:         48
        .size:           8
        .value_kind:     global_buffer
      - .offset:         56
        .size:           8
        .value_kind:     by_value
      - .offset:         64
        .size:           8
        .value_kind:     by_value
      - .offset:         72
        .size:           8
        .value_kind:     by_value
      - .address_space:  global
        .offset:         80
        .size:           8
        .value_kind:     global_buffer
      - .offset:         88
        .size:           8
        .value_kind:     by_value
      - .offset:         96
        .size:           8
        .value_kind:     by_value
      - .offset:         104
        .size:           4
        .value_kind:     by_value
    .group_segment_fixed_size: 4096
    .kernarg_segment_align: 8
    .kernarg_segment_size: 108
    .language:       OpenCL C
    .language_version:
      - 2
      - 0
    .max_flat_workgroup_size: 256
    .name:           _ZL34rocblas_syrkx_herkx_general_kernelIl19rocblas_complex_numIfELi16ELi32ELi8ELb1ELb0ELc67ELc85EKS1_S1_EviT_T0_PT8_S3_lS6_S3_lS4_PT9_S3_li
    .private_segment_fixed_size: 0
    .sgpr_count:     34
    .sgpr_spill_count: 0
    .symbol:         _ZL34rocblas_syrkx_herkx_general_kernelIl19rocblas_complex_numIfELi16ELi32ELi8ELb1ELb0ELc67ELc85EKS1_S1_EviT_T0_PT8_S3_lS6_S3_lS4_PT9_S3_li.kd
    .uniform_work_group_size: 1
    .uses_dynamic_stack: false
    .vgpr_count:     50
    .vgpr_spill_count: 0
    .wavefront_size: 64
  - .args:
      - .offset:         0
        .size:           4
        .value_kind:     by_value
      - .offset:         8
        .size:           8
        .value_kind:     by_value
      - .offset:         16
        .size:           8
        .value_kind:     by_value
      - .address_space:  global
        .offset:         24
        .size:           8
        .value_kind:     global_buffer
      - .offset:         32
        .size:           8
        .value_kind:     by_value
      - .offset:         40
        .size:           8
        .value_kind:     by_value
      - .address_space:  global
        .offset:         48
        .size:           8
        .value_kind:     global_buffer
      - .offset:         56
        .size:           8
        .value_kind:     by_value
      - .offset:         64
        .size:           8
        .value_kind:     by_value
      - .offset:         72
        .size:           8
        .value_kind:     by_value
      - .address_space:  global
        .offset:         80
        .size:           8
        .value_kind:     global_buffer
      - .offset:         88
        .size:           8
        .value_kind:     by_value
      - .offset:         96
        .size:           8
        .value_kind:     by_value
      - .offset:         104
        .size:           4
        .value_kind:     by_value
    .group_segment_fixed_size: 4096
    .kernarg_segment_align: 8
    .kernarg_segment_size: 108
    .language:       OpenCL C
    .language_version:
      - 2
      - 0
    .max_flat_workgroup_size: 256
    .name:           _ZL34rocblas_syrkx_herkx_general_kernelIl19rocblas_complex_numIfELi16ELi32ELi8ELb1ELb0ELc78ELc85EKS1_S1_EviT_T0_PT8_S3_lS6_S3_lS4_PT9_S3_li
    .private_segment_fixed_size: 0
    .sgpr_count:     34
    .sgpr_spill_count: 0
    .symbol:         _ZL34rocblas_syrkx_herkx_general_kernelIl19rocblas_complex_numIfELi16ELi32ELi8ELb1ELb0ELc78ELc85EKS1_S1_EviT_T0_PT8_S3_lS6_S3_lS4_PT9_S3_li.kd
    .uniform_work_group_size: 1
    .uses_dynamic_stack: false
    .vgpr_count:     48
    .vgpr_spill_count: 0
    .wavefront_size: 64
  - .args:
      - .offset:         0
        .size:           4
        .value_kind:     by_value
      - .offset:         8
        .size:           8
        .value_kind:     by_value
      - .offset:         16
        .size:           8
        .value_kind:     by_value
      - .address_space:  global
        .offset:         24
        .size:           8
        .value_kind:     global_buffer
      - .offset:         32
        .size:           8
        .value_kind:     by_value
      - .offset:         40
        .size:           8
        .value_kind:     by_value
      - .address_space:  global
        .offset:         48
        .size:           8
        .value_kind:     global_buffer
      - .offset:         56
        .size:           8
        .value_kind:     by_value
      - .offset:         64
        .size:           8
        .value_kind:     by_value
      - .offset:         72
        .size:           8
        .value_kind:     by_value
      - .address_space:  global
        .offset:         80
        .size:           8
        .value_kind:     global_buffer
      - .offset:         88
        .size:           8
        .value_kind:     by_value
      - .offset:         96
        .size:           8
        .value_kind:     by_value
      - .offset:         104
        .size:           4
        .value_kind:     by_value
    .group_segment_fixed_size: 4096
    .kernarg_segment_align: 8
    .kernarg_segment_size: 108
    .language:       OpenCL C
    .language_version:
      - 2
      - 0
    .max_flat_workgroup_size: 256
    .name:           _ZL34rocblas_syrkx_herkx_general_kernelIl19rocblas_complex_numIfELi16ELi32ELi8ELb0ELb0ELc84ELc76EKS1_S1_EviT_T0_PT8_S3_lS6_S3_lS4_PT9_S3_li
    .private_segment_fixed_size: 0
    .sgpr_count:     34
    .sgpr_spill_count: 0
    .symbol:         _ZL34rocblas_syrkx_herkx_general_kernelIl19rocblas_complex_numIfELi16ELi32ELi8ELb0ELb0ELc84ELc76EKS1_S1_EviT_T0_PT8_S3_lS6_S3_lS4_PT9_S3_li.kd
    .uniform_work_group_size: 1
    .uses_dynamic_stack: false
    .vgpr_count:     50
    .vgpr_spill_count: 0
    .wavefront_size: 64
  - .args:
      - .offset:         0
        .size:           4
        .value_kind:     by_value
      - .offset:         8
        .size:           8
        .value_kind:     by_value
      - .offset:         16
        .size:           8
        .value_kind:     by_value
      - .address_space:  global
        .offset:         24
        .size:           8
        .value_kind:     global_buffer
      - .offset:         32
        .size:           8
        .value_kind:     by_value
      - .offset:         40
        .size:           8
        .value_kind:     by_value
      - .address_space:  global
        .offset:         48
        .size:           8
        .value_kind:     global_buffer
      - .offset:         56
        .size:           8
        .value_kind:     by_value
      - .offset:         64
        .size:           8
        .value_kind:     by_value
      - .offset:         72
        .size:           8
        .value_kind:     by_value
      - .address_space:  global
        .offset:         80
        .size:           8
        .value_kind:     global_buffer
      - .offset:         88
        .size:           8
        .value_kind:     by_value
      - .offset:         96
        .size:           8
        .value_kind:     by_value
      - .offset:         104
        .size:           4
        .value_kind:     by_value
    .group_segment_fixed_size: 4096
    .kernarg_segment_align: 8
    .kernarg_segment_size: 108
    .language:       OpenCL C
    .language_version:
      - 2
      - 0
    .max_flat_workgroup_size: 256
    .name:           _ZL34rocblas_syrkx_herkx_general_kernelIl19rocblas_complex_numIfELi16ELi32ELi8ELb0ELb0ELc67ELc76EKS1_S1_EviT_T0_PT8_S3_lS6_S3_lS4_PT9_S3_li
    .private_segment_fixed_size: 0
    .sgpr_count:     34
    .sgpr_spill_count: 0
    .symbol:         _ZL34rocblas_syrkx_herkx_general_kernelIl19rocblas_complex_numIfELi16ELi32ELi8ELb0ELb0ELc67ELc76EKS1_S1_EviT_T0_PT8_S3_lS6_S3_lS4_PT9_S3_li.kd
    .uniform_work_group_size: 1
    .uses_dynamic_stack: false
    .vgpr_count:     50
    .vgpr_spill_count: 0
    .wavefront_size: 64
  - .args:
      - .offset:         0
        .size:           4
        .value_kind:     by_value
      - .offset:         8
        .size:           8
        .value_kind:     by_value
      - .offset:         16
        .size:           8
        .value_kind:     by_value
      - .address_space:  global
        .offset:         24
        .size:           8
        .value_kind:     global_buffer
      - .offset:         32
        .size:           8
        .value_kind:     by_value
      - .offset:         40
        .size:           8
        .value_kind:     by_value
      - .address_space:  global
        .offset:         48
        .size:           8
        .value_kind:     global_buffer
      - .offset:         56
        .size:           8
        .value_kind:     by_value
      - .offset:         64
        .size:           8
        .value_kind:     by_value
      - .offset:         72
        .size:           8
        .value_kind:     by_value
      - .address_space:  global
        .offset:         80
        .size:           8
        .value_kind:     global_buffer
      - .offset:         88
        .size:           8
        .value_kind:     by_value
      - .offset:         96
        .size:           8
        .value_kind:     by_value
      - .offset:         104
        .size:           4
        .value_kind:     by_value
    .group_segment_fixed_size: 4096
    .kernarg_segment_align: 8
    .kernarg_segment_size: 108
    .language:       OpenCL C
    .language_version:
      - 2
      - 0
    .max_flat_workgroup_size: 256
    .name:           _ZL34rocblas_syrkx_herkx_general_kernelIl19rocblas_complex_numIfELi16ELi32ELi8ELb0ELb0ELc78ELc76EKS1_S1_EviT_T0_PT8_S3_lS6_S3_lS4_PT9_S3_li
    .private_segment_fixed_size: 0
    .sgpr_count:     34
    .sgpr_spill_count: 0
    .symbol:         _ZL34rocblas_syrkx_herkx_general_kernelIl19rocblas_complex_numIfELi16ELi32ELi8ELb0ELb0ELc78ELc76EKS1_S1_EviT_T0_PT8_S3_lS6_S3_lS4_PT9_S3_li.kd
    .uniform_work_group_size: 1
    .uses_dynamic_stack: false
    .vgpr_count:     48
    .vgpr_spill_count: 0
    .wavefront_size: 64
  - .args:
      - .offset:         0
        .size:           4
        .value_kind:     by_value
      - .offset:         8
        .size:           8
        .value_kind:     by_value
      - .offset:         16
        .size:           8
        .value_kind:     by_value
      - .address_space:  global
        .offset:         24
        .size:           8
        .value_kind:     global_buffer
      - .offset:         32
        .size:           8
        .value_kind:     by_value
      - .offset:         40
        .size:           8
        .value_kind:     by_value
      - .address_space:  global
        .offset:         48
        .size:           8
        .value_kind:     global_buffer
      - .offset:         56
        .size:           8
        .value_kind:     by_value
      - .offset:         64
        .size:           8
        .value_kind:     by_value
      - .offset:         72
        .size:           8
        .value_kind:     by_value
      - .address_space:  global
        .offset:         80
        .size:           8
        .value_kind:     global_buffer
      - .offset:         88
        .size:           8
        .value_kind:     by_value
      - .offset:         96
        .size:           8
        .value_kind:     by_value
      - .offset:         104
        .size:           4
        .value_kind:     by_value
    .group_segment_fixed_size: 4096
    .kernarg_segment_align: 8
    .kernarg_segment_size: 108
    .language:       OpenCL C
    .language_version:
      - 2
      - 0
    .max_flat_workgroup_size: 256
    .name:           _ZL34rocblas_syrkx_herkx_general_kernelIl19rocblas_complex_numIfELi16ELi32ELi8ELb0ELb0ELc84ELc85EKS1_S1_EviT_T0_PT8_S3_lS6_S3_lS4_PT9_S3_li
    .private_segment_fixed_size: 0
    .sgpr_count:     34
    .sgpr_spill_count: 0
    .symbol:         _ZL34rocblas_syrkx_herkx_general_kernelIl19rocblas_complex_numIfELi16ELi32ELi8ELb0ELb0ELc84ELc85EKS1_S1_EviT_T0_PT8_S3_lS6_S3_lS4_PT9_S3_li.kd
    .uniform_work_group_size: 1
    .uses_dynamic_stack: false
    .vgpr_count:     50
    .vgpr_spill_count: 0
    .wavefront_size: 64
  - .args:
      - .offset:         0
        .size:           4
        .value_kind:     by_value
      - .offset:         8
        .size:           8
        .value_kind:     by_value
      - .offset:         16
        .size:           8
        .value_kind:     by_value
      - .address_space:  global
        .offset:         24
        .size:           8
        .value_kind:     global_buffer
      - .offset:         32
        .size:           8
        .value_kind:     by_value
      - .offset:         40
        .size:           8
        .value_kind:     by_value
      - .address_space:  global
        .offset:         48
        .size:           8
        .value_kind:     global_buffer
      - .offset:         56
        .size:           8
        .value_kind:     by_value
      - .offset:         64
        .size:           8
        .value_kind:     by_value
      - .offset:         72
        .size:           8
        .value_kind:     by_value
      - .address_space:  global
        .offset:         80
        .size:           8
        .value_kind:     global_buffer
      - .offset:         88
        .size:           8
        .value_kind:     by_value
      - .offset:         96
        .size:           8
        .value_kind:     by_value
      - .offset:         104
        .size:           4
        .value_kind:     by_value
    .group_segment_fixed_size: 4096
    .kernarg_segment_align: 8
    .kernarg_segment_size: 108
    .language:       OpenCL C
    .language_version:
      - 2
      - 0
    .max_flat_workgroup_size: 256
    .name:           _ZL34rocblas_syrkx_herkx_general_kernelIl19rocblas_complex_numIfELi16ELi32ELi8ELb0ELb0ELc67ELc85EKS1_S1_EviT_T0_PT8_S3_lS6_S3_lS4_PT9_S3_li
    .private_segment_fixed_size: 0
    .sgpr_count:     34
    .sgpr_spill_count: 0
    .symbol:         _ZL34rocblas_syrkx_herkx_general_kernelIl19rocblas_complex_numIfELi16ELi32ELi8ELb0ELb0ELc67ELc85EKS1_S1_EviT_T0_PT8_S3_lS6_S3_lS4_PT9_S3_li.kd
    .uniform_work_group_size: 1
    .uses_dynamic_stack: false
    .vgpr_count:     50
    .vgpr_spill_count: 0
    .wavefront_size: 64
  - .args:
      - .offset:         0
        .size:           4
        .value_kind:     by_value
      - .offset:         8
        .size:           8
        .value_kind:     by_value
      - .offset:         16
        .size:           8
        .value_kind:     by_value
      - .address_space:  global
        .offset:         24
        .size:           8
        .value_kind:     global_buffer
      - .offset:         32
        .size:           8
        .value_kind:     by_value
      - .offset:         40
        .size:           8
        .value_kind:     by_value
      - .address_space:  global
        .offset:         48
        .size:           8
        .value_kind:     global_buffer
      - .offset:         56
        .size:           8
        .value_kind:     by_value
      - .offset:         64
        .size:           8
        .value_kind:     by_value
      - .offset:         72
        .size:           8
        .value_kind:     by_value
      - .address_space:  global
        .offset:         80
        .size:           8
        .value_kind:     global_buffer
      - .offset:         88
        .size:           8
        .value_kind:     by_value
      - .offset:         96
        .size:           8
        .value_kind:     by_value
      - .offset:         104
        .size:           4
        .value_kind:     by_value
    .group_segment_fixed_size: 4096
    .kernarg_segment_align: 8
    .kernarg_segment_size: 108
    .language:       OpenCL C
    .language_version:
      - 2
      - 0
    .max_flat_workgroup_size: 256
    .name:           _ZL34rocblas_syrkx_herkx_general_kernelIl19rocblas_complex_numIfELi16ELi32ELi8ELb0ELb0ELc78ELc85EKS1_S1_EviT_T0_PT8_S3_lS6_S3_lS4_PT9_S3_li
    .private_segment_fixed_size: 0
    .sgpr_count:     34
    .sgpr_spill_count: 0
    .symbol:         _ZL34rocblas_syrkx_herkx_general_kernelIl19rocblas_complex_numIfELi16ELi32ELi8ELb0ELb0ELc78ELc85EKS1_S1_EviT_T0_PT8_S3_lS6_S3_lS4_PT9_S3_li.kd
    .uniform_work_group_size: 1
    .uses_dynamic_stack: false
    .vgpr_count:     48
    .vgpr_spill_count: 0
    .wavefront_size: 64
  - .args:
      - .offset:         0
        .size:           1
        .value_kind:     by_value
      - .offset:         4
        .size:           4
        .value_kind:     by_value
      - .offset:         8
        .size:           8
        .value_kind:     by_value
      - .offset:         16
        .size:           8
        .value_kind:     by_value
      - .offset:         24
        .size:           8
        .value_kind:     by_value
      - .address_space:  global
        .offset:         32
        .size:           8
        .value_kind:     global_buffer
      - .offset:         40
        .size:           8
        .value_kind:     by_value
      - .offset:         48
        .size:           8
        .value_kind:     by_value
      - .offset:         56
        .size:           4
        .value_kind:     by_value
      - .offset:         64
        .size:           4
        .value_kind:     hidden_block_count_x
      - .offset:         68
        .size:           4
        .value_kind:     hidden_block_count_y
      - .offset:         72
        .size:           4
        .value_kind:     hidden_block_count_z
      - .offset:         76
        .size:           2
        .value_kind:     hidden_group_size_x
      - .offset:         78
        .size:           2
        .value_kind:     hidden_group_size_y
      - .offset:         80
        .size:           2
        .value_kind:     hidden_group_size_z
      - .offset:         82
        .size:           2
        .value_kind:     hidden_remainder_x
      - .offset:         84
        .size:           2
        .value_kind:     hidden_remainder_y
      - .offset:         86
        .size:           2
        .value_kind:     hidden_remainder_z
      - .offset:         104
        .size:           8
        .value_kind:     hidden_global_offset_x
      - .offset:         112
        .size:           8
        .value_kind:     hidden_global_offset_y
      - .offset:         120
        .size:           8
        .value_kind:     hidden_global_offset_z
      - .offset:         128
        .size:           2
        .value_kind:     hidden_grid_dims
    .group_segment_fixed_size: 0
    .kernarg_segment_align: 8
    .kernarg_segment_size: 320
    .language:       OpenCL C
    .language_version:
      - 2
      - 0
    .max_flat_workgroup_size: 1024
    .name:           _ZL26rocblas_syr2k_scale_kernelIlLi128ELi8ELb0E19rocblas_complex_numIfES1_PS1_EvbiT_T3_T4_T5_S3_li
    .private_segment_fixed_size: 0
    .sgpr_count:     20
    .sgpr_spill_count: 0
    .symbol:         _ZL26rocblas_syr2k_scale_kernelIlLi128ELi8ELb0E19rocblas_complex_numIfES1_PS1_EvbiT_T3_T4_T5_S3_li.kd
    .uniform_work_group_size: 1
    .uses_dynamic_stack: false
    .vgpr_count:     6
    .vgpr_spill_count: 0
    .wavefront_size: 64
  - .args:
      - .offset:         0
        .size:           1
        .value_kind:     by_value
      - .offset:         4
        .size:           4
        .value_kind:     by_value
      - .offset:         8
        .size:           8
        .value_kind:     by_value
      - .address_space:  global
        .offset:         16
        .size:           8
        .value_kind:     global_buffer
      - .address_space:  global
        .offset:         24
        .size:           8
        .value_kind:     global_buffer
      - .offset:         32
        .size:           8
        .value_kind:     by_value
      - .offset:         40
        .size:           8
        .value_kind:     by_value
      - .address_space:  global
        .offset:         48
        .size:           8
        .value_kind:     global_buffer
      - .offset:         56
        .size:           8
        .value_kind:     by_value
      - .offset:         64
        .size:           8
        .value_kind:     by_value
      - .address_space:  global
        .offset:         72
        .size:           8
        .value_kind:     global_buffer
      - .offset:         80
        .size:           8
        .value_kind:     by_value
      - .offset:         88
        .size:           8
        .value_kind:     by_value
      - .offset:         96
        .size:           4
        .value_kind:     by_value
    .group_segment_fixed_size: 16384
    .kernarg_segment_align: 8
    .kernarg_segment_size: 100
    .language:       OpenCL C
    .language_version:
      - 2
      - 0
    .max_flat_workgroup_size: 1024
    .name:           _ZL26rocblas_syr2k_her2k_kernelIlLb0ELb0ELb0ELi32EPK19rocblas_complex_numIfES3_PS1_EvbiT_T4_T5_S5_lS7_S5_lT6_S5_li
    .private_segment_fixed_size: 0
    .sgpr_count:     36
    .sgpr_spill_count: 0
    .symbol:         _ZL26rocblas_syr2k_her2k_kernelIlLb0ELb0ELb0ELi32EPK19rocblas_complex_numIfES3_PS1_EvbiT_T4_T5_S5_lS7_S5_lT6_S5_li.kd
    .uniform_work_group_size: 1
    .uses_dynamic_stack: false
    .vgpr_count:     32
    .vgpr_spill_count: 0
    .wavefront_size: 64
  - .args:
      - .offset:         0
        .size:           1
        .value_kind:     by_value
      - .offset:         4
        .size:           4
        .value_kind:     by_value
      - .offset:         8
        .size:           8
        .value_kind:     by_value
      - .address_space:  global
        .offset:         16
        .size:           8
        .value_kind:     global_buffer
      - .address_space:  global
        .offset:         24
        .size:           8
        .value_kind:     global_buffer
      - .offset:         32
        .size:           8
        .value_kind:     by_value
      - .offset:         40
        .size:           8
        .value_kind:     by_value
      - .address_space:  global
        .offset:         48
        .size:           8
        .value_kind:     global_buffer
      - .offset:         56
        .size:           8
        .value_kind:     by_value
      - .offset:         64
        .size:           8
        .value_kind:     by_value
      - .address_space:  global
        .offset:         72
        .size:           8
        .value_kind:     global_buffer
      - .offset:         80
        .size:           8
        .value_kind:     by_value
      - .offset:         88
        .size:           8
        .value_kind:     by_value
      - .offset:         96
        .size:           4
        .value_kind:     by_value
    .group_segment_fixed_size: 16384
    .kernarg_segment_align: 8
    .kernarg_segment_size: 100
    .language:       OpenCL C
    .language_version:
      - 2
      - 0
    .max_flat_workgroup_size: 1024
    .name:           _ZL26rocblas_syr2k_her2k_kernelIlLb0ELb0ELb1ELi32EPK19rocblas_complex_numIfES3_PS1_EvbiT_T4_T5_S5_lS7_S5_lT6_S5_li
    .private_segment_fixed_size: 0
    .sgpr_count:     36
    .sgpr_spill_count: 0
    .symbol:         _ZL26rocblas_syr2k_her2k_kernelIlLb0ELb0ELb1ELi32EPK19rocblas_complex_numIfES3_PS1_EvbiT_T4_T5_S5_lS7_S5_lT6_S5_li.kd
    .uniform_work_group_size: 1
    .uses_dynamic_stack: false
    .vgpr_count:     36
    .vgpr_spill_count: 0
    .wavefront_size: 64
  - .args:
      - .offset:         0
        .size:           1
        .value_kind:     by_value
      - .offset:         4
        .size:           4
        .value_kind:     by_value
      - .offset:         8
        .size:           8
        .value_kind:     by_value
      - .offset:         16
        .size:           16
        .value_kind:     by_value
      - .address_space:  global
        .offset:         32
        .size:           8
        .value_kind:     global_buffer
      - .offset:         40
        .size:           8
        .value_kind:     by_value
      - .offset:         48
        .size:           8
        .value_kind:     by_value
      - .address_space:  global
        .offset:         56
        .size:           8
        .value_kind:     global_buffer
      - .offset:         64
        .size:           8
        .value_kind:     by_value
      - .offset:         72
        .size:           8
        .value_kind:     by_value
      - .address_space:  global
        .offset:         80
        .size:           8
        .value_kind:     global_buffer
      - .offset:         88
        .size:           8
        .value_kind:     by_value
      - .offset:         96
        .size:           8
        .value_kind:     by_value
      - .offset:         104
        .size:           4
        .value_kind:     by_value
    .group_segment_fixed_size: 32768
    .kernarg_segment_align: 8
    .kernarg_segment_size: 108
    .language:       OpenCL C
    .language_version:
      - 2
      - 0
    .max_flat_workgroup_size: 1024
    .name:           _ZL26rocblas_syr2k_her2k_kernelIlLb0ELb0ELb0ELi32E19rocblas_complex_numIdEPKS1_PS1_EvbiT_T4_T5_S5_lS7_S5_lT6_S5_li
    .private_segment_fixed_size: 0
    .sgpr_count:     48
    .sgpr_spill_count: 0
    .symbol:         _ZL26rocblas_syr2k_her2k_kernelIlLb0ELb0ELb0ELi32E19rocblas_complex_numIdEPKS1_PS1_EvbiT_T4_T5_S5_lS7_S5_lT6_S5_li.kd
    .uniform_work_group_size: 1
    .uses_dynamic_stack: false
    .vgpr_count:     34
    .vgpr_spill_count: 0
    .wavefront_size: 64
  - .args:
      - .offset:         0
        .size:           1
        .value_kind:     by_value
      - .offset:         4
        .size:           4
        .value_kind:     by_value
      - .offset:         8
        .size:           8
        .value_kind:     by_value
      - .offset:         16
        .size:           16
        .value_kind:     by_value
      - .address_space:  global
        .offset:         32
        .size:           8
        .value_kind:     global_buffer
      - .offset:         40
        .size:           8
        .value_kind:     by_value
      - .offset:         48
        .size:           8
        .value_kind:     by_value
      - .address_space:  global
        .offset:         56
        .size:           8
        .value_kind:     global_buffer
      - .offset:         64
        .size:           8
        .value_kind:     by_value
      - .offset:         72
        .size:           8
        .value_kind:     by_value
      - .address_space:  global
        .offset:         80
        .size:           8
        .value_kind:     global_buffer
      - .offset:         88
        .size:           8
        .value_kind:     by_value
      - .offset:         96
        .size:           8
        .value_kind:     by_value
      - .offset:         104
        .size:           4
        .value_kind:     by_value
    .group_segment_fixed_size: 32768
    .kernarg_segment_align: 8
    .kernarg_segment_size: 108
    .language:       OpenCL C
    .language_version:
      - 2
      - 0
    .max_flat_workgroup_size: 1024
    .name:           _ZL26rocblas_syr2k_her2k_kernelIlLb0ELb0ELb1ELi32E19rocblas_complex_numIdEPKS1_PS1_EvbiT_T4_T5_S5_lS7_S5_lT6_S5_li
    .private_segment_fixed_size: 0
    .sgpr_count:     48
    .sgpr_spill_count: 0
    .symbol:         _ZL26rocblas_syr2k_her2k_kernelIlLb0ELb0ELb1ELi32E19rocblas_complex_numIdEPKS1_PS1_EvbiT_T4_T5_S5_lS7_S5_lT6_S5_li.kd
    .uniform_work_group_size: 1
    .uses_dynamic_stack: false
    .vgpr_count:     34
    .vgpr_spill_count: 0
    .wavefront_size: 64
  - .args:
      - .offset:         0
        .size:           4
        .value_kind:     by_value
      - .offset:         8
        .size:           8
        .value_kind:     by_value
      - .address_space:  global
        .offset:         16
        .size:           8
        .value_kind:     global_buffer
      - .offset:         24
        .size:           8
        .value_kind:     by_value
      - .offset:         32
        .size:           8
        .value_kind:     by_value
      - .address_space:  global
        .offset:         40
        .size:           8
        .value_kind:     global_buffer
      - .offset:         48
        .size:           8
        .value_kind:     by_value
      - .offset:         56
        .size:           8
        .value_kind:     by_value
      - .address_space:  global
        .offset:         64
        .size:           8
        .value_kind:     global_buffer
      - .offset:         72
        .size:           8
        .value_kind:     by_value
      - .offset:         80
        .size:           8
        .value_kind:     by_value
      - .offset:         88
        .size:           4
        .value_kind:     by_value
    .group_segment_fixed_size: 8192
    .kernarg_segment_align: 8
    .kernarg_segment_size: 92
    .language:       OpenCL C
    .language_version:
      - 2
      - 0
    .max_flat_workgroup_size: 256
    .name:           _ZL37rocblas_syrkx_herkx_restricted_kernelIl19rocblas_complex_numIdELi16ELi32ELi8ELi1ELi1ELb0ELc84ELc76EKS1_S1_EviT_PT9_S3_lS5_S3_lPT10_S3_li
    .private_segment_fixed_size: 0
    .sgpr_count:     32
    .sgpr_spill_count: 0
    .symbol:         _ZL37rocblas_syrkx_herkx_restricted_kernelIl19rocblas_complex_numIdELi16ELi32ELi8ELi1ELi1ELb0ELc84ELc76EKS1_S1_EviT_PT9_S3_lS5_S3_lPT10_S3_li.kd
    .uniform_work_group_size: 1
    .uses_dynamic_stack: false
    .vgpr_count:     52
    .vgpr_spill_count: 0
    .wavefront_size: 64
  - .args:
      - .offset:         0
        .size:           4
        .value_kind:     by_value
      - .offset:         8
        .size:           8
        .value_kind:     by_value
      - .address_space:  global
        .offset:         16
        .size:           8
        .value_kind:     global_buffer
      - .offset:         24
        .size:           8
        .value_kind:     by_value
      - .offset:         32
        .size:           8
        .value_kind:     by_value
      - .address_space:  global
        .offset:         40
        .size:           8
        .value_kind:     global_buffer
      - .offset:         48
        .size:           8
        .value_kind:     by_value
      - .offset:         56
        .size:           8
        .value_kind:     by_value
      - .address_space:  global
        .offset:         64
        .size:           8
        .value_kind:     global_buffer
      - .offset:         72
        .size:           8
        .value_kind:     by_value
      - .offset:         80
        .size:           8
        .value_kind:     by_value
      - .offset:         88
        .size:           4
        .value_kind:     by_value
    .group_segment_fixed_size: 8192
    .kernarg_segment_align: 8
    .kernarg_segment_size: 92
    .language:       OpenCL C
    .language_version:
      - 2
      - 0
    .max_flat_workgroup_size: 256
    .name:           _ZL37rocblas_syrkx_herkx_restricted_kernelIl19rocblas_complex_numIdELi16ELi32ELi8ELi1ELi1ELb0ELc67ELc76EKS1_S1_EviT_PT9_S3_lS5_S3_lPT10_S3_li
    .private_segment_fixed_size: 0
    .sgpr_count:     32
    .sgpr_spill_count: 0
    .symbol:         _ZL37rocblas_syrkx_herkx_restricted_kernelIl19rocblas_complex_numIdELi16ELi32ELi8ELi1ELi1ELb0ELc67ELc76EKS1_S1_EviT_PT9_S3_lS5_S3_lPT10_S3_li.kd
    .uniform_work_group_size: 1
    .uses_dynamic_stack: false
    .vgpr_count:     52
    .vgpr_spill_count: 0
    .wavefront_size: 64
  - .args:
      - .offset:         0
        .size:           4
        .value_kind:     by_value
      - .offset:         8
        .size:           8
        .value_kind:     by_value
      - .address_space:  global
        .offset:         16
        .size:           8
        .value_kind:     global_buffer
      - .offset:         24
        .size:           8
        .value_kind:     by_value
      - .offset:         32
        .size:           8
        .value_kind:     by_value
      - .address_space:  global
        .offset:         40
        .size:           8
        .value_kind:     global_buffer
      - .offset:         48
        .size:           8
        .value_kind:     by_value
      - .offset:         56
        .size:           8
        .value_kind:     by_value
      - .address_space:  global
        .offset:         64
        .size:           8
        .value_kind:     global_buffer
      - .offset:         72
        .size:           8
        .value_kind:     by_value
      - .offset:         80
        .size:           8
        .value_kind:     by_value
      - .offset:         88
        .size:           4
        .value_kind:     by_value
    .group_segment_fixed_size: 8192
    .kernarg_segment_align: 8
    .kernarg_segment_size: 92
    .language:       OpenCL C
    .language_version:
      - 2
      - 0
    .max_flat_workgroup_size: 256
    .name:           _ZL37rocblas_syrkx_herkx_restricted_kernelIl19rocblas_complex_numIdELi16ELi32ELi8ELi1ELi1ELb0ELc78ELc76EKS1_S1_EviT_PT9_S3_lS5_S3_lPT10_S3_li
    .private_segment_fixed_size: 0
    .sgpr_count:     32
    .sgpr_spill_count: 0
    .symbol:         _ZL37rocblas_syrkx_herkx_restricted_kernelIl19rocblas_complex_numIdELi16ELi32ELi8ELi1ELi1ELb0ELc78ELc76EKS1_S1_EviT_PT9_S3_lS5_S3_lPT10_S3_li.kd
    .uniform_work_group_size: 1
    .uses_dynamic_stack: false
    .vgpr_count:     54
    .vgpr_spill_count: 0
    .wavefront_size: 64
  - .args:
      - .offset:         0
        .size:           4
        .value_kind:     by_value
      - .offset:         8
        .size:           8
        .value_kind:     by_value
      - .address_space:  global
        .offset:         16
        .size:           8
        .value_kind:     global_buffer
      - .offset:         24
        .size:           8
        .value_kind:     by_value
      - .offset:         32
        .size:           8
        .value_kind:     by_value
      - .address_space:  global
        .offset:         40
        .size:           8
        .value_kind:     global_buffer
      - .offset:         48
        .size:           8
        .value_kind:     by_value
      - .offset:         56
        .size:           8
        .value_kind:     by_value
      - .address_space:  global
        .offset:         64
        .size:           8
        .value_kind:     global_buffer
      - .offset:         72
        .size:           8
        .value_kind:     by_value
      - .offset:         80
        .size:           8
        .value_kind:     by_value
      - .offset:         88
        .size:           4
        .value_kind:     by_value
    .group_segment_fixed_size: 8192
    .kernarg_segment_align: 8
    .kernarg_segment_size: 92
    .language:       OpenCL C
    .language_version:
      - 2
      - 0
    .max_flat_workgroup_size: 256
    .name:           _ZL37rocblas_syrkx_herkx_restricted_kernelIl19rocblas_complex_numIdELi16ELi32ELi8ELi1ELi1ELb0ELc84ELc85EKS1_S1_EviT_PT9_S3_lS5_S3_lPT10_S3_li
    .private_segment_fixed_size: 0
    .sgpr_count:     32
    .sgpr_spill_count: 0
    .symbol:         _ZL37rocblas_syrkx_herkx_restricted_kernelIl19rocblas_complex_numIdELi16ELi32ELi8ELi1ELi1ELb0ELc84ELc85EKS1_S1_EviT_PT9_S3_lS5_S3_lPT10_S3_li.kd
    .uniform_work_group_size: 1
    .uses_dynamic_stack: false
    .vgpr_count:     52
    .vgpr_spill_count: 0
    .wavefront_size: 64
  - .args:
      - .offset:         0
        .size:           4
        .value_kind:     by_value
      - .offset:         8
        .size:           8
        .value_kind:     by_value
      - .address_space:  global
        .offset:         16
        .size:           8
        .value_kind:     global_buffer
      - .offset:         24
        .size:           8
        .value_kind:     by_value
      - .offset:         32
        .size:           8
        .value_kind:     by_value
      - .address_space:  global
        .offset:         40
        .size:           8
        .value_kind:     global_buffer
      - .offset:         48
        .size:           8
        .value_kind:     by_value
      - .offset:         56
        .size:           8
        .value_kind:     by_value
      - .address_space:  global
        .offset:         64
        .size:           8
        .value_kind:     global_buffer
      - .offset:         72
        .size:           8
        .value_kind:     by_value
      - .offset:         80
        .size:           8
        .value_kind:     by_value
      - .offset:         88
        .size:           4
        .value_kind:     by_value
    .group_segment_fixed_size: 8192
    .kernarg_segment_align: 8
    .kernarg_segment_size: 92
    .language:       OpenCL C
    .language_version:
      - 2
      - 0
    .max_flat_workgroup_size: 256
    .name:           _ZL37rocblas_syrkx_herkx_restricted_kernelIl19rocblas_complex_numIdELi16ELi32ELi8ELi1ELi1ELb0ELc67ELc85EKS1_S1_EviT_PT9_S3_lS5_S3_lPT10_S3_li
    .private_segment_fixed_size: 0
    .sgpr_count:     32
    .sgpr_spill_count: 0
    .symbol:         _ZL37rocblas_syrkx_herkx_restricted_kernelIl19rocblas_complex_numIdELi16ELi32ELi8ELi1ELi1ELb0ELc67ELc85EKS1_S1_EviT_PT9_S3_lS5_S3_lPT10_S3_li.kd
    .uniform_work_group_size: 1
    .uses_dynamic_stack: false
    .vgpr_count:     52
    .vgpr_spill_count: 0
    .wavefront_size: 64
  - .args:
      - .offset:         0
        .size:           4
        .value_kind:     by_value
      - .offset:         8
        .size:           8
        .value_kind:     by_value
      - .address_space:  global
        .offset:         16
        .size:           8
        .value_kind:     global_buffer
      - .offset:         24
        .size:           8
        .value_kind:     by_value
      - .offset:         32
        .size:           8
        .value_kind:     by_value
      - .address_space:  global
        .offset:         40
        .size:           8
        .value_kind:     global_buffer
      - .offset:         48
        .size:           8
        .value_kind:     by_value
      - .offset:         56
        .size:           8
        .value_kind:     by_value
      - .address_space:  global
        .offset:         64
        .size:           8
        .value_kind:     global_buffer
      - .offset:         72
        .size:           8
        .value_kind:     by_value
      - .offset:         80
        .size:           8
        .value_kind:     by_value
      - .offset:         88
        .size:           4
        .value_kind:     by_value
    .group_segment_fixed_size: 8192
    .kernarg_segment_align: 8
    .kernarg_segment_size: 92
    .language:       OpenCL C
    .language_version:
      - 2
      - 0
    .max_flat_workgroup_size: 256
    .name:           _ZL37rocblas_syrkx_herkx_restricted_kernelIl19rocblas_complex_numIdELi16ELi32ELi8ELi1ELi1ELb0ELc78ELc85EKS1_S1_EviT_PT9_S3_lS5_S3_lPT10_S3_li
    .private_segment_fixed_size: 0
    .sgpr_count:     32
    .sgpr_spill_count: 0
    .symbol:         _ZL37rocblas_syrkx_herkx_restricted_kernelIl19rocblas_complex_numIdELi16ELi32ELi8ELi1ELi1ELb0ELc78ELc85EKS1_S1_EviT_PT9_S3_lS5_S3_lPT10_S3_li.kd
    .uniform_work_group_size: 1
    .uses_dynamic_stack: false
    .vgpr_count:     54
    .vgpr_spill_count: 0
    .wavefront_size: 64
  - .args:
      - .offset:         0
        .size:           4
        .value_kind:     by_value
      - .offset:         8
        .size:           8
        .value_kind:     by_value
      - .address_space:  global
        .offset:         16
        .size:           8
        .value_kind:     global_buffer
      - .offset:         24
        .size:           8
        .value_kind:     by_value
      - .offset:         32
        .size:           8
        .value_kind:     by_value
      - .address_space:  global
        .offset:         40
        .size:           8
        .value_kind:     global_buffer
      - .offset:         48
        .size:           8
        .value_kind:     by_value
      - .offset:         56
        .size:           8
        .value_kind:     by_value
      - .address_space:  global
        .offset:         64
        .size:           8
        .value_kind:     global_buffer
      - .offset:         72
        .size:           8
        .value_kind:     by_value
      - .offset:         80
        .size:           8
        .value_kind:     by_value
      - .offset:         88
        .size:           4
        .value_kind:     by_value
    .group_segment_fixed_size: 8192
    .kernarg_segment_align: 8
    .kernarg_segment_size: 92
    .language:       OpenCL C
    .language_version:
      - 2
      - 0
    .max_flat_workgroup_size: 256
    .name:           _ZL37rocblas_syrkx_herkx_restricted_kernelIl19rocblas_complex_numIdELi16ELi32ELi8ELi1ELin1ELb0ELc84ELc76EKS1_S1_EviT_PT9_S3_lS5_S3_lPT10_S3_li
    .private_segment_fixed_size: 0
    .sgpr_count:     32
    .sgpr_spill_count: 0
    .symbol:         _ZL37rocblas_syrkx_herkx_restricted_kernelIl19rocblas_complex_numIdELi16ELi32ELi8ELi1ELin1ELb0ELc84ELc76EKS1_S1_EviT_PT9_S3_lS5_S3_lPT10_S3_li.kd
    .uniform_work_group_size: 1
    .uses_dynamic_stack: false
    .vgpr_count:     52
    .vgpr_spill_count: 0
    .wavefront_size: 64
  - .args:
      - .offset:         0
        .size:           4
        .value_kind:     by_value
      - .offset:         8
        .size:           8
        .value_kind:     by_value
      - .address_space:  global
        .offset:         16
        .size:           8
        .value_kind:     global_buffer
      - .offset:         24
        .size:           8
        .value_kind:     by_value
      - .offset:         32
        .size:           8
        .value_kind:     by_value
      - .address_space:  global
        .offset:         40
        .size:           8
        .value_kind:     global_buffer
      - .offset:         48
        .size:           8
        .value_kind:     by_value
      - .offset:         56
        .size:           8
        .value_kind:     by_value
      - .address_space:  global
        .offset:         64
        .size:           8
        .value_kind:     global_buffer
      - .offset:         72
        .size:           8
        .value_kind:     by_value
      - .offset:         80
        .size:           8
        .value_kind:     by_value
      - .offset:         88
        .size:           4
        .value_kind:     by_value
    .group_segment_fixed_size: 8192
    .kernarg_segment_align: 8
    .kernarg_segment_size: 92
    .language:       OpenCL C
    .language_version:
      - 2
      - 0
    .max_flat_workgroup_size: 256
    .name:           _ZL37rocblas_syrkx_herkx_restricted_kernelIl19rocblas_complex_numIdELi16ELi32ELi8ELi1ELin1ELb0ELc67ELc76EKS1_S1_EviT_PT9_S3_lS5_S3_lPT10_S3_li
    .private_segment_fixed_size: 0
    .sgpr_count:     32
    .sgpr_spill_count: 0
    .symbol:         _ZL37rocblas_syrkx_herkx_restricted_kernelIl19rocblas_complex_numIdELi16ELi32ELi8ELi1ELin1ELb0ELc67ELc76EKS1_S1_EviT_PT9_S3_lS5_S3_lPT10_S3_li.kd
    .uniform_work_group_size: 1
    .uses_dynamic_stack: false
    .vgpr_count:     52
    .vgpr_spill_count: 0
    .wavefront_size: 64
  - .args:
      - .offset:         0
        .size:           4
        .value_kind:     by_value
      - .offset:         8
        .size:           8
        .value_kind:     by_value
      - .address_space:  global
        .offset:         16
        .size:           8
        .value_kind:     global_buffer
      - .offset:         24
        .size:           8
        .value_kind:     by_value
      - .offset:         32
        .size:           8
        .value_kind:     by_value
      - .address_space:  global
        .offset:         40
        .size:           8
        .value_kind:     global_buffer
      - .offset:         48
        .size:           8
        .value_kind:     by_value
      - .offset:         56
        .size:           8
        .value_kind:     by_value
      - .address_space:  global
        .offset:         64
        .size:           8
        .value_kind:     global_buffer
      - .offset:         72
        .size:           8
        .value_kind:     by_value
      - .offset:         80
        .size:           8
        .value_kind:     by_value
      - .offset:         88
        .size:           4
        .value_kind:     by_value
    .group_segment_fixed_size: 8192
    .kernarg_segment_align: 8
    .kernarg_segment_size: 92
    .language:       OpenCL C
    .language_version:
      - 2
      - 0
    .max_flat_workgroup_size: 256
    .name:           _ZL37rocblas_syrkx_herkx_restricted_kernelIl19rocblas_complex_numIdELi16ELi32ELi8ELi1ELin1ELb0ELc78ELc76EKS1_S1_EviT_PT9_S3_lS5_S3_lPT10_S3_li
    .private_segment_fixed_size: 0
    .sgpr_count:     32
    .sgpr_spill_count: 0
    .symbol:         _ZL37rocblas_syrkx_herkx_restricted_kernelIl19rocblas_complex_numIdELi16ELi32ELi8ELi1ELin1ELb0ELc78ELc76EKS1_S1_EviT_PT9_S3_lS5_S3_lPT10_S3_li.kd
    .uniform_work_group_size: 1
    .uses_dynamic_stack: false
    .vgpr_count:     54
    .vgpr_spill_count: 0
    .wavefront_size: 64
  - .args:
      - .offset:         0
        .size:           4
        .value_kind:     by_value
      - .offset:         8
        .size:           8
        .value_kind:     by_value
      - .address_space:  global
        .offset:         16
        .size:           8
        .value_kind:     global_buffer
      - .offset:         24
        .size:           8
        .value_kind:     by_value
      - .offset:         32
        .size:           8
        .value_kind:     by_value
      - .address_space:  global
        .offset:         40
        .size:           8
        .value_kind:     global_buffer
      - .offset:         48
        .size:           8
        .value_kind:     by_value
      - .offset:         56
        .size:           8
        .value_kind:     by_value
      - .address_space:  global
        .offset:         64
        .size:           8
        .value_kind:     global_buffer
      - .offset:         72
        .size:           8
        .value_kind:     by_value
      - .offset:         80
        .size:           8
        .value_kind:     by_value
      - .offset:         88
        .size:           4
        .value_kind:     by_value
    .group_segment_fixed_size: 8192
    .kernarg_segment_align: 8
    .kernarg_segment_size: 92
    .language:       OpenCL C
    .language_version:
      - 2
      - 0
    .max_flat_workgroup_size: 256
    .name:           _ZL37rocblas_syrkx_herkx_restricted_kernelIl19rocblas_complex_numIdELi16ELi32ELi8ELi1ELin1ELb0ELc84ELc85EKS1_S1_EviT_PT9_S3_lS5_S3_lPT10_S3_li
    .private_segment_fixed_size: 0
    .sgpr_count:     32
    .sgpr_spill_count: 0
    .symbol:         _ZL37rocblas_syrkx_herkx_restricted_kernelIl19rocblas_complex_numIdELi16ELi32ELi8ELi1ELin1ELb0ELc84ELc85EKS1_S1_EviT_PT9_S3_lS5_S3_lPT10_S3_li.kd
    .uniform_work_group_size: 1
    .uses_dynamic_stack: false
    .vgpr_count:     52
    .vgpr_spill_count: 0
    .wavefront_size: 64
  - .args:
      - .offset:         0
        .size:           4
        .value_kind:     by_value
      - .offset:         8
        .size:           8
        .value_kind:     by_value
      - .address_space:  global
        .offset:         16
        .size:           8
        .value_kind:     global_buffer
      - .offset:         24
        .size:           8
        .value_kind:     by_value
      - .offset:         32
        .size:           8
        .value_kind:     by_value
      - .address_space:  global
        .offset:         40
        .size:           8
        .value_kind:     global_buffer
      - .offset:         48
        .size:           8
        .value_kind:     by_value
      - .offset:         56
        .size:           8
        .value_kind:     by_value
      - .address_space:  global
        .offset:         64
        .size:           8
        .value_kind:     global_buffer
      - .offset:         72
        .size:           8
        .value_kind:     by_value
      - .offset:         80
        .size:           8
        .value_kind:     by_value
      - .offset:         88
        .size:           4
        .value_kind:     by_value
    .group_segment_fixed_size: 8192
    .kernarg_segment_align: 8
    .kernarg_segment_size: 92
    .language:       OpenCL C
    .language_version:
      - 2
      - 0
    .max_flat_workgroup_size: 256
    .name:           _ZL37rocblas_syrkx_herkx_restricted_kernelIl19rocblas_complex_numIdELi16ELi32ELi8ELi1ELin1ELb0ELc67ELc85EKS1_S1_EviT_PT9_S3_lS5_S3_lPT10_S3_li
    .private_segment_fixed_size: 0
    .sgpr_count:     32
    .sgpr_spill_count: 0
    .symbol:         _ZL37rocblas_syrkx_herkx_restricted_kernelIl19rocblas_complex_numIdELi16ELi32ELi8ELi1ELin1ELb0ELc67ELc85EKS1_S1_EviT_PT9_S3_lS5_S3_lPT10_S3_li.kd
    .uniform_work_group_size: 1
    .uses_dynamic_stack: false
    .vgpr_count:     52
    .vgpr_spill_count: 0
    .wavefront_size: 64
  - .args:
      - .offset:         0
        .size:           4
        .value_kind:     by_value
      - .offset:         8
        .size:           8
        .value_kind:     by_value
      - .address_space:  global
        .offset:         16
        .size:           8
        .value_kind:     global_buffer
      - .offset:         24
        .size:           8
        .value_kind:     by_value
      - .offset:         32
        .size:           8
        .value_kind:     by_value
      - .address_space:  global
        .offset:         40
        .size:           8
        .value_kind:     global_buffer
      - .offset:         48
        .size:           8
        .value_kind:     by_value
      - .offset:         56
        .size:           8
        .value_kind:     by_value
      - .address_space:  global
        .offset:         64
        .size:           8
        .value_kind:     global_buffer
      - .offset:         72
        .size:           8
        .value_kind:     by_value
      - .offset:         80
        .size:           8
        .value_kind:     by_value
      - .offset:         88
        .size:           4
        .value_kind:     by_value
    .group_segment_fixed_size: 8192
    .kernarg_segment_align: 8
    .kernarg_segment_size: 92
    .language:       OpenCL C
    .language_version:
      - 2
      - 0
    .max_flat_workgroup_size: 256
    .name:           _ZL37rocblas_syrkx_herkx_restricted_kernelIl19rocblas_complex_numIdELi16ELi32ELi8ELi1ELin1ELb0ELc78ELc85EKS1_S1_EviT_PT9_S3_lS5_S3_lPT10_S3_li
    .private_segment_fixed_size: 0
    .sgpr_count:     32
    .sgpr_spill_count: 0
    .symbol:         _ZL37rocblas_syrkx_herkx_restricted_kernelIl19rocblas_complex_numIdELi16ELi32ELi8ELi1ELin1ELb0ELc78ELc85EKS1_S1_EviT_PT9_S3_lS5_S3_lPT10_S3_li.kd
    .uniform_work_group_size: 1
    .uses_dynamic_stack: false
    .vgpr_count:     54
    .vgpr_spill_count: 0
    .wavefront_size: 64
  - .args:
      - .offset:         0
        .size:           4
        .value_kind:     by_value
      - .offset:         8
        .size:           8
        .value_kind:     by_value
      - .address_space:  global
        .offset:         16
        .size:           8
        .value_kind:     global_buffer
      - .offset:         24
        .size:           8
        .value_kind:     by_value
      - .offset:         32
        .size:           8
        .value_kind:     by_value
      - .address_space:  global
        .offset:         40
        .size:           8
        .value_kind:     global_buffer
      - .offset:         48
        .size:           8
        .value_kind:     by_value
      - .offset:         56
        .size:           8
        .value_kind:     by_value
      - .address_space:  global
        .offset:         64
        .size:           8
        .value_kind:     global_buffer
      - .offset:         72
        .size:           8
        .value_kind:     by_value
      - .offset:         80
        .size:           8
        .value_kind:     by_value
      - .offset:         88
        .size:           4
        .value_kind:     by_value
    .group_segment_fixed_size: 8192
    .kernarg_segment_align: 8
    .kernarg_segment_size: 92
    .language:       OpenCL C
    .language_version:
      - 2
      - 0
    .max_flat_workgroup_size: 256
    .name:           _ZL37rocblas_syrkx_herkx_restricted_kernelIl19rocblas_complex_numIdELi16ELi32ELi8ELi1ELi0ELb0ELc84ELc76EKS1_S1_EviT_PT9_S3_lS5_S3_lPT10_S3_li
    .private_segment_fixed_size: 0
    .sgpr_count:     32
    .sgpr_spill_count: 0
    .symbol:         _ZL37rocblas_syrkx_herkx_restricted_kernelIl19rocblas_complex_numIdELi16ELi32ELi8ELi1ELi0ELb0ELc84ELc76EKS1_S1_EviT_PT9_S3_lS5_S3_lPT10_S3_li.kd
    .uniform_work_group_size: 1
    .uses_dynamic_stack: false
    .vgpr_count:     52
    .vgpr_spill_count: 0
    .wavefront_size: 64
  - .args:
      - .offset:         0
        .size:           4
        .value_kind:     by_value
      - .offset:         8
        .size:           8
        .value_kind:     by_value
      - .address_space:  global
        .offset:         16
        .size:           8
        .value_kind:     global_buffer
      - .offset:         24
        .size:           8
        .value_kind:     by_value
      - .offset:         32
        .size:           8
        .value_kind:     by_value
      - .address_space:  global
        .offset:         40
        .size:           8
        .value_kind:     global_buffer
      - .offset:         48
        .size:           8
        .value_kind:     by_value
      - .offset:         56
        .size:           8
        .value_kind:     by_value
      - .address_space:  global
        .offset:         64
        .size:           8
        .value_kind:     global_buffer
      - .offset:         72
        .size:           8
        .value_kind:     by_value
      - .offset:         80
        .size:           8
        .value_kind:     by_value
      - .offset:         88
        .size:           4
        .value_kind:     by_value
    .group_segment_fixed_size: 8192
    .kernarg_segment_align: 8
    .kernarg_segment_size: 92
    .language:       OpenCL C
    .language_version:
      - 2
      - 0
    .max_flat_workgroup_size: 256
    .name:           _ZL37rocblas_syrkx_herkx_restricted_kernelIl19rocblas_complex_numIdELi16ELi32ELi8ELi1ELi0ELb0ELc67ELc76EKS1_S1_EviT_PT9_S3_lS5_S3_lPT10_S3_li
    .private_segment_fixed_size: 0
    .sgpr_count:     32
    .sgpr_spill_count: 0
    .symbol:         _ZL37rocblas_syrkx_herkx_restricted_kernelIl19rocblas_complex_numIdELi16ELi32ELi8ELi1ELi0ELb0ELc67ELc76EKS1_S1_EviT_PT9_S3_lS5_S3_lPT10_S3_li.kd
    .uniform_work_group_size: 1
    .uses_dynamic_stack: false
    .vgpr_count:     52
    .vgpr_spill_count: 0
    .wavefront_size: 64
  - .args:
      - .offset:         0
        .size:           4
        .value_kind:     by_value
      - .offset:         8
        .size:           8
        .value_kind:     by_value
      - .address_space:  global
        .offset:         16
        .size:           8
        .value_kind:     global_buffer
      - .offset:         24
        .size:           8
        .value_kind:     by_value
      - .offset:         32
        .size:           8
        .value_kind:     by_value
      - .address_space:  global
        .offset:         40
        .size:           8
        .value_kind:     global_buffer
      - .offset:         48
        .size:           8
        .value_kind:     by_value
      - .offset:         56
        .size:           8
        .value_kind:     by_value
      - .address_space:  global
        .offset:         64
        .size:           8
        .value_kind:     global_buffer
      - .offset:         72
        .size:           8
        .value_kind:     by_value
      - .offset:         80
        .size:           8
        .value_kind:     by_value
      - .offset:         88
        .size:           4
        .value_kind:     by_value
    .group_segment_fixed_size: 8192
    .kernarg_segment_align: 8
    .kernarg_segment_size: 92
    .language:       OpenCL C
    .language_version:
      - 2
      - 0
    .max_flat_workgroup_size: 256
    .name:           _ZL37rocblas_syrkx_herkx_restricted_kernelIl19rocblas_complex_numIdELi16ELi32ELi8ELi1ELi0ELb0ELc78ELc76EKS1_S1_EviT_PT9_S3_lS5_S3_lPT10_S3_li
    .private_segment_fixed_size: 0
    .sgpr_count:     32
    .sgpr_spill_count: 0
    .symbol:         _ZL37rocblas_syrkx_herkx_restricted_kernelIl19rocblas_complex_numIdELi16ELi32ELi8ELi1ELi0ELb0ELc78ELc76EKS1_S1_EviT_PT9_S3_lS5_S3_lPT10_S3_li.kd
    .uniform_work_group_size: 1
    .uses_dynamic_stack: false
    .vgpr_count:     54
    .vgpr_spill_count: 0
    .wavefront_size: 64
  - .args:
      - .offset:         0
        .size:           4
        .value_kind:     by_value
      - .offset:         8
        .size:           8
        .value_kind:     by_value
      - .address_space:  global
        .offset:         16
        .size:           8
        .value_kind:     global_buffer
      - .offset:         24
        .size:           8
        .value_kind:     by_value
      - .offset:         32
        .size:           8
        .value_kind:     by_value
      - .address_space:  global
        .offset:         40
        .size:           8
        .value_kind:     global_buffer
      - .offset:         48
        .size:           8
        .value_kind:     by_value
      - .offset:         56
        .size:           8
        .value_kind:     by_value
      - .address_space:  global
        .offset:         64
        .size:           8
        .value_kind:     global_buffer
      - .offset:         72
        .size:           8
        .value_kind:     by_value
      - .offset:         80
        .size:           8
        .value_kind:     by_value
      - .offset:         88
        .size:           4
        .value_kind:     by_value
    .group_segment_fixed_size: 8192
    .kernarg_segment_align: 8
    .kernarg_segment_size: 92
    .language:       OpenCL C
    .language_version:
      - 2
      - 0
    .max_flat_workgroup_size: 256
    .name:           _ZL37rocblas_syrkx_herkx_restricted_kernelIl19rocblas_complex_numIdELi16ELi32ELi8ELi1ELi0ELb0ELc84ELc85EKS1_S1_EviT_PT9_S3_lS5_S3_lPT10_S3_li
    .private_segment_fixed_size: 0
    .sgpr_count:     32
    .sgpr_spill_count: 0
    .symbol:         _ZL37rocblas_syrkx_herkx_restricted_kernelIl19rocblas_complex_numIdELi16ELi32ELi8ELi1ELi0ELb0ELc84ELc85EKS1_S1_EviT_PT9_S3_lS5_S3_lPT10_S3_li.kd
    .uniform_work_group_size: 1
    .uses_dynamic_stack: false
    .vgpr_count:     52
    .vgpr_spill_count: 0
    .wavefront_size: 64
  - .args:
      - .offset:         0
        .size:           4
        .value_kind:     by_value
      - .offset:         8
        .size:           8
        .value_kind:     by_value
      - .address_space:  global
        .offset:         16
        .size:           8
        .value_kind:     global_buffer
      - .offset:         24
        .size:           8
        .value_kind:     by_value
      - .offset:         32
        .size:           8
        .value_kind:     by_value
      - .address_space:  global
        .offset:         40
        .size:           8
        .value_kind:     global_buffer
      - .offset:         48
        .size:           8
        .value_kind:     by_value
      - .offset:         56
        .size:           8
        .value_kind:     by_value
      - .address_space:  global
        .offset:         64
        .size:           8
        .value_kind:     global_buffer
      - .offset:         72
        .size:           8
        .value_kind:     by_value
      - .offset:         80
        .size:           8
        .value_kind:     by_value
      - .offset:         88
        .size:           4
        .value_kind:     by_value
    .group_segment_fixed_size: 8192
    .kernarg_segment_align: 8
    .kernarg_segment_size: 92
    .language:       OpenCL C
    .language_version:
      - 2
      - 0
    .max_flat_workgroup_size: 256
    .name:           _ZL37rocblas_syrkx_herkx_restricted_kernelIl19rocblas_complex_numIdELi16ELi32ELi8ELi1ELi0ELb0ELc67ELc85EKS1_S1_EviT_PT9_S3_lS5_S3_lPT10_S3_li
    .private_segment_fixed_size: 0
    .sgpr_count:     32
    .sgpr_spill_count: 0
    .symbol:         _ZL37rocblas_syrkx_herkx_restricted_kernelIl19rocblas_complex_numIdELi16ELi32ELi8ELi1ELi0ELb0ELc67ELc85EKS1_S1_EviT_PT9_S3_lS5_S3_lPT10_S3_li.kd
    .uniform_work_group_size: 1
    .uses_dynamic_stack: false
    .vgpr_count:     52
    .vgpr_spill_count: 0
    .wavefront_size: 64
  - .args:
      - .offset:         0
        .size:           4
        .value_kind:     by_value
      - .offset:         8
        .size:           8
        .value_kind:     by_value
      - .address_space:  global
        .offset:         16
        .size:           8
        .value_kind:     global_buffer
      - .offset:         24
        .size:           8
        .value_kind:     by_value
      - .offset:         32
        .size:           8
        .value_kind:     by_value
      - .address_space:  global
        .offset:         40
        .size:           8
        .value_kind:     global_buffer
      - .offset:         48
        .size:           8
        .value_kind:     by_value
      - .offset:         56
        .size:           8
        .value_kind:     by_value
      - .address_space:  global
        .offset:         64
        .size:           8
        .value_kind:     global_buffer
      - .offset:         72
        .size:           8
        .value_kind:     by_value
      - .offset:         80
        .size:           8
        .value_kind:     by_value
      - .offset:         88
        .size:           4
        .value_kind:     by_value
    .group_segment_fixed_size: 8192
    .kernarg_segment_align: 8
    .kernarg_segment_size: 92
    .language:       OpenCL C
    .language_version:
      - 2
      - 0
    .max_flat_workgroup_size: 256
    .name:           _ZL37rocblas_syrkx_herkx_restricted_kernelIl19rocblas_complex_numIdELi16ELi32ELi8ELi1ELi0ELb0ELc78ELc85EKS1_S1_EviT_PT9_S3_lS5_S3_lPT10_S3_li
    .private_segment_fixed_size: 0
    .sgpr_count:     32
    .sgpr_spill_count: 0
    .symbol:         _ZL37rocblas_syrkx_herkx_restricted_kernelIl19rocblas_complex_numIdELi16ELi32ELi8ELi1ELi0ELb0ELc78ELc85EKS1_S1_EviT_PT9_S3_lS5_S3_lPT10_S3_li.kd
    .uniform_work_group_size: 1
    .uses_dynamic_stack: false
    .vgpr_count:     54
    .vgpr_spill_count: 0
    .wavefront_size: 64
  - .args:
      - .offset:         0
        .size:           4
        .value_kind:     by_value
      - .offset:         8
        .size:           8
        .value_kind:     by_value
      - .address_space:  global
        .offset:         16
        .size:           8
        .value_kind:     global_buffer
      - .offset:         24
        .size:           8
        .value_kind:     by_value
      - .offset:         32
        .size:           8
        .value_kind:     by_value
      - .address_space:  global
        .offset:         40
        .size:           8
        .value_kind:     global_buffer
      - .offset:         48
        .size:           8
        .value_kind:     by_value
      - .offset:         56
        .size:           8
        .value_kind:     by_value
      - .address_space:  global
        .offset:         64
        .size:           8
        .value_kind:     global_buffer
      - .offset:         72
        .size:           8
        .value_kind:     by_value
      - .offset:         80
        .size:           8
        .value_kind:     by_value
      - .offset:         88
        .size:           4
        .value_kind:     by_value
    .group_segment_fixed_size: 8192
    .kernarg_segment_align: 8
    .kernarg_segment_size: 92
    .language:       OpenCL C
    .language_version:
      - 2
      - 0
    .max_flat_workgroup_size: 256
    .name:           _ZL37rocblas_syrkx_herkx_restricted_kernelIl19rocblas_complex_numIdELi16ELi32ELi8ELin1ELi0ELb0ELc84ELc76EKS1_S1_EviT_PT9_S3_lS5_S3_lPT10_S3_li
    .private_segment_fixed_size: 0
    .sgpr_count:     32
    .sgpr_spill_count: 0
    .symbol:         _ZL37rocblas_syrkx_herkx_restricted_kernelIl19rocblas_complex_numIdELi16ELi32ELi8ELin1ELi0ELb0ELc84ELc76EKS1_S1_EviT_PT9_S3_lS5_S3_lPT10_S3_li.kd
    .uniform_work_group_size: 1
    .uses_dynamic_stack: false
    .vgpr_count:     52
    .vgpr_spill_count: 0
    .wavefront_size: 64
  - .args:
      - .offset:         0
        .size:           4
        .value_kind:     by_value
      - .offset:         8
        .size:           8
        .value_kind:     by_value
      - .address_space:  global
        .offset:         16
        .size:           8
        .value_kind:     global_buffer
      - .offset:         24
        .size:           8
        .value_kind:     by_value
      - .offset:         32
        .size:           8
        .value_kind:     by_value
      - .address_space:  global
        .offset:         40
        .size:           8
        .value_kind:     global_buffer
      - .offset:         48
        .size:           8
        .value_kind:     by_value
      - .offset:         56
        .size:           8
        .value_kind:     by_value
      - .address_space:  global
        .offset:         64
        .size:           8
        .value_kind:     global_buffer
      - .offset:         72
        .size:           8
        .value_kind:     by_value
      - .offset:         80
        .size:           8
        .value_kind:     by_value
      - .offset:         88
        .size:           4
        .value_kind:     by_value
    .group_segment_fixed_size: 8192
    .kernarg_segment_align: 8
    .kernarg_segment_size: 92
    .language:       OpenCL C
    .language_version:
      - 2
      - 0
    .max_flat_workgroup_size: 256
    .name:           _ZL37rocblas_syrkx_herkx_restricted_kernelIl19rocblas_complex_numIdELi16ELi32ELi8ELin1ELi0ELb0ELc67ELc76EKS1_S1_EviT_PT9_S3_lS5_S3_lPT10_S3_li
    .private_segment_fixed_size: 0
    .sgpr_count:     32
    .sgpr_spill_count: 0
    .symbol:         _ZL37rocblas_syrkx_herkx_restricted_kernelIl19rocblas_complex_numIdELi16ELi32ELi8ELin1ELi0ELb0ELc67ELc76EKS1_S1_EviT_PT9_S3_lS5_S3_lPT10_S3_li.kd
    .uniform_work_group_size: 1
    .uses_dynamic_stack: false
    .vgpr_count:     52
    .vgpr_spill_count: 0
    .wavefront_size: 64
  - .args:
      - .offset:         0
        .size:           4
        .value_kind:     by_value
      - .offset:         8
        .size:           8
        .value_kind:     by_value
      - .address_space:  global
        .offset:         16
        .size:           8
        .value_kind:     global_buffer
      - .offset:         24
        .size:           8
        .value_kind:     by_value
      - .offset:         32
        .size:           8
        .value_kind:     by_value
      - .address_space:  global
        .offset:         40
        .size:           8
        .value_kind:     global_buffer
      - .offset:         48
        .size:           8
        .value_kind:     by_value
      - .offset:         56
        .size:           8
        .value_kind:     by_value
      - .address_space:  global
        .offset:         64
        .size:           8
        .value_kind:     global_buffer
      - .offset:         72
        .size:           8
        .value_kind:     by_value
      - .offset:         80
        .size:           8
        .value_kind:     by_value
      - .offset:         88
        .size:           4
        .value_kind:     by_value
    .group_segment_fixed_size: 8192
    .kernarg_segment_align: 8
    .kernarg_segment_size: 92
    .language:       OpenCL C
    .language_version:
      - 2
      - 0
    .max_flat_workgroup_size: 256
    .name:           _ZL37rocblas_syrkx_herkx_restricted_kernelIl19rocblas_complex_numIdELi16ELi32ELi8ELin1ELi0ELb0ELc78ELc76EKS1_S1_EviT_PT9_S3_lS5_S3_lPT10_S3_li
    .private_segment_fixed_size: 0
    .sgpr_count:     32
    .sgpr_spill_count: 0
    .symbol:         _ZL37rocblas_syrkx_herkx_restricted_kernelIl19rocblas_complex_numIdELi16ELi32ELi8ELin1ELi0ELb0ELc78ELc76EKS1_S1_EviT_PT9_S3_lS5_S3_lPT10_S3_li.kd
    .uniform_work_group_size: 1
    .uses_dynamic_stack: false
    .vgpr_count:     54
    .vgpr_spill_count: 0
    .wavefront_size: 64
  - .args:
      - .offset:         0
        .size:           4
        .value_kind:     by_value
      - .offset:         8
        .size:           8
        .value_kind:     by_value
      - .address_space:  global
        .offset:         16
        .size:           8
        .value_kind:     global_buffer
      - .offset:         24
        .size:           8
        .value_kind:     by_value
      - .offset:         32
        .size:           8
        .value_kind:     by_value
      - .address_space:  global
        .offset:         40
        .size:           8
        .value_kind:     global_buffer
      - .offset:         48
        .size:           8
        .value_kind:     by_value
      - .offset:         56
        .size:           8
        .value_kind:     by_value
      - .address_space:  global
        .offset:         64
        .size:           8
        .value_kind:     global_buffer
      - .offset:         72
        .size:           8
        .value_kind:     by_value
      - .offset:         80
        .size:           8
        .value_kind:     by_value
      - .offset:         88
        .size:           4
        .value_kind:     by_value
    .group_segment_fixed_size: 8192
    .kernarg_segment_align: 8
    .kernarg_segment_size: 92
    .language:       OpenCL C
    .language_version:
      - 2
      - 0
    .max_flat_workgroup_size: 256
    .name:           _ZL37rocblas_syrkx_herkx_restricted_kernelIl19rocblas_complex_numIdELi16ELi32ELi8ELin1ELi0ELb0ELc84ELc85EKS1_S1_EviT_PT9_S3_lS5_S3_lPT10_S3_li
    .private_segment_fixed_size: 0
    .sgpr_count:     32
    .sgpr_spill_count: 0
    .symbol:         _ZL37rocblas_syrkx_herkx_restricted_kernelIl19rocblas_complex_numIdELi16ELi32ELi8ELin1ELi0ELb0ELc84ELc85EKS1_S1_EviT_PT9_S3_lS5_S3_lPT10_S3_li.kd
    .uniform_work_group_size: 1
    .uses_dynamic_stack: false
    .vgpr_count:     52
    .vgpr_spill_count: 0
    .wavefront_size: 64
  - .args:
      - .offset:         0
        .size:           4
        .value_kind:     by_value
      - .offset:         8
        .size:           8
        .value_kind:     by_value
      - .address_space:  global
        .offset:         16
        .size:           8
        .value_kind:     global_buffer
      - .offset:         24
        .size:           8
        .value_kind:     by_value
      - .offset:         32
        .size:           8
        .value_kind:     by_value
      - .address_space:  global
        .offset:         40
        .size:           8
        .value_kind:     global_buffer
      - .offset:         48
        .size:           8
        .value_kind:     by_value
      - .offset:         56
        .size:           8
        .value_kind:     by_value
      - .address_space:  global
        .offset:         64
        .size:           8
        .value_kind:     global_buffer
      - .offset:         72
        .size:           8
        .value_kind:     by_value
      - .offset:         80
        .size:           8
        .value_kind:     by_value
      - .offset:         88
        .size:           4
        .value_kind:     by_value
    .group_segment_fixed_size: 8192
    .kernarg_segment_align: 8
    .kernarg_segment_size: 92
    .language:       OpenCL C
    .language_version:
      - 2
      - 0
    .max_flat_workgroup_size: 256
    .name:           _ZL37rocblas_syrkx_herkx_restricted_kernelIl19rocblas_complex_numIdELi16ELi32ELi8ELin1ELi0ELb0ELc67ELc85EKS1_S1_EviT_PT9_S3_lS5_S3_lPT10_S3_li
    .private_segment_fixed_size: 0
    .sgpr_count:     32
    .sgpr_spill_count: 0
    .symbol:         _ZL37rocblas_syrkx_herkx_restricted_kernelIl19rocblas_complex_numIdELi16ELi32ELi8ELin1ELi0ELb0ELc67ELc85EKS1_S1_EviT_PT9_S3_lS5_S3_lPT10_S3_li.kd
    .uniform_work_group_size: 1
    .uses_dynamic_stack: false
    .vgpr_count:     52
    .vgpr_spill_count: 0
    .wavefront_size: 64
  - .args:
      - .offset:         0
        .size:           4
        .value_kind:     by_value
      - .offset:         8
        .size:           8
        .value_kind:     by_value
      - .address_space:  global
        .offset:         16
        .size:           8
        .value_kind:     global_buffer
      - .offset:         24
        .size:           8
        .value_kind:     by_value
      - .offset:         32
        .size:           8
        .value_kind:     by_value
      - .address_space:  global
        .offset:         40
        .size:           8
        .value_kind:     global_buffer
      - .offset:         48
        .size:           8
        .value_kind:     by_value
      - .offset:         56
        .size:           8
        .value_kind:     by_value
      - .address_space:  global
        .offset:         64
        .size:           8
        .value_kind:     global_buffer
      - .offset:         72
        .size:           8
        .value_kind:     by_value
      - .offset:         80
        .size:           8
        .value_kind:     by_value
      - .offset:         88
        .size:           4
        .value_kind:     by_value
    .group_segment_fixed_size: 8192
    .kernarg_segment_align: 8
    .kernarg_segment_size: 92
    .language:       OpenCL C
    .language_version:
      - 2
      - 0
    .max_flat_workgroup_size: 256
    .name:           _ZL37rocblas_syrkx_herkx_restricted_kernelIl19rocblas_complex_numIdELi16ELi32ELi8ELin1ELi0ELb0ELc78ELc85EKS1_S1_EviT_PT9_S3_lS5_S3_lPT10_S3_li
    .private_segment_fixed_size: 0
    .sgpr_count:     32
    .sgpr_spill_count: 0
    .symbol:         _ZL37rocblas_syrkx_herkx_restricted_kernelIl19rocblas_complex_numIdELi16ELi32ELi8ELin1ELi0ELb0ELc78ELc85EKS1_S1_EviT_PT9_S3_lS5_S3_lPT10_S3_li.kd
    .uniform_work_group_size: 1
    .uses_dynamic_stack: false
    .vgpr_count:     54
    .vgpr_spill_count: 0
    .wavefront_size: 64
  - .args:
      - .offset:         0
        .size:           4
        .value_kind:     by_value
      - .offset:         8
        .size:           8
        .value_kind:     by_value
      - .offset:         16
        .size:           16
        .value_kind:     by_value
      - .address_space:  global
        .offset:         32
        .size:           8
        .value_kind:     global_buffer
      - .offset:         40
        .size:           8
        .value_kind:     by_value
      - .offset:         48
        .size:           8
        .value_kind:     by_value
      - .address_space:  global
        .offset:         56
        .size:           8
        .value_kind:     global_buffer
      - .offset:         64
        .size:           8
        .value_kind:     by_value
      - .offset:         72
        .size:           8
        .value_kind:     by_value
      - .offset:         80
        .size:           16
        .value_kind:     by_value
      - .address_space:  global
        .offset:         96
        .size:           8
        .value_kind:     global_buffer
      - .offset:         104
        .size:           8
        .value_kind:     by_value
      - .offset:         112
        .size:           8
        .value_kind:     by_value
      - .offset:         120
        .size:           4
        .value_kind:     by_value
    .group_segment_fixed_size: 8192
    .kernarg_segment_align: 8
    .kernarg_segment_size: 124
    .language:       OpenCL C
    .language_version:
      - 2
      - 0
    .max_flat_workgroup_size: 256
    .name:           _ZL37rocblas_syrkx_herkx_restricted_kernelIl19rocblas_complex_numIdELi16ELi32ELi8ELb1ELb0ELc84ELc76EKS1_S1_EviT_T0_PT8_S3_lS6_S3_lS4_PT9_S3_li
    .private_segment_fixed_size: 0
    .sgpr_count:     32
    .sgpr_spill_count: 0
    .symbol:         _ZL37rocblas_syrkx_herkx_restricted_kernelIl19rocblas_complex_numIdELi16ELi32ELi8ELb1ELb0ELc84ELc76EKS1_S1_EviT_T0_PT8_S3_lS6_S3_lS4_PT9_S3_li.kd
    .uniform_work_group_size: 1
    .uses_dynamic_stack: false
    .vgpr_count:     52
    .vgpr_spill_count: 0
    .wavefront_size: 64
  - .args:
      - .offset:         0
        .size:           4
        .value_kind:     by_value
      - .offset:         8
        .size:           8
        .value_kind:     by_value
      - .offset:         16
        .size:           16
        .value_kind:     by_value
      - .address_space:  global
        .offset:         32
        .size:           8
        .value_kind:     global_buffer
      - .offset:         40
        .size:           8
        .value_kind:     by_value
      - .offset:         48
        .size:           8
        .value_kind:     by_value
      - .address_space:  global
        .offset:         56
        .size:           8
        .value_kind:     global_buffer
      - .offset:         64
        .size:           8
        .value_kind:     by_value
      - .offset:         72
        .size:           8
        .value_kind:     by_value
      - .offset:         80
        .size:           16
        .value_kind:     by_value
      - .address_space:  global
        .offset:         96
        .size:           8
        .value_kind:     global_buffer
      - .offset:         104
        .size:           8
        .value_kind:     by_value
      - .offset:         112
        .size:           8
        .value_kind:     by_value
      - .offset:         120
        .size:           4
        .value_kind:     by_value
    .group_segment_fixed_size: 8192
    .kernarg_segment_align: 8
    .kernarg_segment_size: 124
    .language:       OpenCL C
    .language_version:
      - 2
      - 0
    .max_flat_workgroup_size: 256
    .name:           _ZL37rocblas_syrkx_herkx_restricted_kernelIl19rocblas_complex_numIdELi16ELi32ELi8ELb1ELb0ELc67ELc76EKS1_S1_EviT_T0_PT8_S3_lS6_S3_lS4_PT9_S3_li
    .private_segment_fixed_size: 0
    .sgpr_count:     32
    .sgpr_spill_count: 0
    .symbol:         _ZL37rocblas_syrkx_herkx_restricted_kernelIl19rocblas_complex_numIdELi16ELi32ELi8ELb1ELb0ELc67ELc76EKS1_S1_EviT_T0_PT8_S3_lS6_S3_lS4_PT9_S3_li.kd
    .uniform_work_group_size: 1
    .uses_dynamic_stack: false
    .vgpr_count:     52
    .vgpr_spill_count: 0
    .wavefront_size: 64
  - .args:
      - .offset:         0
        .size:           4
        .value_kind:     by_value
      - .offset:         8
        .size:           8
        .value_kind:     by_value
      - .offset:         16
        .size:           16
        .value_kind:     by_value
      - .address_space:  global
        .offset:         32
        .size:           8
        .value_kind:     global_buffer
      - .offset:         40
        .size:           8
        .value_kind:     by_value
      - .offset:         48
        .size:           8
        .value_kind:     by_value
      - .address_space:  global
        .offset:         56
        .size:           8
        .value_kind:     global_buffer
      - .offset:         64
        .size:           8
        .value_kind:     by_value
      - .offset:         72
        .size:           8
        .value_kind:     by_value
      - .offset:         80
        .size:           16
        .value_kind:     by_value
      - .address_space:  global
        .offset:         96
        .size:           8
        .value_kind:     global_buffer
      - .offset:         104
        .size:           8
        .value_kind:     by_value
      - .offset:         112
        .size:           8
        .value_kind:     by_value
      - .offset:         120
        .size:           4
        .value_kind:     by_value
    .group_segment_fixed_size: 8192
    .kernarg_segment_align: 8
    .kernarg_segment_size: 124
    .language:       OpenCL C
    .language_version:
      - 2
      - 0
    .max_flat_workgroup_size: 256
    .name:           _ZL37rocblas_syrkx_herkx_restricted_kernelIl19rocblas_complex_numIdELi16ELi32ELi8ELb1ELb0ELc78ELc76EKS1_S1_EviT_T0_PT8_S3_lS6_S3_lS4_PT9_S3_li
    .private_segment_fixed_size: 0
    .sgpr_count:     32
    .sgpr_spill_count: 0
    .symbol:         _ZL37rocblas_syrkx_herkx_restricted_kernelIl19rocblas_complex_numIdELi16ELi32ELi8ELb1ELb0ELc78ELc76EKS1_S1_EviT_T0_PT8_S3_lS6_S3_lS4_PT9_S3_li.kd
    .uniform_work_group_size: 1
    .uses_dynamic_stack: false
    .vgpr_count:     54
    .vgpr_spill_count: 0
    .wavefront_size: 64
  - .args:
      - .offset:         0
        .size:           4
        .value_kind:     by_value
      - .offset:         8
        .size:           8
        .value_kind:     by_value
      - .offset:         16
        .size:           16
        .value_kind:     by_value
      - .address_space:  global
        .offset:         32
        .size:           8
        .value_kind:     global_buffer
      - .offset:         40
        .size:           8
        .value_kind:     by_value
      - .offset:         48
        .size:           8
        .value_kind:     by_value
      - .address_space:  global
        .offset:         56
        .size:           8
        .value_kind:     global_buffer
      - .offset:         64
        .size:           8
        .value_kind:     by_value
      - .offset:         72
        .size:           8
        .value_kind:     by_value
      - .offset:         80
        .size:           16
        .value_kind:     by_value
      - .address_space:  global
        .offset:         96
        .size:           8
        .value_kind:     global_buffer
      - .offset:         104
        .size:           8
        .value_kind:     by_value
      - .offset:         112
        .size:           8
        .value_kind:     by_value
      - .offset:         120
        .size:           4
        .value_kind:     by_value
    .group_segment_fixed_size: 8192
    .kernarg_segment_align: 8
    .kernarg_segment_size: 124
    .language:       OpenCL C
    .language_version:
      - 2
      - 0
    .max_flat_workgroup_size: 256
    .name:           _ZL37rocblas_syrkx_herkx_restricted_kernelIl19rocblas_complex_numIdELi16ELi32ELi8ELb1ELb0ELc84ELc85EKS1_S1_EviT_T0_PT8_S3_lS6_S3_lS4_PT9_S3_li
    .private_segment_fixed_size: 0
    .sgpr_count:     32
    .sgpr_spill_count: 0
    .symbol:         _ZL37rocblas_syrkx_herkx_restricted_kernelIl19rocblas_complex_numIdELi16ELi32ELi8ELb1ELb0ELc84ELc85EKS1_S1_EviT_T0_PT8_S3_lS6_S3_lS4_PT9_S3_li.kd
    .uniform_work_group_size: 1
    .uses_dynamic_stack: false
    .vgpr_count:     52
    .vgpr_spill_count: 0
    .wavefront_size: 64
  - .args:
      - .offset:         0
        .size:           4
        .value_kind:     by_value
      - .offset:         8
        .size:           8
        .value_kind:     by_value
      - .offset:         16
        .size:           16
        .value_kind:     by_value
      - .address_space:  global
        .offset:         32
        .size:           8
        .value_kind:     global_buffer
      - .offset:         40
        .size:           8
        .value_kind:     by_value
      - .offset:         48
        .size:           8
        .value_kind:     by_value
      - .address_space:  global
        .offset:         56
        .size:           8
        .value_kind:     global_buffer
      - .offset:         64
        .size:           8
        .value_kind:     by_value
      - .offset:         72
        .size:           8
        .value_kind:     by_value
      - .offset:         80
        .size:           16
        .value_kind:     by_value
      - .address_space:  global
        .offset:         96
        .size:           8
        .value_kind:     global_buffer
      - .offset:         104
        .size:           8
        .value_kind:     by_value
      - .offset:         112
        .size:           8
        .value_kind:     by_value
      - .offset:         120
        .size:           4
        .value_kind:     by_value
    .group_segment_fixed_size: 8192
    .kernarg_segment_align: 8
    .kernarg_segment_size: 124
    .language:       OpenCL C
    .language_version:
      - 2
      - 0
    .max_flat_workgroup_size: 256
    .name:           _ZL37rocblas_syrkx_herkx_restricted_kernelIl19rocblas_complex_numIdELi16ELi32ELi8ELb1ELb0ELc67ELc85EKS1_S1_EviT_T0_PT8_S3_lS6_S3_lS4_PT9_S3_li
    .private_segment_fixed_size: 0
    .sgpr_count:     32
    .sgpr_spill_count: 0
    .symbol:         _ZL37rocblas_syrkx_herkx_restricted_kernelIl19rocblas_complex_numIdELi16ELi32ELi8ELb1ELb0ELc67ELc85EKS1_S1_EviT_T0_PT8_S3_lS6_S3_lS4_PT9_S3_li.kd
    .uniform_work_group_size: 1
    .uses_dynamic_stack: false
    .vgpr_count:     52
    .vgpr_spill_count: 0
    .wavefront_size: 64
  - .args:
      - .offset:         0
        .size:           4
        .value_kind:     by_value
      - .offset:         8
        .size:           8
        .value_kind:     by_value
      - .offset:         16
        .size:           16
        .value_kind:     by_value
      - .address_space:  global
        .offset:         32
        .size:           8
        .value_kind:     global_buffer
      - .offset:         40
        .size:           8
        .value_kind:     by_value
      - .offset:         48
        .size:           8
        .value_kind:     by_value
      - .address_space:  global
        .offset:         56
        .size:           8
        .value_kind:     global_buffer
      - .offset:         64
        .size:           8
        .value_kind:     by_value
      - .offset:         72
        .size:           8
        .value_kind:     by_value
      - .offset:         80
        .size:           16
        .value_kind:     by_value
      - .address_space:  global
        .offset:         96
        .size:           8
        .value_kind:     global_buffer
      - .offset:         104
        .size:           8
        .value_kind:     by_value
      - .offset:         112
        .size:           8
        .value_kind:     by_value
      - .offset:         120
        .size:           4
        .value_kind:     by_value
    .group_segment_fixed_size: 8192
    .kernarg_segment_align: 8
    .kernarg_segment_size: 124
    .language:       OpenCL C
    .language_version:
      - 2
      - 0
    .max_flat_workgroup_size: 256
    .name:           _ZL37rocblas_syrkx_herkx_restricted_kernelIl19rocblas_complex_numIdELi16ELi32ELi8ELb1ELb0ELc78ELc85EKS1_S1_EviT_T0_PT8_S3_lS6_S3_lS4_PT9_S3_li
    .private_segment_fixed_size: 0
    .sgpr_count:     32
    .sgpr_spill_count: 0
    .symbol:         _ZL37rocblas_syrkx_herkx_restricted_kernelIl19rocblas_complex_numIdELi16ELi32ELi8ELb1ELb0ELc78ELc85EKS1_S1_EviT_T0_PT8_S3_lS6_S3_lS4_PT9_S3_li.kd
    .uniform_work_group_size: 1
    .uses_dynamic_stack: false
    .vgpr_count:     54
    .vgpr_spill_count: 0
    .wavefront_size: 64
  - .args:
      - .offset:         0
        .size:           4
        .value_kind:     by_value
      - .offset:         8
        .size:           8
        .value_kind:     by_value
      - .offset:         16
        .size:           16
        .value_kind:     by_value
      - .address_space:  global
        .offset:         32
        .size:           8
        .value_kind:     global_buffer
      - .offset:         40
        .size:           8
        .value_kind:     by_value
      - .offset:         48
        .size:           8
        .value_kind:     by_value
      - .address_space:  global
        .offset:         56
        .size:           8
        .value_kind:     global_buffer
      - .offset:         64
        .size:           8
        .value_kind:     by_value
      - .offset:         72
        .size:           8
        .value_kind:     by_value
      - .offset:         80
        .size:           16
        .value_kind:     by_value
      - .address_space:  global
        .offset:         96
        .size:           8
        .value_kind:     global_buffer
      - .offset:         104
        .size:           8
        .value_kind:     by_value
      - .offset:         112
        .size:           8
        .value_kind:     by_value
      - .offset:         120
        .size:           4
        .value_kind:     by_value
    .group_segment_fixed_size: 8192
    .kernarg_segment_align: 8
    .kernarg_segment_size: 124
    .language:       OpenCL C
    .language_version:
      - 2
      - 0
    .max_flat_workgroup_size: 256
    .name:           _ZL37rocblas_syrkx_herkx_restricted_kernelIl19rocblas_complex_numIdELi16ELi32ELi8ELb0ELb0ELc84ELc76EKS1_S1_EviT_T0_PT8_S3_lS6_S3_lS4_PT9_S3_li
    .private_segment_fixed_size: 0
    .sgpr_count:     48
    .sgpr_spill_count: 0
    .symbol:         _ZL37rocblas_syrkx_herkx_restricted_kernelIl19rocblas_complex_numIdELi16ELi32ELi8ELb0ELb0ELc84ELc76EKS1_S1_EviT_T0_PT8_S3_lS6_S3_lS4_PT9_S3_li.kd
    .uniform_work_group_size: 1
    .uses_dynamic_stack: false
    .vgpr_count:     54
    .vgpr_spill_count: 0
    .wavefront_size: 64
  - .args:
      - .offset:         0
        .size:           4
        .value_kind:     by_value
      - .offset:         8
        .size:           8
        .value_kind:     by_value
      - .offset:         16
        .size:           16
        .value_kind:     by_value
      - .address_space:  global
        .offset:         32
        .size:           8
        .value_kind:     global_buffer
      - .offset:         40
        .size:           8
        .value_kind:     by_value
      - .offset:         48
        .size:           8
        .value_kind:     by_value
      - .address_space:  global
        .offset:         56
        .size:           8
        .value_kind:     global_buffer
      - .offset:         64
        .size:           8
        .value_kind:     by_value
      - .offset:         72
        .size:           8
        .value_kind:     by_value
      - .offset:         80
        .size:           16
        .value_kind:     by_value
      - .address_space:  global
        .offset:         96
        .size:           8
        .value_kind:     global_buffer
      - .offset:         104
        .size:           8
        .value_kind:     by_value
      - .offset:         112
        .size:           8
        .value_kind:     by_value
      - .offset:         120
        .size:           4
        .value_kind:     by_value
    .group_segment_fixed_size: 8192
    .kernarg_segment_align: 8
    .kernarg_segment_size: 124
    .language:       OpenCL C
    .language_version:
      - 2
      - 0
    .max_flat_workgroup_size: 256
    .name:           _ZL37rocblas_syrkx_herkx_restricted_kernelIl19rocblas_complex_numIdELi16ELi32ELi8ELb0ELb0ELc67ELc76EKS1_S1_EviT_T0_PT8_S3_lS6_S3_lS4_PT9_S3_li
    .private_segment_fixed_size: 0
    .sgpr_count:     48
    .sgpr_spill_count: 0
    .symbol:         _ZL37rocblas_syrkx_herkx_restricted_kernelIl19rocblas_complex_numIdELi16ELi32ELi8ELb0ELb0ELc67ELc76EKS1_S1_EviT_T0_PT8_S3_lS6_S3_lS4_PT9_S3_li.kd
    .uniform_work_group_size: 1
    .uses_dynamic_stack: false
    .vgpr_count:     54
    .vgpr_spill_count: 0
    .wavefront_size: 64
  - .args:
      - .offset:         0
        .size:           4
        .value_kind:     by_value
      - .offset:         8
        .size:           8
        .value_kind:     by_value
      - .offset:         16
        .size:           16
        .value_kind:     by_value
      - .address_space:  global
        .offset:         32
        .size:           8
        .value_kind:     global_buffer
      - .offset:         40
        .size:           8
        .value_kind:     by_value
      - .offset:         48
        .size:           8
        .value_kind:     by_value
      - .address_space:  global
        .offset:         56
        .size:           8
        .value_kind:     global_buffer
      - .offset:         64
        .size:           8
        .value_kind:     by_value
      - .offset:         72
        .size:           8
        .value_kind:     by_value
      - .offset:         80
        .size:           16
        .value_kind:     by_value
      - .address_space:  global
        .offset:         96
        .size:           8
        .value_kind:     global_buffer
      - .offset:         104
        .size:           8
        .value_kind:     by_value
      - .offset:         112
        .size:           8
        .value_kind:     by_value
      - .offset:         120
        .size:           4
        .value_kind:     by_value
    .group_segment_fixed_size: 8192
    .kernarg_segment_align: 8
    .kernarg_segment_size: 124
    .language:       OpenCL C
    .language_version:
      - 2
      - 0
    .max_flat_workgroup_size: 256
    .name:           _ZL37rocblas_syrkx_herkx_restricted_kernelIl19rocblas_complex_numIdELi16ELi32ELi8ELb0ELb0ELc78ELc76EKS1_S1_EviT_T0_PT8_S3_lS6_S3_lS4_PT9_S3_li
    .private_segment_fixed_size: 0
    .sgpr_count:     48
    .sgpr_spill_count: 0
    .symbol:         _ZL37rocblas_syrkx_herkx_restricted_kernelIl19rocblas_complex_numIdELi16ELi32ELi8ELb0ELb0ELc78ELc76EKS1_S1_EviT_T0_PT8_S3_lS6_S3_lS4_PT9_S3_li.kd
    .uniform_work_group_size: 1
    .uses_dynamic_stack: false
    .vgpr_count:     54
    .vgpr_spill_count: 0
    .wavefront_size: 64
  - .args:
      - .offset:         0
        .size:           4
        .value_kind:     by_value
      - .offset:         8
        .size:           8
        .value_kind:     by_value
      - .offset:         16
        .size:           16
        .value_kind:     by_value
      - .address_space:  global
        .offset:         32
        .size:           8
        .value_kind:     global_buffer
      - .offset:         40
        .size:           8
        .value_kind:     by_value
      - .offset:         48
        .size:           8
        .value_kind:     by_value
      - .address_space:  global
        .offset:         56
        .size:           8
        .value_kind:     global_buffer
      - .offset:         64
        .size:           8
        .value_kind:     by_value
      - .offset:         72
        .size:           8
        .value_kind:     by_value
      - .offset:         80
        .size:           16
        .value_kind:     by_value
      - .address_space:  global
        .offset:         96
        .size:           8
        .value_kind:     global_buffer
      - .offset:         104
        .size:           8
        .value_kind:     by_value
      - .offset:         112
        .size:           8
        .value_kind:     by_value
      - .offset:         120
        .size:           4
        .value_kind:     by_value
    .group_segment_fixed_size: 8192
    .kernarg_segment_align: 8
    .kernarg_segment_size: 124
    .language:       OpenCL C
    .language_version:
      - 2
      - 0
    .max_flat_workgroup_size: 256
    .name:           _ZL37rocblas_syrkx_herkx_restricted_kernelIl19rocblas_complex_numIdELi16ELi32ELi8ELb0ELb0ELc84ELc85EKS1_S1_EviT_T0_PT8_S3_lS6_S3_lS4_PT9_S3_li
    .private_segment_fixed_size: 0
    .sgpr_count:     48
    .sgpr_spill_count: 0
    .symbol:         _ZL37rocblas_syrkx_herkx_restricted_kernelIl19rocblas_complex_numIdELi16ELi32ELi8ELb0ELb0ELc84ELc85EKS1_S1_EviT_T0_PT8_S3_lS6_S3_lS4_PT9_S3_li.kd
    .uniform_work_group_size: 1
    .uses_dynamic_stack: false
    .vgpr_count:     54
    .vgpr_spill_count: 0
    .wavefront_size: 64
  - .args:
      - .offset:         0
        .size:           4
        .value_kind:     by_value
      - .offset:         8
        .size:           8
        .value_kind:     by_value
      - .offset:         16
        .size:           16
        .value_kind:     by_value
      - .address_space:  global
        .offset:         32
        .size:           8
        .value_kind:     global_buffer
      - .offset:         40
        .size:           8
        .value_kind:     by_value
      - .offset:         48
        .size:           8
        .value_kind:     by_value
      - .address_space:  global
        .offset:         56
        .size:           8
        .value_kind:     global_buffer
      - .offset:         64
        .size:           8
        .value_kind:     by_value
      - .offset:         72
        .size:           8
        .value_kind:     by_value
      - .offset:         80
        .size:           16
        .value_kind:     by_value
      - .address_space:  global
        .offset:         96
        .size:           8
        .value_kind:     global_buffer
      - .offset:         104
        .size:           8
        .value_kind:     by_value
      - .offset:         112
        .size:           8
        .value_kind:     by_value
      - .offset:         120
        .size:           4
        .value_kind:     by_value
    .group_segment_fixed_size: 8192
    .kernarg_segment_align: 8
    .kernarg_segment_size: 124
    .language:       OpenCL C
    .language_version:
      - 2
      - 0
    .max_flat_workgroup_size: 256
    .name:           _ZL37rocblas_syrkx_herkx_restricted_kernelIl19rocblas_complex_numIdELi16ELi32ELi8ELb0ELb0ELc67ELc85EKS1_S1_EviT_T0_PT8_S3_lS6_S3_lS4_PT9_S3_li
    .private_segment_fixed_size: 0
    .sgpr_count:     48
    .sgpr_spill_count: 0
    .symbol:         _ZL37rocblas_syrkx_herkx_restricted_kernelIl19rocblas_complex_numIdELi16ELi32ELi8ELb0ELb0ELc67ELc85EKS1_S1_EviT_T0_PT8_S3_lS6_S3_lS4_PT9_S3_li.kd
    .uniform_work_group_size: 1
    .uses_dynamic_stack: false
    .vgpr_count:     54
    .vgpr_spill_count: 0
    .wavefront_size: 64
  - .args:
      - .offset:         0
        .size:           4
        .value_kind:     by_value
      - .offset:         8
        .size:           8
        .value_kind:     by_value
      - .offset:         16
        .size:           16
        .value_kind:     by_value
      - .address_space:  global
        .offset:         32
        .size:           8
        .value_kind:     global_buffer
      - .offset:         40
        .size:           8
        .value_kind:     by_value
      - .offset:         48
        .size:           8
        .value_kind:     by_value
      - .address_space:  global
        .offset:         56
        .size:           8
        .value_kind:     global_buffer
      - .offset:         64
        .size:           8
        .value_kind:     by_value
      - .offset:         72
        .size:           8
        .value_kind:     by_value
      - .offset:         80
        .size:           16
        .value_kind:     by_value
      - .address_space:  global
        .offset:         96
        .size:           8
        .value_kind:     global_buffer
      - .offset:         104
        .size:           8
        .value_kind:     by_value
      - .offset:         112
        .size:           8
        .value_kind:     by_value
      - .offset:         120
        .size:           4
        .value_kind:     by_value
    .group_segment_fixed_size: 8192
    .kernarg_segment_align: 8
    .kernarg_segment_size: 124
    .language:       OpenCL C
    .language_version:
      - 2
      - 0
    .max_flat_workgroup_size: 256
    .name:           _ZL37rocblas_syrkx_herkx_restricted_kernelIl19rocblas_complex_numIdELi16ELi32ELi8ELb0ELb0ELc78ELc85EKS1_S1_EviT_T0_PT8_S3_lS6_S3_lS4_PT9_S3_li
    .private_segment_fixed_size: 0
    .sgpr_count:     48
    .sgpr_spill_count: 0
    .symbol:         _ZL37rocblas_syrkx_herkx_restricted_kernelIl19rocblas_complex_numIdELi16ELi32ELi8ELb0ELb0ELc78ELc85EKS1_S1_EviT_T0_PT8_S3_lS6_S3_lS4_PT9_S3_li.kd
    .uniform_work_group_size: 1
    .uses_dynamic_stack: false
    .vgpr_count:     54
    .vgpr_spill_count: 0
    .wavefront_size: 64
  - .args:
      - .offset:         0
        .size:           4
        .value_kind:     by_value
      - .offset:         8
        .size:           8
        .value_kind:     by_value
      - .offset:         16
        .size:           16
        .value_kind:     by_value
      - .address_space:  global
        .offset:         32
        .size:           8
        .value_kind:     global_buffer
      - .offset:         40
        .size:           8
        .value_kind:     by_value
      - .offset:         48
        .size:           8
        .value_kind:     by_value
      - .address_space:  global
        .offset:         56
        .size:           8
        .value_kind:     global_buffer
      - .offset:         64
        .size:           8
        .value_kind:     by_value
      - .offset:         72
        .size:           8
        .value_kind:     by_value
      - .offset:         80
        .size:           16
        .value_kind:     by_value
      - .address_space:  global
        .offset:         96
        .size:           8
        .value_kind:     global_buffer
      - .offset:         104
        .size:           8
        .value_kind:     by_value
      - .offset:         112
        .size:           8
        .value_kind:     by_value
      - .offset:         120
        .size:           4
        .value_kind:     by_value
    .group_segment_fixed_size: 8192
    .kernarg_segment_align: 8
    .kernarg_segment_size: 124
    .language:       OpenCL C
    .language_version:
      - 2
      - 0
    .max_flat_workgroup_size: 256
    .name:           _ZL41rocblas_syrkx_herkx_small_restrict_kernelIl19rocblas_complex_numIdELi16ELb1ELb0ELc84ELc76EKS1_S1_EviT_T0_PT6_S3_lS6_S3_lS4_PT7_S3_li
    .private_segment_fixed_size: 0
    .sgpr_count:     32
    .sgpr_spill_count: 0
    .symbol:         _ZL41rocblas_syrkx_herkx_small_restrict_kernelIl19rocblas_complex_numIdELi16ELb1ELb0ELc84ELc76EKS1_S1_EviT_T0_PT6_S3_lS6_S3_lS4_PT7_S3_li.kd
    .uniform_work_group_size: 1
    .uses_dynamic_stack: false
    .vgpr_count:     40
    .vgpr_spill_count: 0
    .wavefront_size: 64
  - .args:
      - .offset:         0
        .size:           4
        .value_kind:     by_value
      - .offset:         8
        .size:           8
        .value_kind:     by_value
      - .offset:         16
        .size:           16
        .value_kind:     by_value
      - .address_space:  global
        .offset:         32
        .size:           8
        .value_kind:     global_buffer
      - .offset:         40
        .size:           8
        .value_kind:     by_value
      - .offset:         48
        .size:           8
        .value_kind:     by_value
      - .address_space:  global
        .offset:         56
        .size:           8
        .value_kind:     global_buffer
      - .offset:         64
        .size:           8
        .value_kind:     by_value
      - .offset:         72
        .size:           8
        .value_kind:     by_value
      - .offset:         80
        .size:           16
        .value_kind:     by_value
      - .address_space:  global
        .offset:         96
        .size:           8
        .value_kind:     global_buffer
      - .offset:         104
        .size:           8
        .value_kind:     by_value
      - .offset:         112
        .size:           8
        .value_kind:     by_value
      - .offset:         120
        .size:           4
        .value_kind:     by_value
    .group_segment_fixed_size: 8192
    .kernarg_segment_align: 8
    .kernarg_segment_size: 124
    .language:       OpenCL C
    .language_version:
      - 2
      - 0
    .max_flat_workgroup_size: 256
    .name:           _ZL41rocblas_syrkx_herkx_small_restrict_kernelIl19rocblas_complex_numIdELi16ELb1ELb0ELc67ELc76EKS1_S1_EviT_T0_PT6_S3_lS6_S3_lS4_PT7_S3_li
    .private_segment_fixed_size: 0
    .sgpr_count:     32
    .sgpr_spill_count: 0
    .symbol:         _ZL41rocblas_syrkx_herkx_small_restrict_kernelIl19rocblas_complex_numIdELi16ELb1ELb0ELc67ELc76EKS1_S1_EviT_T0_PT6_S3_lS6_S3_lS4_PT7_S3_li.kd
    .uniform_work_group_size: 1
    .uses_dynamic_stack: false
    .vgpr_count:     40
    .vgpr_spill_count: 0
    .wavefront_size: 64
  - .args:
      - .offset:         0
        .size:           4
        .value_kind:     by_value
      - .offset:         8
        .size:           8
        .value_kind:     by_value
      - .offset:         16
        .size:           16
        .value_kind:     by_value
      - .address_space:  global
        .offset:         32
        .size:           8
        .value_kind:     global_buffer
      - .offset:         40
        .size:           8
        .value_kind:     by_value
      - .offset:         48
        .size:           8
        .value_kind:     by_value
      - .address_space:  global
        .offset:         56
        .size:           8
        .value_kind:     global_buffer
      - .offset:         64
        .size:           8
        .value_kind:     by_value
      - .offset:         72
        .size:           8
        .value_kind:     by_value
      - .offset:         80
        .size:           16
        .value_kind:     by_value
      - .address_space:  global
        .offset:         96
        .size:           8
        .value_kind:     global_buffer
      - .offset:         104
        .size:           8
        .value_kind:     by_value
      - .offset:         112
        .size:           8
        .value_kind:     by_value
      - .offset:         120
        .size:           4
        .value_kind:     by_value
    .group_segment_fixed_size: 8192
    .kernarg_segment_align: 8
    .kernarg_segment_size: 124
    .language:       OpenCL C
    .language_version:
      - 2
      - 0
    .max_flat_workgroup_size: 256
    .name:           _ZL41rocblas_syrkx_herkx_small_restrict_kernelIl19rocblas_complex_numIdELi16ELb1ELb0ELc78ELc76EKS1_S1_EviT_T0_PT6_S3_lS6_S3_lS4_PT7_S3_li
    .private_segment_fixed_size: 0
    .sgpr_count:     32
    .sgpr_spill_count: 0
    .symbol:         _ZL41rocblas_syrkx_herkx_small_restrict_kernelIl19rocblas_complex_numIdELi16ELb1ELb0ELc78ELc76EKS1_S1_EviT_T0_PT6_S3_lS6_S3_lS4_PT7_S3_li.kd
    .uniform_work_group_size: 1
    .uses_dynamic_stack: false
    .vgpr_count:     42
    .vgpr_spill_count: 0
    .wavefront_size: 64
  - .args:
      - .offset:         0
        .size:           4
        .value_kind:     by_value
      - .offset:         8
        .size:           8
        .value_kind:     by_value
      - .offset:         16
        .size:           16
        .value_kind:     by_value
      - .address_space:  global
        .offset:         32
        .size:           8
        .value_kind:     global_buffer
      - .offset:         40
        .size:           8
        .value_kind:     by_value
      - .offset:         48
        .size:           8
        .value_kind:     by_value
      - .address_space:  global
        .offset:         56
        .size:           8
        .value_kind:     global_buffer
      - .offset:         64
        .size:           8
        .value_kind:     by_value
      - .offset:         72
        .size:           8
        .value_kind:     by_value
      - .offset:         80
        .size:           16
        .value_kind:     by_value
      - .address_space:  global
        .offset:         96
        .size:           8
        .value_kind:     global_buffer
      - .offset:         104
        .size:           8
        .value_kind:     by_value
      - .offset:         112
        .size:           8
        .value_kind:     by_value
      - .offset:         120
        .size:           4
        .value_kind:     by_value
    .group_segment_fixed_size: 8192
    .kernarg_segment_align: 8
    .kernarg_segment_size: 124
    .language:       OpenCL C
    .language_version:
      - 2
      - 0
    .max_flat_workgroup_size: 256
    .name:           _ZL41rocblas_syrkx_herkx_small_restrict_kernelIl19rocblas_complex_numIdELi16ELb1ELb0ELc84ELc85EKS1_S1_EviT_T0_PT6_S3_lS6_S3_lS4_PT7_S3_li
    .private_segment_fixed_size: 0
    .sgpr_count:     32
    .sgpr_spill_count: 0
    .symbol:         _ZL41rocblas_syrkx_herkx_small_restrict_kernelIl19rocblas_complex_numIdELi16ELb1ELb0ELc84ELc85EKS1_S1_EviT_T0_PT6_S3_lS6_S3_lS4_PT7_S3_li.kd
    .uniform_work_group_size: 1
    .uses_dynamic_stack: false
    .vgpr_count:     40
    .vgpr_spill_count: 0
    .wavefront_size: 64
  - .args:
      - .offset:         0
        .size:           4
        .value_kind:     by_value
      - .offset:         8
        .size:           8
        .value_kind:     by_value
      - .offset:         16
        .size:           16
        .value_kind:     by_value
      - .address_space:  global
        .offset:         32
        .size:           8
        .value_kind:     global_buffer
      - .offset:         40
        .size:           8
        .value_kind:     by_value
      - .offset:         48
        .size:           8
        .value_kind:     by_value
      - .address_space:  global
        .offset:         56
        .size:           8
        .value_kind:     global_buffer
      - .offset:         64
        .size:           8
        .value_kind:     by_value
      - .offset:         72
        .size:           8
        .value_kind:     by_value
      - .offset:         80
        .size:           16
        .value_kind:     by_value
      - .address_space:  global
        .offset:         96
        .size:           8
        .value_kind:     global_buffer
      - .offset:         104
        .size:           8
        .value_kind:     by_value
      - .offset:         112
        .size:           8
        .value_kind:     by_value
      - .offset:         120
        .size:           4
        .value_kind:     by_value
    .group_segment_fixed_size: 8192
    .kernarg_segment_align: 8
    .kernarg_segment_size: 124
    .language:       OpenCL C
    .language_version:
      - 2
      - 0
    .max_flat_workgroup_size: 256
    .name:           _ZL41rocblas_syrkx_herkx_small_restrict_kernelIl19rocblas_complex_numIdELi16ELb1ELb0ELc67ELc85EKS1_S1_EviT_T0_PT6_S3_lS6_S3_lS4_PT7_S3_li
    .private_segment_fixed_size: 0
    .sgpr_count:     32
    .sgpr_spill_count: 0
    .symbol:         _ZL41rocblas_syrkx_herkx_small_restrict_kernelIl19rocblas_complex_numIdELi16ELb1ELb0ELc67ELc85EKS1_S1_EviT_T0_PT6_S3_lS6_S3_lS4_PT7_S3_li.kd
    .uniform_work_group_size: 1
    .uses_dynamic_stack: false
    .vgpr_count:     40
    .vgpr_spill_count: 0
    .wavefront_size: 64
  - .args:
      - .offset:         0
        .size:           4
        .value_kind:     by_value
      - .offset:         8
        .size:           8
        .value_kind:     by_value
      - .offset:         16
        .size:           16
        .value_kind:     by_value
      - .address_space:  global
        .offset:         32
        .size:           8
        .value_kind:     global_buffer
      - .offset:         40
        .size:           8
        .value_kind:     by_value
      - .offset:         48
        .size:           8
        .value_kind:     by_value
      - .address_space:  global
        .offset:         56
        .size:           8
        .value_kind:     global_buffer
      - .offset:         64
        .size:           8
        .value_kind:     by_value
      - .offset:         72
        .size:           8
        .value_kind:     by_value
      - .offset:         80
        .size:           16
        .value_kind:     by_value
      - .address_space:  global
        .offset:         96
        .size:           8
        .value_kind:     global_buffer
      - .offset:         104
        .size:           8
        .value_kind:     by_value
      - .offset:         112
        .size:           8
        .value_kind:     by_value
      - .offset:         120
        .size:           4
        .value_kind:     by_value
    .group_segment_fixed_size: 8192
    .kernarg_segment_align: 8
    .kernarg_segment_size: 124
    .language:       OpenCL C
    .language_version:
      - 2
      - 0
    .max_flat_workgroup_size: 256
    .name:           _ZL41rocblas_syrkx_herkx_small_restrict_kernelIl19rocblas_complex_numIdELi16ELb1ELb0ELc78ELc85EKS1_S1_EviT_T0_PT6_S3_lS6_S3_lS4_PT7_S3_li
    .private_segment_fixed_size: 0
    .sgpr_count:     32
    .sgpr_spill_count: 0
    .symbol:         _ZL41rocblas_syrkx_herkx_small_restrict_kernelIl19rocblas_complex_numIdELi16ELb1ELb0ELc78ELc85EKS1_S1_EviT_T0_PT6_S3_lS6_S3_lS4_PT7_S3_li.kd
    .uniform_work_group_size: 1
    .uses_dynamic_stack: false
    .vgpr_count:     42
    .vgpr_spill_count: 0
    .wavefront_size: 64
  - .args:
      - .offset:         0
        .size:           4
        .value_kind:     by_value
      - .offset:         8
        .size:           8
        .value_kind:     by_value
      - .offset:         16
        .size:           16
        .value_kind:     by_value
      - .address_space:  global
        .offset:         32
        .size:           8
        .value_kind:     global_buffer
      - .offset:         40
        .size:           8
        .value_kind:     by_value
      - .offset:         48
        .size:           8
        .value_kind:     by_value
      - .address_space:  global
        .offset:         56
        .size:           8
        .value_kind:     global_buffer
      - .offset:         64
        .size:           8
        .value_kind:     by_value
      - .offset:         72
        .size:           8
        .value_kind:     by_value
      - .offset:         80
        .size:           16
        .value_kind:     by_value
      - .address_space:  global
        .offset:         96
        .size:           8
        .value_kind:     global_buffer
      - .offset:         104
        .size:           8
        .value_kind:     by_value
      - .offset:         112
        .size:           8
        .value_kind:     by_value
      - .offset:         120
        .size:           4
        .value_kind:     by_value
    .group_segment_fixed_size: 8192
    .kernarg_segment_align: 8
    .kernarg_segment_size: 124
    .language:       OpenCL C
    .language_version:
      - 2
      - 0
    .max_flat_workgroup_size: 256
    .name:           _ZL41rocblas_syrkx_herkx_small_restrict_kernelIl19rocblas_complex_numIdELi16ELb0ELb0ELc84ELc76EKS1_S1_EviT_T0_PT6_S3_lS6_S3_lS4_PT7_S3_li
    .private_segment_fixed_size: 0
    .sgpr_count:     48
    .sgpr_spill_count: 0
    .symbol:         _ZL41rocblas_syrkx_herkx_small_restrict_kernelIl19rocblas_complex_numIdELi16ELb0ELb0ELc84ELc76EKS1_S1_EviT_T0_PT6_S3_lS6_S3_lS4_PT7_S3_li.kd
    .uniform_work_group_size: 1
    .uses_dynamic_stack: false
    .vgpr_count:     40
    .vgpr_spill_count: 0
    .wavefront_size: 64
  - .args:
      - .offset:         0
        .size:           4
        .value_kind:     by_value
      - .offset:         8
        .size:           8
        .value_kind:     by_value
      - .offset:         16
        .size:           16
        .value_kind:     by_value
      - .address_space:  global
        .offset:         32
        .size:           8
        .value_kind:     global_buffer
      - .offset:         40
        .size:           8
        .value_kind:     by_value
      - .offset:         48
        .size:           8
        .value_kind:     by_value
      - .address_space:  global
        .offset:         56
        .size:           8
        .value_kind:     global_buffer
      - .offset:         64
        .size:           8
        .value_kind:     by_value
      - .offset:         72
        .size:           8
        .value_kind:     by_value
      - .offset:         80
        .size:           16
        .value_kind:     by_value
      - .address_space:  global
        .offset:         96
        .size:           8
        .value_kind:     global_buffer
      - .offset:         104
        .size:           8
        .value_kind:     by_value
      - .offset:         112
        .size:           8
        .value_kind:     by_value
      - .offset:         120
        .size:           4
        .value_kind:     by_value
    .group_segment_fixed_size: 8192
    .kernarg_segment_align: 8
    .kernarg_segment_size: 124
    .language:       OpenCL C
    .language_version:
      - 2
      - 0
    .max_flat_workgroup_size: 256
    .name:           _ZL41rocblas_syrkx_herkx_small_restrict_kernelIl19rocblas_complex_numIdELi16ELb0ELb0ELc67ELc76EKS1_S1_EviT_T0_PT6_S3_lS6_S3_lS4_PT7_S3_li
    .private_segment_fixed_size: 0
    .sgpr_count:     48
    .sgpr_spill_count: 0
    .symbol:         _ZL41rocblas_syrkx_herkx_small_restrict_kernelIl19rocblas_complex_numIdELi16ELb0ELb0ELc67ELc76EKS1_S1_EviT_T0_PT6_S3_lS6_S3_lS4_PT7_S3_li.kd
    .uniform_work_group_size: 1
    .uses_dynamic_stack: false
    .vgpr_count:     40
    .vgpr_spill_count: 0
    .wavefront_size: 64
  - .args:
      - .offset:         0
        .size:           4
        .value_kind:     by_value
      - .offset:         8
        .size:           8
        .value_kind:     by_value
      - .offset:         16
        .size:           16
        .value_kind:     by_value
      - .address_space:  global
        .offset:         32
        .size:           8
        .value_kind:     global_buffer
      - .offset:         40
        .size:           8
        .value_kind:     by_value
      - .offset:         48
        .size:           8
        .value_kind:     by_value
      - .address_space:  global
        .offset:         56
        .size:           8
        .value_kind:     global_buffer
      - .offset:         64
        .size:           8
        .value_kind:     by_value
      - .offset:         72
        .size:           8
        .value_kind:     by_value
      - .offset:         80
        .size:           16
        .value_kind:     by_value
      - .address_space:  global
        .offset:         96
        .size:           8
        .value_kind:     global_buffer
      - .offset:         104
        .size:           8
        .value_kind:     by_value
      - .offset:         112
        .size:           8
        .value_kind:     by_value
      - .offset:         120
        .size:           4
        .value_kind:     by_value
    .group_segment_fixed_size: 8192
    .kernarg_segment_align: 8
    .kernarg_segment_size: 124
    .language:       OpenCL C
    .language_version:
      - 2
      - 0
    .max_flat_workgroup_size: 256
    .name:           _ZL41rocblas_syrkx_herkx_small_restrict_kernelIl19rocblas_complex_numIdELi16ELb0ELb0ELc78ELc76EKS1_S1_EviT_T0_PT6_S3_lS6_S3_lS4_PT7_S3_li
    .private_segment_fixed_size: 0
    .sgpr_count:     48
    .sgpr_spill_count: 0
    .symbol:         _ZL41rocblas_syrkx_herkx_small_restrict_kernelIl19rocblas_complex_numIdELi16ELb0ELb0ELc78ELc76EKS1_S1_EviT_T0_PT6_S3_lS6_S3_lS4_PT7_S3_li.kd
    .uniform_work_group_size: 1
    .uses_dynamic_stack: false
    .vgpr_count:     42
    .vgpr_spill_count: 0
    .wavefront_size: 64
  - .args:
      - .offset:         0
        .size:           4
        .value_kind:     by_value
      - .offset:         8
        .size:           8
        .value_kind:     by_value
      - .offset:         16
        .size:           16
        .value_kind:     by_value
      - .address_space:  global
        .offset:         32
        .size:           8
        .value_kind:     global_buffer
      - .offset:         40
        .size:           8
        .value_kind:     by_value
      - .offset:         48
        .size:           8
        .value_kind:     by_value
      - .address_space:  global
        .offset:         56
        .size:           8
        .value_kind:     global_buffer
      - .offset:         64
        .size:           8
        .value_kind:     by_value
      - .offset:         72
        .size:           8
        .value_kind:     by_value
      - .offset:         80
        .size:           16
        .value_kind:     by_value
      - .address_space:  global
        .offset:         96
        .size:           8
        .value_kind:     global_buffer
      - .offset:         104
        .size:           8
        .value_kind:     by_value
      - .offset:         112
        .size:           8
        .value_kind:     by_value
      - .offset:         120
        .size:           4
        .value_kind:     by_value
    .group_segment_fixed_size: 8192
    .kernarg_segment_align: 8
    .kernarg_segment_size: 124
    .language:       OpenCL C
    .language_version:
      - 2
      - 0
    .max_flat_workgroup_size: 256
    .name:           _ZL41rocblas_syrkx_herkx_small_restrict_kernelIl19rocblas_complex_numIdELi16ELb0ELb0ELc84ELc85EKS1_S1_EviT_T0_PT6_S3_lS6_S3_lS4_PT7_S3_li
    .private_segment_fixed_size: 0
    .sgpr_count:     48
    .sgpr_spill_count: 0
    .symbol:         _ZL41rocblas_syrkx_herkx_small_restrict_kernelIl19rocblas_complex_numIdELi16ELb0ELb0ELc84ELc85EKS1_S1_EviT_T0_PT6_S3_lS6_S3_lS4_PT7_S3_li.kd
    .uniform_work_group_size: 1
    .uses_dynamic_stack: false
    .vgpr_count:     40
    .vgpr_spill_count: 0
    .wavefront_size: 64
  - .args:
      - .offset:         0
        .size:           4
        .value_kind:     by_value
      - .offset:         8
        .size:           8
        .value_kind:     by_value
      - .offset:         16
        .size:           16
        .value_kind:     by_value
      - .address_space:  global
        .offset:         32
        .size:           8
        .value_kind:     global_buffer
      - .offset:         40
        .size:           8
        .value_kind:     by_value
      - .offset:         48
        .size:           8
        .value_kind:     by_value
      - .address_space:  global
        .offset:         56
        .size:           8
        .value_kind:     global_buffer
      - .offset:         64
        .size:           8
        .value_kind:     by_value
      - .offset:         72
        .size:           8
        .value_kind:     by_value
      - .offset:         80
        .size:           16
        .value_kind:     by_value
      - .address_space:  global
        .offset:         96
        .size:           8
        .value_kind:     global_buffer
      - .offset:         104
        .size:           8
        .value_kind:     by_value
      - .offset:         112
        .size:           8
        .value_kind:     by_value
      - .offset:         120
        .size:           4
        .value_kind:     by_value
    .group_segment_fixed_size: 8192
    .kernarg_segment_align: 8
    .kernarg_segment_size: 124
    .language:       OpenCL C
    .language_version:
      - 2
      - 0
    .max_flat_workgroup_size: 256
    .name:           _ZL41rocblas_syrkx_herkx_small_restrict_kernelIl19rocblas_complex_numIdELi16ELb0ELb0ELc67ELc85EKS1_S1_EviT_T0_PT6_S3_lS6_S3_lS4_PT7_S3_li
    .private_segment_fixed_size: 0
    .sgpr_count:     48
    .sgpr_spill_count: 0
    .symbol:         _ZL41rocblas_syrkx_herkx_small_restrict_kernelIl19rocblas_complex_numIdELi16ELb0ELb0ELc67ELc85EKS1_S1_EviT_T0_PT6_S3_lS6_S3_lS4_PT7_S3_li.kd
    .uniform_work_group_size: 1
    .uses_dynamic_stack: false
    .vgpr_count:     40
    .vgpr_spill_count: 0
    .wavefront_size: 64
  - .args:
      - .offset:         0
        .size:           4
        .value_kind:     by_value
      - .offset:         8
        .size:           8
        .value_kind:     by_value
      - .offset:         16
        .size:           16
        .value_kind:     by_value
      - .address_space:  global
        .offset:         32
        .size:           8
        .value_kind:     global_buffer
      - .offset:         40
        .size:           8
        .value_kind:     by_value
      - .offset:         48
        .size:           8
        .value_kind:     by_value
      - .address_space:  global
        .offset:         56
        .size:           8
        .value_kind:     global_buffer
      - .offset:         64
        .size:           8
        .value_kind:     by_value
      - .offset:         72
        .size:           8
        .value_kind:     by_value
      - .offset:         80
        .size:           16
        .value_kind:     by_value
      - .address_space:  global
        .offset:         96
        .size:           8
        .value_kind:     global_buffer
      - .offset:         104
        .size:           8
        .value_kind:     by_value
      - .offset:         112
        .size:           8
        .value_kind:     by_value
      - .offset:         120
        .size:           4
        .value_kind:     by_value
    .group_segment_fixed_size: 8192
    .kernarg_segment_align: 8
    .kernarg_segment_size: 124
    .language:       OpenCL C
    .language_version:
      - 2
      - 0
    .max_flat_workgroup_size: 256
    .name:           _ZL41rocblas_syrkx_herkx_small_restrict_kernelIl19rocblas_complex_numIdELi16ELb0ELb0ELc78ELc85EKS1_S1_EviT_T0_PT6_S3_lS6_S3_lS4_PT7_S3_li
    .private_segment_fixed_size: 0
    .sgpr_count:     48
    .sgpr_spill_count: 0
    .symbol:         _ZL41rocblas_syrkx_herkx_small_restrict_kernelIl19rocblas_complex_numIdELi16ELb0ELb0ELc78ELc85EKS1_S1_EviT_T0_PT6_S3_lS6_S3_lS4_PT7_S3_li.kd
    .uniform_work_group_size: 1
    .uses_dynamic_stack: false
    .vgpr_count:     42
    .vgpr_spill_count: 0
    .wavefront_size: 64
  - .args:
      - .offset:         0
        .size:           4
        .value_kind:     by_value
      - .offset:         8
        .size:           8
        .value_kind:     by_value
      - .offset:         16
        .size:           16
        .value_kind:     by_value
      - .address_space:  global
        .offset:         32
        .size:           8
        .value_kind:     global_buffer
      - .offset:         40
        .size:           8
        .value_kind:     by_value
      - .offset:         48
        .size:           8
        .value_kind:     by_value
      - .address_space:  global
        .offset:         56
        .size:           8
        .value_kind:     global_buffer
      - .offset:         64
        .size:           8
        .value_kind:     by_value
      - .offset:         72
        .size:           8
        .value_kind:     by_value
      - .offset:         80
        .size:           16
        .value_kind:     by_value
      - .address_space:  global
        .offset:         96
        .size:           8
        .value_kind:     global_buffer
      - .offset:         104
        .size:           8
        .value_kind:     by_value
      - .offset:         112
        .size:           8
        .value_kind:     by_value
      - .offset:         120
        .size:           4
        .value_kind:     by_value
    .group_segment_fixed_size: 8192
    .kernarg_segment_align: 8
    .kernarg_segment_size: 124
    .language:       OpenCL C
    .language_version:
      - 2
      - 0
    .max_flat_workgroup_size: 256
    .name:           _ZL32rocblas_syrkx_herkx_small_kernelIl19rocblas_complex_numIdELi16ELb1ELb0ELc84ELc76EKS1_S1_EviT_T0_PT6_S3_lS6_S3_lS4_PT7_S3_li
    .private_segment_fixed_size: 0
    .sgpr_count:     32
    .sgpr_spill_count: 0
    .symbol:         _ZL32rocblas_syrkx_herkx_small_kernelIl19rocblas_complex_numIdELi16ELb1ELb0ELc84ELc76EKS1_S1_EviT_T0_PT6_S3_lS6_S3_lS4_PT7_S3_li.kd
    .uniform_work_group_size: 1
    .uses_dynamic_stack: false
    .vgpr_count:     44
    .vgpr_spill_count: 0
    .wavefront_size: 64
  - .args:
      - .offset:         0
        .size:           4
        .value_kind:     by_value
      - .offset:         8
        .size:           8
        .value_kind:     by_value
      - .offset:         16
        .size:           16
        .value_kind:     by_value
      - .address_space:  global
        .offset:         32
        .size:           8
        .value_kind:     global_buffer
      - .offset:         40
        .size:           8
        .value_kind:     by_value
      - .offset:         48
        .size:           8
        .value_kind:     by_value
      - .address_space:  global
        .offset:         56
        .size:           8
        .value_kind:     global_buffer
      - .offset:         64
        .size:           8
        .value_kind:     by_value
      - .offset:         72
        .size:           8
        .value_kind:     by_value
      - .offset:         80
        .size:           16
        .value_kind:     by_value
      - .address_space:  global
        .offset:         96
        .size:           8
        .value_kind:     global_buffer
      - .offset:         104
        .size:           8
        .value_kind:     by_value
      - .offset:         112
        .size:           8
        .value_kind:     by_value
      - .offset:         120
        .size:           4
        .value_kind:     by_value
    .group_segment_fixed_size: 8192
    .kernarg_segment_align: 8
    .kernarg_segment_size: 124
    .language:       OpenCL C
    .language_version:
      - 2
      - 0
    .max_flat_workgroup_size: 256
    .name:           _ZL32rocblas_syrkx_herkx_small_kernelIl19rocblas_complex_numIdELi16ELb1ELb0ELc67ELc76EKS1_S1_EviT_T0_PT6_S3_lS6_S3_lS4_PT7_S3_li
    .private_segment_fixed_size: 0
    .sgpr_count:     32
    .sgpr_spill_count: 0
    .symbol:         _ZL32rocblas_syrkx_herkx_small_kernelIl19rocblas_complex_numIdELi16ELb1ELb0ELc67ELc76EKS1_S1_EviT_T0_PT6_S3_lS6_S3_lS4_PT7_S3_li.kd
    .uniform_work_group_size: 1
    .uses_dynamic_stack: false
    .vgpr_count:     53
    .vgpr_spill_count: 0
    .wavefront_size: 64
  - .args:
      - .offset:         0
        .size:           4
        .value_kind:     by_value
      - .offset:         8
        .size:           8
        .value_kind:     by_value
      - .offset:         16
        .size:           16
        .value_kind:     by_value
      - .address_space:  global
        .offset:         32
        .size:           8
        .value_kind:     global_buffer
      - .offset:         40
        .size:           8
        .value_kind:     by_value
      - .offset:         48
        .size:           8
        .value_kind:     by_value
      - .address_space:  global
        .offset:         56
        .size:           8
        .value_kind:     global_buffer
      - .offset:         64
        .size:           8
        .value_kind:     by_value
      - .offset:         72
        .size:           8
        .value_kind:     by_value
      - .offset:         80
        .size:           16
        .value_kind:     by_value
      - .address_space:  global
        .offset:         96
        .size:           8
        .value_kind:     global_buffer
      - .offset:         104
        .size:           8
        .value_kind:     by_value
      - .offset:         112
        .size:           8
        .value_kind:     by_value
      - .offset:         120
        .size:           4
        .value_kind:     by_value
    .group_segment_fixed_size: 8192
    .kernarg_segment_align: 8
    .kernarg_segment_size: 124
    .language:       OpenCL C
    .language_version:
      - 2
      - 0
    .max_flat_workgroup_size: 256
    .name:           _ZL32rocblas_syrkx_herkx_small_kernelIl19rocblas_complex_numIdELi16ELb1ELb0ELc78ELc76EKS1_S1_EviT_T0_PT6_S3_lS6_S3_lS4_PT7_S3_li
    .private_segment_fixed_size: 0
    .sgpr_count:     33
    .sgpr_spill_count: 0
    .symbol:         _ZL32rocblas_syrkx_herkx_small_kernelIl19rocblas_complex_numIdELi16ELb1ELb0ELc78ELc76EKS1_S1_EviT_T0_PT6_S3_lS6_S3_lS4_PT7_S3_li.kd
    .uniform_work_group_size: 1
    .uses_dynamic_stack: false
    .vgpr_count:     49
    .vgpr_spill_count: 0
    .wavefront_size: 64
  - .args:
      - .offset:         0
        .size:           4
        .value_kind:     by_value
      - .offset:         8
        .size:           8
        .value_kind:     by_value
      - .offset:         16
        .size:           16
        .value_kind:     by_value
      - .address_space:  global
        .offset:         32
        .size:           8
        .value_kind:     global_buffer
      - .offset:         40
        .size:           8
        .value_kind:     by_value
      - .offset:         48
        .size:           8
        .value_kind:     by_value
      - .address_space:  global
        .offset:         56
        .size:           8
        .value_kind:     global_buffer
      - .offset:         64
        .size:           8
        .value_kind:     by_value
      - .offset:         72
        .size:           8
        .value_kind:     by_value
      - .offset:         80
        .size:           16
        .value_kind:     by_value
      - .address_space:  global
        .offset:         96
        .size:           8
        .value_kind:     global_buffer
      - .offset:         104
        .size:           8
        .value_kind:     by_value
      - .offset:         112
        .size:           8
        .value_kind:     by_value
      - .offset:         120
        .size:           4
        .value_kind:     by_value
    .group_segment_fixed_size: 8192
    .kernarg_segment_align: 8
    .kernarg_segment_size: 124
    .language:       OpenCL C
    .language_version:
      - 2
      - 0
    .max_flat_workgroup_size: 256
    .name:           _ZL32rocblas_syrkx_herkx_small_kernelIl19rocblas_complex_numIdELi16ELb1ELb0ELc84ELc85EKS1_S1_EviT_T0_PT6_S3_lS6_S3_lS4_PT7_S3_li
    .private_segment_fixed_size: 0
    .sgpr_count:     32
    .sgpr_spill_count: 0
    .symbol:         _ZL32rocblas_syrkx_herkx_small_kernelIl19rocblas_complex_numIdELi16ELb1ELb0ELc84ELc85EKS1_S1_EviT_T0_PT6_S3_lS6_S3_lS4_PT7_S3_li.kd
    .uniform_work_group_size: 1
    .uses_dynamic_stack: false
    .vgpr_count:     44
    .vgpr_spill_count: 0
    .wavefront_size: 64
  - .args:
      - .offset:         0
        .size:           4
        .value_kind:     by_value
      - .offset:         8
        .size:           8
        .value_kind:     by_value
      - .offset:         16
        .size:           16
        .value_kind:     by_value
      - .address_space:  global
        .offset:         32
        .size:           8
        .value_kind:     global_buffer
      - .offset:         40
        .size:           8
        .value_kind:     by_value
      - .offset:         48
        .size:           8
        .value_kind:     by_value
      - .address_space:  global
        .offset:         56
        .size:           8
        .value_kind:     global_buffer
      - .offset:         64
        .size:           8
        .value_kind:     by_value
      - .offset:         72
        .size:           8
        .value_kind:     by_value
      - .offset:         80
        .size:           16
        .value_kind:     by_value
      - .address_space:  global
        .offset:         96
        .size:           8
        .value_kind:     global_buffer
      - .offset:         104
        .size:           8
        .value_kind:     by_value
      - .offset:         112
        .size:           8
        .value_kind:     by_value
      - .offset:         120
        .size:           4
        .value_kind:     by_value
    .group_segment_fixed_size: 8192
    .kernarg_segment_align: 8
    .kernarg_segment_size: 124
    .language:       OpenCL C
    .language_version:
      - 2
      - 0
    .max_flat_workgroup_size: 256
    .name:           _ZL32rocblas_syrkx_herkx_small_kernelIl19rocblas_complex_numIdELi16ELb1ELb0ELc67ELc85EKS1_S1_EviT_T0_PT6_S3_lS6_S3_lS4_PT7_S3_li
    .private_segment_fixed_size: 0
    .sgpr_count:     32
    .sgpr_spill_count: 0
    .symbol:         _ZL32rocblas_syrkx_herkx_small_kernelIl19rocblas_complex_numIdELi16ELb1ELb0ELc67ELc85EKS1_S1_EviT_T0_PT6_S3_lS6_S3_lS4_PT7_S3_li.kd
    .uniform_work_group_size: 1
    .uses_dynamic_stack: false
    .vgpr_count:     53
    .vgpr_spill_count: 0
    .wavefront_size: 64
  - .args:
      - .offset:         0
        .size:           4
        .value_kind:     by_value
      - .offset:         8
        .size:           8
        .value_kind:     by_value
      - .offset:         16
        .size:           16
        .value_kind:     by_value
      - .address_space:  global
        .offset:         32
        .size:           8
        .value_kind:     global_buffer
      - .offset:         40
        .size:           8
        .value_kind:     by_value
      - .offset:         48
        .size:           8
        .value_kind:     by_value
      - .address_space:  global
        .offset:         56
        .size:           8
        .value_kind:     global_buffer
      - .offset:         64
        .size:           8
        .value_kind:     by_value
      - .offset:         72
        .size:           8
        .value_kind:     by_value
      - .offset:         80
        .size:           16
        .value_kind:     by_value
      - .address_space:  global
        .offset:         96
        .size:           8
        .value_kind:     global_buffer
      - .offset:         104
        .size:           8
        .value_kind:     by_value
      - .offset:         112
        .size:           8
        .value_kind:     by_value
      - .offset:         120
        .size:           4
        .value_kind:     by_value
    .group_segment_fixed_size: 8192
    .kernarg_segment_align: 8
    .kernarg_segment_size: 124
    .language:       OpenCL C
    .language_version:
      - 2
      - 0
    .max_flat_workgroup_size: 256
    .name:           _ZL32rocblas_syrkx_herkx_small_kernelIl19rocblas_complex_numIdELi16ELb1ELb0ELc78ELc85EKS1_S1_EviT_T0_PT6_S3_lS6_S3_lS4_PT7_S3_li
    .private_segment_fixed_size: 0
    .sgpr_count:     32
    .sgpr_spill_count: 0
    .symbol:         _ZL32rocblas_syrkx_herkx_small_kernelIl19rocblas_complex_numIdELi16ELb1ELb0ELc78ELc85EKS1_S1_EviT_T0_PT6_S3_lS6_S3_lS4_PT7_S3_li.kd
    .uniform_work_group_size: 1
    .uses_dynamic_stack: false
    .vgpr_count:     49
    .vgpr_spill_count: 0
    .wavefront_size: 64
  - .args:
      - .offset:         0
        .size:           4
        .value_kind:     by_value
      - .offset:         8
        .size:           8
        .value_kind:     by_value
      - .offset:         16
        .size:           16
        .value_kind:     by_value
      - .address_space:  global
        .offset:         32
        .size:           8
        .value_kind:     global_buffer
      - .offset:         40
        .size:           8
        .value_kind:     by_value
      - .offset:         48
        .size:           8
        .value_kind:     by_value
      - .address_space:  global
        .offset:         56
        .size:           8
        .value_kind:     global_buffer
      - .offset:         64
        .size:           8
        .value_kind:     by_value
      - .offset:         72
        .size:           8
        .value_kind:     by_value
      - .offset:         80
        .size:           16
        .value_kind:     by_value
      - .address_space:  global
        .offset:         96
        .size:           8
        .value_kind:     global_buffer
      - .offset:         104
        .size:           8
        .value_kind:     by_value
      - .offset:         112
        .size:           8
        .value_kind:     by_value
      - .offset:         120
        .size:           4
        .value_kind:     by_value
    .group_segment_fixed_size: 8192
    .kernarg_segment_align: 8
    .kernarg_segment_size: 124
    .language:       OpenCL C
    .language_version:
      - 2
      - 0
    .max_flat_workgroup_size: 256
    .name:           _ZL32rocblas_syrkx_herkx_small_kernelIl19rocblas_complex_numIdELi16ELb0ELb0ELc84ELc76EKS1_S1_EviT_T0_PT6_S3_lS6_S3_lS4_PT7_S3_li
    .private_segment_fixed_size: 0
    .sgpr_count:     48
    .sgpr_spill_count: 0
    .symbol:         _ZL32rocblas_syrkx_herkx_small_kernelIl19rocblas_complex_numIdELi16ELb0ELb0ELc84ELc76EKS1_S1_EviT_T0_PT6_S3_lS6_S3_lS4_PT7_S3_li.kd
    .uniform_work_group_size: 1
    .uses_dynamic_stack: false
    .vgpr_count:     44
    .vgpr_spill_count: 0
    .wavefront_size: 64
  - .args:
      - .offset:         0
        .size:           4
        .value_kind:     by_value
      - .offset:         8
        .size:           8
        .value_kind:     by_value
      - .offset:         16
        .size:           16
        .value_kind:     by_value
      - .address_space:  global
        .offset:         32
        .size:           8
        .value_kind:     global_buffer
      - .offset:         40
        .size:           8
        .value_kind:     by_value
      - .offset:         48
        .size:           8
        .value_kind:     by_value
      - .address_space:  global
        .offset:         56
        .size:           8
        .value_kind:     global_buffer
      - .offset:         64
        .size:           8
        .value_kind:     by_value
      - .offset:         72
        .size:           8
        .value_kind:     by_value
      - .offset:         80
        .size:           16
        .value_kind:     by_value
      - .address_space:  global
        .offset:         96
        .size:           8
        .value_kind:     global_buffer
      - .offset:         104
        .size:           8
        .value_kind:     by_value
      - .offset:         112
        .size:           8
        .value_kind:     by_value
      - .offset:         120
        .size:           4
        .value_kind:     by_value
    .group_segment_fixed_size: 8192
    .kernarg_segment_align: 8
    .kernarg_segment_size: 124
    .language:       OpenCL C
    .language_version:
      - 2
      - 0
    .max_flat_workgroup_size: 256
    .name:           _ZL32rocblas_syrkx_herkx_small_kernelIl19rocblas_complex_numIdELi16ELb0ELb0ELc67ELc76EKS1_S1_EviT_T0_PT6_S3_lS6_S3_lS4_PT7_S3_li
    .private_segment_fixed_size: 0
    .sgpr_count:     48
    .sgpr_spill_count: 0
    .symbol:         _ZL32rocblas_syrkx_herkx_small_kernelIl19rocblas_complex_numIdELi16ELb0ELb0ELc67ELc76EKS1_S1_EviT_T0_PT6_S3_lS6_S3_lS4_PT7_S3_li.kd
    .uniform_work_group_size: 1
    .uses_dynamic_stack: false
    .vgpr_count:     53
    .vgpr_spill_count: 0
    .wavefront_size: 64
  - .args:
      - .offset:         0
        .size:           4
        .value_kind:     by_value
      - .offset:         8
        .size:           8
        .value_kind:     by_value
      - .offset:         16
        .size:           16
        .value_kind:     by_value
      - .address_space:  global
        .offset:         32
        .size:           8
        .value_kind:     global_buffer
      - .offset:         40
        .size:           8
        .value_kind:     by_value
      - .offset:         48
        .size:           8
        .value_kind:     by_value
      - .address_space:  global
        .offset:         56
        .size:           8
        .value_kind:     global_buffer
      - .offset:         64
        .size:           8
        .value_kind:     by_value
      - .offset:         72
        .size:           8
        .value_kind:     by_value
      - .offset:         80
        .size:           16
        .value_kind:     by_value
      - .address_space:  global
        .offset:         96
        .size:           8
        .value_kind:     global_buffer
      - .offset:         104
        .size:           8
        .value_kind:     by_value
      - .offset:         112
        .size:           8
        .value_kind:     by_value
      - .offset:         120
        .size:           4
        .value_kind:     by_value
    .group_segment_fixed_size: 8192
    .kernarg_segment_align: 8
    .kernarg_segment_size: 124
    .language:       OpenCL C
    .language_version:
      - 2
      - 0
    .max_flat_workgroup_size: 256
    .name:           _ZL32rocblas_syrkx_herkx_small_kernelIl19rocblas_complex_numIdELi16ELb0ELb0ELc78ELc76EKS1_S1_EviT_T0_PT6_S3_lS6_S3_lS4_PT7_S3_li
    .private_segment_fixed_size: 0
    .sgpr_count:     48
    .sgpr_spill_count: 0
    .symbol:         _ZL32rocblas_syrkx_herkx_small_kernelIl19rocblas_complex_numIdELi16ELb0ELb0ELc78ELc76EKS1_S1_EviT_T0_PT6_S3_lS6_S3_lS4_PT7_S3_li.kd
    .uniform_work_group_size: 1
    .uses_dynamic_stack: false
    .vgpr_count:     49
    .vgpr_spill_count: 0
    .wavefront_size: 64
  - .args:
      - .offset:         0
        .size:           4
        .value_kind:     by_value
      - .offset:         8
        .size:           8
        .value_kind:     by_value
      - .offset:         16
        .size:           16
        .value_kind:     by_value
      - .address_space:  global
        .offset:         32
        .size:           8
        .value_kind:     global_buffer
      - .offset:         40
        .size:           8
        .value_kind:     by_value
      - .offset:         48
        .size:           8
        .value_kind:     by_value
      - .address_space:  global
        .offset:         56
        .size:           8
        .value_kind:     global_buffer
      - .offset:         64
        .size:           8
        .value_kind:     by_value
      - .offset:         72
        .size:           8
        .value_kind:     by_value
      - .offset:         80
        .size:           16
        .value_kind:     by_value
      - .address_space:  global
        .offset:         96
        .size:           8
        .value_kind:     global_buffer
      - .offset:         104
        .size:           8
        .value_kind:     by_value
      - .offset:         112
        .size:           8
        .value_kind:     by_value
      - .offset:         120
        .size:           4
        .value_kind:     by_value
    .group_segment_fixed_size: 8192
    .kernarg_segment_align: 8
    .kernarg_segment_size: 124
    .language:       OpenCL C
    .language_version:
      - 2
      - 0
    .max_flat_workgroup_size: 256
    .name:           _ZL32rocblas_syrkx_herkx_small_kernelIl19rocblas_complex_numIdELi16ELb0ELb0ELc84ELc85EKS1_S1_EviT_T0_PT6_S3_lS6_S3_lS4_PT7_S3_li
    .private_segment_fixed_size: 0
    .sgpr_count:     48
    .sgpr_spill_count: 0
    .symbol:         _ZL32rocblas_syrkx_herkx_small_kernelIl19rocblas_complex_numIdELi16ELb0ELb0ELc84ELc85EKS1_S1_EviT_T0_PT6_S3_lS6_S3_lS4_PT7_S3_li.kd
    .uniform_work_group_size: 1
    .uses_dynamic_stack: false
    .vgpr_count:     44
    .vgpr_spill_count: 0
    .wavefront_size: 64
  - .args:
      - .offset:         0
        .size:           4
        .value_kind:     by_value
      - .offset:         8
        .size:           8
        .value_kind:     by_value
      - .offset:         16
        .size:           16
        .value_kind:     by_value
      - .address_space:  global
        .offset:         32
        .size:           8
        .value_kind:     global_buffer
      - .offset:         40
        .size:           8
        .value_kind:     by_value
      - .offset:         48
        .size:           8
        .value_kind:     by_value
      - .address_space:  global
        .offset:         56
        .size:           8
        .value_kind:     global_buffer
      - .offset:         64
        .size:           8
        .value_kind:     by_value
      - .offset:         72
        .size:           8
        .value_kind:     by_value
      - .offset:         80
        .size:           16
        .value_kind:     by_value
      - .address_space:  global
        .offset:         96
        .size:           8
        .value_kind:     global_buffer
      - .offset:         104
        .size:           8
        .value_kind:     by_value
      - .offset:         112
        .size:           8
        .value_kind:     by_value
      - .offset:         120
        .size:           4
        .value_kind:     by_value
    .group_segment_fixed_size: 8192
    .kernarg_segment_align: 8
    .kernarg_segment_size: 124
    .language:       OpenCL C
    .language_version:
      - 2
      - 0
    .max_flat_workgroup_size: 256
    .name:           _ZL32rocblas_syrkx_herkx_small_kernelIl19rocblas_complex_numIdELi16ELb0ELb0ELc67ELc85EKS1_S1_EviT_T0_PT6_S3_lS6_S3_lS4_PT7_S3_li
    .private_segment_fixed_size: 0
    .sgpr_count:     48
    .sgpr_spill_count: 0
    .symbol:         _ZL32rocblas_syrkx_herkx_small_kernelIl19rocblas_complex_numIdELi16ELb0ELb0ELc67ELc85EKS1_S1_EviT_T0_PT6_S3_lS6_S3_lS4_PT7_S3_li.kd
    .uniform_work_group_size: 1
    .uses_dynamic_stack: false
    .vgpr_count:     53
    .vgpr_spill_count: 0
    .wavefront_size: 64
  - .args:
      - .offset:         0
        .size:           4
        .value_kind:     by_value
      - .offset:         8
        .size:           8
        .value_kind:     by_value
      - .offset:         16
        .size:           16
        .value_kind:     by_value
      - .address_space:  global
        .offset:         32
        .size:           8
        .value_kind:     global_buffer
      - .offset:         40
        .size:           8
        .value_kind:     by_value
      - .offset:         48
        .size:           8
        .value_kind:     by_value
      - .address_space:  global
        .offset:         56
        .size:           8
        .value_kind:     global_buffer
      - .offset:         64
        .size:           8
        .value_kind:     by_value
      - .offset:         72
        .size:           8
        .value_kind:     by_value
      - .offset:         80
        .size:           16
        .value_kind:     by_value
      - .address_space:  global
        .offset:         96
        .size:           8
        .value_kind:     global_buffer
      - .offset:         104
        .size:           8
        .value_kind:     by_value
      - .offset:         112
        .size:           8
        .value_kind:     by_value
      - .offset:         120
        .size:           4
        .value_kind:     by_value
    .group_segment_fixed_size: 8192
    .kernarg_segment_align: 8
    .kernarg_segment_size: 124
    .language:       OpenCL C
    .language_version:
      - 2
      - 0
    .max_flat_workgroup_size: 256
    .name:           _ZL32rocblas_syrkx_herkx_small_kernelIl19rocblas_complex_numIdELi16ELb0ELb0ELc78ELc85EKS1_S1_EviT_T0_PT6_S3_lS6_S3_lS4_PT7_S3_li
    .private_segment_fixed_size: 0
    .sgpr_count:     48
    .sgpr_spill_count: 0
    .symbol:         _ZL32rocblas_syrkx_herkx_small_kernelIl19rocblas_complex_numIdELi16ELb0ELb0ELc78ELc85EKS1_S1_EviT_T0_PT6_S3_lS6_S3_lS4_PT7_S3_li.kd
    .uniform_work_group_size: 1
    .uses_dynamic_stack: false
    .vgpr_count:     49
    .vgpr_spill_count: 0
    .wavefront_size: 64
  - .args:
      - .offset:         0
        .size:           4
        .value_kind:     by_value
      - .offset:         8
        .size:           8
        .value_kind:     by_value
      - .offset:         16
        .size:           16
        .value_kind:     by_value
      - .address_space:  global
        .offset:         32
        .size:           8
        .value_kind:     global_buffer
      - .offset:         40
        .size:           8
        .value_kind:     by_value
      - .offset:         48
        .size:           8
        .value_kind:     by_value
      - .address_space:  global
        .offset:         56
        .size:           8
        .value_kind:     global_buffer
      - .offset:         64
        .size:           8
        .value_kind:     by_value
      - .offset:         72
        .size:           8
        .value_kind:     by_value
      - .offset:         80
        .size:           16
        .value_kind:     by_value
      - .address_space:  global
        .offset:         96
        .size:           8
        .value_kind:     global_buffer
      - .offset:         104
        .size:           8
        .value_kind:     by_value
      - .offset:         112
        .size:           8
        .value_kind:     by_value
      - .offset:         120
        .size:           4
        .value_kind:     by_value
    .group_segment_fixed_size: 8192
    .kernarg_segment_align: 8
    .kernarg_segment_size: 124
    .language:       OpenCL C
    .language_version:
      - 2
      - 0
    .max_flat_workgroup_size: 256
    .name:           _ZL34rocblas_syrkx_herkx_general_kernelIl19rocblas_complex_numIdELi16ELi32ELi8ELb1ELb0ELc84ELc76EKS1_S1_EviT_T0_PT8_S3_lS6_S3_lS4_PT9_S3_li
    .private_segment_fixed_size: 0
    .sgpr_count:     34
    .sgpr_spill_count: 0
    .symbol:         _ZL34rocblas_syrkx_herkx_general_kernelIl19rocblas_complex_numIdELi16ELi32ELi8ELb1ELb0ELc84ELc76EKS1_S1_EviT_T0_PT8_S3_lS6_S3_lS4_PT9_S3_li.kd
    .uniform_work_group_size: 1
    .uses_dynamic_stack: false
    .vgpr_count:     58
    .vgpr_spill_count: 0
    .wavefront_size: 64
  - .args:
      - .offset:         0
        .size:           4
        .value_kind:     by_value
      - .offset:         8
        .size:           8
        .value_kind:     by_value
      - .offset:         16
        .size:           16
        .value_kind:     by_value
      - .address_space:  global
        .offset:         32
        .size:           8
        .value_kind:     global_buffer
      - .offset:         40
        .size:           8
        .value_kind:     by_value
      - .offset:         48
        .size:           8
        .value_kind:     by_value
      - .address_space:  global
        .offset:         56
        .size:           8
        .value_kind:     global_buffer
      - .offset:         64
        .size:           8
        .value_kind:     by_value
      - .offset:         72
        .size:           8
        .value_kind:     by_value
      - .offset:         80
        .size:           16
        .value_kind:     by_value
      - .address_space:  global
        .offset:         96
        .size:           8
        .value_kind:     global_buffer
      - .offset:         104
        .size:           8
        .value_kind:     by_value
      - .offset:         112
        .size:           8
        .value_kind:     by_value
      - .offset:         120
        .size:           4
        .value_kind:     by_value
    .group_segment_fixed_size: 8192
    .kernarg_segment_align: 8
    .kernarg_segment_size: 124
    .language:       OpenCL C
    .language_version:
      - 2
      - 0
    .max_flat_workgroup_size: 256
    .name:           _ZL34rocblas_syrkx_herkx_general_kernelIl19rocblas_complex_numIdELi16ELi32ELi8ELb1ELb0ELc67ELc76EKS1_S1_EviT_T0_PT8_S3_lS6_S3_lS4_PT9_S3_li
    .private_segment_fixed_size: 0
    .sgpr_count:     34
    .sgpr_spill_count: 0
    .symbol:         _ZL34rocblas_syrkx_herkx_general_kernelIl19rocblas_complex_numIdELi16ELi32ELi8ELb1ELb0ELc67ELc76EKS1_S1_EviT_T0_PT8_S3_lS6_S3_lS4_PT9_S3_li.kd
    .uniform_work_group_size: 1
    .uses_dynamic_stack: false
    .vgpr_count:     59
    .vgpr_spill_count: 0
    .wavefront_size: 64
  - .args:
      - .offset:         0
        .size:           4
        .value_kind:     by_value
      - .offset:         8
        .size:           8
        .value_kind:     by_value
      - .offset:         16
        .size:           16
        .value_kind:     by_value
      - .address_space:  global
        .offset:         32
        .size:           8
        .value_kind:     global_buffer
      - .offset:         40
        .size:           8
        .value_kind:     by_value
      - .offset:         48
        .size:           8
        .value_kind:     by_value
      - .address_space:  global
        .offset:         56
        .size:           8
        .value_kind:     global_buffer
      - .offset:         64
        .size:           8
        .value_kind:     by_value
      - .offset:         72
        .size:           8
        .value_kind:     by_value
      - .offset:         80
        .size:           16
        .value_kind:     by_value
      - .address_space:  global
        .offset:         96
        .size:           8
        .value_kind:     global_buffer
      - .offset:         104
        .size:           8
        .value_kind:     by_value
      - .offset:         112
        .size:           8
        .value_kind:     by_value
      - .offset:         120
        .size:           4
        .value_kind:     by_value
    .group_segment_fixed_size: 8192
    .kernarg_segment_align: 8
    .kernarg_segment_size: 124
    .language:       OpenCL C
    .language_version:
      - 2
      - 0
    .max_flat_workgroup_size: 256
    .name:           _ZL34rocblas_syrkx_herkx_general_kernelIl19rocblas_complex_numIdELi16ELi32ELi8ELb1ELb0ELc78ELc76EKS1_S1_EviT_T0_PT8_S3_lS6_S3_lS4_PT9_S3_li
    .private_segment_fixed_size: 0
    .sgpr_count:     34
    .sgpr_spill_count: 0
    .symbol:         _ZL34rocblas_syrkx_herkx_general_kernelIl19rocblas_complex_numIdELi16ELi32ELi8ELb1ELb0ELc78ELc76EKS1_S1_EviT_T0_PT8_S3_lS6_S3_lS4_PT9_S3_li.kd
    .uniform_work_group_size: 1
    .uses_dynamic_stack: false
    .vgpr_count:     61
    .vgpr_spill_count: 0
    .wavefront_size: 64
  - .args:
      - .offset:         0
        .size:           4
        .value_kind:     by_value
      - .offset:         8
        .size:           8
        .value_kind:     by_value
      - .offset:         16
        .size:           16
        .value_kind:     by_value
      - .address_space:  global
        .offset:         32
        .size:           8
        .value_kind:     global_buffer
      - .offset:         40
        .size:           8
        .value_kind:     by_value
      - .offset:         48
        .size:           8
        .value_kind:     by_value
      - .address_space:  global
        .offset:         56
        .size:           8
        .value_kind:     global_buffer
      - .offset:         64
        .size:           8
        .value_kind:     by_value
      - .offset:         72
        .size:           8
        .value_kind:     by_value
      - .offset:         80
        .size:           16
        .value_kind:     by_value
      - .address_space:  global
        .offset:         96
        .size:           8
        .value_kind:     global_buffer
      - .offset:         104
        .size:           8
        .value_kind:     by_value
      - .offset:         112
        .size:           8
        .value_kind:     by_value
      - .offset:         120
        .size:           4
        .value_kind:     by_value
    .group_segment_fixed_size: 8192
    .kernarg_segment_align: 8
    .kernarg_segment_size: 124
    .language:       OpenCL C
    .language_version:
      - 2
      - 0
    .max_flat_workgroup_size: 256
    .name:           _ZL34rocblas_syrkx_herkx_general_kernelIl19rocblas_complex_numIdELi16ELi32ELi8ELb1ELb0ELc84ELc85EKS1_S1_EviT_T0_PT8_S3_lS6_S3_lS4_PT9_S3_li
    .private_segment_fixed_size: 0
    .sgpr_count:     34
    .sgpr_spill_count: 0
    .symbol:         _ZL34rocblas_syrkx_herkx_general_kernelIl19rocblas_complex_numIdELi16ELi32ELi8ELb1ELb0ELc84ELc85EKS1_S1_EviT_T0_PT8_S3_lS6_S3_lS4_PT9_S3_li.kd
    .uniform_work_group_size: 1
    .uses_dynamic_stack: false
    .vgpr_count:     58
    .vgpr_spill_count: 0
    .wavefront_size: 64
  - .args:
      - .offset:         0
        .size:           4
        .value_kind:     by_value
      - .offset:         8
        .size:           8
        .value_kind:     by_value
      - .offset:         16
        .size:           16
        .value_kind:     by_value
      - .address_space:  global
        .offset:         32
        .size:           8
        .value_kind:     global_buffer
      - .offset:         40
        .size:           8
        .value_kind:     by_value
      - .offset:         48
        .size:           8
        .value_kind:     by_value
      - .address_space:  global
        .offset:         56
        .size:           8
        .value_kind:     global_buffer
      - .offset:         64
        .size:           8
        .value_kind:     by_value
      - .offset:         72
        .size:           8
        .value_kind:     by_value
      - .offset:         80
        .size:           16
        .value_kind:     by_value
      - .address_space:  global
        .offset:         96
        .size:           8
        .value_kind:     global_buffer
      - .offset:         104
        .size:           8
        .value_kind:     by_value
      - .offset:         112
        .size:           8
        .value_kind:     by_value
      - .offset:         120
        .size:           4
        .value_kind:     by_value
    .group_segment_fixed_size: 8192
    .kernarg_segment_align: 8
    .kernarg_segment_size: 124
    .language:       OpenCL C
    .language_version:
      - 2
      - 0
    .max_flat_workgroup_size: 256
    .name:           _ZL34rocblas_syrkx_herkx_general_kernelIl19rocblas_complex_numIdELi16ELi32ELi8ELb1ELb0ELc67ELc85EKS1_S1_EviT_T0_PT8_S3_lS6_S3_lS4_PT9_S3_li
    .private_segment_fixed_size: 0
    .sgpr_count:     34
    .sgpr_spill_count: 0
    .symbol:         _ZL34rocblas_syrkx_herkx_general_kernelIl19rocblas_complex_numIdELi16ELi32ELi8ELb1ELb0ELc67ELc85EKS1_S1_EviT_T0_PT8_S3_lS6_S3_lS4_PT9_S3_li.kd
    .uniform_work_group_size: 1
    .uses_dynamic_stack: false
    .vgpr_count:     59
    .vgpr_spill_count: 0
    .wavefront_size: 64
  - .args:
      - .offset:         0
        .size:           4
        .value_kind:     by_value
      - .offset:         8
        .size:           8
        .value_kind:     by_value
      - .offset:         16
        .size:           16
        .value_kind:     by_value
      - .address_space:  global
        .offset:         32
        .size:           8
        .value_kind:     global_buffer
      - .offset:         40
        .size:           8
        .value_kind:     by_value
      - .offset:         48
        .size:           8
        .value_kind:     by_value
      - .address_space:  global
        .offset:         56
        .size:           8
        .value_kind:     global_buffer
      - .offset:         64
        .size:           8
        .value_kind:     by_value
      - .offset:         72
        .size:           8
        .value_kind:     by_value
      - .offset:         80
        .size:           16
        .value_kind:     by_value
      - .address_space:  global
        .offset:         96
        .size:           8
        .value_kind:     global_buffer
      - .offset:         104
        .size:           8
        .value_kind:     by_value
      - .offset:         112
        .size:           8
        .value_kind:     by_value
      - .offset:         120
        .size:           4
        .value_kind:     by_value
    .group_segment_fixed_size: 8192
    .kernarg_segment_align: 8
    .kernarg_segment_size: 124
    .language:       OpenCL C
    .language_version:
      - 2
      - 0
    .max_flat_workgroup_size: 256
    .name:           _ZL34rocblas_syrkx_herkx_general_kernelIl19rocblas_complex_numIdELi16ELi32ELi8ELb1ELb0ELc78ELc85EKS1_S1_EviT_T0_PT8_S3_lS6_S3_lS4_PT9_S3_li
    .private_segment_fixed_size: 0
    .sgpr_count:     34
    .sgpr_spill_count: 0
    .symbol:         _ZL34rocblas_syrkx_herkx_general_kernelIl19rocblas_complex_numIdELi16ELi32ELi8ELb1ELb0ELc78ELc85EKS1_S1_EviT_T0_PT8_S3_lS6_S3_lS4_PT9_S3_li.kd
    .uniform_work_group_size: 1
    .uses_dynamic_stack: false
    .vgpr_count:     61
    .vgpr_spill_count: 0
    .wavefront_size: 64
  - .args:
      - .offset:         0
        .size:           4
        .value_kind:     by_value
      - .offset:         8
        .size:           8
        .value_kind:     by_value
      - .offset:         16
        .size:           16
        .value_kind:     by_value
      - .address_space:  global
        .offset:         32
        .size:           8
        .value_kind:     global_buffer
      - .offset:         40
        .size:           8
        .value_kind:     by_value
      - .offset:         48
        .size:           8
        .value_kind:     by_value
      - .address_space:  global
        .offset:         56
        .size:           8
        .value_kind:     global_buffer
      - .offset:         64
        .size:           8
        .value_kind:     by_value
      - .offset:         72
        .size:           8
        .value_kind:     by_value
      - .offset:         80
        .size:           16
        .value_kind:     by_value
      - .address_space:  global
        .offset:         96
        .size:           8
        .value_kind:     global_buffer
      - .offset:         104
        .size:           8
        .value_kind:     by_value
      - .offset:         112
        .size:           8
        .value_kind:     by_value
      - .offset:         120
        .size:           4
        .value_kind:     by_value
    .group_segment_fixed_size: 8192
    .kernarg_segment_align: 8
    .kernarg_segment_size: 124
    .language:       OpenCL C
    .language_version:
      - 2
      - 0
    .max_flat_workgroup_size: 256
    .name:           _ZL34rocblas_syrkx_herkx_general_kernelIl19rocblas_complex_numIdELi16ELi32ELi8ELb0ELb0ELc84ELc76EKS1_S1_EviT_T0_PT8_S3_lS6_S3_lS4_PT9_S3_li
    .private_segment_fixed_size: 0
    .sgpr_count:     48
    .sgpr_spill_count: 0
    .symbol:         _ZL34rocblas_syrkx_herkx_general_kernelIl19rocblas_complex_numIdELi16ELi32ELi8ELb0ELb0ELc84ELc76EKS1_S1_EviT_T0_PT8_S3_lS6_S3_lS4_PT9_S3_li.kd
    .uniform_work_group_size: 1
    .uses_dynamic_stack: false
    .vgpr_count:     58
    .vgpr_spill_count: 0
    .wavefront_size: 64
  - .args:
      - .offset:         0
        .size:           4
        .value_kind:     by_value
      - .offset:         8
        .size:           8
        .value_kind:     by_value
      - .offset:         16
        .size:           16
        .value_kind:     by_value
      - .address_space:  global
        .offset:         32
        .size:           8
        .value_kind:     global_buffer
      - .offset:         40
        .size:           8
        .value_kind:     by_value
      - .offset:         48
        .size:           8
        .value_kind:     by_value
      - .address_space:  global
        .offset:         56
        .size:           8
        .value_kind:     global_buffer
      - .offset:         64
        .size:           8
        .value_kind:     by_value
      - .offset:         72
        .size:           8
        .value_kind:     by_value
      - .offset:         80
        .size:           16
        .value_kind:     by_value
      - .address_space:  global
        .offset:         96
        .size:           8
        .value_kind:     global_buffer
      - .offset:         104
        .size:           8
        .value_kind:     by_value
      - .offset:         112
        .size:           8
        .value_kind:     by_value
      - .offset:         120
        .size:           4
        .value_kind:     by_value
    .group_segment_fixed_size: 8192
    .kernarg_segment_align: 8
    .kernarg_segment_size: 124
    .language:       OpenCL C
    .language_version:
      - 2
      - 0
    .max_flat_workgroup_size: 256
    .name:           _ZL34rocblas_syrkx_herkx_general_kernelIl19rocblas_complex_numIdELi16ELi32ELi8ELb0ELb0ELc67ELc76EKS1_S1_EviT_T0_PT8_S3_lS6_S3_lS4_PT9_S3_li
    .private_segment_fixed_size: 0
    .sgpr_count:     48
    .sgpr_spill_count: 0
    .symbol:         _ZL34rocblas_syrkx_herkx_general_kernelIl19rocblas_complex_numIdELi16ELi32ELi8ELb0ELb0ELc67ELc76EKS1_S1_EviT_T0_PT8_S3_lS6_S3_lS4_PT9_S3_li.kd
    .uniform_work_group_size: 1
    .uses_dynamic_stack: false
    .vgpr_count:     59
    .vgpr_spill_count: 0
    .wavefront_size: 64
  - .args:
      - .offset:         0
        .size:           4
        .value_kind:     by_value
      - .offset:         8
        .size:           8
        .value_kind:     by_value
      - .offset:         16
        .size:           16
        .value_kind:     by_value
      - .address_space:  global
        .offset:         32
        .size:           8
        .value_kind:     global_buffer
      - .offset:         40
        .size:           8
        .value_kind:     by_value
      - .offset:         48
        .size:           8
        .value_kind:     by_value
      - .address_space:  global
        .offset:         56
        .size:           8
        .value_kind:     global_buffer
      - .offset:         64
        .size:           8
        .value_kind:     by_value
      - .offset:         72
        .size:           8
        .value_kind:     by_value
      - .offset:         80
        .size:           16
        .value_kind:     by_value
      - .address_space:  global
        .offset:         96
        .size:           8
        .value_kind:     global_buffer
      - .offset:         104
        .size:           8
        .value_kind:     by_value
      - .offset:         112
        .size:           8
        .value_kind:     by_value
      - .offset:         120
        .size:           4
        .value_kind:     by_value
    .group_segment_fixed_size: 8192
    .kernarg_segment_align: 8
    .kernarg_segment_size: 124
    .language:       OpenCL C
    .language_version:
      - 2
      - 0
    .max_flat_workgroup_size: 256
    .name:           _ZL34rocblas_syrkx_herkx_general_kernelIl19rocblas_complex_numIdELi16ELi32ELi8ELb0ELb0ELc78ELc76EKS1_S1_EviT_T0_PT8_S3_lS6_S3_lS4_PT9_S3_li
    .private_segment_fixed_size: 0
    .sgpr_count:     48
    .sgpr_spill_count: 0
    .symbol:         _ZL34rocblas_syrkx_herkx_general_kernelIl19rocblas_complex_numIdELi16ELi32ELi8ELb0ELb0ELc78ELc76EKS1_S1_EviT_T0_PT8_S3_lS6_S3_lS4_PT9_S3_li.kd
    .uniform_work_group_size: 1
    .uses_dynamic_stack: false
    .vgpr_count:     61
    .vgpr_spill_count: 0
    .wavefront_size: 64
  - .args:
      - .offset:         0
        .size:           4
        .value_kind:     by_value
      - .offset:         8
        .size:           8
        .value_kind:     by_value
      - .offset:         16
        .size:           16
        .value_kind:     by_value
      - .address_space:  global
        .offset:         32
        .size:           8
        .value_kind:     global_buffer
      - .offset:         40
        .size:           8
        .value_kind:     by_value
      - .offset:         48
        .size:           8
        .value_kind:     by_value
      - .address_space:  global
        .offset:         56
        .size:           8
        .value_kind:     global_buffer
      - .offset:         64
        .size:           8
        .value_kind:     by_value
      - .offset:         72
        .size:           8
        .value_kind:     by_value
      - .offset:         80
        .size:           16
        .value_kind:     by_value
      - .address_space:  global
        .offset:         96
        .size:           8
        .value_kind:     global_buffer
      - .offset:         104
        .size:           8
        .value_kind:     by_value
      - .offset:         112
        .size:           8
        .value_kind:     by_value
      - .offset:         120
        .size:           4
        .value_kind:     by_value
    .group_segment_fixed_size: 8192
    .kernarg_segment_align: 8
    .kernarg_segment_size: 124
    .language:       OpenCL C
    .language_version:
      - 2
      - 0
    .max_flat_workgroup_size: 256
    .name:           _ZL34rocblas_syrkx_herkx_general_kernelIl19rocblas_complex_numIdELi16ELi32ELi8ELb0ELb0ELc84ELc85EKS1_S1_EviT_T0_PT8_S3_lS6_S3_lS4_PT9_S3_li
    .private_segment_fixed_size: 0
    .sgpr_count:     48
    .sgpr_spill_count: 0
    .symbol:         _ZL34rocblas_syrkx_herkx_general_kernelIl19rocblas_complex_numIdELi16ELi32ELi8ELb0ELb0ELc84ELc85EKS1_S1_EviT_T0_PT8_S3_lS6_S3_lS4_PT9_S3_li.kd
    .uniform_work_group_size: 1
    .uses_dynamic_stack: false
    .vgpr_count:     58
    .vgpr_spill_count: 0
    .wavefront_size: 64
  - .args:
      - .offset:         0
        .size:           4
        .value_kind:     by_value
      - .offset:         8
        .size:           8
        .value_kind:     by_value
      - .offset:         16
        .size:           16
        .value_kind:     by_value
      - .address_space:  global
        .offset:         32
        .size:           8
        .value_kind:     global_buffer
      - .offset:         40
        .size:           8
        .value_kind:     by_value
      - .offset:         48
        .size:           8
        .value_kind:     by_value
      - .address_space:  global
        .offset:         56
        .size:           8
        .value_kind:     global_buffer
      - .offset:         64
        .size:           8
        .value_kind:     by_value
      - .offset:         72
        .size:           8
        .value_kind:     by_value
      - .offset:         80
        .size:           16
        .value_kind:     by_value
      - .address_space:  global
        .offset:         96
        .size:           8
        .value_kind:     global_buffer
      - .offset:         104
        .size:           8
        .value_kind:     by_value
      - .offset:         112
        .size:           8
        .value_kind:     by_value
      - .offset:         120
        .size:           4
        .value_kind:     by_value
    .group_segment_fixed_size: 8192
    .kernarg_segment_align: 8
    .kernarg_segment_size: 124
    .language:       OpenCL C
    .language_version:
      - 2
      - 0
    .max_flat_workgroup_size: 256
    .name:           _ZL34rocblas_syrkx_herkx_general_kernelIl19rocblas_complex_numIdELi16ELi32ELi8ELb0ELb0ELc67ELc85EKS1_S1_EviT_T0_PT8_S3_lS6_S3_lS4_PT9_S3_li
    .private_segment_fixed_size: 0
    .sgpr_count:     48
    .sgpr_spill_count: 0
    .symbol:         _ZL34rocblas_syrkx_herkx_general_kernelIl19rocblas_complex_numIdELi16ELi32ELi8ELb0ELb0ELc67ELc85EKS1_S1_EviT_T0_PT8_S3_lS6_S3_lS4_PT9_S3_li.kd
    .uniform_work_group_size: 1
    .uses_dynamic_stack: false
    .vgpr_count:     59
    .vgpr_spill_count: 0
    .wavefront_size: 64
  - .args:
      - .offset:         0
        .size:           4
        .value_kind:     by_value
      - .offset:         8
        .size:           8
        .value_kind:     by_value
      - .offset:         16
        .size:           16
        .value_kind:     by_value
      - .address_space:  global
        .offset:         32
        .size:           8
        .value_kind:     global_buffer
      - .offset:         40
        .size:           8
        .value_kind:     by_value
      - .offset:         48
        .size:           8
        .value_kind:     by_value
      - .address_space:  global
        .offset:         56
        .size:           8
        .value_kind:     global_buffer
      - .offset:         64
        .size:           8
        .value_kind:     by_value
      - .offset:         72
        .size:           8
        .value_kind:     by_value
      - .offset:         80
        .size:           16
        .value_kind:     by_value
      - .address_space:  global
        .offset:         96
        .size:           8
        .value_kind:     global_buffer
      - .offset:         104
        .size:           8
        .value_kind:     by_value
      - .offset:         112
        .size:           8
        .value_kind:     by_value
      - .offset:         120
        .size:           4
        .value_kind:     by_value
    .group_segment_fixed_size: 8192
    .kernarg_segment_align: 8
    .kernarg_segment_size: 124
    .language:       OpenCL C
    .language_version:
      - 2
      - 0
    .max_flat_workgroup_size: 256
    .name:           _ZL34rocblas_syrkx_herkx_general_kernelIl19rocblas_complex_numIdELi16ELi32ELi8ELb0ELb0ELc78ELc85EKS1_S1_EviT_T0_PT8_S3_lS6_S3_lS4_PT9_S3_li
    .private_segment_fixed_size: 0
    .sgpr_count:     48
    .sgpr_spill_count: 0
    .symbol:         _ZL34rocblas_syrkx_herkx_general_kernelIl19rocblas_complex_numIdELi16ELi32ELi8ELb0ELb0ELc78ELc85EKS1_S1_EviT_T0_PT8_S3_lS6_S3_lS4_PT9_S3_li.kd
    .uniform_work_group_size: 1
    .uses_dynamic_stack: false
    .vgpr_count:     61
    .vgpr_spill_count: 0
    .wavefront_size: 64
  - .args:
      - .offset:         0
        .size:           1
        .value_kind:     by_value
      - .offset:         4
        .size:           4
        .value_kind:     by_value
      - .offset:         8
        .size:           8
        .value_kind:     by_value
      - .offset:         16
        .size:           16
        .value_kind:     by_value
      - .offset:         32
        .size:           16
        .value_kind:     by_value
      - .address_space:  global
        .offset:         48
        .size:           8
        .value_kind:     global_buffer
      - .offset:         56
        .size:           8
        .value_kind:     by_value
      - .offset:         64
        .size:           8
        .value_kind:     by_value
      - .offset:         72
        .size:           4
        .value_kind:     by_value
      - .offset:         80
        .size:           4
        .value_kind:     hidden_block_count_x
      - .offset:         84
        .size:           4
        .value_kind:     hidden_block_count_y
      - .offset:         88
        .size:           4
        .value_kind:     hidden_block_count_z
      - .offset:         92
        .size:           2
        .value_kind:     hidden_group_size_x
      - .offset:         94
        .size:           2
        .value_kind:     hidden_group_size_y
      - .offset:         96
        .size:           2
        .value_kind:     hidden_group_size_z
      - .offset:         98
        .size:           2
        .value_kind:     hidden_remainder_x
      - .offset:         100
        .size:           2
        .value_kind:     hidden_remainder_y
      - .offset:         102
        .size:           2
        .value_kind:     hidden_remainder_z
      - .offset:         120
        .size:           8
        .value_kind:     hidden_global_offset_x
      - .offset:         128
        .size:           8
        .value_kind:     hidden_global_offset_y
      - .offset:         136
        .size:           8
        .value_kind:     hidden_global_offset_z
      - .offset:         144
        .size:           2
        .value_kind:     hidden_grid_dims
    .group_segment_fixed_size: 0
    .kernarg_segment_align: 8
    .kernarg_segment_size: 336
    .language:       OpenCL C
    .language_version:
      - 2
      - 0
    .max_flat_workgroup_size: 1024
    .name:           _ZL26rocblas_syr2k_scale_kernelIlLi128ELi8ELb0E19rocblas_complex_numIdES1_PS1_EvbiT_T3_T4_T5_S3_li
    .private_segment_fixed_size: 0
    .sgpr_count:     24
    .sgpr_spill_count: 0
    .symbol:         _ZL26rocblas_syr2k_scale_kernelIlLi128ELi8ELb0E19rocblas_complex_numIdES1_PS1_EvbiT_T3_T4_T5_S3_li.kd
    .uniform_work_group_size: 1
    .uses_dynamic_stack: false
    .vgpr_count:     10
    .vgpr_spill_count: 0
    .wavefront_size: 64
  - .args:
      - .offset:         0
        .size:           1
        .value_kind:     by_value
      - .offset:         4
        .size:           4
        .value_kind:     by_value
      - .offset:         8
        .size:           8
        .value_kind:     by_value
      - .address_space:  global
        .offset:         16
        .size:           8
        .value_kind:     global_buffer
      - .address_space:  global
        .offset:         24
        .size:           8
        .value_kind:     global_buffer
      - .offset:         32
        .size:           8
        .value_kind:     by_value
      - .offset:         40
        .size:           8
        .value_kind:     by_value
      - .address_space:  global
        .offset:         48
        .size:           8
        .value_kind:     global_buffer
      - .offset:         56
        .size:           8
        .value_kind:     by_value
      - .offset:         64
        .size:           8
        .value_kind:     by_value
      - .address_space:  global
        .offset:         72
        .size:           8
        .value_kind:     global_buffer
      - .offset:         80
        .size:           8
        .value_kind:     by_value
      - .offset:         88
        .size:           8
        .value_kind:     by_value
      - .offset:         96
        .size:           4
        .value_kind:     by_value
    .group_segment_fixed_size: 32768
    .kernarg_segment_align: 8
    .kernarg_segment_size: 100
    .language:       OpenCL C
    .language_version:
      - 2
      - 0
    .max_flat_workgroup_size: 1024
    .name:           _ZL26rocblas_syr2k_her2k_kernelIlLb0ELb0ELb0ELi32EPK19rocblas_complex_numIdES3_PS1_EvbiT_T4_T5_S5_lS7_S5_lT6_S5_li
    .private_segment_fixed_size: 0
    .sgpr_count:     44
    .sgpr_spill_count: 0
    .symbol:         _ZL26rocblas_syr2k_her2k_kernelIlLb0ELb0ELb0ELi32EPK19rocblas_complex_numIdES3_PS1_EvbiT_T4_T5_S5_lS7_S5_lT6_S5_li.kd
    .uniform_work_group_size: 1
    .uses_dynamic_stack: false
    .vgpr_count:     34
    .vgpr_spill_count: 0
    .wavefront_size: 64
  - .args:
      - .offset:         0
        .size:           1
        .value_kind:     by_value
      - .offset:         4
        .size:           4
        .value_kind:     by_value
      - .offset:         8
        .size:           8
        .value_kind:     by_value
      - .address_space:  global
        .offset:         16
        .size:           8
        .value_kind:     global_buffer
      - .address_space:  global
        .offset:         24
        .size:           8
        .value_kind:     global_buffer
      - .offset:         32
        .size:           8
        .value_kind:     by_value
      - .offset:         40
        .size:           8
        .value_kind:     by_value
      - .address_space:  global
        .offset:         48
        .size:           8
        .value_kind:     global_buffer
      - .offset:         56
        .size:           8
        .value_kind:     by_value
      - .offset:         64
        .size:           8
        .value_kind:     by_value
      - .address_space:  global
        .offset:         72
        .size:           8
        .value_kind:     global_buffer
      - .offset:         80
        .size:           8
        .value_kind:     by_value
      - .offset:         88
        .size:           8
        .value_kind:     by_value
      - .offset:         96
        .size:           4
        .value_kind:     by_value
    .group_segment_fixed_size: 32768
    .kernarg_segment_align: 8
    .kernarg_segment_size: 100
    .language:       OpenCL C
    .language_version:
      - 2
      - 0
    .max_flat_workgroup_size: 1024
    .name:           _ZL26rocblas_syr2k_her2k_kernelIlLb0ELb0ELb1ELi32EPK19rocblas_complex_numIdES3_PS1_EvbiT_T4_T5_S5_lS7_S5_lT6_S5_li
    .private_segment_fixed_size: 0
    .sgpr_count:     44
    .sgpr_spill_count: 0
    .symbol:         _ZL26rocblas_syr2k_her2k_kernelIlLb0ELb0ELb1ELi32EPK19rocblas_complex_numIdES3_PS1_EvbiT_T4_T5_S5_lS7_S5_lT6_S5_li.kd
    .uniform_work_group_size: 1
    .uses_dynamic_stack: false
    .vgpr_count:     34
    .vgpr_spill_count: 0
    .wavefront_size: 64
  - .args:
      - .offset:         0
        .size:           1
        .value_kind:     by_value
      - .offset:         4
        .size:           4
        .value_kind:     by_value
      - .offset:         8
        .size:           8
        .value_kind:     by_value
      - .offset:         16
        .size:           8
        .value_kind:     by_value
      - .address_space:  global
        .offset:         24
        .size:           8
        .value_kind:     global_buffer
      - .offset:         32
        .size:           8
        .value_kind:     by_value
      - .offset:         40
        .size:           8
        .value_kind:     by_value
      - .address_space:  global
        .offset:         48
        .size:           8
        .value_kind:     global_buffer
      - .offset:         56
        .size:           8
        .value_kind:     by_value
      - .offset:         64
        .size:           8
        .value_kind:     by_value
      - .address_space:  global
        .offset:         72
        .size:           8
        .value_kind:     global_buffer
      - .offset:         80
        .size:           8
        .value_kind:     by_value
      - .offset:         88
        .size:           8
        .value_kind:     by_value
      - .offset:         96
        .size:           4
        .value_kind:     by_value
    .group_segment_fixed_size: 16384
    .kernarg_segment_align: 8
    .kernarg_segment_size: 100
    .language:       OpenCL C
    .language_version:
      - 2
      - 0
    .max_flat_workgroup_size: 1024
    .name:           _ZL26rocblas_syr2k_her2k_kernelIlLb0ELb1ELb0ELi32E19rocblas_complex_numIfEPKS1_PS1_EvbiT_T4_T5_S5_lS7_S5_lT6_S5_li
    .private_segment_fixed_size: 0
    .sgpr_count:     36
    .sgpr_spill_count: 0
    .symbol:         _ZL26rocblas_syr2k_her2k_kernelIlLb0ELb1ELb0ELi32E19rocblas_complex_numIfEPKS1_PS1_EvbiT_T4_T5_S5_lS7_S5_lT6_S5_li.kd
    .uniform_work_group_size: 1
    .uses_dynamic_stack: false
    .vgpr_count:     36
    .vgpr_spill_count: 0
    .wavefront_size: 64
  - .args:
      - .offset:         0
        .size:           1
        .value_kind:     by_value
      - .offset:         4
        .size:           4
        .value_kind:     by_value
      - .offset:         8
        .size:           8
        .value_kind:     by_value
      - .offset:         16
        .size:           8
        .value_kind:     by_value
      - .address_space:  global
        .offset:         24
        .size:           8
        .value_kind:     global_buffer
      - .offset:         32
        .size:           8
        .value_kind:     by_value
      - .offset:         40
        .size:           8
        .value_kind:     by_value
      - .address_space:  global
        .offset:         48
        .size:           8
        .value_kind:     global_buffer
      - .offset:         56
        .size:           8
        .value_kind:     by_value
      - .offset:         64
        .size:           8
        .value_kind:     by_value
      - .address_space:  global
        .offset:         72
        .size:           8
        .value_kind:     global_buffer
      - .offset:         80
        .size:           8
        .value_kind:     by_value
      - .offset:         88
        .size:           8
        .value_kind:     by_value
      - .offset:         96
        .size:           4
        .value_kind:     by_value
    .group_segment_fixed_size: 16384
    .kernarg_segment_align: 8
    .kernarg_segment_size: 100
    .language:       OpenCL C
    .language_version:
      - 2
      - 0
    .max_flat_workgroup_size: 1024
    .name:           _ZL26rocblas_syr2k_her2k_kernelIlLb0ELb1ELb1ELi32E19rocblas_complex_numIfEPKS1_PS1_EvbiT_T4_T5_S5_lS7_S5_lT6_S5_li
    .private_segment_fixed_size: 0
    .sgpr_count:     36
    .sgpr_spill_count: 0
    .symbol:         _ZL26rocblas_syr2k_her2k_kernelIlLb0ELb1ELb1ELi32E19rocblas_complex_numIfEPKS1_PS1_EvbiT_T4_T5_S5_lS7_S5_lT6_S5_li.kd
    .uniform_work_group_size: 1
    .uses_dynamic_stack: false
    .vgpr_count:     38
    .vgpr_spill_count: 0
    .wavefront_size: 64
  - .args:
      - .offset:         0
        .size:           4
        .value_kind:     by_value
      - .offset:         8
        .size:           8
        .value_kind:     by_value
      - .address_space:  global
        .offset:         16
        .size:           8
        .value_kind:     global_buffer
      - .offset:         24
        .size:           8
        .value_kind:     by_value
      - .offset:         32
        .size:           8
        .value_kind:     by_value
      - .address_space:  global
        .offset:         40
        .size:           8
        .value_kind:     global_buffer
      - .offset:         48
        .size:           8
        .value_kind:     by_value
      - .offset:         56
        .size:           8
        .value_kind:     by_value
      - .address_space:  global
        .offset:         64
        .size:           8
        .value_kind:     global_buffer
      - .offset:         72
        .size:           8
        .value_kind:     by_value
      - .offset:         80
        .size:           8
        .value_kind:     by_value
      - .offset:         88
        .size:           4
        .value_kind:     by_value
    .group_segment_fixed_size: 4096
    .kernarg_segment_align: 8
    .kernarg_segment_size: 92
    .language:       OpenCL C
    .language_version:
      - 2
      - 0
    .max_flat_workgroup_size: 256
    .name:           _ZL37rocblas_syrkx_herkx_restricted_kernelIl19rocblas_complex_numIfELi16ELi32ELi8ELi1ELi1ELb1ELc84ELc76EKS1_S1_EviT_PT9_S3_lS5_S3_lPT10_S3_li
    .private_segment_fixed_size: 0
    .sgpr_count:     32
    .sgpr_spill_count: 0
    .symbol:         _ZL37rocblas_syrkx_herkx_restricted_kernelIl19rocblas_complex_numIfELi16ELi32ELi8ELi1ELi1ELb1ELc84ELc76EKS1_S1_EviT_PT9_S3_lS5_S3_lPT10_S3_li.kd
    .uniform_work_group_size: 1
    .uses_dynamic_stack: false
    .vgpr_count:     41
    .vgpr_spill_count: 0
    .wavefront_size: 64
  - .args:
      - .offset:         0
        .size:           4
        .value_kind:     by_value
      - .offset:         8
        .size:           8
        .value_kind:     by_value
      - .address_space:  global
        .offset:         16
        .size:           8
        .value_kind:     global_buffer
      - .offset:         24
        .size:           8
        .value_kind:     by_value
      - .offset:         32
        .size:           8
        .value_kind:     by_value
      - .address_space:  global
        .offset:         40
        .size:           8
        .value_kind:     global_buffer
      - .offset:         48
        .size:           8
        .value_kind:     by_value
      - .offset:         56
        .size:           8
        .value_kind:     by_value
      - .address_space:  global
        .offset:         64
        .size:           8
        .value_kind:     global_buffer
      - .offset:         72
        .size:           8
        .value_kind:     by_value
      - .offset:         80
        .size:           8
        .value_kind:     by_value
      - .offset:         88
        .size:           4
        .value_kind:     by_value
    .group_segment_fixed_size: 4096
    .kernarg_segment_align: 8
    .kernarg_segment_size: 92
    .language:       OpenCL C
    .language_version:
      - 2
      - 0
    .max_flat_workgroup_size: 256
    .name:           _ZL37rocblas_syrkx_herkx_restricted_kernelIl19rocblas_complex_numIfELi16ELi32ELi8ELi1ELi1ELb1ELc67ELc76EKS1_S1_EviT_PT9_S3_lS5_S3_lPT10_S3_li
    .private_segment_fixed_size: 0
    .sgpr_count:     32
    .sgpr_spill_count: 0
    .symbol:         _ZL37rocblas_syrkx_herkx_restricted_kernelIl19rocblas_complex_numIfELi16ELi32ELi8ELi1ELi1ELb1ELc67ELc76EKS1_S1_EviT_PT9_S3_lS5_S3_lPT10_S3_li.kd
    .uniform_work_group_size: 1
    .uses_dynamic_stack: false
    .vgpr_count:     41
    .vgpr_spill_count: 0
    .wavefront_size: 64
  - .args:
      - .offset:         0
        .size:           4
        .value_kind:     by_value
      - .offset:         8
        .size:           8
        .value_kind:     by_value
      - .address_space:  global
        .offset:         16
        .size:           8
        .value_kind:     global_buffer
      - .offset:         24
        .size:           8
        .value_kind:     by_value
      - .offset:         32
        .size:           8
        .value_kind:     by_value
      - .address_space:  global
        .offset:         40
        .size:           8
        .value_kind:     global_buffer
      - .offset:         48
        .size:           8
        .value_kind:     by_value
      - .offset:         56
        .size:           8
        .value_kind:     by_value
      - .address_space:  global
        .offset:         64
        .size:           8
        .value_kind:     global_buffer
      - .offset:         72
        .size:           8
        .value_kind:     by_value
      - .offset:         80
        .size:           8
        .value_kind:     by_value
      - .offset:         88
        .size:           4
        .value_kind:     by_value
    .group_segment_fixed_size: 4096
    .kernarg_segment_align: 8
    .kernarg_segment_size: 92
    .language:       OpenCL C
    .language_version:
      - 2
      - 0
    .max_flat_workgroup_size: 256
    .name:           _ZL37rocblas_syrkx_herkx_restricted_kernelIl19rocblas_complex_numIfELi16ELi32ELi8ELi1ELi1ELb1ELc78ELc76EKS1_S1_EviT_PT9_S3_lS5_S3_lPT10_S3_li
    .private_segment_fixed_size: 0
    .sgpr_count:     32
    .sgpr_spill_count: 0
    .symbol:         _ZL37rocblas_syrkx_herkx_restricted_kernelIl19rocblas_complex_numIfELi16ELi32ELi8ELi1ELi1ELb1ELc78ELc76EKS1_S1_EviT_PT9_S3_lS5_S3_lPT10_S3_li.kd
    .uniform_work_group_size: 1
    .uses_dynamic_stack: false
    .vgpr_count:     43
    .vgpr_spill_count: 0
    .wavefront_size: 64
  - .args:
      - .offset:         0
        .size:           4
        .value_kind:     by_value
      - .offset:         8
        .size:           8
        .value_kind:     by_value
      - .address_space:  global
        .offset:         16
        .size:           8
        .value_kind:     global_buffer
      - .offset:         24
        .size:           8
        .value_kind:     by_value
      - .offset:         32
        .size:           8
        .value_kind:     by_value
      - .address_space:  global
        .offset:         40
        .size:           8
        .value_kind:     global_buffer
      - .offset:         48
        .size:           8
        .value_kind:     by_value
      - .offset:         56
        .size:           8
        .value_kind:     by_value
      - .address_space:  global
        .offset:         64
        .size:           8
        .value_kind:     global_buffer
      - .offset:         72
        .size:           8
        .value_kind:     by_value
      - .offset:         80
        .size:           8
        .value_kind:     by_value
      - .offset:         88
        .size:           4
        .value_kind:     by_value
    .group_segment_fixed_size: 4096
    .kernarg_segment_align: 8
    .kernarg_segment_size: 92
    .language:       OpenCL C
    .language_version:
      - 2
      - 0
    .max_flat_workgroup_size: 256
    .name:           _ZL37rocblas_syrkx_herkx_restricted_kernelIl19rocblas_complex_numIfELi16ELi32ELi8ELi1ELi1ELb1ELc84ELc85EKS1_S1_EviT_PT9_S3_lS5_S3_lPT10_S3_li
    .private_segment_fixed_size: 0
    .sgpr_count:     32
    .sgpr_spill_count: 0
    .symbol:         _ZL37rocblas_syrkx_herkx_restricted_kernelIl19rocblas_complex_numIfELi16ELi32ELi8ELi1ELi1ELb1ELc84ELc85EKS1_S1_EviT_PT9_S3_lS5_S3_lPT10_S3_li.kd
    .uniform_work_group_size: 1
    .uses_dynamic_stack: false
    .vgpr_count:     41
    .vgpr_spill_count: 0
    .wavefront_size: 64
  - .args:
      - .offset:         0
        .size:           4
        .value_kind:     by_value
      - .offset:         8
        .size:           8
        .value_kind:     by_value
      - .address_space:  global
        .offset:         16
        .size:           8
        .value_kind:     global_buffer
      - .offset:         24
        .size:           8
        .value_kind:     by_value
      - .offset:         32
        .size:           8
        .value_kind:     by_value
      - .address_space:  global
        .offset:         40
        .size:           8
        .value_kind:     global_buffer
      - .offset:         48
        .size:           8
        .value_kind:     by_value
      - .offset:         56
        .size:           8
        .value_kind:     by_value
      - .address_space:  global
        .offset:         64
        .size:           8
        .value_kind:     global_buffer
      - .offset:         72
        .size:           8
        .value_kind:     by_value
      - .offset:         80
        .size:           8
        .value_kind:     by_value
      - .offset:         88
        .size:           4
        .value_kind:     by_value
    .group_segment_fixed_size: 4096
    .kernarg_segment_align: 8
    .kernarg_segment_size: 92
    .language:       OpenCL C
    .language_version:
      - 2
      - 0
    .max_flat_workgroup_size: 256
    .name:           _ZL37rocblas_syrkx_herkx_restricted_kernelIl19rocblas_complex_numIfELi16ELi32ELi8ELi1ELi1ELb1ELc67ELc85EKS1_S1_EviT_PT9_S3_lS5_S3_lPT10_S3_li
    .private_segment_fixed_size: 0
    .sgpr_count:     32
    .sgpr_spill_count: 0
    .symbol:         _ZL37rocblas_syrkx_herkx_restricted_kernelIl19rocblas_complex_numIfELi16ELi32ELi8ELi1ELi1ELb1ELc67ELc85EKS1_S1_EviT_PT9_S3_lS5_S3_lPT10_S3_li.kd
    .uniform_work_group_size: 1
    .uses_dynamic_stack: false
    .vgpr_count:     41
    .vgpr_spill_count: 0
    .wavefront_size: 64
  - .args:
      - .offset:         0
        .size:           4
        .value_kind:     by_value
      - .offset:         8
        .size:           8
        .value_kind:     by_value
      - .address_space:  global
        .offset:         16
        .size:           8
        .value_kind:     global_buffer
      - .offset:         24
        .size:           8
        .value_kind:     by_value
      - .offset:         32
        .size:           8
        .value_kind:     by_value
      - .address_space:  global
        .offset:         40
        .size:           8
        .value_kind:     global_buffer
      - .offset:         48
        .size:           8
        .value_kind:     by_value
      - .offset:         56
        .size:           8
        .value_kind:     by_value
      - .address_space:  global
        .offset:         64
        .size:           8
        .value_kind:     global_buffer
      - .offset:         72
        .size:           8
        .value_kind:     by_value
      - .offset:         80
        .size:           8
        .value_kind:     by_value
      - .offset:         88
        .size:           4
        .value_kind:     by_value
    .group_segment_fixed_size: 4096
    .kernarg_segment_align: 8
    .kernarg_segment_size: 92
    .language:       OpenCL C
    .language_version:
      - 2
      - 0
    .max_flat_workgroup_size: 256
    .name:           _ZL37rocblas_syrkx_herkx_restricted_kernelIl19rocblas_complex_numIfELi16ELi32ELi8ELi1ELi1ELb1ELc78ELc85EKS1_S1_EviT_PT9_S3_lS5_S3_lPT10_S3_li
    .private_segment_fixed_size: 0
    .sgpr_count:     32
    .sgpr_spill_count: 0
    .symbol:         _ZL37rocblas_syrkx_herkx_restricted_kernelIl19rocblas_complex_numIfELi16ELi32ELi8ELi1ELi1ELb1ELc78ELc85EKS1_S1_EviT_PT9_S3_lS5_S3_lPT10_S3_li.kd
    .uniform_work_group_size: 1
    .uses_dynamic_stack: false
    .vgpr_count:     43
    .vgpr_spill_count: 0
    .wavefront_size: 64
  - .args:
      - .offset:         0
        .size:           4
        .value_kind:     by_value
      - .offset:         8
        .size:           8
        .value_kind:     by_value
      - .address_space:  global
        .offset:         16
        .size:           8
        .value_kind:     global_buffer
      - .offset:         24
        .size:           8
        .value_kind:     by_value
      - .offset:         32
        .size:           8
        .value_kind:     by_value
      - .address_space:  global
        .offset:         40
        .size:           8
        .value_kind:     global_buffer
      - .offset:         48
        .size:           8
        .value_kind:     by_value
      - .offset:         56
        .size:           8
        .value_kind:     by_value
      - .address_space:  global
        .offset:         64
        .size:           8
        .value_kind:     global_buffer
      - .offset:         72
        .size:           8
        .value_kind:     by_value
      - .offset:         80
        .size:           8
        .value_kind:     by_value
      - .offset:         88
        .size:           4
        .value_kind:     by_value
    .group_segment_fixed_size: 4096
    .kernarg_segment_align: 8
    .kernarg_segment_size: 92
    .language:       OpenCL C
    .language_version:
      - 2
      - 0
    .max_flat_workgroup_size: 256
    .name:           _ZL37rocblas_syrkx_herkx_restricted_kernelIl19rocblas_complex_numIfELi16ELi32ELi8ELi1ELin1ELb1ELc84ELc76EKS1_S1_EviT_PT9_S3_lS5_S3_lPT10_S3_li
    .private_segment_fixed_size: 0
    .sgpr_count:     32
    .sgpr_spill_count: 0
    .symbol:         _ZL37rocblas_syrkx_herkx_restricted_kernelIl19rocblas_complex_numIfELi16ELi32ELi8ELi1ELin1ELb1ELc84ELc76EKS1_S1_EviT_PT9_S3_lS5_S3_lPT10_S3_li.kd
    .uniform_work_group_size: 1
    .uses_dynamic_stack: false
    .vgpr_count:     41
    .vgpr_spill_count: 0
    .wavefront_size: 64
  - .args:
      - .offset:         0
        .size:           4
        .value_kind:     by_value
      - .offset:         8
        .size:           8
        .value_kind:     by_value
      - .address_space:  global
        .offset:         16
        .size:           8
        .value_kind:     global_buffer
      - .offset:         24
        .size:           8
        .value_kind:     by_value
      - .offset:         32
        .size:           8
        .value_kind:     by_value
      - .address_space:  global
        .offset:         40
        .size:           8
        .value_kind:     global_buffer
      - .offset:         48
        .size:           8
        .value_kind:     by_value
      - .offset:         56
        .size:           8
        .value_kind:     by_value
      - .address_space:  global
        .offset:         64
        .size:           8
        .value_kind:     global_buffer
      - .offset:         72
        .size:           8
        .value_kind:     by_value
      - .offset:         80
        .size:           8
        .value_kind:     by_value
      - .offset:         88
        .size:           4
        .value_kind:     by_value
    .group_segment_fixed_size: 4096
    .kernarg_segment_align: 8
    .kernarg_segment_size: 92
    .language:       OpenCL C
    .language_version:
      - 2
      - 0
    .max_flat_workgroup_size: 256
    .name:           _ZL37rocblas_syrkx_herkx_restricted_kernelIl19rocblas_complex_numIfELi16ELi32ELi8ELi1ELin1ELb1ELc67ELc76EKS1_S1_EviT_PT9_S3_lS5_S3_lPT10_S3_li
    .private_segment_fixed_size: 0
    .sgpr_count:     32
    .sgpr_spill_count: 0
    .symbol:         _ZL37rocblas_syrkx_herkx_restricted_kernelIl19rocblas_complex_numIfELi16ELi32ELi8ELi1ELin1ELb1ELc67ELc76EKS1_S1_EviT_PT9_S3_lS5_S3_lPT10_S3_li.kd
    .uniform_work_group_size: 1
    .uses_dynamic_stack: false
    .vgpr_count:     41
    .vgpr_spill_count: 0
    .wavefront_size: 64
  - .args:
      - .offset:         0
        .size:           4
        .value_kind:     by_value
      - .offset:         8
        .size:           8
        .value_kind:     by_value
      - .address_space:  global
        .offset:         16
        .size:           8
        .value_kind:     global_buffer
      - .offset:         24
        .size:           8
        .value_kind:     by_value
      - .offset:         32
        .size:           8
        .value_kind:     by_value
      - .address_space:  global
        .offset:         40
        .size:           8
        .value_kind:     global_buffer
      - .offset:         48
        .size:           8
        .value_kind:     by_value
      - .offset:         56
        .size:           8
        .value_kind:     by_value
      - .address_space:  global
        .offset:         64
        .size:           8
        .value_kind:     global_buffer
      - .offset:         72
        .size:           8
        .value_kind:     by_value
      - .offset:         80
        .size:           8
        .value_kind:     by_value
      - .offset:         88
        .size:           4
        .value_kind:     by_value
    .group_segment_fixed_size: 4096
    .kernarg_segment_align: 8
    .kernarg_segment_size: 92
    .language:       OpenCL C
    .language_version:
      - 2
      - 0
    .max_flat_workgroup_size: 256
    .name:           _ZL37rocblas_syrkx_herkx_restricted_kernelIl19rocblas_complex_numIfELi16ELi32ELi8ELi1ELin1ELb1ELc78ELc76EKS1_S1_EviT_PT9_S3_lS5_S3_lPT10_S3_li
    .private_segment_fixed_size: 0
    .sgpr_count:     32
    .sgpr_spill_count: 0
    .symbol:         _ZL37rocblas_syrkx_herkx_restricted_kernelIl19rocblas_complex_numIfELi16ELi32ELi8ELi1ELin1ELb1ELc78ELc76EKS1_S1_EviT_PT9_S3_lS5_S3_lPT10_S3_li.kd
    .uniform_work_group_size: 1
    .uses_dynamic_stack: false
    .vgpr_count:     43
    .vgpr_spill_count: 0
    .wavefront_size: 64
  - .args:
      - .offset:         0
        .size:           4
        .value_kind:     by_value
      - .offset:         8
        .size:           8
        .value_kind:     by_value
      - .address_space:  global
        .offset:         16
        .size:           8
        .value_kind:     global_buffer
      - .offset:         24
        .size:           8
        .value_kind:     by_value
      - .offset:         32
        .size:           8
        .value_kind:     by_value
      - .address_space:  global
        .offset:         40
        .size:           8
        .value_kind:     global_buffer
      - .offset:         48
        .size:           8
        .value_kind:     by_value
      - .offset:         56
        .size:           8
        .value_kind:     by_value
      - .address_space:  global
        .offset:         64
        .size:           8
        .value_kind:     global_buffer
      - .offset:         72
        .size:           8
        .value_kind:     by_value
      - .offset:         80
        .size:           8
        .value_kind:     by_value
      - .offset:         88
        .size:           4
        .value_kind:     by_value
    .group_segment_fixed_size: 4096
    .kernarg_segment_align: 8
    .kernarg_segment_size: 92
    .language:       OpenCL C
    .language_version:
      - 2
      - 0
    .max_flat_workgroup_size: 256
    .name:           _ZL37rocblas_syrkx_herkx_restricted_kernelIl19rocblas_complex_numIfELi16ELi32ELi8ELi1ELin1ELb1ELc84ELc85EKS1_S1_EviT_PT9_S3_lS5_S3_lPT10_S3_li
    .private_segment_fixed_size: 0
    .sgpr_count:     32
    .sgpr_spill_count: 0
    .symbol:         _ZL37rocblas_syrkx_herkx_restricted_kernelIl19rocblas_complex_numIfELi16ELi32ELi8ELi1ELin1ELb1ELc84ELc85EKS1_S1_EviT_PT9_S3_lS5_S3_lPT10_S3_li.kd
    .uniform_work_group_size: 1
    .uses_dynamic_stack: false
    .vgpr_count:     41
    .vgpr_spill_count: 0
    .wavefront_size: 64
  - .args:
      - .offset:         0
        .size:           4
        .value_kind:     by_value
      - .offset:         8
        .size:           8
        .value_kind:     by_value
      - .address_space:  global
        .offset:         16
        .size:           8
        .value_kind:     global_buffer
      - .offset:         24
        .size:           8
        .value_kind:     by_value
      - .offset:         32
        .size:           8
        .value_kind:     by_value
      - .address_space:  global
        .offset:         40
        .size:           8
        .value_kind:     global_buffer
      - .offset:         48
        .size:           8
        .value_kind:     by_value
      - .offset:         56
        .size:           8
        .value_kind:     by_value
      - .address_space:  global
        .offset:         64
        .size:           8
        .value_kind:     global_buffer
      - .offset:         72
        .size:           8
        .value_kind:     by_value
      - .offset:         80
        .size:           8
        .value_kind:     by_value
      - .offset:         88
        .size:           4
        .value_kind:     by_value
    .group_segment_fixed_size: 4096
    .kernarg_segment_align: 8
    .kernarg_segment_size: 92
    .language:       OpenCL C
    .language_version:
      - 2
      - 0
    .max_flat_workgroup_size: 256
    .name:           _ZL37rocblas_syrkx_herkx_restricted_kernelIl19rocblas_complex_numIfELi16ELi32ELi8ELi1ELin1ELb1ELc67ELc85EKS1_S1_EviT_PT9_S3_lS5_S3_lPT10_S3_li
    .private_segment_fixed_size: 0
    .sgpr_count:     32
    .sgpr_spill_count: 0
    .symbol:         _ZL37rocblas_syrkx_herkx_restricted_kernelIl19rocblas_complex_numIfELi16ELi32ELi8ELi1ELin1ELb1ELc67ELc85EKS1_S1_EviT_PT9_S3_lS5_S3_lPT10_S3_li.kd
    .uniform_work_group_size: 1
    .uses_dynamic_stack: false
    .vgpr_count:     41
    .vgpr_spill_count: 0
    .wavefront_size: 64
  - .args:
      - .offset:         0
        .size:           4
        .value_kind:     by_value
      - .offset:         8
        .size:           8
        .value_kind:     by_value
      - .address_space:  global
        .offset:         16
        .size:           8
        .value_kind:     global_buffer
      - .offset:         24
        .size:           8
        .value_kind:     by_value
      - .offset:         32
        .size:           8
        .value_kind:     by_value
      - .address_space:  global
        .offset:         40
        .size:           8
        .value_kind:     global_buffer
      - .offset:         48
        .size:           8
        .value_kind:     by_value
      - .offset:         56
        .size:           8
        .value_kind:     by_value
      - .address_space:  global
        .offset:         64
        .size:           8
        .value_kind:     global_buffer
      - .offset:         72
        .size:           8
        .value_kind:     by_value
      - .offset:         80
        .size:           8
        .value_kind:     by_value
      - .offset:         88
        .size:           4
        .value_kind:     by_value
    .group_segment_fixed_size: 4096
    .kernarg_segment_align: 8
    .kernarg_segment_size: 92
    .language:       OpenCL C
    .language_version:
      - 2
      - 0
    .max_flat_workgroup_size: 256
    .name:           _ZL37rocblas_syrkx_herkx_restricted_kernelIl19rocblas_complex_numIfELi16ELi32ELi8ELi1ELin1ELb1ELc78ELc85EKS1_S1_EviT_PT9_S3_lS5_S3_lPT10_S3_li
    .private_segment_fixed_size: 0
    .sgpr_count:     32
    .sgpr_spill_count: 0
    .symbol:         _ZL37rocblas_syrkx_herkx_restricted_kernelIl19rocblas_complex_numIfELi16ELi32ELi8ELi1ELin1ELb1ELc78ELc85EKS1_S1_EviT_PT9_S3_lS5_S3_lPT10_S3_li.kd
    .uniform_work_group_size: 1
    .uses_dynamic_stack: false
    .vgpr_count:     43
    .vgpr_spill_count: 0
    .wavefront_size: 64
  - .args:
      - .offset:         0
        .size:           4
        .value_kind:     by_value
      - .offset:         8
        .size:           8
        .value_kind:     by_value
      - .address_space:  global
        .offset:         16
        .size:           8
        .value_kind:     global_buffer
      - .offset:         24
        .size:           8
        .value_kind:     by_value
      - .offset:         32
        .size:           8
        .value_kind:     by_value
      - .address_space:  global
        .offset:         40
        .size:           8
        .value_kind:     global_buffer
      - .offset:         48
        .size:           8
        .value_kind:     by_value
      - .offset:         56
        .size:           8
        .value_kind:     by_value
      - .address_space:  global
        .offset:         64
        .size:           8
        .value_kind:     global_buffer
      - .offset:         72
        .size:           8
        .value_kind:     by_value
      - .offset:         80
        .size:           8
        .value_kind:     by_value
      - .offset:         88
        .size:           4
        .value_kind:     by_value
    .group_segment_fixed_size: 4096
    .kernarg_segment_align: 8
    .kernarg_segment_size: 92
    .language:       OpenCL C
    .language_version:
      - 2
      - 0
    .max_flat_workgroup_size: 256
    .name:           _ZL37rocblas_syrkx_herkx_restricted_kernelIl19rocblas_complex_numIfELi16ELi32ELi8ELi1ELi0ELb1ELc84ELc76EKS1_S1_EviT_PT9_S3_lS5_S3_lPT10_S3_li
    .private_segment_fixed_size: 0
    .sgpr_count:     32
    .sgpr_spill_count: 0
    .symbol:         _ZL37rocblas_syrkx_herkx_restricted_kernelIl19rocblas_complex_numIfELi16ELi32ELi8ELi1ELi0ELb1ELc84ELc76EKS1_S1_EviT_PT9_S3_lS5_S3_lPT10_S3_li.kd
    .uniform_work_group_size: 1
    .uses_dynamic_stack: false
    .vgpr_count:     41
    .vgpr_spill_count: 0
    .wavefront_size: 64
  - .args:
      - .offset:         0
        .size:           4
        .value_kind:     by_value
      - .offset:         8
        .size:           8
        .value_kind:     by_value
      - .address_space:  global
        .offset:         16
        .size:           8
        .value_kind:     global_buffer
      - .offset:         24
        .size:           8
        .value_kind:     by_value
      - .offset:         32
        .size:           8
        .value_kind:     by_value
      - .address_space:  global
        .offset:         40
        .size:           8
        .value_kind:     global_buffer
      - .offset:         48
        .size:           8
        .value_kind:     by_value
      - .offset:         56
        .size:           8
        .value_kind:     by_value
      - .address_space:  global
        .offset:         64
        .size:           8
        .value_kind:     global_buffer
      - .offset:         72
        .size:           8
        .value_kind:     by_value
      - .offset:         80
        .size:           8
        .value_kind:     by_value
      - .offset:         88
        .size:           4
        .value_kind:     by_value
    .group_segment_fixed_size: 4096
    .kernarg_segment_align: 8
    .kernarg_segment_size: 92
    .language:       OpenCL C
    .language_version:
      - 2
      - 0
    .max_flat_workgroup_size: 256
    .name:           _ZL37rocblas_syrkx_herkx_restricted_kernelIl19rocblas_complex_numIfELi16ELi32ELi8ELi1ELi0ELb1ELc67ELc76EKS1_S1_EviT_PT9_S3_lS5_S3_lPT10_S3_li
    .private_segment_fixed_size: 0
    .sgpr_count:     32
    .sgpr_spill_count: 0
    .symbol:         _ZL37rocblas_syrkx_herkx_restricted_kernelIl19rocblas_complex_numIfELi16ELi32ELi8ELi1ELi0ELb1ELc67ELc76EKS1_S1_EviT_PT9_S3_lS5_S3_lPT10_S3_li.kd
    .uniform_work_group_size: 1
    .uses_dynamic_stack: false
    .vgpr_count:     41
    .vgpr_spill_count: 0
    .wavefront_size: 64
  - .args:
      - .offset:         0
        .size:           4
        .value_kind:     by_value
      - .offset:         8
        .size:           8
        .value_kind:     by_value
      - .address_space:  global
        .offset:         16
        .size:           8
        .value_kind:     global_buffer
      - .offset:         24
        .size:           8
        .value_kind:     by_value
      - .offset:         32
        .size:           8
        .value_kind:     by_value
      - .address_space:  global
        .offset:         40
        .size:           8
        .value_kind:     global_buffer
      - .offset:         48
        .size:           8
        .value_kind:     by_value
      - .offset:         56
        .size:           8
        .value_kind:     by_value
      - .address_space:  global
        .offset:         64
        .size:           8
        .value_kind:     global_buffer
      - .offset:         72
        .size:           8
        .value_kind:     by_value
      - .offset:         80
        .size:           8
        .value_kind:     by_value
      - .offset:         88
        .size:           4
        .value_kind:     by_value
    .group_segment_fixed_size: 4096
    .kernarg_segment_align: 8
    .kernarg_segment_size: 92
    .language:       OpenCL C
    .language_version:
      - 2
      - 0
    .max_flat_workgroup_size: 256
    .name:           _ZL37rocblas_syrkx_herkx_restricted_kernelIl19rocblas_complex_numIfELi16ELi32ELi8ELi1ELi0ELb1ELc78ELc76EKS1_S1_EviT_PT9_S3_lS5_S3_lPT10_S3_li
    .private_segment_fixed_size: 0
    .sgpr_count:     32
    .sgpr_spill_count: 0
    .symbol:         _ZL37rocblas_syrkx_herkx_restricted_kernelIl19rocblas_complex_numIfELi16ELi32ELi8ELi1ELi0ELb1ELc78ELc76EKS1_S1_EviT_PT9_S3_lS5_S3_lPT10_S3_li.kd
    .uniform_work_group_size: 1
    .uses_dynamic_stack: false
    .vgpr_count:     44
    .vgpr_spill_count: 0
    .wavefront_size: 64
  - .args:
      - .offset:         0
        .size:           4
        .value_kind:     by_value
      - .offset:         8
        .size:           8
        .value_kind:     by_value
      - .address_space:  global
        .offset:         16
        .size:           8
        .value_kind:     global_buffer
      - .offset:         24
        .size:           8
        .value_kind:     by_value
      - .offset:         32
        .size:           8
        .value_kind:     by_value
      - .address_space:  global
        .offset:         40
        .size:           8
        .value_kind:     global_buffer
      - .offset:         48
        .size:           8
        .value_kind:     by_value
      - .offset:         56
        .size:           8
        .value_kind:     by_value
      - .address_space:  global
        .offset:         64
        .size:           8
        .value_kind:     global_buffer
      - .offset:         72
        .size:           8
        .value_kind:     by_value
      - .offset:         80
        .size:           8
        .value_kind:     by_value
      - .offset:         88
        .size:           4
        .value_kind:     by_value
    .group_segment_fixed_size: 4096
    .kernarg_segment_align: 8
    .kernarg_segment_size: 92
    .language:       OpenCL C
    .language_version:
      - 2
      - 0
    .max_flat_workgroup_size: 256
    .name:           _ZL37rocblas_syrkx_herkx_restricted_kernelIl19rocblas_complex_numIfELi16ELi32ELi8ELi1ELi0ELb1ELc84ELc85EKS1_S1_EviT_PT9_S3_lS5_S3_lPT10_S3_li
    .private_segment_fixed_size: 0
    .sgpr_count:     32
    .sgpr_spill_count: 0
    .symbol:         _ZL37rocblas_syrkx_herkx_restricted_kernelIl19rocblas_complex_numIfELi16ELi32ELi8ELi1ELi0ELb1ELc84ELc85EKS1_S1_EviT_PT9_S3_lS5_S3_lPT10_S3_li.kd
    .uniform_work_group_size: 1
    .uses_dynamic_stack: false
    .vgpr_count:     41
    .vgpr_spill_count: 0
    .wavefront_size: 64
  - .args:
      - .offset:         0
        .size:           4
        .value_kind:     by_value
      - .offset:         8
        .size:           8
        .value_kind:     by_value
      - .address_space:  global
        .offset:         16
        .size:           8
        .value_kind:     global_buffer
      - .offset:         24
        .size:           8
        .value_kind:     by_value
      - .offset:         32
        .size:           8
        .value_kind:     by_value
      - .address_space:  global
        .offset:         40
        .size:           8
        .value_kind:     global_buffer
      - .offset:         48
        .size:           8
        .value_kind:     by_value
      - .offset:         56
        .size:           8
        .value_kind:     by_value
      - .address_space:  global
        .offset:         64
        .size:           8
        .value_kind:     global_buffer
      - .offset:         72
        .size:           8
        .value_kind:     by_value
      - .offset:         80
        .size:           8
        .value_kind:     by_value
      - .offset:         88
        .size:           4
        .value_kind:     by_value
    .group_segment_fixed_size: 4096
    .kernarg_segment_align: 8
    .kernarg_segment_size: 92
    .language:       OpenCL C
    .language_version:
      - 2
      - 0
    .max_flat_workgroup_size: 256
    .name:           _ZL37rocblas_syrkx_herkx_restricted_kernelIl19rocblas_complex_numIfELi16ELi32ELi8ELi1ELi0ELb1ELc67ELc85EKS1_S1_EviT_PT9_S3_lS5_S3_lPT10_S3_li
    .private_segment_fixed_size: 0
    .sgpr_count:     32
    .sgpr_spill_count: 0
    .symbol:         _ZL37rocblas_syrkx_herkx_restricted_kernelIl19rocblas_complex_numIfELi16ELi32ELi8ELi1ELi0ELb1ELc67ELc85EKS1_S1_EviT_PT9_S3_lS5_S3_lPT10_S3_li.kd
    .uniform_work_group_size: 1
    .uses_dynamic_stack: false
    .vgpr_count:     41
    .vgpr_spill_count: 0
    .wavefront_size: 64
  - .args:
      - .offset:         0
        .size:           4
        .value_kind:     by_value
      - .offset:         8
        .size:           8
        .value_kind:     by_value
      - .address_space:  global
        .offset:         16
        .size:           8
        .value_kind:     global_buffer
      - .offset:         24
        .size:           8
        .value_kind:     by_value
      - .offset:         32
        .size:           8
        .value_kind:     by_value
      - .address_space:  global
        .offset:         40
        .size:           8
        .value_kind:     global_buffer
      - .offset:         48
        .size:           8
        .value_kind:     by_value
      - .offset:         56
        .size:           8
        .value_kind:     by_value
      - .address_space:  global
        .offset:         64
        .size:           8
        .value_kind:     global_buffer
      - .offset:         72
        .size:           8
        .value_kind:     by_value
      - .offset:         80
        .size:           8
        .value_kind:     by_value
      - .offset:         88
        .size:           4
        .value_kind:     by_value
    .group_segment_fixed_size: 4096
    .kernarg_segment_align: 8
    .kernarg_segment_size: 92
    .language:       OpenCL C
    .language_version:
      - 2
      - 0
    .max_flat_workgroup_size: 256
    .name:           _ZL37rocblas_syrkx_herkx_restricted_kernelIl19rocblas_complex_numIfELi16ELi32ELi8ELi1ELi0ELb1ELc78ELc85EKS1_S1_EviT_PT9_S3_lS5_S3_lPT10_S3_li
    .private_segment_fixed_size: 0
    .sgpr_count:     32
    .sgpr_spill_count: 0
    .symbol:         _ZL37rocblas_syrkx_herkx_restricted_kernelIl19rocblas_complex_numIfELi16ELi32ELi8ELi1ELi0ELb1ELc78ELc85EKS1_S1_EviT_PT9_S3_lS5_S3_lPT10_S3_li.kd
    .uniform_work_group_size: 1
    .uses_dynamic_stack: false
    .vgpr_count:     44
    .vgpr_spill_count: 0
    .wavefront_size: 64
  - .args:
      - .offset:         0
        .size:           4
        .value_kind:     by_value
      - .offset:         8
        .size:           8
        .value_kind:     by_value
      - .address_space:  global
        .offset:         16
        .size:           8
        .value_kind:     global_buffer
      - .offset:         24
        .size:           8
        .value_kind:     by_value
      - .offset:         32
        .size:           8
        .value_kind:     by_value
      - .address_space:  global
        .offset:         40
        .size:           8
        .value_kind:     global_buffer
      - .offset:         48
        .size:           8
        .value_kind:     by_value
      - .offset:         56
        .size:           8
        .value_kind:     by_value
      - .address_space:  global
        .offset:         64
        .size:           8
        .value_kind:     global_buffer
      - .offset:         72
        .size:           8
        .value_kind:     by_value
      - .offset:         80
        .size:           8
        .value_kind:     by_value
      - .offset:         88
        .size:           4
        .value_kind:     by_value
    .group_segment_fixed_size: 4096
    .kernarg_segment_align: 8
    .kernarg_segment_size: 92
    .language:       OpenCL C
    .language_version:
      - 2
      - 0
    .max_flat_workgroup_size: 256
    .name:           _ZL37rocblas_syrkx_herkx_restricted_kernelIl19rocblas_complex_numIfELi16ELi32ELi8ELin1ELi0ELb1ELc84ELc76EKS1_S1_EviT_PT9_S3_lS5_S3_lPT10_S3_li
    .private_segment_fixed_size: 0
    .sgpr_count:     32
    .sgpr_spill_count: 0
    .symbol:         _ZL37rocblas_syrkx_herkx_restricted_kernelIl19rocblas_complex_numIfELi16ELi32ELi8ELin1ELi0ELb1ELc84ELc76EKS1_S1_EviT_PT9_S3_lS5_S3_lPT10_S3_li.kd
    .uniform_work_group_size: 1
    .uses_dynamic_stack: false
    .vgpr_count:     41
    .vgpr_spill_count: 0
    .wavefront_size: 64
  - .args:
      - .offset:         0
        .size:           4
        .value_kind:     by_value
      - .offset:         8
        .size:           8
        .value_kind:     by_value
      - .address_space:  global
        .offset:         16
        .size:           8
        .value_kind:     global_buffer
      - .offset:         24
        .size:           8
        .value_kind:     by_value
      - .offset:         32
        .size:           8
        .value_kind:     by_value
      - .address_space:  global
        .offset:         40
        .size:           8
        .value_kind:     global_buffer
      - .offset:         48
        .size:           8
        .value_kind:     by_value
      - .offset:         56
        .size:           8
        .value_kind:     by_value
      - .address_space:  global
        .offset:         64
        .size:           8
        .value_kind:     global_buffer
      - .offset:         72
        .size:           8
        .value_kind:     by_value
      - .offset:         80
        .size:           8
        .value_kind:     by_value
      - .offset:         88
        .size:           4
        .value_kind:     by_value
    .group_segment_fixed_size: 4096
    .kernarg_segment_align: 8
    .kernarg_segment_size: 92
    .language:       OpenCL C
    .language_version:
      - 2
      - 0
    .max_flat_workgroup_size: 256
    .name:           _ZL37rocblas_syrkx_herkx_restricted_kernelIl19rocblas_complex_numIfELi16ELi32ELi8ELin1ELi0ELb1ELc67ELc76EKS1_S1_EviT_PT9_S3_lS5_S3_lPT10_S3_li
    .private_segment_fixed_size: 0
    .sgpr_count:     32
    .sgpr_spill_count: 0
    .symbol:         _ZL37rocblas_syrkx_herkx_restricted_kernelIl19rocblas_complex_numIfELi16ELi32ELi8ELin1ELi0ELb1ELc67ELc76EKS1_S1_EviT_PT9_S3_lS5_S3_lPT10_S3_li.kd
    .uniform_work_group_size: 1
    .uses_dynamic_stack: false
    .vgpr_count:     41
    .vgpr_spill_count: 0
    .wavefront_size: 64
  - .args:
      - .offset:         0
        .size:           4
        .value_kind:     by_value
      - .offset:         8
        .size:           8
        .value_kind:     by_value
      - .address_space:  global
        .offset:         16
        .size:           8
        .value_kind:     global_buffer
      - .offset:         24
        .size:           8
        .value_kind:     by_value
      - .offset:         32
        .size:           8
        .value_kind:     by_value
      - .address_space:  global
        .offset:         40
        .size:           8
        .value_kind:     global_buffer
      - .offset:         48
        .size:           8
        .value_kind:     by_value
      - .offset:         56
        .size:           8
        .value_kind:     by_value
      - .address_space:  global
        .offset:         64
        .size:           8
        .value_kind:     global_buffer
      - .offset:         72
        .size:           8
        .value_kind:     by_value
      - .offset:         80
        .size:           8
        .value_kind:     by_value
      - .offset:         88
        .size:           4
        .value_kind:     by_value
    .group_segment_fixed_size: 4096
    .kernarg_segment_align: 8
    .kernarg_segment_size: 92
    .language:       OpenCL C
    .language_version:
      - 2
      - 0
    .max_flat_workgroup_size: 256
    .name:           _ZL37rocblas_syrkx_herkx_restricted_kernelIl19rocblas_complex_numIfELi16ELi32ELi8ELin1ELi0ELb1ELc78ELc76EKS1_S1_EviT_PT9_S3_lS5_S3_lPT10_S3_li
    .private_segment_fixed_size: 0
    .sgpr_count:     32
    .sgpr_spill_count: 0
    .symbol:         _ZL37rocblas_syrkx_herkx_restricted_kernelIl19rocblas_complex_numIfELi16ELi32ELi8ELin1ELi0ELb1ELc78ELc76EKS1_S1_EviT_PT9_S3_lS5_S3_lPT10_S3_li.kd
    .uniform_work_group_size: 1
    .uses_dynamic_stack: false
    .vgpr_count:     43
    .vgpr_spill_count: 0
    .wavefront_size: 64
  - .args:
      - .offset:         0
        .size:           4
        .value_kind:     by_value
      - .offset:         8
        .size:           8
        .value_kind:     by_value
      - .address_space:  global
        .offset:         16
        .size:           8
        .value_kind:     global_buffer
      - .offset:         24
        .size:           8
        .value_kind:     by_value
      - .offset:         32
        .size:           8
        .value_kind:     by_value
      - .address_space:  global
        .offset:         40
        .size:           8
        .value_kind:     global_buffer
      - .offset:         48
        .size:           8
        .value_kind:     by_value
      - .offset:         56
        .size:           8
        .value_kind:     by_value
      - .address_space:  global
        .offset:         64
        .size:           8
        .value_kind:     global_buffer
      - .offset:         72
        .size:           8
        .value_kind:     by_value
      - .offset:         80
        .size:           8
        .value_kind:     by_value
      - .offset:         88
        .size:           4
        .value_kind:     by_value
    .group_segment_fixed_size: 4096
    .kernarg_segment_align: 8
    .kernarg_segment_size: 92
    .language:       OpenCL C
    .language_version:
      - 2
      - 0
    .max_flat_workgroup_size: 256
    .name:           _ZL37rocblas_syrkx_herkx_restricted_kernelIl19rocblas_complex_numIfELi16ELi32ELi8ELin1ELi0ELb1ELc84ELc85EKS1_S1_EviT_PT9_S3_lS5_S3_lPT10_S3_li
    .private_segment_fixed_size: 0
    .sgpr_count:     32
    .sgpr_spill_count: 0
    .symbol:         _ZL37rocblas_syrkx_herkx_restricted_kernelIl19rocblas_complex_numIfELi16ELi32ELi8ELin1ELi0ELb1ELc84ELc85EKS1_S1_EviT_PT9_S3_lS5_S3_lPT10_S3_li.kd
    .uniform_work_group_size: 1
    .uses_dynamic_stack: false
    .vgpr_count:     41
    .vgpr_spill_count: 0
    .wavefront_size: 64
  - .args:
      - .offset:         0
        .size:           4
        .value_kind:     by_value
      - .offset:         8
        .size:           8
        .value_kind:     by_value
      - .address_space:  global
        .offset:         16
        .size:           8
        .value_kind:     global_buffer
      - .offset:         24
        .size:           8
        .value_kind:     by_value
      - .offset:         32
        .size:           8
        .value_kind:     by_value
      - .address_space:  global
        .offset:         40
        .size:           8
        .value_kind:     global_buffer
      - .offset:         48
        .size:           8
        .value_kind:     by_value
      - .offset:         56
        .size:           8
        .value_kind:     by_value
      - .address_space:  global
        .offset:         64
        .size:           8
        .value_kind:     global_buffer
      - .offset:         72
        .size:           8
        .value_kind:     by_value
      - .offset:         80
        .size:           8
        .value_kind:     by_value
      - .offset:         88
        .size:           4
        .value_kind:     by_value
    .group_segment_fixed_size: 4096
    .kernarg_segment_align: 8
    .kernarg_segment_size: 92
    .language:       OpenCL C
    .language_version:
      - 2
      - 0
    .max_flat_workgroup_size: 256
    .name:           _ZL37rocblas_syrkx_herkx_restricted_kernelIl19rocblas_complex_numIfELi16ELi32ELi8ELin1ELi0ELb1ELc67ELc85EKS1_S1_EviT_PT9_S3_lS5_S3_lPT10_S3_li
    .private_segment_fixed_size: 0
    .sgpr_count:     32
    .sgpr_spill_count: 0
    .symbol:         _ZL37rocblas_syrkx_herkx_restricted_kernelIl19rocblas_complex_numIfELi16ELi32ELi8ELin1ELi0ELb1ELc67ELc85EKS1_S1_EviT_PT9_S3_lS5_S3_lPT10_S3_li.kd
    .uniform_work_group_size: 1
    .uses_dynamic_stack: false
    .vgpr_count:     41
    .vgpr_spill_count: 0
    .wavefront_size: 64
  - .args:
      - .offset:         0
        .size:           4
        .value_kind:     by_value
      - .offset:         8
        .size:           8
        .value_kind:     by_value
      - .address_space:  global
        .offset:         16
        .size:           8
        .value_kind:     global_buffer
      - .offset:         24
        .size:           8
        .value_kind:     by_value
      - .offset:         32
        .size:           8
        .value_kind:     by_value
      - .address_space:  global
        .offset:         40
        .size:           8
        .value_kind:     global_buffer
      - .offset:         48
        .size:           8
        .value_kind:     by_value
      - .offset:         56
        .size:           8
        .value_kind:     by_value
      - .address_space:  global
        .offset:         64
        .size:           8
        .value_kind:     global_buffer
      - .offset:         72
        .size:           8
        .value_kind:     by_value
      - .offset:         80
        .size:           8
        .value_kind:     by_value
      - .offset:         88
        .size:           4
        .value_kind:     by_value
    .group_segment_fixed_size: 4096
    .kernarg_segment_align: 8
    .kernarg_segment_size: 92
    .language:       OpenCL C
    .language_version:
      - 2
      - 0
    .max_flat_workgroup_size: 256
    .name:           _ZL37rocblas_syrkx_herkx_restricted_kernelIl19rocblas_complex_numIfELi16ELi32ELi8ELin1ELi0ELb1ELc78ELc85EKS1_S1_EviT_PT9_S3_lS5_S3_lPT10_S3_li
    .private_segment_fixed_size: 0
    .sgpr_count:     32
    .sgpr_spill_count: 0
    .symbol:         _ZL37rocblas_syrkx_herkx_restricted_kernelIl19rocblas_complex_numIfELi16ELi32ELi8ELin1ELi0ELb1ELc78ELc85EKS1_S1_EviT_PT9_S3_lS5_S3_lPT10_S3_li.kd
    .uniform_work_group_size: 1
    .uses_dynamic_stack: false
    .vgpr_count:     43
    .vgpr_spill_count: 0
    .wavefront_size: 64
  - .args:
      - .offset:         0
        .size:           4
        .value_kind:     by_value
      - .offset:         8
        .size:           8
        .value_kind:     by_value
      - .offset:         16
        .size:           8
        .value_kind:     by_value
      - .address_space:  global
        .offset:         24
        .size:           8
        .value_kind:     global_buffer
      - .offset:         32
        .size:           8
        .value_kind:     by_value
      - .offset:         40
        .size:           8
        .value_kind:     by_value
      - .address_space:  global
        .offset:         48
        .size:           8
        .value_kind:     global_buffer
      - .offset:         56
        .size:           8
        .value_kind:     by_value
      - .offset:         64
        .size:           8
        .value_kind:     by_value
      - .offset:         72
        .size:           8
        .value_kind:     by_value
      - .address_space:  global
        .offset:         80
        .size:           8
        .value_kind:     global_buffer
      - .offset:         88
        .size:           8
        .value_kind:     by_value
      - .offset:         96
        .size:           8
        .value_kind:     by_value
      - .offset:         104
        .size:           4
        .value_kind:     by_value
    .group_segment_fixed_size: 4096
    .kernarg_segment_align: 8
    .kernarg_segment_size: 108
    .language:       OpenCL C
    .language_version:
      - 2
      - 0
    .max_flat_workgroup_size: 256
    .name:           _ZL37rocblas_syrkx_herkx_restricted_kernelIl19rocblas_complex_numIfELi16ELi32ELi8ELb1ELb1ELc84ELc76EKS1_S1_EviT_T0_PT8_S3_lS6_S3_lS4_PT9_S3_li
    .private_segment_fixed_size: 0
    .sgpr_count:     32
    .sgpr_spill_count: 0
    .symbol:         _ZL37rocblas_syrkx_herkx_restricted_kernelIl19rocblas_complex_numIfELi16ELi32ELi8ELb1ELb1ELc84ELc76EKS1_S1_EviT_T0_PT8_S3_lS6_S3_lS4_PT9_S3_li.kd
    .uniform_work_group_size: 1
    .uses_dynamic_stack: false
    .vgpr_count:     41
    .vgpr_spill_count: 0
    .wavefront_size: 64
  - .args:
      - .offset:         0
        .size:           4
        .value_kind:     by_value
      - .offset:         8
        .size:           8
        .value_kind:     by_value
      - .offset:         16
        .size:           8
        .value_kind:     by_value
      - .address_space:  global
        .offset:         24
        .size:           8
        .value_kind:     global_buffer
      - .offset:         32
        .size:           8
        .value_kind:     by_value
      - .offset:         40
        .size:           8
        .value_kind:     by_value
      - .address_space:  global
        .offset:         48
        .size:           8
        .value_kind:     global_buffer
      - .offset:         56
        .size:           8
        .value_kind:     by_value
      - .offset:         64
        .size:           8
        .value_kind:     by_value
      - .offset:         72
        .size:           8
        .value_kind:     by_value
      - .address_space:  global
        .offset:         80
        .size:           8
        .value_kind:     global_buffer
      - .offset:         88
        .size:           8
        .value_kind:     by_value
      - .offset:         96
        .size:           8
        .value_kind:     by_value
      - .offset:         104
        .size:           4
        .value_kind:     by_value
    .group_segment_fixed_size: 4096
    .kernarg_segment_align: 8
    .kernarg_segment_size: 108
    .language:       OpenCL C
    .language_version:
      - 2
      - 0
    .max_flat_workgroup_size: 256
    .name:           _ZL37rocblas_syrkx_herkx_restricted_kernelIl19rocblas_complex_numIfELi16ELi32ELi8ELb1ELb1ELc67ELc76EKS1_S1_EviT_T0_PT8_S3_lS6_S3_lS4_PT9_S3_li
    .private_segment_fixed_size: 0
    .sgpr_count:     32
    .sgpr_spill_count: 0
    .symbol:         _ZL37rocblas_syrkx_herkx_restricted_kernelIl19rocblas_complex_numIfELi16ELi32ELi8ELb1ELb1ELc67ELc76EKS1_S1_EviT_T0_PT8_S3_lS6_S3_lS4_PT9_S3_li.kd
    .uniform_work_group_size: 1
    .uses_dynamic_stack: false
    .vgpr_count:     41
    .vgpr_spill_count: 0
    .wavefront_size: 64
  - .args:
      - .offset:         0
        .size:           4
        .value_kind:     by_value
      - .offset:         8
        .size:           8
        .value_kind:     by_value
      - .offset:         16
        .size:           8
        .value_kind:     by_value
      - .address_space:  global
        .offset:         24
        .size:           8
        .value_kind:     global_buffer
      - .offset:         32
        .size:           8
        .value_kind:     by_value
      - .offset:         40
        .size:           8
        .value_kind:     by_value
      - .address_space:  global
        .offset:         48
        .size:           8
        .value_kind:     global_buffer
      - .offset:         56
        .size:           8
        .value_kind:     by_value
      - .offset:         64
        .size:           8
        .value_kind:     by_value
      - .offset:         72
        .size:           8
        .value_kind:     by_value
      - .address_space:  global
        .offset:         80
        .size:           8
        .value_kind:     global_buffer
      - .offset:         88
        .size:           8
        .value_kind:     by_value
      - .offset:         96
        .size:           8
        .value_kind:     by_value
      - .offset:         104
        .size:           4
        .value_kind:     by_value
    .group_segment_fixed_size: 4096
    .kernarg_segment_align: 8
    .kernarg_segment_size: 108
    .language:       OpenCL C
    .language_version:
      - 2
      - 0
    .max_flat_workgroup_size: 256
    .name:           _ZL37rocblas_syrkx_herkx_restricted_kernelIl19rocblas_complex_numIfELi16ELi32ELi8ELb1ELb1ELc78ELc76EKS1_S1_EviT_T0_PT8_S3_lS6_S3_lS4_PT9_S3_li
    .private_segment_fixed_size: 0
    .sgpr_count:     32
    .sgpr_spill_count: 0
    .symbol:         _ZL37rocblas_syrkx_herkx_restricted_kernelIl19rocblas_complex_numIfELi16ELi32ELi8ELb1ELb1ELc78ELc76EKS1_S1_EviT_T0_PT8_S3_lS6_S3_lS4_PT9_S3_li.kd
    .uniform_work_group_size: 1
    .uses_dynamic_stack: false
    .vgpr_count:     43
    .vgpr_spill_count: 0
    .wavefront_size: 64
  - .args:
      - .offset:         0
        .size:           4
        .value_kind:     by_value
      - .offset:         8
        .size:           8
        .value_kind:     by_value
      - .offset:         16
        .size:           8
        .value_kind:     by_value
      - .address_space:  global
        .offset:         24
        .size:           8
        .value_kind:     global_buffer
      - .offset:         32
        .size:           8
        .value_kind:     by_value
      - .offset:         40
        .size:           8
        .value_kind:     by_value
      - .address_space:  global
        .offset:         48
        .size:           8
        .value_kind:     global_buffer
      - .offset:         56
        .size:           8
        .value_kind:     by_value
      - .offset:         64
        .size:           8
        .value_kind:     by_value
      - .offset:         72
        .size:           8
        .value_kind:     by_value
      - .address_space:  global
        .offset:         80
        .size:           8
        .value_kind:     global_buffer
      - .offset:         88
        .size:           8
        .value_kind:     by_value
      - .offset:         96
        .size:           8
        .value_kind:     by_value
      - .offset:         104
        .size:           4
        .value_kind:     by_value
    .group_segment_fixed_size: 4096
    .kernarg_segment_align: 8
    .kernarg_segment_size: 108
    .language:       OpenCL C
    .language_version:
      - 2
      - 0
    .max_flat_workgroup_size: 256
    .name:           _ZL37rocblas_syrkx_herkx_restricted_kernelIl19rocblas_complex_numIfELi16ELi32ELi8ELb1ELb1ELc84ELc85EKS1_S1_EviT_T0_PT8_S3_lS6_S3_lS4_PT9_S3_li
    .private_segment_fixed_size: 0
    .sgpr_count:     32
    .sgpr_spill_count: 0
    .symbol:         _ZL37rocblas_syrkx_herkx_restricted_kernelIl19rocblas_complex_numIfELi16ELi32ELi8ELb1ELb1ELc84ELc85EKS1_S1_EviT_T0_PT8_S3_lS6_S3_lS4_PT9_S3_li.kd
    .uniform_work_group_size: 1
    .uses_dynamic_stack: false
    .vgpr_count:     41
    .vgpr_spill_count: 0
    .wavefront_size: 64
  - .args:
      - .offset:         0
        .size:           4
        .value_kind:     by_value
      - .offset:         8
        .size:           8
        .value_kind:     by_value
      - .offset:         16
        .size:           8
        .value_kind:     by_value
      - .address_space:  global
        .offset:         24
        .size:           8
        .value_kind:     global_buffer
      - .offset:         32
        .size:           8
        .value_kind:     by_value
      - .offset:         40
        .size:           8
        .value_kind:     by_value
      - .address_space:  global
        .offset:         48
        .size:           8
        .value_kind:     global_buffer
      - .offset:         56
        .size:           8
        .value_kind:     by_value
      - .offset:         64
        .size:           8
        .value_kind:     by_value
      - .offset:         72
        .size:           8
        .value_kind:     by_value
      - .address_space:  global
        .offset:         80
        .size:           8
        .value_kind:     global_buffer
      - .offset:         88
        .size:           8
        .value_kind:     by_value
      - .offset:         96
        .size:           8
        .value_kind:     by_value
      - .offset:         104
        .size:           4
        .value_kind:     by_value
    .group_segment_fixed_size: 4096
    .kernarg_segment_align: 8
    .kernarg_segment_size: 108
    .language:       OpenCL C
    .language_version:
      - 2
      - 0
    .max_flat_workgroup_size: 256
    .name:           _ZL37rocblas_syrkx_herkx_restricted_kernelIl19rocblas_complex_numIfELi16ELi32ELi8ELb1ELb1ELc67ELc85EKS1_S1_EviT_T0_PT8_S3_lS6_S3_lS4_PT9_S3_li
    .private_segment_fixed_size: 0
    .sgpr_count:     32
    .sgpr_spill_count: 0
    .symbol:         _ZL37rocblas_syrkx_herkx_restricted_kernelIl19rocblas_complex_numIfELi16ELi32ELi8ELb1ELb1ELc67ELc85EKS1_S1_EviT_T0_PT8_S3_lS6_S3_lS4_PT9_S3_li.kd
    .uniform_work_group_size: 1
    .uses_dynamic_stack: false
    .vgpr_count:     41
    .vgpr_spill_count: 0
    .wavefront_size: 64
  - .args:
      - .offset:         0
        .size:           4
        .value_kind:     by_value
      - .offset:         8
        .size:           8
        .value_kind:     by_value
      - .offset:         16
        .size:           8
        .value_kind:     by_value
      - .address_space:  global
        .offset:         24
        .size:           8
        .value_kind:     global_buffer
      - .offset:         32
        .size:           8
        .value_kind:     by_value
      - .offset:         40
        .size:           8
        .value_kind:     by_value
      - .address_space:  global
        .offset:         48
        .size:           8
        .value_kind:     global_buffer
      - .offset:         56
        .size:           8
        .value_kind:     by_value
      - .offset:         64
        .size:           8
        .value_kind:     by_value
      - .offset:         72
        .size:           8
        .value_kind:     by_value
      - .address_space:  global
        .offset:         80
        .size:           8
        .value_kind:     global_buffer
      - .offset:         88
        .size:           8
        .value_kind:     by_value
      - .offset:         96
        .size:           8
        .value_kind:     by_value
      - .offset:         104
        .size:           4
        .value_kind:     by_value
    .group_segment_fixed_size: 4096
    .kernarg_segment_align: 8
    .kernarg_segment_size: 108
    .language:       OpenCL C
    .language_version:
      - 2
      - 0
    .max_flat_workgroup_size: 256
    .name:           _ZL37rocblas_syrkx_herkx_restricted_kernelIl19rocblas_complex_numIfELi16ELi32ELi8ELb1ELb1ELc78ELc85EKS1_S1_EviT_T0_PT8_S3_lS6_S3_lS4_PT9_S3_li
    .private_segment_fixed_size: 0
    .sgpr_count:     32
    .sgpr_spill_count: 0
    .symbol:         _ZL37rocblas_syrkx_herkx_restricted_kernelIl19rocblas_complex_numIfELi16ELi32ELi8ELb1ELb1ELc78ELc85EKS1_S1_EviT_T0_PT8_S3_lS6_S3_lS4_PT9_S3_li.kd
    .uniform_work_group_size: 1
    .uses_dynamic_stack: false
    .vgpr_count:     43
    .vgpr_spill_count: 0
    .wavefront_size: 64
  - .args:
      - .offset:         0
        .size:           4
        .value_kind:     by_value
      - .offset:         8
        .size:           8
        .value_kind:     by_value
      - .offset:         16
        .size:           8
        .value_kind:     by_value
      - .address_space:  global
        .offset:         24
        .size:           8
        .value_kind:     global_buffer
      - .offset:         32
        .size:           8
        .value_kind:     by_value
      - .offset:         40
        .size:           8
        .value_kind:     by_value
      - .address_space:  global
        .offset:         48
        .size:           8
        .value_kind:     global_buffer
      - .offset:         56
        .size:           8
        .value_kind:     by_value
      - .offset:         64
        .size:           8
        .value_kind:     by_value
      - .offset:         72
        .size:           8
        .value_kind:     by_value
      - .address_space:  global
        .offset:         80
        .size:           8
        .value_kind:     global_buffer
      - .offset:         88
        .size:           8
        .value_kind:     by_value
      - .offset:         96
        .size:           8
        .value_kind:     by_value
      - .offset:         104
        .size:           4
        .value_kind:     by_value
    .group_segment_fixed_size: 4096
    .kernarg_segment_align: 8
    .kernarg_segment_size: 108
    .language:       OpenCL C
    .language_version:
      - 2
      - 0
    .max_flat_workgroup_size: 256
    .name:           _ZL37rocblas_syrkx_herkx_restricted_kernelIl19rocblas_complex_numIfELi16ELi32ELi8ELb0ELb1ELc84ELc76EKS1_S1_EviT_T0_PT8_S3_lS6_S3_lS4_PT9_S3_li
    .private_segment_fixed_size: 0
    .sgpr_count:     32
    .sgpr_spill_count: 0
    .symbol:         _ZL37rocblas_syrkx_herkx_restricted_kernelIl19rocblas_complex_numIfELi16ELi32ELi8ELb0ELb1ELc84ELc76EKS1_S1_EviT_T0_PT8_S3_lS6_S3_lS4_PT9_S3_li.kd
    .uniform_work_group_size: 1
    .uses_dynamic_stack: false
    .vgpr_count:     41
    .vgpr_spill_count: 0
    .wavefront_size: 64
  - .args:
      - .offset:         0
        .size:           4
        .value_kind:     by_value
      - .offset:         8
        .size:           8
        .value_kind:     by_value
      - .offset:         16
        .size:           8
        .value_kind:     by_value
      - .address_space:  global
        .offset:         24
        .size:           8
        .value_kind:     global_buffer
      - .offset:         32
        .size:           8
        .value_kind:     by_value
      - .offset:         40
        .size:           8
        .value_kind:     by_value
      - .address_space:  global
        .offset:         48
        .size:           8
        .value_kind:     global_buffer
      - .offset:         56
        .size:           8
        .value_kind:     by_value
      - .offset:         64
        .size:           8
        .value_kind:     by_value
      - .offset:         72
        .size:           8
        .value_kind:     by_value
      - .address_space:  global
        .offset:         80
        .size:           8
        .value_kind:     global_buffer
      - .offset:         88
        .size:           8
        .value_kind:     by_value
      - .offset:         96
        .size:           8
        .value_kind:     by_value
      - .offset:         104
        .size:           4
        .value_kind:     by_value
    .group_segment_fixed_size: 4096
    .kernarg_segment_align: 8
    .kernarg_segment_size: 108
    .language:       OpenCL C
    .language_version:
      - 2
      - 0
    .max_flat_workgroup_size: 256
    .name:           _ZL37rocblas_syrkx_herkx_restricted_kernelIl19rocblas_complex_numIfELi16ELi32ELi8ELb0ELb1ELc67ELc76EKS1_S1_EviT_T0_PT8_S3_lS6_S3_lS4_PT9_S3_li
    .private_segment_fixed_size: 0
    .sgpr_count:     32
    .sgpr_spill_count: 0
    .symbol:         _ZL37rocblas_syrkx_herkx_restricted_kernelIl19rocblas_complex_numIfELi16ELi32ELi8ELb0ELb1ELc67ELc76EKS1_S1_EviT_T0_PT8_S3_lS6_S3_lS4_PT9_S3_li.kd
    .uniform_work_group_size: 1
    .uses_dynamic_stack: false
    .vgpr_count:     41
    .vgpr_spill_count: 0
    .wavefront_size: 64
  - .args:
      - .offset:         0
        .size:           4
        .value_kind:     by_value
      - .offset:         8
        .size:           8
        .value_kind:     by_value
      - .offset:         16
        .size:           8
        .value_kind:     by_value
      - .address_space:  global
        .offset:         24
        .size:           8
        .value_kind:     global_buffer
      - .offset:         32
        .size:           8
        .value_kind:     by_value
      - .offset:         40
        .size:           8
        .value_kind:     by_value
      - .address_space:  global
        .offset:         48
        .size:           8
        .value_kind:     global_buffer
      - .offset:         56
        .size:           8
        .value_kind:     by_value
      - .offset:         64
        .size:           8
        .value_kind:     by_value
      - .offset:         72
        .size:           8
        .value_kind:     by_value
      - .address_space:  global
        .offset:         80
        .size:           8
        .value_kind:     global_buffer
      - .offset:         88
        .size:           8
        .value_kind:     by_value
      - .offset:         96
        .size:           8
        .value_kind:     by_value
      - .offset:         104
        .size:           4
        .value_kind:     by_value
    .group_segment_fixed_size: 4096
    .kernarg_segment_align: 8
    .kernarg_segment_size: 108
    .language:       OpenCL C
    .language_version:
      - 2
      - 0
    .max_flat_workgroup_size: 256
    .name:           _ZL37rocblas_syrkx_herkx_restricted_kernelIl19rocblas_complex_numIfELi16ELi32ELi8ELb0ELb1ELc78ELc76EKS1_S1_EviT_T0_PT8_S3_lS6_S3_lS4_PT9_S3_li
    .private_segment_fixed_size: 0
    .sgpr_count:     32
    .sgpr_spill_count: 0
    .symbol:         _ZL37rocblas_syrkx_herkx_restricted_kernelIl19rocblas_complex_numIfELi16ELi32ELi8ELb0ELb1ELc78ELc76EKS1_S1_EviT_T0_PT8_S3_lS6_S3_lS4_PT9_S3_li.kd
    .uniform_work_group_size: 1
    .uses_dynamic_stack: false
    .vgpr_count:     43
    .vgpr_spill_count: 0
    .wavefront_size: 64
  - .args:
      - .offset:         0
        .size:           4
        .value_kind:     by_value
      - .offset:         8
        .size:           8
        .value_kind:     by_value
      - .offset:         16
        .size:           8
        .value_kind:     by_value
      - .address_space:  global
        .offset:         24
        .size:           8
        .value_kind:     global_buffer
      - .offset:         32
        .size:           8
        .value_kind:     by_value
      - .offset:         40
        .size:           8
        .value_kind:     by_value
      - .address_space:  global
        .offset:         48
        .size:           8
        .value_kind:     global_buffer
      - .offset:         56
        .size:           8
        .value_kind:     by_value
      - .offset:         64
        .size:           8
        .value_kind:     by_value
      - .offset:         72
        .size:           8
        .value_kind:     by_value
      - .address_space:  global
        .offset:         80
        .size:           8
        .value_kind:     global_buffer
      - .offset:         88
        .size:           8
        .value_kind:     by_value
      - .offset:         96
        .size:           8
        .value_kind:     by_value
      - .offset:         104
        .size:           4
        .value_kind:     by_value
    .group_segment_fixed_size: 4096
    .kernarg_segment_align: 8
    .kernarg_segment_size: 108
    .language:       OpenCL C
    .language_version:
      - 2
      - 0
    .max_flat_workgroup_size: 256
    .name:           _ZL37rocblas_syrkx_herkx_restricted_kernelIl19rocblas_complex_numIfELi16ELi32ELi8ELb0ELb1ELc84ELc85EKS1_S1_EviT_T0_PT8_S3_lS6_S3_lS4_PT9_S3_li
    .private_segment_fixed_size: 0
    .sgpr_count:     32
    .sgpr_spill_count: 0
    .symbol:         _ZL37rocblas_syrkx_herkx_restricted_kernelIl19rocblas_complex_numIfELi16ELi32ELi8ELb0ELb1ELc84ELc85EKS1_S1_EviT_T0_PT8_S3_lS6_S3_lS4_PT9_S3_li.kd
    .uniform_work_group_size: 1
    .uses_dynamic_stack: false
    .vgpr_count:     41
    .vgpr_spill_count: 0
    .wavefront_size: 64
  - .args:
      - .offset:         0
        .size:           4
        .value_kind:     by_value
      - .offset:         8
        .size:           8
        .value_kind:     by_value
      - .offset:         16
        .size:           8
        .value_kind:     by_value
      - .address_space:  global
        .offset:         24
        .size:           8
        .value_kind:     global_buffer
      - .offset:         32
        .size:           8
        .value_kind:     by_value
      - .offset:         40
        .size:           8
        .value_kind:     by_value
      - .address_space:  global
        .offset:         48
        .size:           8
        .value_kind:     global_buffer
      - .offset:         56
        .size:           8
        .value_kind:     by_value
      - .offset:         64
        .size:           8
        .value_kind:     by_value
      - .offset:         72
        .size:           8
        .value_kind:     by_value
      - .address_space:  global
        .offset:         80
        .size:           8
        .value_kind:     global_buffer
      - .offset:         88
        .size:           8
        .value_kind:     by_value
      - .offset:         96
        .size:           8
        .value_kind:     by_value
      - .offset:         104
        .size:           4
        .value_kind:     by_value
    .group_segment_fixed_size: 4096
    .kernarg_segment_align: 8
    .kernarg_segment_size: 108
    .language:       OpenCL C
    .language_version:
      - 2
      - 0
    .max_flat_workgroup_size: 256
    .name:           _ZL37rocblas_syrkx_herkx_restricted_kernelIl19rocblas_complex_numIfELi16ELi32ELi8ELb0ELb1ELc67ELc85EKS1_S1_EviT_T0_PT8_S3_lS6_S3_lS4_PT9_S3_li
    .private_segment_fixed_size: 0
    .sgpr_count:     32
    .sgpr_spill_count: 0
    .symbol:         _ZL37rocblas_syrkx_herkx_restricted_kernelIl19rocblas_complex_numIfELi16ELi32ELi8ELb0ELb1ELc67ELc85EKS1_S1_EviT_T0_PT8_S3_lS6_S3_lS4_PT9_S3_li.kd
    .uniform_work_group_size: 1
    .uses_dynamic_stack: false
    .vgpr_count:     41
    .vgpr_spill_count: 0
    .wavefront_size: 64
  - .args:
      - .offset:         0
        .size:           4
        .value_kind:     by_value
      - .offset:         8
        .size:           8
        .value_kind:     by_value
      - .offset:         16
        .size:           8
        .value_kind:     by_value
      - .address_space:  global
        .offset:         24
        .size:           8
        .value_kind:     global_buffer
      - .offset:         32
        .size:           8
        .value_kind:     by_value
      - .offset:         40
        .size:           8
        .value_kind:     by_value
      - .address_space:  global
        .offset:         48
        .size:           8
        .value_kind:     global_buffer
      - .offset:         56
        .size:           8
        .value_kind:     by_value
      - .offset:         64
        .size:           8
        .value_kind:     by_value
      - .offset:         72
        .size:           8
        .value_kind:     by_value
      - .address_space:  global
        .offset:         80
        .size:           8
        .value_kind:     global_buffer
      - .offset:         88
        .size:           8
        .value_kind:     by_value
      - .offset:         96
        .size:           8
        .value_kind:     by_value
      - .offset:         104
        .size:           4
        .value_kind:     by_value
    .group_segment_fixed_size: 4096
    .kernarg_segment_align: 8
    .kernarg_segment_size: 108
    .language:       OpenCL C
    .language_version:
      - 2
      - 0
    .max_flat_workgroup_size: 256
    .name:           _ZL37rocblas_syrkx_herkx_restricted_kernelIl19rocblas_complex_numIfELi16ELi32ELi8ELb0ELb1ELc78ELc85EKS1_S1_EviT_T0_PT8_S3_lS6_S3_lS4_PT9_S3_li
    .private_segment_fixed_size: 0
    .sgpr_count:     32
    .sgpr_spill_count: 0
    .symbol:         _ZL37rocblas_syrkx_herkx_restricted_kernelIl19rocblas_complex_numIfELi16ELi32ELi8ELb0ELb1ELc78ELc85EKS1_S1_EviT_T0_PT8_S3_lS6_S3_lS4_PT9_S3_li.kd
    .uniform_work_group_size: 1
    .uses_dynamic_stack: false
    .vgpr_count:     43
    .vgpr_spill_count: 0
    .wavefront_size: 64
  - .args:
      - .offset:         0
        .size:           4
        .value_kind:     by_value
      - .offset:         8
        .size:           8
        .value_kind:     by_value
      - .offset:         16
        .size:           8
        .value_kind:     by_value
      - .address_space:  global
        .offset:         24
        .size:           8
        .value_kind:     global_buffer
      - .offset:         32
        .size:           8
        .value_kind:     by_value
      - .offset:         40
        .size:           8
        .value_kind:     by_value
      - .address_space:  global
        .offset:         48
        .size:           8
        .value_kind:     global_buffer
      - .offset:         56
        .size:           8
        .value_kind:     by_value
      - .offset:         64
        .size:           8
        .value_kind:     by_value
      - .offset:         72
        .size:           8
        .value_kind:     by_value
      - .address_space:  global
        .offset:         80
        .size:           8
        .value_kind:     global_buffer
      - .offset:         88
        .size:           8
        .value_kind:     by_value
      - .offset:         96
        .size:           8
        .value_kind:     by_value
      - .offset:         104
        .size:           4
        .value_kind:     by_value
    .group_segment_fixed_size: 4096
    .kernarg_segment_align: 8
    .kernarg_segment_size: 108
    .language:       OpenCL C
    .language_version:
      - 2
      - 0
    .max_flat_workgroup_size: 256
    .name:           _ZL41rocblas_syrkx_herkx_small_restrict_kernelIl19rocblas_complex_numIfELi16ELb1ELb1ELc84ELc76EKS1_S1_EviT_T0_PT6_S3_lS6_S3_lS4_PT7_S3_li
    .private_segment_fixed_size: 0
    .sgpr_count:     32
    .sgpr_spill_count: 0
    .symbol:         _ZL41rocblas_syrkx_herkx_small_restrict_kernelIl19rocblas_complex_numIfELi16ELb1ELb1ELc84ELc76EKS1_S1_EviT_T0_PT6_S3_lS6_S3_lS4_PT7_S3_li.kd
    .uniform_work_group_size: 1
    .uses_dynamic_stack: false
    .vgpr_count:     37
    .vgpr_spill_count: 0
    .wavefront_size: 64
  - .args:
      - .offset:         0
        .size:           4
        .value_kind:     by_value
      - .offset:         8
        .size:           8
        .value_kind:     by_value
      - .offset:         16
        .size:           8
        .value_kind:     by_value
      - .address_space:  global
        .offset:         24
        .size:           8
        .value_kind:     global_buffer
      - .offset:         32
        .size:           8
        .value_kind:     by_value
      - .offset:         40
        .size:           8
        .value_kind:     by_value
      - .address_space:  global
        .offset:         48
        .size:           8
        .value_kind:     global_buffer
      - .offset:         56
        .size:           8
        .value_kind:     by_value
      - .offset:         64
        .size:           8
        .value_kind:     by_value
      - .offset:         72
        .size:           8
        .value_kind:     by_value
      - .address_space:  global
        .offset:         80
        .size:           8
        .value_kind:     global_buffer
      - .offset:         88
        .size:           8
        .value_kind:     by_value
      - .offset:         96
        .size:           8
        .value_kind:     by_value
      - .offset:         104
        .size:           4
        .value_kind:     by_value
    .group_segment_fixed_size: 4096
    .kernarg_segment_align: 8
    .kernarg_segment_size: 108
    .language:       OpenCL C
    .language_version:
      - 2
      - 0
    .max_flat_workgroup_size: 256
    .name:           _ZL41rocblas_syrkx_herkx_small_restrict_kernelIl19rocblas_complex_numIfELi16ELb1ELb1ELc67ELc76EKS1_S1_EviT_T0_PT6_S3_lS6_S3_lS4_PT7_S3_li
    .private_segment_fixed_size: 0
    .sgpr_count:     32
    .sgpr_spill_count: 0
    .symbol:         _ZL41rocblas_syrkx_herkx_small_restrict_kernelIl19rocblas_complex_numIfELi16ELb1ELb1ELc67ELc76EKS1_S1_EviT_T0_PT6_S3_lS6_S3_lS4_PT7_S3_li.kd
    .uniform_work_group_size: 1
    .uses_dynamic_stack: false
    .vgpr_count:     37
    .vgpr_spill_count: 0
    .wavefront_size: 64
  - .args:
      - .offset:         0
        .size:           4
        .value_kind:     by_value
      - .offset:         8
        .size:           8
        .value_kind:     by_value
      - .offset:         16
        .size:           8
        .value_kind:     by_value
      - .address_space:  global
        .offset:         24
        .size:           8
        .value_kind:     global_buffer
      - .offset:         32
        .size:           8
        .value_kind:     by_value
      - .offset:         40
        .size:           8
        .value_kind:     by_value
      - .address_space:  global
        .offset:         48
        .size:           8
        .value_kind:     global_buffer
      - .offset:         56
        .size:           8
        .value_kind:     by_value
      - .offset:         64
        .size:           8
        .value_kind:     by_value
      - .offset:         72
        .size:           8
        .value_kind:     by_value
      - .address_space:  global
        .offset:         80
        .size:           8
        .value_kind:     global_buffer
      - .offset:         88
        .size:           8
        .value_kind:     by_value
      - .offset:         96
        .size:           8
        .value_kind:     by_value
      - .offset:         104
        .size:           4
        .value_kind:     by_value
    .group_segment_fixed_size: 4096
    .kernarg_segment_align: 8
    .kernarg_segment_size: 108
    .language:       OpenCL C
    .language_version:
      - 2
      - 0
    .max_flat_workgroup_size: 256
    .name:           _ZL41rocblas_syrkx_herkx_small_restrict_kernelIl19rocblas_complex_numIfELi16ELb1ELb1ELc78ELc76EKS1_S1_EviT_T0_PT6_S3_lS6_S3_lS4_PT7_S3_li
    .private_segment_fixed_size: 0
    .sgpr_count:     32
    .sgpr_spill_count: 0
    .symbol:         _ZL41rocblas_syrkx_herkx_small_restrict_kernelIl19rocblas_complex_numIfELi16ELb1ELb1ELc78ELc76EKS1_S1_EviT_T0_PT6_S3_lS6_S3_lS4_PT7_S3_li.kd
    .uniform_work_group_size: 1
    .uses_dynamic_stack: false
    .vgpr_count:     39
    .vgpr_spill_count: 0
    .wavefront_size: 64
  - .args:
      - .offset:         0
        .size:           4
        .value_kind:     by_value
      - .offset:         8
        .size:           8
        .value_kind:     by_value
      - .offset:         16
        .size:           8
        .value_kind:     by_value
      - .address_space:  global
        .offset:         24
        .size:           8
        .value_kind:     global_buffer
      - .offset:         32
        .size:           8
        .value_kind:     by_value
      - .offset:         40
        .size:           8
        .value_kind:     by_value
      - .address_space:  global
        .offset:         48
        .size:           8
        .value_kind:     global_buffer
      - .offset:         56
        .size:           8
        .value_kind:     by_value
      - .offset:         64
        .size:           8
        .value_kind:     by_value
      - .offset:         72
        .size:           8
        .value_kind:     by_value
      - .address_space:  global
        .offset:         80
        .size:           8
        .value_kind:     global_buffer
      - .offset:         88
        .size:           8
        .value_kind:     by_value
      - .offset:         96
        .size:           8
        .value_kind:     by_value
      - .offset:         104
        .size:           4
        .value_kind:     by_value
    .group_segment_fixed_size: 4096
    .kernarg_segment_align: 8
    .kernarg_segment_size: 108
    .language:       OpenCL C
    .language_version:
      - 2
      - 0
    .max_flat_workgroup_size: 256
    .name:           _ZL41rocblas_syrkx_herkx_small_restrict_kernelIl19rocblas_complex_numIfELi16ELb1ELb1ELc84ELc85EKS1_S1_EviT_T0_PT6_S3_lS6_S3_lS4_PT7_S3_li
    .private_segment_fixed_size: 0
    .sgpr_count:     32
    .sgpr_spill_count: 0
    .symbol:         _ZL41rocblas_syrkx_herkx_small_restrict_kernelIl19rocblas_complex_numIfELi16ELb1ELb1ELc84ELc85EKS1_S1_EviT_T0_PT6_S3_lS6_S3_lS4_PT7_S3_li.kd
    .uniform_work_group_size: 1
    .uses_dynamic_stack: false
    .vgpr_count:     37
    .vgpr_spill_count: 0
    .wavefront_size: 64
  - .args:
      - .offset:         0
        .size:           4
        .value_kind:     by_value
      - .offset:         8
        .size:           8
        .value_kind:     by_value
      - .offset:         16
        .size:           8
        .value_kind:     by_value
      - .address_space:  global
        .offset:         24
        .size:           8
        .value_kind:     global_buffer
      - .offset:         32
        .size:           8
        .value_kind:     by_value
      - .offset:         40
        .size:           8
        .value_kind:     by_value
      - .address_space:  global
        .offset:         48
        .size:           8
        .value_kind:     global_buffer
      - .offset:         56
        .size:           8
        .value_kind:     by_value
      - .offset:         64
        .size:           8
        .value_kind:     by_value
      - .offset:         72
        .size:           8
        .value_kind:     by_value
      - .address_space:  global
        .offset:         80
        .size:           8
        .value_kind:     global_buffer
      - .offset:         88
        .size:           8
        .value_kind:     by_value
      - .offset:         96
        .size:           8
        .value_kind:     by_value
      - .offset:         104
        .size:           4
        .value_kind:     by_value
    .group_segment_fixed_size: 4096
    .kernarg_segment_align: 8
    .kernarg_segment_size: 108
    .language:       OpenCL C
    .language_version:
      - 2
      - 0
    .max_flat_workgroup_size: 256
    .name:           _ZL41rocblas_syrkx_herkx_small_restrict_kernelIl19rocblas_complex_numIfELi16ELb1ELb1ELc67ELc85EKS1_S1_EviT_T0_PT6_S3_lS6_S3_lS4_PT7_S3_li
    .private_segment_fixed_size: 0
    .sgpr_count:     32
    .sgpr_spill_count: 0
    .symbol:         _ZL41rocblas_syrkx_herkx_small_restrict_kernelIl19rocblas_complex_numIfELi16ELb1ELb1ELc67ELc85EKS1_S1_EviT_T0_PT6_S3_lS6_S3_lS4_PT7_S3_li.kd
    .uniform_work_group_size: 1
    .uses_dynamic_stack: false
    .vgpr_count:     37
    .vgpr_spill_count: 0
    .wavefront_size: 64
  - .args:
      - .offset:         0
        .size:           4
        .value_kind:     by_value
      - .offset:         8
        .size:           8
        .value_kind:     by_value
      - .offset:         16
        .size:           8
        .value_kind:     by_value
      - .address_space:  global
        .offset:         24
        .size:           8
        .value_kind:     global_buffer
      - .offset:         32
        .size:           8
        .value_kind:     by_value
      - .offset:         40
        .size:           8
        .value_kind:     by_value
      - .address_space:  global
        .offset:         48
        .size:           8
        .value_kind:     global_buffer
      - .offset:         56
        .size:           8
        .value_kind:     by_value
      - .offset:         64
        .size:           8
        .value_kind:     by_value
      - .offset:         72
        .size:           8
        .value_kind:     by_value
      - .address_space:  global
        .offset:         80
        .size:           8
        .value_kind:     global_buffer
      - .offset:         88
        .size:           8
        .value_kind:     by_value
      - .offset:         96
        .size:           8
        .value_kind:     by_value
      - .offset:         104
        .size:           4
        .value_kind:     by_value
    .group_segment_fixed_size: 4096
    .kernarg_segment_align: 8
    .kernarg_segment_size: 108
    .language:       OpenCL C
    .language_version:
      - 2
      - 0
    .max_flat_workgroup_size: 256
    .name:           _ZL41rocblas_syrkx_herkx_small_restrict_kernelIl19rocblas_complex_numIfELi16ELb1ELb1ELc78ELc85EKS1_S1_EviT_T0_PT6_S3_lS6_S3_lS4_PT7_S3_li
    .private_segment_fixed_size: 0
    .sgpr_count:     32
    .sgpr_spill_count: 0
    .symbol:         _ZL41rocblas_syrkx_herkx_small_restrict_kernelIl19rocblas_complex_numIfELi16ELb1ELb1ELc78ELc85EKS1_S1_EviT_T0_PT6_S3_lS6_S3_lS4_PT7_S3_li.kd
    .uniform_work_group_size: 1
    .uses_dynamic_stack: false
    .vgpr_count:     39
    .vgpr_spill_count: 0
    .wavefront_size: 64
  - .args:
      - .offset:         0
        .size:           4
        .value_kind:     by_value
      - .offset:         8
        .size:           8
        .value_kind:     by_value
      - .offset:         16
        .size:           8
        .value_kind:     by_value
      - .address_space:  global
        .offset:         24
        .size:           8
        .value_kind:     global_buffer
      - .offset:         32
        .size:           8
        .value_kind:     by_value
      - .offset:         40
        .size:           8
        .value_kind:     by_value
      - .address_space:  global
        .offset:         48
        .size:           8
        .value_kind:     global_buffer
      - .offset:         56
        .size:           8
        .value_kind:     by_value
      - .offset:         64
        .size:           8
        .value_kind:     by_value
      - .offset:         72
        .size:           8
        .value_kind:     by_value
      - .address_space:  global
        .offset:         80
        .size:           8
        .value_kind:     global_buffer
      - .offset:         88
        .size:           8
        .value_kind:     by_value
      - .offset:         96
        .size:           8
        .value_kind:     by_value
      - .offset:         104
        .size:           4
        .value_kind:     by_value
    .group_segment_fixed_size: 4096
    .kernarg_segment_align: 8
    .kernarg_segment_size: 108
    .language:       OpenCL C
    .language_version:
      - 2
      - 0
    .max_flat_workgroup_size: 256
    .name:           _ZL41rocblas_syrkx_herkx_small_restrict_kernelIl19rocblas_complex_numIfELi16ELb0ELb1ELc84ELc76EKS1_S1_EviT_T0_PT6_S3_lS6_S3_lS4_PT7_S3_li
    .private_segment_fixed_size: 0
    .sgpr_count:     32
    .sgpr_spill_count: 0
    .symbol:         _ZL41rocblas_syrkx_herkx_small_restrict_kernelIl19rocblas_complex_numIfELi16ELb0ELb1ELc84ELc76EKS1_S1_EviT_T0_PT6_S3_lS6_S3_lS4_PT7_S3_li.kd
    .uniform_work_group_size: 1
    .uses_dynamic_stack: false
    .vgpr_count:     37
    .vgpr_spill_count: 0
    .wavefront_size: 64
  - .args:
      - .offset:         0
        .size:           4
        .value_kind:     by_value
      - .offset:         8
        .size:           8
        .value_kind:     by_value
      - .offset:         16
        .size:           8
        .value_kind:     by_value
      - .address_space:  global
        .offset:         24
        .size:           8
        .value_kind:     global_buffer
      - .offset:         32
        .size:           8
        .value_kind:     by_value
      - .offset:         40
        .size:           8
        .value_kind:     by_value
      - .address_space:  global
        .offset:         48
        .size:           8
        .value_kind:     global_buffer
      - .offset:         56
        .size:           8
        .value_kind:     by_value
      - .offset:         64
        .size:           8
        .value_kind:     by_value
      - .offset:         72
        .size:           8
        .value_kind:     by_value
      - .address_space:  global
        .offset:         80
        .size:           8
        .value_kind:     global_buffer
      - .offset:         88
        .size:           8
        .value_kind:     by_value
      - .offset:         96
        .size:           8
        .value_kind:     by_value
      - .offset:         104
        .size:           4
        .value_kind:     by_value
    .group_segment_fixed_size: 4096
    .kernarg_segment_align: 8
    .kernarg_segment_size: 108
    .language:       OpenCL C
    .language_version:
      - 2
      - 0
    .max_flat_workgroup_size: 256
    .name:           _ZL41rocblas_syrkx_herkx_small_restrict_kernelIl19rocblas_complex_numIfELi16ELb0ELb1ELc67ELc76EKS1_S1_EviT_T0_PT6_S3_lS6_S3_lS4_PT7_S3_li
    .private_segment_fixed_size: 0
    .sgpr_count:     32
    .sgpr_spill_count: 0
    .symbol:         _ZL41rocblas_syrkx_herkx_small_restrict_kernelIl19rocblas_complex_numIfELi16ELb0ELb1ELc67ELc76EKS1_S1_EviT_T0_PT6_S3_lS6_S3_lS4_PT7_S3_li.kd
    .uniform_work_group_size: 1
    .uses_dynamic_stack: false
    .vgpr_count:     37
    .vgpr_spill_count: 0
    .wavefront_size: 64
  - .args:
      - .offset:         0
        .size:           4
        .value_kind:     by_value
      - .offset:         8
        .size:           8
        .value_kind:     by_value
      - .offset:         16
        .size:           8
        .value_kind:     by_value
      - .address_space:  global
        .offset:         24
        .size:           8
        .value_kind:     global_buffer
      - .offset:         32
        .size:           8
        .value_kind:     by_value
      - .offset:         40
        .size:           8
        .value_kind:     by_value
      - .address_space:  global
        .offset:         48
        .size:           8
        .value_kind:     global_buffer
      - .offset:         56
        .size:           8
        .value_kind:     by_value
      - .offset:         64
        .size:           8
        .value_kind:     by_value
      - .offset:         72
        .size:           8
        .value_kind:     by_value
      - .address_space:  global
        .offset:         80
        .size:           8
        .value_kind:     global_buffer
      - .offset:         88
        .size:           8
        .value_kind:     by_value
      - .offset:         96
        .size:           8
        .value_kind:     by_value
      - .offset:         104
        .size:           4
        .value_kind:     by_value
    .group_segment_fixed_size: 4096
    .kernarg_segment_align: 8
    .kernarg_segment_size: 108
    .language:       OpenCL C
    .language_version:
      - 2
      - 0
    .max_flat_workgroup_size: 256
    .name:           _ZL41rocblas_syrkx_herkx_small_restrict_kernelIl19rocblas_complex_numIfELi16ELb0ELb1ELc78ELc76EKS1_S1_EviT_T0_PT6_S3_lS6_S3_lS4_PT7_S3_li
    .private_segment_fixed_size: 0
    .sgpr_count:     32
    .sgpr_spill_count: 0
    .symbol:         _ZL41rocblas_syrkx_herkx_small_restrict_kernelIl19rocblas_complex_numIfELi16ELb0ELb1ELc78ELc76EKS1_S1_EviT_T0_PT6_S3_lS6_S3_lS4_PT7_S3_li.kd
    .uniform_work_group_size: 1
    .uses_dynamic_stack: false
    .vgpr_count:     39
    .vgpr_spill_count: 0
    .wavefront_size: 64
  - .args:
      - .offset:         0
        .size:           4
        .value_kind:     by_value
      - .offset:         8
        .size:           8
        .value_kind:     by_value
      - .offset:         16
        .size:           8
        .value_kind:     by_value
      - .address_space:  global
        .offset:         24
        .size:           8
        .value_kind:     global_buffer
      - .offset:         32
        .size:           8
        .value_kind:     by_value
      - .offset:         40
        .size:           8
        .value_kind:     by_value
      - .address_space:  global
        .offset:         48
        .size:           8
        .value_kind:     global_buffer
      - .offset:         56
        .size:           8
        .value_kind:     by_value
      - .offset:         64
        .size:           8
        .value_kind:     by_value
      - .offset:         72
        .size:           8
        .value_kind:     by_value
      - .address_space:  global
        .offset:         80
        .size:           8
        .value_kind:     global_buffer
      - .offset:         88
        .size:           8
        .value_kind:     by_value
      - .offset:         96
        .size:           8
        .value_kind:     by_value
      - .offset:         104
        .size:           4
        .value_kind:     by_value
    .group_segment_fixed_size: 4096
    .kernarg_segment_align: 8
    .kernarg_segment_size: 108
    .language:       OpenCL C
    .language_version:
      - 2
      - 0
    .max_flat_workgroup_size: 256
    .name:           _ZL41rocblas_syrkx_herkx_small_restrict_kernelIl19rocblas_complex_numIfELi16ELb0ELb1ELc84ELc85EKS1_S1_EviT_T0_PT6_S3_lS6_S3_lS4_PT7_S3_li
    .private_segment_fixed_size: 0
    .sgpr_count:     32
    .sgpr_spill_count: 0
    .symbol:         _ZL41rocblas_syrkx_herkx_small_restrict_kernelIl19rocblas_complex_numIfELi16ELb0ELb1ELc84ELc85EKS1_S1_EviT_T0_PT6_S3_lS6_S3_lS4_PT7_S3_li.kd
    .uniform_work_group_size: 1
    .uses_dynamic_stack: false
    .vgpr_count:     37
    .vgpr_spill_count: 0
    .wavefront_size: 64
  - .args:
      - .offset:         0
        .size:           4
        .value_kind:     by_value
      - .offset:         8
        .size:           8
        .value_kind:     by_value
      - .offset:         16
        .size:           8
        .value_kind:     by_value
      - .address_space:  global
        .offset:         24
        .size:           8
        .value_kind:     global_buffer
      - .offset:         32
        .size:           8
        .value_kind:     by_value
      - .offset:         40
        .size:           8
        .value_kind:     by_value
      - .address_space:  global
        .offset:         48
        .size:           8
        .value_kind:     global_buffer
      - .offset:         56
        .size:           8
        .value_kind:     by_value
      - .offset:         64
        .size:           8
        .value_kind:     by_value
      - .offset:         72
        .size:           8
        .value_kind:     by_value
      - .address_space:  global
        .offset:         80
        .size:           8
        .value_kind:     global_buffer
      - .offset:         88
        .size:           8
        .value_kind:     by_value
      - .offset:         96
        .size:           8
        .value_kind:     by_value
      - .offset:         104
        .size:           4
        .value_kind:     by_value
    .group_segment_fixed_size: 4096
    .kernarg_segment_align: 8
    .kernarg_segment_size: 108
    .language:       OpenCL C
    .language_version:
      - 2
      - 0
    .max_flat_workgroup_size: 256
    .name:           _ZL41rocblas_syrkx_herkx_small_restrict_kernelIl19rocblas_complex_numIfELi16ELb0ELb1ELc67ELc85EKS1_S1_EviT_T0_PT6_S3_lS6_S3_lS4_PT7_S3_li
    .private_segment_fixed_size: 0
    .sgpr_count:     32
    .sgpr_spill_count: 0
    .symbol:         _ZL41rocblas_syrkx_herkx_small_restrict_kernelIl19rocblas_complex_numIfELi16ELb0ELb1ELc67ELc85EKS1_S1_EviT_T0_PT6_S3_lS6_S3_lS4_PT7_S3_li.kd
    .uniform_work_group_size: 1
    .uses_dynamic_stack: false
    .vgpr_count:     37
    .vgpr_spill_count: 0
    .wavefront_size: 64
  - .args:
      - .offset:         0
        .size:           4
        .value_kind:     by_value
      - .offset:         8
        .size:           8
        .value_kind:     by_value
      - .offset:         16
        .size:           8
        .value_kind:     by_value
      - .address_space:  global
        .offset:         24
        .size:           8
        .value_kind:     global_buffer
      - .offset:         32
        .size:           8
        .value_kind:     by_value
      - .offset:         40
        .size:           8
        .value_kind:     by_value
      - .address_space:  global
        .offset:         48
        .size:           8
        .value_kind:     global_buffer
      - .offset:         56
        .size:           8
        .value_kind:     by_value
      - .offset:         64
        .size:           8
        .value_kind:     by_value
      - .offset:         72
        .size:           8
        .value_kind:     by_value
      - .address_space:  global
        .offset:         80
        .size:           8
        .value_kind:     global_buffer
      - .offset:         88
        .size:           8
        .value_kind:     by_value
      - .offset:         96
        .size:           8
        .value_kind:     by_value
      - .offset:         104
        .size:           4
        .value_kind:     by_value
    .group_segment_fixed_size: 4096
    .kernarg_segment_align: 8
    .kernarg_segment_size: 108
    .language:       OpenCL C
    .language_version:
      - 2
      - 0
    .max_flat_workgroup_size: 256
    .name:           _ZL41rocblas_syrkx_herkx_small_restrict_kernelIl19rocblas_complex_numIfELi16ELb0ELb1ELc78ELc85EKS1_S1_EviT_T0_PT6_S3_lS6_S3_lS4_PT7_S3_li
    .private_segment_fixed_size: 0
    .sgpr_count:     32
    .sgpr_spill_count: 0
    .symbol:         _ZL41rocblas_syrkx_herkx_small_restrict_kernelIl19rocblas_complex_numIfELi16ELb0ELb1ELc78ELc85EKS1_S1_EviT_T0_PT6_S3_lS6_S3_lS4_PT7_S3_li.kd
    .uniform_work_group_size: 1
    .uses_dynamic_stack: false
    .vgpr_count:     39
    .vgpr_spill_count: 0
    .wavefront_size: 64
  - .args:
      - .offset:         0
        .size:           4
        .value_kind:     by_value
      - .offset:         8
        .size:           8
        .value_kind:     by_value
      - .offset:         16
        .size:           8
        .value_kind:     by_value
      - .address_space:  global
        .offset:         24
        .size:           8
        .value_kind:     global_buffer
      - .offset:         32
        .size:           8
        .value_kind:     by_value
      - .offset:         40
        .size:           8
        .value_kind:     by_value
      - .address_space:  global
        .offset:         48
        .size:           8
        .value_kind:     global_buffer
      - .offset:         56
        .size:           8
        .value_kind:     by_value
      - .offset:         64
        .size:           8
        .value_kind:     by_value
      - .offset:         72
        .size:           8
        .value_kind:     by_value
      - .address_space:  global
        .offset:         80
        .size:           8
        .value_kind:     global_buffer
      - .offset:         88
        .size:           8
        .value_kind:     by_value
      - .offset:         96
        .size:           8
        .value_kind:     by_value
      - .offset:         104
        .size:           4
        .value_kind:     by_value
    .group_segment_fixed_size: 4096
    .kernarg_segment_align: 8
    .kernarg_segment_size: 108
    .language:       OpenCL C
    .language_version:
      - 2
      - 0
    .max_flat_workgroup_size: 256
    .name:           _ZL32rocblas_syrkx_herkx_small_kernelIl19rocblas_complex_numIfELi16ELb1ELb1ELc84ELc76EKS1_S1_EviT_T0_PT6_S3_lS6_S3_lS4_PT7_S3_li
    .private_segment_fixed_size: 0
    .sgpr_count:     32
    .sgpr_spill_count: 0
    .symbol:         _ZL32rocblas_syrkx_herkx_small_kernelIl19rocblas_complex_numIfELi16ELb1ELb1ELc84ELc76EKS1_S1_EviT_T0_PT6_S3_lS6_S3_lS4_PT7_S3_li.kd
    .uniform_work_group_size: 1
    .uses_dynamic_stack: false
    .vgpr_count:     56
    .vgpr_spill_count: 0
    .wavefront_size: 64
  - .args:
      - .offset:         0
        .size:           4
        .value_kind:     by_value
      - .offset:         8
        .size:           8
        .value_kind:     by_value
      - .offset:         16
        .size:           8
        .value_kind:     by_value
      - .address_space:  global
        .offset:         24
        .size:           8
        .value_kind:     global_buffer
      - .offset:         32
        .size:           8
        .value_kind:     by_value
      - .offset:         40
        .size:           8
        .value_kind:     by_value
      - .address_space:  global
        .offset:         48
        .size:           8
        .value_kind:     global_buffer
      - .offset:         56
        .size:           8
        .value_kind:     by_value
      - .offset:         64
        .size:           8
        .value_kind:     by_value
      - .offset:         72
        .size:           8
        .value_kind:     by_value
      - .address_space:  global
        .offset:         80
        .size:           8
        .value_kind:     global_buffer
      - .offset:         88
        .size:           8
        .value_kind:     by_value
      - .offset:         96
        .size:           8
        .value_kind:     by_value
      - .offset:         104
        .size:           4
        .value_kind:     by_value
    .group_segment_fixed_size: 4096
    .kernarg_segment_align: 8
    .kernarg_segment_size: 108
    .language:       OpenCL C
    .language_version:
      - 2
      - 0
    .max_flat_workgroup_size: 256
    .name:           _ZL32rocblas_syrkx_herkx_small_kernelIl19rocblas_complex_numIfELi16ELb1ELb1ELc67ELc76EKS1_S1_EviT_T0_PT6_S3_lS6_S3_lS4_PT7_S3_li
    .private_segment_fixed_size: 0
    .sgpr_count:     32
    .sgpr_spill_count: 0
    .symbol:         _ZL32rocblas_syrkx_herkx_small_kernelIl19rocblas_complex_numIfELi16ELb1ELb1ELc67ELc76EKS1_S1_EviT_T0_PT6_S3_lS6_S3_lS4_PT7_S3_li.kd
    .uniform_work_group_size: 1
    .uses_dynamic_stack: false
    .vgpr_count:     56
    .vgpr_spill_count: 0
    .wavefront_size: 64
  - .args:
      - .offset:         0
        .size:           4
        .value_kind:     by_value
      - .offset:         8
        .size:           8
        .value_kind:     by_value
      - .offset:         16
        .size:           8
        .value_kind:     by_value
      - .address_space:  global
        .offset:         24
        .size:           8
        .value_kind:     global_buffer
      - .offset:         32
        .size:           8
        .value_kind:     by_value
      - .offset:         40
        .size:           8
        .value_kind:     by_value
      - .address_space:  global
        .offset:         48
        .size:           8
        .value_kind:     global_buffer
      - .offset:         56
        .size:           8
        .value_kind:     by_value
      - .offset:         64
        .size:           8
        .value_kind:     by_value
      - .offset:         72
        .size:           8
        .value_kind:     by_value
      - .address_space:  global
        .offset:         80
        .size:           8
        .value_kind:     global_buffer
      - .offset:         88
        .size:           8
        .value_kind:     by_value
      - .offset:         96
        .size:           8
        .value_kind:     by_value
      - .offset:         104
        .size:           4
        .value_kind:     by_value
    .group_segment_fixed_size: 4096
    .kernarg_segment_align: 8
    .kernarg_segment_size: 108
    .language:       OpenCL C
    .language_version:
      - 2
      - 0
    .max_flat_workgroup_size: 256
    .name:           _ZL32rocblas_syrkx_herkx_small_kernelIl19rocblas_complex_numIfELi16ELb1ELb1ELc78ELc76EKS1_S1_EviT_T0_PT6_S3_lS6_S3_lS4_PT7_S3_li
    .private_segment_fixed_size: 0
    .sgpr_count:     32
    .sgpr_spill_count: 0
    .symbol:         _ZL32rocblas_syrkx_herkx_small_kernelIl19rocblas_complex_numIfELi16ELb1ELb1ELc78ELc76EKS1_S1_EviT_T0_PT6_S3_lS6_S3_lS4_PT7_S3_li.kd
    .uniform_work_group_size: 1
    .uses_dynamic_stack: false
    .vgpr_count:     62
    .vgpr_spill_count: 0
    .wavefront_size: 64
  - .args:
      - .offset:         0
        .size:           4
        .value_kind:     by_value
      - .offset:         8
        .size:           8
        .value_kind:     by_value
      - .offset:         16
        .size:           8
        .value_kind:     by_value
      - .address_space:  global
        .offset:         24
        .size:           8
        .value_kind:     global_buffer
      - .offset:         32
        .size:           8
        .value_kind:     by_value
      - .offset:         40
        .size:           8
        .value_kind:     by_value
      - .address_space:  global
        .offset:         48
        .size:           8
        .value_kind:     global_buffer
      - .offset:         56
        .size:           8
        .value_kind:     by_value
      - .offset:         64
        .size:           8
        .value_kind:     by_value
      - .offset:         72
        .size:           8
        .value_kind:     by_value
      - .address_space:  global
        .offset:         80
        .size:           8
        .value_kind:     global_buffer
      - .offset:         88
        .size:           8
        .value_kind:     by_value
      - .offset:         96
        .size:           8
        .value_kind:     by_value
      - .offset:         104
        .size:           4
        .value_kind:     by_value
    .group_segment_fixed_size: 4096
    .kernarg_segment_align: 8
    .kernarg_segment_size: 108
    .language:       OpenCL C
    .language_version:
      - 2
      - 0
    .max_flat_workgroup_size: 256
    .name:           _ZL32rocblas_syrkx_herkx_small_kernelIl19rocblas_complex_numIfELi16ELb1ELb1ELc84ELc85EKS1_S1_EviT_T0_PT6_S3_lS6_S3_lS4_PT7_S3_li
    .private_segment_fixed_size: 0
    .sgpr_count:     32
    .sgpr_spill_count: 0
    .symbol:         _ZL32rocblas_syrkx_herkx_small_kernelIl19rocblas_complex_numIfELi16ELb1ELb1ELc84ELc85EKS1_S1_EviT_T0_PT6_S3_lS6_S3_lS4_PT7_S3_li.kd
    .uniform_work_group_size: 1
    .uses_dynamic_stack: false
    .vgpr_count:     56
    .vgpr_spill_count: 0
    .wavefront_size: 64
  - .args:
      - .offset:         0
        .size:           4
        .value_kind:     by_value
      - .offset:         8
        .size:           8
        .value_kind:     by_value
      - .offset:         16
        .size:           8
        .value_kind:     by_value
      - .address_space:  global
        .offset:         24
        .size:           8
        .value_kind:     global_buffer
      - .offset:         32
        .size:           8
        .value_kind:     by_value
      - .offset:         40
        .size:           8
        .value_kind:     by_value
      - .address_space:  global
        .offset:         48
        .size:           8
        .value_kind:     global_buffer
      - .offset:         56
        .size:           8
        .value_kind:     by_value
      - .offset:         64
        .size:           8
        .value_kind:     by_value
      - .offset:         72
        .size:           8
        .value_kind:     by_value
      - .address_space:  global
        .offset:         80
        .size:           8
        .value_kind:     global_buffer
      - .offset:         88
        .size:           8
        .value_kind:     by_value
      - .offset:         96
        .size:           8
        .value_kind:     by_value
      - .offset:         104
        .size:           4
        .value_kind:     by_value
    .group_segment_fixed_size: 4096
    .kernarg_segment_align: 8
    .kernarg_segment_size: 108
    .language:       OpenCL C
    .language_version:
      - 2
      - 0
    .max_flat_workgroup_size: 256
    .name:           _ZL32rocblas_syrkx_herkx_small_kernelIl19rocblas_complex_numIfELi16ELb1ELb1ELc67ELc85EKS1_S1_EviT_T0_PT6_S3_lS6_S3_lS4_PT7_S3_li
    .private_segment_fixed_size: 0
    .sgpr_count:     32
    .sgpr_spill_count: 0
    .symbol:         _ZL32rocblas_syrkx_herkx_small_kernelIl19rocblas_complex_numIfELi16ELb1ELb1ELc67ELc85EKS1_S1_EviT_T0_PT6_S3_lS6_S3_lS4_PT7_S3_li.kd
    .uniform_work_group_size: 1
    .uses_dynamic_stack: false
    .vgpr_count:     56
    .vgpr_spill_count: 0
    .wavefront_size: 64
  - .args:
      - .offset:         0
        .size:           4
        .value_kind:     by_value
      - .offset:         8
        .size:           8
        .value_kind:     by_value
      - .offset:         16
        .size:           8
        .value_kind:     by_value
      - .address_space:  global
        .offset:         24
        .size:           8
        .value_kind:     global_buffer
      - .offset:         32
        .size:           8
        .value_kind:     by_value
      - .offset:         40
        .size:           8
        .value_kind:     by_value
      - .address_space:  global
        .offset:         48
        .size:           8
        .value_kind:     global_buffer
      - .offset:         56
        .size:           8
        .value_kind:     by_value
      - .offset:         64
        .size:           8
        .value_kind:     by_value
      - .offset:         72
        .size:           8
        .value_kind:     by_value
      - .address_space:  global
        .offset:         80
        .size:           8
        .value_kind:     global_buffer
      - .offset:         88
        .size:           8
        .value_kind:     by_value
      - .offset:         96
        .size:           8
        .value_kind:     by_value
      - .offset:         104
        .size:           4
        .value_kind:     by_value
    .group_segment_fixed_size: 4096
    .kernarg_segment_align: 8
    .kernarg_segment_size: 108
    .language:       OpenCL C
    .language_version:
      - 2
      - 0
    .max_flat_workgroup_size: 256
    .name:           _ZL32rocblas_syrkx_herkx_small_kernelIl19rocblas_complex_numIfELi16ELb1ELb1ELc78ELc85EKS1_S1_EviT_T0_PT6_S3_lS6_S3_lS4_PT7_S3_li
    .private_segment_fixed_size: 0
    .sgpr_count:     32
    .sgpr_spill_count: 0
    .symbol:         _ZL32rocblas_syrkx_herkx_small_kernelIl19rocblas_complex_numIfELi16ELb1ELb1ELc78ELc85EKS1_S1_EviT_T0_PT6_S3_lS6_S3_lS4_PT7_S3_li.kd
    .uniform_work_group_size: 1
    .uses_dynamic_stack: false
    .vgpr_count:     62
    .vgpr_spill_count: 0
    .wavefront_size: 64
  - .args:
      - .offset:         0
        .size:           4
        .value_kind:     by_value
      - .offset:         8
        .size:           8
        .value_kind:     by_value
      - .offset:         16
        .size:           8
        .value_kind:     by_value
      - .address_space:  global
        .offset:         24
        .size:           8
        .value_kind:     global_buffer
      - .offset:         32
        .size:           8
        .value_kind:     by_value
      - .offset:         40
        .size:           8
        .value_kind:     by_value
      - .address_space:  global
        .offset:         48
        .size:           8
        .value_kind:     global_buffer
      - .offset:         56
        .size:           8
        .value_kind:     by_value
      - .offset:         64
        .size:           8
        .value_kind:     by_value
      - .offset:         72
        .size:           8
        .value_kind:     by_value
      - .address_space:  global
        .offset:         80
        .size:           8
        .value_kind:     global_buffer
      - .offset:         88
        .size:           8
        .value_kind:     by_value
      - .offset:         96
        .size:           8
        .value_kind:     by_value
      - .offset:         104
        .size:           4
        .value_kind:     by_value
    .group_segment_fixed_size: 4096
    .kernarg_segment_align: 8
    .kernarg_segment_size: 108
    .language:       OpenCL C
    .language_version:
      - 2
      - 0
    .max_flat_workgroup_size: 256
    .name:           _ZL32rocblas_syrkx_herkx_small_kernelIl19rocblas_complex_numIfELi16ELb0ELb1ELc84ELc76EKS1_S1_EviT_T0_PT6_S3_lS6_S3_lS4_PT7_S3_li
    .private_segment_fixed_size: 0
    .sgpr_count:     32
    .sgpr_spill_count: 0
    .symbol:         _ZL32rocblas_syrkx_herkx_small_kernelIl19rocblas_complex_numIfELi16ELb0ELb1ELc84ELc76EKS1_S1_EviT_T0_PT6_S3_lS6_S3_lS4_PT7_S3_li.kd
    .uniform_work_group_size: 1
    .uses_dynamic_stack: false
    .vgpr_count:     56
    .vgpr_spill_count: 0
    .wavefront_size: 64
  - .args:
      - .offset:         0
        .size:           4
        .value_kind:     by_value
      - .offset:         8
        .size:           8
        .value_kind:     by_value
      - .offset:         16
        .size:           8
        .value_kind:     by_value
      - .address_space:  global
        .offset:         24
        .size:           8
        .value_kind:     global_buffer
      - .offset:         32
        .size:           8
        .value_kind:     by_value
      - .offset:         40
        .size:           8
        .value_kind:     by_value
      - .address_space:  global
        .offset:         48
        .size:           8
        .value_kind:     global_buffer
      - .offset:         56
        .size:           8
        .value_kind:     by_value
      - .offset:         64
        .size:           8
        .value_kind:     by_value
      - .offset:         72
        .size:           8
        .value_kind:     by_value
      - .address_space:  global
        .offset:         80
        .size:           8
        .value_kind:     global_buffer
      - .offset:         88
        .size:           8
        .value_kind:     by_value
      - .offset:         96
        .size:           8
        .value_kind:     by_value
      - .offset:         104
        .size:           4
        .value_kind:     by_value
    .group_segment_fixed_size: 4096
    .kernarg_segment_align: 8
    .kernarg_segment_size: 108
    .language:       OpenCL C
    .language_version:
      - 2
      - 0
    .max_flat_workgroup_size: 256
    .name:           _ZL32rocblas_syrkx_herkx_small_kernelIl19rocblas_complex_numIfELi16ELb0ELb1ELc67ELc76EKS1_S1_EviT_T0_PT6_S3_lS6_S3_lS4_PT7_S3_li
    .private_segment_fixed_size: 0
    .sgpr_count:     32
    .sgpr_spill_count: 0
    .symbol:         _ZL32rocblas_syrkx_herkx_small_kernelIl19rocblas_complex_numIfELi16ELb0ELb1ELc67ELc76EKS1_S1_EviT_T0_PT6_S3_lS6_S3_lS4_PT7_S3_li.kd
    .uniform_work_group_size: 1
    .uses_dynamic_stack: false
    .vgpr_count:     56
    .vgpr_spill_count: 0
    .wavefront_size: 64
  - .args:
      - .offset:         0
        .size:           4
        .value_kind:     by_value
      - .offset:         8
        .size:           8
        .value_kind:     by_value
      - .offset:         16
        .size:           8
        .value_kind:     by_value
      - .address_space:  global
        .offset:         24
        .size:           8
        .value_kind:     global_buffer
      - .offset:         32
        .size:           8
        .value_kind:     by_value
      - .offset:         40
        .size:           8
        .value_kind:     by_value
      - .address_space:  global
        .offset:         48
        .size:           8
        .value_kind:     global_buffer
      - .offset:         56
        .size:           8
        .value_kind:     by_value
      - .offset:         64
        .size:           8
        .value_kind:     by_value
      - .offset:         72
        .size:           8
        .value_kind:     by_value
      - .address_space:  global
        .offset:         80
        .size:           8
        .value_kind:     global_buffer
      - .offset:         88
        .size:           8
        .value_kind:     by_value
      - .offset:         96
        .size:           8
        .value_kind:     by_value
      - .offset:         104
        .size:           4
        .value_kind:     by_value
    .group_segment_fixed_size: 4096
    .kernarg_segment_align: 8
    .kernarg_segment_size: 108
    .language:       OpenCL C
    .language_version:
      - 2
      - 0
    .max_flat_workgroup_size: 256
    .name:           _ZL32rocblas_syrkx_herkx_small_kernelIl19rocblas_complex_numIfELi16ELb0ELb1ELc78ELc76EKS1_S1_EviT_T0_PT6_S3_lS6_S3_lS4_PT7_S3_li
    .private_segment_fixed_size: 0
    .sgpr_count:     32
    .sgpr_spill_count: 0
    .symbol:         _ZL32rocblas_syrkx_herkx_small_kernelIl19rocblas_complex_numIfELi16ELb0ELb1ELc78ELc76EKS1_S1_EviT_T0_PT6_S3_lS6_S3_lS4_PT7_S3_li.kd
    .uniform_work_group_size: 1
    .uses_dynamic_stack: false
    .vgpr_count:     62
    .vgpr_spill_count: 0
    .wavefront_size: 64
  - .args:
      - .offset:         0
        .size:           4
        .value_kind:     by_value
      - .offset:         8
        .size:           8
        .value_kind:     by_value
      - .offset:         16
        .size:           8
        .value_kind:     by_value
      - .address_space:  global
        .offset:         24
        .size:           8
        .value_kind:     global_buffer
      - .offset:         32
        .size:           8
        .value_kind:     by_value
      - .offset:         40
        .size:           8
        .value_kind:     by_value
      - .address_space:  global
        .offset:         48
        .size:           8
        .value_kind:     global_buffer
      - .offset:         56
        .size:           8
        .value_kind:     by_value
      - .offset:         64
        .size:           8
        .value_kind:     by_value
      - .offset:         72
        .size:           8
        .value_kind:     by_value
      - .address_space:  global
        .offset:         80
        .size:           8
        .value_kind:     global_buffer
      - .offset:         88
        .size:           8
        .value_kind:     by_value
      - .offset:         96
        .size:           8
        .value_kind:     by_value
      - .offset:         104
        .size:           4
        .value_kind:     by_value
    .group_segment_fixed_size: 4096
    .kernarg_segment_align: 8
    .kernarg_segment_size: 108
    .language:       OpenCL C
    .language_version:
      - 2
      - 0
    .max_flat_workgroup_size: 256
    .name:           _ZL32rocblas_syrkx_herkx_small_kernelIl19rocblas_complex_numIfELi16ELb0ELb1ELc84ELc85EKS1_S1_EviT_T0_PT6_S3_lS6_S3_lS4_PT7_S3_li
    .private_segment_fixed_size: 0
    .sgpr_count:     32
    .sgpr_spill_count: 0
    .symbol:         _ZL32rocblas_syrkx_herkx_small_kernelIl19rocblas_complex_numIfELi16ELb0ELb1ELc84ELc85EKS1_S1_EviT_T0_PT6_S3_lS6_S3_lS4_PT7_S3_li.kd
    .uniform_work_group_size: 1
    .uses_dynamic_stack: false
    .vgpr_count:     56
    .vgpr_spill_count: 0
    .wavefront_size: 64
  - .args:
      - .offset:         0
        .size:           4
        .value_kind:     by_value
      - .offset:         8
        .size:           8
        .value_kind:     by_value
      - .offset:         16
        .size:           8
        .value_kind:     by_value
      - .address_space:  global
        .offset:         24
        .size:           8
        .value_kind:     global_buffer
      - .offset:         32
        .size:           8
        .value_kind:     by_value
      - .offset:         40
        .size:           8
        .value_kind:     by_value
      - .address_space:  global
        .offset:         48
        .size:           8
        .value_kind:     global_buffer
      - .offset:         56
        .size:           8
        .value_kind:     by_value
      - .offset:         64
        .size:           8
        .value_kind:     by_value
      - .offset:         72
        .size:           8
        .value_kind:     by_value
      - .address_space:  global
        .offset:         80
        .size:           8
        .value_kind:     global_buffer
      - .offset:         88
        .size:           8
        .value_kind:     by_value
      - .offset:         96
        .size:           8
        .value_kind:     by_value
      - .offset:         104
        .size:           4
        .value_kind:     by_value
    .group_segment_fixed_size: 4096
    .kernarg_segment_align: 8
    .kernarg_segment_size: 108
    .language:       OpenCL C
    .language_version:
      - 2
      - 0
    .max_flat_workgroup_size: 256
    .name:           _ZL32rocblas_syrkx_herkx_small_kernelIl19rocblas_complex_numIfELi16ELb0ELb1ELc67ELc85EKS1_S1_EviT_T0_PT6_S3_lS6_S3_lS4_PT7_S3_li
    .private_segment_fixed_size: 0
    .sgpr_count:     32
    .sgpr_spill_count: 0
    .symbol:         _ZL32rocblas_syrkx_herkx_small_kernelIl19rocblas_complex_numIfELi16ELb0ELb1ELc67ELc85EKS1_S1_EviT_T0_PT6_S3_lS6_S3_lS4_PT7_S3_li.kd
    .uniform_work_group_size: 1
    .uses_dynamic_stack: false
    .vgpr_count:     56
    .vgpr_spill_count: 0
    .wavefront_size: 64
  - .args:
      - .offset:         0
        .size:           4
        .value_kind:     by_value
      - .offset:         8
        .size:           8
        .value_kind:     by_value
      - .offset:         16
        .size:           8
        .value_kind:     by_value
      - .address_space:  global
        .offset:         24
        .size:           8
        .value_kind:     global_buffer
      - .offset:         32
        .size:           8
        .value_kind:     by_value
      - .offset:         40
        .size:           8
        .value_kind:     by_value
      - .address_space:  global
        .offset:         48
        .size:           8
        .value_kind:     global_buffer
      - .offset:         56
        .size:           8
        .value_kind:     by_value
      - .offset:         64
        .size:           8
        .value_kind:     by_value
      - .offset:         72
        .size:           8
        .value_kind:     by_value
      - .address_space:  global
        .offset:         80
        .size:           8
        .value_kind:     global_buffer
      - .offset:         88
        .size:           8
        .value_kind:     by_value
      - .offset:         96
        .size:           8
        .value_kind:     by_value
      - .offset:         104
        .size:           4
        .value_kind:     by_value
    .group_segment_fixed_size: 4096
    .kernarg_segment_align: 8
    .kernarg_segment_size: 108
    .language:       OpenCL C
    .language_version:
      - 2
      - 0
    .max_flat_workgroup_size: 256
    .name:           _ZL32rocblas_syrkx_herkx_small_kernelIl19rocblas_complex_numIfELi16ELb0ELb1ELc78ELc85EKS1_S1_EviT_T0_PT6_S3_lS6_S3_lS4_PT7_S3_li
    .private_segment_fixed_size: 0
    .sgpr_count:     32
    .sgpr_spill_count: 0
    .symbol:         _ZL32rocblas_syrkx_herkx_small_kernelIl19rocblas_complex_numIfELi16ELb0ELb1ELc78ELc85EKS1_S1_EviT_T0_PT6_S3_lS6_S3_lS4_PT7_S3_li.kd
    .uniform_work_group_size: 1
    .uses_dynamic_stack: false
    .vgpr_count:     62
    .vgpr_spill_count: 0
    .wavefront_size: 64
  - .args:
      - .offset:         0
        .size:           4
        .value_kind:     by_value
      - .offset:         8
        .size:           8
        .value_kind:     by_value
      - .offset:         16
        .size:           8
        .value_kind:     by_value
      - .address_space:  global
        .offset:         24
        .size:           8
        .value_kind:     global_buffer
      - .offset:         32
        .size:           8
        .value_kind:     by_value
      - .offset:         40
        .size:           8
        .value_kind:     by_value
      - .address_space:  global
        .offset:         48
        .size:           8
        .value_kind:     global_buffer
      - .offset:         56
        .size:           8
        .value_kind:     by_value
      - .offset:         64
        .size:           8
        .value_kind:     by_value
      - .offset:         72
        .size:           8
        .value_kind:     by_value
      - .address_space:  global
        .offset:         80
        .size:           8
        .value_kind:     global_buffer
      - .offset:         88
        .size:           8
        .value_kind:     by_value
      - .offset:         96
        .size:           8
        .value_kind:     by_value
      - .offset:         104
        .size:           4
        .value_kind:     by_value
    .group_segment_fixed_size: 4096
    .kernarg_segment_align: 8
    .kernarg_segment_size: 108
    .language:       OpenCL C
    .language_version:
      - 2
      - 0
    .max_flat_workgroup_size: 256
    .name:           _ZL34rocblas_syrkx_herkx_general_kernelIl19rocblas_complex_numIfELi16ELi32ELi8ELb1ELb1ELc84ELc76EKS1_S1_EviT_T0_PT8_S3_lS6_S3_lS4_PT9_S3_li
    .private_segment_fixed_size: 0
    .sgpr_count:     34
    .sgpr_spill_count: 0
    .symbol:         _ZL34rocblas_syrkx_herkx_general_kernelIl19rocblas_complex_numIfELi16ELi32ELi8ELb1ELb1ELc84ELc76EKS1_S1_EviT_T0_PT8_S3_lS6_S3_lS4_PT9_S3_li.kd
    .uniform_work_group_size: 1
    .uses_dynamic_stack: false
    .vgpr_count:     50
    .vgpr_spill_count: 0
    .wavefront_size: 64
  - .args:
      - .offset:         0
        .size:           4
        .value_kind:     by_value
      - .offset:         8
        .size:           8
        .value_kind:     by_value
      - .offset:         16
        .size:           8
        .value_kind:     by_value
      - .address_space:  global
        .offset:         24
        .size:           8
        .value_kind:     global_buffer
      - .offset:         32
        .size:           8
        .value_kind:     by_value
      - .offset:         40
        .size:           8
        .value_kind:     by_value
      - .address_space:  global
        .offset:         48
        .size:           8
        .value_kind:     global_buffer
      - .offset:         56
        .size:           8
        .value_kind:     by_value
      - .offset:         64
        .size:           8
        .value_kind:     by_value
      - .offset:         72
        .size:           8
        .value_kind:     by_value
      - .address_space:  global
        .offset:         80
        .size:           8
        .value_kind:     global_buffer
      - .offset:         88
        .size:           8
        .value_kind:     by_value
      - .offset:         96
        .size:           8
        .value_kind:     by_value
      - .offset:         104
        .size:           4
        .value_kind:     by_value
    .group_segment_fixed_size: 4096
    .kernarg_segment_align: 8
    .kernarg_segment_size: 108
    .language:       OpenCL C
    .language_version:
      - 2
      - 0
    .max_flat_workgroup_size: 256
    .name:           _ZL34rocblas_syrkx_herkx_general_kernelIl19rocblas_complex_numIfELi16ELi32ELi8ELb1ELb1ELc67ELc76EKS1_S1_EviT_T0_PT8_S3_lS6_S3_lS4_PT9_S3_li
    .private_segment_fixed_size: 0
    .sgpr_count:     34
    .sgpr_spill_count: 0
    .symbol:         _ZL34rocblas_syrkx_herkx_general_kernelIl19rocblas_complex_numIfELi16ELi32ELi8ELb1ELb1ELc67ELc76EKS1_S1_EviT_T0_PT8_S3_lS6_S3_lS4_PT9_S3_li.kd
    .uniform_work_group_size: 1
    .uses_dynamic_stack: false
    .vgpr_count:     50
    .vgpr_spill_count: 0
    .wavefront_size: 64
  - .args:
      - .offset:         0
        .size:           4
        .value_kind:     by_value
      - .offset:         8
        .size:           8
        .value_kind:     by_value
      - .offset:         16
        .size:           8
        .value_kind:     by_value
      - .address_space:  global
        .offset:         24
        .size:           8
        .value_kind:     global_buffer
      - .offset:         32
        .size:           8
        .value_kind:     by_value
      - .offset:         40
        .size:           8
        .value_kind:     by_value
      - .address_space:  global
        .offset:         48
        .size:           8
        .value_kind:     global_buffer
      - .offset:         56
        .size:           8
        .value_kind:     by_value
      - .offset:         64
        .size:           8
        .value_kind:     by_value
      - .offset:         72
        .size:           8
        .value_kind:     by_value
      - .address_space:  global
        .offset:         80
        .size:           8
        .value_kind:     global_buffer
      - .offset:         88
        .size:           8
        .value_kind:     by_value
      - .offset:         96
        .size:           8
        .value_kind:     by_value
      - .offset:         104
        .size:           4
        .value_kind:     by_value
    .group_segment_fixed_size: 4096
    .kernarg_segment_align: 8
    .kernarg_segment_size: 108
    .language:       OpenCL C
    .language_version:
      - 2
      - 0
    .max_flat_workgroup_size: 256
    .name:           _ZL34rocblas_syrkx_herkx_general_kernelIl19rocblas_complex_numIfELi16ELi32ELi8ELb1ELb1ELc78ELc76EKS1_S1_EviT_T0_PT8_S3_lS6_S3_lS4_PT9_S3_li
    .private_segment_fixed_size: 0
    .sgpr_count:     34
    .sgpr_spill_count: 0
    .symbol:         _ZL34rocblas_syrkx_herkx_general_kernelIl19rocblas_complex_numIfELi16ELi32ELi8ELb1ELb1ELc78ELc76EKS1_S1_EviT_T0_PT8_S3_lS6_S3_lS4_PT9_S3_li.kd
    .uniform_work_group_size: 1
    .uses_dynamic_stack: false
    .vgpr_count:     48
    .vgpr_spill_count: 0
    .wavefront_size: 64
  - .args:
      - .offset:         0
        .size:           4
        .value_kind:     by_value
      - .offset:         8
        .size:           8
        .value_kind:     by_value
      - .offset:         16
        .size:           8
        .value_kind:     by_value
      - .address_space:  global
        .offset:         24
        .size:           8
        .value_kind:     global_buffer
      - .offset:         32
        .size:           8
        .value_kind:     by_value
      - .offset:         40
        .size:           8
        .value_kind:     by_value
      - .address_space:  global
        .offset:         48
        .size:           8
        .value_kind:     global_buffer
      - .offset:         56
        .size:           8
        .value_kind:     by_value
      - .offset:         64
        .size:           8
        .value_kind:     by_value
      - .offset:         72
        .size:           8
        .value_kind:     by_value
      - .address_space:  global
        .offset:         80
        .size:           8
        .value_kind:     global_buffer
      - .offset:         88
        .size:           8
        .value_kind:     by_value
      - .offset:         96
        .size:           8
        .value_kind:     by_value
      - .offset:         104
        .size:           4
        .value_kind:     by_value
    .group_segment_fixed_size: 4096
    .kernarg_segment_align: 8
    .kernarg_segment_size: 108
    .language:       OpenCL C
    .language_version:
      - 2
      - 0
    .max_flat_workgroup_size: 256
    .name:           _ZL34rocblas_syrkx_herkx_general_kernelIl19rocblas_complex_numIfELi16ELi32ELi8ELb1ELb1ELc84ELc85EKS1_S1_EviT_T0_PT8_S3_lS6_S3_lS4_PT9_S3_li
    .private_segment_fixed_size: 0
    .sgpr_count:     34
    .sgpr_spill_count: 0
    .symbol:         _ZL34rocblas_syrkx_herkx_general_kernelIl19rocblas_complex_numIfELi16ELi32ELi8ELb1ELb1ELc84ELc85EKS1_S1_EviT_T0_PT8_S3_lS6_S3_lS4_PT9_S3_li.kd
    .uniform_work_group_size: 1
    .uses_dynamic_stack: false
    .vgpr_count:     50
    .vgpr_spill_count: 0
    .wavefront_size: 64
  - .args:
      - .offset:         0
        .size:           4
        .value_kind:     by_value
      - .offset:         8
        .size:           8
        .value_kind:     by_value
      - .offset:         16
        .size:           8
        .value_kind:     by_value
      - .address_space:  global
        .offset:         24
        .size:           8
        .value_kind:     global_buffer
      - .offset:         32
        .size:           8
        .value_kind:     by_value
      - .offset:         40
        .size:           8
        .value_kind:     by_value
      - .address_space:  global
        .offset:         48
        .size:           8
        .value_kind:     global_buffer
      - .offset:         56
        .size:           8
        .value_kind:     by_value
      - .offset:         64
        .size:           8
        .value_kind:     by_value
      - .offset:         72
        .size:           8
        .value_kind:     by_value
      - .address_space:  global
        .offset:         80
        .size:           8
        .value_kind:     global_buffer
      - .offset:         88
        .size:           8
        .value_kind:     by_value
      - .offset:         96
        .size:           8
        .value_kind:     by_value
      - .offset:         104
        .size:           4
        .value_kind:     by_value
    .group_segment_fixed_size: 4096
    .kernarg_segment_align: 8
    .kernarg_segment_size: 108
    .language:       OpenCL C
    .language_version:
      - 2
      - 0
    .max_flat_workgroup_size: 256
    .name:           _ZL34rocblas_syrkx_herkx_general_kernelIl19rocblas_complex_numIfELi16ELi32ELi8ELb1ELb1ELc67ELc85EKS1_S1_EviT_T0_PT8_S3_lS6_S3_lS4_PT9_S3_li
    .private_segment_fixed_size: 0
    .sgpr_count:     34
    .sgpr_spill_count: 0
    .symbol:         _ZL34rocblas_syrkx_herkx_general_kernelIl19rocblas_complex_numIfELi16ELi32ELi8ELb1ELb1ELc67ELc85EKS1_S1_EviT_T0_PT8_S3_lS6_S3_lS4_PT9_S3_li.kd
    .uniform_work_group_size: 1
    .uses_dynamic_stack: false
    .vgpr_count:     50
    .vgpr_spill_count: 0
    .wavefront_size: 64
  - .args:
      - .offset:         0
        .size:           4
        .value_kind:     by_value
      - .offset:         8
        .size:           8
        .value_kind:     by_value
      - .offset:         16
        .size:           8
        .value_kind:     by_value
      - .address_space:  global
        .offset:         24
        .size:           8
        .value_kind:     global_buffer
      - .offset:         32
        .size:           8
        .value_kind:     by_value
      - .offset:         40
        .size:           8
        .value_kind:     by_value
      - .address_space:  global
        .offset:         48
        .size:           8
        .value_kind:     global_buffer
      - .offset:         56
        .size:           8
        .value_kind:     by_value
      - .offset:         64
        .size:           8
        .value_kind:     by_value
      - .offset:         72
        .size:           8
        .value_kind:     by_value
      - .address_space:  global
        .offset:         80
        .size:           8
        .value_kind:     global_buffer
      - .offset:         88
        .size:           8
        .value_kind:     by_value
      - .offset:         96
        .size:           8
        .value_kind:     by_value
      - .offset:         104
        .size:           4
        .value_kind:     by_value
    .group_segment_fixed_size: 4096
    .kernarg_segment_align: 8
    .kernarg_segment_size: 108
    .language:       OpenCL C
    .language_version:
      - 2
      - 0
    .max_flat_workgroup_size: 256
    .name:           _ZL34rocblas_syrkx_herkx_general_kernelIl19rocblas_complex_numIfELi16ELi32ELi8ELb1ELb1ELc78ELc85EKS1_S1_EviT_T0_PT8_S3_lS6_S3_lS4_PT9_S3_li
    .private_segment_fixed_size: 0
    .sgpr_count:     34
    .sgpr_spill_count: 0
    .symbol:         _ZL34rocblas_syrkx_herkx_general_kernelIl19rocblas_complex_numIfELi16ELi32ELi8ELb1ELb1ELc78ELc85EKS1_S1_EviT_T0_PT8_S3_lS6_S3_lS4_PT9_S3_li.kd
    .uniform_work_group_size: 1
    .uses_dynamic_stack: false
    .vgpr_count:     48
    .vgpr_spill_count: 0
    .wavefront_size: 64
  - .args:
      - .offset:         0
        .size:           4
        .value_kind:     by_value
      - .offset:         8
        .size:           8
        .value_kind:     by_value
      - .offset:         16
        .size:           8
        .value_kind:     by_value
      - .address_space:  global
        .offset:         24
        .size:           8
        .value_kind:     global_buffer
      - .offset:         32
        .size:           8
        .value_kind:     by_value
      - .offset:         40
        .size:           8
        .value_kind:     by_value
      - .address_space:  global
        .offset:         48
        .size:           8
        .value_kind:     global_buffer
      - .offset:         56
        .size:           8
        .value_kind:     by_value
      - .offset:         64
        .size:           8
        .value_kind:     by_value
      - .offset:         72
        .size:           8
        .value_kind:     by_value
      - .address_space:  global
        .offset:         80
        .size:           8
        .value_kind:     global_buffer
      - .offset:         88
        .size:           8
        .value_kind:     by_value
      - .offset:         96
        .size:           8
        .value_kind:     by_value
      - .offset:         104
        .size:           4
        .value_kind:     by_value
    .group_segment_fixed_size: 4096
    .kernarg_segment_align: 8
    .kernarg_segment_size: 108
    .language:       OpenCL C
    .language_version:
      - 2
      - 0
    .max_flat_workgroup_size: 256
    .name:           _ZL34rocblas_syrkx_herkx_general_kernelIl19rocblas_complex_numIfELi16ELi32ELi8ELb0ELb1ELc84ELc76EKS1_S1_EviT_T0_PT8_S3_lS6_S3_lS4_PT9_S3_li
    .private_segment_fixed_size: 0
    .sgpr_count:     34
    .sgpr_spill_count: 0
    .symbol:         _ZL34rocblas_syrkx_herkx_general_kernelIl19rocblas_complex_numIfELi16ELi32ELi8ELb0ELb1ELc84ELc76EKS1_S1_EviT_T0_PT8_S3_lS6_S3_lS4_PT9_S3_li.kd
    .uniform_work_group_size: 1
    .uses_dynamic_stack: false
    .vgpr_count:     50
    .vgpr_spill_count: 0
    .wavefront_size: 64
  - .args:
      - .offset:         0
        .size:           4
        .value_kind:     by_value
      - .offset:         8
        .size:           8
        .value_kind:     by_value
      - .offset:         16
        .size:           8
        .value_kind:     by_value
      - .address_space:  global
        .offset:         24
        .size:           8
        .value_kind:     global_buffer
      - .offset:         32
        .size:           8
        .value_kind:     by_value
      - .offset:         40
        .size:           8
        .value_kind:     by_value
      - .address_space:  global
        .offset:         48
        .size:           8
        .value_kind:     global_buffer
      - .offset:         56
        .size:           8
        .value_kind:     by_value
      - .offset:         64
        .size:           8
        .value_kind:     by_value
      - .offset:         72
        .size:           8
        .value_kind:     by_value
      - .address_space:  global
        .offset:         80
        .size:           8
        .value_kind:     global_buffer
      - .offset:         88
        .size:           8
        .value_kind:     by_value
      - .offset:         96
        .size:           8
        .value_kind:     by_value
      - .offset:         104
        .size:           4
        .value_kind:     by_value
    .group_segment_fixed_size: 4096
    .kernarg_segment_align: 8
    .kernarg_segment_size: 108
    .language:       OpenCL C
    .language_version:
      - 2
      - 0
    .max_flat_workgroup_size: 256
    .name:           _ZL34rocblas_syrkx_herkx_general_kernelIl19rocblas_complex_numIfELi16ELi32ELi8ELb0ELb1ELc67ELc76EKS1_S1_EviT_T0_PT8_S3_lS6_S3_lS4_PT9_S3_li
    .private_segment_fixed_size: 0
    .sgpr_count:     34
    .sgpr_spill_count: 0
    .symbol:         _ZL34rocblas_syrkx_herkx_general_kernelIl19rocblas_complex_numIfELi16ELi32ELi8ELb0ELb1ELc67ELc76EKS1_S1_EviT_T0_PT8_S3_lS6_S3_lS4_PT9_S3_li.kd
    .uniform_work_group_size: 1
    .uses_dynamic_stack: false
    .vgpr_count:     50
    .vgpr_spill_count: 0
    .wavefront_size: 64
  - .args:
      - .offset:         0
        .size:           4
        .value_kind:     by_value
      - .offset:         8
        .size:           8
        .value_kind:     by_value
      - .offset:         16
        .size:           8
        .value_kind:     by_value
      - .address_space:  global
        .offset:         24
        .size:           8
        .value_kind:     global_buffer
      - .offset:         32
        .size:           8
        .value_kind:     by_value
      - .offset:         40
        .size:           8
        .value_kind:     by_value
      - .address_space:  global
        .offset:         48
        .size:           8
        .value_kind:     global_buffer
      - .offset:         56
        .size:           8
        .value_kind:     by_value
      - .offset:         64
        .size:           8
        .value_kind:     by_value
      - .offset:         72
        .size:           8
        .value_kind:     by_value
      - .address_space:  global
        .offset:         80
        .size:           8
        .value_kind:     global_buffer
      - .offset:         88
        .size:           8
        .value_kind:     by_value
      - .offset:         96
        .size:           8
        .value_kind:     by_value
      - .offset:         104
        .size:           4
        .value_kind:     by_value
    .group_segment_fixed_size: 4096
    .kernarg_segment_align: 8
    .kernarg_segment_size: 108
    .language:       OpenCL C
    .language_version:
      - 2
      - 0
    .max_flat_workgroup_size: 256
    .name:           _ZL34rocblas_syrkx_herkx_general_kernelIl19rocblas_complex_numIfELi16ELi32ELi8ELb0ELb1ELc78ELc76EKS1_S1_EviT_T0_PT8_S3_lS6_S3_lS4_PT9_S3_li
    .private_segment_fixed_size: 0
    .sgpr_count:     34
    .sgpr_spill_count: 0
    .symbol:         _ZL34rocblas_syrkx_herkx_general_kernelIl19rocblas_complex_numIfELi16ELi32ELi8ELb0ELb1ELc78ELc76EKS1_S1_EviT_T0_PT8_S3_lS6_S3_lS4_PT9_S3_li.kd
    .uniform_work_group_size: 1
    .uses_dynamic_stack: false
    .vgpr_count:     48
    .vgpr_spill_count: 0
    .wavefront_size: 64
  - .args:
      - .offset:         0
        .size:           4
        .value_kind:     by_value
      - .offset:         8
        .size:           8
        .value_kind:     by_value
      - .offset:         16
        .size:           8
        .value_kind:     by_value
      - .address_space:  global
        .offset:         24
        .size:           8
        .value_kind:     global_buffer
      - .offset:         32
        .size:           8
        .value_kind:     by_value
      - .offset:         40
        .size:           8
        .value_kind:     by_value
      - .address_space:  global
        .offset:         48
        .size:           8
        .value_kind:     global_buffer
      - .offset:         56
        .size:           8
        .value_kind:     by_value
      - .offset:         64
        .size:           8
        .value_kind:     by_value
      - .offset:         72
        .size:           8
        .value_kind:     by_value
      - .address_space:  global
        .offset:         80
        .size:           8
        .value_kind:     global_buffer
      - .offset:         88
        .size:           8
        .value_kind:     by_value
      - .offset:         96
        .size:           8
        .value_kind:     by_value
      - .offset:         104
        .size:           4
        .value_kind:     by_value
    .group_segment_fixed_size: 4096
    .kernarg_segment_align: 8
    .kernarg_segment_size: 108
    .language:       OpenCL C
    .language_version:
      - 2
      - 0
    .max_flat_workgroup_size: 256
    .name:           _ZL34rocblas_syrkx_herkx_general_kernelIl19rocblas_complex_numIfELi16ELi32ELi8ELb0ELb1ELc84ELc85EKS1_S1_EviT_T0_PT8_S3_lS6_S3_lS4_PT9_S3_li
    .private_segment_fixed_size: 0
    .sgpr_count:     34
    .sgpr_spill_count: 0
    .symbol:         _ZL34rocblas_syrkx_herkx_general_kernelIl19rocblas_complex_numIfELi16ELi32ELi8ELb0ELb1ELc84ELc85EKS1_S1_EviT_T0_PT8_S3_lS6_S3_lS4_PT9_S3_li.kd
    .uniform_work_group_size: 1
    .uses_dynamic_stack: false
    .vgpr_count:     50
    .vgpr_spill_count: 0
    .wavefront_size: 64
  - .args:
      - .offset:         0
        .size:           4
        .value_kind:     by_value
      - .offset:         8
        .size:           8
        .value_kind:     by_value
      - .offset:         16
        .size:           8
        .value_kind:     by_value
      - .address_space:  global
        .offset:         24
        .size:           8
        .value_kind:     global_buffer
      - .offset:         32
        .size:           8
        .value_kind:     by_value
      - .offset:         40
        .size:           8
        .value_kind:     by_value
      - .address_space:  global
        .offset:         48
        .size:           8
        .value_kind:     global_buffer
      - .offset:         56
        .size:           8
        .value_kind:     by_value
      - .offset:         64
        .size:           8
        .value_kind:     by_value
      - .offset:         72
        .size:           8
        .value_kind:     by_value
      - .address_space:  global
        .offset:         80
        .size:           8
        .value_kind:     global_buffer
      - .offset:         88
        .size:           8
        .value_kind:     by_value
      - .offset:         96
        .size:           8
        .value_kind:     by_value
      - .offset:         104
        .size:           4
        .value_kind:     by_value
    .group_segment_fixed_size: 4096
    .kernarg_segment_align: 8
    .kernarg_segment_size: 108
    .language:       OpenCL C
    .language_version:
      - 2
      - 0
    .max_flat_workgroup_size: 256
    .name:           _ZL34rocblas_syrkx_herkx_general_kernelIl19rocblas_complex_numIfELi16ELi32ELi8ELb0ELb1ELc67ELc85EKS1_S1_EviT_T0_PT8_S3_lS6_S3_lS4_PT9_S3_li
    .private_segment_fixed_size: 0
    .sgpr_count:     34
    .sgpr_spill_count: 0
    .symbol:         _ZL34rocblas_syrkx_herkx_general_kernelIl19rocblas_complex_numIfELi16ELi32ELi8ELb0ELb1ELc67ELc85EKS1_S1_EviT_T0_PT8_S3_lS6_S3_lS4_PT9_S3_li.kd
    .uniform_work_group_size: 1
    .uses_dynamic_stack: false
    .vgpr_count:     50
    .vgpr_spill_count: 0
    .wavefront_size: 64
  - .args:
      - .offset:         0
        .size:           4
        .value_kind:     by_value
      - .offset:         8
        .size:           8
        .value_kind:     by_value
      - .offset:         16
        .size:           8
        .value_kind:     by_value
      - .address_space:  global
        .offset:         24
        .size:           8
        .value_kind:     global_buffer
      - .offset:         32
        .size:           8
        .value_kind:     by_value
      - .offset:         40
        .size:           8
        .value_kind:     by_value
      - .address_space:  global
        .offset:         48
        .size:           8
        .value_kind:     global_buffer
      - .offset:         56
        .size:           8
        .value_kind:     by_value
      - .offset:         64
        .size:           8
        .value_kind:     by_value
      - .offset:         72
        .size:           8
        .value_kind:     by_value
      - .address_space:  global
        .offset:         80
        .size:           8
        .value_kind:     global_buffer
      - .offset:         88
        .size:           8
        .value_kind:     by_value
      - .offset:         96
        .size:           8
        .value_kind:     by_value
      - .offset:         104
        .size:           4
        .value_kind:     by_value
    .group_segment_fixed_size: 4096
    .kernarg_segment_align: 8
    .kernarg_segment_size: 108
    .language:       OpenCL C
    .language_version:
      - 2
      - 0
    .max_flat_workgroup_size: 256
    .name:           _ZL34rocblas_syrkx_herkx_general_kernelIl19rocblas_complex_numIfELi16ELi32ELi8ELb0ELb1ELc78ELc85EKS1_S1_EviT_T0_PT8_S3_lS6_S3_lS4_PT9_S3_li
    .private_segment_fixed_size: 0
    .sgpr_count:     34
    .sgpr_spill_count: 0
    .symbol:         _ZL34rocblas_syrkx_herkx_general_kernelIl19rocblas_complex_numIfELi16ELi32ELi8ELb0ELb1ELc78ELc85EKS1_S1_EviT_T0_PT8_S3_lS6_S3_lS4_PT9_S3_li.kd
    .uniform_work_group_size: 1
    .uses_dynamic_stack: false
    .vgpr_count:     48
    .vgpr_spill_count: 0
    .wavefront_size: 64
  - .args:
      - .offset:         0
        .size:           1
        .value_kind:     by_value
      - .offset:         4
        .size:           4
        .value_kind:     by_value
      - .offset:         8
        .size:           8
        .value_kind:     by_value
      - .offset:         16
        .size:           8
        .value_kind:     by_value
      - .offset:         24
        .size:           8
        .value_kind:     by_value
      - .address_space:  global
        .offset:         32
        .size:           8
        .value_kind:     global_buffer
      - .offset:         40
        .size:           8
        .value_kind:     by_value
      - .offset:         48
        .size:           8
        .value_kind:     by_value
      - .offset:         56
        .size:           4
        .value_kind:     by_value
      - .offset:         64
        .size:           4
        .value_kind:     hidden_block_count_x
      - .offset:         68
        .size:           4
        .value_kind:     hidden_block_count_y
      - .offset:         72
        .size:           4
        .value_kind:     hidden_block_count_z
      - .offset:         76
        .size:           2
        .value_kind:     hidden_group_size_x
      - .offset:         78
        .size:           2
        .value_kind:     hidden_group_size_y
      - .offset:         80
        .size:           2
        .value_kind:     hidden_group_size_z
      - .offset:         82
        .size:           2
        .value_kind:     hidden_remainder_x
      - .offset:         84
        .size:           2
        .value_kind:     hidden_remainder_y
      - .offset:         86
        .size:           2
        .value_kind:     hidden_remainder_z
      - .offset:         104
        .size:           8
        .value_kind:     hidden_global_offset_x
      - .offset:         112
        .size:           8
        .value_kind:     hidden_global_offset_y
      - .offset:         120
        .size:           8
        .value_kind:     hidden_global_offset_z
      - .offset:         128
        .size:           2
        .value_kind:     hidden_grid_dims
    .group_segment_fixed_size: 0
    .kernarg_segment_align: 8
    .kernarg_segment_size: 320
    .language:       OpenCL C
    .language_version:
      - 2
      - 0
    .max_flat_workgroup_size: 1024
    .name:           _ZL26rocblas_syr2k_scale_kernelIlLi128ELi8ELb1E19rocblas_complex_numIfES1_PS1_EvbiT_T3_T4_T5_S3_li
    .private_segment_fixed_size: 0
    .sgpr_count:     20
    .sgpr_spill_count: 0
    .symbol:         _ZL26rocblas_syr2k_scale_kernelIlLi128ELi8ELb1E19rocblas_complex_numIfES1_PS1_EvbiT_T3_T4_T5_S3_li.kd
    .uniform_work_group_size: 1
    .uses_dynamic_stack: false
    .vgpr_count:     8
    .vgpr_spill_count: 0
    .wavefront_size: 64
  - .args:
      - .offset:         0
        .size:           1
        .value_kind:     by_value
      - .offset:         4
        .size:           4
        .value_kind:     by_value
      - .offset:         8
        .size:           8
        .value_kind:     by_value
      - .address_space:  global
        .offset:         16
        .size:           8
        .value_kind:     global_buffer
      - .address_space:  global
        .offset:         24
        .size:           8
        .value_kind:     global_buffer
      - .offset:         32
        .size:           8
        .value_kind:     by_value
      - .offset:         40
        .size:           8
        .value_kind:     by_value
      - .address_space:  global
        .offset:         48
        .size:           8
        .value_kind:     global_buffer
      - .offset:         56
        .size:           8
        .value_kind:     by_value
      - .offset:         64
        .size:           8
        .value_kind:     by_value
      - .address_space:  global
        .offset:         72
        .size:           8
        .value_kind:     global_buffer
      - .offset:         80
        .size:           8
        .value_kind:     by_value
      - .offset:         88
        .size:           8
        .value_kind:     by_value
      - .offset:         96
        .size:           4
        .value_kind:     by_value
    .group_segment_fixed_size: 16384
    .kernarg_segment_align: 8
    .kernarg_segment_size: 100
    .language:       OpenCL C
    .language_version:
      - 2
      - 0
    .max_flat_workgroup_size: 1024
    .name:           _ZL26rocblas_syr2k_her2k_kernelIlLb0ELb1ELb0ELi32EPK19rocblas_complex_numIfES3_PS1_EvbiT_T4_T5_S5_lS7_S5_lT6_S5_li
    .private_segment_fixed_size: 0
    .sgpr_count:     36
    .sgpr_spill_count: 0
    .symbol:         _ZL26rocblas_syr2k_her2k_kernelIlLb0ELb1ELb0ELi32EPK19rocblas_complex_numIfES3_PS1_EvbiT_T4_T5_S5_lS7_S5_lT6_S5_li.kd
    .uniform_work_group_size: 1
    .uses_dynamic_stack: false
    .vgpr_count:     36
    .vgpr_spill_count: 0
    .wavefront_size: 64
  - .args:
      - .offset:         0
        .size:           1
        .value_kind:     by_value
      - .offset:         4
        .size:           4
        .value_kind:     by_value
      - .offset:         8
        .size:           8
        .value_kind:     by_value
      - .address_space:  global
        .offset:         16
        .size:           8
        .value_kind:     global_buffer
      - .address_space:  global
        .offset:         24
        .size:           8
        .value_kind:     global_buffer
      - .offset:         32
        .size:           8
        .value_kind:     by_value
      - .offset:         40
        .size:           8
        .value_kind:     by_value
      - .address_space:  global
        .offset:         48
        .size:           8
        .value_kind:     global_buffer
      - .offset:         56
        .size:           8
        .value_kind:     by_value
      - .offset:         64
        .size:           8
        .value_kind:     by_value
      - .address_space:  global
        .offset:         72
        .size:           8
        .value_kind:     global_buffer
      - .offset:         80
        .size:           8
        .value_kind:     by_value
      - .offset:         88
        .size:           8
        .value_kind:     by_value
      - .offset:         96
        .size:           4
        .value_kind:     by_value
    .group_segment_fixed_size: 16384
    .kernarg_segment_align: 8
    .kernarg_segment_size: 100
    .language:       OpenCL C
    .language_version:
      - 2
      - 0
    .max_flat_workgroup_size: 1024
    .name:           _ZL26rocblas_syr2k_her2k_kernelIlLb0ELb1ELb1ELi32EPK19rocblas_complex_numIfES3_PS1_EvbiT_T4_T5_S5_lS7_S5_lT6_S5_li
    .private_segment_fixed_size: 0
    .sgpr_count:     36
    .sgpr_spill_count: 0
    .symbol:         _ZL26rocblas_syr2k_her2k_kernelIlLb0ELb1ELb1ELi32EPK19rocblas_complex_numIfES3_PS1_EvbiT_T4_T5_S5_lS7_S5_lT6_S5_li.kd
    .uniform_work_group_size: 1
    .uses_dynamic_stack: false
    .vgpr_count:     38
    .vgpr_spill_count: 0
    .wavefront_size: 64
  - .args:
      - .offset:         0
        .size:           1
        .value_kind:     by_value
      - .offset:         4
        .size:           4
        .value_kind:     by_value
      - .offset:         8
        .size:           8
        .value_kind:     by_value
      - .offset:         16
        .size:           16
        .value_kind:     by_value
      - .address_space:  global
        .offset:         32
        .size:           8
        .value_kind:     global_buffer
      - .offset:         40
        .size:           8
        .value_kind:     by_value
      - .offset:         48
        .size:           8
        .value_kind:     by_value
      - .address_space:  global
        .offset:         56
        .size:           8
        .value_kind:     global_buffer
      - .offset:         64
        .size:           8
        .value_kind:     by_value
      - .offset:         72
        .size:           8
        .value_kind:     by_value
      - .address_space:  global
        .offset:         80
        .size:           8
        .value_kind:     global_buffer
      - .offset:         88
        .size:           8
        .value_kind:     by_value
      - .offset:         96
        .size:           8
        .value_kind:     by_value
      - .offset:         104
        .size:           4
        .value_kind:     by_value
    .group_segment_fixed_size: 32768
    .kernarg_segment_align: 8
    .kernarg_segment_size: 108
    .language:       OpenCL C
    .language_version:
      - 2
      - 0
    .max_flat_workgroup_size: 1024
    .name:           _ZL26rocblas_syr2k_her2k_kernelIlLb0ELb1ELb0ELi32E19rocblas_complex_numIdEPKS1_PS1_EvbiT_T4_T5_S5_lS7_S5_lT6_S5_li
    .private_segment_fixed_size: 0
    .sgpr_count:     48
    .sgpr_spill_count: 0
    .symbol:         _ZL26rocblas_syr2k_her2k_kernelIlLb0ELb1ELb0ELi32E19rocblas_complex_numIdEPKS1_PS1_EvbiT_T4_T5_S5_lS7_S5_lT6_S5_li.kd
    .uniform_work_group_size: 1
    .uses_dynamic_stack: false
    .vgpr_count:     38
    .vgpr_spill_count: 0
    .wavefront_size: 64
  - .args:
      - .offset:         0
        .size:           1
        .value_kind:     by_value
      - .offset:         4
        .size:           4
        .value_kind:     by_value
      - .offset:         8
        .size:           8
        .value_kind:     by_value
      - .offset:         16
        .size:           16
        .value_kind:     by_value
      - .address_space:  global
        .offset:         32
        .size:           8
        .value_kind:     global_buffer
      - .offset:         40
        .size:           8
        .value_kind:     by_value
      - .offset:         48
        .size:           8
        .value_kind:     by_value
      - .address_space:  global
        .offset:         56
        .size:           8
        .value_kind:     global_buffer
      - .offset:         64
        .size:           8
        .value_kind:     by_value
      - .offset:         72
        .size:           8
        .value_kind:     by_value
      - .address_space:  global
        .offset:         80
        .size:           8
        .value_kind:     global_buffer
      - .offset:         88
        .size:           8
        .value_kind:     by_value
      - .offset:         96
        .size:           8
        .value_kind:     by_value
      - .offset:         104
        .size:           4
        .value_kind:     by_value
    .group_segment_fixed_size: 32768
    .kernarg_segment_align: 8
    .kernarg_segment_size: 108
    .language:       OpenCL C
    .language_version:
      - 2
      - 0
    .max_flat_workgroup_size: 1024
    .name:           _ZL26rocblas_syr2k_her2k_kernelIlLb0ELb1ELb1ELi32E19rocblas_complex_numIdEPKS1_PS1_EvbiT_T4_T5_S5_lS7_S5_lT6_S5_li
    .private_segment_fixed_size: 0
    .sgpr_count:     48
    .sgpr_spill_count: 0
    .symbol:         _ZL26rocblas_syr2k_her2k_kernelIlLb0ELb1ELb1ELi32E19rocblas_complex_numIdEPKS1_PS1_EvbiT_T4_T5_S5_lS7_S5_lT6_S5_li.kd
    .uniform_work_group_size: 1
    .uses_dynamic_stack: false
    .vgpr_count:     38
    .vgpr_spill_count: 0
    .wavefront_size: 64
  - .args:
      - .offset:         0
        .size:           4
        .value_kind:     by_value
      - .offset:         8
        .size:           8
        .value_kind:     by_value
      - .address_space:  global
        .offset:         16
        .size:           8
        .value_kind:     global_buffer
      - .offset:         24
        .size:           8
        .value_kind:     by_value
      - .offset:         32
        .size:           8
        .value_kind:     by_value
      - .address_space:  global
        .offset:         40
        .size:           8
        .value_kind:     global_buffer
      - .offset:         48
        .size:           8
        .value_kind:     by_value
      - .offset:         56
        .size:           8
        .value_kind:     by_value
      - .address_space:  global
        .offset:         64
        .size:           8
        .value_kind:     global_buffer
      - .offset:         72
        .size:           8
        .value_kind:     by_value
      - .offset:         80
        .size:           8
        .value_kind:     by_value
      - .offset:         88
        .size:           4
        .value_kind:     by_value
    .group_segment_fixed_size: 8192
    .kernarg_segment_align: 8
    .kernarg_segment_size: 92
    .language:       OpenCL C
    .language_version:
      - 2
      - 0
    .max_flat_workgroup_size: 256
    .name:           _ZL37rocblas_syrkx_herkx_restricted_kernelIl19rocblas_complex_numIdELi16ELi32ELi8ELi1ELi1ELb1ELc84ELc76EKS1_S1_EviT_PT9_S3_lS5_S3_lPT10_S3_li
    .private_segment_fixed_size: 0
    .sgpr_count:     32
    .sgpr_spill_count: 0
    .symbol:         _ZL37rocblas_syrkx_herkx_restricted_kernelIl19rocblas_complex_numIdELi16ELi32ELi8ELi1ELi1ELb1ELc84ELc76EKS1_S1_EviT_PT9_S3_lS5_S3_lPT10_S3_li.kd
    .uniform_work_group_size: 1
    .uses_dynamic_stack: false
    .vgpr_count:     52
    .vgpr_spill_count: 0
    .wavefront_size: 64
  - .args:
      - .offset:         0
        .size:           4
        .value_kind:     by_value
      - .offset:         8
        .size:           8
        .value_kind:     by_value
      - .address_space:  global
        .offset:         16
        .size:           8
        .value_kind:     global_buffer
      - .offset:         24
        .size:           8
        .value_kind:     by_value
      - .offset:         32
        .size:           8
        .value_kind:     by_value
      - .address_space:  global
        .offset:         40
        .size:           8
        .value_kind:     global_buffer
      - .offset:         48
        .size:           8
        .value_kind:     by_value
      - .offset:         56
        .size:           8
        .value_kind:     by_value
      - .address_space:  global
        .offset:         64
        .size:           8
        .value_kind:     global_buffer
      - .offset:         72
        .size:           8
        .value_kind:     by_value
      - .offset:         80
        .size:           8
        .value_kind:     by_value
      - .offset:         88
        .size:           4
        .value_kind:     by_value
    .group_segment_fixed_size: 8192
    .kernarg_segment_align: 8
    .kernarg_segment_size: 92
    .language:       OpenCL C
    .language_version:
      - 2
      - 0
    .max_flat_workgroup_size: 256
    .name:           _ZL37rocblas_syrkx_herkx_restricted_kernelIl19rocblas_complex_numIdELi16ELi32ELi8ELi1ELi1ELb1ELc67ELc76EKS1_S1_EviT_PT9_S3_lS5_S3_lPT10_S3_li
    .private_segment_fixed_size: 0
    .sgpr_count:     32
    .sgpr_spill_count: 0
    .symbol:         _ZL37rocblas_syrkx_herkx_restricted_kernelIl19rocblas_complex_numIdELi16ELi32ELi8ELi1ELi1ELb1ELc67ELc76EKS1_S1_EviT_PT9_S3_lS5_S3_lPT10_S3_li.kd
    .uniform_work_group_size: 1
    .uses_dynamic_stack: false
    .vgpr_count:     52
    .vgpr_spill_count: 0
    .wavefront_size: 64
  - .args:
      - .offset:         0
        .size:           4
        .value_kind:     by_value
      - .offset:         8
        .size:           8
        .value_kind:     by_value
      - .address_space:  global
        .offset:         16
        .size:           8
        .value_kind:     global_buffer
      - .offset:         24
        .size:           8
        .value_kind:     by_value
      - .offset:         32
        .size:           8
        .value_kind:     by_value
      - .address_space:  global
        .offset:         40
        .size:           8
        .value_kind:     global_buffer
      - .offset:         48
        .size:           8
        .value_kind:     by_value
      - .offset:         56
        .size:           8
        .value_kind:     by_value
      - .address_space:  global
        .offset:         64
        .size:           8
        .value_kind:     global_buffer
      - .offset:         72
        .size:           8
        .value_kind:     by_value
      - .offset:         80
        .size:           8
        .value_kind:     by_value
      - .offset:         88
        .size:           4
        .value_kind:     by_value
    .group_segment_fixed_size: 8192
    .kernarg_segment_align: 8
    .kernarg_segment_size: 92
    .language:       OpenCL C
    .language_version:
      - 2
      - 0
    .max_flat_workgroup_size: 256
    .name:           _ZL37rocblas_syrkx_herkx_restricted_kernelIl19rocblas_complex_numIdELi16ELi32ELi8ELi1ELi1ELb1ELc78ELc76EKS1_S1_EviT_PT9_S3_lS5_S3_lPT10_S3_li
    .private_segment_fixed_size: 0
    .sgpr_count:     32
    .sgpr_spill_count: 0
    .symbol:         _ZL37rocblas_syrkx_herkx_restricted_kernelIl19rocblas_complex_numIdELi16ELi32ELi8ELi1ELi1ELb1ELc78ELc76EKS1_S1_EviT_PT9_S3_lS5_S3_lPT10_S3_li.kd
    .uniform_work_group_size: 1
    .uses_dynamic_stack: false
    .vgpr_count:     54
    .vgpr_spill_count: 0
    .wavefront_size: 64
  - .args:
      - .offset:         0
        .size:           4
        .value_kind:     by_value
      - .offset:         8
        .size:           8
        .value_kind:     by_value
      - .address_space:  global
        .offset:         16
        .size:           8
        .value_kind:     global_buffer
      - .offset:         24
        .size:           8
        .value_kind:     by_value
      - .offset:         32
        .size:           8
        .value_kind:     by_value
      - .address_space:  global
        .offset:         40
        .size:           8
        .value_kind:     global_buffer
      - .offset:         48
        .size:           8
        .value_kind:     by_value
      - .offset:         56
        .size:           8
        .value_kind:     by_value
      - .address_space:  global
        .offset:         64
        .size:           8
        .value_kind:     global_buffer
      - .offset:         72
        .size:           8
        .value_kind:     by_value
      - .offset:         80
        .size:           8
        .value_kind:     by_value
      - .offset:         88
        .size:           4
        .value_kind:     by_value
    .group_segment_fixed_size: 8192
    .kernarg_segment_align: 8
    .kernarg_segment_size: 92
    .language:       OpenCL C
    .language_version:
      - 2
      - 0
    .max_flat_workgroup_size: 256
    .name:           _ZL37rocblas_syrkx_herkx_restricted_kernelIl19rocblas_complex_numIdELi16ELi32ELi8ELi1ELi1ELb1ELc84ELc85EKS1_S1_EviT_PT9_S3_lS5_S3_lPT10_S3_li
    .private_segment_fixed_size: 0
    .sgpr_count:     32
    .sgpr_spill_count: 0
    .symbol:         _ZL37rocblas_syrkx_herkx_restricted_kernelIl19rocblas_complex_numIdELi16ELi32ELi8ELi1ELi1ELb1ELc84ELc85EKS1_S1_EviT_PT9_S3_lS5_S3_lPT10_S3_li.kd
    .uniform_work_group_size: 1
    .uses_dynamic_stack: false
    .vgpr_count:     52
    .vgpr_spill_count: 0
    .wavefront_size: 64
  - .args:
      - .offset:         0
        .size:           4
        .value_kind:     by_value
      - .offset:         8
        .size:           8
        .value_kind:     by_value
      - .address_space:  global
        .offset:         16
        .size:           8
        .value_kind:     global_buffer
      - .offset:         24
        .size:           8
        .value_kind:     by_value
      - .offset:         32
        .size:           8
        .value_kind:     by_value
      - .address_space:  global
        .offset:         40
        .size:           8
        .value_kind:     global_buffer
      - .offset:         48
        .size:           8
        .value_kind:     by_value
      - .offset:         56
        .size:           8
        .value_kind:     by_value
      - .address_space:  global
        .offset:         64
        .size:           8
        .value_kind:     global_buffer
      - .offset:         72
        .size:           8
        .value_kind:     by_value
      - .offset:         80
        .size:           8
        .value_kind:     by_value
      - .offset:         88
        .size:           4
        .value_kind:     by_value
    .group_segment_fixed_size: 8192
    .kernarg_segment_align: 8
    .kernarg_segment_size: 92
    .language:       OpenCL C
    .language_version:
      - 2
      - 0
    .max_flat_workgroup_size: 256
    .name:           _ZL37rocblas_syrkx_herkx_restricted_kernelIl19rocblas_complex_numIdELi16ELi32ELi8ELi1ELi1ELb1ELc67ELc85EKS1_S1_EviT_PT9_S3_lS5_S3_lPT10_S3_li
    .private_segment_fixed_size: 0
    .sgpr_count:     32
    .sgpr_spill_count: 0
    .symbol:         _ZL37rocblas_syrkx_herkx_restricted_kernelIl19rocblas_complex_numIdELi16ELi32ELi8ELi1ELi1ELb1ELc67ELc85EKS1_S1_EviT_PT9_S3_lS5_S3_lPT10_S3_li.kd
    .uniform_work_group_size: 1
    .uses_dynamic_stack: false
    .vgpr_count:     52
    .vgpr_spill_count: 0
    .wavefront_size: 64
  - .args:
      - .offset:         0
        .size:           4
        .value_kind:     by_value
      - .offset:         8
        .size:           8
        .value_kind:     by_value
      - .address_space:  global
        .offset:         16
        .size:           8
        .value_kind:     global_buffer
      - .offset:         24
        .size:           8
        .value_kind:     by_value
      - .offset:         32
        .size:           8
        .value_kind:     by_value
      - .address_space:  global
        .offset:         40
        .size:           8
        .value_kind:     global_buffer
      - .offset:         48
        .size:           8
        .value_kind:     by_value
      - .offset:         56
        .size:           8
        .value_kind:     by_value
      - .address_space:  global
        .offset:         64
        .size:           8
        .value_kind:     global_buffer
      - .offset:         72
        .size:           8
        .value_kind:     by_value
      - .offset:         80
        .size:           8
        .value_kind:     by_value
      - .offset:         88
        .size:           4
        .value_kind:     by_value
    .group_segment_fixed_size: 8192
    .kernarg_segment_align: 8
    .kernarg_segment_size: 92
    .language:       OpenCL C
    .language_version:
      - 2
      - 0
    .max_flat_workgroup_size: 256
    .name:           _ZL37rocblas_syrkx_herkx_restricted_kernelIl19rocblas_complex_numIdELi16ELi32ELi8ELi1ELi1ELb1ELc78ELc85EKS1_S1_EviT_PT9_S3_lS5_S3_lPT10_S3_li
    .private_segment_fixed_size: 0
    .sgpr_count:     32
    .sgpr_spill_count: 0
    .symbol:         _ZL37rocblas_syrkx_herkx_restricted_kernelIl19rocblas_complex_numIdELi16ELi32ELi8ELi1ELi1ELb1ELc78ELc85EKS1_S1_EviT_PT9_S3_lS5_S3_lPT10_S3_li.kd
    .uniform_work_group_size: 1
    .uses_dynamic_stack: false
    .vgpr_count:     54
    .vgpr_spill_count: 0
    .wavefront_size: 64
  - .args:
      - .offset:         0
        .size:           4
        .value_kind:     by_value
      - .offset:         8
        .size:           8
        .value_kind:     by_value
      - .address_space:  global
        .offset:         16
        .size:           8
        .value_kind:     global_buffer
      - .offset:         24
        .size:           8
        .value_kind:     by_value
      - .offset:         32
        .size:           8
        .value_kind:     by_value
      - .address_space:  global
        .offset:         40
        .size:           8
        .value_kind:     global_buffer
      - .offset:         48
        .size:           8
        .value_kind:     by_value
      - .offset:         56
        .size:           8
        .value_kind:     by_value
      - .address_space:  global
        .offset:         64
        .size:           8
        .value_kind:     global_buffer
      - .offset:         72
        .size:           8
        .value_kind:     by_value
      - .offset:         80
        .size:           8
        .value_kind:     by_value
      - .offset:         88
        .size:           4
        .value_kind:     by_value
    .group_segment_fixed_size: 8192
    .kernarg_segment_align: 8
    .kernarg_segment_size: 92
    .language:       OpenCL C
    .language_version:
      - 2
      - 0
    .max_flat_workgroup_size: 256
    .name:           _ZL37rocblas_syrkx_herkx_restricted_kernelIl19rocblas_complex_numIdELi16ELi32ELi8ELi1ELin1ELb1ELc84ELc76EKS1_S1_EviT_PT9_S3_lS5_S3_lPT10_S3_li
    .private_segment_fixed_size: 0
    .sgpr_count:     32
    .sgpr_spill_count: 0
    .symbol:         _ZL37rocblas_syrkx_herkx_restricted_kernelIl19rocblas_complex_numIdELi16ELi32ELi8ELi1ELin1ELb1ELc84ELc76EKS1_S1_EviT_PT9_S3_lS5_S3_lPT10_S3_li.kd
    .uniform_work_group_size: 1
    .uses_dynamic_stack: false
    .vgpr_count:     52
    .vgpr_spill_count: 0
    .wavefront_size: 64
  - .args:
      - .offset:         0
        .size:           4
        .value_kind:     by_value
      - .offset:         8
        .size:           8
        .value_kind:     by_value
      - .address_space:  global
        .offset:         16
        .size:           8
        .value_kind:     global_buffer
      - .offset:         24
        .size:           8
        .value_kind:     by_value
      - .offset:         32
        .size:           8
        .value_kind:     by_value
      - .address_space:  global
        .offset:         40
        .size:           8
        .value_kind:     global_buffer
      - .offset:         48
        .size:           8
        .value_kind:     by_value
      - .offset:         56
        .size:           8
        .value_kind:     by_value
      - .address_space:  global
        .offset:         64
        .size:           8
        .value_kind:     global_buffer
      - .offset:         72
        .size:           8
        .value_kind:     by_value
      - .offset:         80
        .size:           8
        .value_kind:     by_value
      - .offset:         88
        .size:           4
        .value_kind:     by_value
    .group_segment_fixed_size: 8192
    .kernarg_segment_align: 8
    .kernarg_segment_size: 92
    .language:       OpenCL C
    .language_version:
      - 2
      - 0
    .max_flat_workgroup_size: 256
    .name:           _ZL37rocblas_syrkx_herkx_restricted_kernelIl19rocblas_complex_numIdELi16ELi32ELi8ELi1ELin1ELb1ELc67ELc76EKS1_S1_EviT_PT9_S3_lS5_S3_lPT10_S3_li
    .private_segment_fixed_size: 0
    .sgpr_count:     32
    .sgpr_spill_count: 0
    .symbol:         _ZL37rocblas_syrkx_herkx_restricted_kernelIl19rocblas_complex_numIdELi16ELi32ELi8ELi1ELin1ELb1ELc67ELc76EKS1_S1_EviT_PT9_S3_lS5_S3_lPT10_S3_li.kd
    .uniform_work_group_size: 1
    .uses_dynamic_stack: false
    .vgpr_count:     52
    .vgpr_spill_count: 0
    .wavefront_size: 64
  - .args:
      - .offset:         0
        .size:           4
        .value_kind:     by_value
      - .offset:         8
        .size:           8
        .value_kind:     by_value
      - .address_space:  global
        .offset:         16
        .size:           8
        .value_kind:     global_buffer
      - .offset:         24
        .size:           8
        .value_kind:     by_value
      - .offset:         32
        .size:           8
        .value_kind:     by_value
      - .address_space:  global
        .offset:         40
        .size:           8
        .value_kind:     global_buffer
      - .offset:         48
        .size:           8
        .value_kind:     by_value
      - .offset:         56
        .size:           8
        .value_kind:     by_value
      - .address_space:  global
        .offset:         64
        .size:           8
        .value_kind:     global_buffer
      - .offset:         72
        .size:           8
        .value_kind:     by_value
      - .offset:         80
        .size:           8
        .value_kind:     by_value
      - .offset:         88
        .size:           4
        .value_kind:     by_value
    .group_segment_fixed_size: 8192
    .kernarg_segment_align: 8
    .kernarg_segment_size: 92
    .language:       OpenCL C
    .language_version:
      - 2
      - 0
    .max_flat_workgroup_size: 256
    .name:           _ZL37rocblas_syrkx_herkx_restricted_kernelIl19rocblas_complex_numIdELi16ELi32ELi8ELi1ELin1ELb1ELc78ELc76EKS1_S1_EviT_PT9_S3_lS5_S3_lPT10_S3_li
    .private_segment_fixed_size: 0
    .sgpr_count:     32
    .sgpr_spill_count: 0
    .symbol:         _ZL37rocblas_syrkx_herkx_restricted_kernelIl19rocblas_complex_numIdELi16ELi32ELi8ELi1ELin1ELb1ELc78ELc76EKS1_S1_EviT_PT9_S3_lS5_S3_lPT10_S3_li.kd
    .uniform_work_group_size: 1
    .uses_dynamic_stack: false
    .vgpr_count:     54
    .vgpr_spill_count: 0
    .wavefront_size: 64
  - .args:
      - .offset:         0
        .size:           4
        .value_kind:     by_value
      - .offset:         8
        .size:           8
        .value_kind:     by_value
      - .address_space:  global
        .offset:         16
        .size:           8
        .value_kind:     global_buffer
      - .offset:         24
        .size:           8
        .value_kind:     by_value
      - .offset:         32
        .size:           8
        .value_kind:     by_value
      - .address_space:  global
        .offset:         40
        .size:           8
        .value_kind:     global_buffer
      - .offset:         48
        .size:           8
        .value_kind:     by_value
      - .offset:         56
        .size:           8
        .value_kind:     by_value
      - .address_space:  global
        .offset:         64
        .size:           8
        .value_kind:     global_buffer
      - .offset:         72
        .size:           8
        .value_kind:     by_value
      - .offset:         80
        .size:           8
        .value_kind:     by_value
      - .offset:         88
        .size:           4
        .value_kind:     by_value
    .group_segment_fixed_size: 8192
    .kernarg_segment_align: 8
    .kernarg_segment_size: 92
    .language:       OpenCL C
    .language_version:
      - 2
      - 0
    .max_flat_workgroup_size: 256
    .name:           _ZL37rocblas_syrkx_herkx_restricted_kernelIl19rocblas_complex_numIdELi16ELi32ELi8ELi1ELin1ELb1ELc84ELc85EKS1_S1_EviT_PT9_S3_lS5_S3_lPT10_S3_li
    .private_segment_fixed_size: 0
    .sgpr_count:     32
    .sgpr_spill_count: 0
    .symbol:         _ZL37rocblas_syrkx_herkx_restricted_kernelIl19rocblas_complex_numIdELi16ELi32ELi8ELi1ELin1ELb1ELc84ELc85EKS1_S1_EviT_PT9_S3_lS5_S3_lPT10_S3_li.kd
    .uniform_work_group_size: 1
    .uses_dynamic_stack: false
    .vgpr_count:     52
    .vgpr_spill_count: 0
    .wavefront_size: 64
  - .args:
      - .offset:         0
        .size:           4
        .value_kind:     by_value
      - .offset:         8
        .size:           8
        .value_kind:     by_value
      - .address_space:  global
        .offset:         16
        .size:           8
        .value_kind:     global_buffer
      - .offset:         24
        .size:           8
        .value_kind:     by_value
      - .offset:         32
        .size:           8
        .value_kind:     by_value
      - .address_space:  global
        .offset:         40
        .size:           8
        .value_kind:     global_buffer
      - .offset:         48
        .size:           8
        .value_kind:     by_value
      - .offset:         56
        .size:           8
        .value_kind:     by_value
      - .address_space:  global
        .offset:         64
        .size:           8
        .value_kind:     global_buffer
      - .offset:         72
        .size:           8
        .value_kind:     by_value
      - .offset:         80
        .size:           8
        .value_kind:     by_value
      - .offset:         88
        .size:           4
        .value_kind:     by_value
    .group_segment_fixed_size: 8192
    .kernarg_segment_align: 8
    .kernarg_segment_size: 92
    .language:       OpenCL C
    .language_version:
      - 2
      - 0
    .max_flat_workgroup_size: 256
    .name:           _ZL37rocblas_syrkx_herkx_restricted_kernelIl19rocblas_complex_numIdELi16ELi32ELi8ELi1ELin1ELb1ELc67ELc85EKS1_S1_EviT_PT9_S3_lS5_S3_lPT10_S3_li
    .private_segment_fixed_size: 0
    .sgpr_count:     32
    .sgpr_spill_count: 0
    .symbol:         _ZL37rocblas_syrkx_herkx_restricted_kernelIl19rocblas_complex_numIdELi16ELi32ELi8ELi1ELin1ELb1ELc67ELc85EKS1_S1_EviT_PT9_S3_lS5_S3_lPT10_S3_li.kd
    .uniform_work_group_size: 1
    .uses_dynamic_stack: false
    .vgpr_count:     52
    .vgpr_spill_count: 0
    .wavefront_size: 64
  - .args:
      - .offset:         0
        .size:           4
        .value_kind:     by_value
      - .offset:         8
        .size:           8
        .value_kind:     by_value
      - .address_space:  global
        .offset:         16
        .size:           8
        .value_kind:     global_buffer
      - .offset:         24
        .size:           8
        .value_kind:     by_value
      - .offset:         32
        .size:           8
        .value_kind:     by_value
      - .address_space:  global
        .offset:         40
        .size:           8
        .value_kind:     global_buffer
      - .offset:         48
        .size:           8
        .value_kind:     by_value
      - .offset:         56
        .size:           8
        .value_kind:     by_value
      - .address_space:  global
        .offset:         64
        .size:           8
        .value_kind:     global_buffer
      - .offset:         72
        .size:           8
        .value_kind:     by_value
      - .offset:         80
        .size:           8
        .value_kind:     by_value
      - .offset:         88
        .size:           4
        .value_kind:     by_value
    .group_segment_fixed_size: 8192
    .kernarg_segment_align: 8
    .kernarg_segment_size: 92
    .language:       OpenCL C
    .language_version:
      - 2
      - 0
    .max_flat_workgroup_size: 256
    .name:           _ZL37rocblas_syrkx_herkx_restricted_kernelIl19rocblas_complex_numIdELi16ELi32ELi8ELi1ELin1ELb1ELc78ELc85EKS1_S1_EviT_PT9_S3_lS5_S3_lPT10_S3_li
    .private_segment_fixed_size: 0
    .sgpr_count:     32
    .sgpr_spill_count: 0
    .symbol:         _ZL37rocblas_syrkx_herkx_restricted_kernelIl19rocblas_complex_numIdELi16ELi32ELi8ELi1ELin1ELb1ELc78ELc85EKS1_S1_EviT_PT9_S3_lS5_S3_lPT10_S3_li.kd
    .uniform_work_group_size: 1
    .uses_dynamic_stack: false
    .vgpr_count:     54
    .vgpr_spill_count: 0
    .wavefront_size: 64
  - .args:
      - .offset:         0
        .size:           4
        .value_kind:     by_value
      - .offset:         8
        .size:           8
        .value_kind:     by_value
      - .address_space:  global
        .offset:         16
        .size:           8
        .value_kind:     global_buffer
      - .offset:         24
        .size:           8
        .value_kind:     by_value
      - .offset:         32
        .size:           8
        .value_kind:     by_value
      - .address_space:  global
        .offset:         40
        .size:           8
        .value_kind:     global_buffer
      - .offset:         48
        .size:           8
        .value_kind:     by_value
      - .offset:         56
        .size:           8
        .value_kind:     by_value
      - .address_space:  global
        .offset:         64
        .size:           8
        .value_kind:     global_buffer
      - .offset:         72
        .size:           8
        .value_kind:     by_value
      - .offset:         80
        .size:           8
        .value_kind:     by_value
      - .offset:         88
        .size:           4
        .value_kind:     by_value
    .group_segment_fixed_size: 8192
    .kernarg_segment_align: 8
    .kernarg_segment_size: 92
    .language:       OpenCL C
    .language_version:
      - 2
      - 0
    .max_flat_workgroup_size: 256
    .name:           _ZL37rocblas_syrkx_herkx_restricted_kernelIl19rocblas_complex_numIdELi16ELi32ELi8ELi1ELi0ELb1ELc84ELc76EKS1_S1_EviT_PT9_S3_lS5_S3_lPT10_S3_li
    .private_segment_fixed_size: 0
    .sgpr_count:     32
    .sgpr_spill_count: 0
    .symbol:         _ZL37rocblas_syrkx_herkx_restricted_kernelIl19rocblas_complex_numIdELi16ELi32ELi8ELi1ELi0ELb1ELc84ELc76EKS1_S1_EviT_PT9_S3_lS5_S3_lPT10_S3_li.kd
    .uniform_work_group_size: 1
    .uses_dynamic_stack: false
    .vgpr_count:     52
    .vgpr_spill_count: 0
    .wavefront_size: 64
  - .args:
      - .offset:         0
        .size:           4
        .value_kind:     by_value
      - .offset:         8
        .size:           8
        .value_kind:     by_value
      - .address_space:  global
        .offset:         16
        .size:           8
        .value_kind:     global_buffer
      - .offset:         24
        .size:           8
        .value_kind:     by_value
      - .offset:         32
        .size:           8
        .value_kind:     by_value
      - .address_space:  global
        .offset:         40
        .size:           8
        .value_kind:     global_buffer
      - .offset:         48
        .size:           8
        .value_kind:     by_value
      - .offset:         56
        .size:           8
        .value_kind:     by_value
      - .address_space:  global
        .offset:         64
        .size:           8
        .value_kind:     global_buffer
      - .offset:         72
        .size:           8
        .value_kind:     by_value
      - .offset:         80
        .size:           8
        .value_kind:     by_value
      - .offset:         88
        .size:           4
        .value_kind:     by_value
    .group_segment_fixed_size: 8192
    .kernarg_segment_align: 8
    .kernarg_segment_size: 92
    .language:       OpenCL C
    .language_version:
      - 2
      - 0
    .max_flat_workgroup_size: 256
    .name:           _ZL37rocblas_syrkx_herkx_restricted_kernelIl19rocblas_complex_numIdELi16ELi32ELi8ELi1ELi0ELb1ELc67ELc76EKS1_S1_EviT_PT9_S3_lS5_S3_lPT10_S3_li
    .private_segment_fixed_size: 0
    .sgpr_count:     32
    .sgpr_spill_count: 0
    .symbol:         _ZL37rocblas_syrkx_herkx_restricted_kernelIl19rocblas_complex_numIdELi16ELi32ELi8ELi1ELi0ELb1ELc67ELc76EKS1_S1_EviT_PT9_S3_lS5_S3_lPT10_S3_li.kd
    .uniform_work_group_size: 1
    .uses_dynamic_stack: false
    .vgpr_count:     52
    .vgpr_spill_count: 0
    .wavefront_size: 64
  - .args:
      - .offset:         0
        .size:           4
        .value_kind:     by_value
      - .offset:         8
        .size:           8
        .value_kind:     by_value
      - .address_space:  global
        .offset:         16
        .size:           8
        .value_kind:     global_buffer
      - .offset:         24
        .size:           8
        .value_kind:     by_value
      - .offset:         32
        .size:           8
        .value_kind:     by_value
      - .address_space:  global
        .offset:         40
        .size:           8
        .value_kind:     global_buffer
      - .offset:         48
        .size:           8
        .value_kind:     by_value
      - .offset:         56
        .size:           8
        .value_kind:     by_value
      - .address_space:  global
        .offset:         64
        .size:           8
        .value_kind:     global_buffer
      - .offset:         72
        .size:           8
        .value_kind:     by_value
      - .offset:         80
        .size:           8
        .value_kind:     by_value
      - .offset:         88
        .size:           4
        .value_kind:     by_value
    .group_segment_fixed_size: 8192
    .kernarg_segment_align: 8
    .kernarg_segment_size: 92
    .language:       OpenCL C
    .language_version:
      - 2
      - 0
    .max_flat_workgroup_size: 256
    .name:           _ZL37rocblas_syrkx_herkx_restricted_kernelIl19rocblas_complex_numIdELi16ELi32ELi8ELi1ELi0ELb1ELc78ELc76EKS1_S1_EviT_PT9_S3_lS5_S3_lPT10_S3_li
    .private_segment_fixed_size: 0
    .sgpr_count:     32
    .sgpr_spill_count: 0
    .symbol:         _ZL37rocblas_syrkx_herkx_restricted_kernelIl19rocblas_complex_numIdELi16ELi32ELi8ELi1ELi0ELb1ELc78ELc76EKS1_S1_EviT_PT9_S3_lS5_S3_lPT10_S3_li.kd
    .uniform_work_group_size: 1
    .uses_dynamic_stack: false
    .vgpr_count:     54
    .vgpr_spill_count: 0
    .wavefront_size: 64
  - .args:
      - .offset:         0
        .size:           4
        .value_kind:     by_value
      - .offset:         8
        .size:           8
        .value_kind:     by_value
      - .address_space:  global
        .offset:         16
        .size:           8
        .value_kind:     global_buffer
      - .offset:         24
        .size:           8
        .value_kind:     by_value
      - .offset:         32
        .size:           8
        .value_kind:     by_value
      - .address_space:  global
        .offset:         40
        .size:           8
        .value_kind:     global_buffer
      - .offset:         48
        .size:           8
        .value_kind:     by_value
      - .offset:         56
        .size:           8
        .value_kind:     by_value
      - .address_space:  global
        .offset:         64
        .size:           8
        .value_kind:     global_buffer
      - .offset:         72
        .size:           8
        .value_kind:     by_value
      - .offset:         80
        .size:           8
        .value_kind:     by_value
      - .offset:         88
        .size:           4
        .value_kind:     by_value
    .group_segment_fixed_size: 8192
    .kernarg_segment_align: 8
    .kernarg_segment_size: 92
    .language:       OpenCL C
    .language_version:
      - 2
      - 0
    .max_flat_workgroup_size: 256
    .name:           _ZL37rocblas_syrkx_herkx_restricted_kernelIl19rocblas_complex_numIdELi16ELi32ELi8ELi1ELi0ELb1ELc84ELc85EKS1_S1_EviT_PT9_S3_lS5_S3_lPT10_S3_li
    .private_segment_fixed_size: 0
    .sgpr_count:     32
    .sgpr_spill_count: 0
    .symbol:         _ZL37rocblas_syrkx_herkx_restricted_kernelIl19rocblas_complex_numIdELi16ELi32ELi8ELi1ELi0ELb1ELc84ELc85EKS1_S1_EviT_PT9_S3_lS5_S3_lPT10_S3_li.kd
    .uniform_work_group_size: 1
    .uses_dynamic_stack: false
    .vgpr_count:     52
    .vgpr_spill_count: 0
    .wavefront_size: 64
  - .args:
      - .offset:         0
        .size:           4
        .value_kind:     by_value
      - .offset:         8
        .size:           8
        .value_kind:     by_value
      - .address_space:  global
        .offset:         16
        .size:           8
        .value_kind:     global_buffer
      - .offset:         24
        .size:           8
        .value_kind:     by_value
      - .offset:         32
        .size:           8
        .value_kind:     by_value
      - .address_space:  global
        .offset:         40
        .size:           8
        .value_kind:     global_buffer
      - .offset:         48
        .size:           8
        .value_kind:     by_value
      - .offset:         56
        .size:           8
        .value_kind:     by_value
      - .address_space:  global
        .offset:         64
        .size:           8
        .value_kind:     global_buffer
      - .offset:         72
        .size:           8
        .value_kind:     by_value
      - .offset:         80
        .size:           8
        .value_kind:     by_value
      - .offset:         88
        .size:           4
        .value_kind:     by_value
    .group_segment_fixed_size: 8192
    .kernarg_segment_align: 8
    .kernarg_segment_size: 92
    .language:       OpenCL C
    .language_version:
      - 2
      - 0
    .max_flat_workgroup_size: 256
    .name:           _ZL37rocblas_syrkx_herkx_restricted_kernelIl19rocblas_complex_numIdELi16ELi32ELi8ELi1ELi0ELb1ELc67ELc85EKS1_S1_EviT_PT9_S3_lS5_S3_lPT10_S3_li
    .private_segment_fixed_size: 0
    .sgpr_count:     32
    .sgpr_spill_count: 0
    .symbol:         _ZL37rocblas_syrkx_herkx_restricted_kernelIl19rocblas_complex_numIdELi16ELi32ELi8ELi1ELi0ELb1ELc67ELc85EKS1_S1_EviT_PT9_S3_lS5_S3_lPT10_S3_li.kd
    .uniform_work_group_size: 1
    .uses_dynamic_stack: false
    .vgpr_count:     52
    .vgpr_spill_count: 0
    .wavefront_size: 64
  - .args:
      - .offset:         0
        .size:           4
        .value_kind:     by_value
      - .offset:         8
        .size:           8
        .value_kind:     by_value
      - .address_space:  global
        .offset:         16
        .size:           8
        .value_kind:     global_buffer
      - .offset:         24
        .size:           8
        .value_kind:     by_value
      - .offset:         32
        .size:           8
        .value_kind:     by_value
      - .address_space:  global
        .offset:         40
        .size:           8
        .value_kind:     global_buffer
      - .offset:         48
        .size:           8
        .value_kind:     by_value
      - .offset:         56
        .size:           8
        .value_kind:     by_value
      - .address_space:  global
        .offset:         64
        .size:           8
        .value_kind:     global_buffer
      - .offset:         72
        .size:           8
        .value_kind:     by_value
      - .offset:         80
        .size:           8
        .value_kind:     by_value
      - .offset:         88
        .size:           4
        .value_kind:     by_value
    .group_segment_fixed_size: 8192
    .kernarg_segment_align: 8
    .kernarg_segment_size: 92
    .language:       OpenCL C
    .language_version:
      - 2
      - 0
    .max_flat_workgroup_size: 256
    .name:           _ZL37rocblas_syrkx_herkx_restricted_kernelIl19rocblas_complex_numIdELi16ELi32ELi8ELi1ELi0ELb1ELc78ELc85EKS1_S1_EviT_PT9_S3_lS5_S3_lPT10_S3_li
    .private_segment_fixed_size: 0
    .sgpr_count:     32
    .sgpr_spill_count: 0
    .symbol:         _ZL37rocblas_syrkx_herkx_restricted_kernelIl19rocblas_complex_numIdELi16ELi32ELi8ELi1ELi0ELb1ELc78ELc85EKS1_S1_EviT_PT9_S3_lS5_S3_lPT10_S3_li.kd
    .uniform_work_group_size: 1
    .uses_dynamic_stack: false
    .vgpr_count:     54
    .vgpr_spill_count: 0
    .wavefront_size: 64
  - .args:
      - .offset:         0
        .size:           4
        .value_kind:     by_value
      - .offset:         8
        .size:           8
        .value_kind:     by_value
      - .address_space:  global
        .offset:         16
        .size:           8
        .value_kind:     global_buffer
      - .offset:         24
        .size:           8
        .value_kind:     by_value
      - .offset:         32
        .size:           8
        .value_kind:     by_value
      - .address_space:  global
        .offset:         40
        .size:           8
        .value_kind:     global_buffer
      - .offset:         48
        .size:           8
        .value_kind:     by_value
      - .offset:         56
        .size:           8
        .value_kind:     by_value
      - .address_space:  global
        .offset:         64
        .size:           8
        .value_kind:     global_buffer
      - .offset:         72
        .size:           8
        .value_kind:     by_value
      - .offset:         80
        .size:           8
        .value_kind:     by_value
      - .offset:         88
        .size:           4
        .value_kind:     by_value
    .group_segment_fixed_size: 8192
    .kernarg_segment_align: 8
    .kernarg_segment_size: 92
    .language:       OpenCL C
    .language_version:
      - 2
      - 0
    .max_flat_workgroup_size: 256
    .name:           _ZL37rocblas_syrkx_herkx_restricted_kernelIl19rocblas_complex_numIdELi16ELi32ELi8ELin1ELi0ELb1ELc84ELc76EKS1_S1_EviT_PT9_S3_lS5_S3_lPT10_S3_li
    .private_segment_fixed_size: 0
    .sgpr_count:     32
    .sgpr_spill_count: 0
    .symbol:         _ZL37rocblas_syrkx_herkx_restricted_kernelIl19rocblas_complex_numIdELi16ELi32ELi8ELin1ELi0ELb1ELc84ELc76EKS1_S1_EviT_PT9_S3_lS5_S3_lPT10_S3_li.kd
    .uniform_work_group_size: 1
    .uses_dynamic_stack: false
    .vgpr_count:     52
    .vgpr_spill_count: 0
    .wavefront_size: 64
  - .args:
      - .offset:         0
        .size:           4
        .value_kind:     by_value
      - .offset:         8
        .size:           8
        .value_kind:     by_value
      - .address_space:  global
        .offset:         16
        .size:           8
        .value_kind:     global_buffer
      - .offset:         24
        .size:           8
        .value_kind:     by_value
      - .offset:         32
        .size:           8
        .value_kind:     by_value
      - .address_space:  global
        .offset:         40
        .size:           8
        .value_kind:     global_buffer
      - .offset:         48
        .size:           8
        .value_kind:     by_value
      - .offset:         56
        .size:           8
        .value_kind:     by_value
      - .address_space:  global
        .offset:         64
        .size:           8
        .value_kind:     global_buffer
      - .offset:         72
        .size:           8
        .value_kind:     by_value
      - .offset:         80
        .size:           8
        .value_kind:     by_value
      - .offset:         88
        .size:           4
        .value_kind:     by_value
    .group_segment_fixed_size: 8192
    .kernarg_segment_align: 8
    .kernarg_segment_size: 92
    .language:       OpenCL C
    .language_version:
      - 2
      - 0
    .max_flat_workgroup_size: 256
    .name:           _ZL37rocblas_syrkx_herkx_restricted_kernelIl19rocblas_complex_numIdELi16ELi32ELi8ELin1ELi0ELb1ELc67ELc76EKS1_S1_EviT_PT9_S3_lS5_S3_lPT10_S3_li
    .private_segment_fixed_size: 0
    .sgpr_count:     32
    .sgpr_spill_count: 0
    .symbol:         _ZL37rocblas_syrkx_herkx_restricted_kernelIl19rocblas_complex_numIdELi16ELi32ELi8ELin1ELi0ELb1ELc67ELc76EKS1_S1_EviT_PT9_S3_lS5_S3_lPT10_S3_li.kd
    .uniform_work_group_size: 1
    .uses_dynamic_stack: false
    .vgpr_count:     52
    .vgpr_spill_count: 0
    .wavefront_size: 64
  - .args:
      - .offset:         0
        .size:           4
        .value_kind:     by_value
      - .offset:         8
        .size:           8
        .value_kind:     by_value
      - .address_space:  global
        .offset:         16
        .size:           8
        .value_kind:     global_buffer
      - .offset:         24
        .size:           8
        .value_kind:     by_value
      - .offset:         32
        .size:           8
        .value_kind:     by_value
      - .address_space:  global
        .offset:         40
        .size:           8
        .value_kind:     global_buffer
      - .offset:         48
        .size:           8
        .value_kind:     by_value
      - .offset:         56
        .size:           8
        .value_kind:     by_value
      - .address_space:  global
        .offset:         64
        .size:           8
        .value_kind:     global_buffer
      - .offset:         72
        .size:           8
        .value_kind:     by_value
      - .offset:         80
        .size:           8
        .value_kind:     by_value
      - .offset:         88
        .size:           4
        .value_kind:     by_value
    .group_segment_fixed_size: 8192
    .kernarg_segment_align: 8
    .kernarg_segment_size: 92
    .language:       OpenCL C
    .language_version:
      - 2
      - 0
    .max_flat_workgroup_size: 256
    .name:           _ZL37rocblas_syrkx_herkx_restricted_kernelIl19rocblas_complex_numIdELi16ELi32ELi8ELin1ELi0ELb1ELc78ELc76EKS1_S1_EviT_PT9_S3_lS5_S3_lPT10_S3_li
    .private_segment_fixed_size: 0
    .sgpr_count:     32
    .sgpr_spill_count: 0
    .symbol:         _ZL37rocblas_syrkx_herkx_restricted_kernelIl19rocblas_complex_numIdELi16ELi32ELi8ELin1ELi0ELb1ELc78ELc76EKS1_S1_EviT_PT9_S3_lS5_S3_lPT10_S3_li.kd
    .uniform_work_group_size: 1
    .uses_dynamic_stack: false
    .vgpr_count:     54
    .vgpr_spill_count: 0
    .wavefront_size: 64
  - .args:
      - .offset:         0
        .size:           4
        .value_kind:     by_value
      - .offset:         8
        .size:           8
        .value_kind:     by_value
      - .address_space:  global
        .offset:         16
        .size:           8
        .value_kind:     global_buffer
      - .offset:         24
        .size:           8
        .value_kind:     by_value
      - .offset:         32
        .size:           8
        .value_kind:     by_value
      - .address_space:  global
        .offset:         40
        .size:           8
        .value_kind:     global_buffer
      - .offset:         48
        .size:           8
        .value_kind:     by_value
      - .offset:         56
        .size:           8
        .value_kind:     by_value
      - .address_space:  global
        .offset:         64
        .size:           8
        .value_kind:     global_buffer
      - .offset:         72
        .size:           8
        .value_kind:     by_value
      - .offset:         80
        .size:           8
        .value_kind:     by_value
      - .offset:         88
        .size:           4
        .value_kind:     by_value
    .group_segment_fixed_size: 8192
    .kernarg_segment_align: 8
    .kernarg_segment_size: 92
    .language:       OpenCL C
    .language_version:
      - 2
      - 0
    .max_flat_workgroup_size: 256
    .name:           _ZL37rocblas_syrkx_herkx_restricted_kernelIl19rocblas_complex_numIdELi16ELi32ELi8ELin1ELi0ELb1ELc84ELc85EKS1_S1_EviT_PT9_S3_lS5_S3_lPT10_S3_li
    .private_segment_fixed_size: 0
    .sgpr_count:     32
    .sgpr_spill_count: 0
    .symbol:         _ZL37rocblas_syrkx_herkx_restricted_kernelIl19rocblas_complex_numIdELi16ELi32ELi8ELin1ELi0ELb1ELc84ELc85EKS1_S1_EviT_PT9_S3_lS5_S3_lPT10_S3_li.kd
    .uniform_work_group_size: 1
    .uses_dynamic_stack: false
    .vgpr_count:     52
    .vgpr_spill_count: 0
    .wavefront_size: 64
  - .args:
      - .offset:         0
        .size:           4
        .value_kind:     by_value
      - .offset:         8
        .size:           8
        .value_kind:     by_value
      - .address_space:  global
        .offset:         16
        .size:           8
        .value_kind:     global_buffer
      - .offset:         24
        .size:           8
        .value_kind:     by_value
      - .offset:         32
        .size:           8
        .value_kind:     by_value
      - .address_space:  global
        .offset:         40
        .size:           8
        .value_kind:     global_buffer
      - .offset:         48
        .size:           8
        .value_kind:     by_value
      - .offset:         56
        .size:           8
        .value_kind:     by_value
      - .address_space:  global
        .offset:         64
        .size:           8
        .value_kind:     global_buffer
      - .offset:         72
        .size:           8
        .value_kind:     by_value
      - .offset:         80
        .size:           8
        .value_kind:     by_value
      - .offset:         88
        .size:           4
        .value_kind:     by_value
    .group_segment_fixed_size: 8192
    .kernarg_segment_align: 8
    .kernarg_segment_size: 92
    .language:       OpenCL C
    .language_version:
      - 2
      - 0
    .max_flat_workgroup_size: 256
    .name:           _ZL37rocblas_syrkx_herkx_restricted_kernelIl19rocblas_complex_numIdELi16ELi32ELi8ELin1ELi0ELb1ELc67ELc85EKS1_S1_EviT_PT9_S3_lS5_S3_lPT10_S3_li
    .private_segment_fixed_size: 0
    .sgpr_count:     32
    .sgpr_spill_count: 0
    .symbol:         _ZL37rocblas_syrkx_herkx_restricted_kernelIl19rocblas_complex_numIdELi16ELi32ELi8ELin1ELi0ELb1ELc67ELc85EKS1_S1_EviT_PT9_S3_lS5_S3_lPT10_S3_li.kd
    .uniform_work_group_size: 1
    .uses_dynamic_stack: false
    .vgpr_count:     52
    .vgpr_spill_count: 0
    .wavefront_size: 64
  - .args:
      - .offset:         0
        .size:           4
        .value_kind:     by_value
      - .offset:         8
        .size:           8
        .value_kind:     by_value
      - .address_space:  global
        .offset:         16
        .size:           8
        .value_kind:     global_buffer
      - .offset:         24
        .size:           8
        .value_kind:     by_value
      - .offset:         32
        .size:           8
        .value_kind:     by_value
      - .address_space:  global
        .offset:         40
        .size:           8
        .value_kind:     global_buffer
      - .offset:         48
        .size:           8
        .value_kind:     by_value
      - .offset:         56
        .size:           8
        .value_kind:     by_value
      - .address_space:  global
        .offset:         64
        .size:           8
        .value_kind:     global_buffer
      - .offset:         72
        .size:           8
        .value_kind:     by_value
      - .offset:         80
        .size:           8
        .value_kind:     by_value
      - .offset:         88
        .size:           4
        .value_kind:     by_value
    .group_segment_fixed_size: 8192
    .kernarg_segment_align: 8
    .kernarg_segment_size: 92
    .language:       OpenCL C
    .language_version:
      - 2
      - 0
    .max_flat_workgroup_size: 256
    .name:           _ZL37rocblas_syrkx_herkx_restricted_kernelIl19rocblas_complex_numIdELi16ELi32ELi8ELin1ELi0ELb1ELc78ELc85EKS1_S1_EviT_PT9_S3_lS5_S3_lPT10_S3_li
    .private_segment_fixed_size: 0
    .sgpr_count:     32
    .sgpr_spill_count: 0
    .symbol:         _ZL37rocblas_syrkx_herkx_restricted_kernelIl19rocblas_complex_numIdELi16ELi32ELi8ELin1ELi0ELb1ELc78ELc85EKS1_S1_EviT_PT9_S3_lS5_S3_lPT10_S3_li.kd
    .uniform_work_group_size: 1
    .uses_dynamic_stack: false
    .vgpr_count:     54
    .vgpr_spill_count: 0
    .wavefront_size: 64
  - .args:
      - .offset:         0
        .size:           4
        .value_kind:     by_value
      - .offset:         8
        .size:           8
        .value_kind:     by_value
      - .offset:         16
        .size:           16
        .value_kind:     by_value
      - .address_space:  global
        .offset:         32
        .size:           8
        .value_kind:     global_buffer
      - .offset:         40
        .size:           8
        .value_kind:     by_value
      - .offset:         48
        .size:           8
        .value_kind:     by_value
      - .address_space:  global
        .offset:         56
        .size:           8
        .value_kind:     global_buffer
      - .offset:         64
        .size:           8
        .value_kind:     by_value
      - .offset:         72
        .size:           8
        .value_kind:     by_value
      - .offset:         80
        .size:           16
        .value_kind:     by_value
      - .address_space:  global
        .offset:         96
        .size:           8
        .value_kind:     global_buffer
      - .offset:         104
        .size:           8
        .value_kind:     by_value
      - .offset:         112
        .size:           8
        .value_kind:     by_value
      - .offset:         120
        .size:           4
        .value_kind:     by_value
    .group_segment_fixed_size: 8192
    .kernarg_segment_align: 8
    .kernarg_segment_size: 124
    .language:       OpenCL C
    .language_version:
      - 2
      - 0
    .max_flat_workgroup_size: 256
    .name:           _ZL37rocblas_syrkx_herkx_restricted_kernelIl19rocblas_complex_numIdELi16ELi32ELi8ELb1ELb1ELc84ELc76EKS1_S1_EviT_T0_PT8_S3_lS6_S3_lS4_PT9_S3_li
    .private_segment_fixed_size: 0
    .sgpr_count:     32
    .sgpr_spill_count: 0
    .symbol:         _ZL37rocblas_syrkx_herkx_restricted_kernelIl19rocblas_complex_numIdELi16ELi32ELi8ELb1ELb1ELc84ELc76EKS1_S1_EviT_T0_PT8_S3_lS6_S3_lS4_PT9_S3_li.kd
    .uniform_work_group_size: 1
    .uses_dynamic_stack: false
    .vgpr_count:     52
    .vgpr_spill_count: 0
    .wavefront_size: 64
  - .args:
      - .offset:         0
        .size:           4
        .value_kind:     by_value
      - .offset:         8
        .size:           8
        .value_kind:     by_value
      - .offset:         16
        .size:           16
        .value_kind:     by_value
      - .address_space:  global
        .offset:         32
        .size:           8
        .value_kind:     global_buffer
      - .offset:         40
        .size:           8
        .value_kind:     by_value
      - .offset:         48
        .size:           8
        .value_kind:     by_value
      - .address_space:  global
        .offset:         56
        .size:           8
        .value_kind:     global_buffer
      - .offset:         64
        .size:           8
        .value_kind:     by_value
      - .offset:         72
        .size:           8
        .value_kind:     by_value
      - .offset:         80
        .size:           16
        .value_kind:     by_value
      - .address_space:  global
        .offset:         96
        .size:           8
        .value_kind:     global_buffer
      - .offset:         104
        .size:           8
        .value_kind:     by_value
      - .offset:         112
        .size:           8
        .value_kind:     by_value
      - .offset:         120
        .size:           4
        .value_kind:     by_value
    .group_segment_fixed_size: 8192
    .kernarg_segment_align: 8
    .kernarg_segment_size: 124
    .language:       OpenCL C
    .language_version:
      - 2
      - 0
    .max_flat_workgroup_size: 256
    .name:           _ZL37rocblas_syrkx_herkx_restricted_kernelIl19rocblas_complex_numIdELi16ELi32ELi8ELb1ELb1ELc67ELc76EKS1_S1_EviT_T0_PT8_S3_lS6_S3_lS4_PT9_S3_li
    .private_segment_fixed_size: 0
    .sgpr_count:     32
    .sgpr_spill_count: 0
    .symbol:         _ZL37rocblas_syrkx_herkx_restricted_kernelIl19rocblas_complex_numIdELi16ELi32ELi8ELb1ELb1ELc67ELc76EKS1_S1_EviT_T0_PT8_S3_lS6_S3_lS4_PT9_S3_li.kd
    .uniform_work_group_size: 1
    .uses_dynamic_stack: false
    .vgpr_count:     52
    .vgpr_spill_count: 0
    .wavefront_size: 64
  - .args:
      - .offset:         0
        .size:           4
        .value_kind:     by_value
      - .offset:         8
        .size:           8
        .value_kind:     by_value
      - .offset:         16
        .size:           16
        .value_kind:     by_value
      - .address_space:  global
        .offset:         32
        .size:           8
        .value_kind:     global_buffer
      - .offset:         40
        .size:           8
        .value_kind:     by_value
      - .offset:         48
        .size:           8
        .value_kind:     by_value
      - .address_space:  global
        .offset:         56
        .size:           8
        .value_kind:     global_buffer
      - .offset:         64
        .size:           8
        .value_kind:     by_value
      - .offset:         72
        .size:           8
        .value_kind:     by_value
      - .offset:         80
        .size:           16
        .value_kind:     by_value
      - .address_space:  global
        .offset:         96
        .size:           8
        .value_kind:     global_buffer
      - .offset:         104
        .size:           8
        .value_kind:     by_value
      - .offset:         112
        .size:           8
        .value_kind:     by_value
      - .offset:         120
        .size:           4
        .value_kind:     by_value
    .group_segment_fixed_size: 8192
    .kernarg_segment_align: 8
    .kernarg_segment_size: 124
    .language:       OpenCL C
    .language_version:
      - 2
      - 0
    .max_flat_workgroup_size: 256
    .name:           _ZL37rocblas_syrkx_herkx_restricted_kernelIl19rocblas_complex_numIdELi16ELi32ELi8ELb1ELb1ELc78ELc76EKS1_S1_EviT_T0_PT8_S3_lS6_S3_lS4_PT9_S3_li
    .private_segment_fixed_size: 0
    .sgpr_count:     32
    .sgpr_spill_count: 0
    .symbol:         _ZL37rocblas_syrkx_herkx_restricted_kernelIl19rocblas_complex_numIdELi16ELi32ELi8ELb1ELb1ELc78ELc76EKS1_S1_EviT_T0_PT8_S3_lS6_S3_lS4_PT9_S3_li.kd
    .uniform_work_group_size: 1
    .uses_dynamic_stack: false
    .vgpr_count:     54
    .vgpr_spill_count: 0
    .wavefront_size: 64
  - .args:
      - .offset:         0
        .size:           4
        .value_kind:     by_value
      - .offset:         8
        .size:           8
        .value_kind:     by_value
      - .offset:         16
        .size:           16
        .value_kind:     by_value
      - .address_space:  global
        .offset:         32
        .size:           8
        .value_kind:     global_buffer
      - .offset:         40
        .size:           8
        .value_kind:     by_value
      - .offset:         48
        .size:           8
        .value_kind:     by_value
      - .address_space:  global
        .offset:         56
        .size:           8
        .value_kind:     global_buffer
      - .offset:         64
        .size:           8
        .value_kind:     by_value
      - .offset:         72
        .size:           8
        .value_kind:     by_value
      - .offset:         80
        .size:           16
        .value_kind:     by_value
      - .address_space:  global
        .offset:         96
        .size:           8
        .value_kind:     global_buffer
      - .offset:         104
        .size:           8
        .value_kind:     by_value
      - .offset:         112
        .size:           8
        .value_kind:     by_value
      - .offset:         120
        .size:           4
        .value_kind:     by_value
    .group_segment_fixed_size: 8192
    .kernarg_segment_align: 8
    .kernarg_segment_size: 124
    .language:       OpenCL C
    .language_version:
      - 2
      - 0
    .max_flat_workgroup_size: 256
    .name:           _ZL37rocblas_syrkx_herkx_restricted_kernelIl19rocblas_complex_numIdELi16ELi32ELi8ELb1ELb1ELc84ELc85EKS1_S1_EviT_T0_PT8_S3_lS6_S3_lS4_PT9_S3_li
    .private_segment_fixed_size: 0
    .sgpr_count:     32
    .sgpr_spill_count: 0
    .symbol:         _ZL37rocblas_syrkx_herkx_restricted_kernelIl19rocblas_complex_numIdELi16ELi32ELi8ELb1ELb1ELc84ELc85EKS1_S1_EviT_T0_PT8_S3_lS6_S3_lS4_PT9_S3_li.kd
    .uniform_work_group_size: 1
    .uses_dynamic_stack: false
    .vgpr_count:     52
    .vgpr_spill_count: 0
    .wavefront_size: 64
  - .args:
      - .offset:         0
        .size:           4
        .value_kind:     by_value
      - .offset:         8
        .size:           8
        .value_kind:     by_value
      - .offset:         16
        .size:           16
        .value_kind:     by_value
      - .address_space:  global
        .offset:         32
        .size:           8
        .value_kind:     global_buffer
      - .offset:         40
        .size:           8
        .value_kind:     by_value
      - .offset:         48
        .size:           8
        .value_kind:     by_value
      - .address_space:  global
        .offset:         56
        .size:           8
        .value_kind:     global_buffer
      - .offset:         64
        .size:           8
        .value_kind:     by_value
      - .offset:         72
        .size:           8
        .value_kind:     by_value
      - .offset:         80
        .size:           16
        .value_kind:     by_value
      - .address_space:  global
        .offset:         96
        .size:           8
        .value_kind:     global_buffer
      - .offset:         104
        .size:           8
        .value_kind:     by_value
      - .offset:         112
        .size:           8
        .value_kind:     by_value
      - .offset:         120
        .size:           4
        .value_kind:     by_value
    .group_segment_fixed_size: 8192
    .kernarg_segment_align: 8
    .kernarg_segment_size: 124
    .language:       OpenCL C
    .language_version:
      - 2
      - 0
    .max_flat_workgroup_size: 256
    .name:           _ZL37rocblas_syrkx_herkx_restricted_kernelIl19rocblas_complex_numIdELi16ELi32ELi8ELb1ELb1ELc67ELc85EKS1_S1_EviT_T0_PT8_S3_lS6_S3_lS4_PT9_S3_li
    .private_segment_fixed_size: 0
    .sgpr_count:     32
    .sgpr_spill_count: 0
    .symbol:         _ZL37rocblas_syrkx_herkx_restricted_kernelIl19rocblas_complex_numIdELi16ELi32ELi8ELb1ELb1ELc67ELc85EKS1_S1_EviT_T0_PT8_S3_lS6_S3_lS4_PT9_S3_li.kd
    .uniform_work_group_size: 1
    .uses_dynamic_stack: false
    .vgpr_count:     52
    .vgpr_spill_count: 0
    .wavefront_size: 64
  - .args:
      - .offset:         0
        .size:           4
        .value_kind:     by_value
      - .offset:         8
        .size:           8
        .value_kind:     by_value
      - .offset:         16
        .size:           16
        .value_kind:     by_value
      - .address_space:  global
        .offset:         32
        .size:           8
        .value_kind:     global_buffer
      - .offset:         40
        .size:           8
        .value_kind:     by_value
      - .offset:         48
        .size:           8
        .value_kind:     by_value
      - .address_space:  global
        .offset:         56
        .size:           8
        .value_kind:     global_buffer
      - .offset:         64
        .size:           8
        .value_kind:     by_value
      - .offset:         72
        .size:           8
        .value_kind:     by_value
      - .offset:         80
        .size:           16
        .value_kind:     by_value
      - .address_space:  global
        .offset:         96
        .size:           8
        .value_kind:     global_buffer
      - .offset:         104
        .size:           8
        .value_kind:     by_value
      - .offset:         112
        .size:           8
        .value_kind:     by_value
      - .offset:         120
        .size:           4
        .value_kind:     by_value
    .group_segment_fixed_size: 8192
    .kernarg_segment_align: 8
    .kernarg_segment_size: 124
    .language:       OpenCL C
    .language_version:
      - 2
      - 0
    .max_flat_workgroup_size: 256
    .name:           _ZL37rocblas_syrkx_herkx_restricted_kernelIl19rocblas_complex_numIdELi16ELi32ELi8ELb1ELb1ELc78ELc85EKS1_S1_EviT_T0_PT8_S3_lS6_S3_lS4_PT9_S3_li
    .private_segment_fixed_size: 0
    .sgpr_count:     32
    .sgpr_spill_count: 0
    .symbol:         _ZL37rocblas_syrkx_herkx_restricted_kernelIl19rocblas_complex_numIdELi16ELi32ELi8ELb1ELb1ELc78ELc85EKS1_S1_EviT_T0_PT8_S3_lS6_S3_lS4_PT9_S3_li.kd
    .uniform_work_group_size: 1
    .uses_dynamic_stack: false
    .vgpr_count:     54
    .vgpr_spill_count: 0
    .wavefront_size: 64
  - .args:
      - .offset:         0
        .size:           4
        .value_kind:     by_value
      - .offset:         8
        .size:           8
        .value_kind:     by_value
      - .offset:         16
        .size:           16
        .value_kind:     by_value
      - .address_space:  global
        .offset:         32
        .size:           8
        .value_kind:     global_buffer
      - .offset:         40
        .size:           8
        .value_kind:     by_value
      - .offset:         48
        .size:           8
        .value_kind:     by_value
      - .address_space:  global
        .offset:         56
        .size:           8
        .value_kind:     global_buffer
      - .offset:         64
        .size:           8
        .value_kind:     by_value
      - .offset:         72
        .size:           8
        .value_kind:     by_value
      - .offset:         80
        .size:           16
        .value_kind:     by_value
      - .address_space:  global
        .offset:         96
        .size:           8
        .value_kind:     global_buffer
      - .offset:         104
        .size:           8
        .value_kind:     by_value
      - .offset:         112
        .size:           8
        .value_kind:     by_value
      - .offset:         120
        .size:           4
        .value_kind:     by_value
    .group_segment_fixed_size: 8192
    .kernarg_segment_align: 8
    .kernarg_segment_size: 124
    .language:       OpenCL C
    .language_version:
      - 2
      - 0
    .max_flat_workgroup_size: 256
    .name:           _ZL37rocblas_syrkx_herkx_restricted_kernelIl19rocblas_complex_numIdELi16ELi32ELi8ELb0ELb1ELc84ELc76EKS1_S1_EviT_T0_PT8_S3_lS6_S3_lS4_PT9_S3_li
    .private_segment_fixed_size: 0
    .sgpr_count:     48
    .sgpr_spill_count: 0
    .symbol:         _ZL37rocblas_syrkx_herkx_restricted_kernelIl19rocblas_complex_numIdELi16ELi32ELi8ELb0ELb1ELc84ELc76EKS1_S1_EviT_T0_PT8_S3_lS6_S3_lS4_PT9_S3_li.kd
    .uniform_work_group_size: 1
    .uses_dynamic_stack: false
    .vgpr_count:     52
    .vgpr_spill_count: 0
    .wavefront_size: 64
  - .args:
      - .offset:         0
        .size:           4
        .value_kind:     by_value
      - .offset:         8
        .size:           8
        .value_kind:     by_value
      - .offset:         16
        .size:           16
        .value_kind:     by_value
      - .address_space:  global
        .offset:         32
        .size:           8
        .value_kind:     global_buffer
      - .offset:         40
        .size:           8
        .value_kind:     by_value
      - .offset:         48
        .size:           8
        .value_kind:     by_value
      - .address_space:  global
        .offset:         56
        .size:           8
        .value_kind:     global_buffer
      - .offset:         64
        .size:           8
        .value_kind:     by_value
      - .offset:         72
        .size:           8
        .value_kind:     by_value
      - .offset:         80
        .size:           16
        .value_kind:     by_value
      - .address_space:  global
        .offset:         96
        .size:           8
        .value_kind:     global_buffer
      - .offset:         104
        .size:           8
        .value_kind:     by_value
      - .offset:         112
        .size:           8
        .value_kind:     by_value
      - .offset:         120
        .size:           4
        .value_kind:     by_value
    .group_segment_fixed_size: 8192
    .kernarg_segment_align: 8
    .kernarg_segment_size: 124
    .language:       OpenCL C
    .language_version:
      - 2
      - 0
    .max_flat_workgroup_size: 256
    .name:           _ZL37rocblas_syrkx_herkx_restricted_kernelIl19rocblas_complex_numIdELi16ELi32ELi8ELb0ELb1ELc67ELc76EKS1_S1_EviT_T0_PT8_S3_lS6_S3_lS4_PT9_S3_li
    .private_segment_fixed_size: 0
    .sgpr_count:     48
    .sgpr_spill_count: 0
    .symbol:         _ZL37rocblas_syrkx_herkx_restricted_kernelIl19rocblas_complex_numIdELi16ELi32ELi8ELb0ELb1ELc67ELc76EKS1_S1_EviT_T0_PT8_S3_lS6_S3_lS4_PT9_S3_li.kd
    .uniform_work_group_size: 1
    .uses_dynamic_stack: false
    .vgpr_count:     52
    .vgpr_spill_count: 0
    .wavefront_size: 64
  - .args:
      - .offset:         0
        .size:           4
        .value_kind:     by_value
      - .offset:         8
        .size:           8
        .value_kind:     by_value
      - .offset:         16
        .size:           16
        .value_kind:     by_value
      - .address_space:  global
        .offset:         32
        .size:           8
        .value_kind:     global_buffer
      - .offset:         40
        .size:           8
        .value_kind:     by_value
      - .offset:         48
        .size:           8
        .value_kind:     by_value
      - .address_space:  global
        .offset:         56
        .size:           8
        .value_kind:     global_buffer
      - .offset:         64
        .size:           8
        .value_kind:     by_value
      - .offset:         72
        .size:           8
        .value_kind:     by_value
      - .offset:         80
        .size:           16
        .value_kind:     by_value
      - .address_space:  global
        .offset:         96
        .size:           8
        .value_kind:     global_buffer
      - .offset:         104
        .size:           8
        .value_kind:     by_value
      - .offset:         112
        .size:           8
        .value_kind:     by_value
      - .offset:         120
        .size:           4
        .value_kind:     by_value
    .group_segment_fixed_size: 8192
    .kernarg_segment_align: 8
    .kernarg_segment_size: 124
    .language:       OpenCL C
    .language_version:
      - 2
      - 0
    .max_flat_workgroup_size: 256
    .name:           _ZL37rocblas_syrkx_herkx_restricted_kernelIl19rocblas_complex_numIdELi16ELi32ELi8ELb0ELb1ELc78ELc76EKS1_S1_EviT_T0_PT8_S3_lS6_S3_lS4_PT9_S3_li
    .private_segment_fixed_size: 0
    .sgpr_count:     48
    .sgpr_spill_count: 0
    .symbol:         _ZL37rocblas_syrkx_herkx_restricted_kernelIl19rocblas_complex_numIdELi16ELi32ELi8ELb0ELb1ELc78ELc76EKS1_S1_EviT_T0_PT8_S3_lS6_S3_lS4_PT9_S3_li.kd
    .uniform_work_group_size: 1
    .uses_dynamic_stack: false
    .vgpr_count:     54
    .vgpr_spill_count: 0
    .wavefront_size: 64
  - .args:
      - .offset:         0
        .size:           4
        .value_kind:     by_value
      - .offset:         8
        .size:           8
        .value_kind:     by_value
      - .offset:         16
        .size:           16
        .value_kind:     by_value
      - .address_space:  global
        .offset:         32
        .size:           8
        .value_kind:     global_buffer
      - .offset:         40
        .size:           8
        .value_kind:     by_value
      - .offset:         48
        .size:           8
        .value_kind:     by_value
      - .address_space:  global
        .offset:         56
        .size:           8
        .value_kind:     global_buffer
      - .offset:         64
        .size:           8
        .value_kind:     by_value
      - .offset:         72
        .size:           8
        .value_kind:     by_value
      - .offset:         80
        .size:           16
        .value_kind:     by_value
      - .address_space:  global
        .offset:         96
        .size:           8
        .value_kind:     global_buffer
      - .offset:         104
        .size:           8
        .value_kind:     by_value
      - .offset:         112
        .size:           8
        .value_kind:     by_value
      - .offset:         120
        .size:           4
        .value_kind:     by_value
    .group_segment_fixed_size: 8192
    .kernarg_segment_align: 8
    .kernarg_segment_size: 124
    .language:       OpenCL C
    .language_version:
      - 2
      - 0
    .max_flat_workgroup_size: 256
    .name:           _ZL37rocblas_syrkx_herkx_restricted_kernelIl19rocblas_complex_numIdELi16ELi32ELi8ELb0ELb1ELc84ELc85EKS1_S1_EviT_T0_PT8_S3_lS6_S3_lS4_PT9_S3_li
    .private_segment_fixed_size: 0
    .sgpr_count:     48
    .sgpr_spill_count: 0
    .symbol:         _ZL37rocblas_syrkx_herkx_restricted_kernelIl19rocblas_complex_numIdELi16ELi32ELi8ELb0ELb1ELc84ELc85EKS1_S1_EviT_T0_PT8_S3_lS6_S3_lS4_PT9_S3_li.kd
    .uniform_work_group_size: 1
    .uses_dynamic_stack: false
    .vgpr_count:     52
    .vgpr_spill_count: 0
    .wavefront_size: 64
  - .args:
      - .offset:         0
        .size:           4
        .value_kind:     by_value
      - .offset:         8
        .size:           8
        .value_kind:     by_value
      - .offset:         16
        .size:           16
        .value_kind:     by_value
      - .address_space:  global
        .offset:         32
        .size:           8
        .value_kind:     global_buffer
      - .offset:         40
        .size:           8
        .value_kind:     by_value
      - .offset:         48
        .size:           8
        .value_kind:     by_value
      - .address_space:  global
        .offset:         56
        .size:           8
        .value_kind:     global_buffer
      - .offset:         64
        .size:           8
        .value_kind:     by_value
      - .offset:         72
        .size:           8
        .value_kind:     by_value
      - .offset:         80
        .size:           16
        .value_kind:     by_value
      - .address_space:  global
        .offset:         96
        .size:           8
        .value_kind:     global_buffer
      - .offset:         104
        .size:           8
        .value_kind:     by_value
      - .offset:         112
        .size:           8
        .value_kind:     by_value
      - .offset:         120
        .size:           4
        .value_kind:     by_value
    .group_segment_fixed_size: 8192
    .kernarg_segment_align: 8
    .kernarg_segment_size: 124
    .language:       OpenCL C
    .language_version:
      - 2
      - 0
    .max_flat_workgroup_size: 256
    .name:           _ZL37rocblas_syrkx_herkx_restricted_kernelIl19rocblas_complex_numIdELi16ELi32ELi8ELb0ELb1ELc67ELc85EKS1_S1_EviT_T0_PT8_S3_lS6_S3_lS4_PT9_S3_li
    .private_segment_fixed_size: 0
    .sgpr_count:     48
    .sgpr_spill_count: 0
    .symbol:         _ZL37rocblas_syrkx_herkx_restricted_kernelIl19rocblas_complex_numIdELi16ELi32ELi8ELb0ELb1ELc67ELc85EKS1_S1_EviT_T0_PT8_S3_lS6_S3_lS4_PT9_S3_li.kd
    .uniform_work_group_size: 1
    .uses_dynamic_stack: false
    .vgpr_count:     52
    .vgpr_spill_count: 0
    .wavefront_size: 64
  - .args:
      - .offset:         0
        .size:           4
        .value_kind:     by_value
      - .offset:         8
        .size:           8
        .value_kind:     by_value
      - .offset:         16
        .size:           16
        .value_kind:     by_value
      - .address_space:  global
        .offset:         32
        .size:           8
        .value_kind:     global_buffer
      - .offset:         40
        .size:           8
        .value_kind:     by_value
      - .offset:         48
        .size:           8
        .value_kind:     by_value
      - .address_space:  global
        .offset:         56
        .size:           8
        .value_kind:     global_buffer
      - .offset:         64
        .size:           8
        .value_kind:     by_value
      - .offset:         72
        .size:           8
        .value_kind:     by_value
      - .offset:         80
        .size:           16
        .value_kind:     by_value
      - .address_space:  global
        .offset:         96
        .size:           8
        .value_kind:     global_buffer
      - .offset:         104
        .size:           8
        .value_kind:     by_value
      - .offset:         112
        .size:           8
        .value_kind:     by_value
      - .offset:         120
        .size:           4
        .value_kind:     by_value
    .group_segment_fixed_size: 8192
    .kernarg_segment_align: 8
    .kernarg_segment_size: 124
    .language:       OpenCL C
    .language_version:
      - 2
      - 0
    .max_flat_workgroup_size: 256
    .name:           _ZL37rocblas_syrkx_herkx_restricted_kernelIl19rocblas_complex_numIdELi16ELi32ELi8ELb0ELb1ELc78ELc85EKS1_S1_EviT_T0_PT8_S3_lS6_S3_lS4_PT9_S3_li
    .private_segment_fixed_size: 0
    .sgpr_count:     48
    .sgpr_spill_count: 0
    .symbol:         _ZL37rocblas_syrkx_herkx_restricted_kernelIl19rocblas_complex_numIdELi16ELi32ELi8ELb0ELb1ELc78ELc85EKS1_S1_EviT_T0_PT8_S3_lS6_S3_lS4_PT9_S3_li.kd
    .uniform_work_group_size: 1
    .uses_dynamic_stack: false
    .vgpr_count:     54
    .vgpr_spill_count: 0
    .wavefront_size: 64
  - .args:
      - .offset:         0
        .size:           4
        .value_kind:     by_value
      - .offset:         8
        .size:           8
        .value_kind:     by_value
      - .offset:         16
        .size:           16
        .value_kind:     by_value
      - .address_space:  global
        .offset:         32
        .size:           8
        .value_kind:     global_buffer
      - .offset:         40
        .size:           8
        .value_kind:     by_value
      - .offset:         48
        .size:           8
        .value_kind:     by_value
      - .address_space:  global
        .offset:         56
        .size:           8
        .value_kind:     global_buffer
      - .offset:         64
        .size:           8
        .value_kind:     by_value
      - .offset:         72
        .size:           8
        .value_kind:     by_value
      - .offset:         80
        .size:           16
        .value_kind:     by_value
      - .address_space:  global
        .offset:         96
        .size:           8
        .value_kind:     global_buffer
      - .offset:         104
        .size:           8
        .value_kind:     by_value
      - .offset:         112
        .size:           8
        .value_kind:     by_value
      - .offset:         120
        .size:           4
        .value_kind:     by_value
    .group_segment_fixed_size: 8192
    .kernarg_segment_align: 8
    .kernarg_segment_size: 124
    .language:       OpenCL C
    .language_version:
      - 2
      - 0
    .max_flat_workgroup_size: 256
    .name:           _ZL41rocblas_syrkx_herkx_small_restrict_kernelIl19rocblas_complex_numIdELi16ELb1ELb1ELc84ELc76EKS1_S1_EviT_T0_PT6_S3_lS6_S3_lS4_PT7_S3_li
    .private_segment_fixed_size: 0
    .sgpr_count:     32
    .sgpr_spill_count: 0
    .symbol:         _ZL41rocblas_syrkx_herkx_small_restrict_kernelIl19rocblas_complex_numIdELi16ELb1ELb1ELc84ELc76EKS1_S1_EviT_T0_PT6_S3_lS6_S3_lS4_PT7_S3_li.kd
    .uniform_work_group_size: 1
    .uses_dynamic_stack: false
    .vgpr_count:     40
    .vgpr_spill_count: 0
    .wavefront_size: 64
  - .args:
      - .offset:         0
        .size:           4
        .value_kind:     by_value
      - .offset:         8
        .size:           8
        .value_kind:     by_value
      - .offset:         16
        .size:           16
        .value_kind:     by_value
      - .address_space:  global
        .offset:         32
        .size:           8
        .value_kind:     global_buffer
      - .offset:         40
        .size:           8
        .value_kind:     by_value
      - .offset:         48
        .size:           8
        .value_kind:     by_value
      - .address_space:  global
        .offset:         56
        .size:           8
        .value_kind:     global_buffer
      - .offset:         64
        .size:           8
        .value_kind:     by_value
      - .offset:         72
        .size:           8
        .value_kind:     by_value
      - .offset:         80
        .size:           16
        .value_kind:     by_value
      - .address_space:  global
        .offset:         96
        .size:           8
        .value_kind:     global_buffer
      - .offset:         104
        .size:           8
        .value_kind:     by_value
      - .offset:         112
        .size:           8
        .value_kind:     by_value
      - .offset:         120
        .size:           4
        .value_kind:     by_value
    .group_segment_fixed_size: 8192
    .kernarg_segment_align: 8
    .kernarg_segment_size: 124
    .language:       OpenCL C
    .language_version:
      - 2
      - 0
    .max_flat_workgroup_size: 256
    .name:           _ZL41rocblas_syrkx_herkx_small_restrict_kernelIl19rocblas_complex_numIdELi16ELb1ELb1ELc67ELc76EKS1_S1_EviT_T0_PT6_S3_lS6_S3_lS4_PT7_S3_li
    .private_segment_fixed_size: 0
    .sgpr_count:     32
    .sgpr_spill_count: 0
    .symbol:         _ZL41rocblas_syrkx_herkx_small_restrict_kernelIl19rocblas_complex_numIdELi16ELb1ELb1ELc67ELc76EKS1_S1_EviT_T0_PT6_S3_lS6_S3_lS4_PT7_S3_li.kd
    .uniform_work_group_size: 1
    .uses_dynamic_stack: false
    .vgpr_count:     40
    .vgpr_spill_count: 0
    .wavefront_size: 64
  - .args:
      - .offset:         0
        .size:           4
        .value_kind:     by_value
      - .offset:         8
        .size:           8
        .value_kind:     by_value
      - .offset:         16
        .size:           16
        .value_kind:     by_value
      - .address_space:  global
        .offset:         32
        .size:           8
        .value_kind:     global_buffer
      - .offset:         40
        .size:           8
        .value_kind:     by_value
      - .offset:         48
        .size:           8
        .value_kind:     by_value
      - .address_space:  global
        .offset:         56
        .size:           8
        .value_kind:     global_buffer
      - .offset:         64
        .size:           8
        .value_kind:     by_value
      - .offset:         72
        .size:           8
        .value_kind:     by_value
      - .offset:         80
        .size:           16
        .value_kind:     by_value
      - .address_space:  global
        .offset:         96
        .size:           8
        .value_kind:     global_buffer
      - .offset:         104
        .size:           8
        .value_kind:     by_value
      - .offset:         112
        .size:           8
        .value_kind:     by_value
      - .offset:         120
        .size:           4
        .value_kind:     by_value
    .group_segment_fixed_size: 8192
    .kernarg_segment_align: 8
    .kernarg_segment_size: 124
    .language:       OpenCL C
    .language_version:
      - 2
      - 0
    .max_flat_workgroup_size: 256
    .name:           _ZL41rocblas_syrkx_herkx_small_restrict_kernelIl19rocblas_complex_numIdELi16ELb1ELb1ELc78ELc76EKS1_S1_EviT_T0_PT6_S3_lS6_S3_lS4_PT7_S3_li
    .private_segment_fixed_size: 0
    .sgpr_count:     32
    .sgpr_spill_count: 0
    .symbol:         _ZL41rocblas_syrkx_herkx_small_restrict_kernelIl19rocblas_complex_numIdELi16ELb1ELb1ELc78ELc76EKS1_S1_EviT_T0_PT6_S3_lS6_S3_lS4_PT7_S3_li.kd
    .uniform_work_group_size: 1
    .uses_dynamic_stack: false
    .vgpr_count:     42
    .vgpr_spill_count: 0
    .wavefront_size: 64
  - .args:
      - .offset:         0
        .size:           4
        .value_kind:     by_value
      - .offset:         8
        .size:           8
        .value_kind:     by_value
      - .offset:         16
        .size:           16
        .value_kind:     by_value
      - .address_space:  global
        .offset:         32
        .size:           8
        .value_kind:     global_buffer
      - .offset:         40
        .size:           8
        .value_kind:     by_value
      - .offset:         48
        .size:           8
        .value_kind:     by_value
      - .address_space:  global
        .offset:         56
        .size:           8
        .value_kind:     global_buffer
      - .offset:         64
        .size:           8
        .value_kind:     by_value
      - .offset:         72
        .size:           8
        .value_kind:     by_value
      - .offset:         80
        .size:           16
        .value_kind:     by_value
      - .address_space:  global
        .offset:         96
        .size:           8
        .value_kind:     global_buffer
      - .offset:         104
        .size:           8
        .value_kind:     by_value
      - .offset:         112
        .size:           8
        .value_kind:     by_value
      - .offset:         120
        .size:           4
        .value_kind:     by_value
    .group_segment_fixed_size: 8192
    .kernarg_segment_align: 8
    .kernarg_segment_size: 124
    .language:       OpenCL C
    .language_version:
      - 2
      - 0
    .max_flat_workgroup_size: 256
    .name:           _ZL41rocblas_syrkx_herkx_small_restrict_kernelIl19rocblas_complex_numIdELi16ELb1ELb1ELc84ELc85EKS1_S1_EviT_T0_PT6_S3_lS6_S3_lS4_PT7_S3_li
    .private_segment_fixed_size: 0
    .sgpr_count:     32
    .sgpr_spill_count: 0
    .symbol:         _ZL41rocblas_syrkx_herkx_small_restrict_kernelIl19rocblas_complex_numIdELi16ELb1ELb1ELc84ELc85EKS1_S1_EviT_T0_PT6_S3_lS6_S3_lS4_PT7_S3_li.kd
    .uniform_work_group_size: 1
    .uses_dynamic_stack: false
    .vgpr_count:     40
    .vgpr_spill_count: 0
    .wavefront_size: 64
  - .args:
      - .offset:         0
        .size:           4
        .value_kind:     by_value
      - .offset:         8
        .size:           8
        .value_kind:     by_value
      - .offset:         16
        .size:           16
        .value_kind:     by_value
      - .address_space:  global
        .offset:         32
        .size:           8
        .value_kind:     global_buffer
      - .offset:         40
        .size:           8
        .value_kind:     by_value
      - .offset:         48
        .size:           8
        .value_kind:     by_value
      - .address_space:  global
        .offset:         56
        .size:           8
        .value_kind:     global_buffer
      - .offset:         64
        .size:           8
        .value_kind:     by_value
      - .offset:         72
        .size:           8
        .value_kind:     by_value
      - .offset:         80
        .size:           16
        .value_kind:     by_value
      - .address_space:  global
        .offset:         96
        .size:           8
        .value_kind:     global_buffer
      - .offset:         104
        .size:           8
        .value_kind:     by_value
      - .offset:         112
        .size:           8
        .value_kind:     by_value
      - .offset:         120
        .size:           4
        .value_kind:     by_value
    .group_segment_fixed_size: 8192
    .kernarg_segment_align: 8
    .kernarg_segment_size: 124
    .language:       OpenCL C
    .language_version:
      - 2
      - 0
    .max_flat_workgroup_size: 256
    .name:           _ZL41rocblas_syrkx_herkx_small_restrict_kernelIl19rocblas_complex_numIdELi16ELb1ELb1ELc67ELc85EKS1_S1_EviT_T0_PT6_S3_lS6_S3_lS4_PT7_S3_li
    .private_segment_fixed_size: 0
    .sgpr_count:     32
    .sgpr_spill_count: 0
    .symbol:         _ZL41rocblas_syrkx_herkx_small_restrict_kernelIl19rocblas_complex_numIdELi16ELb1ELb1ELc67ELc85EKS1_S1_EviT_T0_PT6_S3_lS6_S3_lS4_PT7_S3_li.kd
    .uniform_work_group_size: 1
    .uses_dynamic_stack: false
    .vgpr_count:     40
    .vgpr_spill_count: 0
    .wavefront_size: 64
  - .args:
      - .offset:         0
        .size:           4
        .value_kind:     by_value
      - .offset:         8
        .size:           8
        .value_kind:     by_value
      - .offset:         16
        .size:           16
        .value_kind:     by_value
      - .address_space:  global
        .offset:         32
        .size:           8
        .value_kind:     global_buffer
      - .offset:         40
        .size:           8
        .value_kind:     by_value
      - .offset:         48
        .size:           8
        .value_kind:     by_value
      - .address_space:  global
        .offset:         56
        .size:           8
        .value_kind:     global_buffer
      - .offset:         64
        .size:           8
        .value_kind:     by_value
      - .offset:         72
        .size:           8
        .value_kind:     by_value
      - .offset:         80
        .size:           16
        .value_kind:     by_value
      - .address_space:  global
        .offset:         96
        .size:           8
        .value_kind:     global_buffer
      - .offset:         104
        .size:           8
        .value_kind:     by_value
      - .offset:         112
        .size:           8
        .value_kind:     by_value
      - .offset:         120
        .size:           4
        .value_kind:     by_value
    .group_segment_fixed_size: 8192
    .kernarg_segment_align: 8
    .kernarg_segment_size: 124
    .language:       OpenCL C
    .language_version:
      - 2
      - 0
    .max_flat_workgroup_size: 256
    .name:           _ZL41rocblas_syrkx_herkx_small_restrict_kernelIl19rocblas_complex_numIdELi16ELb1ELb1ELc78ELc85EKS1_S1_EviT_T0_PT6_S3_lS6_S3_lS4_PT7_S3_li
    .private_segment_fixed_size: 0
    .sgpr_count:     32
    .sgpr_spill_count: 0
    .symbol:         _ZL41rocblas_syrkx_herkx_small_restrict_kernelIl19rocblas_complex_numIdELi16ELb1ELb1ELc78ELc85EKS1_S1_EviT_T0_PT6_S3_lS6_S3_lS4_PT7_S3_li.kd
    .uniform_work_group_size: 1
    .uses_dynamic_stack: false
    .vgpr_count:     42
    .vgpr_spill_count: 0
    .wavefront_size: 64
  - .args:
      - .offset:         0
        .size:           4
        .value_kind:     by_value
      - .offset:         8
        .size:           8
        .value_kind:     by_value
      - .offset:         16
        .size:           16
        .value_kind:     by_value
      - .address_space:  global
        .offset:         32
        .size:           8
        .value_kind:     global_buffer
      - .offset:         40
        .size:           8
        .value_kind:     by_value
      - .offset:         48
        .size:           8
        .value_kind:     by_value
      - .address_space:  global
        .offset:         56
        .size:           8
        .value_kind:     global_buffer
      - .offset:         64
        .size:           8
        .value_kind:     by_value
      - .offset:         72
        .size:           8
        .value_kind:     by_value
      - .offset:         80
        .size:           16
        .value_kind:     by_value
      - .address_space:  global
        .offset:         96
        .size:           8
        .value_kind:     global_buffer
      - .offset:         104
        .size:           8
        .value_kind:     by_value
      - .offset:         112
        .size:           8
        .value_kind:     by_value
      - .offset:         120
        .size:           4
        .value_kind:     by_value
    .group_segment_fixed_size: 8192
    .kernarg_segment_align: 8
    .kernarg_segment_size: 124
    .language:       OpenCL C
    .language_version:
      - 2
      - 0
    .max_flat_workgroup_size: 256
    .name:           _ZL41rocblas_syrkx_herkx_small_restrict_kernelIl19rocblas_complex_numIdELi16ELb0ELb1ELc84ELc76EKS1_S1_EviT_T0_PT6_S3_lS6_S3_lS4_PT7_S3_li
    .private_segment_fixed_size: 0
    .sgpr_count:     48
    .sgpr_spill_count: 0
    .symbol:         _ZL41rocblas_syrkx_herkx_small_restrict_kernelIl19rocblas_complex_numIdELi16ELb0ELb1ELc84ELc76EKS1_S1_EviT_T0_PT6_S3_lS6_S3_lS4_PT7_S3_li.kd
    .uniform_work_group_size: 1
    .uses_dynamic_stack: false
    .vgpr_count:     40
    .vgpr_spill_count: 0
    .wavefront_size: 64
  - .args:
      - .offset:         0
        .size:           4
        .value_kind:     by_value
      - .offset:         8
        .size:           8
        .value_kind:     by_value
      - .offset:         16
        .size:           16
        .value_kind:     by_value
      - .address_space:  global
        .offset:         32
        .size:           8
        .value_kind:     global_buffer
      - .offset:         40
        .size:           8
        .value_kind:     by_value
      - .offset:         48
        .size:           8
        .value_kind:     by_value
      - .address_space:  global
        .offset:         56
        .size:           8
        .value_kind:     global_buffer
      - .offset:         64
        .size:           8
        .value_kind:     by_value
      - .offset:         72
        .size:           8
        .value_kind:     by_value
      - .offset:         80
        .size:           16
        .value_kind:     by_value
      - .address_space:  global
        .offset:         96
        .size:           8
        .value_kind:     global_buffer
      - .offset:         104
        .size:           8
        .value_kind:     by_value
      - .offset:         112
        .size:           8
        .value_kind:     by_value
      - .offset:         120
        .size:           4
        .value_kind:     by_value
    .group_segment_fixed_size: 8192
    .kernarg_segment_align: 8
    .kernarg_segment_size: 124
    .language:       OpenCL C
    .language_version:
      - 2
      - 0
    .max_flat_workgroup_size: 256
    .name:           _ZL41rocblas_syrkx_herkx_small_restrict_kernelIl19rocblas_complex_numIdELi16ELb0ELb1ELc67ELc76EKS1_S1_EviT_T0_PT6_S3_lS6_S3_lS4_PT7_S3_li
    .private_segment_fixed_size: 0
    .sgpr_count:     48
    .sgpr_spill_count: 0
    .symbol:         _ZL41rocblas_syrkx_herkx_small_restrict_kernelIl19rocblas_complex_numIdELi16ELb0ELb1ELc67ELc76EKS1_S1_EviT_T0_PT6_S3_lS6_S3_lS4_PT7_S3_li.kd
    .uniform_work_group_size: 1
    .uses_dynamic_stack: false
    .vgpr_count:     40
    .vgpr_spill_count: 0
    .wavefront_size: 64
  - .args:
      - .offset:         0
        .size:           4
        .value_kind:     by_value
      - .offset:         8
        .size:           8
        .value_kind:     by_value
      - .offset:         16
        .size:           16
        .value_kind:     by_value
      - .address_space:  global
        .offset:         32
        .size:           8
        .value_kind:     global_buffer
      - .offset:         40
        .size:           8
        .value_kind:     by_value
      - .offset:         48
        .size:           8
        .value_kind:     by_value
      - .address_space:  global
        .offset:         56
        .size:           8
        .value_kind:     global_buffer
      - .offset:         64
        .size:           8
        .value_kind:     by_value
      - .offset:         72
        .size:           8
        .value_kind:     by_value
      - .offset:         80
        .size:           16
        .value_kind:     by_value
      - .address_space:  global
        .offset:         96
        .size:           8
        .value_kind:     global_buffer
      - .offset:         104
        .size:           8
        .value_kind:     by_value
      - .offset:         112
        .size:           8
        .value_kind:     by_value
      - .offset:         120
        .size:           4
        .value_kind:     by_value
    .group_segment_fixed_size: 8192
    .kernarg_segment_align: 8
    .kernarg_segment_size: 124
    .language:       OpenCL C
    .language_version:
      - 2
      - 0
    .max_flat_workgroup_size: 256
    .name:           _ZL41rocblas_syrkx_herkx_small_restrict_kernelIl19rocblas_complex_numIdELi16ELb0ELb1ELc78ELc76EKS1_S1_EviT_T0_PT6_S3_lS6_S3_lS4_PT7_S3_li
    .private_segment_fixed_size: 0
    .sgpr_count:     48
    .sgpr_spill_count: 0
    .symbol:         _ZL41rocblas_syrkx_herkx_small_restrict_kernelIl19rocblas_complex_numIdELi16ELb0ELb1ELc78ELc76EKS1_S1_EviT_T0_PT6_S3_lS6_S3_lS4_PT7_S3_li.kd
    .uniform_work_group_size: 1
    .uses_dynamic_stack: false
    .vgpr_count:     42
    .vgpr_spill_count: 0
    .wavefront_size: 64
  - .args:
      - .offset:         0
        .size:           4
        .value_kind:     by_value
      - .offset:         8
        .size:           8
        .value_kind:     by_value
      - .offset:         16
        .size:           16
        .value_kind:     by_value
      - .address_space:  global
        .offset:         32
        .size:           8
        .value_kind:     global_buffer
      - .offset:         40
        .size:           8
        .value_kind:     by_value
      - .offset:         48
        .size:           8
        .value_kind:     by_value
      - .address_space:  global
        .offset:         56
        .size:           8
        .value_kind:     global_buffer
      - .offset:         64
        .size:           8
        .value_kind:     by_value
      - .offset:         72
        .size:           8
        .value_kind:     by_value
      - .offset:         80
        .size:           16
        .value_kind:     by_value
      - .address_space:  global
        .offset:         96
        .size:           8
        .value_kind:     global_buffer
      - .offset:         104
        .size:           8
        .value_kind:     by_value
      - .offset:         112
        .size:           8
        .value_kind:     by_value
      - .offset:         120
        .size:           4
        .value_kind:     by_value
    .group_segment_fixed_size: 8192
    .kernarg_segment_align: 8
    .kernarg_segment_size: 124
    .language:       OpenCL C
    .language_version:
      - 2
      - 0
    .max_flat_workgroup_size: 256
    .name:           _ZL41rocblas_syrkx_herkx_small_restrict_kernelIl19rocblas_complex_numIdELi16ELb0ELb1ELc84ELc85EKS1_S1_EviT_T0_PT6_S3_lS6_S3_lS4_PT7_S3_li
    .private_segment_fixed_size: 0
    .sgpr_count:     48
    .sgpr_spill_count: 0
    .symbol:         _ZL41rocblas_syrkx_herkx_small_restrict_kernelIl19rocblas_complex_numIdELi16ELb0ELb1ELc84ELc85EKS1_S1_EviT_T0_PT6_S3_lS6_S3_lS4_PT7_S3_li.kd
    .uniform_work_group_size: 1
    .uses_dynamic_stack: false
    .vgpr_count:     40
    .vgpr_spill_count: 0
    .wavefront_size: 64
  - .args:
      - .offset:         0
        .size:           4
        .value_kind:     by_value
      - .offset:         8
        .size:           8
        .value_kind:     by_value
      - .offset:         16
        .size:           16
        .value_kind:     by_value
      - .address_space:  global
        .offset:         32
        .size:           8
        .value_kind:     global_buffer
      - .offset:         40
        .size:           8
        .value_kind:     by_value
      - .offset:         48
        .size:           8
        .value_kind:     by_value
      - .address_space:  global
        .offset:         56
        .size:           8
        .value_kind:     global_buffer
      - .offset:         64
        .size:           8
        .value_kind:     by_value
      - .offset:         72
        .size:           8
        .value_kind:     by_value
      - .offset:         80
        .size:           16
        .value_kind:     by_value
      - .address_space:  global
        .offset:         96
        .size:           8
        .value_kind:     global_buffer
      - .offset:         104
        .size:           8
        .value_kind:     by_value
      - .offset:         112
        .size:           8
        .value_kind:     by_value
      - .offset:         120
        .size:           4
        .value_kind:     by_value
    .group_segment_fixed_size: 8192
    .kernarg_segment_align: 8
    .kernarg_segment_size: 124
    .language:       OpenCL C
    .language_version:
      - 2
      - 0
    .max_flat_workgroup_size: 256
    .name:           _ZL41rocblas_syrkx_herkx_small_restrict_kernelIl19rocblas_complex_numIdELi16ELb0ELb1ELc67ELc85EKS1_S1_EviT_T0_PT6_S3_lS6_S3_lS4_PT7_S3_li
    .private_segment_fixed_size: 0
    .sgpr_count:     48
    .sgpr_spill_count: 0
    .symbol:         _ZL41rocblas_syrkx_herkx_small_restrict_kernelIl19rocblas_complex_numIdELi16ELb0ELb1ELc67ELc85EKS1_S1_EviT_T0_PT6_S3_lS6_S3_lS4_PT7_S3_li.kd
    .uniform_work_group_size: 1
    .uses_dynamic_stack: false
    .vgpr_count:     40
    .vgpr_spill_count: 0
    .wavefront_size: 64
  - .args:
      - .offset:         0
        .size:           4
        .value_kind:     by_value
      - .offset:         8
        .size:           8
        .value_kind:     by_value
      - .offset:         16
        .size:           16
        .value_kind:     by_value
      - .address_space:  global
        .offset:         32
        .size:           8
        .value_kind:     global_buffer
      - .offset:         40
        .size:           8
        .value_kind:     by_value
      - .offset:         48
        .size:           8
        .value_kind:     by_value
      - .address_space:  global
        .offset:         56
        .size:           8
        .value_kind:     global_buffer
      - .offset:         64
        .size:           8
        .value_kind:     by_value
      - .offset:         72
        .size:           8
        .value_kind:     by_value
      - .offset:         80
        .size:           16
        .value_kind:     by_value
      - .address_space:  global
        .offset:         96
        .size:           8
        .value_kind:     global_buffer
      - .offset:         104
        .size:           8
        .value_kind:     by_value
      - .offset:         112
        .size:           8
        .value_kind:     by_value
      - .offset:         120
        .size:           4
        .value_kind:     by_value
    .group_segment_fixed_size: 8192
    .kernarg_segment_align: 8
    .kernarg_segment_size: 124
    .language:       OpenCL C
    .language_version:
      - 2
      - 0
    .max_flat_workgroup_size: 256
    .name:           _ZL41rocblas_syrkx_herkx_small_restrict_kernelIl19rocblas_complex_numIdELi16ELb0ELb1ELc78ELc85EKS1_S1_EviT_T0_PT6_S3_lS6_S3_lS4_PT7_S3_li
    .private_segment_fixed_size: 0
    .sgpr_count:     48
    .sgpr_spill_count: 0
    .symbol:         _ZL41rocblas_syrkx_herkx_small_restrict_kernelIl19rocblas_complex_numIdELi16ELb0ELb1ELc78ELc85EKS1_S1_EviT_T0_PT6_S3_lS6_S3_lS4_PT7_S3_li.kd
    .uniform_work_group_size: 1
    .uses_dynamic_stack: false
    .vgpr_count:     42
    .vgpr_spill_count: 0
    .wavefront_size: 64
  - .args:
      - .offset:         0
        .size:           4
        .value_kind:     by_value
      - .offset:         8
        .size:           8
        .value_kind:     by_value
      - .offset:         16
        .size:           16
        .value_kind:     by_value
      - .address_space:  global
        .offset:         32
        .size:           8
        .value_kind:     global_buffer
      - .offset:         40
        .size:           8
        .value_kind:     by_value
      - .offset:         48
        .size:           8
        .value_kind:     by_value
      - .address_space:  global
        .offset:         56
        .size:           8
        .value_kind:     global_buffer
      - .offset:         64
        .size:           8
        .value_kind:     by_value
      - .offset:         72
        .size:           8
        .value_kind:     by_value
      - .offset:         80
        .size:           16
        .value_kind:     by_value
      - .address_space:  global
        .offset:         96
        .size:           8
        .value_kind:     global_buffer
      - .offset:         104
        .size:           8
        .value_kind:     by_value
      - .offset:         112
        .size:           8
        .value_kind:     by_value
      - .offset:         120
        .size:           4
        .value_kind:     by_value
    .group_segment_fixed_size: 8192
    .kernarg_segment_align: 8
    .kernarg_segment_size: 124
    .language:       OpenCL C
    .language_version:
      - 2
      - 0
    .max_flat_workgroup_size: 256
    .name:           _ZL32rocblas_syrkx_herkx_small_kernelIl19rocblas_complex_numIdELi16ELb1ELb1ELc84ELc76EKS1_S1_EviT_T0_PT6_S3_lS6_S3_lS4_PT7_S3_li
    .private_segment_fixed_size: 0
    .sgpr_count:     32
    .sgpr_spill_count: 0
    .symbol:         _ZL32rocblas_syrkx_herkx_small_kernelIl19rocblas_complex_numIdELi16ELb1ELb1ELc84ELc76EKS1_S1_EviT_T0_PT6_S3_lS6_S3_lS4_PT7_S3_li.kd
    .uniform_work_group_size: 1
    .uses_dynamic_stack: false
    .vgpr_count:     44
    .vgpr_spill_count: 0
    .wavefront_size: 64
  - .args:
      - .offset:         0
        .size:           4
        .value_kind:     by_value
      - .offset:         8
        .size:           8
        .value_kind:     by_value
      - .offset:         16
        .size:           16
        .value_kind:     by_value
      - .address_space:  global
        .offset:         32
        .size:           8
        .value_kind:     global_buffer
      - .offset:         40
        .size:           8
        .value_kind:     by_value
      - .offset:         48
        .size:           8
        .value_kind:     by_value
      - .address_space:  global
        .offset:         56
        .size:           8
        .value_kind:     global_buffer
      - .offset:         64
        .size:           8
        .value_kind:     by_value
      - .offset:         72
        .size:           8
        .value_kind:     by_value
      - .offset:         80
        .size:           16
        .value_kind:     by_value
      - .address_space:  global
        .offset:         96
        .size:           8
        .value_kind:     global_buffer
      - .offset:         104
        .size:           8
        .value_kind:     by_value
      - .offset:         112
        .size:           8
        .value_kind:     by_value
      - .offset:         120
        .size:           4
        .value_kind:     by_value
    .group_segment_fixed_size: 8192
    .kernarg_segment_align: 8
    .kernarg_segment_size: 124
    .language:       OpenCL C
    .language_version:
      - 2
      - 0
    .max_flat_workgroup_size: 256
    .name:           _ZL32rocblas_syrkx_herkx_small_kernelIl19rocblas_complex_numIdELi16ELb1ELb1ELc67ELc76EKS1_S1_EviT_T0_PT6_S3_lS6_S3_lS4_PT7_S3_li
    .private_segment_fixed_size: 0
    .sgpr_count:     32
    .sgpr_spill_count: 0
    .symbol:         _ZL32rocblas_syrkx_herkx_small_kernelIl19rocblas_complex_numIdELi16ELb1ELb1ELc67ELc76EKS1_S1_EviT_T0_PT6_S3_lS6_S3_lS4_PT7_S3_li.kd
    .uniform_work_group_size: 1
    .uses_dynamic_stack: false
    .vgpr_count:     53
    .vgpr_spill_count: 0
    .wavefront_size: 64
  - .args:
      - .offset:         0
        .size:           4
        .value_kind:     by_value
      - .offset:         8
        .size:           8
        .value_kind:     by_value
      - .offset:         16
        .size:           16
        .value_kind:     by_value
      - .address_space:  global
        .offset:         32
        .size:           8
        .value_kind:     global_buffer
      - .offset:         40
        .size:           8
        .value_kind:     by_value
      - .offset:         48
        .size:           8
        .value_kind:     by_value
      - .address_space:  global
        .offset:         56
        .size:           8
        .value_kind:     global_buffer
      - .offset:         64
        .size:           8
        .value_kind:     by_value
      - .offset:         72
        .size:           8
        .value_kind:     by_value
      - .offset:         80
        .size:           16
        .value_kind:     by_value
      - .address_space:  global
        .offset:         96
        .size:           8
        .value_kind:     global_buffer
      - .offset:         104
        .size:           8
        .value_kind:     by_value
      - .offset:         112
        .size:           8
        .value_kind:     by_value
      - .offset:         120
        .size:           4
        .value_kind:     by_value
    .group_segment_fixed_size: 8192
    .kernarg_segment_align: 8
    .kernarg_segment_size: 124
    .language:       OpenCL C
    .language_version:
      - 2
      - 0
    .max_flat_workgroup_size: 256
    .name:           _ZL32rocblas_syrkx_herkx_small_kernelIl19rocblas_complex_numIdELi16ELb1ELb1ELc78ELc76EKS1_S1_EviT_T0_PT6_S3_lS6_S3_lS4_PT7_S3_li
    .private_segment_fixed_size: 0
    .sgpr_count:     33
    .sgpr_spill_count: 0
    .symbol:         _ZL32rocblas_syrkx_herkx_small_kernelIl19rocblas_complex_numIdELi16ELb1ELb1ELc78ELc76EKS1_S1_EviT_T0_PT6_S3_lS6_S3_lS4_PT7_S3_li.kd
    .uniform_work_group_size: 1
    .uses_dynamic_stack: false
    .vgpr_count:     49
    .vgpr_spill_count: 0
    .wavefront_size: 64
  - .args:
      - .offset:         0
        .size:           4
        .value_kind:     by_value
      - .offset:         8
        .size:           8
        .value_kind:     by_value
      - .offset:         16
        .size:           16
        .value_kind:     by_value
      - .address_space:  global
        .offset:         32
        .size:           8
        .value_kind:     global_buffer
      - .offset:         40
        .size:           8
        .value_kind:     by_value
      - .offset:         48
        .size:           8
        .value_kind:     by_value
      - .address_space:  global
        .offset:         56
        .size:           8
        .value_kind:     global_buffer
      - .offset:         64
        .size:           8
        .value_kind:     by_value
      - .offset:         72
        .size:           8
        .value_kind:     by_value
      - .offset:         80
        .size:           16
        .value_kind:     by_value
      - .address_space:  global
        .offset:         96
        .size:           8
        .value_kind:     global_buffer
      - .offset:         104
        .size:           8
        .value_kind:     by_value
      - .offset:         112
        .size:           8
        .value_kind:     by_value
      - .offset:         120
        .size:           4
        .value_kind:     by_value
    .group_segment_fixed_size: 8192
    .kernarg_segment_align: 8
    .kernarg_segment_size: 124
    .language:       OpenCL C
    .language_version:
      - 2
      - 0
    .max_flat_workgroup_size: 256
    .name:           _ZL32rocblas_syrkx_herkx_small_kernelIl19rocblas_complex_numIdELi16ELb1ELb1ELc84ELc85EKS1_S1_EviT_T0_PT6_S3_lS6_S3_lS4_PT7_S3_li
    .private_segment_fixed_size: 0
    .sgpr_count:     32
    .sgpr_spill_count: 0
    .symbol:         _ZL32rocblas_syrkx_herkx_small_kernelIl19rocblas_complex_numIdELi16ELb1ELb1ELc84ELc85EKS1_S1_EviT_T0_PT6_S3_lS6_S3_lS4_PT7_S3_li.kd
    .uniform_work_group_size: 1
    .uses_dynamic_stack: false
    .vgpr_count:     44
    .vgpr_spill_count: 0
    .wavefront_size: 64
  - .args:
      - .offset:         0
        .size:           4
        .value_kind:     by_value
      - .offset:         8
        .size:           8
        .value_kind:     by_value
      - .offset:         16
        .size:           16
        .value_kind:     by_value
      - .address_space:  global
        .offset:         32
        .size:           8
        .value_kind:     global_buffer
      - .offset:         40
        .size:           8
        .value_kind:     by_value
      - .offset:         48
        .size:           8
        .value_kind:     by_value
      - .address_space:  global
        .offset:         56
        .size:           8
        .value_kind:     global_buffer
      - .offset:         64
        .size:           8
        .value_kind:     by_value
      - .offset:         72
        .size:           8
        .value_kind:     by_value
      - .offset:         80
        .size:           16
        .value_kind:     by_value
      - .address_space:  global
        .offset:         96
        .size:           8
        .value_kind:     global_buffer
      - .offset:         104
        .size:           8
        .value_kind:     by_value
      - .offset:         112
        .size:           8
        .value_kind:     by_value
      - .offset:         120
        .size:           4
        .value_kind:     by_value
    .group_segment_fixed_size: 8192
    .kernarg_segment_align: 8
    .kernarg_segment_size: 124
    .language:       OpenCL C
    .language_version:
      - 2
      - 0
    .max_flat_workgroup_size: 256
    .name:           _ZL32rocblas_syrkx_herkx_small_kernelIl19rocblas_complex_numIdELi16ELb1ELb1ELc67ELc85EKS1_S1_EviT_T0_PT6_S3_lS6_S3_lS4_PT7_S3_li
    .private_segment_fixed_size: 0
    .sgpr_count:     32
    .sgpr_spill_count: 0
    .symbol:         _ZL32rocblas_syrkx_herkx_small_kernelIl19rocblas_complex_numIdELi16ELb1ELb1ELc67ELc85EKS1_S1_EviT_T0_PT6_S3_lS6_S3_lS4_PT7_S3_li.kd
    .uniform_work_group_size: 1
    .uses_dynamic_stack: false
    .vgpr_count:     53
    .vgpr_spill_count: 0
    .wavefront_size: 64
  - .args:
      - .offset:         0
        .size:           4
        .value_kind:     by_value
      - .offset:         8
        .size:           8
        .value_kind:     by_value
      - .offset:         16
        .size:           16
        .value_kind:     by_value
      - .address_space:  global
        .offset:         32
        .size:           8
        .value_kind:     global_buffer
      - .offset:         40
        .size:           8
        .value_kind:     by_value
      - .offset:         48
        .size:           8
        .value_kind:     by_value
      - .address_space:  global
        .offset:         56
        .size:           8
        .value_kind:     global_buffer
      - .offset:         64
        .size:           8
        .value_kind:     by_value
      - .offset:         72
        .size:           8
        .value_kind:     by_value
      - .offset:         80
        .size:           16
        .value_kind:     by_value
      - .address_space:  global
        .offset:         96
        .size:           8
        .value_kind:     global_buffer
      - .offset:         104
        .size:           8
        .value_kind:     by_value
      - .offset:         112
        .size:           8
        .value_kind:     by_value
      - .offset:         120
        .size:           4
        .value_kind:     by_value
    .group_segment_fixed_size: 8192
    .kernarg_segment_align: 8
    .kernarg_segment_size: 124
    .language:       OpenCL C
    .language_version:
      - 2
      - 0
    .max_flat_workgroup_size: 256
    .name:           _ZL32rocblas_syrkx_herkx_small_kernelIl19rocblas_complex_numIdELi16ELb1ELb1ELc78ELc85EKS1_S1_EviT_T0_PT6_S3_lS6_S3_lS4_PT7_S3_li
    .private_segment_fixed_size: 0
    .sgpr_count:     32
    .sgpr_spill_count: 0
    .symbol:         _ZL32rocblas_syrkx_herkx_small_kernelIl19rocblas_complex_numIdELi16ELb1ELb1ELc78ELc85EKS1_S1_EviT_T0_PT6_S3_lS6_S3_lS4_PT7_S3_li.kd
    .uniform_work_group_size: 1
    .uses_dynamic_stack: false
    .vgpr_count:     49
    .vgpr_spill_count: 0
    .wavefront_size: 64
  - .args:
      - .offset:         0
        .size:           4
        .value_kind:     by_value
      - .offset:         8
        .size:           8
        .value_kind:     by_value
      - .offset:         16
        .size:           16
        .value_kind:     by_value
      - .address_space:  global
        .offset:         32
        .size:           8
        .value_kind:     global_buffer
      - .offset:         40
        .size:           8
        .value_kind:     by_value
      - .offset:         48
        .size:           8
        .value_kind:     by_value
      - .address_space:  global
        .offset:         56
        .size:           8
        .value_kind:     global_buffer
      - .offset:         64
        .size:           8
        .value_kind:     by_value
      - .offset:         72
        .size:           8
        .value_kind:     by_value
      - .offset:         80
        .size:           16
        .value_kind:     by_value
      - .address_space:  global
        .offset:         96
        .size:           8
        .value_kind:     global_buffer
      - .offset:         104
        .size:           8
        .value_kind:     by_value
      - .offset:         112
        .size:           8
        .value_kind:     by_value
      - .offset:         120
        .size:           4
        .value_kind:     by_value
    .group_segment_fixed_size: 8192
    .kernarg_segment_align: 8
    .kernarg_segment_size: 124
    .language:       OpenCL C
    .language_version:
      - 2
      - 0
    .max_flat_workgroup_size: 256
    .name:           _ZL32rocblas_syrkx_herkx_small_kernelIl19rocblas_complex_numIdELi16ELb0ELb1ELc84ELc76EKS1_S1_EviT_T0_PT6_S3_lS6_S3_lS4_PT7_S3_li
    .private_segment_fixed_size: 0
    .sgpr_count:     48
    .sgpr_spill_count: 0
    .symbol:         _ZL32rocblas_syrkx_herkx_small_kernelIl19rocblas_complex_numIdELi16ELb0ELb1ELc84ELc76EKS1_S1_EviT_T0_PT6_S3_lS6_S3_lS4_PT7_S3_li.kd
    .uniform_work_group_size: 1
    .uses_dynamic_stack: false
    .vgpr_count:     44
    .vgpr_spill_count: 0
    .wavefront_size: 64
  - .args:
      - .offset:         0
        .size:           4
        .value_kind:     by_value
      - .offset:         8
        .size:           8
        .value_kind:     by_value
      - .offset:         16
        .size:           16
        .value_kind:     by_value
      - .address_space:  global
        .offset:         32
        .size:           8
        .value_kind:     global_buffer
      - .offset:         40
        .size:           8
        .value_kind:     by_value
      - .offset:         48
        .size:           8
        .value_kind:     by_value
      - .address_space:  global
        .offset:         56
        .size:           8
        .value_kind:     global_buffer
      - .offset:         64
        .size:           8
        .value_kind:     by_value
      - .offset:         72
        .size:           8
        .value_kind:     by_value
      - .offset:         80
        .size:           16
        .value_kind:     by_value
      - .address_space:  global
        .offset:         96
        .size:           8
        .value_kind:     global_buffer
      - .offset:         104
        .size:           8
        .value_kind:     by_value
      - .offset:         112
        .size:           8
        .value_kind:     by_value
      - .offset:         120
        .size:           4
        .value_kind:     by_value
    .group_segment_fixed_size: 8192
    .kernarg_segment_align: 8
    .kernarg_segment_size: 124
    .language:       OpenCL C
    .language_version:
      - 2
      - 0
    .max_flat_workgroup_size: 256
    .name:           _ZL32rocblas_syrkx_herkx_small_kernelIl19rocblas_complex_numIdELi16ELb0ELb1ELc67ELc76EKS1_S1_EviT_T0_PT6_S3_lS6_S3_lS4_PT7_S3_li
    .private_segment_fixed_size: 0
    .sgpr_count:     48
    .sgpr_spill_count: 0
    .symbol:         _ZL32rocblas_syrkx_herkx_small_kernelIl19rocblas_complex_numIdELi16ELb0ELb1ELc67ELc76EKS1_S1_EviT_T0_PT6_S3_lS6_S3_lS4_PT7_S3_li.kd
    .uniform_work_group_size: 1
    .uses_dynamic_stack: false
    .vgpr_count:     53
    .vgpr_spill_count: 0
    .wavefront_size: 64
  - .args:
      - .offset:         0
        .size:           4
        .value_kind:     by_value
      - .offset:         8
        .size:           8
        .value_kind:     by_value
      - .offset:         16
        .size:           16
        .value_kind:     by_value
      - .address_space:  global
        .offset:         32
        .size:           8
        .value_kind:     global_buffer
      - .offset:         40
        .size:           8
        .value_kind:     by_value
      - .offset:         48
        .size:           8
        .value_kind:     by_value
      - .address_space:  global
        .offset:         56
        .size:           8
        .value_kind:     global_buffer
      - .offset:         64
        .size:           8
        .value_kind:     by_value
      - .offset:         72
        .size:           8
        .value_kind:     by_value
      - .offset:         80
        .size:           16
        .value_kind:     by_value
      - .address_space:  global
        .offset:         96
        .size:           8
        .value_kind:     global_buffer
      - .offset:         104
        .size:           8
        .value_kind:     by_value
      - .offset:         112
        .size:           8
        .value_kind:     by_value
      - .offset:         120
        .size:           4
        .value_kind:     by_value
    .group_segment_fixed_size: 8192
    .kernarg_segment_align: 8
    .kernarg_segment_size: 124
    .language:       OpenCL C
    .language_version:
      - 2
      - 0
    .max_flat_workgroup_size: 256
    .name:           _ZL32rocblas_syrkx_herkx_small_kernelIl19rocblas_complex_numIdELi16ELb0ELb1ELc78ELc76EKS1_S1_EviT_T0_PT6_S3_lS6_S3_lS4_PT7_S3_li
    .private_segment_fixed_size: 0
    .sgpr_count:     48
    .sgpr_spill_count: 0
    .symbol:         _ZL32rocblas_syrkx_herkx_small_kernelIl19rocblas_complex_numIdELi16ELb0ELb1ELc78ELc76EKS1_S1_EviT_T0_PT6_S3_lS6_S3_lS4_PT7_S3_li.kd
    .uniform_work_group_size: 1
    .uses_dynamic_stack: false
    .vgpr_count:     49
    .vgpr_spill_count: 0
    .wavefront_size: 64
  - .args:
      - .offset:         0
        .size:           4
        .value_kind:     by_value
      - .offset:         8
        .size:           8
        .value_kind:     by_value
      - .offset:         16
        .size:           16
        .value_kind:     by_value
      - .address_space:  global
        .offset:         32
        .size:           8
        .value_kind:     global_buffer
      - .offset:         40
        .size:           8
        .value_kind:     by_value
      - .offset:         48
        .size:           8
        .value_kind:     by_value
      - .address_space:  global
        .offset:         56
        .size:           8
        .value_kind:     global_buffer
      - .offset:         64
        .size:           8
        .value_kind:     by_value
      - .offset:         72
        .size:           8
        .value_kind:     by_value
      - .offset:         80
        .size:           16
        .value_kind:     by_value
      - .address_space:  global
        .offset:         96
        .size:           8
        .value_kind:     global_buffer
      - .offset:         104
        .size:           8
        .value_kind:     by_value
      - .offset:         112
        .size:           8
        .value_kind:     by_value
      - .offset:         120
        .size:           4
        .value_kind:     by_value
    .group_segment_fixed_size: 8192
    .kernarg_segment_align: 8
    .kernarg_segment_size: 124
    .language:       OpenCL C
    .language_version:
      - 2
      - 0
    .max_flat_workgroup_size: 256
    .name:           _ZL32rocblas_syrkx_herkx_small_kernelIl19rocblas_complex_numIdELi16ELb0ELb1ELc84ELc85EKS1_S1_EviT_T0_PT6_S3_lS6_S3_lS4_PT7_S3_li
    .private_segment_fixed_size: 0
    .sgpr_count:     48
    .sgpr_spill_count: 0
    .symbol:         _ZL32rocblas_syrkx_herkx_small_kernelIl19rocblas_complex_numIdELi16ELb0ELb1ELc84ELc85EKS1_S1_EviT_T0_PT6_S3_lS6_S3_lS4_PT7_S3_li.kd
    .uniform_work_group_size: 1
    .uses_dynamic_stack: false
    .vgpr_count:     44
    .vgpr_spill_count: 0
    .wavefront_size: 64
  - .args:
      - .offset:         0
        .size:           4
        .value_kind:     by_value
      - .offset:         8
        .size:           8
        .value_kind:     by_value
      - .offset:         16
        .size:           16
        .value_kind:     by_value
      - .address_space:  global
        .offset:         32
        .size:           8
        .value_kind:     global_buffer
      - .offset:         40
        .size:           8
        .value_kind:     by_value
      - .offset:         48
        .size:           8
        .value_kind:     by_value
      - .address_space:  global
        .offset:         56
        .size:           8
        .value_kind:     global_buffer
      - .offset:         64
        .size:           8
        .value_kind:     by_value
      - .offset:         72
        .size:           8
        .value_kind:     by_value
      - .offset:         80
        .size:           16
        .value_kind:     by_value
      - .address_space:  global
        .offset:         96
        .size:           8
        .value_kind:     global_buffer
      - .offset:         104
        .size:           8
        .value_kind:     by_value
      - .offset:         112
        .size:           8
        .value_kind:     by_value
      - .offset:         120
        .size:           4
        .value_kind:     by_value
    .group_segment_fixed_size: 8192
    .kernarg_segment_align: 8
    .kernarg_segment_size: 124
    .language:       OpenCL C
    .language_version:
      - 2
      - 0
    .max_flat_workgroup_size: 256
    .name:           _ZL32rocblas_syrkx_herkx_small_kernelIl19rocblas_complex_numIdELi16ELb0ELb1ELc67ELc85EKS1_S1_EviT_T0_PT6_S3_lS6_S3_lS4_PT7_S3_li
    .private_segment_fixed_size: 0
    .sgpr_count:     48
    .sgpr_spill_count: 0
    .symbol:         _ZL32rocblas_syrkx_herkx_small_kernelIl19rocblas_complex_numIdELi16ELb0ELb1ELc67ELc85EKS1_S1_EviT_T0_PT6_S3_lS6_S3_lS4_PT7_S3_li.kd
    .uniform_work_group_size: 1
    .uses_dynamic_stack: false
    .vgpr_count:     53
    .vgpr_spill_count: 0
    .wavefront_size: 64
  - .args:
      - .offset:         0
        .size:           4
        .value_kind:     by_value
      - .offset:         8
        .size:           8
        .value_kind:     by_value
      - .offset:         16
        .size:           16
        .value_kind:     by_value
      - .address_space:  global
        .offset:         32
        .size:           8
        .value_kind:     global_buffer
      - .offset:         40
        .size:           8
        .value_kind:     by_value
      - .offset:         48
        .size:           8
        .value_kind:     by_value
      - .address_space:  global
        .offset:         56
        .size:           8
        .value_kind:     global_buffer
      - .offset:         64
        .size:           8
        .value_kind:     by_value
      - .offset:         72
        .size:           8
        .value_kind:     by_value
      - .offset:         80
        .size:           16
        .value_kind:     by_value
      - .address_space:  global
        .offset:         96
        .size:           8
        .value_kind:     global_buffer
      - .offset:         104
        .size:           8
        .value_kind:     by_value
      - .offset:         112
        .size:           8
        .value_kind:     by_value
      - .offset:         120
        .size:           4
        .value_kind:     by_value
    .group_segment_fixed_size: 8192
    .kernarg_segment_align: 8
    .kernarg_segment_size: 124
    .language:       OpenCL C
    .language_version:
      - 2
      - 0
    .max_flat_workgroup_size: 256
    .name:           _ZL32rocblas_syrkx_herkx_small_kernelIl19rocblas_complex_numIdELi16ELb0ELb1ELc78ELc85EKS1_S1_EviT_T0_PT6_S3_lS6_S3_lS4_PT7_S3_li
    .private_segment_fixed_size: 0
    .sgpr_count:     48
    .sgpr_spill_count: 0
    .symbol:         _ZL32rocblas_syrkx_herkx_small_kernelIl19rocblas_complex_numIdELi16ELb0ELb1ELc78ELc85EKS1_S1_EviT_T0_PT6_S3_lS6_S3_lS4_PT7_S3_li.kd
    .uniform_work_group_size: 1
    .uses_dynamic_stack: false
    .vgpr_count:     49
    .vgpr_spill_count: 0
    .wavefront_size: 64
  - .args:
      - .offset:         0
        .size:           4
        .value_kind:     by_value
      - .offset:         8
        .size:           8
        .value_kind:     by_value
      - .offset:         16
        .size:           16
        .value_kind:     by_value
      - .address_space:  global
        .offset:         32
        .size:           8
        .value_kind:     global_buffer
      - .offset:         40
        .size:           8
        .value_kind:     by_value
      - .offset:         48
        .size:           8
        .value_kind:     by_value
      - .address_space:  global
        .offset:         56
        .size:           8
        .value_kind:     global_buffer
      - .offset:         64
        .size:           8
        .value_kind:     by_value
      - .offset:         72
        .size:           8
        .value_kind:     by_value
      - .offset:         80
        .size:           16
        .value_kind:     by_value
      - .address_space:  global
        .offset:         96
        .size:           8
        .value_kind:     global_buffer
      - .offset:         104
        .size:           8
        .value_kind:     by_value
      - .offset:         112
        .size:           8
        .value_kind:     by_value
      - .offset:         120
        .size:           4
        .value_kind:     by_value
    .group_segment_fixed_size: 8192
    .kernarg_segment_align: 8
    .kernarg_segment_size: 124
    .language:       OpenCL C
    .language_version:
      - 2
      - 0
    .max_flat_workgroup_size: 256
    .name:           _ZL34rocblas_syrkx_herkx_general_kernelIl19rocblas_complex_numIdELi16ELi32ELi8ELb1ELb1ELc84ELc76EKS1_S1_EviT_T0_PT8_S3_lS6_S3_lS4_PT9_S3_li
    .private_segment_fixed_size: 0
    .sgpr_count:     34
    .sgpr_spill_count: 0
    .symbol:         _ZL34rocblas_syrkx_herkx_general_kernelIl19rocblas_complex_numIdELi16ELi32ELi8ELb1ELb1ELc84ELc76EKS1_S1_EviT_T0_PT8_S3_lS6_S3_lS4_PT9_S3_li.kd
    .uniform_work_group_size: 1
    .uses_dynamic_stack: false
    .vgpr_count:     58
    .vgpr_spill_count: 0
    .wavefront_size: 64
  - .args:
      - .offset:         0
        .size:           4
        .value_kind:     by_value
      - .offset:         8
        .size:           8
        .value_kind:     by_value
      - .offset:         16
        .size:           16
        .value_kind:     by_value
      - .address_space:  global
        .offset:         32
        .size:           8
        .value_kind:     global_buffer
      - .offset:         40
        .size:           8
        .value_kind:     by_value
      - .offset:         48
        .size:           8
        .value_kind:     by_value
      - .address_space:  global
        .offset:         56
        .size:           8
        .value_kind:     global_buffer
      - .offset:         64
        .size:           8
        .value_kind:     by_value
      - .offset:         72
        .size:           8
        .value_kind:     by_value
      - .offset:         80
        .size:           16
        .value_kind:     by_value
      - .address_space:  global
        .offset:         96
        .size:           8
        .value_kind:     global_buffer
      - .offset:         104
        .size:           8
        .value_kind:     by_value
      - .offset:         112
        .size:           8
        .value_kind:     by_value
      - .offset:         120
        .size:           4
        .value_kind:     by_value
    .group_segment_fixed_size: 8192
    .kernarg_segment_align: 8
    .kernarg_segment_size: 124
    .language:       OpenCL C
    .language_version:
      - 2
      - 0
    .max_flat_workgroup_size: 256
    .name:           _ZL34rocblas_syrkx_herkx_general_kernelIl19rocblas_complex_numIdELi16ELi32ELi8ELb1ELb1ELc67ELc76EKS1_S1_EviT_T0_PT8_S3_lS6_S3_lS4_PT9_S3_li
    .private_segment_fixed_size: 0
    .sgpr_count:     34
    .sgpr_spill_count: 0
    .symbol:         _ZL34rocblas_syrkx_herkx_general_kernelIl19rocblas_complex_numIdELi16ELi32ELi8ELb1ELb1ELc67ELc76EKS1_S1_EviT_T0_PT8_S3_lS6_S3_lS4_PT9_S3_li.kd
    .uniform_work_group_size: 1
    .uses_dynamic_stack: false
    .vgpr_count:     59
    .vgpr_spill_count: 0
    .wavefront_size: 64
  - .args:
      - .offset:         0
        .size:           4
        .value_kind:     by_value
      - .offset:         8
        .size:           8
        .value_kind:     by_value
      - .offset:         16
        .size:           16
        .value_kind:     by_value
      - .address_space:  global
        .offset:         32
        .size:           8
        .value_kind:     global_buffer
      - .offset:         40
        .size:           8
        .value_kind:     by_value
      - .offset:         48
        .size:           8
        .value_kind:     by_value
      - .address_space:  global
        .offset:         56
        .size:           8
        .value_kind:     global_buffer
      - .offset:         64
        .size:           8
        .value_kind:     by_value
      - .offset:         72
        .size:           8
        .value_kind:     by_value
      - .offset:         80
        .size:           16
        .value_kind:     by_value
      - .address_space:  global
        .offset:         96
        .size:           8
        .value_kind:     global_buffer
      - .offset:         104
        .size:           8
        .value_kind:     by_value
      - .offset:         112
        .size:           8
        .value_kind:     by_value
      - .offset:         120
        .size:           4
        .value_kind:     by_value
    .group_segment_fixed_size: 8192
    .kernarg_segment_align: 8
    .kernarg_segment_size: 124
    .language:       OpenCL C
    .language_version:
      - 2
      - 0
    .max_flat_workgroup_size: 256
    .name:           _ZL34rocblas_syrkx_herkx_general_kernelIl19rocblas_complex_numIdELi16ELi32ELi8ELb1ELb1ELc78ELc76EKS1_S1_EviT_T0_PT8_S3_lS6_S3_lS4_PT9_S3_li
    .private_segment_fixed_size: 0
    .sgpr_count:     34
    .sgpr_spill_count: 0
    .symbol:         _ZL34rocblas_syrkx_herkx_general_kernelIl19rocblas_complex_numIdELi16ELi32ELi8ELb1ELb1ELc78ELc76EKS1_S1_EviT_T0_PT8_S3_lS6_S3_lS4_PT9_S3_li.kd
    .uniform_work_group_size: 1
    .uses_dynamic_stack: false
    .vgpr_count:     61
    .vgpr_spill_count: 0
    .wavefront_size: 64
  - .args:
      - .offset:         0
        .size:           4
        .value_kind:     by_value
      - .offset:         8
        .size:           8
        .value_kind:     by_value
      - .offset:         16
        .size:           16
        .value_kind:     by_value
      - .address_space:  global
        .offset:         32
        .size:           8
        .value_kind:     global_buffer
      - .offset:         40
        .size:           8
        .value_kind:     by_value
      - .offset:         48
        .size:           8
        .value_kind:     by_value
      - .address_space:  global
        .offset:         56
        .size:           8
        .value_kind:     global_buffer
      - .offset:         64
        .size:           8
        .value_kind:     by_value
      - .offset:         72
        .size:           8
        .value_kind:     by_value
      - .offset:         80
        .size:           16
        .value_kind:     by_value
      - .address_space:  global
        .offset:         96
        .size:           8
        .value_kind:     global_buffer
      - .offset:         104
        .size:           8
        .value_kind:     by_value
      - .offset:         112
        .size:           8
        .value_kind:     by_value
      - .offset:         120
        .size:           4
        .value_kind:     by_value
    .group_segment_fixed_size: 8192
    .kernarg_segment_align: 8
    .kernarg_segment_size: 124
    .language:       OpenCL C
    .language_version:
      - 2
      - 0
    .max_flat_workgroup_size: 256
    .name:           _ZL34rocblas_syrkx_herkx_general_kernelIl19rocblas_complex_numIdELi16ELi32ELi8ELb1ELb1ELc84ELc85EKS1_S1_EviT_T0_PT8_S3_lS6_S3_lS4_PT9_S3_li
    .private_segment_fixed_size: 0
    .sgpr_count:     34
    .sgpr_spill_count: 0
    .symbol:         _ZL34rocblas_syrkx_herkx_general_kernelIl19rocblas_complex_numIdELi16ELi32ELi8ELb1ELb1ELc84ELc85EKS1_S1_EviT_T0_PT8_S3_lS6_S3_lS4_PT9_S3_li.kd
    .uniform_work_group_size: 1
    .uses_dynamic_stack: false
    .vgpr_count:     58
    .vgpr_spill_count: 0
    .wavefront_size: 64
  - .args:
      - .offset:         0
        .size:           4
        .value_kind:     by_value
      - .offset:         8
        .size:           8
        .value_kind:     by_value
      - .offset:         16
        .size:           16
        .value_kind:     by_value
      - .address_space:  global
        .offset:         32
        .size:           8
        .value_kind:     global_buffer
      - .offset:         40
        .size:           8
        .value_kind:     by_value
      - .offset:         48
        .size:           8
        .value_kind:     by_value
      - .address_space:  global
        .offset:         56
        .size:           8
        .value_kind:     global_buffer
      - .offset:         64
        .size:           8
        .value_kind:     by_value
      - .offset:         72
        .size:           8
        .value_kind:     by_value
      - .offset:         80
        .size:           16
        .value_kind:     by_value
      - .address_space:  global
        .offset:         96
        .size:           8
        .value_kind:     global_buffer
      - .offset:         104
        .size:           8
        .value_kind:     by_value
      - .offset:         112
        .size:           8
        .value_kind:     by_value
      - .offset:         120
        .size:           4
        .value_kind:     by_value
    .group_segment_fixed_size: 8192
    .kernarg_segment_align: 8
    .kernarg_segment_size: 124
    .language:       OpenCL C
    .language_version:
      - 2
      - 0
    .max_flat_workgroup_size: 256
    .name:           _ZL34rocblas_syrkx_herkx_general_kernelIl19rocblas_complex_numIdELi16ELi32ELi8ELb1ELb1ELc67ELc85EKS1_S1_EviT_T0_PT8_S3_lS6_S3_lS4_PT9_S3_li
    .private_segment_fixed_size: 0
    .sgpr_count:     34
    .sgpr_spill_count: 0
    .symbol:         _ZL34rocblas_syrkx_herkx_general_kernelIl19rocblas_complex_numIdELi16ELi32ELi8ELb1ELb1ELc67ELc85EKS1_S1_EviT_T0_PT8_S3_lS6_S3_lS4_PT9_S3_li.kd
    .uniform_work_group_size: 1
    .uses_dynamic_stack: false
    .vgpr_count:     59
    .vgpr_spill_count: 0
    .wavefront_size: 64
  - .args:
      - .offset:         0
        .size:           4
        .value_kind:     by_value
      - .offset:         8
        .size:           8
        .value_kind:     by_value
      - .offset:         16
        .size:           16
        .value_kind:     by_value
      - .address_space:  global
        .offset:         32
        .size:           8
        .value_kind:     global_buffer
      - .offset:         40
        .size:           8
        .value_kind:     by_value
      - .offset:         48
        .size:           8
        .value_kind:     by_value
      - .address_space:  global
        .offset:         56
        .size:           8
        .value_kind:     global_buffer
      - .offset:         64
        .size:           8
        .value_kind:     by_value
      - .offset:         72
        .size:           8
        .value_kind:     by_value
      - .offset:         80
        .size:           16
        .value_kind:     by_value
      - .address_space:  global
        .offset:         96
        .size:           8
        .value_kind:     global_buffer
      - .offset:         104
        .size:           8
        .value_kind:     by_value
      - .offset:         112
        .size:           8
        .value_kind:     by_value
      - .offset:         120
        .size:           4
        .value_kind:     by_value
    .group_segment_fixed_size: 8192
    .kernarg_segment_align: 8
    .kernarg_segment_size: 124
    .language:       OpenCL C
    .language_version:
      - 2
      - 0
    .max_flat_workgroup_size: 256
    .name:           _ZL34rocblas_syrkx_herkx_general_kernelIl19rocblas_complex_numIdELi16ELi32ELi8ELb1ELb1ELc78ELc85EKS1_S1_EviT_T0_PT8_S3_lS6_S3_lS4_PT9_S3_li
    .private_segment_fixed_size: 0
    .sgpr_count:     34
    .sgpr_spill_count: 0
    .symbol:         _ZL34rocblas_syrkx_herkx_general_kernelIl19rocblas_complex_numIdELi16ELi32ELi8ELb1ELb1ELc78ELc85EKS1_S1_EviT_T0_PT8_S3_lS6_S3_lS4_PT9_S3_li.kd
    .uniform_work_group_size: 1
    .uses_dynamic_stack: false
    .vgpr_count:     61
    .vgpr_spill_count: 0
    .wavefront_size: 64
  - .args:
      - .offset:         0
        .size:           4
        .value_kind:     by_value
      - .offset:         8
        .size:           8
        .value_kind:     by_value
      - .offset:         16
        .size:           16
        .value_kind:     by_value
      - .address_space:  global
        .offset:         32
        .size:           8
        .value_kind:     global_buffer
      - .offset:         40
        .size:           8
        .value_kind:     by_value
      - .offset:         48
        .size:           8
        .value_kind:     by_value
      - .address_space:  global
        .offset:         56
        .size:           8
        .value_kind:     global_buffer
      - .offset:         64
        .size:           8
        .value_kind:     by_value
      - .offset:         72
        .size:           8
        .value_kind:     by_value
      - .offset:         80
        .size:           16
        .value_kind:     by_value
      - .address_space:  global
        .offset:         96
        .size:           8
        .value_kind:     global_buffer
      - .offset:         104
        .size:           8
        .value_kind:     by_value
      - .offset:         112
        .size:           8
        .value_kind:     by_value
      - .offset:         120
        .size:           4
        .value_kind:     by_value
    .group_segment_fixed_size: 8192
    .kernarg_segment_align: 8
    .kernarg_segment_size: 124
    .language:       OpenCL C
    .language_version:
      - 2
      - 0
    .max_flat_workgroup_size: 256
    .name:           _ZL34rocblas_syrkx_herkx_general_kernelIl19rocblas_complex_numIdELi16ELi32ELi8ELb0ELb1ELc84ELc76EKS1_S1_EviT_T0_PT8_S3_lS6_S3_lS4_PT9_S3_li
    .private_segment_fixed_size: 0
    .sgpr_count:     48
    .sgpr_spill_count: 0
    .symbol:         _ZL34rocblas_syrkx_herkx_general_kernelIl19rocblas_complex_numIdELi16ELi32ELi8ELb0ELb1ELc84ELc76EKS1_S1_EviT_T0_PT8_S3_lS6_S3_lS4_PT9_S3_li.kd
    .uniform_work_group_size: 1
    .uses_dynamic_stack: false
    .vgpr_count:     58
    .vgpr_spill_count: 0
    .wavefront_size: 64
  - .args:
      - .offset:         0
        .size:           4
        .value_kind:     by_value
      - .offset:         8
        .size:           8
        .value_kind:     by_value
      - .offset:         16
        .size:           16
        .value_kind:     by_value
      - .address_space:  global
        .offset:         32
        .size:           8
        .value_kind:     global_buffer
      - .offset:         40
        .size:           8
        .value_kind:     by_value
      - .offset:         48
        .size:           8
        .value_kind:     by_value
      - .address_space:  global
        .offset:         56
        .size:           8
        .value_kind:     global_buffer
      - .offset:         64
        .size:           8
        .value_kind:     by_value
      - .offset:         72
        .size:           8
        .value_kind:     by_value
      - .offset:         80
        .size:           16
        .value_kind:     by_value
      - .address_space:  global
        .offset:         96
        .size:           8
        .value_kind:     global_buffer
      - .offset:         104
        .size:           8
        .value_kind:     by_value
      - .offset:         112
        .size:           8
        .value_kind:     by_value
      - .offset:         120
        .size:           4
        .value_kind:     by_value
    .group_segment_fixed_size: 8192
    .kernarg_segment_align: 8
    .kernarg_segment_size: 124
    .language:       OpenCL C
    .language_version:
      - 2
      - 0
    .max_flat_workgroup_size: 256
    .name:           _ZL34rocblas_syrkx_herkx_general_kernelIl19rocblas_complex_numIdELi16ELi32ELi8ELb0ELb1ELc67ELc76EKS1_S1_EviT_T0_PT8_S3_lS6_S3_lS4_PT9_S3_li
    .private_segment_fixed_size: 0
    .sgpr_count:     48
    .sgpr_spill_count: 0
    .symbol:         _ZL34rocblas_syrkx_herkx_general_kernelIl19rocblas_complex_numIdELi16ELi32ELi8ELb0ELb1ELc67ELc76EKS1_S1_EviT_T0_PT8_S3_lS6_S3_lS4_PT9_S3_li.kd
    .uniform_work_group_size: 1
    .uses_dynamic_stack: false
    .vgpr_count:     59
    .vgpr_spill_count: 0
    .wavefront_size: 64
  - .args:
      - .offset:         0
        .size:           4
        .value_kind:     by_value
      - .offset:         8
        .size:           8
        .value_kind:     by_value
      - .offset:         16
        .size:           16
        .value_kind:     by_value
      - .address_space:  global
        .offset:         32
        .size:           8
        .value_kind:     global_buffer
      - .offset:         40
        .size:           8
        .value_kind:     by_value
      - .offset:         48
        .size:           8
        .value_kind:     by_value
      - .address_space:  global
        .offset:         56
        .size:           8
        .value_kind:     global_buffer
      - .offset:         64
        .size:           8
        .value_kind:     by_value
      - .offset:         72
        .size:           8
        .value_kind:     by_value
      - .offset:         80
        .size:           16
        .value_kind:     by_value
      - .address_space:  global
        .offset:         96
        .size:           8
        .value_kind:     global_buffer
      - .offset:         104
        .size:           8
        .value_kind:     by_value
      - .offset:         112
        .size:           8
        .value_kind:     by_value
      - .offset:         120
        .size:           4
        .value_kind:     by_value
    .group_segment_fixed_size: 8192
    .kernarg_segment_align: 8
    .kernarg_segment_size: 124
    .language:       OpenCL C
    .language_version:
      - 2
      - 0
    .max_flat_workgroup_size: 256
    .name:           _ZL34rocblas_syrkx_herkx_general_kernelIl19rocblas_complex_numIdELi16ELi32ELi8ELb0ELb1ELc78ELc76EKS1_S1_EviT_T0_PT8_S3_lS6_S3_lS4_PT9_S3_li
    .private_segment_fixed_size: 0
    .sgpr_count:     48
    .sgpr_spill_count: 0
    .symbol:         _ZL34rocblas_syrkx_herkx_general_kernelIl19rocblas_complex_numIdELi16ELi32ELi8ELb0ELb1ELc78ELc76EKS1_S1_EviT_T0_PT8_S3_lS6_S3_lS4_PT9_S3_li.kd
    .uniform_work_group_size: 1
    .uses_dynamic_stack: false
    .vgpr_count:     61
    .vgpr_spill_count: 0
    .wavefront_size: 64
  - .args:
      - .offset:         0
        .size:           4
        .value_kind:     by_value
      - .offset:         8
        .size:           8
        .value_kind:     by_value
      - .offset:         16
        .size:           16
        .value_kind:     by_value
      - .address_space:  global
        .offset:         32
        .size:           8
        .value_kind:     global_buffer
      - .offset:         40
        .size:           8
        .value_kind:     by_value
      - .offset:         48
        .size:           8
        .value_kind:     by_value
      - .address_space:  global
        .offset:         56
        .size:           8
        .value_kind:     global_buffer
      - .offset:         64
        .size:           8
        .value_kind:     by_value
      - .offset:         72
        .size:           8
        .value_kind:     by_value
      - .offset:         80
        .size:           16
        .value_kind:     by_value
      - .address_space:  global
        .offset:         96
        .size:           8
        .value_kind:     global_buffer
      - .offset:         104
        .size:           8
        .value_kind:     by_value
      - .offset:         112
        .size:           8
        .value_kind:     by_value
      - .offset:         120
        .size:           4
        .value_kind:     by_value
    .group_segment_fixed_size: 8192
    .kernarg_segment_align: 8
    .kernarg_segment_size: 124
    .language:       OpenCL C
    .language_version:
      - 2
      - 0
    .max_flat_workgroup_size: 256
    .name:           _ZL34rocblas_syrkx_herkx_general_kernelIl19rocblas_complex_numIdELi16ELi32ELi8ELb0ELb1ELc84ELc85EKS1_S1_EviT_T0_PT8_S3_lS6_S3_lS4_PT9_S3_li
    .private_segment_fixed_size: 0
    .sgpr_count:     48
    .sgpr_spill_count: 0
    .symbol:         _ZL34rocblas_syrkx_herkx_general_kernelIl19rocblas_complex_numIdELi16ELi32ELi8ELb0ELb1ELc84ELc85EKS1_S1_EviT_T0_PT8_S3_lS6_S3_lS4_PT9_S3_li.kd
    .uniform_work_group_size: 1
    .uses_dynamic_stack: false
    .vgpr_count:     58
    .vgpr_spill_count: 0
    .wavefront_size: 64
  - .args:
      - .offset:         0
        .size:           4
        .value_kind:     by_value
      - .offset:         8
        .size:           8
        .value_kind:     by_value
      - .offset:         16
        .size:           16
        .value_kind:     by_value
      - .address_space:  global
        .offset:         32
        .size:           8
        .value_kind:     global_buffer
      - .offset:         40
        .size:           8
        .value_kind:     by_value
      - .offset:         48
        .size:           8
        .value_kind:     by_value
      - .address_space:  global
        .offset:         56
        .size:           8
        .value_kind:     global_buffer
      - .offset:         64
        .size:           8
        .value_kind:     by_value
      - .offset:         72
        .size:           8
        .value_kind:     by_value
      - .offset:         80
        .size:           16
        .value_kind:     by_value
      - .address_space:  global
        .offset:         96
        .size:           8
        .value_kind:     global_buffer
      - .offset:         104
        .size:           8
        .value_kind:     by_value
      - .offset:         112
        .size:           8
        .value_kind:     by_value
      - .offset:         120
        .size:           4
        .value_kind:     by_value
    .group_segment_fixed_size: 8192
    .kernarg_segment_align: 8
    .kernarg_segment_size: 124
    .language:       OpenCL C
    .language_version:
      - 2
      - 0
    .max_flat_workgroup_size: 256
    .name:           _ZL34rocblas_syrkx_herkx_general_kernelIl19rocblas_complex_numIdELi16ELi32ELi8ELb0ELb1ELc67ELc85EKS1_S1_EviT_T0_PT8_S3_lS6_S3_lS4_PT9_S3_li
    .private_segment_fixed_size: 0
    .sgpr_count:     48
    .sgpr_spill_count: 0
    .symbol:         _ZL34rocblas_syrkx_herkx_general_kernelIl19rocblas_complex_numIdELi16ELi32ELi8ELb0ELb1ELc67ELc85EKS1_S1_EviT_T0_PT8_S3_lS6_S3_lS4_PT9_S3_li.kd
    .uniform_work_group_size: 1
    .uses_dynamic_stack: false
    .vgpr_count:     59
    .vgpr_spill_count: 0
    .wavefront_size: 64
  - .args:
      - .offset:         0
        .size:           4
        .value_kind:     by_value
      - .offset:         8
        .size:           8
        .value_kind:     by_value
      - .offset:         16
        .size:           16
        .value_kind:     by_value
      - .address_space:  global
        .offset:         32
        .size:           8
        .value_kind:     global_buffer
      - .offset:         40
        .size:           8
        .value_kind:     by_value
      - .offset:         48
        .size:           8
        .value_kind:     by_value
      - .address_space:  global
        .offset:         56
        .size:           8
        .value_kind:     global_buffer
      - .offset:         64
        .size:           8
        .value_kind:     by_value
      - .offset:         72
        .size:           8
        .value_kind:     by_value
      - .offset:         80
        .size:           16
        .value_kind:     by_value
      - .address_space:  global
        .offset:         96
        .size:           8
        .value_kind:     global_buffer
      - .offset:         104
        .size:           8
        .value_kind:     by_value
      - .offset:         112
        .size:           8
        .value_kind:     by_value
      - .offset:         120
        .size:           4
        .value_kind:     by_value
    .group_segment_fixed_size: 8192
    .kernarg_segment_align: 8
    .kernarg_segment_size: 124
    .language:       OpenCL C
    .language_version:
      - 2
      - 0
    .max_flat_workgroup_size: 256
    .name:           _ZL34rocblas_syrkx_herkx_general_kernelIl19rocblas_complex_numIdELi16ELi32ELi8ELb0ELb1ELc78ELc85EKS1_S1_EviT_T0_PT8_S3_lS6_S3_lS4_PT9_S3_li
    .private_segment_fixed_size: 0
    .sgpr_count:     48
    .sgpr_spill_count: 0
    .symbol:         _ZL34rocblas_syrkx_herkx_general_kernelIl19rocblas_complex_numIdELi16ELi32ELi8ELb0ELb1ELc78ELc85EKS1_S1_EviT_T0_PT8_S3_lS6_S3_lS4_PT9_S3_li.kd
    .uniform_work_group_size: 1
    .uses_dynamic_stack: false
    .vgpr_count:     61
    .vgpr_spill_count: 0
    .wavefront_size: 64
  - .args:
      - .offset:         0
        .size:           1
        .value_kind:     by_value
      - .offset:         4
        .size:           4
        .value_kind:     by_value
      - .offset:         8
        .size:           8
        .value_kind:     by_value
      - .offset:         16
        .size:           16
        .value_kind:     by_value
      - .offset:         32
        .size:           16
        .value_kind:     by_value
      - .address_space:  global
        .offset:         48
        .size:           8
        .value_kind:     global_buffer
      - .offset:         56
        .size:           8
        .value_kind:     by_value
      - .offset:         64
        .size:           8
        .value_kind:     by_value
      - .offset:         72
        .size:           4
        .value_kind:     by_value
      - .offset:         80
        .size:           4
        .value_kind:     hidden_block_count_x
      - .offset:         84
        .size:           4
        .value_kind:     hidden_block_count_y
      - .offset:         88
        .size:           4
        .value_kind:     hidden_block_count_z
      - .offset:         92
        .size:           2
        .value_kind:     hidden_group_size_x
      - .offset:         94
        .size:           2
        .value_kind:     hidden_group_size_y
      - .offset:         96
        .size:           2
        .value_kind:     hidden_group_size_z
      - .offset:         98
        .size:           2
        .value_kind:     hidden_remainder_x
      - .offset:         100
        .size:           2
        .value_kind:     hidden_remainder_y
      - .offset:         102
        .size:           2
        .value_kind:     hidden_remainder_z
      - .offset:         120
        .size:           8
        .value_kind:     hidden_global_offset_x
      - .offset:         128
        .size:           8
        .value_kind:     hidden_global_offset_y
      - .offset:         136
        .size:           8
        .value_kind:     hidden_global_offset_z
      - .offset:         144
        .size:           2
        .value_kind:     hidden_grid_dims
    .group_segment_fixed_size: 0
    .kernarg_segment_align: 8
    .kernarg_segment_size: 336
    .language:       OpenCL C
    .language_version:
      - 2
      - 0
    .max_flat_workgroup_size: 1024
    .name:           _ZL26rocblas_syr2k_scale_kernelIlLi128ELi8ELb1E19rocblas_complex_numIdES1_PS1_EvbiT_T3_T4_T5_S3_li
    .private_segment_fixed_size: 0
    .sgpr_count:     32
    .sgpr_spill_count: 0
    .symbol:         _ZL26rocblas_syr2k_scale_kernelIlLi128ELi8ELb1E19rocblas_complex_numIdES1_PS1_EvbiT_T3_T4_T5_S3_li.kd
    .uniform_work_group_size: 1
    .uses_dynamic_stack: false
    .vgpr_count:     13
    .vgpr_spill_count: 0
    .wavefront_size: 64
  - .args:
      - .offset:         0
        .size:           1
        .value_kind:     by_value
      - .offset:         4
        .size:           4
        .value_kind:     by_value
      - .offset:         8
        .size:           8
        .value_kind:     by_value
      - .address_space:  global
        .offset:         16
        .size:           8
        .value_kind:     global_buffer
      - .address_space:  global
        .offset:         24
        .size:           8
        .value_kind:     global_buffer
      - .offset:         32
        .size:           8
        .value_kind:     by_value
      - .offset:         40
        .size:           8
        .value_kind:     by_value
      - .address_space:  global
        .offset:         48
        .size:           8
        .value_kind:     global_buffer
      - .offset:         56
        .size:           8
        .value_kind:     by_value
      - .offset:         64
        .size:           8
        .value_kind:     by_value
      - .address_space:  global
        .offset:         72
        .size:           8
        .value_kind:     global_buffer
      - .offset:         80
        .size:           8
        .value_kind:     by_value
      - .offset:         88
        .size:           8
        .value_kind:     by_value
      - .offset:         96
        .size:           4
        .value_kind:     by_value
    .group_segment_fixed_size: 32768
    .kernarg_segment_align: 8
    .kernarg_segment_size: 100
    .language:       OpenCL C
    .language_version:
      - 2
      - 0
    .max_flat_workgroup_size: 1024
    .name:           _ZL26rocblas_syr2k_her2k_kernelIlLb0ELb1ELb0ELi32EPK19rocblas_complex_numIdES3_PS1_EvbiT_T4_T5_S5_lS7_S5_lT6_S5_li
    .private_segment_fixed_size: 0
    .sgpr_count:     44
    .sgpr_spill_count: 0
    .symbol:         _ZL26rocblas_syr2k_her2k_kernelIlLb0ELb1ELb0ELi32EPK19rocblas_complex_numIdES3_PS1_EvbiT_T4_T5_S5_lS7_S5_lT6_S5_li.kd
    .uniform_work_group_size: 1
    .uses_dynamic_stack: false
    .vgpr_count:     38
    .vgpr_spill_count: 0
    .wavefront_size: 64
  - .args:
      - .offset:         0
        .size:           1
        .value_kind:     by_value
      - .offset:         4
        .size:           4
        .value_kind:     by_value
      - .offset:         8
        .size:           8
        .value_kind:     by_value
      - .address_space:  global
        .offset:         16
        .size:           8
        .value_kind:     global_buffer
      - .address_space:  global
        .offset:         24
        .size:           8
        .value_kind:     global_buffer
      - .offset:         32
        .size:           8
        .value_kind:     by_value
      - .offset:         40
        .size:           8
        .value_kind:     by_value
      - .address_space:  global
        .offset:         48
        .size:           8
        .value_kind:     global_buffer
      - .offset:         56
        .size:           8
        .value_kind:     by_value
      - .offset:         64
        .size:           8
        .value_kind:     by_value
      - .address_space:  global
        .offset:         72
        .size:           8
        .value_kind:     global_buffer
      - .offset:         80
        .size:           8
        .value_kind:     by_value
      - .offset:         88
        .size:           8
        .value_kind:     by_value
      - .offset:         96
        .size:           4
        .value_kind:     by_value
    .group_segment_fixed_size: 32768
    .kernarg_segment_align: 8
    .kernarg_segment_size: 100
    .language:       OpenCL C
    .language_version:
      - 2
      - 0
    .max_flat_workgroup_size: 1024
    .name:           _ZL26rocblas_syr2k_her2k_kernelIlLb0ELb1ELb1ELi32EPK19rocblas_complex_numIdES3_PS1_EvbiT_T4_T5_S5_lS7_S5_lT6_S5_li
    .private_segment_fixed_size: 0
    .sgpr_count:     44
    .sgpr_spill_count: 0
    .symbol:         _ZL26rocblas_syr2k_her2k_kernelIlLb0ELb1ELb1ELi32EPK19rocblas_complex_numIdES3_PS1_EvbiT_T4_T5_S5_lS7_S5_lT6_S5_li.kd
    .uniform_work_group_size: 1
    .uses_dynamic_stack: false
    .vgpr_count:     38
    .vgpr_spill_count: 0
    .wavefront_size: 64
  - .args:
      - .offset:         0
        .size:           1
        .value_kind:     by_value
      - .offset:         4
        .size:           4
        .value_kind:     by_value
      - .offset:         8
        .size:           8
        .value_kind:     by_value
      - .offset:         16
        .size:           4
        .value_kind:     by_value
      - .address_space:  global
        .offset:         24
        .size:           8
        .value_kind:     global_buffer
      - .offset:         32
        .size:           8
        .value_kind:     by_value
      - .offset:         40
        .size:           8
        .value_kind:     by_value
      - .address_space:  global
        .offset:         48
        .size:           8
        .value_kind:     global_buffer
      - .offset:         56
        .size:           8
        .value_kind:     by_value
      - .offset:         64
        .size:           8
        .value_kind:     by_value
      - .address_space:  global
        .offset:         72
        .size:           8
        .value_kind:     global_buffer
      - .offset:         80
        .size:           8
        .value_kind:     by_value
      - .offset:         88
        .size:           8
        .value_kind:     by_value
      - .offset:         96
        .size:           4
        .value_kind:     by_value
    .group_segment_fixed_size: 8192
    .kernarg_segment_align: 8
    .kernarg_segment_size: 100
    .language:       OpenCL C
    .language_version:
      - 2
      - 0
    .max_flat_workgroup_size: 1024
    .name:           _ZL26rocblas_syr2k_her2k_kernelIlLb0ELb0ELb0ELi32EfPKPKfPKPfEvbiT_T4_T5_S7_lS9_S7_lT6_S7_li
    .private_segment_fixed_size: 0
    .sgpr_count:     38
    .sgpr_spill_count: 0
    .symbol:         _ZL26rocblas_syr2k_her2k_kernelIlLb0ELb0ELb0ELi32EfPKPKfPKPfEvbiT_T4_T5_S7_lS9_S7_lT6_S7_li.kd
    .uniform_work_group_size: 1
    .uses_dynamic_stack: false
    .vgpr_count:     29
    .vgpr_spill_count: 0
    .wavefront_size: 64
  - .args:
      - .offset:         0
        .size:           1
        .value_kind:     by_value
      - .offset:         4
        .size:           4
        .value_kind:     by_value
      - .offset:         8
        .size:           8
        .value_kind:     by_value
      - .offset:         16
        .size:           4
        .value_kind:     by_value
      - .address_space:  global
        .offset:         24
        .size:           8
        .value_kind:     global_buffer
      - .offset:         32
        .size:           8
        .value_kind:     by_value
      - .offset:         40
        .size:           8
        .value_kind:     by_value
      - .address_space:  global
        .offset:         48
        .size:           8
        .value_kind:     global_buffer
      - .offset:         56
        .size:           8
        .value_kind:     by_value
      - .offset:         64
        .size:           8
        .value_kind:     by_value
      - .address_space:  global
        .offset:         72
        .size:           8
        .value_kind:     global_buffer
      - .offset:         80
        .size:           8
        .value_kind:     by_value
      - .offset:         88
        .size:           8
        .value_kind:     by_value
      - .offset:         96
        .size:           4
        .value_kind:     by_value
    .group_segment_fixed_size: 8192
    .kernarg_segment_align: 8
    .kernarg_segment_size: 100
    .language:       OpenCL C
    .language_version:
      - 2
      - 0
    .max_flat_workgroup_size: 1024
    .name:           _ZL26rocblas_syr2k_her2k_kernelIlLb0ELb0ELb1ELi32EfPKPKfPKPfEvbiT_T4_T5_S7_lS9_S7_lT6_S7_li
    .private_segment_fixed_size: 0
    .sgpr_count:     36
    .sgpr_spill_count: 0
    .symbol:         _ZL26rocblas_syr2k_her2k_kernelIlLb0ELb0ELb1ELi32EfPKPKfPKPfEvbiT_T4_T5_S7_lS9_S7_lT6_S7_li.kd
    .uniform_work_group_size: 1
    .uses_dynamic_stack: false
    .vgpr_count:     29
    .vgpr_spill_count: 0
    .wavefront_size: 64
  - .args:
      - .offset:         0
        .size:           4
        .value_kind:     by_value
      - .offset:         8
        .size:           8
        .value_kind:     by_value
      - .address_space:  global
        .offset:         16
        .size:           8
        .value_kind:     global_buffer
      - .offset:         24
        .size:           8
        .value_kind:     by_value
      - .offset:         32
        .size:           8
        .value_kind:     by_value
      - .address_space:  global
        .offset:         40
        .size:           8
        .value_kind:     global_buffer
      - .offset:         48
        .size:           8
        .value_kind:     by_value
      - .offset:         56
        .size:           8
        .value_kind:     by_value
      - .address_space:  global
        .offset:         64
        .size:           8
        .value_kind:     global_buffer
      - .offset:         72
        .size:           8
        .value_kind:     by_value
      - .offset:         80
        .size:           8
        .value_kind:     by_value
      - .offset:         88
        .size:           4
        .value_kind:     by_value
    .group_segment_fixed_size: 2048
    .kernarg_segment_align: 8
    .kernarg_segment_size: 92
    .language:       OpenCL C
    .language_version:
      - 2
      - 0
    .max_flat_workgroup_size: 256
    .name:           _ZL37rocblas_syrkx_herkx_restricted_kernelIlfLi16ELi32ELi8ELi1ELi1ELb0ELc84ELc76EKPKfKPfEviT_PT9_S5_lS7_S5_lPT10_S5_li
    .private_segment_fixed_size: 0
    .sgpr_count:     28
    .sgpr_spill_count: 0
    .symbol:         _ZL37rocblas_syrkx_herkx_restricted_kernelIlfLi16ELi32ELi8ELi1ELi1ELb0ELc84ELc76EKPKfKPfEviT_PT9_S5_lS7_S5_lPT10_S5_li.kd
    .uniform_work_group_size: 1
    .uses_dynamic_stack: false
    .vgpr_count:     34
    .vgpr_spill_count: 0
    .wavefront_size: 64
  - .args:
      - .offset:         0
        .size:           4
        .value_kind:     by_value
      - .offset:         8
        .size:           8
        .value_kind:     by_value
      - .address_space:  global
        .offset:         16
        .size:           8
        .value_kind:     global_buffer
      - .offset:         24
        .size:           8
        .value_kind:     by_value
      - .offset:         32
        .size:           8
        .value_kind:     by_value
      - .address_space:  global
        .offset:         40
        .size:           8
        .value_kind:     global_buffer
      - .offset:         48
        .size:           8
        .value_kind:     by_value
      - .offset:         56
        .size:           8
        .value_kind:     by_value
      - .address_space:  global
        .offset:         64
        .size:           8
        .value_kind:     global_buffer
      - .offset:         72
        .size:           8
        .value_kind:     by_value
      - .offset:         80
        .size:           8
        .value_kind:     by_value
      - .offset:         88
        .size:           4
        .value_kind:     by_value
    .group_segment_fixed_size: 2048
    .kernarg_segment_align: 8
    .kernarg_segment_size: 92
    .language:       OpenCL C
    .language_version:
      - 2
      - 0
    .max_flat_workgroup_size: 256
    .name:           _ZL37rocblas_syrkx_herkx_restricted_kernelIlfLi16ELi32ELi8ELi1ELi1ELb0ELc67ELc76EKPKfKPfEviT_PT9_S5_lS7_S5_lPT10_S5_li
    .private_segment_fixed_size: 0
    .sgpr_count:     28
    .sgpr_spill_count: 0
    .symbol:         _ZL37rocblas_syrkx_herkx_restricted_kernelIlfLi16ELi32ELi8ELi1ELi1ELb0ELc67ELc76EKPKfKPfEviT_PT9_S5_lS7_S5_lPT10_S5_li.kd
    .uniform_work_group_size: 1
    .uses_dynamic_stack: false
    .vgpr_count:     34
    .vgpr_spill_count: 0
    .wavefront_size: 64
  - .args:
      - .offset:         0
        .size:           4
        .value_kind:     by_value
      - .offset:         8
        .size:           8
        .value_kind:     by_value
      - .address_space:  global
        .offset:         16
        .size:           8
        .value_kind:     global_buffer
      - .offset:         24
        .size:           8
        .value_kind:     by_value
      - .offset:         32
        .size:           8
        .value_kind:     by_value
      - .address_space:  global
        .offset:         40
        .size:           8
        .value_kind:     global_buffer
      - .offset:         48
        .size:           8
        .value_kind:     by_value
      - .offset:         56
        .size:           8
        .value_kind:     by_value
      - .address_space:  global
        .offset:         64
        .size:           8
        .value_kind:     global_buffer
      - .offset:         72
        .size:           8
        .value_kind:     by_value
      - .offset:         80
        .size:           8
        .value_kind:     by_value
      - .offset:         88
        .size:           4
        .value_kind:     by_value
    .group_segment_fixed_size: 2048
    .kernarg_segment_align: 8
    .kernarg_segment_size: 92
    .language:       OpenCL C
    .language_version:
      - 2
      - 0
    .max_flat_workgroup_size: 256
    .name:           _ZL37rocblas_syrkx_herkx_restricted_kernelIlfLi16ELi32ELi8ELi1ELi1ELb0ELc78ELc76EKPKfKPfEviT_PT9_S5_lS7_S5_lPT10_S5_li
    .private_segment_fixed_size: 0
    .sgpr_count:     26
    .sgpr_spill_count: 0
    .symbol:         _ZL37rocblas_syrkx_herkx_restricted_kernelIlfLi16ELi32ELi8ELi1ELi1ELb0ELc78ELc76EKPKfKPfEviT_PT9_S5_lS7_S5_lPT10_S5_li.kd
    .uniform_work_group_size: 1
    .uses_dynamic_stack: false
    .vgpr_count:     34
    .vgpr_spill_count: 0
    .wavefront_size: 64
  - .args:
      - .offset:         0
        .size:           4
        .value_kind:     by_value
      - .offset:         8
        .size:           8
        .value_kind:     by_value
      - .address_space:  global
        .offset:         16
        .size:           8
        .value_kind:     global_buffer
      - .offset:         24
        .size:           8
        .value_kind:     by_value
      - .offset:         32
        .size:           8
        .value_kind:     by_value
      - .address_space:  global
        .offset:         40
        .size:           8
        .value_kind:     global_buffer
      - .offset:         48
        .size:           8
        .value_kind:     by_value
      - .offset:         56
        .size:           8
        .value_kind:     by_value
      - .address_space:  global
        .offset:         64
        .size:           8
        .value_kind:     global_buffer
      - .offset:         72
        .size:           8
        .value_kind:     by_value
      - .offset:         80
        .size:           8
        .value_kind:     by_value
      - .offset:         88
        .size:           4
        .value_kind:     by_value
    .group_segment_fixed_size: 2048
    .kernarg_segment_align: 8
    .kernarg_segment_size: 92
    .language:       OpenCL C
    .language_version:
      - 2
      - 0
    .max_flat_workgroup_size: 256
    .name:           _ZL37rocblas_syrkx_herkx_restricted_kernelIlfLi16ELi32ELi8ELi1ELi1ELb0ELc84ELc85EKPKfKPfEviT_PT9_S5_lS7_S5_lPT10_S5_li
    .private_segment_fixed_size: 0
    .sgpr_count:     28
    .sgpr_spill_count: 0
    .symbol:         _ZL37rocblas_syrkx_herkx_restricted_kernelIlfLi16ELi32ELi8ELi1ELi1ELb0ELc84ELc85EKPKfKPfEviT_PT9_S5_lS7_S5_lPT10_S5_li.kd
    .uniform_work_group_size: 1
    .uses_dynamic_stack: false
    .vgpr_count:     34
    .vgpr_spill_count: 0
    .wavefront_size: 64
  - .args:
      - .offset:         0
        .size:           4
        .value_kind:     by_value
      - .offset:         8
        .size:           8
        .value_kind:     by_value
      - .address_space:  global
        .offset:         16
        .size:           8
        .value_kind:     global_buffer
      - .offset:         24
        .size:           8
        .value_kind:     by_value
      - .offset:         32
        .size:           8
        .value_kind:     by_value
      - .address_space:  global
        .offset:         40
        .size:           8
        .value_kind:     global_buffer
      - .offset:         48
        .size:           8
        .value_kind:     by_value
      - .offset:         56
        .size:           8
        .value_kind:     by_value
      - .address_space:  global
        .offset:         64
        .size:           8
        .value_kind:     global_buffer
      - .offset:         72
        .size:           8
        .value_kind:     by_value
      - .offset:         80
        .size:           8
        .value_kind:     by_value
      - .offset:         88
        .size:           4
        .value_kind:     by_value
    .group_segment_fixed_size: 2048
    .kernarg_segment_align: 8
    .kernarg_segment_size: 92
    .language:       OpenCL C
    .language_version:
      - 2
      - 0
    .max_flat_workgroup_size: 256
    .name:           _ZL37rocblas_syrkx_herkx_restricted_kernelIlfLi16ELi32ELi8ELi1ELi1ELb0ELc67ELc85EKPKfKPfEviT_PT9_S5_lS7_S5_lPT10_S5_li
    .private_segment_fixed_size: 0
    .sgpr_count:     28
    .sgpr_spill_count: 0
    .symbol:         _ZL37rocblas_syrkx_herkx_restricted_kernelIlfLi16ELi32ELi8ELi1ELi1ELb0ELc67ELc85EKPKfKPfEviT_PT9_S5_lS7_S5_lPT10_S5_li.kd
    .uniform_work_group_size: 1
    .uses_dynamic_stack: false
    .vgpr_count:     34
    .vgpr_spill_count: 0
    .wavefront_size: 64
  - .args:
      - .offset:         0
        .size:           4
        .value_kind:     by_value
      - .offset:         8
        .size:           8
        .value_kind:     by_value
      - .address_space:  global
        .offset:         16
        .size:           8
        .value_kind:     global_buffer
      - .offset:         24
        .size:           8
        .value_kind:     by_value
      - .offset:         32
        .size:           8
        .value_kind:     by_value
      - .address_space:  global
        .offset:         40
        .size:           8
        .value_kind:     global_buffer
      - .offset:         48
        .size:           8
        .value_kind:     by_value
      - .offset:         56
        .size:           8
        .value_kind:     by_value
      - .address_space:  global
        .offset:         64
        .size:           8
        .value_kind:     global_buffer
      - .offset:         72
        .size:           8
        .value_kind:     by_value
      - .offset:         80
        .size:           8
        .value_kind:     by_value
      - .offset:         88
        .size:           4
        .value_kind:     by_value
    .group_segment_fixed_size: 2048
    .kernarg_segment_align: 8
    .kernarg_segment_size: 92
    .language:       OpenCL C
    .language_version:
      - 2
      - 0
    .max_flat_workgroup_size: 256
    .name:           _ZL37rocblas_syrkx_herkx_restricted_kernelIlfLi16ELi32ELi8ELi1ELi1ELb0ELc78ELc85EKPKfKPfEviT_PT9_S5_lS7_S5_lPT10_S5_li
    .private_segment_fixed_size: 0
    .sgpr_count:     26
    .sgpr_spill_count: 0
    .symbol:         _ZL37rocblas_syrkx_herkx_restricted_kernelIlfLi16ELi32ELi8ELi1ELi1ELb0ELc78ELc85EKPKfKPfEviT_PT9_S5_lS7_S5_lPT10_S5_li.kd
    .uniform_work_group_size: 1
    .uses_dynamic_stack: false
    .vgpr_count:     34
    .vgpr_spill_count: 0
    .wavefront_size: 64
  - .args:
      - .offset:         0
        .size:           4
        .value_kind:     by_value
      - .offset:         8
        .size:           8
        .value_kind:     by_value
      - .address_space:  global
        .offset:         16
        .size:           8
        .value_kind:     global_buffer
      - .offset:         24
        .size:           8
        .value_kind:     by_value
      - .offset:         32
        .size:           8
        .value_kind:     by_value
      - .address_space:  global
        .offset:         40
        .size:           8
        .value_kind:     global_buffer
      - .offset:         48
        .size:           8
        .value_kind:     by_value
      - .offset:         56
        .size:           8
        .value_kind:     by_value
      - .address_space:  global
        .offset:         64
        .size:           8
        .value_kind:     global_buffer
      - .offset:         72
        .size:           8
        .value_kind:     by_value
      - .offset:         80
        .size:           8
        .value_kind:     by_value
      - .offset:         88
        .size:           4
        .value_kind:     by_value
    .group_segment_fixed_size: 2048
    .kernarg_segment_align: 8
    .kernarg_segment_size: 92
    .language:       OpenCL C
    .language_version:
      - 2
      - 0
    .max_flat_workgroup_size: 256
    .name:           _ZL37rocblas_syrkx_herkx_restricted_kernelIlfLi16ELi32ELi8ELi1ELin1ELb0ELc84ELc76EKPKfKPfEviT_PT9_S5_lS7_S5_lPT10_S5_li
    .private_segment_fixed_size: 0
    .sgpr_count:     28
    .sgpr_spill_count: 0
    .symbol:         _ZL37rocblas_syrkx_herkx_restricted_kernelIlfLi16ELi32ELi8ELi1ELin1ELb0ELc84ELc76EKPKfKPfEviT_PT9_S5_lS7_S5_lPT10_S5_li.kd
    .uniform_work_group_size: 1
    .uses_dynamic_stack: false
    .vgpr_count:     34
    .vgpr_spill_count: 0
    .wavefront_size: 64
  - .args:
      - .offset:         0
        .size:           4
        .value_kind:     by_value
      - .offset:         8
        .size:           8
        .value_kind:     by_value
      - .address_space:  global
        .offset:         16
        .size:           8
        .value_kind:     global_buffer
      - .offset:         24
        .size:           8
        .value_kind:     by_value
      - .offset:         32
        .size:           8
        .value_kind:     by_value
      - .address_space:  global
        .offset:         40
        .size:           8
        .value_kind:     global_buffer
      - .offset:         48
        .size:           8
        .value_kind:     by_value
      - .offset:         56
        .size:           8
        .value_kind:     by_value
      - .address_space:  global
        .offset:         64
        .size:           8
        .value_kind:     global_buffer
      - .offset:         72
        .size:           8
        .value_kind:     by_value
      - .offset:         80
        .size:           8
        .value_kind:     by_value
      - .offset:         88
        .size:           4
        .value_kind:     by_value
    .group_segment_fixed_size: 2048
    .kernarg_segment_align: 8
    .kernarg_segment_size: 92
    .language:       OpenCL C
    .language_version:
      - 2
      - 0
    .max_flat_workgroup_size: 256
    .name:           _ZL37rocblas_syrkx_herkx_restricted_kernelIlfLi16ELi32ELi8ELi1ELin1ELb0ELc67ELc76EKPKfKPfEviT_PT9_S5_lS7_S5_lPT10_S5_li
    .private_segment_fixed_size: 0
    .sgpr_count:     28
    .sgpr_spill_count: 0
    .symbol:         _ZL37rocblas_syrkx_herkx_restricted_kernelIlfLi16ELi32ELi8ELi1ELin1ELb0ELc67ELc76EKPKfKPfEviT_PT9_S5_lS7_S5_lPT10_S5_li.kd
    .uniform_work_group_size: 1
    .uses_dynamic_stack: false
    .vgpr_count:     34
    .vgpr_spill_count: 0
    .wavefront_size: 64
  - .args:
      - .offset:         0
        .size:           4
        .value_kind:     by_value
      - .offset:         8
        .size:           8
        .value_kind:     by_value
      - .address_space:  global
        .offset:         16
        .size:           8
        .value_kind:     global_buffer
      - .offset:         24
        .size:           8
        .value_kind:     by_value
      - .offset:         32
        .size:           8
        .value_kind:     by_value
      - .address_space:  global
        .offset:         40
        .size:           8
        .value_kind:     global_buffer
      - .offset:         48
        .size:           8
        .value_kind:     by_value
      - .offset:         56
        .size:           8
        .value_kind:     by_value
      - .address_space:  global
        .offset:         64
        .size:           8
        .value_kind:     global_buffer
      - .offset:         72
        .size:           8
        .value_kind:     by_value
      - .offset:         80
        .size:           8
        .value_kind:     by_value
      - .offset:         88
        .size:           4
        .value_kind:     by_value
    .group_segment_fixed_size: 2048
    .kernarg_segment_align: 8
    .kernarg_segment_size: 92
    .language:       OpenCL C
    .language_version:
      - 2
      - 0
    .max_flat_workgroup_size: 256
    .name:           _ZL37rocblas_syrkx_herkx_restricted_kernelIlfLi16ELi32ELi8ELi1ELin1ELb0ELc78ELc76EKPKfKPfEviT_PT9_S5_lS7_S5_lPT10_S5_li
    .private_segment_fixed_size: 0
    .sgpr_count:     26
    .sgpr_spill_count: 0
    .symbol:         _ZL37rocblas_syrkx_herkx_restricted_kernelIlfLi16ELi32ELi8ELi1ELin1ELb0ELc78ELc76EKPKfKPfEviT_PT9_S5_lS7_S5_lPT10_S5_li.kd
    .uniform_work_group_size: 1
    .uses_dynamic_stack: false
    .vgpr_count:     34
    .vgpr_spill_count: 0
    .wavefront_size: 64
  - .args:
      - .offset:         0
        .size:           4
        .value_kind:     by_value
      - .offset:         8
        .size:           8
        .value_kind:     by_value
      - .address_space:  global
        .offset:         16
        .size:           8
        .value_kind:     global_buffer
      - .offset:         24
        .size:           8
        .value_kind:     by_value
      - .offset:         32
        .size:           8
        .value_kind:     by_value
      - .address_space:  global
        .offset:         40
        .size:           8
        .value_kind:     global_buffer
      - .offset:         48
        .size:           8
        .value_kind:     by_value
      - .offset:         56
        .size:           8
        .value_kind:     by_value
      - .address_space:  global
        .offset:         64
        .size:           8
        .value_kind:     global_buffer
      - .offset:         72
        .size:           8
        .value_kind:     by_value
      - .offset:         80
        .size:           8
        .value_kind:     by_value
      - .offset:         88
        .size:           4
        .value_kind:     by_value
    .group_segment_fixed_size: 2048
    .kernarg_segment_align: 8
    .kernarg_segment_size: 92
    .language:       OpenCL C
    .language_version:
      - 2
      - 0
    .max_flat_workgroup_size: 256
    .name:           _ZL37rocblas_syrkx_herkx_restricted_kernelIlfLi16ELi32ELi8ELi1ELin1ELb0ELc84ELc85EKPKfKPfEviT_PT9_S5_lS7_S5_lPT10_S5_li
    .private_segment_fixed_size: 0
    .sgpr_count:     28
    .sgpr_spill_count: 0
    .symbol:         _ZL37rocblas_syrkx_herkx_restricted_kernelIlfLi16ELi32ELi8ELi1ELin1ELb0ELc84ELc85EKPKfKPfEviT_PT9_S5_lS7_S5_lPT10_S5_li.kd
    .uniform_work_group_size: 1
    .uses_dynamic_stack: false
    .vgpr_count:     34
    .vgpr_spill_count: 0
    .wavefront_size: 64
  - .args:
      - .offset:         0
        .size:           4
        .value_kind:     by_value
      - .offset:         8
        .size:           8
        .value_kind:     by_value
      - .address_space:  global
        .offset:         16
        .size:           8
        .value_kind:     global_buffer
      - .offset:         24
        .size:           8
        .value_kind:     by_value
      - .offset:         32
        .size:           8
        .value_kind:     by_value
      - .address_space:  global
        .offset:         40
        .size:           8
        .value_kind:     global_buffer
      - .offset:         48
        .size:           8
        .value_kind:     by_value
      - .offset:         56
        .size:           8
        .value_kind:     by_value
      - .address_space:  global
        .offset:         64
        .size:           8
        .value_kind:     global_buffer
      - .offset:         72
        .size:           8
        .value_kind:     by_value
      - .offset:         80
        .size:           8
        .value_kind:     by_value
      - .offset:         88
        .size:           4
        .value_kind:     by_value
    .group_segment_fixed_size: 2048
    .kernarg_segment_align: 8
    .kernarg_segment_size: 92
    .language:       OpenCL C
    .language_version:
      - 2
      - 0
    .max_flat_workgroup_size: 256
    .name:           _ZL37rocblas_syrkx_herkx_restricted_kernelIlfLi16ELi32ELi8ELi1ELin1ELb0ELc67ELc85EKPKfKPfEviT_PT9_S5_lS7_S5_lPT10_S5_li
    .private_segment_fixed_size: 0
    .sgpr_count:     28
    .sgpr_spill_count: 0
    .symbol:         _ZL37rocblas_syrkx_herkx_restricted_kernelIlfLi16ELi32ELi8ELi1ELin1ELb0ELc67ELc85EKPKfKPfEviT_PT9_S5_lS7_S5_lPT10_S5_li.kd
    .uniform_work_group_size: 1
    .uses_dynamic_stack: false
    .vgpr_count:     34
    .vgpr_spill_count: 0
    .wavefront_size: 64
  - .args:
      - .offset:         0
        .size:           4
        .value_kind:     by_value
      - .offset:         8
        .size:           8
        .value_kind:     by_value
      - .address_space:  global
        .offset:         16
        .size:           8
        .value_kind:     global_buffer
      - .offset:         24
        .size:           8
        .value_kind:     by_value
      - .offset:         32
        .size:           8
        .value_kind:     by_value
      - .address_space:  global
        .offset:         40
        .size:           8
        .value_kind:     global_buffer
      - .offset:         48
        .size:           8
        .value_kind:     by_value
      - .offset:         56
        .size:           8
        .value_kind:     by_value
      - .address_space:  global
        .offset:         64
        .size:           8
        .value_kind:     global_buffer
      - .offset:         72
        .size:           8
        .value_kind:     by_value
      - .offset:         80
        .size:           8
        .value_kind:     by_value
      - .offset:         88
        .size:           4
        .value_kind:     by_value
    .group_segment_fixed_size: 2048
    .kernarg_segment_align: 8
    .kernarg_segment_size: 92
    .language:       OpenCL C
    .language_version:
      - 2
      - 0
    .max_flat_workgroup_size: 256
    .name:           _ZL37rocblas_syrkx_herkx_restricted_kernelIlfLi16ELi32ELi8ELi1ELin1ELb0ELc78ELc85EKPKfKPfEviT_PT9_S5_lS7_S5_lPT10_S5_li
    .private_segment_fixed_size: 0
    .sgpr_count:     26
    .sgpr_spill_count: 0
    .symbol:         _ZL37rocblas_syrkx_herkx_restricted_kernelIlfLi16ELi32ELi8ELi1ELin1ELb0ELc78ELc85EKPKfKPfEviT_PT9_S5_lS7_S5_lPT10_S5_li.kd
    .uniform_work_group_size: 1
    .uses_dynamic_stack: false
    .vgpr_count:     34
    .vgpr_spill_count: 0
    .wavefront_size: 64
  - .args:
      - .offset:         0
        .size:           4
        .value_kind:     by_value
      - .offset:         8
        .size:           8
        .value_kind:     by_value
      - .address_space:  global
        .offset:         16
        .size:           8
        .value_kind:     global_buffer
      - .offset:         24
        .size:           8
        .value_kind:     by_value
      - .offset:         32
        .size:           8
        .value_kind:     by_value
      - .address_space:  global
        .offset:         40
        .size:           8
        .value_kind:     global_buffer
      - .offset:         48
        .size:           8
        .value_kind:     by_value
      - .offset:         56
        .size:           8
        .value_kind:     by_value
      - .address_space:  global
        .offset:         64
        .size:           8
        .value_kind:     global_buffer
      - .offset:         72
        .size:           8
        .value_kind:     by_value
      - .offset:         80
        .size:           8
        .value_kind:     by_value
      - .offset:         88
        .size:           4
        .value_kind:     by_value
    .group_segment_fixed_size: 2048
    .kernarg_segment_align: 8
    .kernarg_segment_size: 92
    .language:       OpenCL C
    .language_version:
      - 2
      - 0
    .max_flat_workgroup_size: 256
    .name:           _ZL37rocblas_syrkx_herkx_restricted_kernelIlfLi16ELi32ELi8ELi1ELi0ELb0ELc84ELc76EKPKfKPfEviT_PT9_S5_lS7_S5_lPT10_S5_li
    .private_segment_fixed_size: 0
    .sgpr_count:     28
    .sgpr_spill_count: 0
    .symbol:         _ZL37rocblas_syrkx_herkx_restricted_kernelIlfLi16ELi32ELi8ELi1ELi0ELb0ELc84ELc76EKPKfKPfEviT_PT9_S5_lS7_S5_lPT10_S5_li.kd
    .uniform_work_group_size: 1
    .uses_dynamic_stack: false
    .vgpr_count:     34
    .vgpr_spill_count: 0
    .wavefront_size: 64
  - .args:
      - .offset:         0
        .size:           4
        .value_kind:     by_value
      - .offset:         8
        .size:           8
        .value_kind:     by_value
      - .address_space:  global
        .offset:         16
        .size:           8
        .value_kind:     global_buffer
      - .offset:         24
        .size:           8
        .value_kind:     by_value
      - .offset:         32
        .size:           8
        .value_kind:     by_value
      - .address_space:  global
        .offset:         40
        .size:           8
        .value_kind:     global_buffer
      - .offset:         48
        .size:           8
        .value_kind:     by_value
      - .offset:         56
        .size:           8
        .value_kind:     by_value
      - .address_space:  global
        .offset:         64
        .size:           8
        .value_kind:     global_buffer
      - .offset:         72
        .size:           8
        .value_kind:     by_value
      - .offset:         80
        .size:           8
        .value_kind:     by_value
      - .offset:         88
        .size:           4
        .value_kind:     by_value
    .group_segment_fixed_size: 2048
    .kernarg_segment_align: 8
    .kernarg_segment_size: 92
    .language:       OpenCL C
    .language_version:
      - 2
      - 0
    .max_flat_workgroup_size: 256
    .name:           _ZL37rocblas_syrkx_herkx_restricted_kernelIlfLi16ELi32ELi8ELi1ELi0ELb0ELc67ELc76EKPKfKPfEviT_PT9_S5_lS7_S5_lPT10_S5_li
    .private_segment_fixed_size: 0
    .sgpr_count:     28
    .sgpr_spill_count: 0
    .symbol:         _ZL37rocblas_syrkx_herkx_restricted_kernelIlfLi16ELi32ELi8ELi1ELi0ELb0ELc67ELc76EKPKfKPfEviT_PT9_S5_lS7_S5_lPT10_S5_li.kd
    .uniform_work_group_size: 1
    .uses_dynamic_stack: false
    .vgpr_count:     34
    .vgpr_spill_count: 0
    .wavefront_size: 64
  - .args:
      - .offset:         0
        .size:           4
        .value_kind:     by_value
      - .offset:         8
        .size:           8
        .value_kind:     by_value
      - .address_space:  global
        .offset:         16
        .size:           8
        .value_kind:     global_buffer
      - .offset:         24
        .size:           8
        .value_kind:     by_value
      - .offset:         32
        .size:           8
        .value_kind:     by_value
      - .address_space:  global
        .offset:         40
        .size:           8
        .value_kind:     global_buffer
      - .offset:         48
        .size:           8
        .value_kind:     by_value
      - .offset:         56
        .size:           8
        .value_kind:     by_value
      - .address_space:  global
        .offset:         64
        .size:           8
        .value_kind:     global_buffer
      - .offset:         72
        .size:           8
        .value_kind:     by_value
      - .offset:         80
        .size:           8
        .value_kind:     by_value
      - .offset:         88
        .size:           4
        .value_kind:     by_value
    .group_segment_fixed_size: 2048
    .kernarg_segment_align: 8
    .kernarg_segment_size: 92
    .language:       OpenCL C
    .language_version:
      - 2
      - 0
    .max_flat_workgroup_size: 256
    .name:           _ZL37rocblas_syrkx_herkx_restricted_kernelIlfLi16ELi32ELi8ELi1ELi0ELb0ELc78ELc76EKPKfKPfEviT_PT9_S5_lS7_S5_lPT10_S5_li
    .private_segment_fixed_size: 0
    .sgpr_count:     26
    .sgpr_spill_count: 0
    .symbol:         _ZL37rocblas_syrkx_herkx_restricted_kernelIlfLi16ELi32ELi8ELi1ELi0ELb0ELc78ELc76EKPKfKPfEviT_PT9_S5_lS7_S5_lPT10_S5_li.kd
    .uniform_work_group_size: 1
    .uses_dynamic_stack: false
    .vgpr_count:     34
    .vgpr_spill_count: 0
    .wavefront_size: 64
  - .args:
      - .offset:         0
        .size:           4
        .value_kind:     by_value
      - .offset:         8
        .size:           8
        .value_kind:     by_value
      - .address_space:  global
        .offset:         16
        .size:           8
        .value_kind:     global_buffer
      - .offset:         24
        .size:           8
        .value_kind:     by_value
      - .offset:         32
        .size:           8
        .value_kind:     by_value
      - .address_space:  global
        .offset:         40
        .size:           8
        .value_kind:     global_buffer
      - .offset:         48
        .size:           8
        .value_kind:     by_value
      - .offset:         56
        .size:           8
        .value_kind:     by_value
      - .address_space:  global
        .offset:         64
        .size:           8
        .value_kind:     global_buffer
      - .offset:         72
        .size:           8
        .value_kind:     by_value
      - .offset:         80
        .size:           8
        .value_kind:     by_value
      - .offset:         88
        .size:           4
        .value_kind:     by_value
    .group_segment_fixed_size: 2048
    .kernarg_segment_align: 8
    .kernarg_segment_size: 92
    .language:       OpenCL C
    .language_version:
      - 2
      - 0
    .max_flat_workgroup_size: 256
    .name:           _ZL37rocblas_syrkx_herkx_restricted_kernelIlfLi16ELi32ELi8ELi1ELi0ELb0ELc84ELc85EKPKfKPfEviT_PT9_S5_lS7_S5_lPT10_S5_li
    .private_segment_fixed_size: 0
    .sgpr_count:     28
    .sgpr_spill_count: 0
    .symbol:         _ZL37rocblas_syrkx_herkx_restricted_kernelIlfLi16ELi32ELi8ELi1ELi0ELb0ELc84ELc85EKPKfKPfEviT_PT9_S5_lS7_S5_lPT10_S5_li.kd
    .uniform_work_group_size: 1
    .uses_dynamic_stack: false
    .vgpr_count:     34
    .vgpr_spill_count: 0
    .wavefront_size: 64
  - .args:
      - .offset:         0
        .size:           4
        .value_kind:     by_value
      - .offset:         8
        .size:           8
        .value_kind:     by_value
      - .address_space:  global
        .offset:         16
        .size:           8
        .value_kind:     global_buffer
      - .offset:         24
        .size:           8
        .value_kind:     by_value
      - .offset:         32
        .size:           8
        .value_kind:     by_value
      - .address_space:  global
        .offset:         40
        .size:           8
        .value_kind:     global_buffer
      - .offset:         48
        .size:           8
        .value_kind:     by_value
      - .offset:         56
        .size:           8
        .value_kind:     by_value
      - .address_space:  global
        .offset:         64
        .size:           8
        .value_kind:     global_buffer
      - .offset:         72
        .size:           8
        .value_kind:     by_value
      - .offset:         80
        .size:           8
        .value_kind:     by_value
      - .offset:         88
        .size:           4
        .value_kind:     by_value
    .group_segment_fixed_size: 2048
    .kernarg_segment_align: 8
    .kernarg_segment_size: 92
    .language:       OpenCL C
    .language_version:
      - 2
      - 0
    .max_flat_workgroup_size: 256
    .name:           _ZL37rocblas_syrkx_herkx_restricted_kernelIlfLi16ELi32ELi8ELi1ELi0ELb0ELc67ELc85EKPKfKPfEviT_PT9_S5_lS7_S5_lPT10_S5_li
    .private_segment_fixed_size: 0
    .sgpr_count:     28
    .sgpr_spill_count: 0
    .symbol:         _ZL37rocblas_syrkx_herkx_restricted_kernelIlfLi16ELi32ELi8ELi1ELi0ELb0ELc67ELc85EKPKfKPfEviT_PT9_S5_lS7_S5_lPT10_S5_li.kd
    .uniform_work_group_size: 1
    .uses_dynamic_stack: false
    .vgpr_count:     34
    .vgpr_spill_count: 0
    .wavefront_size: 64
  - .args:
      - .offset:         0
        .size:           4
        .value_kind:     by_value
      - .offset:         8
        .size:           8
        .value_kind:     by_value
      - .address_space:  global
        .offset:         16
        .size:           8
        .value_kind:     global_buffer
      - .offset:         24
        .size:           8
        .value_kind:     by_value
      - .offset:         32
        .size:           8
        .value_kind:     by_value
      - .address_space:  global
        .offset:         40
        .size:           8
        .value_kind:     global_buffer
      - .offset:         48
        .size:           8
        .value_kind:     by_value
      - .offset:         56
        .size:           8
        .value_kind:     by_value
      - .address_space:  global
        .offset:         64
        .size:           8
        .value_kind:     global_buffer
      - .offset:         72
        .size:           8
        .value_kind:     by_value
      - .offset:         80
        .size:           8
        .value_kind:     by_value
      - .offset:         88
        .size:           4
        .value_kind:     by_value
    .group_segment_fixed_size: 2048
    .kernarg_segment_align: 8
    .kernarg_segment_size: 92
    .language:       OpenCL C
    .language_version:
      - 2
      - 0
    .max_flat_workgroup_size: 256
    .name:           _ZL37rocblas_syrkx_herkx_restricted_kernelIlfLi16ELi32ELi8ELi1ELi0ELb0ELc78ELc85EKPKfKPfEviT_PT9_S5_lS7_S5_lPT10_S5_li
    .private_segment_fixed_size: 0
    .sgpr_count:     26
    .sgpr_spill_count: 0
    .symbol:         _ZL37rocblas_syrkx_herkx_restricted_kernelIlfLi16ELi32ELi8ELi1ELi0ELb0ELc78ELc85EKPKfKPfEviT_PT9_S5_lS7_S5_lPT10_S5_li.kd
    .uniform_work_group_size: 1
    .uses_dynamic_stack: false
    .vgpr_count:     34
    .vgpr_spill_count: 0
    .wavefront_size: 64
  - .args:
      - .offset:         0
        .size:           4
        .value_kind:     by_value
      - .offset:         8
        .size:           8
        .value_kind:     by_value
      - .address_space:  global
        .offset:         16
        .size:           8
        .value_kind:     global_buffer
      - .offset:         24
        .size:           8
        .value_kind:     by_value
      - .offset:         32
        .size:           8
        .value_kind:     by_value
      - .address_space:  global
        .offset:         40
        .size:           8
        .value_kind:     global_buffer
      - .offset:         48
        .size:           8
        .value_kind:     by_value
      - .offset:         56
        .size:           8
        .value_kind:     by_value
      - .address_space:  global
        .offset:         64
        .size:           8
        .value_kind:     global_buffer
      - .offset:         72
        .size:           8
        .value_kind:     by_value
      - .offset:         80
        .size:           8
        .value_kind:     by_value
      - .offset:         88
        .size:           4
        .value_kind:     by_value
    .group_segment_fixed_size: 2048
    .kernarg_segment_align: 8
    .kernarg_segment_size: 92
    .language:       OpenCL C
    .language_version:
      - 2
      - 0
    .max_flat_workgroup_size: 256
    .name:           _ZL37rocblas_syrkx_herkx_restricted_kernelIlfLi16ELi32ELi8ELin1ELi0ELb0ELc84ELc76EKPKfKPfEviT_PT9_S5_lS7_S5_lPT10_S5_li
    .private_segment_fixed_size: 0
    .sgpr_count:     28
    .sgpr_spill_count: 0
    .symbol:         _ZL37rocblas_syrkx_herkx_restricted_kernelIlfLi16ELi32ELi8ELin1ELi0ELb0ELc84ELc76EKPKfKPfEviT_PT9_S5_lS7_S5_lPT10_S5_li.kd
    .uniform_work_group_size: 1
    .uses_dynamic_stack: false
    .vgpr_count:     34
    .vgpr_spill_count: 0
    .wavefront_size: 64
  - .args:
      - .offset:         0
        .size:           4
        .value_kind:     by_value
      - .offset:         8
        .size:           8
        .value_kind:     by_value
      - .address_space:  global
        .offset:         16
        .size:           8
        .value_kind:     global_buffer
      - .offset:         24
        .size:           8
        .value_kind:     by_value
      - .offset:         32
        .size:           8
        .value_kind:     by_value
      - .address_space:  global
        .offset:         40
        .size:           8
        .value_kind:     global_buffer
      - .offset:         48
        .size:           8
        .value_kind:     by_value
      - .offset:         56
        .size:           8
        .value_kind:     by_value
      - .address_space:  global
        .offset:         64
        .size:           8
        .value_kind:     global_buffer
      - .offset:         72
        .size:           8
        .value_kind:     by_value
      - .offset:         80
        .size:           8
        .value_kind:     by_value
      - .offset:         88
        .size:           4
        .value_kind:     by_value
    .group_segment_fixed_size: 2048
    .kernarg_segment_align: 8
    .kernarg_segment_size: 92
    .language:       OpenCL C
    .language_version:
      - 2
      - 0
    .max_flat_workgroup_size: 256
    .name:           _ZL37rocblas_syrkx_herkx_restricted_kernelIlfLi16ELi32ELi8ELin1ELi0ELb0ELc67ELc76EKPKfKPfEviT_PT9_S5_lS7_S5_lPT10_S5_li
    .private_segment_fixed_size: 0
    .sgpr_count:     28
    .sgpr_spill_count: 0
    .symbol:         _ZL37rocblas_syrkx_herkx_restricted_kernelIlfLi16ELi32ELi8ELin1ELi0ELb0ELc67ELc76EKPKfKPfEviT_PT9_S5_lS7_S5_lPT10_S5_li.kd
    .uniform_work_group_size: 1
    .uses_dynamic_stack: false
    .vgpr_count:     34
    .vgpr_spill_count: 0
    .wavefront_size: 64
  - .args:
      - .offset:         0
        .size:           4
        .value_kind:     by_value
      - .offset:         8
        .size:           8
        .value_kind:     by_value
      - .address_space:  global
        .offset:         16
        .size:           8
        .value_kind:     global_buffer
      - .offset:         24
        .size:           8
        .value_kind:     by_value
      - .offset:         32
        .size:           8
        .value_kind:     by_value
      - .address_space:  global
        .offset:         40
        .size:           8
        .value_kind:     global_buffer
      - .offset:         48
        .size:           8
        .value_kind:     by_value
      - .offset:         56
        .size:           8
        .value_kind:     by_value
      - .address_space:  global
        .offset:         64
        .size:           8
        .value_kind:     global_buffer
      - .offset:         72
        .size:           8
        .value_kind:     by_value
      - .offset:         80
        .size:           8
        .value_kind:     by_value
      - .offset:         88
        .size:           4
        .value_kind:     by_value
    .group_segment_fixed_size: 2048
    .kernarg_segment_align: 8
    .kernarg_segment_size: 92
    .language:       OpenCL C
    .language_version:
      - 2
      - 0
    .max_flat_workgroup_size: 256
    .name:           _ZL37rocblas_syrkx_herkx_restricted_kernelIlfLi16ELi32ELi8ELin1ELi0ELb0ELc78ELc76EKPKfKPfEviT_PT9_S5_lS7_S5_lPT10_S5_li
    .private_segment_fixed_size: 0
    .sgpr_count:     26
    .sgpr_spill_count: 0
    .symbol:         _ZL37rocblas_syrkx_herkx_restricted_kernelIlfLi16ELi32ELi8ELin1ELi0ELb0ELc78ELc76EKPKfKPfEviT_PT9_S5_lS7_S5_lPT10_S5_li.kd
    .uniform_work_group_size: 1
    .uses_dynamic_stack: false
    .vgpr_count:     34
    .vgpr_spill_count: 0
    .wavefront_size: 64
  - .args:
      - .offset:         0
        .size:           4
        .value_kind:     by_value
      - .offset:         8
        .size:           8
        .value_kind:     by_value
      - .address_space:  global
        .offset:         16
        .size:           8
        .value_kind:     global_buffer
      - .offset:         24
        .size:           8
        .value_kind:     by_value
      - .offset:         32
        .size:           8
        .value_kind:     by_value
      - .address_space:  global
        .offset:         40
        .size:           8
        .value_kind:     global_buffer
      - .offset:         48
        .size:           8
        .value_kind:     by_value
      - .offset:         56
        .size:           8
        .value_kind:     by_value
      - .address_space:  global
        .offset:         64
        .size:           8
        .value_kind:     global_buffer
      - .offset:         72
        .size:           8
        .value_kind:     by_value
      - .offset:         80
        .size:           8
        .value_kind:     by_value
      - .offset:         88
        .size:           4
        .value_kind:     by_value
    .group_segment_fixed_size: 2048
    .kernarg_segment_align: 8
    .kernarg_segment_size: 92
    .language:       OpenCL C
    .language_version:
      - 2
      - 0
    .max_flat_workgroup_size: 256
    .name:           _ZL37rocblas_syrkx_herkx_restricted_kernelIlfLi16ELi32ELi8ELin1ELi0ELb0ELc84ELc85EKPKfKPfEviT_PT9_S5_lS7_S5_lPT10_S5_li
    .private_segment_fixed_size: 0
    .sgpr_count:     28
    .sgpr_spill_count: 0
    .symbol:         _ZL37rocblas_syrkx_herkx_restricted_kernelIlfLi16ELi32ELi8ELin1ELi0ELb0ELc84ELc85EKPKfKPfEviT_PT9_S5_lS7_S5_lPT10_S5_li.kd
    .uniform_work_group_size: 1
    .uses_dynamic_stack: false
    .vgpr_count:     34
    .vgpr_spill_count: 0
    .wavefront_size: 64
  - .args:
      - .offset:         0
        .size:           4
        .value_kind:     by_value
      - .offset:         8
        .size:           8
        .value_kind:     by_value
      - .address_space:  global
        .offset:         16
        .size:           8
        .value_kind:     global_buffer
      - .offset:         24
        .size:           8
        .value_kind:     by_value
      - .offset:         32
        .size:           8
        .value_kind:     by_value
      - .address_space:  global
        .offset:         40
        .size:           8
        .value_kind:     global_buffer
      - .offset:         48
        .size:           8
        .value_kind:     by_value
      - .offset:         56
        .size:           8
        .value_kind:     by_value
      - .address_space:  global
        .offset:         64
        .size:           8
        .value_kind:     global_buffer
      - .offset:         72
        .size:           8
        .value_kind:     by_value
      - .offset:         80
        .size:           8
        .value_kind:     by_value
      - .offset:         88
        .size:           4
        .value_kind:     by_value
    .group_segment_fixed_size: 2048
    .kernarg_segment_align: 8
    .kernarg_segment_size: 92
    .language:       OpenCL C
    .language_version:
      - 2
      - 0
    .max_flat_workgroup_size: 256
    .name:           _ZL37rocblas_syrkx_herkx_restricted_kernelIlfLi16ELi32ELi8ELin1ELi0ELb0ELc67ELc85EKPKfKPfEviT_PT9_S5_lS7_S5_lPT10_S5_li
    .private_segment_fixed_size: 0
    .sgpr_count:     28
    .sgpr_spill_count: 0
    .symbol:         _ZL37rocblas_syrkx_herkx_restricted_kernelIlfLi16ELi32ELi8ELin1ELi0ELb0ELc67ELc85EKPKfKPfEviT_PT9_S5_lS7_S5_lPT10_S5_li.kd
    .uniform_work_group_size: 1
    .uses_dynamic_stack: false
    .vgpr_count:     34
    .vgpr_spill_count: 0
    .wavefront_size: 64
  - .args:
      - .offset:         0
        .size:           4
        .value_kind:     by_value
      - .offset:         8
        .size:           8
        .value_kind:     by_value
      - .address_space:  global
        .offset:         16
        .size:           8
        .value_kind:     global_buffer
      - .offset:         24
        .size:           8
        .value_kind:     by_value
      - .offset:         32
        .size:           8
        .value_kind:     by_value
      - .address_space:  global
        .offset:         40
        .size:           8
        .value_kind:     global_buffer
      - .offset:         48
        .size:           8
        .value_kind:     by_value
      - .offset:         56
        .size:           8
        .value_kind:     by_value
      - .address_space:  global
        .offset:         64
        .size:           8
        .value_kind:     global_buffer
      - .offset:         72
        .size:           8
        .value_kind:     by_value
      - .offset:         80
        .size:           8
        .value_kind:     by_value
      - .offset:         88
        .size:           4
        .value_kind:     by_value
    .group_segment_fixed_size: 2048
    .kernarg_segment_align: 8
    .kernarg_segment_size: 92
    .language:       OpenCL C
    .language_version:
      - 2
      - 0
    .max_flat_workgroup_size: 256
    .name:           _ZL37rocblas_syrkx_herkx_restricted_kernelIlfLi16ELi32ELi8ELin1ELi0ELb0ELc78ELc85EKPKfKPfEviT_PT9_S5_lS7_S5_lPT10_S5_li
    .private_segment_fixed_size: 0
    .sgpr_count:     26
    .sgpr_spill_count: 0
    .symbol:         _ZL37rocblas_syrkx_herkx_restricted_kernelIlfLi16ELi32ELi8ELin1ELi0ELb0ELc78ELc85EKPKfKPfEviT_PT9_S5_lS7_S5_lPT10_S5_li.kd
    .uniform_work_group_size: 1
    .uses_dynamic_stack: false
    .vgpr_count:     34
    .vgpr_spill_count: 0
    .wavefront_size: 64
  - .args:
      - .offset:         0
        .size:           4
        .value_kind:     by_value
      - .offset:         8
        .size:           8
        .value_kind:     by_value
      - .offset:         16
        .size:           4
        .value_kind:     by_value
      - .address_space:  global
        .offset:         24
        .size:           8
        .value_kind:     global_buffer
      - .offset:         32
        .size:           8
        .value_kind:     by_value
      - .offset:         40
        .size:           8
        .value_kind:     by_value
      - .address_space:  global
        .offset:         48
        .size:           8
        .value_kind:     global_buffer
      - .offset:         56
        .size:           8
        .value_kind:     by_value
      - .offset:         64
        .size:           8
        .value_kind:     by_value
      - .offset:         72
        .size:           4
        .value_kind:     by_value
      - .address_space:  global
        .offset:         80
        .size:           8
        .value_kind:     global_buffer
      - .offset:         88
        .size:           8
        .value_kind:     by_value
      - .offset:         96
        .size:           8
        .value_kind:     by_value
      - .offset:         104
        .size:           4
        .value_kind:     by_value
    .group_segment_fixed_size: 2048
    .kernarg_segment_align: 8
    .kernarg_segment_size: 108
    .language:       OpenCL C
    .language_version:
      - 2
      - 0
    .max_flat_workgroup_size: 256
    .name:           _ZL37rocblas_syrkx_herkx_restricted_kernelIlfLi16ELi32ELi8ELb1ELb0ELc84ELc76EKPKfKPfEviT_T0_PT8_S5_lS8_S5_lS6_PT9_S5_li
    .private_segment_fixed_size: 0
    .sgpr_count:     28
    .sgpr_spill_count: 0
    .symbol:         _ZL37rocblas_syrkx_herkx_restricted_kernelIlfLi16ELi32ELi8ELb1ELb0ELc84ELc76EKPKfKPfEviT_T0_PT8_S5_lS8_S5_lS6_PT9_S5_li.kd
    .uniform_work_group_size: 1
    .uses_dynamic_stack: false
    .vgpr_count:     34
    .vgpr_spill_count: 0
    .wavefront_size: 64
  - .args:
      - .offset:         0
        .size:           4
        .value_kind:     by_value
      - .offset:         8
        .size:           8
        .value_kind:     by_value
      - .offset:         16
        .size:           4
        .value_kind:     by_value
      - .address_space:  global
        .offset:         24
        .size:           8
        .value_kind:     global_buffer
      - .offset:         32
        .size:           8
        .value_kind:     by_value
      - .offset:         40
        .size:           8
        .value_kind:     by_value
      - .address_space:  global
        .offset:         48
        .size:           8
        .value_kind:     global_buffer
      - .offset:         56
        .size:           8
        .value_kind:     by_value
      - .offset:         64
        .size:           8
        .value_kind:     by_value
      - .offset:         72
        .size:           4
        .value_kind:     by_value
      - .address_space:  global
        .offset:         80
        .size:           8
        .value_kind:     global_buffer
      - .offset:         88
        .size:           8
        .value_kind:     by_value
      - .offset:         96
        .size:           8
        .value_kind:     by_value
      - .offset:         104
        .size:           4
        .value_kind:     by_value
    .group_segment_fixed_size: 2048
    .kernarg_segment_align: 8
    .kernarg_segment_size: 108
    .language:       OpenCL C
    .language_version:
      - 2
      - 0
    .max_flat_workgroup_size: 256
    .name:           _ZL37rocblas_syrkx_herkx_restricted_kernelIlfLi16ELi32ELi8ELb1ELb0ELc67ELc76EKPKfKPfEviT_T0_PT8_S5_lS8_S5_lS6_PT9_S5_li
    .private_segment_fixed_size: 0
    .sgpr_count:     28
    .sgpr_spill_count: 0
    .symbol:         _ZL37rocblas_syrkx_herkx_restricted_kernelIlfLi16ELi32ELi8ELb1ELb0ELc67ELc76EKPKfKPfEviT_T0_PT8_S5_lS8_S5_lS6_PT9_S5_li.kd
    .uniform_work_group_size: 1
    .uses_dynamic_stack: false
    .vgpr_count:     34
    .vgpr_spill_count: 0
    .wavefront_size: 64
  - .args:
      - .offset:         0
        .size:           4
        .value_kind:     by_value
      - .offset:         8
        .size:           8
        .value_kind:     by_value
      - .offset:         16
        .size:           4
        .value_kind:     by_value
      - .address_space:  global
        .offset:         24
        .size:           8
        .value_kind:     global_buffer
      - .offset:         32
        .size:           8
        .value_kind:     by_value
      - .offset:         40
        .size:           8
        .value_kind:     by_value
      - .address_space:  global
        .offset:         48
        .size:           8
        .value_kind:     global_buffer
      - .offset:         56
        .size:           8
        .value_kind:     by_value
      - .offset:         64
        .size:           8
        .value_kind:     by_value
      - .offset:         72
        .size:           4
        .value_kind:     by_value
      - .address_space:  global
        .offset:         80
        .size:           8
        .value_kind:     global_buffer
      - .offset:         88
        .size:           8
        .value_kind:     by_value
      - .offset:         96
        .size:           8
        .value_kind:     by_value
      - .offset:         104
        .size:           4
        .value_kind:     by_value
    .group_segment_fixed_size: 2048
    .kernarg_segment_align: 8
    .kernarg_segment_size: 108
    .language:       OpenCL C
    .language_version:
      - 2
      - 0
    .max_flat_workgroup_size: 256
    .name:           _ZL37rocblas_syrkx_herkx_restricted_kernelIlfLi16ELi32ELi8ELb1ELb0ELc78ELc76EKPKfKPfEviT_T0_PT8_S5_lS8_S5_lS6_PT9_S5_li
    .private_segment_fixed_size: 0
    .sgpr_count:     26
    .sgpr_spill_count: 0
    .symbol:         _ZL37rocblas_syrkx_herkx_restricted_kernelIlfLi16ELi32ELi8ELb1ELb0ELc78ELc76EKPKfKPfEviT_T0_PT8_S5_lS8_S5_lS6_PT9_S5_li.kd
    .uniform_work_group_size: 1
    .uses_dynamic_stack: false
    .vgpr_count:     34
    .vgpr_spill_count: 0
    .wavefront_size: 64
  - .args:
      - .offset:         0
        .size:           4
        .value_kind:     by_value
      - .offset:         8
        .size:           8
        .value_kind:     by_value
      - .offset:         16
        .size:           4
        .value_kind:     by_value
      - .address_space:  global
        .offset:         24
        .size:           8
        .value_kind:     global_buffer
      - .offset:         32
        .size:           8
        .value_kind:     by_value
      - .offset:         40
        .size:           8
        .value_kind:     by_value
      - .address_space:  global
        .offset:         48
        .size:           8
        .value_kind:     global_buffer
      - .offset:         56
        .size:           8
        .value_kind:     by_value
      - .offset:         64
        .size:           8
        .value_kind:     by_value
      - .offset:         72
        .size:           4
        .value_kind:     by_value
      - .address_space:  global
        .offset:         80
        .size:           8
        .value_kind:     global_buffer
      - .offset:         88
        .size:           8
        .value_kind:     by_value
      - .offset:         96
        .size:           8
        .value_kind:     by_value
      - .offset:         104
        .size:           4
        .value_kind:     by_value
    .group_segment_fixed_size: 2048
    .kernarg_segment_align: 8
    .kernarg_segment_size: 108
    .language:       OpenCL C
    .language_version:
      - 2
      - 0
    .max_flat_workgroup_size: 256
    .name:           _ZL37rocblas_syrkx_herkx_restricted_kernelIlfLi16ELi32ELi8ELb1ELb0ELc84ELc85EKPKfKPfEviT_T0_PT8_S5_lS8_S5_lS6_PT9_S5_li
    .private_segment_fixed_size: 0
    .sgpr_count:     28
    .sgpr_spill_count: 0
    .symbol:         _ZL37rocblas_syrkx_herkx_restricted_kernelIlfLi16ELi32ELi8ELb1ELb0ELc84ELc85EKPKfKPfEviT_T0_PT8_S5_lS8_S5_lS6_PT9_S5_li.kd
    .uniform_work_group_size: 1
    .uses_dynamic_stack: false
    .vgpr_count:     34
    .vgpr_spill_count: 0
    .wavefront_size: 64
  - .args:
      - .offset:         0
        .size:           4
        .value_kind:     by_value
      - .offset:         8
        .size:           8
        .value_kind:     by_value
      - .offset:         16
        .size:           4
        .value_kind:     by_value
      - .address_space:  global
        .offset:         24
        .size:           8
        .value_kind:     global_buffer
      - .offset:         32
        .size:           8
        .value_kind:     by_value
      - .offset:         40
        .size:           8
        .value_kind:     by_value
      - .address_space:  global
        .offset:         48
        .size:           8
        .value_kind:     global_buffer
      - .offset:         56
        .size:           8
        .value_kind:     by_value
      - .offset:         64
        .size:           8
        .value_kind:     by_value
      - .offset:         72
        .size:           4
        .value_kind:     by_value
      - .address_space:  global
        .offset:         80
        .size:           8
        .value_kind:     global_buffer
      - .offset:         88
        .size:           8
        .value_kind:     by_value
      - .offset:         96
        .size:           8
        .value_kind:     by_value
      - .offset:         104
        .size:           4
        .value_kind:     by_value
    .group_segment_fixed_size: 2048
    .kernarg_segment_align: 8
    .kernarg_segment_size: 108
    .language:       OpenCL C
    .language_version:
      - 2
      - 0
    .max_flat_workgroup_size: 256
    .name:           _ZL37rocblas_syrkx_herkx_restricted_kernelIlfLi16ELi32ELi8ELb1ELb0ELc67ELc85EKPKfKPfEviT_T0_PT8_S5_lS8_S5_lS6_PT9_S5_li
    .private_segment_fixed_size: 0
    .sgpr_count:     28
    .sgpr_spill_count: 0
    .symbol:         _ZL37rocblas_syrkx_herkx_restricted_kernelIlfLi16ELi32ELi8ELb1ELb0ELc67ELc85EKPKfKPfEviT_T0_PT8_S5_lS8_S5_lS6_PT9_S5_li.kd
    .uniform_work_group_size: 1
    .uses_dynamic_stack: false
    .vgpr_count:     34
    .vgpr_spill_count: 0
    .wavefront_size: 64
  - .args:
      - .offset:         0
        .size:           4
        .value_kind:     by_value
      - .offset:         8
        .size:           8
        .value_kind:     by_value
      - .offset:         16
        .size:           4
        .value_kind:     by_value
      - .address_space:  global
        .offset:         24
        .size:           8
        .value_kind:     global_buffer
      - .offset:         32
        .size:           8
        .value_kind:     by_value
      - .offset:         40
        .size:           8
        .value_kind:     by_value
      - .address_space:  global
        .offset:         48
        .size:           8
        .value_kind:     global_buffer
      - .offset:         56
        .size:           8
        .value_kind:     by_value
      - .offset:         64
        .size:           8
        .value_kind:     by_value
      - .offset:         72
        .size:           4
        .value_kind:     by_value
      - .address_space:  global
        .offset:         80
        .size:           8
        .value_kind:     global_buffer
      - .offset:         88
        .size:           8
        .value_kind:     by_value
      - .offset:         96
        .size:           8
        .value_kind:     by_value
      - .offset:         104
        .size:           4
        .value_kind:     by_value
    .group_segment_fixed_size: 2048
    .kernarg_segment_align: 8
    .kernarg_segment_size: 108
    .language:       OpenCL C
    .language_version:
      - 2
      - 0
    .max_flat_workgroup_size: 256
    .name:           _ZL37rocblas_syrkx_herkx_restricted_kernelIlfLi16ELi32ELi8ELb1ELb0ELc78ELc85EKPKfKPfEviT_T0_PT8_S5_lS8_S5_lS6_PT9_S5_li
    .private_segment_fixed_size: 0
    .sgpr_count:     28
    .sgpr_spill_count: 0
    .symbol:         _ZL37rocblas_syrkx_herkx_restricted_kernelIlfLi16ELi32ELi8ELb1ELb0ELc78ELc85EKPKfKPfEviT_T0_PT8_S5_lS8_S5_lS6_PT9_S5_li.kd
    .uniform_work_group_size: 1
    .uses_dynamic_stack: false
    .vgpr_count:     34
    .vgpr_spill_count: 0
    .wavefront_size: 64
  - .args:
      - .offset:         0
        .size:           4
        .value_kind:     by_value
      - .offset:         8
        .size:           8
        .value_kind:     by_value
      - .offset:         16
        .size:           4
        .value_kind:     by_value
      - .address_space:  global
        .offset:         24
        .size:           8
        .value_kind:     global_buffer
      - .offset:         32
        .size:           8
        .value_kind:     by_value
      - .offset:         40
        .size:           8
        .value_kind:     by_value
      - .address_space:  global
        .offset:         48
        .size:           8
        .value_kind:     global_buffer
      - .offset:         56
        .size:           8
        .value_kind:     by_value
      - .offset:         64
        .size:           8
        .value_kind:     by_value
      - .offset:         72
        .size:           4
        .value_kind:     by_value
      - .address_space:  global
        .offset:         80
        .size:           8
        .value_kind:     global_buffer
      - .offset:         88
        .size:           8
        .value_kind:     by_value
      - .offset:         96
        .size:           8
        .value_kind:     by_value
      - .offset:         104
        .size:           4
        .value_kind:     by_value
    .group_segment_fixed_size: 2048
    .kernarg_segment_align: 8
    .kernarg_segment_size: 108
    .language:       OpenCL C
    .language_version:
      - 2
      - 0
    .max_flat_workgroup_size: 256
    .name:           _ZL37rocblas_syrkx_herkx_restricted_kernelIlfLi16ELi32ELi8ELb0ELb0ELc84ELc76EKPKfKPfEviT_T0_PT8_S5_lS8_S5_lS6_PT9_S5_li
    .private_segment_fixed_size: 0
    .sgpr_count:     28
    .sgpr_spill_count: 0
    .symbol:         _ZL37rocblas_syrkx_herkx_restricted_kernelIlfLi16ELi32ELi8ELb0ELb0ELc84ELc76EKPKfKPfEviT_T0_PT8_S5_lS8_S5_lS6_PT9_S5_li.kd
    .uniform_work_group_size: 1
    .uses_dynamic_stack: false
    .vgpr_count:     34
    .vgpr_spill_count: 0
    .wavefront_size: 64
  - .args:
      - .offset:         0
        .size:           4
        .value_kind:     by_value
      - .offset:         8
        .size:           8
        .value_kind:     by_value
      - .offset:         16
        .size:           4
        .value_kind:     by_value
      - .address_space:  global
        .offset:         24
        .size:           8
        .value_kind:     global_buffer
      - .offset:         32
        .size:           8
        .value_kind:     by_value
      - .offset:         40
        .size:           8
        .value_kind:     by_value
      - .address_space:  global
        .offset:         48
        .size:           8
        .value_kind:     global_buffer
      - .offset:         56
        .size:           8
        .value_kind:     by_value
      - .offset:         64
        .size:           8
        .value_kind:     by_value
      - .offset:         72
        .size:           4
        .value_kind:     by_value
      - .address_space:  global
        .offset:         80
        .size:           8
        .value_kind:     global_buffer
      - .offset:         88
        .size:           8
        .value_kind:     by_value
      - .offset:         96
        .size:           8
        .value_kind:     by_value
      - .offset:         104
        .size:           4
        .value_kind:     by_value
    .group_segment_fixed_size: 2048
    .kernarg_segment_align: 8
    .kernarg_segment_size: 108
    .language:       OpenCL C
    .language_version:
      - 2
      - 0
    .max_flat_workgroup_size: 256
    .name:           _ZL37rocblas_syrkx_herkx_restricted_kernelIlfLi16ELi32ELi8ELb0ELb0ELc67ELc76EKPKfKPfEviT_T0_PT8_S5_lS8_S5_lS6_PT9_S5_li
    .private_segment_fixed_size: 0
    .sgpr_count:     28
    .sgpr_spill_count: 0
    .symbol:         _ZL37rocblas_syrkx_herkx_restricted_kernelIlfLi16ELi32ELi8ELb0ELb0ELc67ELc76EKPKfKPfEviT_T0_PT8_S5_lS8_S5_lS6_PT9_S5_li.kd
    .uniform_work_group_size: 1
    .uses_dynamic_stack: false
    .vgpr_count:     34
    .vgpr_spill_count: 0
    .wavefront_size: 64
  - .args:
      - .offset:         0
        .size:           4
        .value_kind:     by_value
      - .offset:         8
        .size:           8
        .value_kind:     by_value
      - .offset:         16
        .size:           4
        .value_kind:     by_value
      - .address_space:  global
        .offset:         24
        .size:           8
        .value_kind:     global_buffer
      - .offset:         32
        .size:           8
        .value_kind:     by_value
      - .offset:         40
        .size:           8
        .value_kind:     by_value
      - .address_space:  global
        .offset:         48
        .size:           8
        .value_kind:     global_buffer
      - .offset:         56
        .size:           8
        .value_kind:     by_value
      - .offset:         64
        .size:           8
        .value_kind:     by_value
      - .offset:         72
        .size:           4
        .value_kind:     by_value
      - .address_space:  global
        .offset:         80
        .size:           8
        .value_kind:     global_buffer
      - .offset:         88
        .size:           8
        .value_kind:     by_value
      - .offset:         96
        .size:           8
        .value_kind:     by_value
      - .offset:         104
        .size:           4
        .value_kind:     by_value
    .group_segment_fixed_size: 2048
    .kernarg_segment_align: 8
    .kernarg_segment_size: 108
    .language:       OpenCL C
    .language_version:
      - 2
      - 0
    .max_flat_workgroup_size: 256
    .name:           _ZL37rocblas_syrkx_herkx_restricted_kernelIlfLi16ELi32ELi8ELb0ELb0ELc78ELc76EKPKfKPfEviT_T0_PT8_S5_lS8_S5_lS6_PT9_S5_li
    .private_segment_fixed_size: 0
    .sgpr_count:     26
    .sgpr_spill_count: 0
    .symbol:         _ZL37rocblas_syrkx_herkx_restricted_kernelIlfLi16ELi32ELi8ELb0ELb0ELc78ELc76EKPKfKPfEviT_T0_PT8_S5_lS8_S5_lS6_PT9_S5_li.kd
    .uniform_work_group_size: 1
    .uses_dynamic_stack: false
    .vgpr_count:     34
    .vgpr_spill_count: 0
    .wavefront_size: 64
  - .args:
      - .offset:         0
        .size:           4
        .value_kind:     by_value
      - .offset:         8
        .size:           8
        .value_kind:     by_value
      - .offset:         16
        .size:           4
        .value_kind:     by_value
      - .address_space:  global
        .offset:         24
        .size:           8
        .value_kind:     global_buffer
      - .offset:         32
        .size:           8
        .value_kind:     by_value
      - .offset:         40
        .size:           8
        .value_kind:     by_value
      - .address_space:  global
        .offset:         48
        .size:           8
        .value_kind:     global_buffer
      - .offset:         56
        .size:           8
        .value_kind:     by_value
      - .offset:         64
        .size:           8
        .value_kind:     by_value
      - .offset:         72
        .size:           4
        .value_kind:     by_value
      - .address_space:  global
        .offset:         80
        .size:           8
        .value_kind:     global_buffer
      - .offset:         88
        .size:           8
        .value_kind:     by_value
      - .offset:         96
        .size:           8
        .value_kind:     by_value
      - .offset:         104
        .size:           4
        .value_kind:     by_value
    .group_segment_fixed_size: 2048
    .kernarg_segment_align: 8
    .kernarg_segment_size: 108
    .language:       OpenCL C
    .language_version:
      - 2
      - 0
    .max_flat_workgroup_size: 256
    .name:           _ZL37rocblas_syrkx_herkx_restricted_kernelIlfLi16ELi32ELi8ELb0ELb0ELc84ELc85EKPKfKPfEviT_T0_PT8_S5_lS8_S5_lS6_PT9_S5_li
    .private_segment_fixed_size: 0
    .sgpr_count:     28
    .sgpr_spill_count: 0
    .symbol:         _ZL37rocblas_syrkx_herkx_restricted_kernelIlfLi16ELi32ELi8ELb0ELb0ELc84ELc85EKPKfKPfEviT_T0_PT8_S5_lS8_S5_lS6_PT9_S5_li.kd
    .uniform_work_group_size: 1
    .uses_dynamic_stack: false
    .vgpr_count:     34
    .vgpr_spill_count: 0
    .wavefront_size: 64
  - .args:
      - .offset:         0
        .size:           4
        .value_kind:     by_value
      - .offset:         8
        .size:           8
        .value_kind:     by_value
      - .offset:         16
        .size:           4
        .value_kind:     by_value
      - .address_space:  global
        .offset:         24
        .size:           8
        .value_kind:     global_buffer
      - .offset:         32
        .size:           8
        .value_kind:     by_value
      - .offset:         40
        .size:           8
        .value_kind:     by_value
      - .address_space:  global
        .offset:         48
        .size:           8
        .value_kind:     global_buffer
      - .offset:         56
        .size:           8
        .value_kind:     by_value
      - .offset:         64
        .size:           8
        .value_kind:     by_value
      - .offset:         72
        .size:           4
        .value_kind:     by_value
      - .address_space:  global
        .offset:         80
        .size:           8
        .value_kind:     global_buffer
      - .offset:         88
        .size:           8
        .value_kind:     by_value
      - .offset:         96
        .size:           8
        .value_kind:     by_value
      - .offset:         104
        .size:           4
        .value_kind:     by_value
    .group_segment_fixed_size: 2048
    .kernarg_segment_align: 8
    .kernarg_segment_size: 108
    .language:       OpenCL C
    .language_version:
      - 2
      - 0
    .max_flat_workgroup_size: 256
    .name:           _ZL37rocblas_syrkx_herkx_restricted_kernelIlfLi16ELi32ELi8ELb0ELb0ELc67ELc85EKPKfKPfEviT_T0_PT8_S5_lS8_S5_lS6_PT9_S5_li
    .private_segment_fixed_size: 0
    .sgpr_count:     28
    .sgpr_spill_count: 0
    .symbol:         _ZL37rocblas_syrkx_herkx_restricted_kernelIlfLi16ELi32ELi8ELb0ELb0ELc67ELc85EKPKfKPfEviT_T0_PT8_S5_lS8_S5_lS6_PT9_S5_li.kd
    .uniform_work_group_size: 1
    .uses_dynamic_stack: false
    .vgpr_count:     34
    .vgpr_spill_count: 0
    .wavefront_size: 64
  - .args:
      - .offset:         0
        .size:           4
        .value_kind:     by_value
      - .offset:         8
        .size:           8
        .value_kind:     by_value
      - .offset:         16
        .size:           4
        .value_kind:     by_value
      - .address_space:  global
        .offset:         24
        .size:           8
        .value_kind:     global_buffer
      - .offset:         32
        .size:           8
        .value_kind:     by_value
      - .offset:         40
        .size:           8
        .value_kind:     by_value
      - .address_space:  global
        .offset:         48
        .size:           8
        .value_kind:     global_buffer
      - .offset:         56
        .size:           8
        .value_kind:     by_value
      - .offset:         64
        .size:           8
        .value_kind:     by_value
      - .offset:         72
        .size:           4
        .value_kind:     by_value
      - .address_space:  global
        .offset:         80
        .size:           8
        .value_kind:     global_buffer
      - .offset:         88
        .size:           8
        .value_kind:     by_value
      - .offset:         96
        .size:           8
        .value_kind:     by_value
      - .offset:         104
        .size:           4
        .value_kind:     by_value
    .group_segment_fixed_size: 2048
    .kernarg_segment_align: 8
    .kernarg_segment_size: 108
    .language:       OpenCL C
    .language_version:
      - 2
      - 0
    .max_flat_workgroup_size: 256
    .name:           _ZL37rocblas_syrkx_herkx_restricted_kernelIlfLi16ELi32ELi8ELb0ELb0ELc78ELc85EKPKfKPfEviT_T0_PT8_S5_lS8_S5_lS6_PT9_S5_li
    .private_segment_fixed_size: 0
    .sgpr_count:     28
    .sgpr_spill_count: 0
    .symbol:         _ZL37rocblas_syrkx_herkx_restricted_kernelIlfLi16ELi32ELi8ELb0ELb0ELc78ELc85EKPKfKPfEviT_T0_PT8_S5_lS8_S5_lS6_PT9_S5_li.kd
    .uniform_work_group_size: 1
    .uses_dynamic_stack: false
    .vgpr_count:     34
    .vgpr_spill_count: 0
    .wavefront_size: 64
  - .args:
      - .offset:         0
        .size:           4
        .value_kind:     by_value
      - .offset:         8
        .size:           8
        .value_kind:     by_value
      - .offset:         16
        .size:           4
        .value_kind:     by_value
      - .address_space:  global
        .offset:         24
        .size:           8
        .value_kind:     global_buffer
      - .offset:         32
        .size:           8
        .value_kind:     by_value
      - .offset:         40
        .size:           8
        .value_kind:     by_value
      - .address_space:  global
        .offset:         48
        .size:           8
        .value_kind:     global_buffer
      - .offset:         56
        .size:           8
        .value_kind:     by_value
      - .offset:         64
        .size:           8
        .value_kind:     by_value
      - .offset:         72
        .size:           4
        .value_kind:     by_value
      - .address_space:  global
        .offset:         80
        .size:           8
        .value_kind:     global_buffer
      - .offset:         88
        .size:           8
        .value_kind:     by_value
      - .offset:         96
        .size:           8
        .value_kind:     by_value
      - .offset:         104
        .size:           4
        .value_kind:     by_value
    .group_segment_fixed_size: 2048
    .kernarg_segment_align: 8
    .kernarg_segment_size: 108
    .language:       OpenCL C
    .language_version:
      - 2
      - 0
    .max_flat_workgroup_size: 256
    .name:           _ZL41rocblas_syrkx_herkx_small_restrict_kernelIlfLi16ELb1ELb0ELc84ELc76EKPKfKPfEviT_T0_PT6_S5_lS8_S5_lS6_PT7_S5_li
    .private_segment_fixed_size: 0
    .sgpr_count:     28
    .sgpr_spill_count: 0
    .symbol:         _ZL41rocblas_syrkx_herkx_small_restrict_kernelIlfLi16ELb1ELb0ELc84ELc76EKPKfKPfEviT_T0_PT6_S5_lS8_S5_lS6_PT7_S5_li.kd
    .uniform_work_group_size: 1
    .uses_dynamic_stack: false
    .vgpr_count:     21
    .vgpr_spill_count: 0
    .wavefront_size: 64
  - .args:
      - .offset:         0
        .size:           4
        .value_kind:     by_value
      - .offset:         8
        .size:           8
        .value_kind:     by_value
      - .offset:         16
        .size:           4
        .value_kind:     by_value
      - .address_space:  global
        .offset:         24
        .size:           8
        .value_kind:     global_buffer
      - .offset:         32
        .size:           8
        .value_kind:     by_value
      - .offset:         40
        .size:           8
        .value_kind:     by_value
      - .address_space:  global
        .offset:         48
        .size:           8
        .value_kind:     global_buffer
      - .offset:         56
        .size:           8
        .value_kind:     by_value
      - .offset:         64
        .size:           8
        .value_kind:     by_value
      - .offset:         72
        .size:           4
        .value_kind:     by_value
      - .address_space:  global
        .offset:         80
        .size:           8
        .value_kind:     global_buffer
      - .offset:         88
        .size:           8
        .value_kind:     by_value
      - .offset:         96
        .size:           8
        .value_kind:     by_value
      - .offset:         104
        .size:           4
        .value_kind:     by_value
    .group_segment_fixed_size: 2048
    .kernarg_segment_align: 8
    .kernarg_segment_size: 108
    .language:       OpenCL C
    .language_version:
      - 2
      - 0
    .max_flat_workgroup_size: 256
    .name:           _ZL41rocblas_syrkx_herkx_small_restrict_kernelIlfLi16ELb1ELb0ELc67ELc76EKPKfKPfEviT_T0_PT6_S5_lS8_S5_lS6_PT7_S5_li
    .private_segment_fixed_size: 0
    .sgpr_count:     28
    .sgpr_spill_count: 0
    .symbol:         _ZL41rocblas_syrkx_herkx_small_restrict_kernelIlfLi16ELb1ELb0ELc67ELc76EKPKfKPfEviT_T0_PT6_S5_lS8_S5_lS6_PT7_S5_li.kd
    .uniform_work_group_size: 1
    .uses_dynamic_stack: false
    .vgpr_count:     21
    .vgpr_spill_count: 0
    .wavefront_size: 64
  - .args:
      - .offset:         0
        .size:           4
        .value_kind:     by_value
      - .offset:         8
        .size:           8
        .value_kind:     by_value
      - .offset:         16
        .size:           4
        .value_kind:     by_value
      - .address_space:  global
        .offset:         24
        .size:           8
        .value_kind:     global_buffer
      - .offset:         32
        .size:           8
        .value_kind:     by_value
      - .offset:         40
        .size:           8
        .value_kind:     by_value
      - .address_space:  global
        .offset:         48
        .size:           8
        .value_kind:     global_buffer
      - .offset:         56
        .size:           8
        .value_kind:     by_value
      - .offset:         64
        .size:           8
        .value_kind:     by_value
      - .offset:         72
        .size:           4
        .value_kind:     by_value
      - .address_space:  global
        .offset:         80
        .size:           8
        .value_kind:     global_buffer
      - .offset:         88
        .size:           8
        .value_kind:     by_value
      - .offset:         96
        .size:           8
        .value_kind:     by_value
      - .offset:         104
        .size:           4
        .value_kind:     by_value
    .group_segment_fixed_size: 2048
    .kernarg_segment_align: 8
    .kernarg_segment_size: 108
    .language:       OpenCL C
    .language_version:
      - 2
      - 0
    .max_flat_workgroup_size: 256
    .name:           _ZL41rocblas_syrkx_herkx_small_restrict_kernelIlfLi16ELb1ELb0ELc78ELc76EKPKfKPfEviT_T0_PT6_S5_lS8_S5_lS6_PT7_S5_li
    .private_segment_fixed_size: 0
    .sgpr_count:     26
    .sgpr_spill_count: 0
    .symbol:         _ZL41rocblas_syrkx_herkx_small_restrict_kernelIlfLi16ELb1ELb0ELc78ELc76EKPKfKPfEviT_T0_PT6_S5_lS8_S5_lS6_PT7_S5_li.kd
    .uniform_work_group_size: 1
    .uses_dynamic_stack: false
    .vgpr_count:     23
    .vgpr_spill_count: 0
    .wavefront_size: 64
  - .args:
      - .offset:         0
        .size:           4
        .value_kind:     by_value
      - .offset:         8
        .size:           8
        .value_kind:     by_value
      - .offset:         16
        .size:           4
        .value_kind:     by_value
      - .address_space:  global
        .offset:         24
        .size:           8
        .value_kind:     global_buffer
      - .offset:         32
        .size:           8
        .value_kind:     by_value
      - .offset:         40
        .size:           8
        .value_kind:     by_value
      - .address_space:  global
        .offset:         48
        .size:           8
        .value_kind:     global_buffer
      - .offset:         56
        .size:           8
        .value_kind:     by_value
      - .offset:         64
        .size:           8
        .value_kind:     by_value
      - .offset:         72
        .size:           4
        .value_kind:     by_value
      - .address_space:  global
        .offset:         80
        .size:           8
        .value_kind:     global_buffer
      - .offset:         88
        .size:           8
        .value_kind:     by_value
      - .offset:         96
        .size:           8
        .value_kind:     by_value
      - .offset:         104
        .size:           4
        .value_kind:     by_value
    .group_segment_fixed_size: 2048
    .kernarg_segment_align: 8
    .kernarg_segment_size: 108
    .language:       OpenCL C
    .language_version:
      - 2
      - 0
    .max_flat_workgroup_size: 256
    .name:           _ZL41rocblas_syrkx_herkx_small_restrict_kernelIlfLi16ELb1ELb0ELc84ELc85EKPKfKPfEviT_T0_PT6_S5_lS8_S5_lS6_PT7_S5_li
    .private_segment_fixed_size: 0
    .sgpr_count:     28
    .sgpr_spill_count: 0
    .symbol:         _ZL41rocblas_syrkx_herkx_small_restrict_kernelIlfLi16ELb1ELb0ELc84ELc85EKPKfKPfEviT_T0_PT6_S5_lS8_S5_lS6_PT7_S5_li.kd
    .uniform_work_group_size: 1
    .uses_dynamic_stack: false
    .vgpr_count:     21
    .vgpr_spill_count: 0
    .wavefront_size: 64
  - .args:
      - .offset:         0
        .size:           4
        .value_kind:     by_value
      - .offset:         8
        .size:           8
        .value_kind:     by_value
      - .offset:         16
        .size:           4
        .value_kind:     by_value
      - .address_space:  global
        .offset:         24
        .size:           8
        .value_kind:     global_buffer
      - .offset:         32
        .size:           8
        .value_kind:     by_value
      - .offset:         40
        .size:           8
        .value_kind:     by_value
      - .address_space:  global
        .offset:         48
        .size:           8
        .value_kind:     global_buffer
      - .offset:         56
        .size:           8
        .value_kind:     by_value
      - .offset:         64
        .size:           8
        .value_kind:     by_value
      - .offset:         72
        .size:           4
        .value_kind:     by_value
      - .address_space:  global
        .offset:         80
        .size:           8
        .value_kind:     global_buffer
      - .offset:         88
        .size:           8
        .value_kind:     by_value
      - .offset:         96
        .size:           8
        .value_kind:     by_value
      - .offset:         104
        .size:           4
        .value_kind:     by_value
    .group_segment_fixed_size: 2048
    .kernarg_segment_align: 8
    .kernarg_segment_size: 108
    .language:       OpenCL C
    .language_version:
      - 2
      - 0
    .max_flat_workgroup_size: 256
    .name:           _ZL41rocblas_syrkx_herkx_small_restrict_kernelIlfLi16ELb1ELb0ELc67ELc85EKPKfKPfEviT_T0_PT6_S5_lS8_S5_lS6_PT7_S5_li
    .private_segment_fixed_size: 0
    .sgpr_count:     28
    .sgpr_spill_count: 0
    .symbol:         _ZL41rocblas_syrkx_herkx_small_restrict_kernelIlfLi16ELb1ELb0ELc67ELc85EKPKfKPfEviT_T0_PT6_S5_lS8_S5_lS6_PT7_S5_li.kd
    .uniform_work_group_size: 1
    .uses_dynamic_stack: false
    .vgpr_count:     21
    .vgpr_spill_count: 0
    .wavefront_size: 64
  - .args:
      - .offset:         0
        .size:           4
        .value_kind:     by_value
      - .offset:         8
        .size:           8
        .value_kind:     by_value
      - .offset:         16
        .size:           4
        .value_kind:     by_value
      - .address_space:  global
        .offset:         24
        .size:           8
        .value_kind:     global_buffer
      - .offset:         32
        .size:           8
        .value_kind:     by_value
      - .offset:         40
        .size:           8
        .value_kind:     by_value
      - .address_space:  global
        .offset:         48
        .size:           8
        .value_kind:     global_buffer
      - .offset:         56
        .size:           8
        .value_kind:     by_value
      - .offset:         64
        .size:           8
        .value_kind:     by_value
      - .offset:         72
        .size:           4
        .value_kind:     by_value
      - .address_space:  global
        .offset:         80
        .size:           8
        .value_kind:     global_buffer
      - .offset:         88
        .size:           8
        .value_kind:     by_value
      - .offset:         96
        .size:           8
        .value_kind:     by_value
      - .offset:         104
        .size:           4
        .value_kind:     by_value
    .group_segment_fixed_size: 2048
    .kernarg_segment_align: 8
    .kernarg_segment_size: 108
    .language:       OpenCL C
    .language_version:
      - 2
      - 0
    .max_flat_workgroup_size: 256
    .name:           _ZL41rocblas_syrkx_herkx_small_restrict_kernelIlfLi16ELb1ELb0ELc78ELc85EKPKfKPfEviT_T0_PT6_S5_lS8_S5_lS6_PT7_S5_li
    .private_segment_fixed_size: 0
    .sgpr_count:     26
    .sgpr_spill_count: 0
    .symbol:         _ZL41rocblas_syrkx_herkx_small_restrict_kernelIlfLi16ELb1ELb0ELc78ELc85EKPKfKPfEviT_T0_PT6_S5_lS8_S5_lS6_PT7_S5_li.kd
    .uniform_work_group_size: 1
    .uses_dynamic_stack: false
    .vgpr_count:     23
    .vgpr_spill_count: 0
    .wavefront_size: 64
  - .args:
      - .offset:         0
        .size:           4
        .value_kind:     by_value
      - .offset:         8
        .size:           8
        .value_kind:     by_value
      - .offset:         16
        .size:           4
        .value_kind:     by_value
      - .address_space:  global
        .offset:         24
        .size:           8
        .value_kind:     global_buffer
      - .offset:         32
        .size:           8
        .value_kind:     by_value
      - .offset:         40
        .size:           8
        .value_kind:     by_value
      - .address_space:  global
        .offset:         48
        .size:           8
        .value_kind:     global_buffer
      - .offset:         56
        .size:           8
        .value_kind:     by_value
      - .offset:         64
        .size:           8
        .value_kind:     by_value
      - .offset:         72
        .size:           4
        .value_kind:     by_value
      - .address_space:  global
        .offset:         80
        .size:           8
        .value_kind:     global_buffer
      - .offset:         88
        .size:           8
        .value_kind:     by_value
      - .offset:         96
        .size:           8
        .value_kind:     by_value
      - .offset:         104
        .size:           4
        .value_kind:     by_value
    .group_segment_fixed_size: 2048
    .kernarg_segment_align: 8
    .kernarg_segment_size: 108
    .language:       OpenCL C
    .language_version:
      - 2
      - 0
    .max_flat_workgroup_size: 256
    .name:           _ZL41rocblas_syrkx_herkx_small_restrict_kernelIlfLi16ELb0ELb0ELc84ELc76EKPKfKPfEviT_T0_PT6_S5_lS8_S5_lS6_PT7_S5_li
    .private_segment_fixed_size: 0
    .sgpr_count:     28
    .sgpr_spill_count: 0
    .symbol:         _ZL41rocblas_syrkx_herkx_small_restrict_kernelIlfLi16ELb0ELb0ELc84ELc76EKPKfKPfEviT_T0_PT6_S5_lS8_S5_lS6_PT7_S5_li.kd
    .uniform_work_group_size: 1
    .uses_dynamic_stack: false
    .vgpr_count:     21
    .vgpr_spill_count: 0
    .wavefront_size: 64
  - .args:
      - .offset:         0
        .size:           4
        .value_kind:     by_value
      - .offset:         8
        .size:           8
        .value_kind:     by_value
      - .offset:         16
        .size:           4
        .value_kind:     by_value
      - .address_space:  global
        .offset:         24
        .size:           8
        .value_kind:     global_buffer
      - .offset:         32
        .size:           8
        .value_kind:     by_value
      - .offset:         40
        .size:           8
        .value_kind:     by_value
      - .address_space:  global
        .offset:         48
        .size:           8
        .value_kind:     global_buffer
      - .offset:         56
        .size:           8
        .value_kind:     by_value
      - .offset:         64
        .size:           8
        .value_kind:     by_value
      - .offset:         72
        .size:           4
        .value_kind:     by_value
      - .address_space:  global
        .offset:         80
        .size:           8
        .value_kind:     global_buffer
      - .offset:         88
        .size:           8
        .value_kind:     by_value
      - .offset:         96
        .size:           8
        .value_kind:     by_value
      - .offset:         104
        .size:           4
        .value_kind:     by_value
    .group_segment_fixed_size: 2048
    .kernarg_segment_align: 8
    .kernarg_segment_size: 108
    .language:       OpenCL C
    .language_version:
      - 2
      - 0
    .max_flat_workgroup_size: 256
    .name:           _ZL41rocblas_syrkx_herkx_small_restrict_kernelIlfLi16ELb0ELb0ELc67ELc76EKPKfKPfEviT_T0_PT6_S5_lS8_S5_lS6_PT7_S5_li
    .private_segment_fixed_size: 0
    .sgpr_count:     28
    .sgpr_spill_count: 0
    .symbol:         _ZL41rocblas_syrkx_herkx_small_restrict_kernelIlfLi16ELb0ELb0ELc67ELc76EKPKfKPfEviT_T0_PT6_S5_lS8_S5_lS6_PT7_S5_li.kd
    .uniform_work_group_size: 1
    .uses_dynamic_stack: false
    .vgpr_count:     21
    .vgpr_spill_count: 0
    .wavefront_size: 64
  - .args:
      - .offset:         0
        .size:           4
        .value_kind:     by_value
      - .offset:         8
        .size:           8
        .value_kind:     by_value
      - .offset:         16
        .size:           4
        .value_kind:     by_value
      - .address_space:  global
        .offset:         24
        .size:           8
        .value_kind:     global_buffer
      - .offset:         32
        .size:           8
        .value_kind:     by_value
      - .offset:         40
        .size:           8
        .value_kind:     by_value
      - .address_space:  global
        .offset:         48
        .size:           8
        .value_kind:     global_buffer
      - .offset:         56
        .size:           8
        .value_kind:     by_value
      - .offset:         64
        .size:           8
        .value_kind:     by_value
      - .offset:         72
        .size:           4
        .value_kind:     by_value
      - .address_space:  global
        .offset:         80
        .size:           8
        .value_kind:     global_buffer
      - .offset:         88
        .size:           8
        .value_kind:     by_value
      - .offset:         96
        .size:           8
        .value_kind:     by_value
      - .offset:         104
        .size:           4
        .value_kind:     by_value
    .group_segment_fixed_size: 2048
    .kernarg_segment_align: 8
    .kernarg_segment_size: 108
    .language:       OpenCL C
    .language_version:
      - 2
      - 0
    .max_flat_workgroup_size: 256
    .name:           _ZL41rocblas_syrkx_herkx_small_restrict_kernelIlfLi16ELb0ELb0ELc78ELc76EKPKfKPfEviT_T0_PT6_S5_lS8_S5_lS6_PT7_S5_li
    .private_segment_fixed_size: 0
    .sgpr_count:     26
    .sgpr_spill_count: 0
    .symbol:         _ZL41rocblas_syrkx_herkx_small_restrict_kernelIlfLi16ELb0ELb0ELc78ELc76EKPKfKPfEviT_T0_PT6_S5_lS8_S5_lS6_PT7_S5_li.kd
    .uniform_work_group_size: 1
    .uses_dynamic_stack: false
    .vgpr_count:     23
    .vgpr_spill_count: 0
    .wavefront_size: 64
  - .args:
      - .offset:         0
        .size:           4
        .value_kind:     by_value
      - .offset:         8
        .size:           8
        .value_kind:     by_value
      - .offset:         16
        .size:           4
        .value_kind:     by_value
      - .address_space:  global
        .offset:         24
        .size:           8
        .value_kind:     global_buffer
      - .offset:         32
        .size:           8
        .value_kind:     by_value
      - .offset:         40
        .size:           8
        .value_kind:     by_value
      - .address_space:  global
        .offset:         48
        .size:           8
        .value_kind:     global_buffer
      - .offset:         56
        .size:           8
        .value_kind:     by_value
      - .offset:         64
        .size:           8
        .value_kind:     by_value
      - .offset:         72
        .size:           4
        .value_kind:     by_value
      - .address_space:  global
        .offset:         80
        .size:           8
        .value_kind:     global_buffer
      - .offset:         88
        .size:           8
        .value_kind:     by_value
      - .offset:         96
        .size:           8
        .value_kind:     by_value
      - .offset:         104
        .size:           4
        .value_kind:     by_value
    .group_segment_fixed_size: 2048
    .kernarg_segment_align: 8
    .kernarg_segment_size: 108
    .language:       OpenCL C
    .language_version:
      - 2
      - 0
    .max_flat_workgroup_size: 256
    .name:           _ZL41rocblas_syrkx_herkx_small_restrict_kernelIlfLi16ELb0ELb0ELc84ELc85EKPKfKPfEviT_T0_PT6_S5_lS8_S5_lS6_PT7_S5_li
    .private_segment_fixed_size: 0
    .sgpr_count:     28
    .sgpr_spill_count: 0
    .symbol:         _ZL41rocblas_syrkx_herkx_small_restrict_kernelIlfLi16ELb0ELb0ELc84ELc85EKPKfKPfEviT_T0_PT6_S5_lS8_S5_lS6_PT7_S5_li.kd
    .uniform_work_group_size: 1
    .uses_dynamic_stack: false
    .vgpr_count:     21
    .vgpr_spill_count: 0
    .wavefront_size: 64
  - .args:
      - .offset:         0
        .size:           4
        .value_kind:     by_value
      - .offset:         8
        .size:           8
        .value_kind:     by_value
      - .offset:         16
        .size:           4
        .value_kind:     by_value
      - .address_space:  global
        .offset:         24
        .size:           8
        .value_kind:     global_buffer
      - .offset:         32
        .size:           8
        .value_kind:     by_value
      - .offset:         40
        .size:           8
        .value_kind:     by_value
      - .address_space:  global
        .offset:         48
        .size:           8
        .value_kind:     global_buffer
      - .offset:         56
        .size:           8
        .value_kind:     by_value
      - .offset:         64
        .size:           8
        .value_kind:     by_value
      - .offset:         72
        .size:           4
        .value_kind:     by_value
      - .address_space:  global
        .offset:         80
        .size:           8
        .value_kind:     global_buffer
      - .offset:         88
        .size:           8
        .value_kind:     by_value
      - .offset:         96
        .size:           8
        .value_kind:     by_value
      - .offset:         104
        .size:           4
        .value_kind:     by_value
    .group_segment_fixed_size: 2048
    .kernarg_segment_align: 8
    .kernarg_segment_size: 108
    .language:       OpenCL C
    .language_version:
      - 2
      - 0
    .max_flat_workgroup_size: 256
    .name:           _ZL41rocblas_syrkx_herkx_small_restrict_kernelIlfLi16ELb0ELb0ELc67ELc85EKPKfKPfEviT_T0_PT6_S5_lS8_S5_lS6_PT7_S5_li
    .private_segment_fixed_size: 0
    .sgpr_count:     28
    .sgpr_spill_count: 0
    .symbol:         _ZL41rocblas_syrkx_herkx_small_restrict_kernelIlfLi16ELb0ELb0ELc67ELc85EKPKfKPfEviT_T0_PT6_S5_lS8_S5_lS6_PT7_S5_li.kd
    .uniform_work_group_size: 1
    .uses_dynamic_stack: false
    .vgpr_count:     21
    .vgpr_spill_count: 0
    .wavefront_size: 64
  - .args:
      - .offset:         0
        .size:           4
        .value_kind:     by_value
      - .offset:         8
        .size:           8
        .value_kind:     by_value
      - .offset:         16
        .size:           4
        .value_kind:     by_value
      - .address_space:  global
        .offset:         24
        .size:           8
        .value_kind:     global_buffer
      - .offset:         32
        .size:           8
        .value_kind:     by_value
      - .offset:         40
        .size:           8
        .value_kind:     by_value
      - .address_space:  global
        .offset:         48
        .size:           8
        .value_kind:     global_buffer
      - .offset:         56
        .size:           8
        .value_kind:     by_value
      - .offset:         64
        .size:           8
        .value_kind:     by_value
      - .offset:         72
        .size:           4
        .value_kind:     by_value
      - .address_space:  global
        .offset:         80
        .size:           8
        .value_kind:     global_buffer
      - .offset:         88
        .size:           8
        .value_kind:     by_value
      - .offset:         96
        .size:           8
        .value_kind:     by_value
      - .offset:         104
        .size:           4
        .value_kind:     by_value
    .group_segment_fixed_size: 2048
    .kernarg_segment_align: 8
    .kernarg_segment_size: 108
    .language:       OpenCL C
    .language_version:
      - 2
      - 0
    .max_flat_workgroup_size: 256
    .name:           _ZL41rocblas_syrkx_herkx_small_restrict_kernelIlfLi16ELb0ELb0ELc78ELc85EKPKfKPfEviT_T0_PT6_S5_lS8_S5_lS6_PT7_S5_li
    .private_segment_fixed_size: 0
    .sgpr_count:     26
    .sgpr_spill_count: 0
    .symbol:         _ZL41rocblas_syrkx_herkx_small_restrict_kernelIlfLi16ELb0ELb0ELc78ELc85EKPKfKPfEviT_T0_PT6_S5_lS8_S5_lS6_PT7_S5_li.kd
    .uniform_work_group_size: 1
    .uses_dynamic_stack: false
    .vgpr_count:     23
    .vgpr_spill_count: 0
    .wavefront_size: 64
  - .args:
      - .offset:         0
        .size:           4
        .value_kind:     by_value
      - .offset:         8
        .size:           8
        .value_kind:     by_value
      - .offset:         16
        .size:           4
        .value_kind:     by_value
      - .address_space:  global
        .offset:         24
        .size:           8
        .value_kind:     global_buffer
      - .offset:         32
        .size:           8
        .value_kind:     by_value
      - .offset:         40
        .size:           8
        .value_kind:     by_value
      - .address_space:  global
        .offset:         48
        .size:           8
        .value_kind:     global_buffer
      - .offset:         56
        .size:           8
        .value_kind:     by_value
      - .offset:         64
        .size:           8
        .value_kind:     by_value
      - .offset:         72
        .size:           4
        .value_kind:     by_value
      - .address_space:  global
        .offset:         80
        .size:           8
        .value_kind:     global_buffer
      - .offset:         88
        .size:           8
        .value_kind:     by_value
      - .offset:         96
        .size:           8
        .value_kind:     by_value
      - .offset:         104
        .size:           4
        .value_kind:     by_value
    .group_segment_fixed_size: 2048
    .kernarg_segment_align: 8
    .kernarg_segment_size: 108
    .language:       OpenCL C
    .language_version:
      - 2
      - 0
    .max_flat_workgroup_size: 256
    .name:           _ZL32rocblas_syrkx_herkx_small_kernelIlfLi16ELb1ELb0ELc84ELc76EKPKfKPfEviT_T0_PT6_S5_lS8_S5_lS6_PT7_S5_li
    .private_segment_fixed_size: 0
    .sgpr_count:     32
    .sgpr_spill_count: 0
    .symbol:         _ZL32rocblas_syrkx_herkx_small_kernelIlfLi16ELb1ELb0ELc84ELc76EKPKfKPfEviT_T0_PT6_S5_lS8_S5_lS6_PT7_S5_li.kd
    .uniform_work_group_size: 1
    .uses_dynamic_stack: false
    .vgpr_count:     27
    .vgpr_spill_count: 0
    .wavefront_size: 64
  - .args:
      - .offset:         0
        .size:           4
        .value_kind:     by_value
      - .offset:         8
        .size:           8
        .value_kind:     by_value
      - .offset:         16
        .size:           4
        .value_kind:     by_value
      - .address_space:  global
        .offset:         24
        .size:           8
        .value_kind:     global_buffer
      - .offset:         32
        .size:           8
        .value_kind:     by_value
      - .offset:         40
        .size:           8
        .value_kind:     by_value
      - .address_space:  global
        .offset:         48
        .size:           8
        .value_kind:     global_buffer
      - .offset:         56
        .size:           8
        .value_kind:     by_value
      - .offset:         64
        .size:           8
        .value_kind:     by_value
      - .offset:         72
        .size:           4
        .value_kind:     by_value
      - .address_space:  global
        .offset:         80
        .size:           8
        .value_kind:     global_buffer
      - .offset:         88
        .size:           8
        .value_kind:     by_value
      - .offset:         96
        .size:           8
        .value_kind:     by_value
      - .offset:         104
        .size:           4
        .value_kind:     by_value
    .group_segment_fixed_size: 2048
    .kernarg_segment_align: 8
    .kernarg_segment_size: 108
    .language:       OpenCL C
    .language_version:
      - 2
      - 0
    .max_flat_workgroup_size: 256
    .name:           _ZL32rocblas_syrkx_herkx_small_kernelIlfLi16ELb1ELb0ELc67ELc76EKPKfKPfEviT_T0_PT6_S5_lS8_S5_lS6_PT7_S5_li
    .private_segment_fixed_size: 0
    .sgpr_count:     32
    .sgpr_spill_count: 0
    .symbol:         _ZL32rocblas_syrkx_herkx_small_kernelIlfLi16ELb1ELb0ELc67ELc76EKPKfKPfEviT_T0_PT6_S5_lS8_S5_lS6_PT7_S5_li.kd
    .uniform_work_group_size: 1
    .uses_dynamic_stack: false
    .vgpr_count:     27
    .vgpr_spill_count: 0
    .wavefront_size: 64
  - .args:
      - .offset:         0
        .size:           4
        .value_kind:     by_value
      - .offset:         8
        .size:           8
        .value_kind:     by_value
      - .offset:         16
        .size:           4
        .value_kind:     by_value
      - .address_space:  global
        .offset:         24
        .size:           8
        .value_kind:     global_buffer
      - .offset:         32
        .size:           8
        .value_kind:     by_value
      - .offset:         40
        .size:           8
        .value_kind:     by_value
      - .address_space:  global
        .offset:         48
        .size:           8
        .value_kind:     global_buffer
      - .offset:         56
        .size:           8
        .value_kind:     by_value
      - .offset:         64
        .size:           8
        .value_kind:     by_value
      - .offset:         72
        .size:           4
        .value_kind:     by_value
      - .address_space:  global
        .offset:         80
        .size:           8
        .value_kind:     global_buffer
      - .offset:         88
        .size:           8
        .value_kind:     by_value
      - .offset:         96
        .size:           8
        .value_kind:     by_value
      - .offset:         104
        .size:           4
        .value_kind:     by_value
    .group_segment_fixed_size: 2048
    .kernarg_segment_align: 8
    .kernarg_segment_size: 108
    .language:       OpenCL C
    .language_version:
      - 2
      - 0
    .max_flat_workgroup_size: 256
    .name:           _ZL32rocblas_syrkx_herkx_small_kernelIlfLi16ELb1ELb0ELc78ELc76EKPKfKPfEviT_T0_PT6_S5_lS8_S5_lS6_PT7_S5_li
    .private_segment_fixed_size: 0
    .sgpr_count:     27
    .sgpr_spill_count: 0
    .symbol:         _ZL32rocblas_syrkx_herkx_small_kernelIlfLi16ELb1ELb0ELc78ELc76EKPKfKPfEviT_T0_PT6_S5_lS8_S5_lS6_PT7_S5_li.kd
    .uniform_work_group_size: 1
    .uses_dynamic_stack: false
    .vgpr_count:     27
    .vgpr_spill_count: 0
    .wavefront_size: 64
  - .args:
      - .offset:         0
        .size:           4
        .value_kind:     by_value
      - .offset:         8
        .size:           8
        .value_kind:     by_value
      - .offset:         16
        .size:           4
        .value_kind:     by_value
      - .address_space:  global
        .offset:         24
        .size:           8
        .value_kind:     global_buffer
      - .offset:         32
        .size:           8
        .value_kind:     by_value
      - .offset:         40
        .size:           8
        .value_kind:     by_value
      - .address_space:  global
        .offset:         48
        .size:           8
        .value_kind:     global_buffer
      - .offset:         56
        .size:           8
        .value_kind:     by_value
      - .offset:         64
        .size:           8
        .value_kind:     by_value
      - .offset:         72
        .size:           4
        .value_kind:     by_value
      - .address_space:  global
        .offset:         80
        .size:           8
        .value_kind:     global_buffer
      - .offset:         88
        .size:           8
        .value_kind:     by_value
      - .offset:         96
        .size:           8
        .value_kind:     by_value
      - .offset:         104
        .size:           4
        .value_kind:     by_value
    .group_segment_fixed_size: 2048
    .kernarg_segment_align: 8
    .kernarg_segment_size: 108
    .language:       OpenCL C
    .language_version:
      - 2
      - 0
    .max_flat_workgroup_size: 256
    .name:           _ZL32rocblas_syrkx_herkx_small_kernelIlfLi16ELb1ELb0ELc84ELc85EKPKfKPfEviT_T0_PT6_S5_lS8_S5_lS6_PT7_S5_li
    .private_segment_fixed_size: 0
    .sgpr_count:     32
    .sgpr_spill_count: 0
    .symbol:         _ZL32rocblas_syrkx_herkx_small_kernelIlfLi16ELb1ELb0ELc84ELc85EKPKfKPfEviT_T0_PT6_S5_lS8_S5_lS6_PT7_S5_li.kd
    .uniform_work_group_size: 1
    .uses_dynamic_stack: false
    .vgpr_count:     27
    .vgpr_spill_count: 0
    .wavefront_size: 64
  - .args:
      - .offset:         0
        .size:           4
        .value_kind:     by_value
      - .offset:         8
        .size:           8
        .value_kind:     by_value
      - .offset:         16
        .size:           4
        .value_kind:     by_value
      - .address_space:  global
        .offset:         24
        .size:           8
        .value_kind:     global_buffer
      - .offset:         32
        .size:           8
        .value_kind:     by_value
      - .offset:         40
        .size:           8
        .value_kind:     by_value
      - .address_space:  global
        .offset:         48
        .size:           8
        .value_kind:     global_buffer
      - .offset:         56
        .size:           8
        .value_kind:     by_value
      - .offset:         64
        .size:           8
        .value_kind:     by_value
      - .offset:         72
        .size:           4
        .value_kind:     by_value
      - .address_space:  global
        .offset:         80
        .size:           8
        .value_kind:     global_buffer
      - .offset:         88
        .size:           8
        .value_kind:     by_value
      - .offset:         96
        .size:           8
        .value_kind:     by_value
      - .offset:         104
        .size:           4
        .value_kind:     by_value
    .group_segment_fixed_size: 2048
    .kernarg_segment_align: 8
    .kernarg_segment_size: 108
    .language:       OpenCL C
    .language_version:
      - 2
      - 0
    .max_flat_workgroup_size: 256
    .name:           _ZL32rocblas_syrkx_herkx_small_kernelIlfLi16ELb1ELb0ELc67ELc85EKPKfKPfEviT_T0_PT6_S5_lS8_S5_lS6_PT7_S5_li
    .private_segment_fixed_size: 0
    .sgpr_count:     32
    .sgpr_spill_count: 0
    .symbol:         _ZL32rocblas_syrkx_herkx_small_kernelIlfLi16ELb1ELb0ELc67ELc85EKPKfKPfEviT_T0_PT6_S5_lS8_S5_lS6_PT7_S5_li.kd
    .uniform_work_group_size: 1
    .uses_dynamic_stack: false
    .vgpr_count:     27
    .vgpr_spill_count: 0
    .wavefront_size: 64
  - .args:
      - .offset:         0
        .size:           4
        .value_kind:     by_value
      - .offset:         8
        .size:           8
        .value_kind:     by_value
      - .offset:         16
        .size:           4
        .value_kind:     by_value
      - .address_space:  global
        .offset:         24
        .size:           8
        .value_kind:     global_buffer
      - .offset:         32
        .size:           8
        .value_kind:     by_value
      - .offset:         40
        .size:           8
        .value_kind:     by_value
      - .address_space:  global
        .offset:         48
        .size:           8
        .value_kind:     global_buffer
      - .offset:         56
        .size:           8
        .value_kind:     by_value
      - .offset:         64
        .size:           8
        .value_kind:     by_value
      - .offset:         72
        .size:           4
        .value_kind:     by_value
      - .address_space:  global
        .offset:         80
        .size:           8
        .value_kind:     global_buffer
      - .offset:         88
        .size:           8
        .value_kind:     by_value
      - .offset:         96
        .size:           8
        .value_kind:     by_value
      - .offset:         104
        .size:           4
        .value_kind:     by_value
    .group_segment_fixed_size: 2048
    .kernarg_segment_align: 8
    .kernarg_segment_size: 108
    .language:       OpenCL C
    .language_version:
      - 2
      - 0
    .max_flat_workgroup_size: 256
    .name:           _ZL32rocblas_syrkx_herkx_small_kernelIlfLi16ELb1ELb0ELc78ELc85EKPKfKPfEviT_T0_PT6_S5_lS8_S5_lS6_PT7_S5_li
    .private_segment_fixed_size: 0
    .sgpr_count:     27
    .sgpr_spill_count: 0
    .symbol:         _ZL32rocblas_syrkx_herkx_small_kernelIlfLi16ELb1ELb0ELc78ELc85EKPKfKPfEviT_T0_PT6_S5_lS8_S5_lS6_PT7_S5_li.kd
    .uniform_work_group_size: 1
    .uses_dynamic_stack: false
    .vgpr_count:     27
    .vgpr_spill_count: 0
    .wavefront_size: 64
  - .args:
      - .offset:         0
        .size:           4
        .value_kind:     by_value
      - .offset:         8
        .size:           8
        .value_kind:     by_value
      - .offset:         16
        .size:           4
        .value_kind:     by_value
      - .address_space:  global
        .offset:         24
        .size:           8
        .value_kind:     global_buffer
      - .offset:         32
        .size:           8
        .value_kind:     by_value
      - .offset:         40
        .size:           8
        .value_kind:     by_value
      - .address_space:  global
        .offset:         48
        .size:           8
        .value_kind:     global_buffer
      - .offset:         56
        .size:           8
        .value_kind:     by_value
      - .offset:         64
        .size:           8
        .value_kind:     by_value
      - .offset:         72
        .size:           4
        .value_kind:     by_value
      - .address_space:  global
        .offset:         80
        .size:           8
        .value_kind:     global_buffer
      - .offset:         88
        .size:           8
        .value_kind:     by_value
      - .offset:         96
        .size:           8
        .value_kind:     by_value
      - .offset:         104
        .size:           4
        .value_kind:     by_value
    .group_segment_fixed_size: 2048
    .kernarg_segment_align: 8
    .kernarg_segment_size: 108
    .language:       OpenCL C
    .language_version:
      - 2
      - 0
    .max_flat_workgroup_size: 256
    .name:           _ZL32rocblas_syrkx_herkx_small_kernelIlfLi16ELb0ELb0ELc84ELc76EKPKfKPfEviT_T0_PT6_S5_lS8_S5_lS6_PT7_S5_li
    .private_segment_fixed_size: 0
    .sgpr_count:     32
    .sgpr_spill_count: 0
    .symbol:         _ZL32rocblas_syrkx_herkx_small_kernelIlfLi16ELb0ELb0ELc84ELc76EKPKfKPfEviT_T0_PT6_S5_lS8_S5_lS6_PT7_S5_li.kd
    .uniform_work_group_size: 1
    .uses_dynamic_stack: false
    .vgpr_count:     27
    .vgpr_spill_count: 0
    .wavefront_size: 64
  - .args:
      - .offset:         0
        .size:           4
        .value_kind:     by_value
      - .offset:         8
        .size:           8
        .value_kind:     by_value
      - .offset:         16
        .size:           4
        .value_kind:     by_value
      - .address_space:  global
        .offset:         24
        .size:           8
        .value_kind:     global_buffer
      - .offset:         32
        .size:           8
        .value_kind:     by_value
      - .offset:         40
        .size:           8
        .value_kind:     by_value
      - .address_space:  global
        .offset:         48
        .size:           8
        .value_kind:     global_buffer
      - .offset:         56
        .size:           8
        .value_kind:     by_value
      - .offset:         64
        .size:           8
        .value_kind:     by_value
      - .offset:         72
        .size:           4
        .value_kind:     by_value
      - .address_space:  global
        .offset:         80
        .size:           8
        .value_kind:     global_buffer
      - .offset:         88
        .size:           8
        .value_kind:     by_value
      - .offset:         96
        .size:           8
        .value_kind:     by_value
      - .offset:         104
        .size:           4
        .value_kind:     by_value
    .group_segment_fixed_size: 2048
    .kernarg_segment_align: 8
    .kernarg_segment_size: 108
    .language:       OpenCL C
    .language_version:
      - 2
      - 0
    .max_flat_workgroup_size: 256
    .name:           _ZL32rocblas_syrkx_herkx_small_kernelIlfLi16ELb0ELb0ELc67ELc76EKPKfKPfEviT_T0_PT6_S5_lS8_S5_lS6_PT7_S5_li
    .private_segment_fixed_size: 0
    .sgpr_count:     32
    .sgpr_spill_count: 0
    .symbol:         _ZL32rocblas_syrkx_herkx_small_kernelIlfLi16ELb0ELb0ELc67ELc76EKPKfKPfEviT_T0_PT6_S5_lS8_S5_lS6_PT7_S5_li.kd
    .uniform_work_group_size: 1
    .uses_dynamic_stack: false
    .vgpr_count:     27
    .vgpr_spill_count: 0
    .wavefront_size: 64
  - .args:
      - .offset:         0
        .size:           4
        .value_kind:     by_value
      - .offset:         8
        .size:           8
        .value_kind:     by_value
      - .offset:         16
        .size:           4
        .value_kind:     by_value
      - .address_space:  global
        .offset:         24
        .size:           8
        .value_kind:     global_buffer
      - .offset:         32
        .size:           8
        .value_kind:     by_value
      - .offset:         40
        .size:           8
        .value_kind:     by_value
      - .address_space:  global
        .offset:         48
        .size:           8
        .value_kind:     global_buffer
      - .offset:         56
        .size:           8
        .value_kind:     by_value
      - .offset:         64
        .size:           8
        .value_kind:     by_value
      - .offset:         72
        .size:           4
        .value_kind:     by_value
      - .address_space:  global
        .offset:         80
        .size:           8
        .value_kind:     global_buffer
      - .offset:         88
        .size:           8
        .value_kind:     by_value
      - .offset:         96
        .size:           8
        .value_kind:     by_value
      - .offset:         104
        .size:           4
        .value_kind:     by_value
    .group_segment_fixed_size: 2048
    .kernarg_segment_align: 8
    .kernarg_segment_size: 108
    .language:       OpenCL C
    .language_version:
      - 2
      - 0
    .max_flat_workgroup_size: 256
    .name:           _ZL32rocblas_syrkx_herkx_small_kernelIlfLi16ELb0ELb0ELc78ELc76EKPKfKPfEviT_T0_PT6_S5_lS8_S5_lS6_PT7_S5_li
    .private_segment_fixed_size: 0
    .sgpr_count:     27
    .sgpr_spill_count: 0
    .symbol:         _ZL32rocblas_syrkx_herkx_small_kernelIlfLi16ELb0ELb0ELc78ELc76EKPKfKPfEviT_T0_PT6_S5_lS8_S5_lS6_PT7_S5_li.kd
    .uniform_work_group_size: 1
    .uses_dynamic_stack: false
    .vgpr_count:     27
    .vgpr_spill_count: 0
    .wavefront_size: 64
  - .args:
      - .offset:         0
        .size:           4
        .value_kind:     by_value
      - .offset:         8
        .size:           8
        .value_kind:     by_value
      - .offset:         16
        .size:           4
        .value_kind:     by_value
      - .address_space:  global
        .offset:         24
        .size:           8
        .value_kind:     global_buffer
      - .offset:         32
        .size:           8
        .value_kind:     by_value
      - .offset:         40
        .size:           8
        .value_kind:     by_value
      - .address_space:  global
        .offset:         48
        .size:           8
        .value_kind:     global_buffer
      - .offset:         56
        .size:           8
        .value_kind:     by_value
      - .offset:         64
        .size:           8
        .value_kind:     by_value
      - .offset:         72
        .size:           4
        .value_kind:     by_value
      - .address_space:  global
        .offset:         80
        .size:           8
        .value_kind:     global_buffer
      - .offset:         88
        .size:           8
        .value_kind:     by_value
      - .offset:         96
        .size:           8
        .value_kind:     by_value
      - .offset:         104
        .size:           4
        .value_kind:     by_value
    .group_segment_fixed_size: 2048
    .kernarg_segment_align: 8
    .kernarg_segment_size: 108
    .language:       OpenCL C
    .language_version:
      - 2
      - 0
    .max_flat_workgroup_size: 256
    .name:           _ZL32rocblas_syrkx_herkx_small_kernelIlfLi16ELb0ELb0ELc84ELc85EKPKfKPfEviT_T0_PT6_S5_lS8_S5_lS6_PT7_S5_li
    .private_segment_fixed_size: 0
    .sgpr_count:     32
    .sgpr_spill_count: 0
    .symbol:         _ZL32rocblas_syrkx_herkx_small_kernelIlfLi16ELb0ELb0ELc84ELc85EKPKfKPfEviT_T0_PT6_S5_lS8_S5_lS6_PT7_S5_li.kd
    .uniform_work_group_size: 1
    .uses_dynamic_stack: false
    .vgpr_count:     27
    .vgpr_spill_count: 0
    .wavefront_size: 64
  - .args:
      - .offset:         0
        .size:           4
        .value_kind:     by_value
      - .offset:         8
        .size:           8
        .value_kind:     by_value
      - .offset:         16
        .size:           4
        .value_kind:     by_value
      - .address_space:  global
        .offset:         24
        .size:           8
        .value_kind:     global_buffer
      - .offset:         32
        .size:           8
        .value_kind:     by_value
      - .offset:         40
        .size:           8
        .value_kind:     by_value
      - .address_space:  global
        .offset:         48
        .size:           8
        .value_kind:     global_buffer
      - .offset:         56
        .size:           8
        .value_kind:     by_value
      - .offset:         64
        .size:           8
        .value_kind:     by_value
      - .offset:         72
        .size:           4
        .value_kind:     by_value
      - .address_space:  global
        .offset:         80
        .size:           8
        .value_kind:     global_buffer
      - .offset:         88
        .size:           8
        .value_kind:     by_value
      - .offset:         96
        .size:           8
        .value_kind:     by_value
      - .offset:         104
        .size:           4
        .value_kind:     by_value
    .group_segment_fixed_size: 2048
    .kernarg_segment_align: 8
    .kernarg_segment_size: 108
    .language:       OpenCL C
    .language_version:
      - 2
      - 0
    .max_flat_workgroup_size: 256
    .name:           _ZL32rocblas_syrkx_herkx_small_kernelIlfLi16ELb0ELb0ELc67ELc85EKPKfKPfEviT_T0_PT6_S5_lS8_S5_lS6_PT7_S5_li
    .private_segment_fixed_size: 0
    .sgpr_count:     32
    .sgpr_spill_count: 0
    .symbol:         _ZL32rocblas_syrkx_herkx_small_kernelIlfLi16ELb0ELb0ELc67ELc85EKPKfKPfEviT_T0_PT6_S5_lS8_S5_lS6_PT7_S5_li.kd
    .uniform_work_group_size: 1
    .uses_dynamic_stack: false
    .vgpr_count:     27
    .vgpr_spill_count: 0
    .wavefront_size: 64
  - .args:
      - .offset:         0
        .size:           4
        .value_kind:     by_value
      - .offset:         8
        .size:           8
        .value_kind:     by_value
      - .offset:         16
        .size:           4
        .value_kind:     by_value
      - .address_space:  global
        .offset:         24
        .size:           8
        .value_kind:     global_buffer
      - .offset:         32
        .size:           8
        .value_kind:     by_value
      - .offset:         40
        .size:           8
        .value_kind:     by_value
      - .address_space:  global
        .offset:         48
        .size:           8
        .value_kind:     global_buffer
      - .offset:         56
        .size:           8
        .value_kind:     by_value
      - .offset:         64
        .size:           8
        .value_kind:     by_value
      - .offset:         72
        .size:           4
        .value_kind:     by_value
      - .address_space:  global
        .offset:         80
        .size:           8
        .value_kind:     global_buffer
      - .offset:         88
        .size:           8
        .value_kind:     by_value
      - .offset:         96
        .size:           8
        .value_kind:     by_value
      - .offset:         104
        .size:           4
        .value_kind:     by_value
    .group_segment_fixed_size: 2048
    .kernarg_segment_align: 8
    .kernarg_segment_size: 108
    .language:       OpenCL C
    .language_version:
      - 2
      - 0
    .max_flat_workgroup_size: 256
    .name:           _ZL32rocblas_syrkx_herkx_small_kernelIlfLi16ELb0ELb0ELc78ELc85EKPKfKPfEviT_T0_PT6_S5_lS8_S5_lS6_PT7_S5_li
    .private_segment_fixed_size: 0
    .sgpr_count:     27
    .sgpr_spill_count: 0
    .symbol:         _ZL32rocblas_syrkx_herkx_small_kernelIlfLi16ELb0ELb0ELc78ELc85EKPKfKPfEviT_T0_PT6_S5_lS8_S5_lS6_PT7_S5_li.kd
    .uniform_work_group_size: 1
    .uses_dynamic_stack: false
    .vgpr_count:     27
    .vgpr_spill_count: 0
    .wavefront_size: 64
  - .args:
      - .offset:         0
        .size:           4
        .value_kind:     by_value
      - .offset:         8
        .size:           8
        .value_kind:     by_value
      - .offset:         16
        .size:           4
        .value_kind:     by_value
      - .address_space:  global
        .offset:         24
        .size:           8
        .value_kind:     global_buffer
      - .offset:         32
        .size:           8
        .value_kind:     by_value
      - .offset:         40
        .size:           8
        .value_kind:     by_value
      - .address_space:  global
        .offset:         48
        .size:           8
        .value_kind:     global_buffer
      - .offset:         56
        .size:           8
        .value_kind:     by_value
      - .offset:         64
        .size:           8
        .value_kind:     by_value
      - .offset:         72
        .size:           4
        .value_kind:     by_value
      - .address_space:  global
        .offset:         80
        .size:           8
        .value_kind:     global_buffer
      - .offset:         88
        .size:           8
        .value_kind:     by_value
      - .offset:         96
        .size:           8
        .value_kind:     by_value
      - .offset:         104
        .size:           4
        .value_kind:     by_value
    .group_segment_fixed_size: 2048
    .kernarg_segment_align: 8
    .kernarg_segment_size: 108
    .language:       OpenCL C
    .language_version:
      - 2
      - 0
    .max_flat_workgroup_size: 256
    .name:           _ZL34rocblas_syrkx_herkx_general_kernelIlfLi16ELi32ELi8ELb1ELb0ELc84ELc76EKPKfKPfEviT_T0_PT8_S5_lS8_S5_lS6_PT9_S5_li
    .private_segment_fixed_size: 0
    .sgpr_count:     32
    .sgpr_spill_count: 0
    .symbol:         _ZL34rocblas_syrkx_herkx_general_kernelIlfLi16ELi32ELi8ELb1ELb0ELc84ELc76EKPKfKPfEviT_T0_PT8_S5_lS8_S5_lS6_PT9_S5_li.kd
    .uniform_work_group_size: 1
    .uses_dynamic_stack: false
    .vgpr_count:     36
    .vgpr_spill_count: 0
    .wavefront_size: 64
  - .args:
      - .offset:         0
        .size:           4
        .value_kind:     by_value
      - .offset:         8
        .size:           8
        .value_kind:     by_value
      - .offset:         16
        .size:           4
        .value_kind:     by_value
      - .address_space:  global
        .offset:         24
        .size:           8
        .value_kind:     global_buffer
      - .offset:         32
        .size:           8
        .value_kind:     by_value
      - .offset:         40
        .size:           8
        .value_kind:     by_value
      - .address_space:  global
        .offset:         48
        .size:           8
        .value_kind:     global_buffer
      - .offset:         56
        .size:           8
        .value_kind:     by_value
      - .offset:         64
        .size:           8
        .value_kind:     by_value
      - .offset:         72
        .size:           4
        .value_kind:     by_value
      - .address_space:  global
        .offset:         80
        .size:           8
        .value_kind:     global_buffer
      - .offset:         88
        .size:           8
        .value_kind:     by_value
      - .offset:         96
        .size:           8
        .value_kind:     by_value
      - .offset:         104
        .size:           4
        .value_kind:     by_value
    .group_segment_fixed_size: 2048
    .kernarg_segment_align: 8
    .kernarg_segment_size: 108
    .language:       OpenCL C
    .language_version:
      - 2
      - 0
    .max_flat_workgroup_size: 256
    .name:           _ZL34rocblas_syrkx_herkx_general_kernelIlfLi16ELi32ELi8ELb1ELb0ELc67ELc76EKPKfKPfEviT_T0_PT8_S5_lS8_S5_lS6_PT9_S5_li
    .private_segment_fixed_size: 0
    .sgpr_count:     32
    .sgpr_spill_count: 0
    .symbol:         _ZL34rocblas_syrkx_herkx_general_kernelIlfLi16ELi32ELi8ELb1ELb0ELc67ELc76EKPKfKPfEviT_T0_PT8_S5_lS8_S5_lS6_PT9_S5_li.kd
    .uniform_work_group_size: 1
    .uses_dynamic_stack: false
    .vgpr_count:     36
    .vgpr_spill_count: 0
    .wavefront_size: 64
  - .args:
      - .offset:         0
        .size:           4
        .value_kind:     by_value
      - .offset:         8
        .size:           8
        .value_kind:     by_value
      - .offset:         16
        .size:           4
        .value_kind:     by_value
      - .address_space:  global
        .offset:         24
        .size:           8
        .value_kind:     global_buffer
      - .offset:         32
        .size:           8
        .value_kind:     by_value
      - .offset:         40
        .size:           8
        .value_kind:     by_value
      - .address_space:  global
        .offset:         48
        .size:           8
        .value_kind:     global_buffer
      - .offset:         56
        .size:           8
        .value_kind:     by_value
      - .offset:         64
        .size:           8
        .value_kind:     by_value
      - .offset:         72
        .size:           4
        .value_kind:     by_value
      - .address_space:  global
        .offset:         80
        .size:           8
        .value_kind:     global_buffer
      - .offset:         88
        .size:           8
        .value_kind:     by_value
      - .offset:         96
        .size:           8
        .value_kind:     by_value
      - .offset:         104
        .size:           4
        .value_kind:     by_value
    .group_segment_fixed_size: 2048
    .kernarg_segment_align: 8
    .kernarg_segment_size: 108
    .language:       OpenCL C
    .language_version:
      - 2
      - 0
    .max_flat_workgroup_size: 256
    .name:           _ZL34rocblas_syrkx_herkx_general_kernelIlfLi16ELi32ELi8ELb1ELb0ELc78ELc76EKPKfKPfEviT_T0_PT8_S5_lS8_S5_lS6_PT9_S5_li
    .private_segment_fixed_size: 0
    .sgpr_count:     29
    .sgpr_spill_count: 0
    .symbol:         _ZL34rocblas_syrkx_herkx_general_kernelIlfLi16ELi32ELi8ELb1ELb0ELc78ELc76EKPKfKPfEviT_T0_PT8_S5_lS8_S5_lS6_PT9_S5_li.kd
    .uniform_work_group_size: 1
    .uses_dynamic_stack: false
    .vgpr_count:     36
    .vgpr_spill_count: 0
    .wavefront_size: 64
  - .args:
      - .offset:         0
        .size:           4
        .value_kind:     by_value
      - .offset:         8
        .size:           8
        .value_kind:     by_value
      - .offset:         16
        .size:           4
        .value_kind:     by_value
      - .address_space:  global
        .offset:         24
        .size:           8
        .value_kind:     global_buffer
      - .offset:         32
        .size:           8
        .value_kind:     by_value
      - .offset:         40
        .size:           8
        .value_kind:     by_value
      - .address_space:  global
        .offset:         48
        .size:           8
        .value_kind:     global_buffer
      - .offset:         56
        .size:           8
        .value_kind:     by_value
      - .offset:         64
        .size:           8
        .value_kind:     by_value
      - .offset:         72
        .size:           4
        .value_kind:     by_value
      - .address_space:  global
        .offset:         80
        .size:           8
        .value_kind:     global_buffer
      - .offset:         88
        .size:           8
        .value_kind:     by_value
      - .offset:         96
        .size:           8
        .value_kind:     by_value
      - .offset:         104
        .size:           4
        .value_kind:     by_value
    .group_segment_fixed_size: 2048
    .kernarg_segment_align: 8
    .kernarg_segment_size: 108
    .language:       OpenCL C
    .language_version:
      - 2
      - 0
    .max_flat_workgroup_size: 256
    .name:           _ZL34rocblas_syrkx_herkx_general_kernelIlfLi16ELi32ELi8ELb1ELb0ELc84ELc85EKPKfKPfEviT_T0_PT8_S5_lS8_S5_lS6_PT9_S5_li
    .private_segment_fixed_size: 0
    .sgpr_count:     32
    .sgpr_spill_count: 0
    .symbol:         _ZL34rocblas_syrkx_herkx_general_kernelIlfLi16ELi32ELi8ELb1ELb0ELc84ELc85EKPKfKPfEviT_T0_PT8_S5_lS8_S5_lS6_PT9_S5_li.kd
    .uniform_work_group_size: 1
    .uses_dynamic_stack: false
    .vgpr_count:     36
    .vgpr_spill_count: 0
    .wavefront_size: 64
  - .args:
      - .offset:         0
        .size:           4
        .value_kind:     by_value
      - .offset:         8
        .size:           8
        .value_kind:     by_value
      - .offset:         16
        .size:           4
        .value_kind:     by_value
      - .address_space:  global
        .offset:         24
        .size:           8
        .value_kind:     global_buffer
      - .offset:         32
        .size:           8
        .value_kind:     by_value
      - .offset:         40
        .size:           8
        .value_kind:     by_value
      - .address_space:  global
        .offset:         48
        .size:           8
        .value_kind:     global_buffer
      - .offset:         56
        .size:           8
        .value_kind:     by_value
      - .offset:         64
        .size:           8
        .value_kind:     by_value
      - .offset:         72
        .size:           4
        .value_kind:     by_value
      - .address_space:  global
        .offset:         80
        .size:           8
        .value_kind:     global_buffer
      - .offset:         88
        .size:           8
        .value_kind:     by_value
      - .offset:         96
        .size:           8
        .value_kind:     by_value
      - .offset:         104
        .size:           4
        .value_kind:     by_value
    .group_segment_fixed_size: 2048
    .kernarg_segment_align: 8
    .kernarg_segment_size: 108
    .language:       OpenCL C
    .language_version:
      - 2
      - 0
    .max_flat_workgroup_size: 256
    .name:           _ZL34rocblas_syrkx_herkx_general_kernelIlfLi16ELi32ELi8ELb1ELb0ELc67ELc85EKPKfKPfEviT_T0_PT8_S5_lS8_S5_lS6_PT9_S5_li
    .private_segment_fixed_size: 0
    .sgpr_count:     32
    .sgpr_spill_count: 0
    .symbol:         _ZL34rocblas_syrkx_herkx_general_kernelIlfLi16ELi32ELi8ELb1ELb0ELc67ELc85EKPKfKPfEviT_T0_PT8_S5_lS8_S5_lS6_PT9_S5_li.kd
    .uniform_work_group_size: 1
    .uses_dynamic_stack: false
    .vgpr_count:     36
    .vgpr_spill_count: 0
    .wavefront_size: 64
  - .args:
      - .offset:         0
        .size:           4
        .value_kind:     by_value
      - .offset:         8
        .size:           8
        .value_kind:     by_value
      - .offset:         16
        .size:           4
        .value_kind:     by_value
      - .address_space:  global
        .offset:         24
        .size:           8
        .value_kind:     global_buffer
      - .offset:         32
        .size:           8
        .value_kind:     by_value
      - .offset:         40
        .size:           8
        .value_kind:     by_value
      - .address_space:  global
        .offset:         48
        .size:           8
        .value_kind:     global_buffer
      - .offset:         56
        .size:           8
        .value_kind:     by_value
      - .offset:         64
        .size:           8
        .value_kind:     by_value
      - .offset:         72
        .size:           4
        .value_kind:     by_value
      - .address_space:  global
        .offset:         80
        .size:           8
        .value_kind:     global_buffer
      - .offset:         88
        .size:           8
        .value_kind:     by_value
      - .offset:         96
        .size:           8
        .value_kind:     by_value
      - .offset:         104
        .size:           4
        .value_kind:     by_value
    .group_segment_fixed_size: 2048
    .kernarg_segment_align: 8
    .kernarg_segment_size: 108
    .language:       OpenCL C
    .language_version:
      - 2
      - 0
    .max_flat_workgroup_size: 256
    .name:           _ZL34rocblas_syrkx_herkx_general_kernelIlfLi16ELi32ELi8ELb1ELb0ELc78ELc85EKPKfKPfEviT_T0_PT8_S5_lS8_S5_lS6_PT9_S5_li
    .private_segment_fixed_size: 0
    .sgpr_count:     29
    .sgpr_spill_count: 0
    .symbol:         _ZL34rocblas_syrkx_herkx_general_kernelIlfLi16ELi32ELi8ELb1ELb0ELc78ELc85EKPKfKPfEviT_T0_PT8_S5_lS8_S5_lS6_PT9_S5_li.kd
    .uniform_work_group_size: 1
    .uses_dynamic_stack: false
    .vgpr_count:     36
    .vgpr_spill_count: 0
    .wavefront_size: 64
  - .args:
      - .offset:         0
        .size:           4
        .value_kind:     by_value
      - .offset:         8
        .size:           8
        .value_kind:     by_value
      - .offset:         16
        .size:           4
        .value_kind:     by_value
      - .address_space:  global
        .offset:         24
        .size:           8
        .value_kind:     global_buffer
      - .offset:         32
        .size:           8
        .value_kind:     by_value
      - .offset:         40
        .size:           8
        .value_kind:     by_value
      - .address_space:  global
        .offset:         48
        .size:           8
        .value_kind:     global_buffer
      - .offset:         56
        .size:           8
        .value_kind:     by_value
      - .offset:         64
        .size:           8
        .value_kind:     by_value
      - .offset:         72
        .size:           4
        .value_kind:     by_value
      - .address_space:  global
        .offset:         80
        .size:           8
        .value_kind:     global_buffer
      - .offset:         88
        .size:           8
        .value_kind:     by_value
      - .offset:         96
        .size:           8
        .value_kind:     by_value
      - .offset:         104
        .size:           4
        .value_kind:     by_value
    .group_segment_fixed_size: 2048
    .kernarg_segment_align: 8
    .kernarg_segment_size: 108
    .language:       OpenCL C
    .language_version:
      - 2
      - 0
    .max_flat_workgroup_size: 256
    .name:           _ZL34rocblas_syrkx_herkx_general_kernelIlfLi16ELi32ELi8ELb0ELb0ELc84ELc76EKPKfKPfEviT_T0_PT8_S5_lS8_S5_lS6_PT9_S5_li
    .private_segment_fixed_size: 0
    .sgpr_count:     32
    .sgpr_spill_count: 0
    .symbol:         _ZL34rocblas_syrkx_herkx_general_kernelIlfLi16ELi32ELi8ELb0ELb0ELc84ELc76EKPKfKPfEviT_T0_PT8_S5_lS8_S5_lS6_PT9_S5_li.kd
    .uniform_work_group_size: 1
    .uses_dynamic_stack: false
    .vgpr_count:     36
    .vgpr_spill_count: 0
    .wavefront_size: 64
  - .args:
      - .offset:         0
        .size:           4
        .value_kind:     by_value
      - .offset:         8
        .size:           8
        .value_kind:     by_value
      - .offset:         16
        .size:           4
        .value_kind:     by_value
      - .address_space:  global
        .offset:         24
        .size:           8
        .value_kind:     global_buffer
      - .offset:         32
        .size:           8
        .value_kind:     by_value
      - .offset:         40
        .size:           8
        .value_kind:     by_value
      - .address_space:  global
        .offset:         48
        .size:           8
        .value_kind:     global_buffer
      - .offset:         56
        .size:           8
        .value_kind:     by_value
      - .offset:         64
        .size:           8
        .value_kind:     by_value
      - .offset:         72
        .size:           4
        .value_kind:     by_value
      - .address_space:  global
        .offset:         80
        .size:           8
        .value_kind:     global_buffer
      - .offset:         88
        .size:           8
        .value_kind:     by_value
      - .offset:         96
        .size:           8
        .value_kind:     by_value
      - .offset:         104
        .size:           4
        .value_kind:     by_value
    .group_segment_fixed_size: 2048
    .kernarg_segment_align: 8
    .kernarg_segment_size: 108
    .language:       OpenCL C
    .language_version:
      - 2
      - 0
    .max_flat_workgroup_size: 256
    .name:           _ZL34rocblas_syrkx_herkx_general_kernelIlfLi16ELi32ELi8ELb0ELb0ELc67ELc76EKPKfKPfEviT_T0_PT8_S5_lS8_S5_lS6_PT9_S5_li
    .private_segment_fixed_size: 0
    .sgpr_count:     32
    .sgpr_spill_count: 0
    .symbol:         _ZL34rocblas_syrkx_herkx_general_kernelIlfLi16ELi32ELi8ELb0ELb0ELc67ELc76EKPKfKPfEviT_T0_PT8_S5_lS8_S5_lS6_PT9_S5_li.kd
    .uniform_work_group_size: 1
    .uses_dynamic_stack: false
    .vgpr_count:     36
    .vgpr_spill_count: 0
    .wavefront_size: 64
  - .args:
      - .offset:         0
        .size:           4
        .value_kind:     by_value
      - .offset:         8
        .size:           8
        .value_kind:     by_value
      - .offset:         16
        .size:           4
        .value_kind:     by_value
      - .address_space:  global
        .offset:         24
        .size:           8
        .value_kind:     global_buffer
      - .offset:         32
        .size:           8
        .value_kind:     by_value
      - .offset:         40
        .size:           8
        .value_kind:     by_value
      - .address_space:  global
        .offset:         48
        .size:           8
        .value_kind:     global_buffer
      - .offset:         56
        .size:           8
        .value_kind:     by_value
      - .offset:         64
        .size:           8
        .value_kind:     by_value
      - .offset:         72
        .size:           4
        .value_kind:     by_value
      - .address_space:  global
        .offset:         80
        .size:           8
        .value_kind:     global_buffer
      - .offset:         88
        .size:           8
        .value_kind:     by_value
      - .offset:         96
        .size:           8
        .value_kind:     by_value
      - .offset:         104
        .size:           4
        .value_kind:     by_value
    .group_segment_fixed_size: 2048
    .kernarg_segment_align: 8
    .kernarg_segment_size: 108
    .language:       OpenCL C
    .language_version:
      - 2
      - 0
    .max_flat_workgroup_size: 256
    .name:           _ZL34rocblas_syrkx_herkx_general_kernelIlfLi16ELi32ELi8ELb0ELb0ELc78ELc76EKPKfKPfEviT_T0_PT8_S5_lS8_S5_lS6_PT9_S5_li
    .private_segment_fixed_size: 0
    .sgpr_count:     29
    .sgpr_spill_count: 0
    .symbol:         _ZL34rocblas_syrkx_herkx_general_kernelIlfLi16ELi32ELi8ELb0ELb0ELc78ELc76EKPKfKPfEviT_T0_PT8_S5_lS8_S5_lS6_PT9_S5_li.kd
    .uniform_work_group_size: 1
    .uses_dynamic_stack: false
    .vgpr_count:     36
    .vgpr_spill_count: 0
    .wavefront_size: 64
  - .args:
      - .offset:         0
        .size:           4
        .value_kind:     by_value
      - .offset:         8
        .size:           8
        .value_kind:     by_value
      - .offset:         16
        .size:           4
        .value_kind:     by_value
      - .address_space:  global
        .offset:         24
        .size:           8
        .value_kind:     global_buffer
      - .offset:         32
        .size:           8
        .value_kind:     by_value
      - .offset:         40
        .size:           8
        .value_kind:     by_value
      - .address_space:  global
        .offset:         48
        .size:           8
        .value_kind:     global_buffer
      - .offset:         56
        .size:           8
        .value_kind:     by_value
      - .offset:         64
        .size:           8
        .value_kind:     by_value
      - .offset:         72
        .size:           4
        .value_kind:     by_value
      - .address_space:  global
        .offset:         80
        .size:           8
        .value_kind:     global_buffer
      - .offset:         88
        .size:           8
        .value_kind:     by_value
      - .offset:         96
        .size:           8
        .value_kind:     by_value
      - .offset:         104
        .size:           4
        .value_kind:     by_value
    .group_segment_fixed_size: 2048
    .kernarg_segment_align: 8
    .kernarg_segment_size: 108
    .language:       OpenCL C
    .language_version:
      - 2
      - 0
    .max_flat_workgroup_size: 256
    .name:           _ZL34rocblas_syrkx_herkx_general_kernelIlfLi16ELi32ELi8ELb0ELb0ELc84ELc85EKPKfKPfEviT_T0_PT8_S5_lS8_S5_lS6_PT9_S5_li
    .private_segment_fixed_size: 0
    .sgpr_count:     32
    .sgpr_spill_count: 0
    .symbol:         _ZL34rocblas_syrkx_herkx_general_kernelIlfLi16ELi32ELi8ELb0ELb0ELc84ELc85EKPKfKPfEviT_T0_PT8_S5_lS8_S5_lS6_PT9_S5_li.kd
    .uniform_work_group_size: 1
    .uses_dynamic_stack: false
    .vgpr_count:     36
    .vgpr_spill_count: 0
    .wavefront_size: 64
  - .args:
      - .offset:         0
        .size:           4
        .value_kind:     by_value
      - .offset:         8
        .size:           8
        .value_kind:     by_value
      - .offset:         16
        .size:           4
        .value_kind:     by_value
      - .address_space:  global
        .offset:         24
        .size:           8
        .value_kind:     global_buffer
      - .offset:         32
        .size:           8
        .value_kind:     by_value
      - .offset:         40
        .size:           8
        .value_kind:     by_value
      - .address_space:  global
        .offset:         48
        .size:           8
        .value_kind:     global_buffer
      - .offset:         56
        .size:           8
        .value_kind:     by_value
      - .offset:         64
        .size:           8
        .value_kind:     by_value
      - .offset:         72
        .size:           4
        .value_kind:     by_value
      - .address_space:  global
        .offset:         80
        .size:           8
        .value_kind:     global_buffer
      - .offset:         88
        .size:           8
        .value_kind:     by_value
      - .offset:         96
        .size:           8
        .value_kind:     by_value
      - .offset:         104
        .size:           4
        .value_kind:     by_value
    .group_segment_fixed_size: 2048
    .kernarg_segment_align: 8
    .kernarg_segment_size: 108
    .language:       OpenCL C
    .language_version:
      - 2
      - 0
    .max_flat_workgroup_size: 256
    .name:           _ZL34rocblas_syrkx_herkx_general_kernelIlfLi16ELi32ELi8ELb0ELb0ELc67ELc85EKPKfKPfEviT_T0_PT8_S5_lS8_S5_lS6_PT9_S5_li
    .private_segment_fixed_size: 0
    .sgpr_count:     32
    .sgpr_spill_count: 0
    .symbol:         _ZL34rocblas_syrkx_herkx_general_kernelIlfLi16ELi32ELi8ELb0ELb0ELc67ELc85EKPKfKPfEviT_T0_PT8_S5_lS8_S5_lS6_PT9_S5_li.kd
    .uniform_work_group_size: 1
    .uses_dynamic_stack: false
    .vgpr_count:     36
    .vgpr_spill_count: 0
    .wavefront_size: 64
  - .args:
      - .offset:         0
        .size:           4
        .value_kind:     by_value
      - .offset:         8
        .size:           8
        .value_kind:     by_value
      - .offset:         16
        .size:           4
        .value_kind:     by_value
      - .address_space:  global
        .offset:         24
        .size:           8
        .value_kind:     global_buffer
      - .offset:         32
        .size:           8
        .value_kind:     by_value
      - .offset:         40
        .size:           8
        .value_kind:     by_value
      - .address_space:  global
        .offset:         48
        .size:           8
        .value_kind:     global_buffer
      - .offset:         56
        .size:           8
        .value_kind:     by_value
      - .offset:         64
        .size:           8
        .value_kind:     by_value
      - .offset:         72
        .size:           4
        .value_kind:     by_value
      - .address_space:  global
        .offset:         80
        .size:           8
        .value_kind:     global_buffer
      - .offset:         88
        .size:           8
        .value_kind:     by_value
      - .offset:         96
        .size:           8
        .value_kind:     by_value
      - .offset:         104
        .size:           4
        .value_kind:     by_value
    .group_segment_fixed_size: 2048
    .kernarg_segment_align: 8
    .kernarg_segment_size: 108
    .language:       OpenCL C
    .language_version:
      - 2
      - 0
    .max_flat_workgroup_size: 256
    .name:           _ZL34rocblas_syrkx_herkx_general_kernelIlfLi16ELi32ELi8ELb0ELb0ELc78ELc85EKPKfKPfEviT_T0_PT8_S5_lS8_S5_lS6_PT9_S5_li
    .private_segment_fixed_size: 0
    .sgpr_count:     29
    .sgpr_spill_count: 0
    .symbol:         _ZL34rocblas_syrkx_herkx_general_kernelIlfLi16ELi32ELi8ELb0ELb0ELc78ELc85EKPKfKPfEviT_T0_PT8_S5_lS8_S5_lS6_PT9_S5_li.kd
    .uniform_work_group_size: 1
    .uses_dynamic_stack: false
    .vgpr_count:     36
    .vgpr_spill_count: 0
    .wavefront_size: 64
  - .args:
      - .offset:         0
        .size:           1
        .value_kind:     by_value
      - .offset:         4
        .size:           4
        .value_kind:     by_value
      - .offset:         8
        .size:           8
        .value_kind:     by_value
      - .offset:         16
        .size:           4
        .value_kind:     by_value
      - .offset:         20
        .size:           4
        .value_kind:     by_value
      - .address_space:  global
        .offset:         24
        .size:           8
        .value_kind:     global_buffer
      - .offset:         32
        .size:           8
        .value_kind:     by_value
      - .offset:         40
        .size:           8
        .value_kind:     by_value
      - .offset:         48
        .size:           4
        .value_kind:     by_value
      - .offset:         56
        .size:           4
        .value_kind:     hidden_block_count_x
      - .offset:         60
        .size:           4
        .value_kind:     hidden_block_count_y
      - .offset:         64
        .size:           4
        .value_kind:     hidden_block_count_z
      - .offset:         68
        .size:           2
        .value_kind:     hidden_group_size_x
      - .offset:         70
        .size:           2
        .value_kind:     hidden_group_size_y
      - .offset:         72
        .size:           2
        .value_kind:     hidden_group_size_z
      - .offset:         74
        .size:           2
        .value_kind:     hidden_remainder_x
      - .offset:         76
        .size:           2
        .value_kind:     hidden_remainder_y
      - .offset:         78
        .size:           2
        .value_kind:     hidden_remainder_z
      - .offset:         96
        .size:           8
        .value_kind:     hidden_global_offset_x
      - .offset:         104
        .size:           8
        .value_kind:     hidden_global_offset_y
      - .offset:         112
        .size:           8
        .value_kind:     hidden_global_offset_z
      - .offset:         120
        .size:           2
        .value_kind:     hidden_grid_dims
    .group_segment_fixed_size: 0
    .kernarg_segment_align: 8
    .kernarg_segment_size: 312
    .language:       OpenCL C
    .language_version:
      - 2
      - 0
    .max_flat_workgroup_size: 1024
    .name:           _ZL26rocblas_syr2k_scale_kernelIlLi128ELi8ELb0EffPKPfEvbiT_T3_T4_T5_S3_li
    .private_segment_fixed_size: 0
    .sgpr_count:     20
    .sgpr_spill_count: 0
    .symbol:         _ZL26rocblas_syr2k_scale_kernelIlLi128ELi8ELb0EffPKPfEvbiT_T3_T4_T5_S3_li.kd
    .uniform_work_group_size: 1
    .uses_dynamic_stack: false
    .vgpr_count:     6
    .vgpr_spill_count: 0
    .wavefront_size: 64
  - .args:
      - .offset:         0
        .size:           1
        .value_kind:     by_value
      - .offset:         4
        .size:           4
        .value_kind:     by_value
      - .offset:         8
        .size:           8
        .value_kind:     by_value
      - .address_space:  global
        .offset:         16
        .size:           8
        .value_kind:     global_buffer
      - .address_space:  global
        .offset:         24
        .size:           8
        .value_kind:     global_buffer
      - .offset:         32
        .size:           8
        .value_kind:     by_value
      - .offset:         40
        .size:           8
        .value_kind:     by_value
      - .address_space:  global
        .offset:         48
        .size:           8
        .value_kind:     global_buffer
      - .offset:         56
        .size:           8
        .value_kind:     by_value
      - .offset:         64
        .size:           8
        .value_kind:     by_value
      - .address_space:  global
        .offset:         72
        .size:           8
        .value_kind:     global_buffer
      - .offset:         80
        .size:           8
        .value_kind:     by_value
      - .offset:         88
        .size:           8
        .value_kind:     by_value
      - .offset:         96
        .size:           4
        .value_kind:     by_value
    .group_segment_fixed_size: 8192
    .kernarg_segment_align: 8
    .kernarg_segment_size: 100
    .language:       OpenCL C
    .language_version:
      - 2
      - 0
    .max_flat_workgroup_size: 1024
    .name:           _ZL26rocblas_syr2k_her2k_kernelIlLb0ELb0ELb0ELi32EPKfPKS1_PKPfEvbiT_T4_T5_S7_lS9_S7_lT6_S7_li
    .private_segment_fixed_size: 0
    .sgpr_count:     38
    .sgpr_spill_count: 0
    .symbol:         _ZL26rocblas_syr2k_her2k_kernelIlLb0ELb0ELb0ELi32EPKfPKS1_PKPfEvbiT_T4_T5_S7_lS9_S7_lT6_S7_li.kd
    .uniform_work_group_size: 1
    .uses_dynamic_stack: false
    .vgpr_count:     29
    .vgpr_spill_count: 0
    .wavefront_size: 64
  - .args:
      - .offset:         0
        .size:           1
        .value_kind:     by_value
      - .offset:         4
        .size:           4
        .value_kind:     by_value
      - .offset:         8
        .size:           8
        .value_kind:     by_value
      - .address_space:  global
        .offset:         16
        .size:           8
        .value_kind:     global_buffer
      - .address_space:  global
        .offset:         24
        .size:           8
        .value_kind:     global_buffer
      - .offset:         32
        .size:           8
        .value_kind:     by_value
      - .offset:         40
        .size:           8
        .value_kind:     by_value
      - .address_space:  global
        .offset:         48
        .size:           8
        .value_kind:     global_buffer
      - .offset:         56
        .size:           8
        .value_kind:     by_value
      - .offset:         64
        .size:           8
        .value_kind:     by_value
      - .address_space:  global
        .offset:         72
        .size:           8
        .value_kind:     global_buffer
      - .offset:         80
        .size:           8
        .value_kind:     by_value
      - .offset:         88
        .size:           8
        .value_kind:     by_value
      - .offset:         96
        .size:           4
        .value_kind:     by_value
    .group_segment_fixed_size: 8192
    .kernarg_segment_align: 8
    .kernarg_segment_size: 100
    .language:       OpenCL C
    .language_version:
      - 2
      - 0
    .max_flat_workgroup_size: 1024
    .name:           _ZL26rocblas_syr2k_her2k_kernelIlLb0ELb0ELb1ELi32EPKfPKS1_PKPfEvbiT_T4_T5_S7_lS9_S7_lT6_S7_li
    .private_segment_fixed_size: 0
    .sgpr_count:     40
    .sgpr_spill_count: 0
    .symbol:         _ZL26rocblas_syr2k_her2k_kernelIlLb0ELb0ELb1ELi32EPKfPKS1_PKPfEvbiT_T4_T5_S7_lS9_S7_lT6_S7_li.kd
    .uniform_work_group_size: 1
    .uses_dynamic_stack: false
    .vgpr_count:     29
    .vgpr_spill_count: 0
    .wavefront_size: 64
  - .args:
      - .offset:         0
        .size:           1
        .value_kind:     by_value
      - .offset:         4
        .size:           4
        .value_kind:     by_value
      - .offset:         8
        .size:           8
        .value_kind:     by_value
      - .offset:         16
        .size:           8
        .value_kind:     by_value
      - .address_space:  global
        .offset:         24
        .size:           8
        .value_kind:     global_buffer
      - .offset:         32
        .size:           8
        .value_kind:     by_value
      - .offset:         40
        .size:           8
        .value_kind:     by_value
      - .address_space:  global
        .offset:         48
        .size:           8
        .value_kind:     global_buffer
      - .offset:         56
        .size:           8
        .value_kind:     by_value
      - .offset:         64
        .size:           8
        .value_kind:     by_value
      - .address_space:  global
        .offset:         72
        .size:           8
        .value_kind:     global_buffer
      - .offset:         80
        .size:           8
        .value_kind:     by_value
      - .offset:         88
        .size:           8
        .value_kind:     by_value
      - .offset:         96
        .size:           4
        .value_kind:     by_value
    .group_segment_fixed_size: 16384
    .kernarg_segment_align: 8
    .kernarg_segment_size: 100
    .language:       OpenCL C
    .language_version:
      - 2
      - 0
    .max_flat_workgroup_size: 1024
    .name:           _ZL26rocblas_syr2k_her2k_kernelIlLb0ELb0ELb0ELi32EdPKPKdPKPdEvbiT_T4_T5_S7_lS9_S7_lT6_S7_li
    .private_segment_fixed_size: 0
    .sgpr_count:     40
    .sgpr_spill_count: 0
    .symbol:         _ZL26rocblas_syr2k_her2k_kernelIlLb0ELb0ELb0ELi32EdPKPKdPKPdEvbiT_T4_T5_S7_lS9_S7_lT6_S7_li.kd
    .uniform_work_group_size: 1
    .uses_dynamic_stack: false
    .vgpr_count:     27
    .vgpr_spill_count: 0
    .wavefront_size: 64
  - .args:
      - .offset:         0
        .size:           1
        .value_kind:     by_value
      - .offset:         4
        .size:           4
        .value_kind:     by_value
      - .offset:         8
        .size:           8
        .value_kind:     by_value
      - .offset:         16
        .size:           8
        .value_kind:     by_value
      - .address_space:  global
        .offset:         24
        .size:           8
        .value_kind:     global_buffer
      - .offset:         32
        .size:           8
        .value_kind:     by_value
      - .offset:         40
        .size:           8
        .value_kind:     by_value
      - .address_space:  global
        .offset:         48
        .size:           8
        .value_kind:     global_buffer
      - .offset:         56
        .size:           8
        .value_kind:     by_value
      - .offset:         64
        .size:           8
        .value_kind:     by_value
      - .address_space:  global
        .offset:         72
        .size:           8
        .value_kind:     global_buffer
      - .offset:         80
        .size:           8
        .value_kind:     by_value
      - .offset:         88
        .size:           8
        .value_kind:     by_value
      - .offset:         96
        .size:           4
        .value_kind:     by_value
    .group_segment_fixed_size: 16384
    .kernarg_segment_align: 8
    .kernarg_segment_size: 100
    .language:       OpenCL C
    .language_version:
      - 2
      - 0
    .max_flat_workgroup_size: 1024
    .name:           _ZL26rocblas_syr2k_her2k_kernelIlLb0ELb0ELb1ELi32EdPKPKdPKPdEvbiT_T4_T5_S7_lS9_S7_lT6_S7_li
    .private_segment_fixed_size: 0
    .sgpr_count:     40
    .sgpr_spill_count: 0
    .symbol:         _ZL26rocblas_syr2k_her2k_kernelIlLb0ELb0ELb1ELi32EdPKPKdPKPdEvbiT_T4_T5_S7_lS9_S7_lT6_S7_li.kd
    .uniform_work_group_size: 1
    .uses_dynamic_stack: false
    .vgpr_count:     27
    .vgpr_spill_count: 0
    .wavefront_size: 64
  - .args:
      - .offset:         0
        .size:           4
        .value_kind:     by_value
      - .offset:         8
        .size:           8
        .value_kind:     by_value
      - .address_space:  global
        .offset:         16
        .size:           8
        .value_kind:     global_buffer
      - .offset:         24
        .size:           8
        .value_kind:     by_value
      - .offset:         32
        .size:           8
        .value_kind:     by_value
      - .address_space:  global
        .offset:         40
        .size:           8
        .value_kind:     global_buffer
      - .offset:         48
        .size:           8
        .value_kind:     by_value
      - .offset:         56
        .size:           8
        .value_kind:     by_value
      - .address_space:  global
        .offset:         64
        .size:           8
        .value_kind:     global_buffer
      - .offset:         72
        .size:           8
        .value_kind:     by_value
      - .offset:         80
        .size:           8
        .value_kind:     by_value
      - .offset:         88
        .size:           4
        .value_kind:     by_value
    .group_segment_fixed_size: 4096
    .kernarg_segment_align: 8
    .kernarg_segment_size: 92
    .language:       OpenCL C
    .language_version:
      - 2
      - 0
    .max_flat_workgroup_size: 256
    .name:           _ZL37rocblas_syrkx_herkx_restricted_kernelIldLi16ELi32ELi8ELi1ELi1ELb0ELc84ELc76EKPKdKPdEviT_PT9_S5_lS7_S5_lPT10_S5_li
    .private_segment_fixed_size: 0
    .sgpr_count:     28
    .sgpr_spill_count: 0
    .symbol:         _ZL37rocblas_syrkx_herkx_restricted_kernelIldLi16ELi32ELi8ELi1ELi1ELb0ELc84ELc76EKPKdKPdEviT_PT9_S5_lS7_S5_lPT10_S5_li.kd
    .uniform_work_group_size: 1
    .uses_dynamic_stack: false
    .vgpr_count:     38
    .vgpr_spill_count: 0
    .wavefront_size: 64
  - .args:
      - .offset:         0
        .size:           4
        .value_kind:     by_value
      - .offset:         8
        .size:           8
        .value_kind:     by_value
      - .address_space:  global
        .offset:         16
        .size:           8
        .value_kind:     global_buffer
      - .offset:         24
        .size:           8
        .value_kind:     by_value
      - .offset:         32
        .size:           8
        .value_kind:     by_value
      - .address_space:  global
        .offset:         40
        .size:           8
        .value_kind:     global_buffer
      - .offset:         48
        .size:           8
        .value_kind:     by_value
      - .offset:         56
        .size:           8
        .value_kind:     by_value
      - .address_space:  global
        .offset:         64
        .size:           8
        .value_kind:     global_buffer
      - .offset:         72
        .size:           8
        .value_kind:     by_value
      - .offset:         80
        .size:           8
        .value_kind:     by_value
      - .offset:         88
        .size:           4
        .value_kind:     by_value
    .group_segment_fixed_size: 4096
    .kernarg_segment_align: 8
    .kernarg_segment_size: 92
    .language:       OpenCL C
    .language_version:
      - 2
      - 0
    .max_flat_workgroup_size: 256
    .name:           _ZL37rocblas_syrkx_herkx_restricted_kernelIldLi16ELi32ELi8ELi1ELi1ELb0ELc67ELc76EKPKdKPdEviT_PT9_S5_lS7_S5_lPT10_S5_li
    .private_segment_fixed_size: 0
    .sgpr_count:     28
    .sgpr_spill_count: 0
    .symbol:         _ZL37rocblas_syrkx_herkx_restricted_kernelIldLi16ELi32ELi8ELi1ELi1ELb0ELc67ELc76EKPKdKPdEviT_PT9_S5_lS7_S5_lPT10_S5_li.kd
    .uniform_work_group_size: 1
    .uses_dynamic_stack: false
    .vgpr_count:     38
    .vgpr_spill_count: 0
    .wavefront_size: 64
  - .args:
      - .offset:         0
        .size:           4
        .value_kind:     by_value
      - .offset:         8
        .size:           8
        .value_kind:     by_value
      - .address_space:  global
        .offset:         16
        .size:           8
        .value_kind:     global_buffer
      - .offset:         24
        .size:           8
        .value_kind:     by_value
      - .offset:         32
        .size:           8
        .value_kind:     by_value
      - .address_space:  global
        .offset:         40
        .size:           8
        .value_kind:     global_buffer
      - .offset:         48
        .size:           8
        .value_kind:     by_value
      - .offset:         56
        .size:           8
        .value_kind:     by_value
      - .address_space:  global
        .offset:         64
        .size:           8
        .value_kind:     global_buffer
      - .offset:         72
        .size:           8
        .value_kind:     by_value
      - .offset:         80
        .size:           8
        .value_kind:     by_value
      - .offset:         88
        .size:           4
        .value_kind:     by_value
    .group_segment_fixed_size: 4096
    .kernarg_segment_align: 8
    .kernarg_segment_size: 92
    .language:       OpenCL C
    .language_version:
      - 2
      - 0
    .max_flat_workgroup_size: 256
    .name:           _ZL37rocblas_syrkx_herkx_restricted_kernelIldLi16ELi32ELi8ELi1ELi1ELb0ELc78ELc76EKPKdKPdEviT_PT9_S5_lS7_S5_lPT10_S5_li
    .private_segment_fixed_size: 0
    .sgpr_count:     26
    .sgpr_spill_count: 0
    .symbol:         _ZL37rocblas_syrkx_herkx_restricted_kernelIldLi16ELi32ELi8ELi1ELi1ELb0ELc78ELc76EKPKdKPdEviT_PT9_S5_lS7_S5_lPT10_S5_li.kd
    .uniform_work_group_size: 1
    .uses_dynamic_stack: false
    .vgpr_count:     38
    .vgpr_spill_count: 0
    .wavefront_size: 64
  - .args:
      - .offset:         0
        .size:           4
        .value_kind:     by_value
      - .offset:         8
        .size:           8
        .value_kind:     by_value
      - .address_space:  global
        .offset:         16
        .size:           8
        .value_kind:     global_buffer
      - .offset:         24
        .size:           8
        .value_kind:     by_value
      - .offset:         32
        .size:           8
        .value_kind:     by_value
      - .address_space:  global
        .offset:         40
        .size:           8
        .value_kind:     global_buffer
      - .offset:         48
        .size:           8
        .value_kind:     by_value
      - .offset:         56
        .size:           8
        .value_kind:     by_value
      - .address_space:  global
        .offset:         64
        .size:           8
        .value_kind:     global_buffer
      - .offset:         72
        .size:           8
        .value_kind:     by_value
      - .offset:         80
        .size:           8
        .value_kind:     by_value
      - .offset:         88
        .size:           4
        .value_kind:     by_value
    .group_segment_fixed_size: 4096
    .kernarg_segment_align: 8
    .kernarg_segment_size: 92
    .language:       OpenCL C
    .language_version:
      - 2
      - 0
    .max_flat_workgroup_size: 256
    .name:           _ZL37rocblas_syrkx_herkx_restricted_kernelIldLi16ELi32ELi8ELi1ELi1ELb0ELc84ELc85EKPKdKPdEviT_PT9_S5_lS7_S5_lPT10_S5_li
    .private_segment_fixed_size: 0
    .sgpr_count:     28
    .sgpr_spill_count: 0
    .symbol:         _ZL37rocblas_syrkx_herkx_restricted_kernelIldLi16ELi32ELi8ELi1ELi1ELb0ELc84ELc85EKPKdKPdEviT_PT9_S5_lS7_S5_lPT10_S5_li.kd
    .uniform_work_group_size: 1
    .uses_dynamic_stack: false
    .vgpr_count:     38
    .vgpr_spill_count: 0
    .wavefront_size: 64
  - .args:
      - .offset:         0
        .size:           4
        .value_kind:     by_value
      - .offset:         8
        .size:           8
        .value_kind:     by_value
      - .address_space:  global
        .offset:         16
        .size:           8
        .value_kind:     global_buffer
      - .offset:         24
        .size:           8
        .value_kind:     by_value
      - .offset:         32
        .size:           8
        .value_kind:     by_value
      - .address_space:  global
        .offset:         40
        .size:           8
        .value_kind:     global_buffer
      - .offset:         48
        .size:           8
        .value_kind:     by_value
      - .offset:         56
        .size:           8
        .value_kind:     by_value
      - .address_space:  global
        .offset:         64
        .size:           8
        .value_kind:     global_buffer
      - .offset:         72
        .size:           8
        .value_kind:     by_value
      - .offset:         80
        .size:           8
        .value_kind:     by_value
      - .offset:         88
        .size:           4
        .value_kind:     by_value
    .group_segment_fixed_size: 4096
    .kernarg_segment_align: 8
    .kernarg_segment_size: 92
    .language:       OpenCL C
    .language_version:
      - 2
      - 0
    .max_flat_workgroup_size: 256
    .name:           _ZL37rocblas_syrkx_herkx_restricted_kernelIldLi16ELi32ELi8ELi1ELi1ELb0ELc67ELc85EKPKdKPdEviT_PT9_S5_lS7_S5_lPT10_S5_li
    .private_segment_fixed_size: 0
    .sgpr_count:     28
    .sgpr_spill_count: 0
    .symbol:         _ZL37rocblas_syrkx_herkx_restricted_kernelIldLi16ELi32ELi8ELi1ELi1ELb0ELc67ELc85EKPKdKPdEviT_PT9_S5_lS7_S5_lPT10_S5_li.kd
    .uniform_work_group_size: 1
    .uses_dynamic_stack: false
    .vgpr_count:     38
    .vgpr_spill_count: 0
    .wavefront_size: 64
  - .args:
      - .offset:         0
        .size:           4
        .value_kind:     by_value
      - .offset:         8
        .size:           8
        .value_kind:     by_value
      - .address_space:  global
        .offset:         16
        .size:           8
        .value_kind:     global_buffer
      - .offset:         24
        .size:           8
        .value_kind:     by_value
      - .offset:         32
        .size:           8
        .value_kind:     by_value
      - .address_space:  global
        .offset:         40
        .size:           8
        .value_kind:     global_buffer
      - .offset:         48
        .size:           8
        .value_kind:     by_value
      - .offset:         56
        .size:           8
        .value_kind:     by_value
      - .address_space:  global
        .offset:         64
        .size:           8
        .value_kind:     global_buffer
      - .offset:         72
        .size:           8
        .value_kind:     by_value
      - .offset:         80
        .size:           8
        .value_kind:     by_value
      - .offset:         88
        .size:           4
        .value_kind:     by_value
    .group_segment_fixed_size: 4096
    .kernarg_segment_align: 8
    .kernarg_segment_size: 92
    .language:       OpenCL C
    .language_version:
      - 2
      - 0
    .max_flat_workgroup_size: 256
    .name:           _ZL37rocblas_syrkx_herkx_restricted_kernelIldLi16ELi32ELi8ELi1ELi1ELb0ELc78ELc85EKPKdKPdEviT_PT9_S5_lS7_S5_lPT10_S5_li
    .private_segment_fixed_size: 0
    .sgpr_count:     26
    .sgpr_spill_count: 0
    .symbol:         _ZL37rocblas_syrkx_herkx_restricted_kernelIldLi16ELi32ELi8ELi1ELi1ELb0ELc78ELc85EKPKdKPdEviT_PT9_S5_lS7_S5_lPT10_S5_li.kd
    .uniform_work_group_size: 1
    .uses_dynamic_stack: false
    .vgpr_count:     38
    .vgpr_spill_count: 0
    .wavefront_size: 64
  - .args:
      - .offset:         0
        .size:           4
        .value_kind:     by_value
      - .offset:         8
        .size:           8
        .value_kind:     by_value
      - .address_space:  global
        .offset:         16
        .size:           8
        .value_kind:     global_buffer
      - .offset:         24
        .size:           8
        .value_kind:     by_value
      - .offset:         32
        .size:           8
        .value_kind:     by_value
      - .address_space:  global
        .offset:         40
        .size:           8
        .value_kind:     global_buffer
      - .offset:         48
        .size:           8
        .value_kind:     by_value
      - .offset:         56
        .size:           8
        .value_kind:     by_value
      - .address_space:  global
        .offset:         64
        .size:           8
        .value_kind:     global_buffer
      - .offset:         72
        .size:           8
        .value_kind:     by_value
      - .offset:         80
        .size:           8
        .value_kind:     by_value
      - .offset:         88
        .size:           4
        .value_kind:     by_value
    .group_segment_fixed_size: 4096
    .kernarg_segment_align: 8
    .kernarg_segment_size: 92
    .language:       OpenCL C
    .language_version:
      - 2
      - 0
    .max_flat_workgroup_size: 256
    .name:           _ZL37rocblas_syrkx_herkx_restricted_kernelIldLi16ELi32ELi8ELi1ELin1ELb0ELc84ELc76EKPKdKPdEviT_PT9_S5_lS7_S5_lPT10_S5_li
    .private_segment_fixed_size: 0
    .sgpr_count:     28
    .sgpr_spill_count: 0
    .symbol:         _ZL37rocblas_syrkx_herkx_restricted_kernelIldLi16ELi32ELi8ELi1ELin1ELb0ELc84ELc76EKPKdKPdEviT_PT9_S5_lS7_S5_lPT10_S5_li.kd
    .uniform_work_group_size: 1
    .uses_dynamic_stack: false
    .vgpr_count:     38
    .vgpr_spill_count: 0
    .wavefront_size: 64
  - .args:
      - .offset:         0
        .size:           4
        .value_kind:     by_value
      - .offset:         8
        .size:           8
        .value_kind:     by_value
      - .address_space:  global
        .offset:         16
        .size:           8
        .value_kind:     global_buffer
      - .offset:         24
        .size:           8
        .value_kind:     by_value
      - .offset:         32
        .size:           8
        .value_kind:     by_value
      - .address_space:  global
        .offset:         40
        .size:           8
        .value_kind:     global_buffer
      - .offset:         48
        .size:           8
        .value_kind:     by_value
      - .offset:         56
        .size:           8
        .value_kind:     by_value
      - .address_space:  global
        .offset:         64
        .size:           8
        .value_kind:     global_buffer
      - .offset:         72
        .size:           8
        .value_kind:     by_value
      - .offset:         80
        .size:           8
        .value_kind:     by_value
      - .offset:         88
        .size:           4
        .value_kind:     by_value
    .group_segment_fixed_size: 4096
    .kernarg_segment_align: 8
    .kernarg_segment_size: 92
    .language:       OpenCL C
    .language_version:
      - 2
      - 0
    .max_flat_workgroup_size: 256
    .name:           _ZL37rocblas_syrkx_herkx_restricted_kernelIldLi16ELi32ELi8ELi1ELin1ELb0ELc67ELc76EKPKdKPdEviT_PT9_S5_lS7_S5_lPT10_S5_li
    .private_segment_fixed_size: 0
    .sgpr_count:     28
    .sgpr_spill_count: 0
    .symbol:         _ZL37rocblas_syrkx_herkx_restricted_kernelIldLi16ELi32ELi8ELi1ELin1ELb0ELc67ELc76EKPKdKPdEviT_PT9_S5_lS7_S5_lPT10_S5_li.kd
    .uniform_work_group_size: 1
    .uses_dynamic_stack: false
    .vgpr_count:     38
    .vgpr_spill_count: 0
    .wavefront_size: 64
  - .args:
      - .offset:         0
        .size:           4
        .value_kind:     by_value
      - .offset:         8
        .size:           8
        .value_kind:     by_value
      - .address_space:  global
        .offset:         16
        .size:           8
        .value_kind:     global_buffer
      - .offset:         24
        .size:           8
        .value_kind:     by_value
      - .offset:         32
        .size:           8
        .value_kind:     by_value
      - .address_space:  global
        .offset:         40
        .size:           8
        .value_kind:     global_buffer
      - .offset:         48
        .size:           8
        .value_kind:     by_value
      - .offset:         56
        .size:           8
        .value_kind:     by_value
      - .address_space:  global
        .offset:         64
        .size:           8
        .value_kind:     global_buffer
      - .offset:         72
        .size:           8
        .value_kind:     by_value
      - .offset:         80
        .size:           8
        .value_kind:     by_value
      - .offset:         88
        .size:           4
        .value_kind:     by_value
    .group_segment_fixed_size: 4096
    .kernarg_segment_align: 8
    .kernarg_segment_size: 92
    .language:       OpenCL C
    .language_version:
      - 2
      - 0
    .max_flat_workgroup_size: 256
    .name:           _ZL37rocblas_syrkx_herkx_restricted_kernelIldLi16ELi32ELi8ELi1ELin1ELb0ELc78ELc76EKPKdKPdEviT_PT9_S5_lS7_S5_lPT10_S5_li
    .private_segment_fixed_size: 0
    .sgpr_count:     26
    .sgpr_spill_count: 0
    .symbol:         _ZL37rocblas_syrkx_herkx_restricted_kernelIldLi16ELi32ELi8ELi1ELin1ELb0ELc78ELc76EKPKdKPdEviT_PT9_S5_lS7_S5_lPT10_S5_li.kd
    .uniform_work_group_size: 1
    .uses_dynamic_stack: false
    .vgpr_count:     38
    .vgpr_spill_count: 0
    .wavefront_size: 64
  - .args:
      - .offset:         0
        .size:           4
        .value_kind:     by_value
      - .offset:         8
        .size:           8
        .value_kind:     by_value
      - .address_space:  global
        .offset:         16
        .size:           8
        .value_kind:     global_buffer
      - .offset:         24
        .size:           8
        .value_kind:     by_value
      - .offset:         32
        .size:           8
        .value_kind:     by_value
      - .address_space:  global
        .offset:         40
        .size:           8
        .value_kind:     global_buffer
      - .offset:         48
        .size:           8
        .value_kind:     by_value
      - .offset:         56
        .size:           8
        .value_kind:     by_value
      - .address_space:  global
        .offset:         64
        .size:           8
        .value_kind:     global_buffer
      - .offset:         72
        .size:           8
        .value_kind:     by_value
      - .offset:         80
        .size:           8
        .value_kind:     by_value
      - .offset:         88
        .size:           4
        .value_kind:     by_value
    .group_segment_fixed_size: 4096
    .kernarg_segment_align: 8
    .kernarg_segment_size: 92
    .language:       OpenCL C
    .language_version:
      - 2
      - 0
    .max_flat_workgroup_size: 256
    .name:           _ZL37rocblas_syrkx_herkx_restricted_kernelIldLi16ELi32ELi8ELi1ELin1ELb0ELc84ELc85EKPKdKPdEviT_PT9_S5_lS7_S5_lPT10_S5_li
    .private_segment_fixed_size: 0
    .sgpr_count:     28
    .sgpr_spill_count: 0
    .symbol:         _ZL37rocblas_syrkx_herkx_restricted_kernelIldLi16ELi32ELi8ELi1ELin1ELb0ELc84ELc85EKPKdKPdEviT_PT9_S5_lS7_S5_lPT10_S5_li.kd
    .uniform_work_group_size: 1
    .uses_dynamic_stack: false
    .vgpr_count:     38
    .vgpr_spill_count: 0
    .wavefront_size: 64
  - .args:
      - .offset:         0
        .size:           4
        .value_kind:     by_value
      - .offset:         8
        .size:           8
        .value_kind:     by_value
      - .address_space:  global
        .offset:         16
        .size:           8
        .value_kind:     global_buffer
      - .offset:         24
        .size:           8
        .value_kind:     by_value
      - .offset:         32
        .size:           8
        .value_kind:     by_value
      - .address_space:  global
        .offset:         40
        .size:           8
        .value_kind:     global_buffer
      - .offset:         48
        .size:           8
        .value_kind:     by_value
      - .offset:         56
        .size:           8
        .value_kind:     by_value
      - .address_space:  global
        .offset:         64
        .size:           8
        .value_kind:     global_buffer
      - .offset:         72
        .size:           8
        .value_kind:     by_value
      - .offset:         80
        .size:           8
        .value_kind:     by_value
      - .offset:         88
        .size:           4
        .value_kind:     by_value
    .group_segment_fixed_size: 4096
    .kernarg_segment_align: 8
    .kernarg_segment_size: 92
    .language:       OpenCL C
    .language_version:
      - 2
      - 0
    .max_flat_workgroup_size: 256
    .name:           _ZL37rocblas_syrkx_herkx_restricted_kernelIldLi16ELi32ELi8ELi1ELin1ELb0ELc67ELc85EKPKdKPdEviT_PT9_S5_lS7_S5_lPT10_S5_li
    .private_segment_fixed_size: 0
    .sgpr_count:     28
    .sgpr_spill_count: 0
    .symbol:         _ZL37rocblas_syrkx_herkx_restricted_kernelIldLi16ELi32ELi8ELi1ELin1ELb0ELc67ELc85EKPKdKPdEviT_PT9_S5_lS7_S5_lPT10_S5_li.kd
    .uniform_work_group_size: 1
    .uses_dynamic_stack: false
    .vgpr_count:     38
    .vgpr_spill_count: 0
    .wavefront_size: 64
  - .args:
      - .offset:         0
        .size:           4
        .value_kind:     by_value
      - .offset:         8
        .size:           8
        .value_kind:     by_value
      - .address_space:  global
        .offset:         16
        .size:           8
        .value_kind:     global_buffer
      - .offset:         24
        .size:           8
        .value_kind:     by_value
      - .offset:         32
        .size:           8
        .value_kind:     by_value
      - .address_space:  global
        .offset:         40
        .size:           8
        .value_kind:     global_buffer
      - .offset:         48
        .size:           8
        .value_kind:     by_value
      - .offset:         56
        .size:           8
        .value_kind:     by_value
      - .address_space:  global
        .offset:         64
        .size:           8
        .value_kind:     global_buffer
      - .offset:         72
        .size:           8
        .value_kind:     by_value
      - .offset:         80
        .size:           8
        .value_kind:     by_value
      - .offset:         88
        .size:           4
        .value_kind:     by_value
    .group_segment_fixed_size: 4096
    .kernarg_segment_align: 8
    .kernarg_segment_size: 92
    .language:       OpenCL C
    .language_version:
      - 2
      - 0
    .max_flat_workgroup_size: 256
    .name:           _ZL37rocblas_syrkx_herkx_restricted_kernelIldLi16ELi32ELi8ELi1ELin1ELb0ELc78ELc85EKPKdKPdEviT_PT9_S5_lS7_S5_lPT10_S5_li
    .private_segment_fixed_size: 0
    .sgpr_count:     26
    .sgpr_spill_count: 0
    .symbol:         _ZL37rocblas_syrkx_herkx_restricted_kernelIldLi16ELi32ELi8ELi1ELin1ELb0ELc78ELc85EKPKdKPdEviT_PT9_S5_lS7_S5_lPT10_S5_li.kd
    .uniform_work_group_size: 1
    .uses_dynamic_stack: false
    .vgpr_count:     38
    .vgpr_spill_count: 0
    .wavefront_size: 64
  - .args:
      - .offset:         0
        .size:           4
        .value_kind:     by_value
      - .offset:         8
        .size:           8
        .value_kind:     by_value
      - .address_space:  global
        .offset:         16
        .size:           8
        .value_kind:     global_buffer
      - .offset:         24
        .size:           8
        .value_kind:     by_value
      - .offset:         32
        .size:           8
        .value_kind:     by_value
      - .address_space:  global
        .offset:         40
        .size:           8
        .value_kind:     global_buffer
      - .offset:         48
        .size:           8
        .value_kind:     by_value
      - .offset:         56
        .size:           8
        .value_kind:     by_value
      - .address_space:  global
        .offset:         64
        .size:           8
        .value_kind:     global_buffer
      - .offset:         72
        .size:           8
        .value_kind:     by_value
      - .offset:         80
        .size:           8
        .value_kind:     by_value
      - .offset:         88
        .size:           4
        .value_kind:     by_value
    .group_segment_fixed_size: 4096
    .kernarg_segment_align: 8
    .kernarg_segment_size: 92
    .language:       OpenCL C
    .language_version:
      - 2
      - 0
    .max_flat_workgroup_size: 256
    .name:           _ZL37rocblas_syrkx_herkx_restricted_kernelIldLi16ELi32ELi8ELi1ELi0ELb0ELc84ELc76EKPKdKPdEviT_PT9_S5_lS7_S5_lPT10_S5_li
    .private_segment_fixed_size: 0
    .sgpr_count:     28
    .sgpr_spill_count: 0
    .symbol:         _ZL37rocblas_syrkx_herkx_restricted_kernelIldLi16ELi32ELi8ELi1ELi0ELb0ELc84ELc76EKPKdKPdEviT_PT9_S5_lS7_S5_lPT10_S5_li.kd
    .uniform_work_group_size: 1
    .uses_dynamic_stack: false
    .vgpr_count:     38
    .vgpr_spill_count: 0
    .wavefront_size: 64
  - .args:
      - .offset:         0
        .size:           4
        .value_kind:     by_value
      - .offset:         8
        .size:           8
        .value_kind:     by_value
      - .address_space:  global
        .offset:         16
        .size:           8
        .value_kind:     global_buffer
      - .offset:         24
        .size:           8
        .value_kind:     by_value
      - .offset:         32
        .size:           8
        .value_kind:     by_value
      - .address_space:  global
        .offset:         40
        .size:           8
        .value_kind:     global_buffer
      - .offset:         48
        .size:           8
        .value_kind:     by_value
      - .offset:         56
        .size:           8
        .value_kind:     by_value
      - .address_space:  global
        .offset:         64
        .size:           8
        .value_kind:     global_buffer
      - .offset:         72
        .size:           8
        .value_kind:     by_value
      - .offset:         80
        .size:           8
        .value_kind:     by_value
      - .offset:         88
        .size:           4
        .value_kind:     by_value
    .group_segment_fixed_size: 4096
    .kernarg_segment_align: 8
    .kernarg_segment_size: 92
    .language:       OpenCL C
    .language_version:
      - 2
      - 0
    .max_flat_workgroup_size: 256
    .name:           _ZL37rocblas_syrkx_herkx_restricted_kernelIldLi16ELi32ELi8ELi1ELi0ELb0ELc67ELc76EKPKdKPdEviT_PT9_S5_lS7_S5_lPT10_S5_li
    .private_segment_fixed_size: 0
    .sgpr_count:     28
    .sgpr_spill_count: 0
    .symbol:         _ZL37rocblas_syrkx_herkx_restricted_kernelIldLi16ELi32ELi8ELi1ELi0ELb0ELc67ELc76EKPKdKPdEviT_PT9_S5_lS7_S5_lPT10_S5_li.kd
    .uniform_work_group_size: 1
    .uses_dynamic_stack: false
    .vgpr_count:     38
    .vgpr_spill_count: 0
    .wavefront_size: 64
  - .args:
      - .offset:         0
        .size:           4
        .value_kind:     by_value
      - .offset:         8
        .size:           8
        .value_kind:     by_value
      - .address_space:  global
        .offset:         16
        .size:           8
        .value_kind:     global_buffer
      - .offset:         24
        .size:           8
        .value_kind:     by_value
      - .offset:         32
        .size:           8
        .value_kind:     by_value
      - .address_space:  global
        .offset:         40
        .size:           8
        .value_kind:     global_buffer
      - .offset:         48
        .size:           8
        .value_kind:     by_value
      - .offset:         56
        .size:           8
        .value_kind:     by_value
      - .address_space:  global
        .offset:         64
        .size:           8
        .value_kind:     global_buffer
      - .offset:         72
        .size:           8
        .value_kind:     by_value
      - .offset:         80
        .size:           8
        .value_kind:     by_value
      - .offset:         88
        .size:           4
        .value_kind:     by_value
    .group_segment_fixed_size: 4096
    .kernarg_segment_align: 8
    .kernarg_segment_size: 92
    .language:       OpenCL C
    .language_version:
      - 2
      - 0
    .max_flat_workgroup_size: 256
    .name:           _ZL37rocblas_syrkx_herkx_restricted_kernelIldLi16ELi32ELi8ELi1ELi0ELb0ELc78ELc76EKPKdKPdEviT_PT9_S5_lS7_S5_lPT10_S5_li
    .private_segment_fixed_size: 0
    .sgpr_count:     26
    .sgpr_spill_count: 0
    .symbol:         _ZL37rocblas_syrkx_herkx_restricted_kernelIldLi16ELi32ELi8ELi1ELi0ELb0ELc78ELc76EKPKdKPdEviT_PT9_S5_lS7_S5_lPT10_S5_li.kd
    .uniform_work_group_size: 1
    .uses_dynamic_stack: false
    .vgpr_count:     38
    .vgpr_spill_count: 0
    .wavefront_size: 64
  - .args:
      - .offset:         0
        .size:           4
        .value_kind:     by_value
      - .offset:         8
        .size:           8
        .value_kind:     by_value
      - .address_space:  global
        .offset:         16
        .size:           8
        .value_kind:     global_buffer
      - .offset:         24
        .size:           8
        .value_kind:     by_value
      - .offset:         32
        .size:           8
        .value_kind:     by_value
      - .address_space:  global
        .offset:         40
        .size:           8
        .value_kind:     global_buffer
      - .offset:         48
        .size:           8
        .value_kind:     by_value
      - .offset:         56
        .size:           8
        .value_kind:     by_value
      - .address_space:  global
        .offset:         64
        .size:           8
        .value_kind:     global_buffer
      - .offset:         72
        .size:           8
        .value_kind:     by_value
      - .offset:         80
        .size:           8
        .value_kind:     by_value
      - .offset:         88
        .size:           4
        .value_kind:     by_value
    .group_segment_fixed_size: 4096
    .kernarg_segment_align: 8
    .kernarg_segment_size: 92
    .language:       OpenCL C
    .language_version:
      - 2
      - 0
    .max_flat_workgroup_size: 256
    .name:           _ZL37rocblas_syrkx_herkx_restricted_kernelIldLi16ELi32ELi8ELi1ELi0ELb0ELc84ELc85EKPKdKPdEviT_PT9_S5_lS7_S5_lPT10_S5_li
    .private_segment_fixed_size: 0
    .sgpr_count:     28
    .sgpr_spill_count: 0
    .symbol:         _ZL37rocblas_syrkx_herkx_restricted_kernelIldLi16ELi32ELi8ELi1ELi0ELb0ELc84ELc85EKPKdKPdEviT_PT9_S5_lS7_S5_lPT10_S5_li.kd
    .uniform_work_group_size: 1
    .uses_dynamic_stack: false
    .vgpr_count:     38
    .vgpr_spill_count: 0
    .wavefront_size: 64
  - .args:
      - .offset:         0
        .size:           4
        .value_kind:     by_value
      - .offset:         8
        .size:           8
        .value_kind:     by_value
      - .address_space:  global
        .offset:         16
        .size:           8
        .value_kind:     global_buffer
      - .offset:         24
        .size:           8
        .value_kind:     by_value
      - .offset:         32
        .size:           8
        .value_kind:     by_value
      - .address_space:  global
        .offset:         40
        .size:           8
        .value_kind:     global_buffer
      - .offset:         48
        .size:           8
        .value_kind:     by_value
      - .offset:         56
        .size:           8
        .value_kind:     by_value
      - .address_space:  global
        .offset:         64
        .size:           8
        .value_kind:     global_buffer
      - .offset:         72
        .size:           8
        .value_kind:     by_value
      - .offset:         80
        .size:           8
        .value_kind:     by_value
      - .offset:         88
        .size:           4
        .value_kind:     by_value
    .group_segment_fixed_size: 4096
    .kernarg_segment_align: 8
    .kernarg_segment_size: 92
    .language:       OpenCL C
    .language_version:
      - 2
      - 0
    .max_flat_workgroup_size: 256
    .name:           _ZL37rocblas_syrkx_herkx_restricted_kernelIldLi16ELi32ELi8ELi1ELi0ELb0ELc67ELc85EKPKdKPdEviT_PT9_S5_lS7_S5_lPT10_S5_li
    .private_segment_fixed_size: 0
    .sgpr_count:     28
    .sgpr_spill_count: 0
    .symbol:         _ZL37rocblas_syrkx_herkx_restricted_kernelIldLi16ELi32ELi8ELi1ELi0ELb0ELc67ELc85EKPKdKPdEviT_PT9_S5_lS7_S5_lPT10_S5_li.kd
    .uniform_work_group_size: 1
    .uses_dynamic_stack: false
    .vgpr_count:     38
    .vgpr_spill_count: 0
    .wavefront_size: 64
  - .args:
      - .offset:         0
        .size:           4
        .value_kind:     by_value
      - .offset:         8
        .size:           8
        .value_kind:     by_value
      - .address_space:  global
        .offset:         16
        .size:           8
        .value_kind:     global_buffer
      - .offset:         24
        .size:           8
        .value_kind:     by_value
      - .offset:         32
        .size:           8
        .value_kind:     by_value
      - .address_space:  global
        .offset:         40
        .size:           8
        .value_kind:     global_buffer
      - .offset:         48
        .size:           8
        .value_kind:     by_value
      - .offset:         56
        .size:           8
        .value_kind:     by_value
      - .address_space:  global
        .offset:         64
        .size:           8
        .value_kind:     global_buffer
      - .offset:         72
        .size:           8
        .value_kind:     by_value
      - .offset:         80
        .size:           8
        .value_kind:     by_value
      - .offset:         88
        .size:           4
        .value_kind:     by_value
    .group_segment_fixed_size: 4096
    .kernarg_segment_align: 8
    .kernarg_segment_size: 92
    .language:       OpenCL C
    .language_version:
      - 2
      - 0
    .max_flat_workgroup_size: 256
    .name:           _ZL37rocblas_syrkx_herkx_restricted_kernelIldLi16ELi32ELi8ELi1ELi0ELb0ELc78ELc85EKPKdKPdEviT_PT9_S5_lS7_S5_lPT10_S5_li
    .private_segment_fixed_size: 0
    .sgpr_count:     26
    .sgpr_spill_count: 0
    .symbol:         _ZL37rocblas_syrkx_herkx_restricted_kernelIldLi16ELi32ELi8ELi1ELi0ELb0ELc78ELc85EKPKdKPdEviT_PT9_S5_lS7_S5_lPT10_S5_li.kd
    .uniform_work_group_size: 1
    .uses_dynamic_stack: false
    .vgpr_count:     38
    .vgpr_spill_count: 0
    .wavefront_size: 64
  - .args:
      - .offset:         0
        .size:           4
        .value_kind:     by_value
      - .offset:         8
        .size:           8
        .value_kind:     by_value
      - .address_space:  global
        .offset:         16
        .size:           8
        .value_kind:     global_buffer
      - .offset:         24
        .size:           8
        .value_kind:     by_value
      - .offset:         32
        .size:           8
        .value_kind:     by_value
      - .address_space:  global
        .offset:         40
        .size:           8
        .value_kind:     global_buffer
      - .offset:         48
        .size:           8
        .value_kind:     by_value
      - .offset:         56
        .size:           8
        .value_kind:     by_value
      - .address_space:  global
        .offset:         64
        .size:           8
        .value_kind:     global_buffer
      - .offset:         72
        .size:           8
        .value_kind:     by_value
      - .offset:         80
        .size:           8
        .value_kind:     by_value
      - .offset:         88
        .size:           4
        .value_kind:     by_value
    .group_segment_fixed_size: 4096
    .kernarg_segment_align: 8
    .kernarg_segment_size: 92
    .language:       OpenCL C
    .language_version:
      - 2
      - 0
    .max_flat_workgroup_size: 256
    .name:           _ZL37rocblas_syrkx_herkx_restricted_kernelIldLi16ELi32ELi8ELin1ELi0ELb0ELc84ELc76EKPKdKPdEviT_PT9_S5_lS7_S5_lPT10_S5_li
    .private_segment_fixed_size: 0
    .sgpr_count:     28
    .sgpr_spill_count: 0
    .symbol:         _ZL37rocblas_syrkx_herkx_restricted_kernelIldLi16ELi32ELi8ELin1ELi0ELb0ELc84ELc76EKPKdKPdEviT_PT9_S5_lS7_S5_lPT10_S5_li.kd
    .uniform_work_group_size: 1
    .uses_dynamic_stack: false
    .vgpr_count:     38
    .vgpr_spill_count: 0
    .wavefront_size: 64
  - .args:
      - .offset:         0
        .size:           4
        .value_kind:     by_value
      - .offset:         8
        .size:           8
        .value_kind:     by_value
      - .address_space:  global
        .offset:         16
        .size:           8
        .value_kind:     global_buffer
      - .offset:         24
        .size:           8
        .value_kind:     by_value
      - .offset:         32
        .size:           8
        .value_kind:     by_value
      - .address_space:  global
        .offset:         40
        .size:           8
        .value_kind:     global_buffer
      - .offset:         48
        .size:           8
        .value_kind:     by_value
      - .offset:         56
        .size:           8
        .value_kind:     by_value
      - .address_space:  global
        .offset:         64
        .size:           8
        .value_kind:     global_buffer
      - .offset:         72
        .size:           8
        .value_kind:     by_value
      - .offset:         80
        .size:           8
        .value_kind:     by_value
      - .offset:         88
        .size:           4
        .value_kind:     by_value
    .group_segment_fixed_size: 4096
    .kernarg_segment_align: 8
    .kernarg_segment_size: 92
    .language:       OpenCL C
    .language_version:
      - 2
      - 0
    .max_flat_workgroup_size: 256
    .name:           _ZL37rocblas_syrkx_herkx_restricted_kernelIldLi16ELi32ELi8ELin1ELi0ELb0ELc67ELc76EKPKdKPdEviT_PT9_S5_lS7_S5_lPT10_S5_li
    .private_segment_fixed_size: 0
    .sgpr_count:     28
    .sgpr_spill_count: 0
    .symbol:         _ZL37rocblas_syrkx_herkx_restricted_kernelIldLi16ELi32ELi8ELin1ELi0ELb0ELc67ELc76EKPKdKPdEviT_PT9_S5_lS7_S5_lPT10_S5_li.kd
    .uniform_work_group_size: 1
    .uses_dynamic_stack: false
    .vgpr_count:     38
    .vgpr_spill_count: 0
    .wavefront_size: 64
  - .args:
      - .offset:         0
        .size:           4
        .value_kind:     by_value
      - .offset:         8
        .size:           8
        .value_kind:     by_value
      - .address_space:  global
        .offset:         16
        .size:           8
        .value_kind:     global_buffer
      - .offset:         24
        .size:           8
        .value_kind:     by_value
      - .offset:         32
        .size:           8
        .value_kind:     by_value
      - .address_space:  global
        .offset:         40
        .size:           8
        .value_kind:     global_buffer
      - .offset:         48
        .size:           8
        .value_kind:     by_value
      - .offset:         56
        .size:           8
        .value_kind:     by_value
      - .address_space:  global
        .offset:         64
        .size:           8
        .value_kind:     global_buffer
      - .offset:         72
        .size:           8
        .value_kind:     by_value
      - .offset:         80
        .size:           8
        .value_kind:     by_value
      - .offset:         88
        .size:           4
        .value_kind:     by_value
    .group_segment_fixed_size: 4096
    .kernarg_segment_align: 8
    .kernarg_segment_size: 92
    .language:       OpenCL C
    .language_version:
      - 2
      - 0
    .max_flat_workgroup_size: 256
    .name:           _ZL37rocblas_syrkx_herkx_restricted_kernelIldLi16ELi32ELi8ELin1ELi0ELb0ELc78ELc76EKPKdKPdEviT_PT9_S5_lS7_S5_lPT10_S5_li
    .private_segment_fixed_size: 0
    .sgpr_count:     26
    .sgpr_spill_count: 0
    .symbol:         _ZL37rocblas_syrkx_herkx_restricted_kernelIldLi16ELi32ELi8ELin1ELi0ELb0ELc78ELc76EKPKdKPdEviT_PT9_S5_lS7_S5_lPT10_S5_li.kd
    .uniform_work_group_size: 1
    .uses_dynamic_stack: false
    .vgpr_count:     38
    .vgpr_spill_count: 0
    .wavefront_size: 64
  - .args:
      - .offset:         0
        .size:           4
        .value_kind:     by_value
      - .offset:         8
        .size:           8
        .value_kind:     by_value
      - .address_space:  global
        .offset:         16
        .size:           8
        .value_kind:     global_buffer
      - .offset:         24
        .size:           8
        .value_kind:     by_value
      - .offset:         32
        .size:           8
        .value_kind:     by_value
      - .address_space:  global
        .offset:         40
        .size:           8
        .value_kind:     global_buffer
      - .offset:         48
        .size:           8
        .value_kind:     by_value
      - .offset:         56
        .size:           8
        .value_kind:     by_value
      - .address_space:  global
        .offset:         64
        .size:           8
        .value_kind:     global_buffer
      - .offset:         72
        .size:           8
        .value_kind:     by_value
      - .offset:         80
        .size:           8
        .value_kind:     by_value
      - .offset:         88
        .size:           4
        .value_kind:     by_value
    .group_segment_fixed_size: 4096
    .kernarg_segment_align: 8
    .kernarg_segment_size: 92
    .language:       OpenCL C
    .language_version:
      - 2
      - 0
    .max_flat_workgroup_size: 256
    .name:           _ZL37rocblas_syrkx_herkx_restricted_kernelIldLi16ELi32ELi8ELin1ELi0ELb0ELc84ELc85EKPKdKPdEviT_PT9_S5_lS7_S5_lPT10_S5_li
    .private_segment_fixed_size: 0
    .sgpr_count:     28
    .sgpr_spill_count: 0
    .symbol:         _ZL37rocblas_syrkx_herkx_restricted_kernelIldLi16ELi32ELi8ELin1ELi0ELb0ELc84ELc85EKPKdKPdEviT_PT9_S5_lS7_S5_lPT10_S5_li.kd
    .uniform_work_group_size: 1
    .uses_dynamic_stack: false
    .vgpr_count:     38
    .vgpr_spill_count: 0
    .wavefront_size: 64
  - .args:
      - .offset:         0
        .size:           4
        .value_kind:     by_value
      - .offset:         8
        .size:           8
        .value_kind:     by_value
      - .address_space:  global
        .offset:         16
        .size:           8
        .value_kind:     global_buffer
      - .offset:         24
        .size:           8
        .value_kind:     by_value
      - .offset:         32
        .size:           8
        .value_kind:     by_value
      - .address_space:  global
        .offset:         40
        .size:           8
        .value_kind:     global_buffer
      - .offset:         48
        .size:           8
        .value_kind:     by_value
      - .offset:         56
        .size:           8
        .value_kind:     by_value
      - .address_space:  global
        .offset:         64
        .size:           8
        .value_kind:     global_buffer
      - .offset:         72
        .size:           8
        .value_kind:     by_value
      - .offset:         80
        .size:           8
        .value_kind:     by_value
      - .offset:         88
        .size:           4
        .value_kind:     by_value
    .group_segment_fixed_size: 4096
    .kernarg_segment_align: 8
    .kernarg_segment_size: 92
    .language:       OpenCL C
    .language_version:
      - 2
      - 0
    .max_flat_workgroup_size: 256
    .name:           _ZL37rocblas_syrkx_herkx_restricted_kernelIldLi16ELi32ELi8ELin1ELi0ELb0ELc67ELc85EKPKdKPdEviT_PT9_S5_lS7_S5_lPT10_S5_li
    .private_segment_fixed_size: 0
    .sgpr_count:     28
    .sgpr_spill_count: 0
    .symbol:         _ZL37rocblas_syrkx_herkx_restricted_kernelIldLi16ELi32ELi8ELin1ELi0ELb0ELc67ELc85EKPKdKPdEviT_PT9_S5_lS7_S5_lPT10_S5_li.kd
    .uniform_work_group_size: 1
    .uses_dynamic_stack: false
    .vgpr_count:     38
    .vgpr_spill_count: 0
    .wavefront_size: 64
  - .args:
      - .offset:         0
        .size:           4
        .value_kind:     by_value
      - .offset:         8
        .size:           8
        .value_kind:     by_value
      - .address_space:  global
        .offset:         16
        .size:           8
        .value_kind:     global_buffer
      - .offset:         24
        .size:           8
        .value_kind:     by_value
      - .offset:         32
        .size:           8
        .value_kind:     by_value
      - .address_space:  global
        .offset:         40
        .size:           8
        .value_kind:     global_buffer
      - .offset:         48
        .size:           8
        .value_kind:     by_value
      - .offset:         56
        .size:           8
        .value_kind:     by_value
      - .address_space:  global
        .offset:         64
        .size:           8
        .value_kind:     global_buffer
      - .offset:         72
        .size:           8
        .value_kind:     by_value
      - .offset:         80
        .size:           8
        .value_kind:     by_value
      - .offset:         88
        .size:           4
        .value_kind:     by_value
    .group_segment_fixed_size: 4096
    .kernarg_segment_align: 8
    .kernarg_segment_size: 92
    .language:       OpenCL C
    .language_version:
      - 2
      - 0
    .max_flat_workgroup_size: 256
    .name:           _ZL37rocblas_syrkx_herkx_restricted_kernelIldLi16ELi32ELi8ELin1ELi0ELb0ELc78ELc85EKPKdKPdEviT_PT9_S5_lS7_S5_lPT10_S5_li
    .private_segment_fixed_size: 0
    .sgpr_count:     26
    .sgpr_spill_count: 0
    .symbol:         _ZL37rocblas_syrkx_herkx_restricted_kernelIldLi16ELi32ELi8ELin1ELi0ELb0ELc78ELc85EKPKdKPdEviT_PT9_S5_lS7_S5_lPT10_S5_li.kd
    .uniform_work_group_size: 1
    .uses_dynamic_stack: false
    .vgpr_count:     38
    .vgpr_spill_count: 0
    .wavefront_size: 64
  - .args:
      - .offset:         0
        .size:           4
        .value_kind:     by_value
      - .offset:         8
        .size:           8
        .value_kind:     by_value
      - .offset:         16
        .size:           8
        .value_kind:     by_value
      - .address_space:  global
        .offset:         24
        .size:           8
        .value_kind:     global_buffer
      - .offset:         32
        .size:           8
        .value_kind:     by_value
      - .offset:         40
        .size:           8
        .value_kind:     by_value
      - .address_space:  global
        .offset:         48
        .size:           8
        .value_kind:     global_buffer
      - .offset:         56
        .size:           8
        .value_kind:     by_value
      - .offset:         64
        .size:           8
        .value_kind:     by_value
      - .offset:         72
        .size:           8
        .value_kind:     by_value
      - .address_space:  global
        .offset:         80
        .size:           8
        .value_kind:     global_buffer
      - .offset:         88
        .size:           8
        .value_kind:     by_value
      - .offset:         96
        .size:           8
        .value_kind:     by_value
      - .offset:         104
        .size:           4
        .value_kind:     by_value
    .group_segment_fixed_size: 4096
    .kernarg_segment_align: 8
    .kernarg_segment_size: 108
    .language:       OpenCL C
    .language_version:
      - 2
      - 0
    .max_flat_workgroup_size: 256
    .name:           _ZL37rocblas_syrkx_herkx_restricted_kernelIldLi16ELi32ELi8ELb1ELb0ELc84ELc76EKPKdKPdEviT_T0_PT8_S5_lS8_S5_lS6_PT9_S5_li
    .private_segment_fixed_size: 0
    .sgpr_count:     32
    .sgpr_spill_count: 0
    .symbol:         _ZL37rocblas_syrkx_herkx_restricted_kernelIldLi16ELi32ELi8ELb1ELb0ELc84ELc76EKPKdKPdEviT_T0_PT8_S5_lS8_S5_lS6_PT9_S5_li.kd
    .uniform_work_group_size: 1
    .uses_dynamic_stack: false
    .vgpr_count:     36
    .vgpr_spill_count: 0
    .wavefront_size: 64
  - .args:
      - .offset:         0
        .size:           4
        .value_kind:     by_value
      - .offset:         8
        .size:           8
        .value_kind:     by_value
      - .offset:         16
        .size:           8
        .value_kind:     by_value
      - .address_space:  global
        .offset:         24
        .size:           8
        .value_kind:     global_buffer
      - .offset:         32
        .size:           8
        .value_kind:     by_value
      - .offset:         40
        .size:           8
        .value_kind:     by_value
      - .address_space:  global
        .offset:         48
        .size:           8
        .value_kind:     global_buffer
      - .offset:         56
        .size:           8
        .value_kind:     by_value
      - .offset:         64
        .size:           8
        .value_kind:     by_value
      - .offset:         72
        .size:           8
        .value_kind:     by_value
      - .address_space:  global
        .offset:         80
        .size:           8
        .value_kind:     global_buffer
      - .offset:         88
        .size:           8
        .value_kind:     by_value
      - .offset:         96
        .size:           8
        .value_kind:     by_value
      - .offset:         104
        .size:           4
        .value_kind:     by_value
    .group_segment_fixed_size: 4096
    .kernarg_segment_align: 8
    .kernarg_segment_size: 108
    .language:       OpenCL C
    .language_version:
      - 2
      - 0
    .max_flat_workgroup_size: 256
    .name:           _ZL37rocblas_syrkx_herkx_restricted_kernelIldLi16ELi32ELi8ELb1ELb0ELc67ELc76EKPKdKPdEviT_T0_PT8_S5_lS8_S5_lS6_PT9_S5_li
    .private_segment_fixed_size: 0
    .sgpr_count:     32
    .sgpr_spill_count: 0
    .symbol:         _ZL37rocblas_syrkx_herkx_restricted_kernelIldLi16ELi32ELi8ELb1ELb0ELc67ELc76EKPKdKPdEviT_T0_PT8_S5_lS8_S5_lS6_PT9_S5_li.kd
    .uniform_work_group_size: 1
    .uses_dynamic_stack: false
    .vgpr_count:     36
    .vgpr_spill_count: 0
    .wavefront_size: 64
  - .args:
      - .offset:         0
        .size:           4
        .value_kind:     by_value
      - .offset:         8
        .size:           8
        .value_kind:     by_value
      - .offset:         16
        .size:           8
        .value_kind:     by_value
      - .address_space:  global
        .offset:         24
        .size:           8
        .value_kind:     global_buffer
      - .offset:         32
        .size:           8
        .value_kind:     by_value
      - .offset:         40
        .size:           8
        .value_kind:     by_value
      - .address_space:  global
        .offset:         48
        .size:           8
        .value_kind:     global_buffer
      - .offset:         56
        .size:           8
        .value_kind:     by_value
      - .offset:         64
        .size:           8
        .value_kind:     by_value
      - .offset:         72
        .size:           8
        .value_kind:     by_value
      - .address_space:  global
        .offset:         80
        .size:           8
        .value_kind:     global_buffer
      - .offset:         88
        .size:           8
        .value_kind:     by_value
      - .offset:         96
        .size:           8
        .value_kind:     by_value
      - .offset:         104
        .size:           4
        .value_kind:     by_value
    .group_segment_fixed_size: 4096
    .kernarg_segment_align: 8
    .kernarg_segment_size: 108
    .language:       OpenCL C
    .language_version:
      - 2
      - 0
    .max_flat_workgroup_size: 256
    .name:           _ZL37rocblas_syrkx_herkx_restricted_kernelIldLi16ELi32ELi8ELb1ELb0ELc78ELc76EKPKdKPdEviT_T0_PT8_S5_lS8_S5_lS6_PT9_S5_li
    .private_segment_fixed_size: 0
    .sgpr_count:     28
    .sgpr_spill_count: 0
    .symbol:         _ZL37rocblas_syrkx_herkx_restricted_kernelIldLi16ELi32ELi8ELb1ELb0ELc78ELc76EKPKdKPdEviT_T0_PT8_S5_lS8_S5_lS6_PT9_S5_li.kd
    .uniform_work_group_size: 1
    .uses_dynamic_stack: false
    .vgpr_count:     38
    .vgpr_spill_count: 0
    .wavefront_size: 64
  - .args:
      - .offset:         0
        .size:           4
        .value_kind:     by_value
      - .offset:         8
        .size:           8
        .value_kind:     by_value
      - .offset:         16
        .size:           8
        .value_kind:     by_value
      - .address_space:  global
        .offset:         24
        .size:           8
        .value_kind:     global_buffer
      - .offset:         32
        .size:           8
        .value_kind:     by_value
      - .offset:         40
        .size:           8
        .value_kind:     by_value
      - .address_space:  global
        .offset:         48
        .size:           8
        .value_kind:     global_buffer
      - .offset:         56
        .size:           8
        .value_kind:     by_value
      - .offset:         64
        .size:           8
        .value_kind:     by_value
      - .offset:         72
        .size:           8
        .value_kind:     by_value
      - .address_space:  global
        .offset:         80
        .size:           8
        .value_kind:     global_buffer
      - .offset:         88
        .size:           8
        .value_kind:     by_value
      - .offset:         96
        .size:           8
        .value_kind:     by_value
      - .offset:         104
        .size:           4
        .value_kind:     by_value
    .group_segment_fixed_size: 4096
    .kernarg_segment_align: 8
    .kernarg_segment_size: 108
    .language:       OpenCL C
    .language_version:
      - 2
      - 0
    .max_flat_workgroup_size: 256
    .name:           _ZL37rocblas_syrkx_herkx_restricted_kernelIldLi16ELi32ELi8ELb1ELb0ELc84ELc85EKPKdKPdEviT_T0_PT8_S5_lS8_S5_lS6_PT9_S5_li
    .private_segment_fixed_size: 0
    .sgpr_count:     32
    .sgpr_spill_count: 0
    .symbol:         _ZL37rocblas_syrkx_herkx_restricted_kernelIldLi16ELi32ELi8ELb1ELb0ELc84ELc85EKPKdKPdEviT_T0_PT8_S5_lS8_S5_lS6_PT9_S5_li.kd
    .uniform_work_group_size: 1
    .uses_dynamic_stack: false
    .vgpr_count:     36
    .vgpr_spill_count: 0
    .wavefront_size: 64
  - .args:
      - .offset:         0
        .size:           4
        .value_kind:     by_value
      - .offset:         8
        .size:           8
        .value_kind:     by_value
      - .offset:         16
        .size:           8
        .value_kind:     by_value
      - .address_space:  global
        .offset:         24
        .size:           8
        .value_kind:     global_buffer
      - .offset:         32
        .size:           8
        .value_kind:     by_value
      - .offset:         40
        .size:           8
        .value_kind:     by_value
      - .address_space:  global
        .offset:         48
        .size:           8
        .value_kind:     global_buffer
      - .offset:         56
        .size:           8
        .value_kind:     by_value
      - .offset:         64
        .size:           8
        .value_kind:     by_value
      - .offset:         72
        .size:           8
        .value_kind:     by_value
      - .address_space:  global
        .offset:         80
        .size:           8
        .value_kind:     global_buffer
      - .offset:         88
        .size:           8
        .value_kind:     by_value
      - .offset:         96
        .size:           8
        .value_kind:     by_value
      - .offset:         104
        .size:           4
        .value_kind:     by_value
    .group_segment_fixed_size: 4096
    .kernarg_segment_align: 8
    .kernarg_segment_size: 108
    .language:       OpenCL C
    .language_version:
      - 2
      - 0
    .max_flat_workgroup_size: 256
    .name:           _ZL37rocblas_syrkx_herkx_restricted_kernelIldLi16ELi32ELi8ELb1ELb0ELc67ELc85EKPKdKPdEviT_T0_PT8_S5_lS8_S5_lS6_PT9_S5_li
    .private_segment_fixed_size: 0
    .sgpr_count:     32
    .sgpr_spill_count: 0
    .symbol:         _ZL37rocblas_syrkx_herkx_restricted_kernelIldLi16ELi32ELi8ELb1ELb0ELc67ELc85EKPKdKPdEviT_T0_PT8_S5_lS8_S5_lS6_PT9_S5_li.kd
    .uniform_work_group_size: 1
    .uses_dynamic_stack: false
    .vgpr_count:     36
    .vgpr_spill_count: 0
    .wavefront_size: 64
  - .args:
      - .offset:         0
        .size:           4
        .value_kind:     by_value
      - .offset:         8
        .size:           8
        .value_kind:     by_value
      - .offset:         16
        .size:           8
        .value_kind:     by_value
      - .address_space:  global
        .offset:         24
        .size:           8
        .value_kind:     global_buffer
      - .offset:         32
        .size:           8
        .value_kind:     by_value
      - .offset:         40
        .size:           8
        .value_kind:     by_value
      - .address_space:  global
        .offset:         48
        .size:           8
        .value_kind:     global_buffer
      - .offset:         56
        .size:           8
        .value_kind:     by_value
      - .offset:         64
        .size:           8
        .value_kind:     by_value
      - .offset:         72
        .size:           8
        .value_kind:     by_value
      - .address_space:  global
        .offset:         80
        .size:           8
        .value_kind:     global_buffer
      - .offset:         88
        .size:           8
        .value_kind:     by_value
      - .offset:         96
        .size:           8
        .value_kind:     by_value
      - .offset:         104
        .size:           4
        .value_kind:     by_value
    .group_segment_fixed_size: 4096
    .kernarg_segment_align: 8
    .kernarg_segment_size: 108
    .language:       OpenCL C
    .language_version:
      - 2
      - 0
    .max_flat_workgroup_size: 256
    .name:           _ZL37rocblas_syrkx_herkx_restricted_kernelIldLi16ELi32ELi8ELb1ELb0ELc78ELc85EKPKdKPdEviT_T0_PT8_S5_lS8_S5_lS6_PT9_S5_li
    .private_segment_fixed_size: 0
    .sgpr_count:     30
    .sgpr_spill_count: 0
    .symbol:         _ZL37rocblas_syrkx_herkx_restricted_kernelIldLi16ELi32ELi8ELb1ELb0ELc78ELc85EKPKdKPdEviT_T0_PT8_S5_lS8_S5_lS6_PT9_S5_li.kd
    .uniform_work_group_size: 1
    .uses_dynamic_stack: false
    .vgpr_count:     38
    .vgpr_spill_count: 0
    .wavefront_size: 64
  - .args:
      - .offset:         0
        .size:           4
        .value_kind:     by_value
      - .offset:         8
        .size:           8
        .value_kind:     by_value
      - .offset:         16
        .size:           8
        .value_kind:     by_value
      - .address_space:  global
        .offset:         24
        .size:           8
        .value_kind:     global_buffer
      - .offset:         32
        .size:           8
        .value_kind:     by_value
      - .offset:         40
        .size:           8
        .value_kind:     by_value
      - .address_space:  global
        .offset:         48
        .size:           8
        .value_kind:     global_buffer
      - .offset:         56
        .size:           8
        .value_kind:     by_value
      - .offset:         64
        .size:           8
        .value_kind:     by_value
      - .offset:         72
        .size:           8
        .value_kind:     by_value
      - .address_space:  global
        .offset:         80
        .size:           8
        .value_kind:     global_buffer
      - .offset:         88
        .size:           8
        .value_kind:     by_value
      - .offset:         96
        .size:           8
        .value_kind:     by_value
      - .offset:         104
        .size:           4
        .value_kind:     by_value
    .group_segment_fixed_size: 4096
    .kernarg_segment_align: 8
    .kernarg_segment_size: 108
    .language:       OpenCL C
    .language_version:
      - 2
      - 0
    .max_flat_workgroup_size: 256
    .name:           _ZL37rocblas_syrkx_herkx_restricted_kernelIldLi16ELi32ELi8ELb0ELb0ELc84ELc76EKPKdKPdEviT_T0_PT8_S5_lS8_S5_lS6_PT9_S5_li
    .private_segment_fixed_size: 0
    .sgpr_count:     32
    .sgpr_spill_count: 0
    .symbol:         _ZL37rocblas_syrkx_herkx_restricted_kernelIldLi16ELi32ELi8ELb0ELb0ELc84ELc76EKPKdKPdEviT_T0_PT8_S5_lS8_S5_lS6_PT9_S5_li.kd
    .uniform_work_group_size: 1
    .uses_dynamic_stack: false
    .vgpr_count:     38
    .vgpr_spill_count: 0
    .wavefront_size: 64
  - .args:
      - .offset:         0
        .size:           4
        .value_kind:     by_value
      - .offset:         8
        .size:           8
        .value_kind:     by_value
      - .offset:         16
        .size:           8
        .value_kind:     by_value
      - .address_space:  global
        .offset:         24
        .size:           8
        .value_kind:     global_buffer
      - .offset:         32
        .size:           8
        .value_kind:     by_value
      - .offset:         40
        .size:           8
        .value_kind:     by_value
      - .address_space:  global
        .offset:         48
        .size:           8
        .value_kind:     global_buffer
      - .offset:         56
        .size:           8
        .value_kind:     by_value
      - .offset:         64
        .size:           8
        .value_kind:     by_value
      - .offset:         72
        .size:           8
        .value_kind:     by_value
      - .address_space:  global
        .offset:         80
        .size:           8
        .value_kind:     global_buffer
      - .offset:         88
        .size:           8
        .value_kind:     by_value
      - .offset:         96
        .size:           8
        .value_kind:     by_value
      - .offset:         104
        .size:           4
        .value_kind:     by_value
    .group_segment_fixed_size: 4096
    .kernarg_segment_align: 8
    .kernarg_segment_size: 108
    .language:       OpenCL C
    .language_version:
      - 2
      - 0
    .max_flat_workgroup_size: 256
    .name:           _ZL37rocblas_syrkx_herkx_restricted_kernelIldLi16ELi32ELi8ELb0ELb0ELc67ELc76EKPKdKPdEviT_T0_PT8_S5_lS8_S5_lS6_PT9_S5_li
    .private_segment_fixed_size: 0
    .sgpr_count:     32
    .sgpr_spill_count: 0
    .symbol:         _ZL37rocblas_syrkx_herkx_restricted_kernelIldLi16ELi32ELi8ELb0ELb0ELc67ELc76EKPKdKPdEviT_T0_PT8_S5_lS8_S5_lS6_PT9_S5_li.kd
    .uniform_work_group_size: 1
    .uses_dynamic_stack: false
    .vgpr_count:     38
    .vgpr_spill_count: 0
    .wavefront_size: 64
  - .args:
      - .offset:         0
        .size:           4
        .value_kind:     by_value
      - .offset:         8
        .size:           8
        .value_kind:     by_value
      - .offset:         16
        .size:           8
        .value_kind:     by_value
      - .address_space:  global
        .offset:         24
        .size:           8
        .value_kind:     global_buffer
      - .offset:         32
        .size:           8
        .value_kind:     by_value
      - .offset:         40
        .size:           8
        .value_kind:     by_value
      - .address_space:  global
        .offset:         48
        .size:           8
        .value_kind:     global_buffer
      - .offset:         56
        .size:           8
        .value_kind:     by_value
      - .offset:         64
        .size:           8
        .value_kind:     by_value
      - .offset:         72
        .size:           8
        .value_kind:     by_value
      - .address_space:  global
        .offset:         80
        .size:           8
        .value_kind:     global_buffer
      - .offset:         88
        .size:           8
        .value_kind:     by_value
      - .offset:         96
        .size:           8
        .value_kind:     by_value
      - .offset:         104
        .size:           4
        .value_kind:     by_value
    .group_segment_fixed_size: 4096
    .kernarg_segment_align: 8
    .kernarg_segment_size: 108
    .language:       OpenCL C
    .language_version:
      - 2
      - 0
    .max_flat_workgroup_size: 256
    .name:           _ZL37rocblas_syrkx_herkx_restricted_kernelIldLi16ELi32ELi8ELb0ELb0ELc78ELc76EKPKdKPdEviT_T0_PT8_S5_lS8_S5_lS6_PT9_S5_li
    .private_segment_fixed_size: 0
    .sgpr_count:     30
    .sgpr_spill_count: 0
    .symbol:         _ZL37rocblas_syrkx_herkx_restricted_kernelIldLi16ELi32ELi8ELb0ELb0ELc78ELc76EKPKdKPdEviT_T0_PT8_S5_lS8_S5_lS6_PT9_S5_li.kd
    .uniform_work_group_size: 1
    .uses_dynamic_stack: false
    .vgpr_count:     38
    .vgpr_spill_count: 0
    .wavefront_size: 64
  - .args:
      - .offset:         0
        .size:           4
        .value_kind:     by_value
      - .offset:         8
        .size:           8
        .value_kind:     by_value
      - .offset:         16
        .size:           8
        .value_kind:     by_value
      - .address_space:  global
        .offset:         24
        .size:           8
        .value_kind:     global_buffer
      - .offset:         32
        .size:           8
        .value_kind:     by_value
      - .offset:         40
        .size:           8
        .value_kind:     by_value
      - .address_space:  global
        .offset:         48
        .size:           8
        .value_kind:     global_buffer
      - .offset:         56
        .size:           8
        .value_kind:     by_value
      - .offset:         64
        .size:           8
        .value_kind:     by_value
      - .offset:         72
        .size:           8
        .value_kind:     by_value
      - .address_space:  global
        .offset:         80
        .size:           8
        .value_kind:     global_buffer
      - .offset:         88
        .size:           8
        .value_kind:     by_value
      - .offset:         96
        .size:           8
        .value_kind:     by_value
      - .offset:         104
        .size:           4
        .value_kind:     by_value
    .group_segment_fixed_size: 4096
    .kernarg_segment_align: 8
    .kernarg_segment_size: 108
    .language:       OpenCL C
    .language_version:
      - 2
      - 0
    .max_flat_workgroup_size: 256
    .name:           _ZL37rocblas_syrkx_herkx_restricted_kernelIldLi16ELi32ELi8ELb0ELb0ELc84ELc85EKPKdKPdEviT_T0_PT8_S5_lS8_S5_lS6_PT9_S5_li
    .private_segment_fixed_size: 0
    .sgpr_count:     32
    .sgpr_spill_count: 0
    .symbol:         _ZL37rocblas_syrkx_herkx_restricted_kernelIldLi16ELi32ELi8ELb0ELb0ELc84ELc85EKPKdKPdEviT_T0_PT8_S5_lS8_S5_lS6_PT9_S5_li.kd
    .uniform_work_group_size: 1
    .uses_dynamic_stack: false
    .vgpr_count:     38
    .vgpr_spill_count: 0
    .wavefront_size: 64
  - .args:
      - .offset:         0
        .size:           4
        .value_kind:     by_value
      - .offset:         8
        .size:           8
        .value_kind:     by_value
      - .offset:         16
        .size:           8
        .value_kind:     by_value
      - .address_space:  global
        .offset:         24
        .size:           8
        .value_kind:     global_buffer
      - .offset:         32
        .size:           8
        .value_kind:     by_value
      - .offset:         40
        .size:           8
        .value_kind:     by_value
      - .address_space:  global
        .offset:         48
        .size:           8
        .value_kind:     global_buffer
      - .offset:         56
        .size:           8
        .value_kind:     by_value
      - .offset:         64
        .size:           8
        .value_kind:     by_value
      - .offset:         72
        .size:           8
        .value_kind:     by_value
      - .address_space:  global
        .offset:         80
        .size:           8
        .value_kind:     global_buffer
      - .offset:         88
        .size:           8
        .value_kind:     by_value
      - .offset:         96
        .size:           8
        .value_kind:     by_value
      - .offset:         104
        .size:           4
        .value_kind:     by_value
    .group_segment_fixed_size: 4096
    .kernarg_segment_align: 8
    .kernarg_segment_size: 108
    .language:       OpenCL C
    .language_version:
      - 2
      - 0
    .max_flat_workgroup_size: 256
    .name:           _ZL37rocblas_syrkx_herkx_restricted_kernelIldLi16ELi32ELi8ELb0ELb0ELc67ELc85EKPKdKPdEviT_T0_PT8_S5_lS8_S5_lS6_PT9_S5_li
    .private_segment_fixed_size: 0
    .sgpr_count:     32
    .sgpr_spill_count: 0
    .symbol:         _ZL37rocblas_syrkx_herkx_restricted_kernelIldLi16ELi32ELi8ELb0ELb0ELc67ELc85EKPKdKPdEviT_T0_PT8_S5_lS8_S5_lS6_PT9_S5_li.kd
    .uniform_work_group_size: 1
    .uses_dynamic_stack: false
    .vgpr_count:     38
    .vgpr_spill_count: 0
    .wavefront_size: 64
  - .args:
      - .offset:         0
        .size:           4
        .value_kind:     by_value
      - .offset:         8
        .size:           8
        .value_kind:     by_value
      - .offset:         16
        .size:           8
        .value_kind:     by_value
      - .address_space:  global
        .offset:         24
        .size:           8
        .value_kind:     global_buffer
      - .offset:         32
        .size:           8
        .value_kind:     by_value
      - .offset:         40
        .size:           8
        .value_kind:     by_value
      - .address_space:  global
        .offset:         48
        .size:           8
        .value_kind:     global_buffer
      - .offset:         56
        .size:           8
        .value_kind:     by_value
      - .offset:         64
        .size:           8
        .value_kind:     by_value
      - .offset:         72
        .size:           8
        .value_kind:     by_value
      - .address_space:  global
        .offset:         80
        .size:           8
        .value_kind:     global_buffer
      - .offset:         88
        .size:           8
        .value_kind:     by_value
      - .offset:         96
        .size:           8
        .value_kind:     by_value
      - .offset:         104
        .size:           4
        .value_kind:     by_value
    .group_segment_fixed_size: 4096
    .kernarg_segment_align: 8
    .kernarg_segment_size: 108
    .language:       OpenCL C
    .language_version:
      - 2
      - 0
    .max_flat_workgroup_size: 256
    .name:           _ZL37rocblas_syrkx_herkx_restricted_kernelIldLi16ELi32ELi8ELb0ELb0ELc78ELc85EKPKdKPdEviT_T0_PT8_S5_lS8_S5_lS6_PT9_S5_li
    .private_segment_fixed_size: 0
    .sgpr_count:     30
    .sgpr_spill_count: 0
    .symbol:         _ZL37rocblas_syrkx_herkx_restricted_kernelIldLi16ELi32ELi8ELb0ELb0ELc78ELc85EKPKdKPdEviT_T0_PT8_S5_lS8_S5_lS6_PT9_S5_li.kd
    .uniform_work_group_size: 1
    .uses_dynamic_stack: false
    .vgpr_count:     38
    .vgpr_spill_count: 0
    .wavefront_size: 64
  - .args:
      - .offset:         0
        .size:           4
        .value_kind:     by_value
      - .offset:         8
        .size:           8
        .value_kind:     by_value
      - .offset:         16
        .size:           8
        .value_kind:     by_value
      - .address_space:  global
        .offset:         24
        .size:           8
        .value_kind:     global_buffer
      - .offset:         32
        .size:           8
        .value_kind:     by_value
      - .offset:         40
        .size:           8
        .value_kind:     by_value
      - .address_space:  global
        .offset:         48
        .size:           8
        .value_kind:     global_buffer
      - .offset:         56
        .size:           8
        .value_kind:     by_value
      - .offset:         64
        .size:           8
        .value_kind:     by_value
      - .offset:         72
        .size:           8
        .value_kind:     by_value
      - .address_space:  global
        .offset:         80
        .size:           8
        .value_kind:     global_buffer
      - .offset:         88
        .size:           8
        .value_kind:     by_value
      - .offset:         96
        .size:           8
        .value_kind:     by_value
      - .offset:         104
        .size:           4
        .value_kind:     by_value
    .group_segment_fixed_size: 4096
    .kernarg_segment_align: 8
    .kernarg_segment_size: 108
    .language:       OpenCL C
    .language_version:
      - 2
      - 0
    .max_flat_workgroup_size: 256
    .name:           _ZL41rocblas_syrkx_herkx_small_restrict_kernelIldLi16ELb1ELb0ELc84ELc76EKPKdKPdEviT_T0_PT6_S5_lS8_S5_lS6_PT7_S5_li
    .private_segment_fixed_size: 0
    .sgpr_count:     28
    .sgpr_spill_count: 0
    .symbol:         _ZL41rocblas_syrkx_herkx_small_restrict_kernelIldLi16ELb1ELb0ELc84ELc76EKPKdKPdEviT_T0_PT6_S5_lS8_S5_lS6_PT7_S5_li.kd
    .uniform_work_group_size: 1
    .uses_dynamic_stack: false
    .vgpr_count:     28
    .vgpr_spill_count: 0
    .wavefront_size: 64
  - .args:
      - .offset:         0
        .size:           4
        .value_kind:     by_value
      - .offset:         8
        .size:           8
        .value_kind:     by_value
      - .offset:         16
        .size:           8
        .value_kind:     by_value
      - .address_space:  global
        .offset:         24
        .size:           8
        .value_kind:     global_buffer
      - .offset:         32
        .size:           8
        .value_kind:     by_value
      - .offset:         40
        .size:           8
        .value_kind:     by_value
      - .address_space:  global
        .offset:         48
        .size:           8
        .value_kind:     global_buffer
      - .offset:         56
        .size:           8
        .value_kind:     by_value
      - .offset:         64
        .size:           8
        .value_kind:     by_value
      - .offset:         72
        .size:           8
        .value_kind:     by_value
      - .address_space:  global
        .offset:         80
        .size:           8
        .value_kind:     global_buffer
      - .offset:         88
        .size:           8
        .value_kind:     by_value
      - .offset:         96
        .size:           8
        .value_kind:     by_value
      - .offset:         104
        .size:           4
        .value_kind:     by_value
    .group_segment_fixed_size: 4096
    .kernarg_segment_align: 8
    .kernarg_segment_size: 108
    .language:       OpenCL C
    .language_version:
      - 2
      - 0
    .max_flat_workgroup_size: 256
    .name:           _ZL41rocblas_syrkx_herkx_small_restrict_kernelIldLi16ELb1ELb0ELc67ELc76EKPKdKPdEviT_T0_PT6_S5_lS8_S5_lS6_PT7_S5_li
    .private_segment_fixed_size: 0
    .sgpr_count:     28
    .sgpr_spill_count: 0
    .symbol:         _ZL41rocblas_syrkx_herkx_small_restrict_kernelIldLi16ELb1ELb0ELc67ELc76EKPKdKPdEviT_T0_PT6_S5_lS8_S5_lS6_PT7_S5_li.kd
    .uniform_work_group_size: 1
    .uses_dynamic_stack: false
    .vgpr_count:     28
    .vgpr_spill_count: 0
    .wavefront_size: 64
  - .args:
      - .offset:         0
        .size:           4
        .value_kind:     by_value
      - .offset:         8
        .size:           8
        .value_kind:     by_value
      - .offset:         16
        .size:           8
        .value_kind:     by_value
      - .address_space:  global
        .offset:         24
        .size:           8
        .value_kind:     global_buffer
      - .offset:         32
        .size:           8
        .value_kind:     by_value
      - .offset:         40
        .size:           8
        .value_kind:     by_value
      - .address_space:  global
        .offset:         48
        .size:           8
        .value_kind:     global_buffer
      - .offset:         56
        .size:           8
        .value_kind:     by_value
      - .offset:         64
        .size:           8
        .value_kind:     by_value
      - .offset:         72
        .size:           8
        .value_kind:     by_value
      - .address_space:  global
        .offset:         80
        .size:           8
        .value_kind:     global_buffer
      - .offset:         88
        .size:           8
        .value_kind:     by_value
      - .offset:         96
        .size:           8
        .value_kind:     by_value
      - .offset:         104
        .size:           4
        .value_kind:     by_value
    .group_segment_fixed_size: 4096
    .kernarg_segment_align: 8
    .kernarg_segment_size: 108
    .language:       OpenCL C
    .language_version:
      - 2
      - 0
    .max_flat_workgroup_size: 256
    .name:           _ZL41rocblas_syrkx_herkx_small_restrict_kernelIldLi16ELb1ELb0ELc78ELc76EKPKdKPdEviT_T0_PT6_S5_lS8_S5_lS6_PT7_S5_li
    .private_segment_fixed_size: 0
    .sgpr_count:     26
    .sgpr_spill_count: 0
    .symbol:         _ZL41rocblas_syrkx_herkx_small_restrict_kernelIldLi16ELb1ELb0ELc78ELc76EKPKdKPdEviT_T0_PT6_S5_lS8_S5_lS6_PT7_S5_li.kd
    .uniform_work_group_size: 1
    .uses_dynamic_stack: false
    .vgpr_count:     30
    .vgpr_spill_count: 0
    .wavefront_size: 64
  - .args:
      - .offset:         0
        .size:           4
        .value_kind:     by_value
      - .offset:         8
        .size:           8
        .value_kind:     by_value
      - .offset:         16
        .size:           8
        .value_kind:     by_value
      - .address_space:  global
        .offset:         24
        .size:           8
        .value_kind:     global_buffer
      - .offset:         32
        .size:           8
        .value_kind:     by_value
      - .offset:         40
        .size:           8
        .value_kind:     by_value
      - .address_space:  global
        .offset:         48
        .size:           8
        .value_kind:     global_buffer
      - .offset:         56
        .size:           8
        .value_kind:     by_value
      - .offset:         64
        .size:           8
        .value_kind:     by_value
      - .offset:         72
        .size:           8
        .value_kind:     by_value
      - .address_space:  global
        .offset:         80
        .size:           8
        .value_kind:     global_buffer
      - .offset:         88
        .size:           8
        .value_kind:     by_value
      - .offset:         96
        .size:           8
        .value_kind:     by_value
      - .offset:         104
        .size:           4
        .value_kind:     by_value
    .group_segment_fixed_size: 4096
    .kernarg_segment_align: 8
    .kernarg_segment_size: 108
    .language:       OpenCL C
    .language_version:
      - 2
      - 0
    .max_flat_workgroup_size: 256
    .name:           _ZL41rocblas_syrkx_herkx_small_restrict_kernelIldLi16ELb1ELb0ELc84ELc85EKPKdKPdEviT_T0_PT6_S5_lS8_S5_lS6_PT7_S5_li
    .private_segment_fixed_size: 0
    .sgpr_count:     28
    .sgpr_spill_count: 0
    .symbol:         _ZL41rocblas_syrkx_herkx_small_restrict_kernelIldLi16ELb1ELb0ELc84ELc85EKPKdKPdEviT_T0_PT6_S5_lS8_S5_lS6_PT7_S5_li.kd
    .uniform_work_group_size: 1
    .uses_dynamic_stack: false
    .vgpr_count:     28
    .vgpr_spill_count: 0
    .wavefront_size: 64
  - .args:
      - .offset:         0
        .size:           4
        .value_kind:     by_value
      - .offset:         8
        .size:           8
        .value_kind:     by_value
      - .offset:         16
        .size:           8
        .value_kind:     by_value
      - .address_space:  global
        .offset:         24
        .size:           8
        .value_kind:     global_buffer
      - .offset:         32
        .size:           8
        .value_kind:     by_value
      - .offset:         40
        .size:           8
        .value_kind:     by_value
      - .address_space:  global
        .offset:         48
        .size:           8
        .value_kind:     global_buffer
      - .offset:         56
        .size:           8
        .value_kind:     by_value
      - .offset:         64
        .size:           8
        .value_kind:     by_value
      - .offset:         72
        .size:           8
        .value_kind:     by_value
      - .address_space:  global
        .offset:         80
        .size:           8
        .value_kind:     global_buffer
      - .offset:         88
        .size:           8
        .value_kind:     by_value
      - .offset:         96
        .size:           8
        .value_kind:     by_value
      - .offset:         104
        .size:           4
        .value_kind:     by_value
    .group_segment_fixed_size: 4096
    .kernarg_segment_align: 8
    .kernarg_segment_size: 108
    .language:       OpenCL C
    .language_version:
      - 2
      - 0
    .max_flat_workgroup_size: 256
    .name:           _ZL41rocblas_syrkx_herkx_small_restrict_kernelIldLi16ELb1ELb0ELc67ELc85EKPKdKPdEviT_T0_PT6_S5_lS8_S5_lS6_PT7_S5_li
    .private_segment_fixed_size: 0
    .sgpr_count:     28
    .sgpr_spill_count: 0
    .symbol:         _ZL41rocblas_syrkx_herkx_small_restrict_kernelIldLi16ELb1ELb0ELc67ELc85EKPKdKPdEviT_T0_PT6_S5_lS8_S5_lS6_PT7_S5_li.kd
    .uniform_work_group_size: 1
    .uses_dynamic_stack: false
    .vgpr_count:     28
    .vgpr_spill_count: 0
    .wavefront_size: 64
  - .args:
      - .offset:         0
        .size:           4
        .value_kind:     by_value
      - .offset:         8
        .size:           8
        .value_kind:     by_value
      - .offset:         16
        .size:           8
        .value_kind:     by_value
      - .address_space:  global
        .offset:         24
        .size:           8
        .value_kind:     global_buffer
      - .offset:         32
        .size:           8
        .value_kind:     by_value
      - .offset:         40
        .size:           8
        .value_kind:     by_value
      - .address_space:  global
        .offset:         48
        .size:           8
        .value_kind:     global_buffer
      - .offset:         56
        .size:           8
        .value_kind:     by_value
      - .offset:         64
        .size:           8
        .value_kind:     by_value
      - .offset:         72
        .size:           8
        .value_kind:     by_value
      - .address_space:  global
        .offset:         80
        .size:           8
        .value_kind:     global_buffer
      - .offset:         88
        .size:           8
        .value_kind:     by_value
      - .offset:         96
        .size:           8
        .value_kind:     by_value
      - .offset:         104
        .size:           4
        .value_kind:     by_value
    .group_segment_fixed_size: 4096
    .kernarg_segment_align: 8
    .kernarg_segment_size: 108
    .language:       OpenCL C
    .language_version:
      - 2
      - 0
    .max_flat_workgroup_size: 256
    .name:           _ZL41rocblas_syrkx_herkx_small_restrict_kernelIldLi16ELb1ELb0ELc78ELc85EKPKdKPdEviT_T0_PT6_S5_lS8_S5_lS6_PT7_S5_li
    .private_segment_fixed_size: 0
    .sgpr_count:     26
    .sgpr_spill_count: 0
    .symbol:         _ZL41rocblas_syrkx_herkx_small_restrict_kernelIldLi16ELb1ELb0ELc78ELc85EKPKdKPdEviT_T0_PT6_S5_lS8_S5_lS6_PT7_S5_li.kd
    .uniform_work_group_size: 1
    .uses_dynamic_stack: false
    .vgpr_count:     30
    .vgpr_spill_count: 0
    .wavefront_size: 64
  - .args:
      - .offset:         0
        .size:           4
        .value_kind:     by_value
      - .offset:         8
        .size:           8
        .value_kind:     by_value
      - .offset:         16
        .size:           8
        .value_kind:     by_value
      - .address_space:  global
        .offset:         24
        .size:           8
        .value_kind:     global_buffer
      - .offset:         32
        .size:           8
        .value_kind:     by_value
      - .offset:         40
        .size:           8
        .value_kind:     by_value
      - .address_space:  global
        .offset:         48
        .size:           8
        .value_kind:     global_buffer
      - .offset:         56
        .size:           8
        .value_kind:     by_value
      - .offset:         64
        .size:           8
        .value_kind:     by_value
      - .offset:         72
        .size:           8
        .value_kind:     by_value
      - .address_space:  global
        .offset:         80
        .size:           8
        .value_kind:     global_buffer
      - .offset:         88
        .size:           8
        .value_kind:     by_value
      - .offset:         96
        .size:           8
        .value_kind:     by_value
      - .offset:         104
        .size:           4
        .value_kind:     by_value
    .group_segment_fixed_size: 4096
    .kernarg_segment_align: 8
    .kernarg_segment_size: 108
    .language:       OpenCL C
    .language_version:
      - 2
      - 0
    .max_flat_workgroup_size: 256
    .name:           _ZL41rocblas_syrkx_herkx_small_restrict_kernelIldLi16ELb0ELb0ELc84ELc76EKPKdKPdEviT_T0_PT6_S5_lS8_S5_lS6_PT7_S5_li
    .private_segment_fixed_size: 0
    .sgpr_count:     28
    .sgpr_spill_count: 0
    .symbol:         _ZL41rocblas_syrkx_herkx_small_restrict_kernelIldLi16ELb0ELb0ELc84ELc76EKPKdKPdEviT_T0_PT6_S5_lS8_S5_lS6_PT7_S5_li.kd
    .uniform_work_group_size: 1
    .uses_dynamic_stack: false
    .vgpr_count:     28
    .vgpr_spill_count: 0
    .wavefront_size: 64
  - .args:
      - .offset:         0
        .size:           4
        .value_kind:     by_value
      - .offset:         8
        .size:           8
        .value_kind:     by_value
      - .offset:         16
        .size:           8
        .value_kind:     by_value
      - .address_space:  global
        .offset:         24
        .size:           8
        .value_kind:     global_buffer
      - .offset:         32
        .size:           8
        .value_kind:     by_value
      - .offset:         40
        .size:           8
        .value_kind:     by_value
      - .address_space:  global
        .offset:         48
        .size:           8
        .value_kind:     global_buffer
      - .offset:         56
        .size:           8
        .value_kind:     by_value
      - .offset:         64
        .size:           8
        .value_kind:     by_value
      - .offset:         72
        .size:           8
        .value_kind:     by_value
      - .address_space:  global
        .offset:         80
        .size:           8
        .value_kind:     global_buffer
      - .offset:         88
        .size:           8
        .value_kind:     by_value
      - .offset:         96
        .size:           8
        .value_kind:     by_value
      - .offset:         104
        .size:           4
        .value_kind:     by_value
    .group_segment_fixed_size: 4096
    .kernarg_segment_align: 8
    .kernarg_segment_size: 108
    .language:       OpenCL C
    .language_version:
      - 2
      - 0
    .max_flat_workgroup_size: 256
    .name:           _ZL41rocblas_syrkx_herkx_small_restrict_kernelIldLi16ELb0ELb0ELc67ELc76EKPKdKPdEviT_T0_PT6_S5_lS8_S5_lS6_PT7_S5_li
    .private_segment_fixed_size: 0
    .sgpr_count:     28
    .sgpr_spill_count: 0
    .symbol:         _ZL41rocblas_syrkx_herkx_small_restrict_kernelIldLi16ELb0ELb0ELc67ELc76EKPKdKPdEviT_T0_PT6_S5_lS8_S5_lS6_PT7_S5_li.kd
    .uniform_work_group_size: 1
    .uses_dynamic_stack: false
    .vgpr_count:     28
    .vgpr_spill_count: 0
    .wavefront_size: 64
  - .args:
      - .offset:         0
        .size:           4
        .value_kind:     by_value
      - .offset:         8
        .size:           8
        .value_kind:     by_value
      - .offset:         16
        .size:           8
        .value_kind:     by_value
      - .address_space:  global
        .offset:         24
        .size:           8
        .value_kind:     global_buffer
      - .offset:         32
        .size:           8
        .value_kind:     by_value
      - .offset:         40
        .size:           8
        .value_kind:     by_value
      - .address_space:  global
        .offset:         48
        .size:           8
        .value_kind:     global_buffer
      - .offset:         56
        .size:           8
        .value_kind:     by_value
      - .offset:         64
        .size:           8
        .value_kind:     by_value
      - .offset:         72
        .size:           8
        .value_kind:     by_value
      - .address_space:  global
        .offset:         80
        .size:           8
        .value_kind:     global_buffer
      - .offset:         88
        .size:           8
        .value_kind:     by_value
      - .offset:         96
        .size:           8
        .value_kind:     by_value
      - .offset:         104
        .size:           4
        .value_kind:     by_value
    .group_segment_fixed_size: 4096
    .kernarg_segment_align: 8
    .kernarg_segment_size: 108
    .language:       OpenCL C
    .language_version:
      - 2
      - 0
    .max_flat_workgroup_size: 256
    .name:           _ZL41rocblas_syrkx_herkx_small_restrict_kernelIldLi16ELb0ELb0ELc78ELc76EKPKdKPdEviT_T0_PT6_S5_lS8_S5_lS6_PT7_S5_li
    .private_segment_fixed_size: 0
    .sgpr_count:     30
    .sgpr_spill_count: 0
    .symbol:         _ZL41rocblas_syrkx_herkx_small_restrict_kernelIldLi16ELb0ELb0ELc78ELc76EKPKdKPdEviT_T0_PT6_S5_lS8_S5_lS6_PT7_S5_li.kd
    .uniform_work_group_size: 1
    .uses_dynamic_stack: false
    .vgpr_count:     30
    .vgpr_spill_count: 0
    .wavefront_size: 64
  - .args:
      - .offset:         0
        .size:           4
        .value_kind:     by_value
      - .offset:         8
        .size:           8
        .value_kind:     by_value
      - .offset:         16
        .size:           8
        .value_kind:     by_value
      - .address_space:  global
        .offset:         24
        .size:           8
        .value_kind:     global_buffer
      - .offset:         32
        .size:           8
        .value_kind:     by_value
      - .offset:         40
        .size:           8
        .value_kind:     by_value
      - .address_space:  global
        .offset:         48
        .size:           8
        .value_kind:     global_buffer
      - .offset:         56
        .size:           8
        .value_kind:     by_value
      - .offset:         64
        .size:           8
        .value_kind:     by_value
      - .offset:         72
        .size:           8
        .value_kind:     by_value
      - .address_space:  global
        .offset:         80
        .size:           8
        .value_kind:     global_buffer
      - .offset:         88
        .size:           8
        .value_kind:     by_value
      - .offset:         96
        .size:           8
        .value_kind:     by_value
      - .offset:         104
        .size:           4
        .value_kind:     by_value
    .group_segment_fixed_size: 4096
    .kernarg_segment_align: 8
    .kernarg_segment_size: 108
    .language:       OpenCL C
    .language_version:
      - 2
      - 0
    .max_flat_workgroup_size: 256
    .name:           _ZL41rocblas_syrkx_herkx_small_restrict_kernelIldLi16ELb0ELb0ELc84ELc85EKPKdKPdEviT_T0_PT6_S5_lS8_S5_lS6_PT7_S5_li
    .private_segment_fixed_size: 0
    .sgpr_count:     28
    .sgpr_spill_count: 0
    .symbol:         _ZL41rocblas_syrkx_herkx_small_restrict_kernelIldLi16ELb0ELb0ELc84ELc85EKPKdKPdEviT_T0_PT6_S5_lS8_S5_lS6_PT7_S5_li.kd
    .uniform_work_group_size: 1
    .uses_dynamic_stack: false
    .vgpr_count:     28
    .vgpr_spill_count: 0
    .wavefront_size: 64
  - .args:
      - .offset:         0
        .size:           4
        .value_kind:     by_value
      - .offset:         8
        .size:           8
        .value_kind:     by_value
      - .offset:         16
        .size:           8
        .value_kind:     by_value
      - .address_space:  global
        .offset:         24
        .size:           8
        .value_kind:     global_buffer
      - .offset:         32
        .size:           8
        .value_kind:     by_value
      - .offset:         40
        .size:           8
        .value_kind:     by_value
      - .address_space:  global
        .offset:         48
        .size:           8
        .value_kind:     global_buffer
      - .offset:         56
        .size:           8
        .value_kind:     by_value
      - .offset:         64
        .size:           8
        .value_kind:     by_value
      - .offset:         72
        .size:           8
        .value_kind:     by_value
      - .address_space:  global
        .offset:         80
        .size:           8
        .value_kind:     global_buffer
      - .offset:         88
        .size:           8
        .value_kind:     by_value
      - .offset:         96
        .size:           8
        .value_kind:     by_value
      - .offset:         104
        .size:           4
        .value_kind:     by_value
    .group_segment_fixed_size: 4096
    .kernarg_segment_align: 8
    .kernarg_segment_size: 108
    .language:       OpenCL C
    .language_version:
      - 2
      - 0
    .max_flat_workgroup_size: 256
    .name:           _ZL41rocblas_syrkx_herkx_small_restrict_kernelIldLi16ELb0ELb0ELc67ELc85EKPKdKPdEviT_T0_PT6_S5_lS8_S5_lS6_PT7_S5_li
    .private_segment_fixed_size: 0
    .sgpr_count:     28
    .sgpr_spill_count: 0
    .symbol:         _ZL41rocblas_syrkx_herkx_small_restrict_kernelIldLi16ELb0ELb0ELc67ELc85EKPKdKPdEviT_T0_PT6_S5_lS8_S5_lS6_PT7_S5_li.kd
    .uniform_work_group_size: 1
    .uses_dynamic_stack: false
    .vgpr_count:     28
    .vgpr_spill_count: 0
    .wavefront_size: 64
  - .args:
      - .offset:         0
        .size:           4
        .value_kind:     by_value
      - .offset:         8
        .size:           8
        .value_kind:     by_value
      - .offset:         16
        .size:           8
        .value_kind:     by_value
      - .address_space:  global
        .offset:         24
        .size:           8
        .value_kind:     global_buffer
      - .offset:         32
        .size:           8
        .value_kind:     by_value
      - .offset:         40
        .size:           8
        .value_kind:     by_value
      - .address_space:  global
        .offset:         48
        .size:           8
        .value_kind:     global_buffer
      - .offset:         56
        .size:           8
        .value_kind:     by_value
      - .offset:         64
        .size:           8
        .value_kind:     by_value
      - .offset:         72
        .size:           8
        .value_kind:     by_value
      - .address_space:  global
        .offset:         80
        .size:           8
        .value_kind:     global_buffer
      - .offset:         88
        .size:           8
        .value_kind:     by_value
      - .offset:         96
        .size:           8
        .value_kind:     by_value
      - .offset:         104
        .size:           4
        .value_kind:     by_value
    .group_segment_fixed_size: 4096
    .kernarg_segment_align: 8
    .kernarg_segment_size: 108
    .language:       OpenCL C
    .language_version:
      - 2
      - 0
    .max_flat_workgroup_size: 256
    .name:           _ZL41rocblas_syrkx_herkx_small_restrict_kernelIldLi16ELb0ELb0ELc78ELc85EKPKdKPdEviT_T0_PT6_S5_lS8_S5_lS6_PT7_S5_li
    .private_segment_fixed_size: 0
    .sgpr_count:     30
    .sgpr_spill_count: 0
    .symbol:         _ZL41rocblas_syrkx_herkx_small_restrict_kernelIldLi16ELb0ELb0ELc78ELc85EKPKdKPdEviT_T0_PT6_S5_lS8_S5_lS6_PT7_S5_li.kd
    .uniform_work_group_size: 1
    .uses_dynamic_stack: false
    .vgpr_count:     30
    .vgpr_spill_count: 0
    .wavefront_size: 64
  - .args:
      - .offset:         0
        .size:           4
        .value_kind:     by_value
      - .offset:         8
        .size:           8
        .value_kind:     by_value
      - .offset:         16
        .size:           8
        .value_kind:     by_value
      - .address_space:  global
        .offset:         24
        .size:           8
        .value_kind:     global_buffer
      - .offset:         32
        .size:           8
        .value_kind:     by_value
      - .offset:         40
        .size:           8
        .value_kind:     by_value
      - .address_space:  global
        .offset:         48
        .size:           8
        .value_kind:     global_buffer
      - .offset:         56
        .size:           8
        .value_kind:     by_value
      - .offset:         64
        .size:           8
        .value_kind:     by_value
      - .offset:         72
        .size:           8
        .value_kind:     by_value
      - .address_space:  global
        .offset:         80
        .size:           8
        .value_kind:     global_buffer
      - .offset:         88
        .size:           8
        .value_kind:     by_value
      - .offset:         96
        .size:           8
        .value_kind:     by_value
      - .offset:         104
        .size:           4
        .value_kind:     by_value
    .group_segment_fixed_size: 4096
    .kernarg_segment_align: 8
    .kernarg_segment_size: 108
    .language:       OpenCL C
    .language_version:
      - 2
      - 0
    .max_flat_workgroup_size: 256
    .name:           _ZL32rocblas_syrkx_herkx_small_kernelIldLi16ELb1ELb0ELc84ELc76EKPKdKPdEviT_T0_PT6_S5_lS8_S5_lS6_PT7_S5_li
    .private_segment_fixed_size: 0
    .sgpr_count:     28
    .sgpr_spill_count: 0
    .symbol:         _ZL32rocblas_syrkx_herkx_small_kernelIldLi16ELb1ELb0ELc84ELc76EKPKdKPdEviT_T0_PT6_S5_lS8_S5_lS6_PT7_S5_li.kd
    .uniform_work_group_size: 1
    .uses_dynamic_stack: false
    .vgpr_count:     32
    .vgpr_spill_count: 0
    .wavefront_size: 64
  - .args:
      - .offset:         0
        .size:           4
        .value_kind:     by_value
      - .offset:         8
        .size:           8
        .value_kind:     by_value
      - .offset:         16
        .size:           8
        .value_kind:     by_value
      - .address_space:  global
        .offset:         24
        .size:           8
        .value_kind:     global_buffer
      - .offset:         32
        .size:           8
        .value_kind:     by_value
      - .offset:         40
        .size:           8
        .value_kind:     by_value
      - .address_space:  global
        .offset:         48
        .size:           8
        .value_kind:     global_buffer
      - .offset:         56
        .size:           8
        .value_kind:     by_value
      - .offset:         64
        .size:           8
        .value_kind:     by_value
      - .offset:         72
        .size:           8
        .value_kind:     by_value
      - .address_space:  global
        .offset:         80
        .size:           8
        .value_kind:     global_buffer
      - .offset:         88
        .size:           8
        .value_kind:     by_value
      - .offset:         96
        .size:           8
        .value_kind:     by_value
      - .offset:         104
        .size:           4
        .value_kind:     by_value
    .group_segment_fixed_size: 4096
    .kernarg_segment_align: 8
    .kernarg_segment_size: 108
    .language:       OpenCL C
    .language_version:
      - 2
      - 0
    .max_flat_workgroup_size: 256
    .name:           _ZL32rocblas_syrkx_herkx_small_kernelIldLi16ELb1ELb0ELc67ELc76EKPKdKPdEviT_T0_PT6_S5_lS8_S5_lS6_PT7_S5_li
    .private_segment_fixed_size: 0
    .sgpr_count:     28
    .sgpr_spill_count: 0
    .symbol:         _ZL32rocblas_syrkx_herkx_small_kernelIldLi16ELb1ELb0ELc67ELc76EKPKdKPdEviT_T0_PT6_S5_lS8_S5_lS6_PT7_S5_li.kd
    .uniform_work_group_size: 1
    .uses_dynamic_stack: false
    .vgpr_count:     32
    .vgpr_spill_count: 0
    .wavefront_size: 64
  - .args:
      - .offset:         0
        .size:           4
        .value_kind:     by_value
      - .offset:         8
        .size:           8
        .value_kind:     by_value
      - .offset:         16
        .size:           8
        .value_kind:     by_value
      - .address_space:  global
        .offset:         24
        .size:           8
        .value_kind:     global_buffer
      - .offset:         32
        .size:           8
        .value_kind:     by_value
      - .offset:         40
        .size:           8
        .value_kind:     by_value
      - .address_space:  global
        .offset:         48
        .size:           8
        .value_kind:     global_buffer
      - .offset:         56
        .size:           8
        .value_kind:     by_value
      - .offset:         64
        .size:           8
        .value_kind:     by_value
      - .offset:         72
        .size:           8
        .value_kind:     by_value
      - .address_space:  global
        .offset:         80
        .size:           8
        .value_kind:     global_buffer
      - .offset:         88
        .size:           8
        .value_kind:     by_value
      - .offset:         96
        .size:           8
        .value_kind:     by_value
      - .offset:         104
        .size:           4
        .value_kind:     by_value
    .group_segment_fixed_size: 4096
    .kernarg_segment_align: 8
    .kernarg_segment_size: 108
    .language:       OpenCL C
    .language_version:
      - 2
      - 0
    .max_flat_workgroup_size: 256
    .name:           _ZL32rocblas_syrkx_herkx_small_kernelIldLi16ELb1ELb0ELc78ELc76EKPKdKPdEviT_T0_PT6_S5_lS8_S5_lS6_PT7_S5_li
    .private_segment_fixed_size: 0
    .sgpr_count:     29
    .sgpr_spill_count: 0
    .symbol:         _ZL32rocblas_syrkx_herkx_small_kernelIldLi16ELb1ELb0ELc78ELc76EKPKdKPdEviT_T0_PT6_S5_lS8_S5_lS6_PT7_S5_li.kd
    .uniform_work_group_size: 1
    .uses_dynamic_stack: false
    .vgpr_count:     34
    .vgpr_spill_count: 0
    .wavefront_size: 64
  - .args:
      - .offset:         0
        .size:           4
        .value_kind:     by_value
      - .offset:         8
        .size:           8
        .value_kind:     by_value
      - .offset:         16
        .size:           8
        .value_kind:     by_value
      - .address_space:  global
        .offset:         24
        .size:           8
        .value_kind:     global_buffer
      - .offset:         32
        .size:           8
        .value_kind:     by_value
      - .offset:         40
        .size:           8
        .value_kind:     by_value
      - .address_space:  global
        .offset:         48
        .size:           8
        .value_kind:     global_buffer
      - .offset:         56
        .size:           8
        .value_kind:     by_value
      - .offset:         64
        .size:           8
        .value_kind:     by_value
      - .offset:         72
        .size:           8
        .value_kind:     by_value
      - .address_space:  global
        .offset:         80
        .size:           8
        .value_kind:     global_buffer
      - .offset:         88
        .size:           8
        .value_kind:     by_value
      - .offset:         96
        .size:           8
        .value_kind:     by_value
      - .offset:         104
        .size:           4
        .value_kind:     by_value
    .group_segment_fixed_size: 4096
    .kernarg_segment_align: 8
    .kernarg_segment_size: 108
    .language:       OpenCL C
    .language_version:
      - 2
      - 0
    .max_flat_workgroup_size: 256
    .name:           _ZL32rocblas_syrkx_herkx_small_kernelIldLi16ELb1ELb0ELc84ELc85EKPKdKPdEviT_T0_PT6_S5_lS8_S5_lS6_PT7_S5_li
    .private_segment_fixed_size: 0
    .sgpr_count:     29
    .sgpr_spill_count: 0
    .symbol:         _ZL32rocblas_syrkx_herkx_small_kernelIldLi16ELb1ELb0ELc84ELc85EKPKdKPdEviT_T0_PT6_S5_lS8_S5_lS6_PT7_S5_li.kd
    .uniform_work_group_size: 1
    .uses_dynamic_stack: false
    .vgpr_count:     32
    .vgpr_spill_count: 0
    .wavefront_size: 64
  - .args:
      - .offset:         0
        .size:           4
        .value_kind:     by_value
      - .offset:         8
        .size:           8
        .value_kind:     by_value
      - .offset:         16
        .size:           8
        .value_kind:     by_value
      - .address_space:  global
        .offset:         24
        .size:           8
        .value_kind:     global_buffer
      - .offset:         32
        .size:           8
        .value_kind:     by_value
      - .offset:         40
        .size:           8
        .value_kind:     by_value
      - .address_space:  global
        .offset:         48
        .size:           8
        .value_kind:     global_buffer
      - .offset:         56
        .size:           8
        .value_kind:     by_value
      - .offset:         64
        .size:           8
        .value_kind:     by_value
      - .offset:         72
        .size:           8
        .value_kind:     by_value
      - .address_space:  global
        .offset:         80
        .size:           8
        .value_kind:     global_buffer
      - .offset:         88
        .size:           8
        .value_kind:     by_value
      - .offset:         96
        .size:           8
        .value_kind:     by_value
      - .offset:         104
        .size:           4
        .value_kind:     by_value
    .group_segment_fixed_size: 4096
    .kernarg_segment_align: 8
    .kernarg_segment_size: 108
    .language:       OpenCL C
    .language_version:
      - 2
      - 0
    .max_flat_workgroup_size: 256
    .name:           _ZL32rocblas_syrkx_herkx_small_kernelIldLi16ELb1ELb0ELc67ELc85EKPKdKPdEviT_T0_PT6_S5_lS8_S5_lS6_PT7_S5_li
    .private_segment_fixed_size: 0
    .sgpr_count:     29
    .sgpr_spill_count: 0
    .symbol:         _ZL32rocblas_syrkx_herkx_small_kernelIldLi16ELb1ELb0ELc67ELc85EKPKdKPdEviT_T0_PT6_S5_lS8_S5_lS6_PT7_S5_li.kd
    .uniform_work_group_size: 1
    .uses_dynamic_stack: false
    .vgpr_count:     32
    .vgpr_spill_count: 0
    .wavefront_size: 64
  - .args:
      - .offset:         0
        .size:           4
        .value_kind:     by_value
      - .offset:         8
        .size:           8
        .value_kind:     by_value
      - .offset:         16
        .size:           8
        .value_kind:     by_value
      - .address_space:  global
        .offset:         24
        .size:           8
        .value_kind:     global_buffer
      - .offset:         32
        .size:           8
        .value_kind:     by_value
      - .offset:         40
        .size:           8
        .value_kind:     by_value
      - .address_space:  global
        .offset:         48
        .size:           8
        .value_kind:     global_buffer
      - .offset:         56
        .size:           8
        .value_kind:     by_value
      - .offset:         64
        .size:           8
        .value_kind:     by_value
      - .offset:         72
        .size:           8
        .value_kind:     by_value
      - .address_space:  global
        .offset:         80
        .size:           8
        .value_kind:     global_buffer
      - .offset:         88
        .size:           8
        .value_kind:     by_value
      - .offset:         96
        .size:           8
        .value_kind:     by_value
      - .offset:         104
        .size:           4
        .value_kind:     by_value
    .group_segment_fixed_size: 4096
    .kernarg_segment_align: 8
    .kernarg_segment_size: 108
    .language:       OpenCL C
    .language_version:
      - 2
      - 0
    .max_flat_workgroup_size: 256
    .name:           _ZL32rocblas_syrkx_herkx_small_kernelIldLi16ELb1ELb0ELc78ELc85EKPKdKPdEviT_T0_PT6_S5_lS8_S5_lS6_PT7_S5_li
    .private_segment_fixed_size: 0
    .sgpr_count:     29
    .sgpr_spill_count: 0
    .symbol:         _ZL32rocblas_syrkx_herkx_small_kernelIldLi16ELb1ELb0ELc78ELc85EKPKdKPdEviT_T0_PT6_S5_lS8_S5_lS6_PT7_S5_li.kd
    .uniform_work_group_size: 1
    .uses_dynamic_stack: false
    .vgpr_count:     34
    .vgpr_spill_count: 0
    .wavefront_size: 64
  - .args:
      - .offset:         0
        .size:           4
        .value_kind:     by_value
      - .offset:         8
        .size:           8
        .value_kind:     by_value
      - .offset:         16
        .size:           8
        .value_kind:     by_value
      - .address_space:  global
        .offset:         24
        .size:           8
        .value_kind:     global_buffer
      - .offset:         32
        .size:           8
        .value_kind:     by_value
      - .offset:         40
        .size:           8
        .value_kind:     by_value
      - .address_space:  global
        .offset:         48
        .size:           8
        .value_kind:     global_buffer
      - .offset:         56
        .size:           8
        .value_kind:     by_value
      - .offset:         64
        .size:           8
        .value_kind:     by_value
      - .offset:         72
        .size:           8
        .value_kind:     by_value
      - .address_space:  global
        .offset:         80
        .size:           8
        .value_kind:     global_buffer
      - .offset:         88
        .size:           8
        .value_kind:     by_value
      - .offset:         96
        .size:           8
        .value_kind:     by_value
      - .offset:         104
        .size:           4
        .value_kind:     by_value
    .group_segment_fixed_size: 4096
    .kernarg_segment_align: 8
    .kernarg_segment_size: 108
    .language:       OpenCL C
    .language_version:
      - 2
      - 0
    .max_flat_workgroup_size: 256
    .name:           _ZL32rocblas_syrkx_herkx_small_kernelIldLi16ELb0ELb0ELc84ELc76EKPKdKPdEviT_T0_PT6_S5_lS8_S5_lS6_PT7_S5_li
    .private_segment_fixed_size: 0
    .sgpr_count:     29
    .sgpr_spill_count: 0
    .symbol:         _ZL32rocblas_syrkx_herkx_small_kernelIldLi16ELb0ELb0ELc84ELc76EKPKdKPdEviT_T0_PT6_S5_lS8_S5_lS6_PT7_S5_li.kd
    .uniform_work_group_size: 1
    .uses_dynamic_stack: false
    .vgpr_count:     32
    .vgpr_spill_count: 0
    .wavefront_size: 64
  - .args:
      - .offset:         0
        .size:           4
        .value_kind:     by_value
      - .offset:         8
        .size:           8
        .value_kind:     by_value
      - .offset:         16
        .size:           8
        .value_kind:     by_value
      - .address_space:  global
        .offset:         24
        .size:           8
        .value_kind:     global_buffer
      - .offset:         32
        .size:           8
        .value_kind:     by_value
      - .offset:         40
        .size:           8
        .value_kind:     by_value
      - .address_space:  global
        .offset:         48
        .size:           8
        .value_kind:     global_buffer
      - .offset:         56
        .size:           8
        .value_kind:     by_value
      - .offset:         64
        .size:           8
        .value_kind:     by_value
      - .offset:         72
        .size:           8
        .value_kind:     by_value
      - .address_space:  global
        .offset:         80
        .size:           8
        .value_kind:     global_buffer
      - .offset:         88
        .size:           8
        .value_kind:     by_value
      - .offset:         96
        .size:           8
        .value_kind:     by_value
      - .offset:         104
        .size:           4
        .value_kind:     by_value
    .group_segment_fixed_size: 4096
    .kernarg_segment_align: 8
    .kernarg_segment_size: 108
    .language:       OpenCL C
    .language_version:
      - 2
      - 0
    .max_flat_workgroup_size: 256
    .name:           _ZL32rocblas_syrkx_herkx_small_kernelIldLi16ELb0ELb0ELc67ELc76EKPKdKPdEviT_T0_PT6_S5_lS8_S5_lS6_PT7_S5_li
    .private_segment_fixed_size: 0
    .sgpr_count:     29
    .sgpr_spill_count: 0
    .symbol:         _ZL32rocblas_syrkx_herkx_small_kernelIldLi16ELb0ELb0ELc67ELc76EKPKdKPdEviT_T0_PT6_S5_lS8_S5_lS6_PT7_S5_li.kd
    .uniform_work_group_size: 1
    .uses_dynamic_stack: false
    .vgpr_count:     32
    .vgpr_spill_count: 0
    .wavefront_size: 64
  - .args:
      - .offset:         0
        .size:           4
        .value_kind:     by_value
      - .offset:         8
        .size:           8
        .value_kind:     by_value
      - .offset:         16
        .size:           8
        .value_kind:     by_value
      - .address_space:  global
        .offset:         24
        .size:           8
        .value_kind:     global_buffer
      - .offset:         32
        .size:           8
        .value_kind:     by_value
      - .offset:         40
        .size:           8
        .value_kind:     by_value
      - .address_space:  global
        .offset:         48
        .size:           8
        .value_kind:     global_buffer
      - .offset:         56
        .size:           8
        .value_kind:     by_value
      - .offset:         64
        .size:           8
        .value_kind:     by_value
      - .offset:         72
        .size:           8
        .value_kind:     by_value
      - .address_space:  global
        .offset:         80
        .size:           8
        .value_kind:     global_buffer
      - .offset:         88
        .size:           8
        .value_kind:     by_value
      - .offset:         96
        .size:           8
        .value_kind:     by_value
      - .offset:         104
        .size:           4
        .value_kind:     by_value
    .group_segment_fixed_size: 4096
    .kernarg_segment_align: 8
    .kernarg_segment_size: 108
    .language:       OpenCL C
    .language_version:
      - 2
      - 0
    .max_flat_workgroup_size: 256
    .name:           _ZL32rocblas_syrkx_herkx_small_kernelIldLi16ELb0ELb0ELc78ELc76EKPKdKPdEviT_T0_PT6_S5_lS8_S5_lS6_PT7_S5_li
    .private_segment_fixed_size: 0
    .sgpr_count:     29
    .sgpr_spill_count: 0
    .symbol:         _ZL32rocblas_syrkx_herkx_small_kernelIldLi16ELb0ELb0ELc78ELc76EKPKdKPdEviT_T0_PT6_S5_lS8_S5_lS6_PT7_S5_li.kd
    .uniform_work_group_size: 1
    .uses_dynamic_stack: false
    .vgpr_count:     34
    .vgpr_spill_count: 0
    .wavefront_size: 64
  - .args:
      - .offset:         0
        .size:           4
        .value_kind:     by_value
      - .offset:         8
        .size:           8
        .value_kind:     by_value
      - .offset:         16
        .size:           8
        .value_kind:     by_value
      - .address_space:  global
        .offset:         24
        .size:           8
        .value_kind:     global_buffer
      - .offset:         32
        .size:           8
        .value_kind:     by_value
      - .offset:         40
        .size:           8
        .value_kind:     by_value
      - .address_space:  global
        .offset:         48
        .size:           8
        .value_kind:     global_buffer
      - .offset:         56
        .size:           8
        .value_kind:     by_value
      - .offset:         64
        .size:           8
        .value_kind:     by_value
      - .offset:         72
        .size:           8
        .value_kind:     by_value
      - .address_space:  global
        .offset:         80
        .size:           8
        .value_kind:     global_buffer
      - .offset:         88
        .size:           8
        .value_kind:     by_value
      - .offset:         96
        .size:           8
        .value_kind:     by_value
      - .offset:         104
        .size:           4
        .value_kind:     by_value
    .group_segment_fixed_size: 4096
    .kernarg_segment_align: 8
    .kernarg_segment_size: 108
    .language:       OpenCL C
    .language_version:
      - 2
      - 0
    .max_flat_workgroup_size: 256
    .name:           _ZL32rocblas_syrkx_herkx_small_kernelIldLi16ELb0ELb0ELc84ELc85EKPKdKPdEviT_T0_PT6_S5_lS8_S5_lS6_PT7_S5_li
    .private_segment_fixed_size: 0
    .sgpr_count:     31
    .sgpr_spill_count: 0
    .symbol:         _ZL32rocblas_syrkx_herkx_small_kernelIldLi16ELb0ELb0ELc84ELc85EKPKdKPdEviT_T0_PT6_S5_lS8_S5_lS6_PT7_S5_li.kd
    .uniform_work_group_size: 1
    .uses_dynamic_stack: false
    .vgpr_count:     32
    .vgpr_spill_count: 0
    .wavefront_size: 64
  - .args:
      - .offset:         0
        .size:           4
        .value_kind:     by_value
      - .offset:         8
        .size:           8
        .value_kind:     by_value
      - .offset:         16
        .size:           8
        .value_kind:     by_value
      - .address_space:  global
        .offset:         24
        .size:           8
        .value_kind:     global_buffer
      - .offset:         32
        .size:           8
        .value_kind:     by_value
      - .offset:         40
        .size:           8
        .value_kind:     by_value
      - .address_space:  global
        .offset:         48
        .size:           8
        .value_kind:     global_buffer
      - .offset:         56
        .size:           8
        .value_kind:     by_value
      - .offset:         64
        .size:           8
        .value_kind:     by_value
      - .offset:         72
        .size:           8
        .value_kind:     by_value
      - .address_space:  global
        .offset:         80
        .size:           8
        .value_kind:     global_buffer
      - .offset:         88
        .size:           8
        .value_kind:     by_value
      - .offset:         96
        .size:           8
        .value_kind:     by_value
      - .offset:         104
        .size:           4
        .value_kind:     by_value
    .group_segment_fixed_size: 4096
    .kernarg_segment_align: 8
    .kernarg_segment_size: 108
    .language:       OpenCL C
    .language_version:
      - 2
      - 0
    .max_flat_workgroup_size: 256
    .name:           _ZL32rocblas_syrkx_herkx_small_kernelIldLi16ELb0ELb0ELc67ELc85EKPKdKPdEviT_T0_PT6_S5_lS8_S5_lS6_PT7_S5_li
    .private_segment_fixed_size: 0
    .sgpr_count:     31
    .sgpr_spill_count: 0
    .symbol:         _ZL32rocblas_syrkx_herkx_small_kernelIldLi16ELb0ELb0ELc67ELc85EKPKdKPdEviT_T0_PT6_S5_lS8_S5_lS6_PT7_S5_li.kd
    .uniform_work_group_size: 1
    .uses_dynamic_stack: false
    .vgpr_count:     32
    .vgpr_spill_count: 0
    .wavefront_size: 64
  - .args:
      - .offset:         0
        .size:           4
        .value_kind:     by_value
      - .offset:         8
        .size:           8
        .value_kind:     by_value
      - .offset:         16
        .size:           8
        .value_kind:     by_value
      - .address_space:  global
        .offset:         24
        .size:           8
        .value_kind:     global_buffer
      - .offset:         32
        .size:           8
        .value_kind:     by_value
      - .offset:         40
        .size:           8
        .value_kind:     by_value
      - .address_space:  global
        .offset:         48
        .size:           8
        .value_kind:     global_buffer
      - .offset:         56
        .size:           8
        .value_kind:     by_value
      - .offset:         64
        .size:           8
        .value_kind:     by_value
      - .offset:         72
        .size:           8
        .value_kind:     by_value
      - .address_space:  global
        .offset:         80
        .size:           8
        .value_kind:     global_buffer
      - .offset:         88
        .size:           8
        .value_kind:     by_value
      - .offset:         96
        .size:           8
        .value_kind:     by_value
      - .offset:         104
        .size:           4
        .value_kind:     by_value
    .group_segment_fixed_size: 4096
    .kernarg_segment_align: 8
    .kernarg_segment_size: 108
    .language:       OpenCL C
    .language_version:
      - 2
      - 0
    .max_flat_workgroup_size: 256
    .name:           _ZL32rocblas_syrkx_herkx_small_kernelIldLi16ELb0ELb0ELc78ELc85EKPKdKPdEviT_T0_PT6_S5_lS8_S5_lS6_PT7_S5_li
    .private_segment_fixed_size: 0
    .sgpr_count:     31
    .sgpr_spill_count: 0
    .symbol:         _ZL32rocblas_syrkx_herkx_small_kernelIldLi16ELb0ELb0ELc78ELc85EKPKdKPdEviT_T0_PT6_S5_lS8_S5_lS6_PT7_S5_li.kd
    .uniform_work_group_size: 1
    .uses_dynamic_stack: false
    .vgpr_count:     34
    .vgpr_spill_count: 0
    .wavefront_size: 64
  - .args:
      - .offset:         0
        .size:           4
        .value_kind:     by_value
      - .offset:         8
        .size:           8
        .value_kind:     by_value
      - .offset:         16
        .size:           8
        .value_kind:     by_value
      - .address_space:  global
        .offset:         24
        .size:           8
        .value_kind:     global_buffer
      - .offset:         32
        .size:           8
        .value_kind:     by_value
      - .offset:         40
        .size:           8
        .value_kind:     by_value
      - .address_space:  global
        .offset:         48
        .size:           8
        .value_kind:     global_buffer
      - .offset:         56
        .size:           8
        .value_kind:     by_value
      - .offset:         64
        .size:           8
        .value_kind:     by_value
      - .offset:         72
        .size:           8
        .value_kind:     by_value
      - .address_space:  global
        .offset:         80
        .size:           8
        .value_kind:     global_buffer
      - .offset:         88
        .size:           8
        .value_kind:     by_value
      - .offset:         96
        .size:           8
        .value_kind:     by_value
      - .offset:         104
        .size:           4
        .value_kind:     by_value
    .group_segment_fixed_size: 4096
    .kernarg_segment_align: 8
    .kernarg_segment_size: 108
    .language:       OpenCL C
    .language_version:
      - 2
      - 0
    .max_flat_workgroup_size: 256
    .name:           _ZL34rocblas_syrkx_herkx_general_kernelIldLi16ELi32ELi8ELb1ELb0ELc84ELc76EKPKdKPdEviT_T0_PT8_S5_lS8_S5_lS6_PT9_S5_li
    .private_segment_fixed_size: 0
    .sgpr_count:     28
    .sgpr_spill_count: 0
    .symbol:         _ZL34rocblas_syrkx_herkx_general_kernelIldLi16ELi32ELi8ELb1ELb0ELc84ELc76EKPKdKPdEviT_T0_PT8_S5_lS8_S5_lS6_PT9_S5_li.kd
    .uniform_work_group_size: 1
    .uses_dynamic_stack: false
    .vgpr_count:     40
    .vgpr_spill_count: 0
    .wavefront_size: 64
  - .args:
      - .offset:         0
        .size:           4
        .value_kind:     by_value
      - .offset:         8
        .size:           8
        .value_kind:     by_value
      - .offset:         16
        .size:           8
        .value_kind:     by_value
      - .address_space:  global
        .offset:         24
        .size:           8
        .value_kind:     global_buffer
      - .offset:         32
        .size:           8
        .value_kind:     by_value
      - .offset:         40
        .size:           8
        .value_kind:     by_value
      - .address_space:  global
        .offset:         48
        .size:           8
        .value_kind:     global_buffer
      - .offset:         56
        .size:           8
        .value_kind:     by_value
      - .offset:         64
        .size:           8
        .value_kind:     by_value
      - .offset:         72
        .size:           8
        .value_kind:     by_value
      - .address_space:  global
        .offset:         80
        .size:           8
        .value_kind:     global_buffer
      - .offset:         88
        .size:           8
        .value_kind:     by_value
      - .offset:         96
        .size:           8
        .value_kind:     by_value
      - .offset:         104
        .size:           4
        .value_kind:     by_value
    .group_segment_fixed_size: 4096
    .kernarg_segment_align: 8
    .kernarg_segment_size: 108
    .language:       OpenCL C
    .language_version:
      - 2
      - 0
    .max_flat_workgroup_size: 256
    .name:           _ZL34rocblas_syrkx_herkx_general_kernelIldLi16ELi32ELi8ELb1ELb0ELc67ELc76EKPKdKPdEviT_T0_PT8_S5_lS8_S5_lS6_PT9_S5_li
    .private_segment_fixed_size: 0
    .sgpr_count:     28
    .sgpr_spill_count: 0
    .symbol:         _ZL34rocblas_syrkx_herkx_general_kernelIldLi16ELi32ELi8ELb1ELb0ELc67ELc76EKPKdKPdEviT_T0_PT8_S5_lS8_S5_lS6_PT9_S5_li.kd
    .uniform_work_group_size: 1
    .uses_dynamic_stack: false
    .vgpr_count:     40
    .vgpr_spill_count: 0
    .wavefront_size: 64
  - .args:
      - .offset:         0
        .size:           4
        .value_kind:     by_value
      - .offset:         8
        .size:           8
        .value_kind:     by_value
      - .offset:         16
        .size:           8
        .value_kind:     by_value
      - .address_space:  global
        .offset:         24
        .size:           8
        .value_kind:     global_buffer
      - .offset:         32
        .size:           8
        .value_kind:     by_value
      - .offset:         40
        .size:           8
        .value_kind:     by_value
      - .address_space:  global
        .offset:         48
        .size:           8
        .value_kind:     global_buffer
      - .offset:         56
        .size:           8
        .value_kind:     by_value
      - .offset:         64
        .size:           8
        .value_kind:     by_value
      - .offset:         72
        .size:           8
        .value_kind:     by_value
      - .address_space:  global
        .offset:         80
        .size:           8
        .value_kind:     global_buffer
      - .offset:         88
        .size:           8
        .value_kind:     by_value
      - .offset:         96
        .size:           8
        .value_kind:     by_value
      - .offset:         104
        .size:           4
        .value_kind:     by_value
    .group_segment_fixed_size: 4096
    .kernarg_segment_align: 8
    .kernarg_segment_size: 108
    .language:       OpenCL C
    .language_version:
      - 2
      - 0
    .max_flat_workgroup_size: 256
    .name:           _ZL34rocblas_syrkx_herkx_general_kernelIldLi16ELi32ELi8ELb1ELb0ELc78ELc76EKPKdKPdEviT_T0_PT8_S5_lS8_S5_lS6_PT9_S5_li
    .private_segment_fixed_size: 0
    .sgpr_count:     29
    .sgpr_spill_count: 0
    .symbol:         _ZL34rocblas_syrkx_herkx_general_kernelIldLi16ELi32ELi8ELb1ELb0ELc78ELc76EKPKdKPdEviT_T0_PT8_S5_lS8_S5_lS6_PT9_S5_li.kd
    .uniform_work_group_size: 1
    .uses_dynamic_stack: false
    .vgpr_count:     42
    .vgpr_spill_count: 0
    .wavefront_size: 64
  - .args:
      - .offset:         0
        .size:           4
        .value_kind:     by_value
      - .offset:         8
        .size:           8
        .value_kind:     by_value
      - .offset:         16
        .size:           8
        .value_kind:     by_value
      - .address_space:  global
        .offset:         24
        .size:           8
        .value_kind:     global_buffer
      - .offset:         32
        .size:           8
        .value_kind:     by_value
      - .offset:         40
        .size:           8
        .value_kind:     by_value
      - .address_space:  global
        .offset:         48
        .size:           8
        .value_kind:     global_buffer
      - .offset:         56
        .size:           8
        .value_kind:     by_value
      - .offset:         64
        .size:           8
        .value_kind:     by_value
      - .offset:         72
        .size:           8
        .value_kind:     by_value
      - .address_space:  global
        .offset:         80
        .size:           8
        .value_kind:     global_buffer
      - .offset:         88
        .size:           8
        .value_kind:     by_value
      - .offset:         96
        .size:           8
        .value_kind:     by_value
      - .offset:         104
        .size:           4
        .value_kind:     by_value
    .group_segment_fixed_size: 4096
    .kernarg_segment_align: 8
    .kernarg_segment_size: 108
    .language:       OpenCL C
    .language_version:
      - 2
      - 0
    .max_flat_workgroup_size: 256
    .name:           _ZL34rocblas_syrkx_herkx_general_kernelIldLi16ELi32ELi8ELb1ELb0ELc84ELc85EKPKdKPdEviT_T0_PT8_S5_lS8_S5_lS6_PT9_S5_li
    .private_segment_fixed_size: 0
    .sgpr_count:     28
    .sgpr_spill_count: 0
    .symbol:         _ZL34rocblas_syrkx_herkx_general_kernelIldLi16ELi32ELi8ELb1ELb0ELc84ELc85EKPKdKPdEviT_T0_PT8_S5_lS8_S5_lS6_PT9_S5_li.kd
    .uniform_work_group_size: 1
    .uses_dynamic_stack: false
    .vgpr_count:     40
    .vgpr_spill_count: 0
    .wavefront_size: 64
  - .args:
      - .offset:         0
        .size:           4
        .value_kind:     by_value
      - .offset:         8
        .size:           8
        .value_kind:     by_value
      - .offset:         16
        .size:           8
        .value_kind:     by_value
      - .address_space:  global
        .offset:         24
        .size:           8
        .value_kind:     global_buffer
      - .offset:         32
        .size:           8
        .value_kind:     by_value
      - .offset:         40
        .size:           8
        .value_kind:     by_value
      - .address_space:  global
        .offset:         48
        .size:           8
        .value_kind:     global_buffer
      - .offset:         56
        .size:           8
        .value_kind:     by_value
      - .offset:         64
        .size:           8
        .value_kind:     by_value
      - .offset:         72
        .size:           8
        .value_kind:     by_value
      - .address_space:  global
        .offset:         80
        .size:           8
        .value_kind:     global_buffer
      - .offset:         88
        .size:           8
        .value_kind:     by_value
      - .offset:         96
        .size:           8
        .value_kind:     by_value
      - .offset:         104
        .size:           4
        .value_kind:     by_value
    .group_segment_fixed_size: 4096
    .kernarg_segment_align: 8
    .kernarg_segment_size: 108
    .language:       OpenCL C
    .language_version:
      - 2
      - 0
    .max_flat_workgroup_size: 256
    .name:           _ZL34rocblas_syrkx_herkx_general_kernelIldLi16ELi32ELi8ELb1ELb0ELc67ELc85EKPKdKPdEviT_T0_PT8_S5_lS8_S5_lS6_PT9_S5_li
    .private_segment_fixed_size: 0
    .sgpr_count:     28
    .sgpr_spill_count: 0
    .symbol:         _ZL34rocblas_syrkx_herkx_general_kernelIldLi16ELi32ELi8ELb1ELb0ELc67ELc85EKPKdKPdEviT_T0_PT8_S5_lS8_S5_lS6_PT9_S5_li.kd
    .uniform_work_group_size: 1
    .uses_dynamic_stack: false
    .vgpr_count:     40
    .vgpr_spill_count: 0
    .wavefront_size: 64
  - .args:
      - .offset:         0
        .size:           4
        .value_kind:     by_value
      - .offset:         8
        .size:           8
        .value_kind:     by_value
      - .offset:         16
        .size:           8
        .value_kind:     by_value
      - .address_space:  global
        .offset:         24
        .size:           8
        .value_kind:     global_buffer
      - .offset:         32
        .size:           8
        .value_kind:     by_value
      - .offset:         40
        .size:           8
        .value_kind:     by_value
      - .address_space:  global
        .offset:         48
        .size:           8
        .value_kind:     global_buffer
      - .offset:         56
        .size:           8
        .value_kind:     by_value
      - .offset:         64
        .size:           8
        .value_kind:     by_value
      - .offset:         72
        .size:           8
        .value_kind:     by_value
      - .address_space:  global
        .offset:         80
        .size:           8
        .value_kind:     global_buffer
      - .offset:         88
        .size:           8
        .value_kind:     by_value
      - .offset:         96
        .size:           8
        .value_kind:     by_value
      - .offset:         104
        .size:           4
        .value_kind:     by_value
    .group_segment_fixed_size: 4096
    .kernarg_segment_align: 8
    .kernarg_segment_size: 108
    .language:       OpenCL C
    .language_version:
      - 2
      - 0
    .max_flat_workgroup_size: 256
    .name:           _ZL34rocblas_syrkx_herkx_general_kernelIldLi16ELi32ELi8ELb1ELb0ELc78ELc85EKPKdKPdEviT_T0_PT8_S5_lS8_S5_lS6_PT9_S5_li
    .private_segment_fixed_size: 0
    .sgpr_count:     29
    .sgpr_spill_count: 0
    .symbol:         _ZL34rocblas_syrkx_herkx_general_kernelIldLi16ELi32ELi8ELb1ELb0ELc78ELc85EKPKdKPdEviT_T0_PT8_S5_lS8_S5_lS6_PT9_S5_li.kd
    .uniform_work_group_size: 1
    .uses_dynamic_stack: false
    .vgpr_count:     42
    .vgpr_spill_count: 0
    .wavefront_size: 64
  - .args:
      - .offset:         0
        .size:           4
        .value_kind:     by_value
      - .offset:         8
        .size:           8
        .value_kind:     by_value
      - .offset:         16
        .size:           8
        .value_kind:     by_value
      - .address_space:  global
        .offset:         24
        .size:           8
        .value_kind:     global_buffer
      - .offset:         32
        .size:           8
        .value_kind:     by_value
      - .offset:         40
        .size:           8
        .value_kind:     by_value
      - .address_space:  global
        .offset:         48
        .size:           8
        .value_kind:     global_buffer
      - .offset:         56
        .size:           8
        .value_kind:     by_value
      - .offset:         64
        .size:           8
        .value_kind:     by_value
      - .offset:         72
        .size:           8
        .value_kind:     by_value
      - .address_space:  global
        .offset:         80
        .size:           8
        .value_kind:     global_buffer
      - .offset:         88
        .size:           8
        .value_kind:     by_value
      - .offset:         96
        .size:           8
        .value_kind:     by_value
      - .offset:         104
        .size:           4
        .value_kind:     by_value
    .group_segment_fixed_size: 4096
    .kernarg_segment_align: 8
    .kernarg_segment_size: 108
    .language:       OpenCL C
    .language_version:
      - 2
      - 0
    .max_flat_workgroup_size: 256
    .name:           _ZL34rocblas_syrkx_herkx_general_kernelIldLi16ELi32ELi8ELb0ELb0ELc84ELc76EKPKdKPdEviT_T0_PT8_S5_lS8_S5_lS6_PT9_S5_li
    .private_segment_fixed_size: 0
    .sgpr_count:     29
    .sgpr_spill_count: 0
    .symbol:         _ZL34rocblas_syrkx_herkx_general_kernelIldLi16ELi32ELi8ELb0ELb0ELc84ELc76EKPKdKPdEviT_T0_PT8_S5_lS8_S5_lS6_PT9_S5_li.kd
    .uniform_work_group_size: 1
    .uses_dynamic_stack: false
    .vgpr_count:     40
    .vgpr_spill_count: 0
    .wavefront_size: 64
  - .args:
      - .offset:         0
        .size:           4
        .value_kind:     by_value
      - .offset:         8
        .size:           8
        .value_kind:     by_value
      - .offset:         16
        .size:           8
        .value_kind:     by_value
      - .address_space:  global
        .offset:         24
        .size:           8
        .value_kind:     global_buffer
      - .offset:         32
        .size:           8
        .value_kind:     by_value
      - .offset:         40
        .size:           8
        .value_kind:     by_value
      - .address_space:  global
        .offset:         48
        .size:           8
        .value_kind:     global_buffer
      - .offset:         56
        .size:           8
        .value_kind:     by_value
      - .offset:         64
        .size:           8
        .value_kind:     by_value
      - .offset:         72
        .size:           8
        .value_kind:     by_value
      - .address_space:  global
        .offset:         80
        .size:           8
        .value_kind:     global_buffer
      - .offset:         88
        .size:           8
        .value_kind:     by_value
      - .offset:         96
        .size:           8
        .value_kind:     by_value
      - .offset:         104
        .size:           4
        .value_kind:     by_value
    .group_segment_fixed_size: 4096
    .kernarg_segment_align: 8
    .kernarg_segment_size: 108
    .language:       OpenCL C
    .language_version:
      - 2
      - 0
    .max_flat_workgroup_size: 256
    .name:           _ZL34rocblas_syrkx_herkx_general_kernelIldLi16ELi32ELi8ELb0ELb0ELc67ELc76EKPKdKPdEviT_T0_PT8_S5_lS8_S5_lS6_PT9_S5_li
    .private_segment_fixed_size: 0
    .sgpr_count:     29
    .sgpr_spill_count: 0
    .symbol:         _ZL34rocblas_syrkx_herkx_general_kernelIldLi16ELi32ELi8ELb0ELb0ELc67ELc76EKPKdKPdEviT_T0_PT8_S5_lS8_S5_lS6_PT9_S5_li.kd
    .uniform_work_group_size: 1
    .uses_dynamic_stack: false
    .vgpr_count:     40
    .vgpr_spill_count: 0
    .wavefront_size: 64
  - .args:
      - .offset:         0
        .size:           4
        .value_kind:     by_value
      - .offset:         8
        .size:           8
        .value_kind:     by_value
      - .offset:         16
        .size:           8
        .value_kind:     by_value
      - .address_space:  global
        .offset:         24
        .size:           8
        .value_kind:     global_buffer
      - .offset:         32
        .size:           8
        .value_kind:     by_value
      - .offset:         40
        .size:           8
        .value_kind:     by_value
      - .address_space:  global
        .offset:         48
        .size:           8
        .value_kind:     global_buffer
      - .offset:         56
        .size:           8
        .value_kind:     by_value
      - .offset:         64
        .size:           8
        .value_kind:     by_value
      - .offset:         72
        .size:           8
        .value_kind:     by_value
      - .address_space:  global
        .offset:         80
        .size:           8
        .value_kind:     global_buffer
      - .offset:         88
        .size:           8
        .value_kind:     by_value
      - .offset:         96
        .size:           8
        .value_kind:     by_value
      - .offset:         104
        .size:           4
        .value_kind:     by_value
    .group_segment_fixed_size: 4096
    .kernarg_segment_align: 8
    .kernarg_segment_size: 108
    .language:       OpenCL C
    .language_version:
      - 2
      - 0
    .max_flat_workgroup_size: 256
    .name:           _ZL34rocblas_syrkx_herkx_general_kernelIldLi16ELi32ELi8ELb0ELb0ELc78ELc76EKPKdKPdEviT_T0_PT8_S5_lS8_S5_lS6_PT9_S5_li
    .private_segment_fixed_size: 0
    .sgpr_count:     32
    .sgpr_spill_count: 0
    .symbol:         _ZL34rocblas_syrkx_herkx_general_kernelIldLi16ELi32ELi8ELb0ELb0ELc78ELc76EKPKdKPdEviT_T0_PT8_S5_lS8_S5_lS6_PT9_S5_li.kd
    .uniform_work_group_size: 1
    .uses_dynamic_stack: false
    .vgpr_count:     40
    .vgpr_spill_count: 0
    .wavefront_size: 64
  - .args:
      - .offset:         0
        .size:           4
        .value_kind:     by_value
      - .offset:         8
        .size:           8
        .value_kind:     by_value
      - .offset:         16
        .size:           8
        .value_kind:     by_value
      - .address_space:  global
        .offset:         24
        .size:           8
        .value_kind:     global_buffer
      - .offset:         32
        .size:           8
        .value_kind:     by_value
      - .offset:         40
        .size:           8
        .value_kind:     by_value
      - .address_space:  global
        .offset:         48
        .size:           8
        .value_kind:     global_buffer
      - .offset:         56
        .size:           8
        .value_kind:     by_value
      - .offset:         64
        .size:           8
        .value_kind:     by_value
      - .offset:         72
        .size:           8
        .value_kind:     by_value
      - .address_space:  global
        .offset:         80
        .size:           8
        .value_kind:     global_buffer
      - .offset:         88
        .size:           8
        .value_kind:     by_value
      - .offset:         96
        .size:           8
        .value_kind:     by_value
      - .offset:         104
        .size:           4
        .value_kind:     by_value
    .group_segment_fixed_size: 4096
    .kernarg_segment_align: 8
    .kernarg_segment_size: 108
    .language:       OpenCL C
    .language_version:
      - 2
      - 0
    .max_flat_workgroup_size: 256
    .name:           _ZL34rocblas_syrkx_herkx_general_kernelIldLi16ELi32ELi8ELb0ELb0ELc84ELc85EKPKdKPdEviT_T0_PT8_S5_lS8_S5_lS6_PT9_S5_li
    .private_segment_fixed_size: 0
    .sgpr_count:     29
    .sgpr_spill_count: 0
    .symbol:         _ZL34rocblas_syrkx_herkx_general_kernelIldLi16ELi32ELi8ELb0ELb0ELc84ELc85EKPKdKPdEviT_T0_PT8_S5_lS8_S5_lS6_PT9_S5_li.kd
    .uniform_work_group_size: 1
    .uses_dynamic_stack: false
    .vgpr_count:     40
    .vgpr_spill_count: 0
    .wavefront_size: 64
  - .args:
      - .offset:         0
        .size:           4
        .value_kind:     by_value
      - .offset:         8
        .size:           8
        .value_kind:     by_value
      - .offset:         16
        .size:           8
        .value_kind:     by_value
      - .address_space:  global
        .offset:         24
        .size:           8
        .value_kind:     global_buffer
      - .offset:         32
        .size:           8
        .value_kind:     by_value
      - .offset:         40
        .size:           8
        .value_kind:     by_value
      - .address_space:  global
        .offset:         48
        .size:           8
        .value_kind:     global_buffer
      - .offset:         56
        .size:           8
        .value_kind:     by_value
      - .offset:         64
        .size:           8
        .value_kind:     by_value
      - .offset:         72
        .size:           8
        .value_kind:     by_value
      - .address_space:  global
        .offset:         80
        .size:           8
        .value_kind:     global_buffer
      - .offset:         88
        .size:           8
        .value_kind:     by_value
      - .offset:         96
        .size:           8
        .value_kind:     by_value
      - .offset:         104
        .size:           4
        .value_kind:     by_value
    .group_segment_fixed_size: 4096
    .kernarg_segment_align: 8
    .kernarg_segment_size: 108
    .language:       OpenCL C
    .language_version:
      - 2
      - 0
    .max_flat_workgroup_size: 256
    .name:           _ZL34rocblas_syrkx_herkx_general_kernelIldLi16ELi32ELi8ELb0ELb0ELc67ELc85EKPKdKPdEviT_T0_PT8_S5_lS8_S5_lS6_PT9_S5_li
    .private_segment_fixed_size: 0
    .sgpr_count:     29
    .sgpr_spill_count: 0
    .symbol:         _ZL34rocblas_syrkx_herkx_general_kernelIldLi16ELi32ELi8ELb0ELb0ELc67ELc85EKPKdKPdEviT_T0_PT8_S5_lS8_S5_lS6_PT9_S5_li.kd
    .uniform_work_group_size: 1
    .uses_dynamic_stack: false
    .vgpr_count:     40
    .vgpr_spill_count: 0
    .wavefront_size: 64
  - .args:
      - .offset:         0
        .size:           4
        .value_kind:     by_value
      - .offset:         8
        .size:           8
        .value_kind:     by_value
      - .offset:         16
        .size:           8
        .value_kind:     by_value
      - .address_space:  global
        .offset:         24
        .size:           8
        .value_kind:     global_buffer
      - .offset:         32
        .size:           8
        .value_kind:     by_value
      - .offset:         40
        .size:           8
        .value_kind:     by_value
      - .address_space:  global
        .offset:         48
        .size:           8
        .value_kind:     global_buffer
      - .offset:         56
        .size:           8
        .value_kind:     by_value
      - .offset:         64
        .size:           8
        .value_kind:     by_value
      - .offset:         72
        .size:           8
        .value_kind:     by_value
      - .address_space:  global
        .offset:         80
        .size:           8
        .value_kind:     global_buffer
      - .offset:         88
        .size:           8
        .value_kind:     by_value
      - .offset:         96
        .size:           8
        .value_kind:     by_value
      - .offset:         104
        .size:           4
        .value_kind:     by_value
    .group_segment_fixed_size: 4096
    .kernarg_segment_align: 8
    .kernarg_segment_size: 108
    .language:       OpenCL C
    .language_version:
      - 2
      - 0
    .max_flat_workgroup_size: 256
    .name:           _ZL34rocblas_syrkx_herkx_general_kernelIldLi16ELi32ELi8ELb0ELb0ELc78ELc85EKPKdKPdEviT_T0_PT8_S5_lS8_S5_lS6_PT9_S5_li
    .private_segment_fixed_size: 0
    .sgpr_count:     32
    .sgpr_spill_count: 0
    .symbol:         _ZL34rocblas_syrkx_herkx_general_kernelIldLi16ELi32ELi8ELb0ELb0ELc78ELc85EKPKdKPdEviT_T0_PT8_S5_lS8_S5_lS6_PT9_S5_li.kd
    .uniform_work_group_size: 1
    .uses_dynamic_stack: false
    .vgpr_count:     40
    .vgpr_spill_count: 0
    .wavefront_size: 64
  - .args:
      - .offset:         0
        .size:           1
        .value_kind:     by_value
      - .offset:         4
        .size:           4
        .value_kind:     by_value
      - .offset:         8
        .size:           8
        .value_kind:     by_value
      - .offset:         16
        .size:           8
        .value_kind:     by_value
      - .offset:         24
        .size:           8
        .value_kind:     by_value
      - .address_space:  global
        .offset:         32
        .size:           8
        .value_kind:     global_buffer
      - .offset:         40
        .size:           8
        .value_kind:     by_value
      - .offset:         48
        .size:           8
        .value_kind:     by_value
      - .offset:         56
        .size:           4
        .value_kind:     by_value
      - .offset:         64
        .size:           4
        .value_kind:     hidden_block_count_x
      - .offset:         68
        .size:           4
        .value_kind:     hidden_block_count_y
      - .offset:         72
        .size:           4
        .value_kind:     hidden_block_count_z
      - .offset:         76
        .size:           2
        .value_kind:     hidden_group_size_x
      - .offset:         78
        .size:           2
        .value_kind:     hidden_group_size_y
      - .offset:         80
        .size:           2
        .value_kind:     hidden_group_size_z
      - .offset:         82
        .size:           2
        .value_kind:     hidden_remainder_x
      - .offset:         84
        .size:           2
        .value_kind:     hidden_remainder_y
      - .offset:         86
        .size:           2
        .value_kind:     hidden_remainder_z
      - .offset:         104
        .size:           8
        .value_kind:     hidden_global_offset_x
      - .offset:         112
        .size:           8
        .value_kind:     hidden_global_offset_y
      - .offset:         120
        .size:           8
        .value_kind:     hidden_global_offset_z
      - .offset:         128
        .size:           2
        .value_kind:     hidden_grid_dims
    .group_segment_fixed_size: 0
    .kernarg_segment_align: 8
    .kernarg_segment_size: 320
    .language:       OpenCL C
    .language_version:
      - 2
      - 0
    .max_flat_workgroup_size: 1024
    .name:           _ZL26rocblas_syr2k_scale_kernelIlLi128ELi8ELb0EddPKPdEvbiT_T3_T4_T5_S3_li
    .private_segment_fixed_size: 0
    .sgpr_count:     24
    .sgpr_spill_count: 0
    .symbol:         _ZL26rocblas_syr2k_scale_kernelIlLi128ELi8ELb0EddPKPdEvbiT_T3_T4_T5_S3_li.kd
    .uniform_work_group_size: 1
    .uses_dynamic_stack: false
    .vgpr_count:     5
    .vgpr_spill_count: 0
    .wavefront_size: 64
  - .args:
      - .offset:         0
        .size:           1
        .value_kind:     by_value
      - .offset:         4
        .size:           4
        .value_kind:     by_value
      - .offset:         8
        .size:           8
        .value_kind:     by_value
      - .address_space:  global
        .offset:         16
        .size:           8
        .value_kind:     global_buffer
      - .address_space:  global
        .offset:         24
        .size:           8
        .value_kind:     global_buffer
      - .offset:         32
        .size:           8
        .value_kind:     by_value
      - .offset:         40
        .size:           8
        .value_kind:     by_value
      - .address_space:  global
        .offset:         48
        .size:           8
        .value_kind:     global_buffer
      - .offset:         56
        .size:           8
        .value_kind:     by_value
      - .offset:         64
        .size:           8
        .value_kind:     by_value
      - .address_space:  global
        .offset:         72
        .size:           8
        .value_kind:     global_buffer
      - .offset:         80
        .size:           8
        .value_kind:     by_value
      - .offset:         88
        .size:           8
        .value_kind:     by_value
      - .offset:         96
        .size:           4
        .value_kind:     by_value
    .group_segment_fixed_size: 16384
    .kernarg_segment_align: 8
    .kernarg_segment_size: 100
    .language:       OpenCL C
    .language_version:
      - 2
      - 0
    .max_flat_workgroup_size: 1024
    .name:           _ZL26rocblas_syr2k_her2k_kernelIlLb0ELb0ELb0ELi32EPKdPKS1_PKPdEvbiT_T4_T5_S7_lS9_S7_lT6_S7_li
    .private_segment_fixed_size: 0
    .sgpr_count:     40
    .sgpr_spill_count: 0
    .symbol:         _ZL26rocblas_syr2k_her2k_kernelIlLb0ELb0ELb0ELi32EPKdPKS1_PKPdEvbiT_T4_T5_S7_lS9_S7_lT6_S7_li.kd
    .uniform_work_group_size: 1
    .uses_dynamic_stack: false
    .vgpr_count:     27
    .vgpr_spill_count: 0
    .wavefront_size: 64
  - .args:
      - .offset:         0
        .size:           1
        .value_kind:     by_value
      - .offset:         4
        .size:           4
        .value_kind:     by_value
      - .offset:         8
        .size:           8
        .value_kind:     by_value
      - .address_space:  global
        .offset:         16
        .size:           8
        .value_kind:     global_buffer
      - .address_space:  global
        .offset:         24
        .size:           8
        .value_kind:     global_buffer
      - .offset:         32
        .size:           8
        .value_kind:     by_value
      - .offset:         40
        .size:           8
        .value_kind:     by_value
      - .address_space:  global
        .offset:         48
        .size:           8
        .value_kind:     global_buffer
      - .offset:         56
        .size:           8
        .value_kind:     by_value
      - .offset:         64
        .size:           8
        .value_kind:     by_value
      - .address_space:  global
        .offset:         72
        .size:           8
        .value_kind:     global_buffer
      - .offset:         80
        .size:           8
        .value_kind:     by_value
      - .offset:         88
        .size:           8
        .value_kind:     by_value
      - .offset:         96
        .size:           4
        .value_kind:     by_value
    .group_segment_fixed_size: 16384
    .kernarg_segment_align: 8
    .kernarg_segment_size: 100
    .language:       OpenCL C
    .language_version:
      - 2
      - 0
    .max_flat_workgroup_size: 1024
    .name:           _ZL26rocblas_syr2k_her2k_kernelIlLb0ELb0ELb1ELi32EPKdPKS1_PKPdEvbiT_T4_T5_S7_lS9_S7_lT6_S7_li
    .private_segment_fixed_size: 0
    .sgpr_count:     40
    .sgpr_spill_count: 0
    .symbol:         _ZL26rocblas_syr2k_her2k_kernelIlLb0ELb0ELb1ELi32EPKdPKS1_PKPdEvbiT_T4_T5_S7_lS9_S7_lT6_S7_li.kd
    .uniform_work_group_size: 1
    .uses_dynamic_stack: false
    .vgpr_count:     27
    .vgpr_spill_count: 0
    .wavefront_size: 64
  - .args:
      - .offset:         0
        .size:           1
        .value_kind:     by_value
      - .offset:         4
        .size:           4
        .value_kind:     by_value
      - .offset:         8
        .size:           8
        .value_kind:     by_value
      - .offset:         16
        .size:           8
        .value_kind:     by_value
      - .address_space:  global
        .offset:         24
        .size:           8
        .value_kind:     global_buffer
      - .offset:         32
        .size:           8
        .value_kind:     by_value
      - .offset:         40
        .size:           8
        .value_kind:     by_value
      - .address_space:  global
        .offset:         48
        .size:           8
        .value_kind:     global_buffer
      - .offset:         56
        .size:           8
        .value_kind:     by_value
      - .offset:         64
        .size:           8
        .value_kind:     by_value
      - .address_space:  global
        .offset:         72
        .size:           8
        .value_kind:     global_buffer
      - .offset:         80
        .size:           8
        .value_kind:     by_value
      - .offset:         88
        .size:           8
        .value_kind:     by_value
      - .offset:         96
        .size:           4
        .value_kind:     by_value
    .group_segment_fixed_size: 16384
    .kernarg_segment_align: 8
    .kernarg_segment_size: 100
    .language:       OpenCL C
    .language_version:
      - 2
      - 0
    .max_flat_workgroup_size: 1024
    .name:           _ZL26rocblas_syr2k_her2k_kernelIlLb0ELb0ELb0ELi32E19rocblas_complex_numIfEPKPKS1_PKPS1_EvbiT_T4_T5_S9_lSB_S9_lT6_S9_li
    .private_segment_fixed_size: 0
    .sgpr_count:     36
    .sgpr_spill_count: 0
    .symbol:         _ZL26rocblas_syr2k_her2k_kernelIlLb0ELb0ELb0ELi32E19rocblas_complex_numIfEPKPKS1_PKPS1_EvbiT_T4_T5_S9_lSB_S9_lT6_S9_li.kd
    .uniform_work_group_size: 1
    .uses_dynamic_stack: false
    .vgpr_count:     32
    .vgpr_spill_count: 0
    .wavefront_size: 64
  - .args:
      - .offset:         0
        .size:           1
        .value_kind:     by_value
      - .offset:         4
        .size:           4
        .value_kind:     by_value
      - .offset:         8
        .size:           8
        .value_kind:     by_value
      - .offset:         16
        .size:           8
        .value_kind:     by_value
      - .address_space:  global
        .offset:         24
        .size:           8
        .value_kind:     global_buffer
      - .offset:         32
        .size:           8
        .value_kind:     by_value
      - .offset:         40
        .size:           8
        .value_kind:     by_value
      - .address_space:  global
        .offset:         48
        .size:           8
        .value_kind:     global_buffer
      - .offset:         56
        .size:           8
        .value_kind:     by_value
      - .offset:         64
        .size:           8
        .value_kind:     by_value
      - .address_space:  global
        .offset:         72
        .size:           8
        .value_kind:     global_buffer
      - .offset:         80
        .size:           8
        .value_kind:     by_value
      - .offset:         88
        .size:           8
        .value_kind:     by_value
      - .offset:         96
        .size:           4
        .value_kind:     by_value
    .group_segment_fixed_size: 16384
    .kernarg_segment_align: 8
    .kernarg_segment_size: 100
    .language:       OpenCL C
    .language_version:
      - 2
      - 0
    .max_flat_workgroup_size: 1024
    .name:           _ZL26rocblas_syr2k_her2k_kernelIlLb0ELb0ELb1ELi32E19rocblas_complex_numIfEPKPKS1_PKPS1_EvbiT_T4_T5_S9_lSB_S9_lT6_S9_li
    .private_segment_fixed_size: 0
    .sgpr_count:     36
    .sgpr_spill_count: 0
    .symbol:         _ZL26rocblas_syr2k_her2k_kernelIlLb0ELb0ELb1ELi32E19rocblas_complex_numIfEPKPKS1_PKPS1_EvbiT_T4_T5_S9_lSB_S9_lT6_S9_li.kd
    .uniform_work_group_size: 1
    .uses_dynamic_stack: false
    .vgpr_count:     36
    .vgpr_spill_count: 0
    .wavefront_size: 64
  - .args:
      - .offset:         0
        .size:           4
        .value_kind:     by_value
      - .offset:         8
        .size:           8
        .value_kind:     by_value
      - .address_space:  global
        .offset:         16
        .size:           8
        .value_kind:     global_buffer
      - .offset:         24
        .size:           8
        .value_kind:     by_value
      - .offset:         32
        .size:           8
        .value_kind:     by_value
      - .address_space:  global
        .offset:         40
        .size:           8
        .value_kind:     global_buffer
      - .offset:         48
        .size:           8
        .value_kind:     by_value
      - .offset:         56
        .size:           8
        .value_kind:     by_value
      - .address_space:  global
        .offset:         64
        .size:           8
        .value_kind:     global_buffer
      - .offset:         72
        .size:           8
        .value_kind:     by_value
      - .offset:         80
        .size:           8
        .value_kind:     by_value
      - .offset:         88
        .size:           4
        .value_kind:     by_value
    .group_segment_fixed_size: 4096
    .kernarg_segment_align: 8
    .kernarg_segment_size: 92
    .language:       OpenCL C
    .language_version:
      - 2
      - 0
    .max_flat_workgroup_size: 256
    .name:           _ZL37rocblas_syrkx_herkx_restricted_kernelIl19rocblas_complex_numIfELi16ELi32ELi8ELi1ELi1ELb0ELc84ELc76EKPKS1_KPS1_EviT_PT9_S7_lS9_S7_lPT10_S7_li
    .private_segment_fixed_size: 0
    .sgpr_count:     24
    .sgpr_spill_count: 0
    .symbol:         _ZL37rocblas_syrkx_herkx_restricted_kernelIl19rocblas_complex_numIfELi16ELi32ELi8ELi1ELi1ELb0ELc84ELc76EKPKS1_KPS1_EviT_PT9_S7_lS9_S7_lPT10_S7_li.kd
    .uniform_work_group_size: 1
    .uses_dynamic_stack: false
    .vgpr_count:     41
    .vgpr_spill_count: 0
    .wavefront_size: 64
  - .args:
      - .offset:         0
        .size:           4
        .value_kind:     by_value
      - .offset:         8
        .size:           8
        .value_kind:     by_value
      - .address_space:  global
        .offset:         16
        .size:           8
        .value_kind:     global_buffer
      - .offset:         24
        .size:           8
        .value_kind:     by_value
      - .offset:         32
        .size:           8
        .value_kind:     by_value
      - .address_space:  global
        .offset:         40
        .size:           8
        .value_kind:     global_buffer
      - .offset:         48
        .size:           8
        .value_kind:     by_value
      - .offset:         56
        .size:           8
        .value_kind:     by_value
      - .address_space:  global
        .offset:         64
        .size:           8
        .value_kind:     global_buffer
      - .offset:         72
        .size:           8
        .value_kind:     by_value
      - .offset:         80
        .size:           8
        .value_kind:     by_value
      - .offset:         88
        .size:           4
        .value_kind:     by_value
    .group_segment_fixed_size: 4096
    .kernarg_segment_align: 8
    .kernarg_segment_size: 92
    .language:       OpenCL C
    .language_version:
      - 2
      - 0
    .max_flat_workgroup_size: 256
    .name:           _ZL37rocblas_syrkx_herkx_restricted_kernelIl19rocblas_complex_numIfELi16ELi32ELi8ELi1ELi1ELb0ELc67ELc76EKPKS1_KPS1_EviT_PT9_S7_lS9_S7_lPT10_S7_li
    .private_segment_fixed_size: 0
    .sgpr_count:     24
    .sgpr_spill_count: 0
    .symbol:         _ZL37rocblas_syrkx_herkx_restricted_kernelIl19rocblas_complex_numIfELi16ELi32ELi8ELi1ELi1ELb0ELc67ELc76EKPKS1_KPS1_EviT_PT9_S7_lS9_S7_lPT10_S7_li.kd
    .uniform_work_group_size: 1
    .uses_dynamic_stack: false
    .vgpr_count:     41
    .vgpr_spill_count: 0
    .wavefront_size: 64
  - .args:
      - .offset:         0
        .size:           4
        .value_kind:     by_value
      - .offset:         8
        .size:           8
        .value_kind:     by_value
      - .address_space:  global
        .offset:         16
        .size:           8
        .value_kind:     global_buffer
      - .offset:         24
        .size:           8
        .value_kind:     by_value
      - .offset:         32
        .size:           8
        .value_kind:     by_value
      - .address_space:  global
        .offset:         40
        .size:           8
        .value_kind:     global_buffer
      - .offset:         48
        .size:           8
        .value_kind:     by_value
      - .offset:         56
        .size:           8
        .value_kind:     by_value
      - .address_space:  global
        .offset:         64
        .size:           8
        .value_kind:     global_buffer
      - .offset:         72
        .size:           8
        .value_kind:     by_value
      - .offset:         80
        .size:           8
        .value_kind:     by_value
      - .offset:         88
        .size:           4
        .value_kind:     by_value
    .group_segment_fixed_size: 4096
    .kernarg_segment_align: 8
    .kernarg_segment_size: 92
    .language:       OpenCL C
    .language_version:
      - 2
      - 0
    .max_flat_workgroup_size: 256
    .name:           _ZL37rocblas_syrkx_herkx_restricted_kernelIl19rocblas_complex_numIfELi16ELi32ELi8ELi1ELi1ELb0ELc78ELc76EKPKS1_KPS1_EviT_PT9_S7_lS9_S7_lPT10_S7_li
    .private_segment_fixed_size: 0
    .sgpr_count:     26
    .sgpr_spill_count: 0
    .symbol:         _ZL37rocblas_syrkx_herkx_restricted_kernelIl19rocblas_complex_numIfELi16ELi32ELi8ELi1ELi1ELb0ELc78ELc76EKPKS1_KPS1_EviT_PT9_S7_lS9_S7_lPT10_S7_li.kd
    .uniform_work_group_size: 1
    .uses_dynamic_stack: false
    .vgpr_count:     43
    .vgpr_spill_count: 0
    .wavefront_size: 64
  - .args:
      - .offset:         0
        .size:           4
        .value_kind:     by_value
      - .offset:         8
        .size:           8
        .value_kind:     by_value
      - .address_space:  global
        .offset:         16
        .size:           8
        .value_kind:     global_buffer
      - .offset:         24
        .size:           8
        .value_kind:     by_value
      - .offset:         32
        .size:           8
        .value_kind:     by_value
      - .address_space:  global
        .offset:         40
        .size:           8
        .value_kind:     global_buffer
      - .offset:         48
        .size:           8
        .value_kind:     by_value
      - .offset:         56
        .size:           8
        .value_kind:     by_value
      - .address_space:  global
        .offset:         64
        .size:           8
        .value_kind:     global_buffer
      - .offset:         72
        .size:           8
        .value_kind:     by_value
      - .offset:         80
        .size:           8
        .value_kind:     by_value
      - .offset:         88
        .size:           4
        .value_kind:     by_value
    .group_segment_fixed_size: 4096
    .kernarg_segment_align: 8
    .kernarg_segment_size: 92
    .language:       OpenCL C
    .language_version:
      - 2
      - 0
    .max_flat_workgroup_size: 256
    .name:           _ZL37rocblas_syrkx_herkx_restricted_kernelIl19rocblas_complex_numIfELi16ELi32ELi8ELi1ELi1ELb0ELc84ELc85EKPKS1_KPS1_EviT_PT9_S7_lS9_S7_lPT10_S7_li
    .private_segment_fixed_size: 0
    .sgpr_count:     24
    .sgpr_spill_count: 0
    .symbol:         _ZL37rocblas_syrkx_herkx_restricted_kernelIl19rocblas_complex_numIfELi16ELi32ELi8ELi1ELi1ELb0ELc84ELc85EKPKS1_KPS1_EviT_PT9_S7_lS9_S7_lPT10_S7_li.kd
    .uniform_work_group_size: 1
    .uses_dynamic_stack: false
    .vgpr_count:     41
    .vgpr_spill_count: 0
    .wavefront_size: 64
  - .args:
      - .offset:         0
        .size:           4
        .value_kind:     by_value
      - .offset:         8
        .size:           8
        .value_kind:     by_value
      - .address_space:  global
        .offset:         16
        .size:           8
        .value_kind:     global_buffer
      - .offset:         24
        .size:           8
        .value_kind:     by_value
      - .offset:         32
        .size:           8
        .value_kind:     by_value
      - .address_space:  global
        .offset:         40
        .size:           8
        .value_kind:     global_buffer
      - .offset:         48
        .size:           8
        .value_kind:     by_value
      - .offset:         56
        .size:           8
        .value_kind:     by_value
      - .address_space:  global
        .offset:         64
        .size:           8
        .value_kind:     global_buffer
      - .offset:         72
        .size:           8
        .value_kind:     by_value
      - .offset:         80
        .size:           8
        .value_kind:     by_value
      - .offset:         88
        .size:           4
        .value_kind:     by_value
    .group_segment_fixed_size: 4096
    .kernarg_segment_align: 8
    .kernarg_segment_size: 92
    .language:       OpenCL C
    .language_version:
      - 2
      - 0
    .max_flat_workgroup_size: 256
    .name:           _ZL37rocblas_syrkx_herkx_restricted_kernelIl19rocblas_complex_numIfELi16ELi32ELi8ELi1ELi1ELb0ELc67ELc85EKPKS1_KPS1_EviT_PT9_S7_lS9_S7_lPT10_S7_li
    .private_segment_fixed_size: 0
    .sgpr_count:     24
    .sgpr_spill_count: 0
    .symbol:         _ZL37rocblas_syrkx_herkx_restricted_kernelIl19rocblas_complex_numIfELi16ELi32ELi8ELi1ELi1ELb0ELc67ELc85EKPKS1_KPS1_EviT_PT9_S7_lS9_S7_lPT10_S7_li.kd
    .uniform_work_group_size: 1
    .uses_dynamic_stack: false
    .vgpr_count:     41
    .vgpr_spill_count: 0
    .wavefront_size: 64
  - .args:
      - .offset:         0
        .size:           4
        .value_kind:     by_value
      - .offset:         8
        .size:           8
        .value_kind:     by_value
      - .address_space:  global
        .offset:         16
        .size:           8
        .value_kind:     global_buffer
      - .offset:         24
        .size:           8
        .value_kind:     by_value
      - .offset:         32
        .size:           8
        .value_kind:     by_value
      - .address_space:  global
        .offset:         40
        .size:           8
        .value_kind:     global_buffer
      - .offset:         48
        .size:           8
        .value_kind:     by_value
      - .offset:         56
        .size:           8
        .value_kind:     by_value
      - .address_space:  global
        .offset:         64
        .size:           8
        .value_kind:     global_buffer
      - .offset:         72
        .size:           8
        .value_kind:     by_value
      - .offset:         80
        .size:           8
        .value_kind:     by_value
      - .offset:         88
        .size:           4
        .value_kind:     by_value
    .group_segment_fixed_size: 4096
    .kernarg_segment_align: 8
    .kernarg_segment_size: 92
    .language:       OpenCL C
    .language_version:
      - 2
      - 0
    .max_flat_workgroup_size: 256
    .name:           _ZL37rocblas_syrkx_herkx_restricted_kernelIl19rocblas_complex_numIfELi16ELi32ELi8ELi1ELi1ELb0ELc78ELc85EKPKS1_KPS1_EviT_PT9_S7_lS9_S7_lPT10_S7_li
    .private_segment_fixed_size: 0
    .sgpr_count:     26
    .sgpr_spill_count: 0
    .symbol:         _ZL37rocblas_syrkx_herkx_restricted_kernelIl19rocblas_complex_numIfELi16ELi32ELi8ELi1ELi1ELb0ELc78ELc85EKPKS1_KPS1_EviT_PT9_S7_lS9_S7_lPT10_S7_li.kd
    .uniform_work_group_size: 1
    .uses_dynamic_stack: false
    .vgpr_count:     43
    .vgpr_spill_count: 0
    .wavefront_size: 64
  - .args:
      - .offset:         0
        .size:           4
        .value_kind:     by_value
      - .offset:         8
        .size:           8
        .value_kind:     by_value
      - .address_space:  global
        .offset:         16
        .size:           8
        .value_kind:     global_buffer
      - .offset:         24
        .size:           8
        .value_kind:     by_value
      - .offset:         32
        .size:           8
        .value_kind:     by_value
      - .address_space:  global
        .offset:         40
        .size:           8
        .value_kind:     global_buffer
      - .offset:         48
        .size:           8
        .value_kind:     by_value
      - .offset:         56
        .size:           8
        .value_kind:     by_value
      - .address_space:  global
        .offset:         64
        .size:           8
        .value_kind:     global_buffer
      - .offset:         72
        .size:           8
        .value_kind:     by_value
      - .offset:         80
        .size:           8
        .value_kind:     by_value
      - .offset:         88
        .size:           4
        .value_kind:     by_value
    .group_segment_fixed_size: 4096
    .kernarg_segment_align: 8
    .kernarg_segment_size: 92
    .language:       OpenCL C
    .language_version:
      - 2
      - 0
    .max_flat_workgroup_size: 256
    .name:           _ZL37rocblas_syrkx_herkx_restricted_kernelIl19rocblas_complex_numIfELi16ELi32ELi8ELi1ELin1ELb0ELc84ELc76EKPKS1_KPS1_EviT_PT9_S7_lS9_S7_lPT10_S7_li
    .private_segment_fixed_size: 0
    .sgpr_count:     24
    .sgpr_spill_count: 0
    .symbol:         _ZL37rocblas_syrkx_herkx_restricted_kernelIl19rocblas_complex_numIfELi16ELi32ELi8ELi1ELin1ELb0ELc84ELc76EKPKS1_KPS1_EviT_PT9_S7_lS9_S7_lPT10_S7_li.kd
    .uniform_work_group_size: 1
    .uses_dynamic_stack: false
    .vgpr_count:     41
    .vgpr_spill_count: 0
    .wavefront_size: 64
  - .args:
      - .offset:         0
        .size:           4
        .value_kind:     by_value
      - .offset:         8
        .size:           8
        .value_kind:     by_value
      - .address_space:  global
        .offset:         16
        .size:           8
        .value_kind:     global_buffer
      - .offset:         24
        .size:           8
        .value_kind:     by_value
      - .offset:         32
        .size:           8
        .value_kind:     by_value
      - .address_space:  global
        .offset:         40
        .size:           8
        .value_kind:     global_buffer
      - .offset:         48
        .size:           8
        .value_kind:     by_value
      - .offset:         56
        .size:           8
        .value_kind:     by_value
      - .address_space:  global
        .offset:         64
        .size:           8
        .value_kind:     global_buffer
      - .offset:         72
        .size:           8
        .value_kind:     by_value
      - .offset:         80
        .size:           8
        .value_kind:     by_value
      - .offset:         88
        .size:           4
        .value_kind:     by_value
    .group_segment_fixed_size: 4096
    .kernarg_segment_align: 8
    .kernarg_segment_size: 92
    .language:       OpenCL C
    .language_version:
      - 2
      - 0
    .max_flat_workgroup_size: 256
    .name:           _ZL37rocblas_syrkx_herkx_restricted_kernelIl19rocblas_complex_numIfELi16ELi32ELi8ELi1ELin1ELb0ELc67ELc76EKPKS1_KPS1_EviT_PT9_S7_lS9_S7_lPT10_S7_li
    .private_segment_fixed_size: 0
    .sgpr_count:     24
    .sgpr_spill_count: 0
    .symbol:         _ZL37rocblas_syrkx_herkx_restricted_kernelIl19rocblas_complex_numIfELi16ELi32ELi8ELi1ELin1ELb0ELc67ELc76EKPKS1_KPS1_EviT_PT9_S7_lS9_S7_lPT10_S7_li.kd
    .uniform_work_group_size: 1
    .uses_dynamic_stack: false
    .vgpr_count:     41
    .vgpr_spill_count: 0
    .wavefront_size: 64
  - .args:
      - .offset:         0
        .size:           4
        .value_kind:     by_value
      - .offset:         8
        .size:           8
        .value_kind:     by_value
      - .address_space:  global
        .offset:         16
        .size:           8
        .value_kind:     global_buffer
      - .offset:         24
        .size:           8
        .value_kind:     by_value
      - .offset:         32
        .size:           8
        .value_kind:     by_value
      - .address_space:  global
        .offset:         40
        .size:           8
        .value_kind:     global_buffer
      - .offset:         48
        .size:           8
        .value_kind:     by_value
      - .offset:         56
        .size:           8
        .value_kind:     by_value
      - .address_space:  global
        .offset:         64
        .size:           8
        .value_kind:     global_buffer
      - .offset:         72
        .size:           8
        .value_kind:     by_value
      - .offset:         80
        .size:           8
        .value_kind:     by_value
      - .offset:         88
        .size:           4
        .value_kind:     by_value
    .group_segment_fixed_size: 4096
    .kernarg_segment_align: 8
    .kernarg_segment_size: 92
    .language:       OpenCL C
    .language_version:
      - 2
      - 0
    .max_flat_workgroup_size: 256
    .name:           _ZL37rocblas_syrkx_herkx_restricted_kernelIl19rocblas_complex_numIfELi16ELi32ELi8ELi1ELin1ELb0ELc78ELc76EKPKS1_KPS1_EviT_PT9_S7_lS9_S7_lPT10_S7_li
    .private_segment_fixed_size: 0
    .sgpr_count:     26
    .sgpr_spill_count: 0
    .symbol:         _ZL37rocblas_syrkx_herkx_restricted_kernelIl19rocblas_complex_numIfELi16ELi32ELi8ELi1ELin1ELb0ELc78ELc76EKPKS1_KPS1_EviT_PT9_S7_lS9_S7_lPT10_S7_li.kd
    .uniform_work_group_size: 1
    .uses_dynamic_stack: false
    .vgpr_count:     43
    .vgpr_spill_count: 0
    .wavefront_size: 64
  - .args:
      - .offset:         0
        .size:           4
        .value_kind:     by_value
      - .offset:         8
        .size:           8
        .value_kind:     by_value
      - .address_space:  global
        .offset:         16
        .size:           8
        .value_kind:     global_buffer
      - .offset:         24
        .size:           8
        .value_kind:     by_value
      - .offset:         32
        .size:           8
        .value_kind:     by_value
      - .address_space:  global
        .offset:         40
        .size:           8
        .value_kind:     global_buffer
      - .offset:         48
        .size:           8
        .value_kind:     by_value
      - .offset:         56
        .size:           8
        .value_kind:     by_value
      - .address_space:  global
        .offset:         64
        .size:           8
        .value_kind:     global_buffer
      - .offset:         72
        .size:           8
        .value_kind:     by_value
      - .offset:         80
        .size:           8
        .value_kind:     by_value
      - .offset:         88
        .size:           4
        .value_kind:     by_value
    .group_segment_fixed_size: 4096
    .kernarg_segment_align: 8
    .kernarg_segment_size: 92
    .language:       OpenCL C
    .language_version:
      - 2
      - 0
    .max_flat_workgroup_size: 256
    .name:           _ZL37rocblas_syrkx_herkx_restricted_kernelIl19rocblas_complex_numIfELi16ELi32ELi8ELi1ELin1ELb0ELc84ELc85EKPKS1_KPS1_EviT_PT9_S7_lS9_S7_lPT10_S7_li
    .private_segment_fixed_size: 0
    .sgpr_count:     24
    .sgpr_spill_count: 0
    .symbol:         _ZL37rocblas_syrkx_herkx_restricted_kernelIl19rocblas_complex_numIfELi16ELi32ELi8ELi1ELin1ELb0ELc84ELc85EKPKS1_KPS1_EviT_PT9_S7_lS9_S7_lPT10_S7_li.kd
    .uniform_work_group_size: 1
    .uses_dynamic_stack: false
    .vgpr_count:     41
    .vgpr_spill_count: 0
    .wavefront_size: 64
  - .args:
      - .offset:         0
        .size:           4
        .value_kind:     by_value
      - .offset:         8
        .size:           8
        .value_kind:     by_value
      - .address_space:  global
        .offset:         16
        .size:           8
        .value_kind:     global_buffer
      - .offset:         24
        .size:           8
        .value_kind:     by_value
      - .offset:         32
        .size:           8
        .value_kind:     by_value
      - .address_space:  global
        .offset:         40
        .size:           8
        .value_kind:     global_buffer
      - .offset:         48
        .size:           8
        .value_kind:     by_value
      - .offset:         56
        .size:           8
        .value_kind:     by_value
      - .address_space:  global
        .offset:         64
        .size:           8
        .value_kind:     global_buffer
      - .offset:         72
        .size:           8
        .value_kind:     by_value
      - .offset:         80
        .size:           8
        .value_kind:     by_value
      - .offset:         88
        .size:           4
        .value_kind:     by_value
    .group_segment_fixed_size: 4096
    .kernarg_segment_align: 8
    .kernarg_segment_size: 92
    .language:       OpenCL C
    .language_version:
      - 2
      - 0
    .max_flat_workgroup_size: 256
    .name:           _ZL37rocblas_syrkx_herkx_restricted_kernelIl19rocblas_complex_numIfELi16ELi32ELi8ELi1ELin1ELb0ELc67ELc85EKPKS1_KPS1_EviT_PT9_S7_lS9_S7_lPT10_S7_li
    .private_segment_fixed_size: 0
    .sgpr_count:     24
    .sgpr_spill_count: 0
    .symbol:         _ZL37rocblas_syrkx_herkx_restricted_kernelIl19rocblas_complex_numIfELi16ELi32ELi8ELi1ELin1ELb0ELc67ELc85EKPKS1_KPS1_EviT_PT9_S7_lS9_S7_lPT10_S7_li.kd
    .uniform_work_group_size: 1
    .uses_dynamic_stack: false
    .vgpr_count:     41
    .vgpr_spill_count: 0
    .wavefront_size: 64
  - .args:
      - .offset:         0
        .size:           4
        .value_kind:     by_value
      - .offset:         8
        .size:           8
        .value_kind:     by_value
      - .address_space:  global
        .offset:         16
        .size:           8
        .value_kind:     global_buffer
      - .offset:         24
        .size:           8
        .value_kind:     by_value
      - .offset:         32
        .size:           8
        .value_kind:     by_value
      - .address_space:  global
        .offset:         40
        .size:           8
        .value_kind:     global_buffer
      - .offset:         48
        .size:           8
        .value_kind:     by_value
      - .offset:         56
        .size:           8
        .value_kind:     by_value
      - .address_space:  global
        .offset:         64
        .size:           8
        .value_kind:     global_buffer
      - .offset:         72
        .size:           8
        .value_kind:     by_value
      - .offset:         80
        .size:           8
        .value_kind:     by_value
      - .offset:         88
        .size:           4
        .value_kind:     by_value
    .group_segment_fixed_size: 4096
    .kernarg_segment_align: 8
    .kernarg_segment_size: 92
    .language:       OpenCL C
    .language_version:
      - 2
      - 0
    .max_flat_workgroup_size: 256
    .name:           _ZL37rocblas_syrkx_herkx_restricted_kernelIl19rocblas_complex_numIfELi16ELi32ELi8ELi1ELin1ELb0ELc78ELc85EKPKS1_KPS1_EviT_PT9_S7_lS9_S7_lPT10_S7_li
    .private_segment_fixed_size: 0
    .sgpr_count:     26
    .sgpr_spill_count: 0
    .symbol:         _ZL37rocblas_syrkx_herkx_restricted_kernelIl19rocblas_complex_numIfELi16ELi32ELi8ELi1ELin1ELb0ELc78ELc85EKPKS1_KPS1_EviT_PT9_S7_lS9_S7_lPT10_S7_li.kd
    .uniform_work_group_size: 1
    .uses_dynamic_stack: false
    .vgpr_count:     43
    .vgpr_spill_count: 0
    .wavefront_size: 64
  - .args:
      - .offset:         0
        .size:           4
        .value_kind:     by_value
      - .offset:         8
        .size:           8
        .value_kind:     by_value
      - .address_space:  global
        .offset:         16
        .size:           8
        .value_kind:     global_buffer
      - .offset:         24
        .size:           8
        .value_kind:     by_value
      - .offset:         32
        .size:           8
        .value_kind:     by_value
      - .address_space:  global
        .offset:         40
        .size:           8
        .value_kind:     global_buffer
      - .offset:         48
        .size:           8
        .value_kind:     by_value
      - .offset:         56
        .size:           8
        .value_kind:     by_value
      - .address_space:  global
        .offset:         64
        .size:           8
        .value_kind:     global_buffer
      - .offset:         72
        .size:           8
        .value_kind:     by_value
      - .offset:         80
        .size:           8
        .value_kind:     by_value
      - .offset:         88
        .size:           4
        .value_kind:     by_value
    .group_segment_fixed_size: 4096
    .kernarg_segment_align: 8
    .kernarg_segment_size: 92
    .language:       OpenCL C
    .language_version:
      - 2
      - 0
    .max_flat_workgroup_size: 256
    .name:           _ZL37rocblas_syrkx_herkx_restricted_kernelIl19rocblas_complex_numIfELi16ELi32ELi8ELi1ELi0ELb0ELc84ELc76EKPKS1_KPS1_EviT_PT9_S7_lS9_S7_lPT10_S7_li
    .private_segment_fixed_size: 0
    .sgpr_count:     24
    .sgpr_spill_count: 0
    .symbol:         _ZL37rocblas_syrkx_herkx_restricted_kernelIl19rocblas_complex_numIfELi16ELi32ELi8ELi1ELi0ELb0ELc84ELc76EKPKS1_KPS1_EviT_PT9_S7_lS9_S7_lPT10_S7_li.kd
    .uniform_work_group_size: 1
    .uses_dynamic_stack: false
    .vgpr_count:     41
    .vgpr_spill_count: 0
    .wavefront_size: 64
  - .args:
      - .offset:         0
        .size:           4
        .value_kind:     by_value
      - .offset:         8
        .size:           8
        .value_kind:     by_value
      - .address_space:  global
        .offset:         16
        .size:           8
        .value_kind:     global_buffer
      - .offset:         24
        .size:           8
        .value_kind:     by_value
      - .offset:         32
        .size:           8
        .value_kind:     by_value
      - .address_space:  global
        .offset:         40
        .size:           8
        .value_kind:     global_buffer
      - .offset:         48
        .size:           8
        .value_kind:     by_value
      - .offset:         56
        .size:           8
        .value_kind:     by_value
      - .address_space:  global
        .offset:         64
        .size:           8
        .value_kind:     global_buffer
      - .offset:         72
        .size:           8
        .value_kind:     by_value
      - .offset:         80
        .size:           8
        .value_kind:     by_value
      - .offset:         88
        .size:           4
        .value_kind:     by_value
    .group_segment_fixed_size: 4096
    .kernarg_segment_align: 8
    .kernarg_segment_size: 92
    .language:       OpenCL C
    .language_version:
      - 2
      - 0
    .max_flat_workgroup_size: 256
    .name:           _ZL37rocblas_syrkx_herkx_restricted_kernelIl19rocblas_complex_numIfELi16ELi32ELi8ELi1ELi0ELb0ELc67ELc76EKPKS1_KPS1_EviT_PT9_S7_lS9_S7_lPT10_S7_li
    .private_segment_fixed_size: 0
    .sgpr_count:     24
    .sgpr_spill_count: 0
    .symbol:         _ZL37rocblas_syrkx_herkx_restricted_kernelIl19rocblas_complex_numIfELi16ELi32ELi8ELi1ELi0ELb0ELc67ELc76EKPKS1_KPS1_EviT_PT9_S7_lS9_S7_lPT10_S7_li.kd
    .uniform_work_group_size: 1
    .uses_dynamic_stack: false
    .vgpr_count:     41
    .vgpr_spill_count: 0
    .wavefront_size: 64
  - .args:
      - .offset:         0
        .size:           4
        .value_kind:     by_value
      - .offset:         8
        .size:           8
        .value_kind:     by_value
      - .address_space:  global
        .offset:         16
        .size:           8
        .value_kind:     global_buffer
      - .offset:         24
        .size:           8
        .value_kind:     by_value
      - .offset:         32
        .size:           8
        .value_kind:     by_value
      - .address_space:  global
        .offset:         40
        .size:           8
        .value_kind:     global_buffer
      - .offset:         48
        .size:           8
        .value_kind:     by_value
      - .offset:         56
        .size:           8
        .value_kind:     by_value
      - .address_space:  global
        .offset:         64
        .size:           8
        .value_kind:     global_buffer
      - .offset:         72
        .size:           8
        .value_kind:     by_value
      - .offset:         80
        .size:           8
        .value_kind:     by_value
      - .offset:         88
        .size:           4
        .value_kind:     by_value
    .group_segment_fixed_size: 4096
    .kernarg_segment_align: 8
    .kernarg_segment_size: 92
    .language:       OpenCL C
    .language_version:
      - 2
      - 0
    .max_flat_workgroup_size: 256
    .name:           _ZL37rocblas_syrkx_herkx_restricted_kernelIl19rocblas_complex_numIfELi16ELi32ELi8ELi1ELi0ELb0ELc78ELc76EKPKS1_KPS1_EviT_PT9_S7_lS9_S7_lPT10_S7_li
    .private_segment_fixed_size: 0
    .sgpr_count:     26
    .sgpr_spill_count: 0
    .symbol:         _ZL37rocblas_syrkx_herkx_restricted_kernelIl19rocblas_complex_numIfELi16ELi32ELi8ELi1ELi0ELb0ELc78ELc76EKPKS1_KPS1_EviT_PT9_S7_lS9_S7_lPT10_S7_li.kd
    .uniform_work_group_size: 1
    .uses_dynamic_stack: false
    .vgpr_count:     43
    .vgpr_spill_count: 0
    .wavefront_size: 64
  - .args:
      - .offset:         0
        .size:           4
        .value_kind:     by_value
      - .offset:         8
        .size:           8
        .value_kind:     by_value
      - .address_space:  global
        .offset:         16
        .size:           8
        .value_kind:     global_buffer
      - .offset:         24
        .size:           8
        .value_kind:     by_value
      - .offset:         32
        .size:           8
        .value_kind:     by_value
      - .address_space:  global
        .offset:         40
        .size:           8
        .value_kind:     global_buffer
      - .offset:         48
        .size:           8
        .value_kind:     by_value
      - .offset:         56
        .size:           8
        .value_kind:     by_value
      - .address_space:  global
        .offset:         64
        .size:           8
        .value_kind:     global_buffer
      - .offset:         72
        .size:           8
        .value_kind:     by_value
      - .offset:         80
        .size:           8
        .value_kind:     by_value
      - .offset:         88
        .size:           4
        .value_kind:     by_value
    .group_segment_fixed_size: 4096
    .kernarg_segment_align: 8
    .kernarg_segment_size: 92
    .language:       OpenCL C
    .language_version:
      - 2
      - 0
    .max_flat_workgroup_size: 256
    .name:           _ZL37rocblas_syrkx_herkx_restricted_kernelIl19rocblas_complex_numIfELi16ELi32ELi8ELi1ELi0ELb0ELc84ELc85EKPKS1_KPS1_EviT_PT9_S7_lS9_S7_lPT10_S7_li
    .private_segment_fixed_size: 0
    .sgpr_count:     24
    .sgpr_spill_count: 0
    .symbol:         _ZL37rocblas_syrkx_herkx_restricted_kernelIl19rocblas_complex_numIfELi16ELi32ELi8ELi1ELi0ELb0ELc84ELc85EKPKS1_KPS1_EviT_PT9_S7_lS9_S7_lPT10_S7_li.kd
    .uniform_work_group_size: 1
    .uses_dynamic_stack: false
    .vgpr_count:     41
    .vgpr_spill_count: 0
    .wavefront_size: 64
  - .args:
      - .offset:         0
        .size:           4
        .value_kind:     by_value
      - .offset:         8
        .size:           8
        .value_kind:     by_value
      - .address_space:  global
        .offset:         16
        .size:           8
        .value_kind:     global_buffer
      - .offset:         24
        .size:           8
        .value_kind:     by_value
      - .offset:         32
        .size:           8
        .value_kind:     by_value
      - .address_space:  global
        .offset:         40
        .size:           8
        .value_kind:     global_buffer
      - .offset:         48
        .size:           8
        .value_kind:     by_value
      - .offset:         56
        .size:           8
        .value_kind:     by_value
      - .address_space:  global
        .offset:         64
        .size:           8
        .value_kind:     global_buffer
      - .offset:         72
        .size:           8
        .value_kind:     by_value
      - .offset:         80
        .size:           8
        .value_kind:     by_value
      - .offset:         88
        .size:           4
        .value_kind:     by_value
    .group_segment_fixed_size: 4096
    .kernarg_segment_align: 8
    .kernarg_segment_size: 92
    .language:       OpenCL C
    .language_version:
      - 2
      - 0
    .max_flat_workgroup_size: 256
    .name:           _ZL37rocblas_syrkx_herkx_restricted_kernelIl19rocblas_complex_numIfELi16ELi32ELi8ELi1ELi0ELb0ELc67ELc85EKPKS1_KPS1_EviT_PT9_S7_lS9_S7_lPT10_S7_li
    .private_segment_fixed_size: 0
    .sgpr_count:     24
    .sgpr_spill_count: 0
    .symbol:         _ZL37rocblas_syrkx_herkx_restricted_kernelIl19rocblas_complex_numIfELi16ELi32ELi8ELi1ELi0ELb0ELc67ELc85EKPKS1_KPS1_EviT_PT9_S7_lS9_S7_lPT10_S7_li.kd
    .uniform_work_group_size: 1
    .uses_dynamic_stack: false
    .vgpr_count:     41
    .vgpr_spill_count: 0
    .wavefront_size: 64
  - .args:
      - .offset:         0
        .size:           4
        .value_kind:     by_value
      - .offset:         8
        .size:           8
        .value_kind:     by_value
      - .address_space:  global
        .offset:         16
        .size:           8
        .value_kind:     global_buffer
      - .offset:         24
        .size:           8
        .value_kind:     by_value
      - .offset:         32
        .size:           8
        .value_kind:     by_value
      - .address_space:  global
        .offset:         40
        .size:           8
        .value_kind:     global_buffer
      - .offset:         48
        .size:           8
        .value_kind:     by_value
      - .offset:         56
        .size:           8
        .value_kind:     by_value
      - .address_space:  global
        .offset:         64
        .size:           8
        .value_kind:     global_buffer
      - .offset:         72
        .size:           8
        .value_kind:     by_value
      - .offset:         80
        .size:           8
        .value_kind:     by_value
      - .offset:         88
        .size:           4
        .value_kind:     by_value
    .group_segment_fixed_size: 4096
    .kernarg_segment_align: 8
    .kernarg_segment_size: 92
    .language:       OpenCL C
    .language_version:
      - 2
      - 0
    .max_flat_workgroup_size: 256
    .name:           _ZL37rocblas_syrkx_herkx_restricted_kernelIl19rocblas_complex_numIfELi16ELi32ELi8ELi1ELi0ELb0ELc78ELc85EKPKS1_KPS1_EviT_PT9_S7_lS9_S7_lPT10_S7_li
    .private_segment_fixed_size: 0
    .sgpr_count:     26
    .sgpr_spill_count: 0
    .symbol:         _ZL37rocblas_syrkx_herkx_restricted_kernelIl19rocblas_complex_numIfELi16ELi32ELi8ELi1ELi0ELb0ELc78ELc85EKPKS1_KPS1_EviT_PT9_S7_lS9_S7_lPT10_S7_li.kd
    .uniform_work_group_size: 1
    .uses_dynamic_stack: false
    .vgpr_count:     43
    .vgpr_spill_count: 0
    .wavefront_size: 64
  - .args:
      - .offset:         0
        .size:           4
        .value_kind:     by_value
      - .offset:         8
        .size:           8
        .value_kind:     by_value
      - .address_space:  global
        .offset:         16
        .size:           8
        .value_kind:     global_buffer
      - .offset:         24
        .size:           8
        .value_kind:     by_value
      - .offset:         32
        .size:           8
        .value_kind:     by_value
      - .address_space:  global
        .offset:         40
        .size:           8
        .value_kind:     global_buffer
      - .offset:         48
        .size:           8
        .value_kind:     by_value
      - .offset:         56
        .size:           8
        .value_kind:     by_value
      - .address_space:  global
        .offset:         64
        .size:           8
        .value_kind:     global_buffer
      - .offset:         72
        .size:           8
        .value_kind:     by_value
      - .offset:         80
        .size:           8
        .value_kind:     by_value
      - .offset:         88
        .size:           4
        .value_kind:     by_value
    .group_segment_fixed_size: 4096
    .kernarg_segment_align: 8
    .kernarg_segment_size: 92
    .language:       OpenCL C
    .language_version:
      - 2
      - 0
    .max_flat_workgroup_size: 256
    .name:           _ZL37rocblas_syrkx_herkx_restricted_kernelIl19rocblas_complex_numIfELi16ELi32ELi8ELin1ELi0ELb0ELc84ELc76EKPKS1_KPS1_EviT_PT9_S7_lS9_S7_lPT10_S7_li
    .private_segment_fixed_size: 0
    .sgpr_count:     24
    .sgpr_spill_count: 0
    .symbol:         _ZL37rocblas_syrkx_herkx_restricted_kernelIl19rocblas_complex_numIfELi16ELi32ELi8ELin1ELi0ELb0ELc84ELc76EKPKS1_KPS1_EviT_PT9_S7_lS9_S7_lPT10_S7_li.kd
    .uniform_work_group_size: 1
    .uses_dynamic_stack: false
    .vgpr_count:     41
    .vgpr_spill_count: 0
    .wavefront_size: 64
  - .args:
      - .offset:         0
        .size:           4
        .value_kind:     by_value
      - .offset:         8
        .size:           8
        .value_kind:     by_value
      - .address_space:  global
        .offset:         16
        .size:           8
        .value_kind:     global_buffer
      - .offset:         24
        .size:           8
        .value_kind:     by_value
      - .offset:         32
        .size:           8
        .value_kind:     by_value
      - .address_space:  global
        .offset:         40
        .size:           8
        .value_kind:     global_buffer
      - .offset:         48
        .size:           8
        .value_kind:     by_value
      - .offset:         56
        .size:           8
        .value_kind:     by_value
      - .address_space:  global
        .offset:         64
        .size:           8
        .value_kind:     global_buffer
      - .offset:         72
        .size:           8
        .value_kind:     by_value
      - .offset:         80
        .size:           8
        .value_kind:     by_value
      - .offset:         88
        .size:           4
        .value_kind:     by_value
    .group_segment_fixed_size: 4096
    .kernarg_segment_align: 8
    .kernarg_segment_size: 92
    .language:       OpenCL C
    .language_version:
      - 2
      - 0
    .max_flat_workgroup_size: 256
    .name:           _ZL37rocblas_syrkx_herkx_restricted_kernelIl19rocblas_complex_numIfELi16ELi32ELi8ELin1ELi0ELb0ELc67ELc76EKPKS1_KPS1_EviT_PT9_S7_lS9_S7_lPT10_S7_li
    .private_segment_fixed_size: 0
    .sgpr_count:     24
    .sgpr_spill_count: 0
    .symbol:         _ZL37rocblas_syrkx_herkx_restricted_kernelIl19rocblas_complex_numIfELi16ELi32ELi8ELin1ELi0ELb0ELc67ELc76EKPKS1_KPS1_EviT_PT9_S7_lS9_S7_lPT10_S7_li.kd
    .uniform_work_group_size: 1
    .uses_dynamic_stack: false
    .vgpr_count:     41
    .vgpr_spill_count: 0
    .wavefront_size: 64
  - .args:
      - .offset:         0
        .size:           4
        .value_kind:     by_value
      - .offset:         8
        .size:           8
        .value_kind:     by_value
      - .address_space:  global
        .offset:         16
        .size:           8
        .value_kind:     global_buffer
      - .offset:         24
        .size:           8
        .value_kind:     by_value
      - .offset:         32
        .size:           8
        .value_kind:     by_value
      - .address_space:  global
        .offset:         40
        .size:           8
        .value_kind:     global_buffer
      - .offset:         48
        .size:           8
        .value_kind:     by_value
      - .offset:         56
        .size:           8
        .value_kind:     by_value
      - .address_space:  global
        .offset:         64
        .size:           8
        .value_kind:     global_buffer
      - .offset:         72
        .size:           8
        .value_kind:     by_value
      - .offset:         80
        .size:           8
        .value_kind:     by_value
      - .offset:         88
        .size:           4
        .value_kind:     by_value
    .group_segment_fixed_size: 4096
    .kernarg_segment_align: 8
    .kernarg_segment_size: 92
    .language:       OpenCL C
    .language_version:
      - 2
      - 0
    .max_flat_workgroup_size: 256
    .name:           _ZL37rocblas_syrkx_herkx_restricted_kernelIl19rocblas_complex_numIfELi16ELi32ELi8ELin1ELi0ELb0ELc78ELc76EKPKS1_KPS1_EviT_PT9_S7_lS9_S7_lPT10_S7_li
    .private_segment_fixed_size: 0
    .sgpr_count:     26
    .sgpr_spill_count: 0
    .symbol:         _ZL37rocblas_syrkx_herkx_restricted_kernelIl19rocblas_complex_numIfELi16ELi32ELi8ELin1ELi0ELb0ELc78ELc76EKPKS1_KPS1_EviT_PT9_S7_lS9_S7_lPT10_S7_li.kd
    .uniform_work_group_size: 1
    .uses_dynamic_stack: false
    .vgpr_count:     43
    .vgpr_spill_count: 0
    .wavefront_size: 64
  - .args:
      - .offset:         0
        .size:           4
        .value_kind:     by_value
      - .offset:         8
        .size:           8
        .value_kind:     by_value
      - .address_space:  global
        .offset:         16
        .size:           8
        .value_kind:     global_buffer
      - .offset:         24
        .size:           8
        .value_kind:     by_value
      - .offset:         32
        .size:           8
        .value_kind:     by_value
      - .address_space:  global
        .offset:         40
        .size:           8
        .value_kind:     global_buffer
      - .offset:         48
        .size:           8
        .value_kind:     by_value
      - .offset:         56
        .size:           8
        .value_kind:     by_value
      - .address_space:  global
        .offset:         64
        .size:           8
        .value_kind:     global_buffer
      - .offset:         72
        .size:           8
        .value_kind:     by_value
      - .offset:         80
        .size:           8
        .value_kind:     by_value
      - .offset:         88
        .size:           4
        .value_kind:     by_value
    .group_segment_fixed_size: 4096
    .kernarg_segment_align: 8
    .kernarg_segment_size: 92
    .language:       OpenCL C
    .language_version:
      - 2
      - 0
    .max_flat_workgroup_size: 256
    .name:           _ZL37rocblas_syrkx_herkx_restricted_kernelIl19rocblas_complex_numIfELi16ELi32ELi8ELin1ELi0ELb0ELc84ELc85EKPKS1_KPS1_EviT_PT9_S7_lS9_S7_lPT10_S7_li
    .private_segment_fixed_size: 0
    .sgpr_count:     24
    .sgpr_spill_count: 0
    .symbol:         _ZL37rocblas_syrkx_herkx_restricted_kernelIl19rocblas_complex_numIfELi16ELi32ELi8ELin1ELi0ELb0ELc84ELc85EKPKS1_KPS1_EviT_PT9_S7_lS9_S7_lPT10_S7_li.kd
    .uniform_work_group_size: 1
    .uses_dynamic_stack: false
    .vgpr_count:     41
    .vgpr_spill_count: 0
    .wavefront_size: 64
  - .args:
      - .offset:         0
        .size:           4
        .value_kind:     by_value
      - .offset:         8
        .size:           8
        .value_kind:     by_value
      - .address_space:  global
        .offset:         16
        .size:           8
        .value_kind:     global_buffer
      - .offset:         24
        .size:           8
        .value_kind:     by_value
      - .offset:         32
        .size:           8
        .value_kind:     by_value
      - .address_space:  global
        .offset:         40
        .size:           8
        .value_kind:     global_buffer
      - .offset:         48
        .size:           8
        .value_kind:     by_value
      - .offset:         56
        .size:           8
        .value_kind:     by_value
      - .address_space:  global
        .offset:         64
        .size:           8
        .value_kind:     global_buffer
      - .offset:         72
        .size:           8
        .value_kind:     by_value
      - .offset:         80
        .size:           8
        .value_kind:     by_value
      - .offset:         88
        .size:           4
        .value_kind:     by_value
    .group_segment_fixed_size: 4096
    .kernarg_segment_align: 8
    .kernarg_segment_size: 92
    .language:       OpenCL C
    .language_version:
      - 2
      - 0
    .max_flat_workgroup_size: 256
    .name:           _ZL37rocblas_syrkx_herkx_restricted_kernelIl19rocblas_complex_numIfELi16ELi32ELi8ELin1ELi0ELb0ELc67ELc85EKPKS1_KPS1_EviT_PT9_S7_lS9_S7_lPT10_S7_li
    .private_segment_fixed_size: 0
    .sgpr_count:     24
    .sgpr_spill_count: 0
    .symbol:         _ZL37rocblas_syrkx_herkx_restricted_kernelIl19rocblas_complex_numIfELi16ELi32ELi8ELin1ELi0ELb0ELc67ELc85EKPKS1_KPS1_EviT_PT9_S7_lS9_S7_lPT10_S7_li.kd
    .uniform_work_group_size: 1
    .uses_dynamic_stack: false
    .vgpr_count:     41
    .vgpr_spill_count: 0
    .wavefront_size: 64
  - .args:
      - .offset:         0
        .size:           4
        .value_kind:     by_value
      - .offset:         8
        .size:           8
        .value_kind:     by_value
      - .address_space:  global
        .offset:         16
        .size:           8
        .value_kind:     global_buffer
      - .offset:         24
        .size:           8
        .value_kind:     by_value
      - .offset:         32
        .size:           8
        .value_kind:     by_value
      - .address_space:  global
        .offset:         40
        .size:           8
        .value_kind:     global_buffer
      - .offset:         48
        .size:           8
        .value_kind:     by_value
      - .offset:         56
        .size:           8
        .value_kind:     by_value
      - .address_space:  global
        .offset:         64
        .size:           8
        .value_kind:     global_buffer
      - .offset:         72
        .size:           8
        .value_kind:     by_value
      - .offset:         80
        .size:           8
        .value_kind:     by_value
      - .offset:         88
        .size:           4
        .value_kind:     by_value
    .group_segment_fixed_size: 4096
    .kernarg_segment_align: 8
    .kernarg_segment_size: 92
    .language:       OpenCL C
    .language_version:
      - 2
      - 0
    .max_flat_workgroup_size: 256
    .name:           _ZL37rocblas_syrkx_herkx_restricted_kernelIl19rocblas_complex_numIfELi16ELi32ELi8ELin1ELi0ELb0ELc78ELc85EKPKS1_KPS1_EviT_PT9_S7_lS9_S7_lPT10_S7_li
    .private_segment_fixed_size: 0
    .sgpr_count:     26
    .sgpr_spill_count: 0
    .symbol:         _ZL37rocblas_syrkx_herkx_restricted_kernelIl19rocblas_complex_numIfELi16ELi32ELi8ELin1ELi0ELb0ELc78ELc85EKPKS1_KPS1_EviT_PT9_S7_lS9_S7_lPT10_S7_li.kd
    .uniform_work_group_size: 1
    .uses_dynamic_stack: false
    .vgpr_count:     43
    .vgpr_spill_count: 0
    .wavefront_size: 64
  - .args:
      - .offset:         0
        .size:           4
        .value_kind:     by_value
      - .offset:         8
        .size:           8
        .value_kind:     by_value
      - .offset:         16
        .size:           8
        .value_kind:     by_value
      - .address_space:  global
        .offset:         24
        .size:           8
        .value_kind:     global_buffer
      - .offset:         32
        .size:           8
        .value_kind:     by_value
      - .offset:         40
        .size:           8
        .value_kind:     by_value
      - .address_space:  global
        .offset:         48
        .size:           8
        .value_kind:     global_buffer
      - .offset:         56
        .size:           8
        .value_kind:     by_value
      - .offset:         64
        .size:           8
        .value_kind:     by_value
      - .offset:         72
        .size:           8
        .value_kind:     by_value
      - .address_space:  global
        .offset:         80
        .size:           8
        .value_kind:     global_buffer
      - .offset:         88
        .size:           8
        .value_kind:     by_value
      - .offset:         96
        .size:           8
        .value_kind:     by_value
      - .offset:         104
        .size:           4
        .value_kind:     by_value
    .group_segment_fixed_size: 4096
    .kernarg_segment_align: 8
    .kernarg_segment_size: 108
    .language:       OpenCL C
    .language_version:
      - 2
      - 0
    .max_flat_workgroup_size: 256
    .name:           _ZL37rocblas_syrkx_herkx_restricted_kernelIl19rocblas_complex_numIfELi16ELi32ELi8ELb1ELb0ELc84ELc76EKPKS1_KPS1_EviT_T0_PT8_S7_lSA_S7_lS8_PT9_S7_li
    .private_segment_fixed_size: 0
    .sgpr_count:     32
    .sgpr_spill_count: 0
    .symbol:         _ZL37rocblas_syrkx_herkx_restricted_kernelIl19rocblas_complex_numIfELi16ELi32ELi8ELb1ELb0ELc84ELc76EKPKS1_KPS1_EviT_T0_PT8_S7_lSA_S7_lS8_PT9_S7_li.kd
    .uniform_work_group_size: 1
    .uses_dynamic_stack: false
    .vgpr_count:     41
    .vgpr_spill_count: 0
    .wavefront_size: 64
  - .args:
      - .offset:         0
        .size:           4
        .value_kind:     by_value
      - .offset:         8
        .size:           8
        .value_kind:     by_value
      - .offset:         16
        .size:           8
        .value_kind:     by_value
      - .address_space:  global
        .offset:         24
        .size:           8
        .value_kind:     global_buffer
      - .offset:         32
        .size:           8
        .value_kind:     by_value
      - .offset:         40
        .size:           8
        .value_kind:     by_value
      - .address_space:  global
        .offset:         48
        .size:           8
        .value_kind:     global_buffer
      - .offset:         56
        .size:           8
        .value_kind:     by_value
      - .offset:         64
        .size:           8
        .value_kind:     by_value
      - .offset:         72
        .size:           8
        .value_kind:     by_value
      - .address_space:  global
        .offset:         80
        .size:           8
        .value_kind:     global_buffer
      - .offset:         88
        .size:           8
        .value_kind:     by_value
      - .offset:         96
        .size:           8
        .value_kind:     by_value
      - .offset:         104
        .size:           4
        .value_kind:     by_value
    .group_segment_fixed_size: 4096
    .kernarg_segment_align: 8
    .kernarg_segment_size: 108
    .language:       OpenCL C
    .language_version:
      - 2
      - 0
    .max_flat_workgroup_size: 256
    .name:           _ZL37rocblas_syrkx_herkx_restricted_kernelIl19rocblas_complex_numIfELi16ELi32ELi8ELb1ELb0ELc67ELc76EKPKS1_KPS1_EviT_T0_PT8_S7_lSA_S7_lS8_PT9_S7_li
    .private_segment_fixed_size: 0
    .sgpr_count:     32
    .sgpr_spill_count: 0
    .symbol:         _ZL37rocblas_syrkx_herkx_restricted_kernelIl19rocblas_complex_numIfELi16ELi32ELi8ELb1ELb0ELc67ELc76EKPKS1_KPS1_EviT_T0_PT8_S7_lSA_S7_lS8_PT9_S7_li.kd
    .uniform_work_group_size: 1
    .uses_dynamic_stack: false
    .vgpr_count:     41
    .vgpr_spill_count: 0
    .wavefront_size: 64
  - .args:
      - .offset:         0
        .size:           4
        .value_kind:     by_value
      - .offset:         8
        .size:           8
        .value_kind:     by_value
      - .offset:         16
        .size:           8
        .value_kind:     by_value
      - .address_space:  global
        .offset:         24
        .size:           8
        .value_kind:     global_buffer
      - .offset:         32
        .size:           8
        .value_kind:     by_value
      - .offset:         40
        .size:           8
        .value_kind:     by_value
      - .address_space:  global
        .offset:         48
        .size:           8
        .value_kind:     global_buffer
      - .offset:         56
        .size:           8
        .value_kind:     by_value
      - .offset:         64
        .size:           8
        .value_kind:     by_value
      - .offset:         72
        .size:           8
        .value_kind:     by_value
      - .address_space:  global
        .offset:         80
        .size:           8
        .value_kind:     global_buffer
      - .offset:         88
        .size:           8
        .value_kind:     by_value
      - .offset:         96
        .size:           8
        .value_kind:     by_value
      - .offset:         104
        .size:           4
        .value_kind:     by_value
    .group_segment_fixed_size: 4096
    .kernarg_segment_align: 8
    .kernarg_segment_size: 108
    .language:       OpenCL C
    .language_version:
      - 2
      - 0
    .max_flat_workgroup_size: 256
    .name:           _ZL37rocblas_syrkx_herkx_restricted_kernelIl19rocblas_complex_numIfELi16ELi32ELi8ELb1ELb0ELc78ELc76EKPKS1_KPS1_EviT_T0_PT8_S7_lSA_S7_lS8_PT9_S7_li
    .private_segment_fixed_size: 0
    .sgpr_count:     28
    .sgpr_spill_count: 0
    .symbol:         _ZL37rocblas_syrkx_herkx_restricted_kernelIl19rocblas_complex_numIfELi16ELi32ELi8ELb1ELb0ELc78ELc76EKPKS1_KPS1_EviT_T0_PT8_S7_lSA_S7_lS8_PT9_S7_li.kd
    .uniform_work_group_size: 1
    .uses_dynamic_stack: false
    .vgpr_count:     43
    .vgpr_spill_count: 0
    .wavefront_size: 64
  - .args:
      - .offset:         0
        .size:           4
        .value_kind:     by_value
      - .offset:         8
        .size:           8
        .value_kind:     by_value
      - .offset:         16
        .size:           8
        .value_kind:     by_value
      - .address_space:  global
        .offset:         24
        .size:           8
        .value_kind:     global_buffer
      - .offset:         32
        .size:           8
        .value_kind:     by_value
      - .offset:         40
        .size:           8
        .value_kind:     by_value
      - .address_space:  global
        .offset:         48
        .size:           8
        .value_kind:     global_buffer
      - .offset:         56
        .size:           8
        .value_kind:     by_value
      - .offset:         64
        .size:           8
        .value_kind:     by_value
      - .offset:         72
        .size:           8
        .value_kind:     by_value
      - .address_space:  global
        .offset:         80
        .size:           8
        .value_kind:     global_buffer
      - .offset:         88
        .size:           8
        .value_kind:     by_value
      - .offset:         96
        .size:           8
        .value_kind:     by_value
      - .offset:         104
        .size:           4
        .value_kind:     by_value
    .group_segment_fixed_size: 4096
    .kernarg_segment_align: 8
    .kernarg_segment_size: 108
    .language:       OpenCL C
    .language_version:
      - 2
      - 0
    .max_flat_workgroup_size: 256
    .name:           _ZL37rocblas_syrkx_herkx_restricted_kernelIl19rocblas_complex_numIfELi16ELi32ELi8ELb1ELb0ELc84ELc85EKPKS1_KPS1_EviT_T0_PT8_S7_lSA_S7_lS8_PT9_S7_li
    .private_segment_fixed_size: 0
    .sgpr_count:     28
    .sgpr_spill_count: 0
    .symbol:         _ZL37rocblas_syrkx_herkx_restricted_kernelIl19rocblas_complex_numIfELi16ELi32ELi8ELb1ELb0ELc84ELc85EKPKS1_KPS1_EviT_T0_PT8_S7_lSA_S7_lS8_PT9_S7_li.kd
    .uniform_work_group_size: 1
    .uses_dynamic_stack: false
    .vgpr_count:     41
    .vgpr_spill_count: 0
    .wavefront_size: 64
  - .args:
      - .offset:         0
        .size:           4
        .value_kind:     by_value
      - .offset:         8
        .size:           8
        .value_kind:     by_value
      - .offset:         16
        .size:           8
        .value_kind:     by_value
      - .address_space:  global
        .offset:         24
        .size:           8
        .value_kind:     global_buffer
      - .offset:         32
        .size:           8
        .value_kind:     by_value
      - .offset:         40
        .size:           8
        .value_kind:     by_value
      - .address_space:  global
        .offset:         48
        .size:           8
        .value_kind:     global_buffer
      - .offset:         56
        .size:           8
        .value_kind:     by_value
      - .offset:         64
        .size:           8
        .value_kind:     by_value
      - .offset:         72
        .size:           8
        .value_kind:     by_value
      - .address_space:  global
        .offset:         80
        .size:           8
        .value_kind:     global_buffer
      - .offset:         88
        .size:           8
        .value_kind:     by_value
      - .offset:         96
        .size:           8
        .value_kind:     by_value
      - .offset:         104
        .size:           4
        .value_kind:     by_value
    .group_segment_fixed_size: 4096
    .kernarg_segment_align: 8
    .kernarg_segment_size: 108
    .language:       OpenCL C
    .language_version:
      - 2
      - 0
    .max_flat_workgroup_size: 256
    .name:           _ZL37rocblas_syrkx_herkx_restricted_kernelIl19rocblas_complex_numIfELi16ELi32ELi8ELb1ELb0ELc67ELc85EKPKS1_KPS1_EviT_T0_PT8_S7_lSA_S7_lS8_PT9_S7_li
    .private_segment_fixed_size: 0
    .sgpr_count:     28
    .sgpr_spill_count: 0
    .symbol:         _ZL37rocblas_syrkx_herkx_restricted_kernelIl19rocblas_complex_numIfELi16ELi32ELi8ELb1ELb0ELc67ELc85EKPKS1_KPS1_EviT_T0_PT8_S7_lSA_S7_lS8_PT9_S7_li.kd
    .uniform_work_group_size: 1
    .uses_dynamic_stack: false
    .vgpr_count:     41
    .vgpr_spill_count: 0
    .wavefront_size: 64
  - .args:
      - .offset:         0
        .size:           4
        .value_kind:     by_value
      - .offset:         8
        .size:           8
        .value_kind:     by_value
      - .offset:         16
        .size:           8
        .value_kind:     by_value
      - .address_space:  global
        .offset:         24
        .size:           8
        .value_kind:     global_buffer
      - .offset:         32
        .size:           8
        .value_kind:     by_value
      - .offset:         40
        .size:           8
        .value_kind:     by_value
      - .address_space:  global
        .offset:         48
        .size:           8
        .value_kind:     global_buffer
      - .offset:         56
        .size:           8
        .value_kind:     by_value
      - .offset:         64
        .size:           8
        .value_kind:     by_value
      - .offset:         72
        .size:           8
        .value_kind:     by_value
      - .address_space:  global
        .offset:         80
        .size:           8
        .value_kind:     global_buffer
      - .offset:         88
        .size:           8
        .value_kind:     by_value
      - .offset:         96
        .size:           8
        .value_kind:     by_value
      - .offset:         104
        .size:           4
        .value_kind:     by_value
    .group_segment_fixed_size: 4096
    .kernarg_segment_align: 8
    .kernarg_segment_size: 108
    .language:       OpenCL C
    .language_version:
      - 2
      - 0
    .max_flat_workgroup_size: 256
    .name:           _ZL37rocblas_syrkx_herkx_restricted_kernelIl19rocblas_complex_numIfELi16ELi32ELi8ELb1ELb0ELc78ELc85EKPKS1_KPS1_EviT_T0_PT8_S7_lSA_S7_lS8_PT9_S7_li
    .private_segment_fixed_size: 0
    .sgpr_count:     30
    .sgpr_spill_count: 0
    .symbol:         _ZL37rocblas_syrkx_herkx_restricted_kernelIl19rocblas_complex_numIfELi16ELi32ELi8ELb1ELb0ELc78ELc85EKPKS1_KPS1_EviT_T0_PT8_S7_lSA_S7_lS8_PT9_S7_li.kd
    .uniform_work_group_size: 1
    .uses_dynamic_stack: false
    .vgpr_count:     43
    .vgpr_spill_count: 0
    .wavefront_size: 64
  - .args:
      - .offset:         0
        .size:           4
        .value_kind:     by_value
      - .offset:         8
        .size:           8
        .value_kind:     by_value
      - .offset:         16
        .size:           8
        .value_kind:     by_value
      - .address_space:  global
        .offset:         24
        .size:           8
        .value_kind:     global_buffer
      - .offset:         32
        .size:           8
        .value_kind:     by_value
      - .offset:         40
        .size:           8
        .value_kind:     by_value
      - .address_space:  global
        .offset:         48
        .size:           8
        .value_kind:     global_buffer
      - .offset:         56
        .size:           8
        .value_kind:     by_value
      - .offset:         64
        .size:           8
        .value_kind:     by_value
      - .offset:         72
        .size:           8
        .value_kind:     by_value
      - .address_space:  global
        .offset:         80
        .size:           8
        .value_kind:     global_buffer
      - .offset:         88
        .size:           8
        .value_kind:     by_value
      - .offset:         96
        .size:           8
        .value_kind:     by_value
      - .offset:         104
        .size:           4
        .value_kind:     by_value
    .group_segment_fixed_size: 4096
    .kernarg_segment_align: 8
    .kernarg_segment_size: 108
    .language:       OpenCL C
    .language_version:
      - 2
      - 0
    .max_flat_workgroup_size: 256
    .name:           _ZL37rocblas_syrkx_herkx_restricted_kernelIl19rocblas_complex_numIfELi16ELi32ELi8ELb0ELb0ELc84ELc76EKPKS1_KPS1_EviT_T0_PT8_S7_lSA_S7_lS8_PT9_S7_li
    .private_segment_fixed_size: 0
    .sgpr_count:     32
    .sgpr_spill_count: 0
    .symbol:         _ZL37rocblas_syrkx_herkx_restricted_kernelIl19rocblas_complex_numIfELi16ELi32ELi8ELb0ELb0ELc84ELc76EKPKS1_KPS1_EviT_T0_PT8_S7_lSA_S7_lS8_PT9_S7_li.kd
    .uniform_work_group_size: 1
    .uses_dynamic_stack: false
    .vgpr_count:     41
    .vgpr_spill_count: 0
    .wavefront_size: 64
  - .args:
      - .offset:         0
        .size:           4
        .value_kind:     by_value
      - .offset:         8
        .size:           8
        .value_kind:     by_value
      - .offset:         16
        .size:           8
        .value_kind:     by_value
      - .address_space:  global
        .offset:         24
        .size:           8
        .value_kind:     global_buffer
      - .offset:         32
        .size:           8
        .value_kind:     by_value
      - .offset:         40
        .size:           8
        .value_kind:     by_value
      - .address_space:  global
        .offset:         48
        .size:           8
        .value_kind:     global_buffer
      - .offset:         56
        .size:           8
        .value_kind:     by_value
      - .offset:         64
        .size:           8
        .value_kind:     by_value
      - .offset:         72
        .size:           8
        .value_kind:     by_value
      - .address_space:  global
        .offset:         80
        .size:           8
        .value_kind:     global_buffer
      - .offset:         88
        .size:           8
        .value_kind:     by_value
      - .offset:         96
        .size:           8
        .value_kind:     by_value
      - .offset:         104
        .size:           4
        .value_kind:     by_value
    .group_segment_fixed_size: 4096
    .kernarg_segment_align: 8
    .kernarg_segment_size: 108
    .language:       OpenCL C
    .language_version:
      - 2
      - 0
    .max_flat_workgroup_size: 256
    .name:           _ZL37rocblas_syrkx_herkx_restricted_kernelIl19rocblas_complex_numIfELi16ELi32ELi8ELb0ELb0ELc67ELc76EKPKS1_KPS1_EviT_T0_PT8_S7_lSA_S7_lS8_PT9_S7_li
    .private_segment_fixed_size: 0
    .sgpr_count:     32
    .sgpr_spill_count: 0
    .symbol:         _ZL37rocblas_syrkx_herkx_restricted_kernelIl19rocblas_complex_numIfELi16ELi32ELi8ELb0ELb0ELc67ELc76EKPKS1_KPS1_EviT_T0_PT8_S7_lSA_S7_lS8_PT9_S7_li.kd
    .uniform_work_group_size: 1
    .uses_dynamic_stack: false
    .vgpr_count:     41
    .vgpr_spill_count: 0
    .wavefront_size: 64
  - .args:
      - .offset:         0
        .size:           4
        .value_kind:     by_value
      - .offset:         8
        .size:           8
        .value_kind:     by_value
      - .offset:         16
        .size:           8
        .value_kind:     by_value
      - .address_space:  global
        .offset:         24
        .size:           8
        .value_kind:     global_buffer
      - .offset:         32
        .size:           8
        .value_kind:     by_value
      - .offset:         40
        .size:           8
        .value_kind:     by_value
      - .address_space:  global
        .offset:         48
        .size:           8
        .value_kind:     global_buffer
      - .offset:         56
        .size:           8
        .value_kind:     by_value
      - .offset:         64
        .size:           8
        .value_kind:     by_value
      - .offset:         72
        .size:           8
        .value_kind:     by_value
      - .address_space:  global
        .offset:         80
        .size:           8
        .value_kind:     global_buffer
      - .offset:         88
        .size:           8
        .value_kind:     by_value
      - .offset:         96
        .size:           8
        .value_kind:     by_value
      - .offset:         104
        .size:           4
        .value_kind:     by_value
    .group_segment_fixed_size: 4096
    .kernarg_segment_align: 8
    .kernarg_segment_size: 108
    .language:       OpenCL C
    .language_version:
      - 2
      - 0
    .max_flat_workgroup_size: 256
    .name:           _ZL37rocblas_syrkx_herkx_restricted_kernelIl19rocblas_complex_numIfELi16ELi32ELi8ELb0ELb0ELc78ELc76EKPKS1_KPS1_EviT_T0_PT8_S7_lSA_S7_lS8_PT9_S7_li
    .private_segment_fixed_size: 0
    .sgpr_count:     30
    .sgpr_spill_count: 0
    .symbol:         _ZL37rocblas_syrkx_herkx_restricted_kernelIl19rocblas_complex_numIfELi16ELi32ELi8ELb0ELb0ELc78ELc76EKPKS1_KPS1_EviT_T0_PT8_S7_lSA_S7_lS8_PT9_S7_li.kd
    .uniform_work_group_size: 1
    .uses_dynamic_stack: false
    .vgpr_count:     43
    .vgpr_spill_count: 0
    .wavefront_size: 64
  - .args:
      - .offset:         0
        .size:           4
        .value_kind:     by_value
      - .offset:         8
        .size:           8
        .value_kind:     by_value
      - .offset:         16
        .size:           8
        .value_kind:     by_value
      - .address_space:  global
        .offset:         24
        .size:           8
        .value_kind:     global_buffer
      - .offset:         32
        .size:           8
        .value_kind:     by_value
      - .offset:         40
        .size:           8
        .value_kind:     by_value
      - .address_space:  global
        .offset:         48
        .size:           8
        .value_kind:     global_buffer
      - .offset:         56
        .size:           8
        .value_kind:     by_value
      - .offset:         64
        .size:           8
        .value_kind:     by_value
      - .offset:         72
        .size:           8
        .value_kind:     by_value
      - .address_space:  global
        .offset:         80
        .size:           8
        .value_kind:     global_buffer
      - .offset:         88
        .size:           8
        .value_kind:     by_value
      - .offset:         96
        .size:           8
        .value_kind:     by_value
      - .offset:         104
        .size:           4
        .value_kind:     by_value
    .group_segment_fixed_size: 4096
    .kernarg_segment_align: 8
    .kernarg_segment_size: 108
    .language:       OpenCL C
    .language_version:
      - 2
      - 0
    .max_flat_workgroup_size: 256
    .name:           _ZL37rocblas_syrkx_herkx_restricted_kernelIl19rocblas_complex_numIfELi16ELi32ELi8ELb0ELb0ELc84ELc85EKPKS1_KPS1_EviT_T0_PT8_S7_lSA_S7_lS8_PT9_S7_li
    .private_segment_fixed_size: 0
    .sgpr_count:     32
    .sgpr_spill_count: 0
    .symbol:         _ZL37rocblas_syrkx_herkx_restricted_kernelIl19rocblas_complex_numIfELi16ELi32ELi8ELb0ELb0ELc84ELc85EKPKS1_KPS1_EviT_T0_PT8_S7_lSA_S7_lS8_PT9_S7_li.kd
    .uniform_work_group_size: 1
    .uses_dynamic_stack: false
    .vgpr_count:     41
    .vgpr_spill_count: 0
    .wavefront_size: 64
  - .args:
      - .offset:         0
        .size:           4
        .value_kind:     by_value
      - .offset:         8
        .size:           8
        .value_kind:     by_value
      - .offset:         16
        .size:           8
        .value_kind:     by_value
      - .address_space:  global
        .offset:         24
        .size:           8
        .value_kind:     global_buffer
      - .offset:         32
        .size:           8
        .value_kind:     by_value
      - .offset:         40
        .size:           8
        .value_kind:     by_value
      - .address_space:  global
        .offset:         48
        .size:           8
        .value_kind:     global_buffer
      - .offset:         56
        .size:           8
        .value_kind:     by_value
      - .offset:         64
        .size:           8
        .value_kind:     by_value
      - .offset:         72
        .size:           8
        .value_kind:     by_value
      - .address_space:  global
        .offset:         80
        .size:           8
        .value_kind:     global_buffer
      - .offset:         88
        .size:           8
        .value_kind:     by_value
      - .offset:         96
        .size:           8
        .value_kind:     by_value
      - .offset:         104
        .size:           4
        .value_kind:     by_value
    .group_segment_fixed_size: 4096
    .kernarg_segment_align: 8
    .kernarg_segment_size: 108
    .language:       OpenCL C
    .language_version:
      - 2
      - 0
    .max_flat_workgroup_size: 256
    .name:           _ZL37rocblas_syrkx_herkx_restricted_kernelIl19rocblas_complex_numIfELi16ELi32ELi8ELb0ELb0ELc67ELc85EKPKS1_KPS1_EviT_T0_PT8_S7_lSA_S7_lS8_PT9_S7_li
    .private_segment_fixed_size: 0
    .sgpr_count:     32
    .sgpr_spill_count: 0
    .symbol:         _ZL37rocblas_syrkx_herkx_restricted_kernelIl19rocblas_complex_numIfELi16ELi32ELi8ELb0ELb0ELc67ELc85EKPKS1_KPS1_EviT_T0_PT8_S7_lSA_S7_lS8_PT9_S7_li.kd
    .uniform_work_group_size: 1
    .uses_dynamic_stack: false
    .vgpr_count:     41
    .vgpr_spill_count: 0
    .wavefront_size: 64
  - .args:
      - .offset:         0
        .size:           4
        .value_kind:     by_value
      - .offset:         8
        .size:           8
        .value_kind:     by_value
      - .offset:         16
        .size:           8
        .value_kind:     by_value
      - .address_space:  global
        .offset:         24
        .size:           8
        .value_kind:     global_buffer
      - .offset:         32
        .size:           8
        .value_kind:     by_value
      - .offset:         40
        .size:           8
        .value_kind:     by_value
      - .address_space:  global
        .offset:         48
        .size:           8
        .value_kind:     global_buffer
      - .offset:         56
        .size:           8
        .value_kind:     by_value
      - .offset:         64
        .size:           8
        .value_kind:     by_value
      - .offset:         72
        .size:           8
        .value_kind:     by_value
      - .address_space:  global
        .offset:         80
        .size:           8
        .value_kind:     global_buffer
      - .offset:         88
        .size:           8
        .value_kind:     by_value
      - .offset:         96
        .size:           8
        .value_kind:     by_value
      - .offset:         104
        .size:           4
        .value_kind:     by_value
    .group_segment_fixed_size: 4096
    .kernarg_segment_align: 8
    .kernarg_segment_size: 108
    .language:       OpenCL C
    .language_version:
      - 2
      - 0
    .max_flat_workgroup_size: 256
    .name:           _ZL37rocblas_syrkx_herkx_restricted_kernelIl19rocblas_complex_numIfELi16ELi32ELi8ELb0ELb0ELc78ELc85EKPKS1_KPS1_EviT_T0_PT8_S7_lSA_S7_lS8_PT9_S7_li
    .private_segment_fixed_size: 0
    .sgpr_count:     30
    .sgpr_spill_count: 0
    .symbol:         _ZL37rocblas_syrkx_herkx_restricted_kernelIl19rocblas_complex_numIfELi16ELi32ELi8ELb0ELb0ELc78ELc85EKPKS1_KPS1_EviT_T0_PT8_S7_lSA_S7_lS8_PT9_S7_li.kd
    .uniform_work_group_size: 1
    .uses_dynamic_stack: false
    .vgpr_count:     43
    .vgpr_spill_count: 0
    .wavefront_size: 64
  - .args:
      - .offset:         0
        .size:           4
        .value_kind:     by_value
      - .offset:         8
        .size:           8
        .value_kind:     by_value
      - .offset:         16
        .size:           8
        .value_kind:     by_value
      - .address_space:  global
        .offset:         24
        .size:           8
        .value_kind:     global_buffer
      - .offset:         32
        .size:           8
        .value_kind:     by_value
      - .offset:         40
        .size:           8
        .value_kind:     by_value
      - .address_space:  global
        .offset:         48
        .size:           8
        .value_kind:     global_buffer
      - .offset:         56
        .size:           8
        .value_kind:     by_value
      - .offset:         64
        .size:           8
        .value_kind:     by_value
      - .offset:         72
        .size:           8
        .value_kind:     by_value
      - .address_space:  global
        .offset:         80
        .size:           8
        .value_kind:     global_buffer
      - .offset:         88
        .size:           8
        .value_kind:     by_value
      - .offset:         96
        .size:           8
        .value_kind:     by_value
      - .offset:         104
        .size:           4
        .value_kind:     by_value
    .group_segment_fixed_size: 4096
    .kernarg_segment_align: 8
    .kernarg_segment_size: 108
    .language:       OpenCL C
    .language_version:
      - 2
      - 0
    .max_flat_workgroup_size: 256
    .name:           _ZL41rocblas_syrkx_herkx_small_restrict_kernelIl19rocblas_complex_numIfELi16ELb1ELb0ELc84ELc76EKPKS1_KPS1_EviT_T0_PT6_S7_lSA_S7_lS8_PT7_S7_li
    .private_segment_fixed_size: 0
    .sgpr_count:     28
    .sgpr_spill_count: 0
    .symbol:         _ZL41rocblas_syrkx_herkx_small_restrict_kernelIl19rocblas_complex_numIfELi16ELb1ELb0ELc84ELc76EKPKS1_KPS1_EviT_T0_PT6_S7_lSA_S7_lS8_PT7_S7_li.kd
    .uniform_work_group_size: 1
    .uses_dynamic_stack: false
    .vgpr_count:     70
    .vgpr_spill_count: 0
    .wavefront_size: 64
  - .args:
      - .offset:         0
        .size:           4
        .value_kind:     by_value
      - .offset:         8
        .size:           8
        .value_kind:     by_value
      - .offset:         16
        .size:           8
        .value_kind:     by_value
      - .address_space:  global
        .offset:         24
        .size:           8
        .value_kind:     global_buffer
      - .offset:         32
        .size:           8
        .value_kind:     by_value
      - .offset:         40
        .size:           8
        .value_kind:     by_value
      - .address_space:  global
        .offset:         48
        .size:           8
        .value_kind:     global_buffer
      - .offset:         56
        .size:           8
        .value_kind:     by_value
      - .offset:         64
        .size:           8
        .value_kind:     by_value
      - .offset:         72
        .size:           8
        .value_kind:     by_value
      - .address_space:  global
        .offset:         80
        .size:           8
        .value_kind:     global_buffer
      - .offset:         88
        .size:           8
        .value_kind:     by_value
      - .offset:         96
        .size:           8
        .value_kind:     by_value
      - .offset:         104
        .size:           4
        .value_kind:     by_value
    .group_segment_fixed_size: 4096
    .kernarg_segment_align: 8
    .kernarg_segment_size: 108
    .language:       OpenCL C
    .language_version:
      - 2
      - 0
    .max_flat_workgroup_size: 256
    .name:           _ZL41rocblas_syrkx_herkx_small_restrict_kernelIl19rocblas_complex_numIfELi16ELb1ELb0ELc67ELc76EKPKS1_KPS1_EviT_T0_PT6_S7_lSA_S7_lS8_PT7_S7_li
    .private_segment_fixed_size: 0
    .sgpr_count:     28
    .sgpr_spill_count: 0
    .symbol:         _ZL41rocblas_syrkx_herkx_small_restrict_kernelIl19rocblas_complex_numIfELi16ELb1ELb0ELc67ELc76EKPKS1_KPS1_EviT_T0_PT6_S7_lSA_S7_lS8_PT7_S7_li.kd
    .uniform_work_group_size: 1
    .uses_dynamic_stack: false
    .vgpr_count:     70
    .vgpr_spill_count: 0
    .wavefront_size: 64
  - .args:
      - .offset:         0
        .size:           4
        .value_kind:     by_value
      - .offset:         8
        .size:           8
        .value_kind:     by_value
      - .offset:         16
        .size:           8
        .value_kind:     by_value
      - .address_space:  global
        .offset:         24
        .size:           8
        .value_kind:     global_buffer
      - .offset:         32
        .size:           8
        .value_kind:     by_value
      - .offset:         40
        .size:           8
        .value_kind:     by_value
      - .address_space:  global
        .offset:         48
        .size:           8
        .value_kind:     global_buffer
      - .offset:         56
        .size:           8
        .value_kind:     by_value
      - .offset:         64
        .size:           8
        .value_kind:     by_value
      - .offset:         72
        .size:           8
        .value_kind:     by_value
      - .address_space:  global
        .offset:         80
        .size:           8
        .value_kind:     global_buffer
      - .offset:         88
        .size:           8
        .value_kind:     by_value
      - .offset:         96
        .size:           8
        .value_kind:     by_value
      - .offset:         104
        .size:           4
        .value_kind:     by_value
    .group_segment_fixed_size: 4096
    .kernarg_segment_align: 8
    .kernarg_segment_size: 108
    .language:       OpenCL C
    .language_version:
      - 2
      - 0
    .max_flat_workgroup_size: 256
    .name:           _ZL41rocblas_syrkx_herkx_small_restrict_kernelIl19rocblas_complex_numIfELi16ELb1ELb0ELc78ELc76EKPKS1_KPS1_EviT_T0_PT6_S7_lSA_S7_lS8_PT7_S7_li
    .private_segment_fixed_size: 0
    .sgpr_count:     26
    .sgpr_spill_count: 0
    .symbol:         _ZL41rocblas_syrkx_herkx_small_restrict_kernelIl19rocblas_complex_numIfELi16ELb1ELb0ELc78ELc76EKPKS1_KPS1_EviT_T0_PT6_S7_lSA_S7_lS8_PT7_S7_li.kd
    .uniform_work_group_size: 1
    .uses_dynamic_stack: false
    .vgpr_count:     68
    .vgpr_spill_count: 0
    .wavefront_size: 64
  - .args:
      - .offset:         0
        .size:           4
        .value_kind:     by_value
      - .offset:         8
        .size:           8
        .value_kind:     by_value
      - .offset:         16
        .size:           8
        .value_kind:     by_value
      - .address_space:  global
        .offset:         24
        .size:           8
        .value_kind:     global_buffer
      - .offset:         32
        .size:           8
        .value_kind:     by_value
      - .offset:         40
        .size:           8
        .value_kind:     by_value
      - .address_space:  global
        .offset:         48
        .size:           8
        .value_kind:     global_buffer
      - .offset:         56
        .size:           8
        .value_kind:     by_value
      - .offset:         64
        .size:           8
        .value_kind:     by_value
      - .offset:         72
        .size:           8
        .value_kind:     by_value
      - .address_space:  global
        .offset:         80
        .size:           8
        .value_kind:     global_buffer
      - .offset:         88
        .size:           8
        .value_kind:     by_value
      - .offset:         96
        .size:           8
        .value_kind:     by_value
      - .offset:         104
        .size:           4
        .value_kind:     by_value
    .group_segment_fixed_size: 4096
    .kernarg_segment_align: 8
    .kernarg_segment_size: 108
    .language:       OpenCL C
    .language_version:
      - 2
      - 0
    .max_flat_workgroup_size: 256
    .name:           _ZL41rocblas_syrkx_herkx_small_restrict_kernelIl19rocblas_complex_numIfELi16ELb1ELb0ELc84ELc85EKPKS1_KPS1_EviT_T0_PT6_S7_lSA_S7_lS8_PT7_S7_li
    .private_segment_fixed_size: 0
    .sgpr_count:     28
    .sgpr_spill_count: 0
    .symbol:         _ZL41rocblas_syrkx_herkx_small_restrict_kernelIl19rocblas_complex_numIfELi16ELb1ELb0ELc84ELc85EKPKS1_KPS1_EviT_T0_PT6_S7_lSA_S7_lS8_PT7_S7_li.kd
    .uniform_work_group_size: 1
    .uses_dynamic_stack: false
    .vgpr_count:     70
    .vgpr_spill_count: 0
    .wavefront_size: 64
  - .args:
      - .offset:         0
        .size:           4
        .value_kind:     by_value
      - .offset:         8
        .size:           8
        .value_kind:     by_value
      - .offset:         16
        .size:           8
        .value_kind:     by_value
      - .address_space:  global
        .offset:         24
        .size:           8
        .value_kind:     global_buffer
      - .offset:         32
        .size:           8
        .value_kind:     by_value
      - .offset:         40
        .size:           8
        .value_kind:     by_value
      - .address_space:  global
        .offset:         48
        .size:           8
        .value_kind:     global_buffer
      - .offset:         56
        .size:           8
        .value_kind:     by_value
      - .offset:         64
        .size:           8
        .value_kind:     by_value
      - .offset:         72
        .size:           8
        .value_kind:     by_value
      - .address_space:  global
        .offset:         80
        .size:           8
        .value_kind:     global_buffer
      - .offset:         88
        .size:           8
        .value_kind:     by_value
      - .offset:         96
        .size:           8
        .value_kind:     by_value
      - .offset:         104
        .size:           4
        .value_kind:     by_value
    .group_segment_fixed_size: 4096
    .kernarg_segment_align: 8
    .kernarg_segment_size: 108
    .language:       OpenCL C
    .language_version:
      - 2
      - 0
    .max_flat_workgroup_size: 256
    .name:           _ZL41rocblas_syrkx_herkx_small_restrict_kernelIl19rocblas_complex_numIfELi16ELb1ELb0ELc67ELc85EKPKS1_KPS1_EviT_T0_PT6_S7_lSA_S7_lS8_PT7_S7_li
    .private_segment_fixed_size: 0
    .sgpr_count:     28
    .sgpr_spill_count: 0
    .symbol:         _ZL41rocblas_syrkx_herkx_small_restrict_kernelIl19rocblas_complex_numIfELi16ELb1ELb0ELc67ELc85EKPKS1_KPS1_EviT_T0_PT6_S7_lSA_S7_lS8_PT7_S7_li.kd
    .uniform_work_group_size: 1
    .uses_dynamic_stack: false
    .vgpr_count:     70
    .vgpr_spill_count: 0
    .wavefront_size: 64
  - .args:
      - .offset:         0
        .size:           4
        .value_kind:     by_value
      - .offset:         8
        .size:           8
        .value_kind:     by_value
      - .offset:         16
        .size:           8
        .value_kind:     by_value
      - .address_space:  global
        .offset:         24
        .size:           8
        .value_kind:     global_buffer
      - .offset:         32
        .size:           8
        .value_kind:     by_value
      - .offset:         40
        .size:           8
        .value_kind:     by_value
      - .address_space:  global
        .offset:         48
        .size:           8
        .value_kind:     global_buffer
      - .offset:         56
        .size:           8
        .value_kind:     by_value
      - .offset:         64
        .size:           8
        .value_kind:     by_value
      - .offset:         72
        .size:           8
        .value_kind:     by_value
      - .address_space:  global
        .offset:         80
        .size:           8
        .value_kind:     global_buffer
      - .offset:         88
        .size:           8
        .value_kind:     by_value
      - .offset:         96
        .size:           8
        .value_kind:     by_value
      - .offset:         104
        .size:           4
        .value_kind:     by_value
    .group_segment_fixed_size: 4096
    .kernarg_segment_align: 8
    .kernarg_segment_size: 108
    .language:       OpenCL C
    .language_version:
      - 2
      - 0
    .max_flat_workgroup_size: 256
    .name:           _ZL41rocblas_syrkx_herkx_small_restrict_kernelIl19rocblas_complex_numIfELi16ELb1ELb0ELc78ELc85EKPKS1_KPS1_EviT_T0_PT6_S7_lSA_S7_lS8_PT7_S7_li
    .private_segment_fixed_size: 0
    .sgpr_count:     26
    .sgpr_spill_count: 0
    .symbol:         _ZL41rocblas_syrkx_herkx_small_restrict_kernelIl19rocblas_complex_numIfELi16ELb1ELb0ELc78ELc85EKPKS1_KPS1_EviT_T0_PT6_S7_lSA_S7_lS8_PT7_S7_li.kd
    .uniform_work_group_size: 1
    .uses_dynamic_stack: false
    .vgpr_count:     68
    .vgpr_spill_count: 0
    .wavefront_size: 64
  - .args:
      - .offset:         0
        .size:           4
        .value_kind:     by_value
      - .offset:         8
        .size:           8
        .value_kind:     by_value
      - .offset:         16
        .size:           8
        .value_kind:     by_value
      - .address_space:  global
        .offset:         24
        .size:           8
        .value_kind:     global_buffer
      - .offset:         32
        .size:           8
        .value_kind:     by_value
      - .offset:         40
        .size:           8
        .value_kind:     by_value
      - .address_space:  global
        .offset:         48
        .size:           8
        .value_kind:     global_buffer
      - .offset:         56
        .size:           8
        .value_kind:     by_value
      - .offset:         64
        .size:           8
        .value_kind:     by_value
      - .offset:         72
        .size:           8
        .value_kind:     by_value
      - .address_space:  global
        .offset:         80
        .size:           8
        .value_kind:     global_buffer
      - .offset:         88
        .size:           8
        .value_kind:     by_value
      - .offset:         96
        .size:           8
        .value_kind:     by_value
      - .offset:         104
        .size:           4
        .value_kind:     by_value
    .group_segment_fixed_size: 4096
    .kernarg_segment_align: 8
    .kernarg_segment_size: 108
    .language:       OpenCL C
    .language_version:
      - 2
      - 0
    .max_flat_workgroup_size: 256
    .name:           _ZL41rocblas_syrkx_herkx_small_restrict_kernelIl19rocblas_complex_numIfELi16ELb0ELb0ELc84ELc76EKPKS1_KPS1_EviT_T0_PT6_S7_lSA_S7_lS8_PT7_S7_li
    .private_segment_fixed_size: 0
    .sgpr_count:     28
    .sgpr_spill_count: 0
    .symbol:         _ZL41rocblas_syrkx_herkx_small_restrict_kernelIl19rocblas_complex_numIfELi16ELb0ELb0ELc84ELc76EKPKS1_KPS1_EviT_T0_PT6_S7_lSA_S7_lS8_PT7_S7_li.kd
    .uniform_work_group_size: 1
    .uses_dynamic_stack: false
    .vgpr_count:     70
    .vgpr_spill_count: 0
    .wavefront_size: 64
  - .args:
      - .offset:         0
        .size:           4
        .value_kind:     by_value
      - .offset:         8
        .size:           8
        .value_kind:     by_value
      - .offset:         16
        .size:           8
        .value_kind:     by_value
      - .address_space:  global
        .offset:         24
        .size:           8
        .value_kind:     global_buffer
      - .offset:         32
        .size:           8
        .value_kind:     by_value
      - .offset:         40
        .size:           8
        .value_kind:     by_value
      - .address_space:  global
        .offset:         48
        .size:           8
        .value_kind:     global_buffer
      - .offset:         56
        .size:           8
        .value_kind:     by_value
      - .offset:         64
        .size:           8
        .value_kind:     by_value
      - .offset:         72
        .size:           8
        .value_kind:     by_value
      - .address_space:  global
        .offset:         80
        .size:           8
        .value_kind:     global_buffer
      - .offset:         88
        .size:           8
        .value_kind:     by_value
      - .offset:         96
        .size:           8
        .value_kind:     by_value
      - .offset:         104
        .size:           4
        .value_kind:     by_value
    .group_segment_fixed_size: 4096
    .kernarg_segment_align: 8
    .kernarg_segment_size: 108
    .language:       OpenCL C
    .language_version:
      - 2
      - 0
    .max_flat_workgroup_size: 256
    .name:           _ZL41rocblas_syrkx_herkx_small_restrict_kernelIl19rocblas_complex_numIfELi16ELb0ELb0ELc67ELc76EKPKS1_KPS1_EviT_T0_PT6_S7_lSA_S7_lS8_PT7_S7_li
    .private_segment_fixed_size: 0
    .sgpr_count:     28
    .sgpr_spill_count: 0
    .symbol:         _ZL41rocblas_syrkx_herkx_small_restrict_kernelIl19rocblas_complex_numIfELi16ELb0ELb0ELc67ELc76EKPKS1_KPS1_EviT_T0_PT6_S7_lSA_S7_lS8_PT7_S7_li.kd
    .uniform_work_group_size: 1
    .uses_dynamic_stack: false
    .vgpr_count:     70
    .vgpr_spill_count: 0
    .wavefront_size: 64
  - .args:
      - .offset:         0
        .size:           4
        .value_kind:     by_value
      - .offset:         8
        .size:           8
        .value_kind:     by_value
      - .offset:         16
        .size:           8
        .value_kind:     by_value
      - .address_space:  global
        .offset:         24
        .size:           8
        .value_kind:     global_buffer
      - .offset:         32
        .size:           8
        .value_kind:     by_value
      - .offset:         40
        .size:           8
        .value_kind:     by_value
      - .address_space:  global
        .offset:         48
        .size:           8
        .value_kind:     global_buffer
      - .offset:         56
        .size:           8
        .value_kind:     by_value
      - .offset:         64
        .size:           8
        .value_kind:     by_value
      - .offset:         72
        .size:           8
        .value_kind:     by_value
      - .address_space:  global
        .offset:         80
        .size:           8
        .value_kind:     global_buffer
      - .offset:         88
        .size:           8
        .value_kind:     by_value
      - .offset:         96
        .size:           8
        .value_kind:     by_value
      - .offset:         104
        .size:           4
        .value_kind:     by_value
    .group_segment_fixed_size: 4096
    .kernarg_segment_align: 8
    .kernarg_segment_size: 108
    .language:       OpenCL C
    .language_version:
      - 2
      - 0
    .max_flat_workgroup_size: 256
    .name:           _ZL41rocblas_syrkx_herkx_small_restrict_kernelIl19rocblas_complex_numIfELi16ELb0ELb0ELc78ELc76EKPKS1_KPS1_EviT_T0_PT6_S7_lSA_S7_lS8_PT7_S7_li
    .private_segment_fixed_size: 0
    .sgpr_count:     30
    .sgpr_spill_count: 0
    .symbol:         _ZL41rocblas_syrkx_herkx_small_restrict_kernelIl19rocblas_complex_numIfELi16ELb0ELb0ELc78ELc76EKPKS1_KPS1_EviT_T0_PT6_S7_lSA_S7_lS8_PT7_S7_li.kd
    .uniform_work_group_size: 1
    .uses_dynamic_stack: false
    .vgpr_count:     68
    .vgpr_spill_count: 0
    .wavefront_size: 64
  - .args:
      - .offset:         0
        .size:           4
        .value_kind:     by_value
      - .offset:         8
        .size:           8
        .value_kind:     by_value
      - .offset:         16
        .size:           8
        .value_kind:     by_value
      - .address_space:  global
        .offset:         24
        .size:           8
        .value_kind:     global_buffer
      - .offset:         32
        .size:           8
        .value_kind:     by_value
      - .offset:         40
        .size:           8
        .value_kind:     by_value
      - .address_space:  global
        .offset:         48
        .size:           8
        .value_kind:     global_buffer
      - .offset:         56
        .size:           8
        .value_kind:     by_value
      - .offset:         64
        .size:           8
        .value_kind:     by_value
      - .offset:         72
        .size:           8
        .value_kind:     by_value
      - .address_space:  global
        .offset:         80
        .size:           8
        .value_kind:     global_buffer
      - .offset:         88
        .size:           8
        .value_kind:     by_value
      - .offset:         96
        .size:           8
        .value_kind:     by_value
      - .offset:         104
        .size:           4
        .value_kind:     by_value
    .group_segment_fixed_size: 4096
    .kernarg_segment_align: 8
    .kernarg_segment_size: 108
    .language:       OpenCL C
    .language_version:
      - 2
      - 0
    .max_flat_workgroup_size: 256
    .name:           _ZL41rocblas_syrkx_herkx_small_restrict_kernelIl19rocblas_complex_numIfELi16ELb0ELb0ELc84ELc85EKPKS1_KPS1_EviT_T0_PT6_S7_lSA_S7_lS8_PT7_S7_li
    .private_segment_fixed_size: 0
    .sgpr_count:     28
    .sgpr_spill_count: 0
    .symbol:         _ZL41rocblas_syrkx_herkx_small_restrict_kernelIl19rocblas_complex_numIfELi16ELb0ELb0ELc84ELc85EKPKS1_KPS1_EviT_T0_PT6_S7_lSA_S7_lS8_PT7_S7_li.kd
    .uniform_work_group_size: 1
    .uses_dynamic_stack: false
    .vgpr_count:     70
    .vgpr_spill_count: 0
    .wavefront_size: 64
  - .args:
      - .offset:         0
        .size:           4
        .value_kind:     by_value
      - .offset:         8
        .size:           8
        .value_kind:     by_value
      - .offset:         16
        .size:           8
        .value_kind:     by_value
      - .address_space:  global
        .offset:         24
        .size:           8
        .value_kind:     global_buffer
      - .offset:         32
        .size:           8
        .value_kind:     by_value
      - .offset:         40
        .size:           8
        .value_kind:     by_value
      - .address_space:  global
        .offset:         48
        .size:           8
        .value_kind:     global_buffer
      - .offset:         56
        .size:           8
        .value_kind:     by_value
      - .offset:         64
        .size:           8
        .value_kind:     by_value
      - .offset:         72
        .size:           8
        .value_kind:     by_value
      - .address_space:  global
        .offset:         80
        .size:           8
        .value_kind:     global_buffer
      - .offset:         88
        .size:           8
        .value_kind:     by_value
      - .offset:         96
        .size:           8
        .value_kind:     by_value
      - .offset:         104
        .size:           4
        .value_kind:     by_value
    .group_segment_fixed_size: 4096
    .kernarg_segment_align: 8
    .kernarg_segment_size: 108
    .language:       OpenCL C
    .language_version:
      - 2
      - 0
    .max_flat_workgroup_size: 256
    .name:           _ZL41rocblas_syrkx_herkx_small_restrict_kernelIl19rocblas_complex_numIfELi16ELb0ELb0ELc67ELc85EKPKS1_KPS1_EviT_T0_PT6_S7_lSA_S7_lS8_PT7_S7_li
    .private_segment_fixed_size: 0
    .sgpr_count:     28
    .sgpr_spill_count: 0
    .symbol:         _ZL41rocblas_syrkx_herkx_small_restrict_kernelIl19rocblas_complex_numIfELi16ELb0ELb0ELc67ELc85EKPKS1_KPS1_EviT_T0_PT6_S7_lSA_S7_lS8_PT7_S7_li.kd
    .uniform_work_group_size: 1
    .uses_dynamic_stack: false
    .vgpr_count:     70
    .vgpr_spill_count: 0
    .wavefront_size: 64
  - .args:
      - .offset:         0
        .size:           4
        .value_kind:     by_value
      - .offset:         8
        .size:           8
        .value_kind:     by_value
      - .offset:         16
        .size:           8
        .value_kind:     by_value
      - .address_space:  global
        .offset:         24
        .size:           8
        .value_kind:     global_buffer
      - .offset:         32
        .size:           8
        .value_kind:     by_value
      - .offset:         40
        .size:           8
        .value_kind:     by_value
      - .address_space:  global
        .offset:         48
        .size:           8
        .value_kind:     global_buffer
      - .offset:         56
        .size:           8
        .value_kind:     by_value
      - .offset:         64
        .size:           8
        .value_kind:     by_value
      - .offset:         72
        .size:           8
        .value_kind:     by_value
      - .address_space:  global
        .offset:         80
        .size:           8
        .value_kind:     global_buffer
      - .offset:         88
        .size:           8
        .value_kind:     by_value
      - .offset:         96
        .size:           8
        .value_kind:     by_value
      - .offset:         104
        .size:           4
        .value_kind:     by_value
    .group_segment_fixed_size: 4096
    .kernarg_segment_align: 8
    .kernarg_segment_size: 108
    .language:       OpenCL C
    .language_version:
      - 2
      - 0
    .max_flat_workgroup_size: 256
    .name:           _ZL41rocblas_syrkx_herkx_small_restrict_kernelIl19rocblas_complex_numIfELi16ELb0ELb0ELc78ELc85EKPKS1_KPS1_EviT_T0_PT6_S7_lSA_S7_lS8_PT7_S7_li
    .private_segment_fixed_size: 0
    .sgpr_count:     30
    .sgpr_spill_count: 0
    .symbol:         _ZL41rocblas_syrkx_herkx_small_restrict_kernelIl19rocblas_complex_numIfELi16ELb0ELb0ELc78ELc85EKPKS1_KPS1_EviT_T0_PT6_S7_lSA_S7_lS8_PT7_S7_li.kd
    .uniform_work_group_size: 1
    .uses_dynamic_stack: false
    .vgpr_count:     68
    .vgpr_spill_count: 0
    .wavefront_size: 64
  - .args:
      - .offset:         0
        .size:           4
        .value_kind:     by_value
      - .offset:         8
        .size:           8
        .value_kind:     by_value
      - .offset:         16
        .size:           8
        .value_kind:     by_value
      - .address_space:  global
        .offset:         24
        .size:           8
        .value_kind:     global_buffer
      - .offset:         32
        .size:           8
        .value_kind:     by_value
      - .offset:         40
        .size:           8
        .value_kind:     by_value
      - .address_space:  global
        .offset:         48
        .size:           8
        .value_kind:     global_buffer
      - .offset:         56
        .size:           8
        .value_kind:     by_value
      - .offset:         64
        .size:           8
        .value_kind:     by_value
      - .offset:         72
        .size:           8
        .value_kind:     by_value
      - .address_space:  global
        .offset:         80
        .size:           8
        .value_kind:     global_buffer
      - .offset:         88
        .size:           8
        .value_kind:     by_value
      - .offset:         96
        .size:           8
        .value_kind:     by_value
      - .offset:         104
        .size:           4
        .value_kind:     by_value
    .group_segment_fixed_size: 4096
    .kernarg_segment_align: 8
    .kernarg_segment_size: 108
    .language:       OpenCL C
    .language_version:
      - 2
      - 0
    .max_flat_workgroup_size: 256
    .name:           _ZL32rocblas_syrkx_herkx_small_kernelIl19rocblas_complex_numIfELi16ELb1ELb0ELc84ELc76EKPKS1_KPS1_EviT_T0_PT6_S7_lSA_S7_lS8_PT7_S7_li
    .private_segment_fixed_size: 0
    .sgpr_count:     28
    .sgpr_spill_count: 0
    .symbol:         _ZL32rocblas_syrkx_herkx_small_kernelIl19rocblas_complex_numIfELi16ELb1ELb0ELc84ELc76EKPKS1_KPS1_EviT_T0_PT6_S7_lSA_S7_lS8_PT7_S7_li.kd
    .uniform_work_group_size: 1
    .uses_dynamic_stack: false
    .vgpr_count:     56
    .vgpr_spill_count: 0
    .wavefront_size: 64
  - .args:
      - .offset:         0
        .size:           4
        .value_kind:     by_value
      - .offset:         8
        .size:           8
        .value_kind:     by_value
      - .offset:         16
        .size:           8
        .value_kind:     by_value
      - .address_space:  global
        .offset:         24
        .size:           8
        .value_kind:     global_buffer
      - .offset:         32
        .size:           8
        .value_kind:     by_value
      - .offset:         40
        .size:           8
        .value_kind:     by_value
      - .address_space:  global
        .offset:         48
        .size:           8
        .value_kind:     global_buffer
      - .offset:         56
        .size:           8
        .value_kind:     by_value
      - .offset:         64
        .size:           8
        .value_kind:     by_value
      - .offset:         72
        .size:           8
        .value_kind:     by_value
      - .address_space:  global
        .offset:         80
        .size:           8
        .value_kind:     global_buffer
      - .offset:         88
        .size:           8
        .value_kind:     by_value
      - .offset:         96
        .size:           8
        .value_kind:     by_value
      - .offset:         104
        .size:           4
        .value_kind:     by_value
    .group_segment_fixed_size: 4096
    .kernarg_segment_align: 8
    .kernarg_segment_size: 108
    .language:       OpenCL C
    .language_version:
      - 2
      - 0
    .max_flat_workgroup_size: 256
    .name:           _ZL32rocblas_syrkx_herkx_small_kernelIl19rocblas_complex_numIfELi16ELb1ELb0ELc67ELc76EKPKS1_KPS1_EviT_T0_PT6_S7_lSA_S7_lS8_PT7_S7_li
    .private_segment_fixed_size: 0
    .sgpr_count:     28
    .sgpr_spill_count: 0
    .symbol:         _ZL32rocblas_syrkx_herkx_small_kernelIl19rocblas_complex_numIfELi16ELb1ELb0ELc67ELc76EKPKS1_KPS1_EviT_T0_PT6_S7_lSA_S7_lS8_PT7_S7_li.kd
    .uniform_work_group_size: 1
    .uses_dynamic_stack: false
    .vgpr_count:     56
    .vgpr_spill_count: 0
    .wavefront_size: 64
  - .args:
      - .offset:         0
        .size:           4
        .value_kind:     by_value
      - .offset:         8
        .size:           8
        .value_kind:     by_value
      - .offset:         16
        .size:           8
        .value_kind:     by_value
      - .address_space:  global
        .offset:         24
        .size:           8
        .value_kind:     global_buffer
      - .offset:         32
        .size:           8
        .value_kind:     by_value
      - .offset:         40
        .size:           8
        .value_kind:     by_value
      - .address_space:  global
        .offset:         48
        .size:           8
        .value_kind:     global_buffer
      - .offset:         56
        .size:           8
        .value_kind:     by_value
      - .offset:         64
        .size:           8
        .value_kind:     by_value
      - .offset:         72
        .size:           8
        .value_kind:     by_value
      - .address_space:  global
        .offset:         80
        .size:           8
        .value_kind:     global_buffer
      - .offset:         88
        .size:           8
        .value_kind:     by_value
      - .offset:         96
        .size:           8
        .value_kind:     by_value
      - .offset:         104
        .size:           4
        .value_kind:     by_value
    .group_segment_fixed_size: 4096
    .kernarg_segment_align: 8
    .kernarg_segment_size: 108
    .language:       OpenCL C
    .language_version:
      - 2
      - 0
    .max_flat_workgroup_size: 256
    .name:           _ZL32rocblas_syrkx_herkx_small_kernelIl19rocblas_complex_numIfELi16ELb1ELb0ELc78ELc76EKPKS1_KPS1_EviT_T0_PT6_S7_lSA_S7_lS8_PT7_S7_li
    .private_segment_fixed_size: 0
    .sgpr_count:     29
    .sgpr_spill_count: 0
    .symbol:         _ZL32rocblas_syrkx_herkx_small_kernelIl19rocblas_complex_numIfELi16ELb1ELb0ELc78ELc76EKPKS1_KPS1_EviT_T0_PT6_S7_lSA_S7_lS8_PT7_S7_li.kd
    .uniform_work_group_size: 1
    .uses_dynamic_stack: false
    .vgpr_count:     62
    .vgpr_spill_count: 0
    .wavefront_size: 64
  - .args:
      - .offset:         0
        .size:           4
        .value_kind:     by_value
      - .offset:         8
        .size:           8
        .value_kind:     by_value
      - .offset:         16
        .size:           8
        .value_kind:     by_value
      - .address_space:  global
        .offset:         24
        .size:           8
        .value_kind:     global_buffer
      - .offset:         32
        .size:           8
        .value_kind:     by_value
      - .offset:         40
        .size:           8
        .value_kind:     by_value
      - .address_space:  global
        .offset:         48
        .size:           8
        .value_kind:     global_buffer
      - .offset:         56
        .size:           8
        .value_kind:     by_value
      - .offset:         64
        .size:           8
        .value_kind:     by_value
      - .offset:         72
        .size:           8
        .value_kind:     by_value
      - .address_space:  global
        .offset:         80
        .size:           8
        .value_kind:     global_buffer
      - .offset:         88
        .size:           8
        .value_kind:     by_value
      - .offset:         96
        .size:           8
        .value_kind:     by_value
      - .offset:         104
        .size:           4
        .value_kind:     by_value
    .group_segment_fixed_size: 4096
    .kernarg_segment_align: 8
    .kernarg_segment_size: 108
    .language:       OpenCL C
    .language_version:
      - 2
      - 0
    .max_flat_workgroup_size: 256
    .name:           _ZL32rocblas_syrkx_herkx_small_kernelIl19rocblas_complex_numIfELi16ELb1ELb0ELc84ELc85EKPKS1_KPS1_EviT_T0_PT6_S7_lSA_S7_lS8_PT7_S7_li
    .private_segment_fixed_size: 0
    .sgpr_count:     28
    .sgpr_spill_count: 0
    .symbol:         _ZL32rocblas_syrkx_herkx_small_kernelIl19rocblas_complex_numIfELi16ELb1ELb0ELc84ELc85EKPKS1_KPS1_EviT_T0_PT6_S7_lSA_S7_lS8_PT7_S7_li.kd
    .uniform_work_group_size: 1
    .uses_dynamic_stack: false
    .vgpr_count:     56
    .vgpr_spill_count: 0
    .wavefront_size: 64
  - .args:
      - .offset:         0
        .size:           4
        .value_kind:     by_value
      - .offset:         8
        .size:           8
        .value_kind:     by_value
      - .offset:         16
        .size:           8
        .value_kind:     by_value
      - .address_space:  global
        .offset:         24
        .size:           8
        .value_kind:     global_buffer
      - .offset:         32
        .size:           8
        .value_kind:     by_value
      - .offset:         40
        .size:           8
        .value_kind:     by_value
      - .address_space:  global
        .offset:         48
        .size:           8
        .value_kind:     global_buffer
      - .offset:         56
        .size:           8
        .value_kind:     by_value
      - .offset:         64
        .size:           8
        .value_kind:     by_value
      - .offset:         72
        .size:           8
        .value_kind:     by_value
      - .address_space:  global
        .offset:         80
        .size:           8
        .value_kind:     global_buffer
      - .offset:         88
        .size:           8
        .value_kind:     by_value
      - .offset:         96
        .size:           8
        .value_kind:     by_value
      - .offset:         104
        .size:           4
        .value_kind:     by_value
    .group_segment_fixed_size: 4096
    .kernarg_segment_align: 8
    .kernarg_segment_size: 108
    .language:       OpenCL C
    .language_version:
      - 2
      - 0
    .max_flat_workgroup_size: 256
    .name:           _ZL32rocblas_syrkx_herkx_small_kernelIl19rocblas_complex_numIfELi16ELb1ELb0ELc67ELc85EKPKS1_KPS1_EviT_T0_PT6_S7_lSA_S7_lS8_PT7_S7_li
    .private_segment_fixed_size: 0
    .sgpr_count:     29
    .sgpr_spill_count: 0
    .symbol:         _ZL32rocblas_syrkx_herkx_small_kernelIl19rocblas_complex_numIfELi16ELb1ELb0ELc67ELc85EKPKS1_KPS1_EviT_T0_PT6_S7_lSA_S7_lS8_PT7_S7_li.kd
    .uniform_work_group_size: 1
    .uses_dynamic_stack: false
    .vgpr_count:     56
    .vgpr_spill_count: 0
    .wavefront_size: 64
  - .args:
      - .offset:         0
        .size:           4
        .value_kind:     by_value
      - .offset:         8
        .size:           8
        .value_kind:     by_value
      - .offset:         16
        .size:           8
        .value_kind:     by_value
      - .address_space:  global
        .offset:         24
        .size:           8
        .value_kind:     global_buffer
      - .offset:         32
        .size:           8
        .value_kind:     by_value
      - .offset:         40
        .size:           8
        .value_kind:     by_value
      - .address_space:  global
        .offset:         48
        .size:           8
        .value_kind:     global_buffer
      - .offset:         56
        .size:           8
        .value_kind:     by_value
      - .offset:         64
        .size:           8
        .value_kind:     by_value
      - .offset:         72
        .size:           8
        .value_kind:     by_value
      - .address_space:  global
        .offset:         80
        .size:           8
        .value_kind:     global_buffer
      - .offset:         88
        .size:           8
        .value_kind:     by_value
      - .offset:         96
        .size:           8
        .value_kind:     by_value
      - .offset:         104
        .size:           4
        .value_kind:     by_value
    .group_segment_fixed_size: 4096
    .kernarg_segment_align: 8
    .kernarg_segment_size: 108
    .language:       OpenCL C
    .language_version:
      - 2
      - 0
    .max_flat_workgroup_size: 256
    .name:           _ZL32rocblas_syrkx_herkx_small_kernelIl19rocblas_complex_numIfELi16ELb1ELb0ELc78ELc85EKPKS1_KPS1_EviT_T0_PT6_S7_lSA_S7_lS8_PT7_S7_li
    .private_segment_fixed_size: 0
    .sgpr_count:     29
    .sgpr_spill_count: 0
    .symbol:         _ZL32rocblas_syrkx_herkx_small_kernelIl19rocblas_complex_numIfELi16ELb1ELb0ELc78ELc85EKPKS1_KPS1_EviT_T0_PT6_S7_lSA_S7_lS8_PT7_S7_li.kd
    .uniform_work_group_size: 1
    .uses_dynamic_stack: false
    .vgpr_count:     62
    .vgpr_spill_count: 0
    .wavefront_size: 64
  - .args:
      - .offset:         0
        .size:           4
        .value_kind:     by_value
      - .offset:         8
        .size:           8
        .value_kind:     by_value
      - .offset:         16
        .size:           8
        .value_kind:     by_value
      - .address_space:  global
        .offset:         24
        .size:           8
        .value_kind:     global_buffer
      - .offset:         32
        .size:           8
        .value_kind:     by_value
      - .offset:         40
        .size:           8
        .value_kind:     by_value
      - .address_space:  global
        .offset:         48
        .size:           8
        .value_kind:     global_buffer
      - .offset:         56
        .size:           8
        .value_kind:     by_value
      - .offset:         64
        .size:           8
        .value_kind:     by_value
      - .offset:         72
        .size:           8
        .value_kind:     by_value
      - .address_space:  global
        .offset:         80
        .size:           8
        .value_kind:     global_buffer
      - .offset:         88
        .size:           8
        .value_kind:     by_value
      - .offset:         96
        .size:           8
        .value_kind:     by_value
      - .offset:         104
        .size:           4
        .value_kind:     by_value
    .group_segment_fixed_size: 4096
    .kernarg_segment_align: 8
    .kernarg_segment_size: 108
    .language:       OpenCL C
    .language_version:
      - 2
      - 0
    .max_flat_workgroup_size: 256
    .name:           _ZL32rocblas_syrkx_herkx_small_kernelIl19rocblas_complex_numIfELi16ELb0ELb0ELc84ELc76EKPKS1_KPS1_EviT_T0_PT6_S7_lSA_S7_lS8_PT7_S7_li
    .private_segment_fixed_size: 0
    .sgpr_count:     29
    .sgpr_spill_count: 0
    .symbol:         _ZL32rocblas_syrkx_herkx_small_kernelIl19rocblas_complex_numIfELi16ELb0ELb0ELc84ELc76EKPKS1_KPS1_EviT_T0_PT6_S7_lSA_S7_lS8_PT7_S7_li.kd
    .uniform_work_group_size: 1
    .uses_dynamic_stack: false
    .vgpr_count:     56
    .vgpr_spill_count: 0
    .wavefront_size: 64
  - .args:
      - .offset:         0
        .size:           4
        .value_kind:     by_value
      - .offset:         8
        .size:           8
        .value_kind:     by_value
      - .offset:         16
        .size:           8
        .value_kind:     by_value
      - .address_space:  global
        .offset:         24
        .size:           8
        .value_kind:     global_buffer
      - .offset:         32
        .size:           8
        .value_kind:     by_value
      - .offset:         40
        .size:           8
        .value_kind:     by_value
      - .address_space:  global
        .offset:         48
        .size:           8
        .value_kind:     global_buffer
      - .offset:         56
        .size:           8
        .value_kind:     by_value
      - .offset:         64
        .size:           8
        .value_kind:     by_value
      - .offset:         72
        .size:           8
        .value_kind:     by_value
      - .address_space:  global
        .offset:         80
        .size:           8
        .value_kind:     global_buffer
      - .offset:         88
        .size:           8
        .value_kind:     by_value
      - .offset:         96
        .size:           8
        .value_kind:     by_value
      - .offset:         104
        .size:           4
        .value_kind:     by_value
    .group_segment_fixed_size: 4096
    .kernarg_segment_align: 8
    .kernarg_segment_size: 108
    .language:       OpenCL C
    .language_version:
      - 2
      - 0
    .max_flat_workgroup_size: 256
    .name:           _ZL32rocblas_syrkx_herkx_small_kernelIl19rocblas_complex_numIfELi16ELb0ELb0ELc67ELc76EKPKS1_KPS1_EviT_T0_PT6_S7_lSA_S7_lS8_PT7_S7_li
    .private_segment_fixed_size: 0
    .sgpr_count:     29
    .sgpr_spill_count: 0
    .symbol:         _ZL32rocblas_syrkx_herkx_small_kernelIl19rocblas_complex_numIfELi16ELb0ELb0ELc67ELc76EKPKS1_KPS1_EviT_T0_PT6_S7_lSA_S7_lS8_PT7_S7_li.kd
    .uniform_work_group_size: 1
    .uses_dynamic_stack: false
    .vgpr_count:     56
    .vgpr_spill_count: 0
    .wavefront_size: 64
  - .args:
      - .offset:         0
        .size:           4
        .value_kind:     by_value
      - .offset:         8
        .size:           8
        .value_kind:     by_value
      - .offset:         16
        .size:           8
        .value_kind:     by_value
      - .address_space:  global
        .offset:         24
        .size:           8
        .value_kind:     global_buffer
      - .offset:         32
        .size:           8
        .value_kind:     by_value
      - .offset:         40
        .size:           8
        .value_kind:     by_value
      - .address_space:  global
        .offset:         48
        .size:           8
        .value_kind:     global_buffer
      - .offset:         56
        .size:           8
        .value_kind:     by_value
      - .offset:         64
        .size:           8
        .value_kind:     by_value
      - .offset:         72
        .size:           8
        .value_kind:     by_value
      - .address_space:  global
        .offset:         80
        .size:           8
        .value_kind:     global_buffer
      - .offset:         88
        .size:           8
        .value_kind:     by_value
      - .offset:         96
        .size:           8
        .value_kind:     by_value
      - .offset:         104
        .size:           4
        .value_kind:     by_value
    .group_segment_fixed_size: 4096
    .kernarg_segment_align: 8
    .kernarg_segment_size: 108
    .language:       OpenCL C
    .language_version:
      - 2
      - 0
    .max_flat_workgroup_size: 256
    .name:           _ZL32rocblas_syrkx_herkx_small_kernelIl19rocblas_complex_numIfELi16ELb0ELb0ELc78ELc76EKPKS1_KPS1_EviT_T0_PT6_S7_lSA_S7_lS8_PT7_S7_li
    .private_segment_fixed_size: 0
    .sgpr_count:     29
    .sgpr_spill_count: 0
    .symbol:         _ZL32rocblas_syrkx_herkx_small_kernelIl19rocblas_complex_numIfELi16ELb0ELb0ELc78ELc76EKPKS1_KPS1_EviT_T0_PT6_S7_lSA_S7_lS8_PT7_S7_li.kd
    .uniform_work_group_size: 1
    .uses_dynamic_stack: false
    .vgpr_count:     62
    .vgpr_spill_count: 0
    .wavefront_size: 64
  - .args:
      - .offset:         0
        .size:           4
        .value_kind:     by_value
      - .offset:         8
        .size:           8
        .value_kind:     by_value
      - .offset:         16
        .size:           8
        .value_kind:     by_value
      - .address_space:  global
        .offset:         24
        .size:           8
        .value_kind:     global_buffer
      - .offset:         32
        .size:           8
        .value_kind:     by_value
      - .offset:         40
        .size:           8
        .value_kind:     by_value
      - .address_space:  global
        .offset:         48
        .size:           8
        .value_kind:     global_buffer
      - .offset:         56
        .size:           8
        .value_kind:     by_value
      - .offset:         64
        .size:           8
        .value_kind:     by_value
      - .offset:         72
        .size:           8
        .value_kind:     by_value
      - .address_space:  global
        .offset:         80
        .size:           8
        .value_kind:     global_buffer
      - .offset:         88
        .size:           8
        .value_kind:     by_value
      - .offset:         96
        .size:           8
        .value_kind:     by_value
      - .offset:         104
        .size:           4
        .value_kind:     by_value
    .group_segment_fixed_size: 4096
    .kernarg_segment_align: 8
    .kernarg_segment_size: 108
    .language:       OpenCL C
    .language_version:
      - 2
      - 0
    .max_flat_workgroup_size: 256
    .name:           _ZL32rocblas_syrkx_herkx_small_kernelIl19rocblas_complex_numIfELi16ELb0ELb0ELc84ELc85EKPKS1_KPS1_EviT_T0_PT6_S7_lSA_S7_lS8_PT7_S7_li
    .private_segment_fixed_size: 0
    .sgpr_count:     29
    .sgpr_spill_count: 0
    .symbol:         _ZL32rocblas_syrkx_herkx_small_kernelIl19rocblas_complex_numIfELi16ELb0ELb0ELc84ELc85EKPKS1_KPS1_EviT_T0_PT6_S7_lSA_S7_lS8_PT7_S7_li.kd
    .uniform_work_group_size: 1
    .uses_dynamic_stack: false
    .vgpr_count:     56
    .vgpr_spill_count: 0
    .wavefront_size: 64
  - .args:
      - .offset:         0
        .size:           4
        .value_kind:     by_value
      - .offset:         8
        .size:           8
        .value_kind:     by_value
      - .offset:         16
        .size:           8
        .value_kind:     by_value
      - .address_space:  global
        .offset:         24
        .size:           8
        .value_kind:     global_buffer
      - .offset:         32
        .size:           8
        .value_kind:     by_value
      - .offset:         40
        .size:           8
        .value_kind:     by_value
      - .address_space:  global
        .offset:         48
        .size:           8
        .value_kind:     global_buffer
      - .offset:         56
        .size:           8
        .value_kind:     by_value
      - .offset:         64
        .size:           8
        .value_kind:     by_value
      - .offset:         72
        .size:           8
        .value_kind:     by_value
      - .address_space:  global
        .offset:         80
        .size:           8
        .value_kind:     global_buffer
      - .offset:         88
        .size:           8
        .value_kind:     by_value
      - .offset:         96
        .size:           8
        .value_kind:     by_value
      - .offset:         104
        .size:           4
        .value_kind:     by_value
    .group_segment_fixed_size: 4096
    .kernarg_segment_align: 8
    .kernarg_segment_size: 108
    .language:       OpenCL C
    .language_version:
      - 2
      - 0
    .max_flat_workgroup_size: 256
    .name:           _ZL32rocblas_syrkx_herkx_small_kernelIl19rocblas_complex_numIfELi16ELb0ELb0ELc67ELc85EKPKS1_KPS1_EviT_T0_PT6_S7_lSA_S7_lS8_PT7_S7_li
    .private_segment_fixed_size: 0
    .sgpr_count:     31
    .sgpr_spill_count: 0
    .symbol:         _ZL32rocblas_syrkx_herkx_small_kernelIl19rocblas_complex_numIfELi16ELb0ELb0ELc67ELc85EKPKS1_KPS1_EviT_T0_PT6_S7_lSA_S7_lS8_PT7_S7_li.kd
    .uniform_work_group_size: 1
    .uses_dynamic_stack: false
    .vgpr_count:     56
    .vgpr_spill_count: 0
    .wavefront_size: 64
  - .args:
      - .offset:         0
        .size:           4
        .value_kind:     by_value
      - .offset:         8
        .size:           8
        .value_kind:     by_value
      - .offset:         16
        .size:           8
        .value_kind:     by_value
      - .address_space:  global
        .offset:         24
        .size:           8
        .value_kind:     global_buffer
      - .offset:         32
        .size:           8
        .value_kind:     by_value
      - .offset:         40
        .size:           8
        .value_kind:     by_value
      - .address_space:  global
        .offset:         48
        .size:           8
        .value_kind:     global_buffer
      - .offset:         56
        .size:           8
        .value_kind:     by_value
      - .offset:         64
        .size:           8
        .value_kind:     by_value
      - .offset:         72
        .size:           8
        .value_kind:     by_value
      - .address_space:  global
        .offset:         80
        .size:           8
        .value_kind:     global_buffer
      - .offset:         88
        .size:           8
        .value_kind:     by_value
      - .offset:         96
        .size:           8
        .value_kind:     by_value
      - .offset:         104
        .size:           4
        .value_kind:     by_value
    .group_segment_fixed_size: 4096
    .kernarg_segment_align: 8
    .kernarg_segment_size: 108
    .language:       OpenCL C
    .language_version:
      - 2
      - 0
    .max_flat_workgroup_size: 256
    .name:           _ZL32rocblas_syrkx_herkx_small_kernelIl19rocblas_complex_numIfELi16ELb0ELb0ELc78ELc85EKPKS1_KPS1_EviT_T0_PT6_S7_lSA_S7_lS8_PT7_S7_li
    .private_segment_fixed_size: 0
    .sgpr_count:     29
    .sgpr_spill_count: 0
    .symbol:         _ZL32rocblas_syrkx_herkx_small_kernelIl19rocblas_complex_numIfELi16ELb0ELb0ELc78ELc85EKPKS1_KPS1_EviT_T0_PT6_S7_lSA_S7_lS8_PT7_S7_li.kd
    .uniform_work_group_size: 1
    .uses_dynamic_stack: false
    .vgpr_count:     62
    .vgpr_spill_count: 0
    .wavefront_size: 64
  - .args:
      - .offset:         0
        .size:           4
        .value_kind:     by_value
      - .offset:         8
        .size:           8
        .value_kind:     by_value
      - .offset:         16
        .size:           8
        .value_kind:     by_value
      - .address_space:  global
        .offset:         24
        .size:           8
        .value_kind:     global_buffer
      - .offset:         32
        .size:           8
        .value_kind:     by_value
      - .offset:         40
        .size:           8
        .value_kind:     by_value
      - .address_space:  global
        .offset:         48
        .size:           8
        .value_kind:     global_buffer
      - .offset:         56
        .size:           8
        .value_kind:     by_value
      - .offset:         64
        .size:           8
        .value_kind:     by_value
      - .offset:         72
        .size:           8
        .value_kind:     by_value
      - .address_space:  global
        .offset:         80
        .size:           8
        .value_kind:     global_buffer
      - .offset:         88
        .size:           8
        .value_kind:     by_value
      - .offset:         96
        .size:           8
        .value_kind:     by_value
      - .offset:         104
        .size:           4
        .value_kind:     by_value
    .group_segment_fixed_size: 4096
    .kernarg_segment_align: 8
    .kernarg_segment_size: 108
    .language:       OpenCL C
    .language_version:
      - 2
      - 0
    .max_flat_workgroup_size: 256
    .name:           _ZL34rocblas_syrkx_herkx_general_kernelIl19rocblas_complex_numIfELi16ELi32ELi8ELb1ELb0ELc84ELc76EKPKS1_KPS1_EviT_T0_PT8_S7_lSA_S7_lS8_PT9_S7_li
    .private_segment_fixed_size: 0
    .sgpr_count:     28
    .sgpr_spill_count: 0
    .symbol:         _ZL34rocblas_syrkx_herkx_general_kernelIl19rocblas_complex_numIfELi16ELi32ELi8ELb1ELb0ELc84ELc76EKPKS1_KPS1_EviT_T0_PT8_S7_lSA_S7_lS8_PT9_S7_li.kd
    .uniform_work_group_size: 1
    .uses_dynamic_stack: false
    .vgpr_count:     50
    .vgpr_spill_count: 0
    .wavefront_size: 64
  - .args:
      - .offset:         0
        .size:           4
        .value_kind:     by_value
      - .offset:         8
        .size:           8
        .value_kind:     by_value
      - .offset:         16
        .size:           8
        .value_kind:     by_value
      - .address_space:  global
        .offset:         24
        .size:           8
        .value_kind:     global_buffer
      - .offset:         32
        .size:           8
        .value_kind:     by_value
      - .offset:         40
        .size:           8
        .value_kind:     by_value
      - .address_space:  global
        .offset:         48
        .size:           8
        .value_kind:     global_buffer
      - .offset:         56
        .size:           8
        .value_kind:     by_value
      - .offset:         64
        .size:           8
        .value_kind:     by_value
      - .offset:         72
        .size:           8
        .value_kind:     by_value
      - .address_space:  global
        .offset:         80
        .size:           8
        .value_kind:     global_buffer
      - .offset:         88
        .size:           8
        .value_kind:     by_value
      - .offset:         96
        .size:           8
        .value_kind:     by_value
      - .offset:         104
        .size:           4
        .value_kind:     by_value
    .group_segment_fixed_size: 4096
    .kernarg_segment_align: 8
    .kernarg_segment_size: 108
    .language:       OpenCL C
    .language_version:
      - 2
      - 0
    .max_flat_workgroup_size: 256
    .name:           _ZL34rocblas_syrkx_herkx_general_kernelIl19rocblas_complex_numIfELi16ELi32ELi8ELb1ELb0ELc67ELc76EKPKS1_KPS1_EviT_T0_PT8_S7_lSA_S7_lS8_PT9_S7_li
    .private_segment_fixed_size: 0
    .sgpr_count:     28
    .sgpr_spill_count: 0
    .symbol:         _ZL34rocblas_syrkx_herkx_general_kernelIl19rocblas_complex_numIfELi16ELi32ELi8ELb1ELb0ELc67ELc76EKPKS1_KPS1_EviT_T0_PT8_S7_lSA_S7_lS8_PT9_S7_li.kd
    .uniform_work_group_size: 1
    .uses_dynamic_stack: false
    .vgpr_count:     50
    .vgpr_spill_count: 0
    .wavefront_size: 64
  - .args:
      - .offset:         0
        .size:           4
        .value_kind:     by_value
      - .offset:         8
        .size:           8
        .value_kind:     by_value
      - .offset:         16
        .size:           8
        .value_kind:     by_value
      - .address_space:  global
        .offset:         24
        .size:           8
        .value_kind:     global_buffer
      - .offset:         32
        .size:           8
        .value_kind:     by_value
      - .offset:         40
        .size:           8
        .value_kind:     by_value
      - .address_space:  global
        .offset:         48
        .size:           8
        .value_kind:     global_buffer
      - .offset:         56
        .size:           8
        .value_kind:     by_value
      - .offset:         64
        .size:           8
        .value_kind:     by_value
      - .offset:         72
        .size:           8
        .value_kind:     by_value
      - .address_space:  global
        .offset:         80
        .size:           8
        .value_kind:     global_buffer
      - .offset:         88
        .size:           8
        .value_kind:     by_value
      - .offset:         96
        .size:           8
        .value_kind:     by_value
      - .offset:         104
        .size:           4
        .value_kind:     by_value
    .group_segment_fixed_size: 4096
    .kernarg_segment_align: 8
    .kernarg_segment_size: 108
    .language:       OpenCL C
    .language_version:
      - 2
      - 0
    .max_flat_workgroup_size: 256
    .name:           _ZL34rocblas_syrkx_herkx_general_kernelIl19rocblas_complex_numIfELi16ELi32ELi8ELb1ELb0ELc78ELc76EKPKS1_KPS1_EviT_T0_PT8_S7_lSA_S7_lS8_PT9_S7_li
    .private_segment_fixed_size: 0
    .sgpr_count:     29
    .sgpr_spill_count: 0
    .symbol:         _ZL34rocblas_syrkx_herkx_general_kernelIl19rocblas_complex_numIfELi16ELi32ELi8ELb1ELb0ELc78ELc76EKPKS1_KPS1_EviT_T0_PT8_S7_lSA_S7_lS8_PT9_S7_li.kd
    .uniform_work_group_size: 1
    .uses_dynamic_stack: false
    .vgpr_count:     48
    .vgpr_spill_count: 0
    .wavefront_size: 64
  - .args:
      - .offset:         0
        .size:           4
        .value_kind:     by_value
      - .offset:         8
        .size:           8
        .value_kind:     by_value
      - .offset:         16
        .size:           8
        .value_kind:     by_value
      - .address_space:  global
        .offset:         24
        .size:           8
        .value_kind:     global_buffer
      - .offset:         32
        .size:           8
        .value_kind:     by_value
      - .offset:         40
        .size:           8
        .value_kind:     by_value
      - .address_space:  global
        .offset:         48
        .size:           8
        .value_kind:     global_buffer
      - .offset:         56
        .size:           8
        .value_kind:     by_value
      - .offset:         64
        .size:           8
        .value_kind:     by_value
      - .offset:         72
        .size:           8
        .value_kind:     by_value
      - .address_space:  global
        .offset:         80
        .size:           8
        .value_kind:     global_buffer
      - .offset:         88
        .size:           8
        .value_kind:     by_value
      - .offset:         96
        .size:           8
        .value_kind:     by_value
      - .offset:         104
        .size:           4
        .value_kind:     by_value
    .group_segment_fixed_size: 4096
    .kernarg_segment_align: 8
    .kernarg_segment_size: 108
    .language:       OpenCL C
    .language_version:
      - 2
      - 0
    .max_flat_workgroup_size: 256
    .name:           _ZL34rocblas_syrkx_herkx_general_kernelIl19rocblas_complex_numIfELi16ELi32ELi8ELb1ELb0ELc84ELc85EKPKS1_KPS1_EviT_T0_PT8_S7_lSA_S7_lS8_PT9_S7_li
    .private_segment_fixed_size: 0
    .sgpr_count:     28
    .sgpr_spill_count: 0
    .symbol:         _ZL34rocblas_syrkx_herkx_general_kernelIl19rocblas_complex_numIfELi16ELi32ELi8ELb1ELb0ELc84ELc85EKPKS1_KPS1_EviT_T0_PT8_S7_lSA_S7_lS8_PT9_S7_li.kd
    .uniform_work_group_size: 1
    .uses_dynamic_stack: false
    .vgpr_count:     50
    .vgpr_spill_count: 0
    .wavefront_size: 64
  - .args:
      - .offset:         0
        .size:           4
        .value_kind:     by_value
      - .offset:         8
        .size:           8
        .value_kind:     by_value
      - .offset:         16
        .size:           8
        .value_kind:     by_value
      - .address_space:  global
        .offset:         24
        .size:           8
        .value_kind:     global_buffer
      - .offset:         32
        .size:           8
        .value_kind:     by_value
      - .offset:         40
        .size:           8
        .value_kind:     by_value
      - .address_space:  global
        .offset:         48
        .size:           8
        .value_kind:     global_buffer
      - .offset:         56
        .size:           8
        .value_kind:     by_value
      - .offset:         64
        .size:           8
        .value_kind:     by_value
      - .offset:         72
        .size:           8
        .value_kind:     by_value
      - .address_space:  global
        .offset:         80
        .size:           8
        .value_kind:     global_buffer
      - .offset:         88
        .size:           8
        .value_kind:     by_value
      - .offset:         96
        .size:           8
        .value_kind:     by_value
      - .offset:         104
        .size:           4
        .value_kind:     by_value
    .group_segment_fixed_size: 4096
    .kernarg_segment_align: 8
    .kernarg_segment_size: 108
    .language:       OpenCL C
    .language_version:
      - 2
      - 0
    .max_flat_workgroup_size: 256
    .name:           _ZL34rocblas_syrkx_herkx_general_kernelIl19rocblas_complex_numIfELi16ELi32ELi8ELb1ELb0ELc67ELc85EKPKS1_KPS1_EviT_T0_PT8_S7_lSA_S7_lS8_PT9_S7_li
    .private_segment_fixed_size: 0
    .sgpr_count:     28
    .sgpr_spill_count: 0
    .symbol:         _ZL34rocblas_syrkx_herkx_general_kernelIl19rocblas_complex_numIfELi16ELi32ELi8ELb1ELb0ELc67ELc85EKPKS1_KPS1_EviT_T0_PT8_S7_lSA_S7_lS8_PT9_S7_li.kd
    .uniform_work_group_size: 1
    .uses_dynamic_stack: false
    .vgpr_count:     50
    .vgpr_spill_count: 0
    .wavefront_size: 64
  - .args:
      - .offset:         0
        .size:           4
        .value_kind:     by_value
      - .offset:         8
        .size:           8
        .value_kind:     by_value
      - .offset:         16
        .size:           8
        .value_kind:     by_value
      - .address_space:  global
        .offset:         24
        .size:           8
        .value_kind:     global_buffer
      - .offset:         32
        .size:           8
        .value_kind:     by_value
      - .offset:         40
        .size:           8
        .value_kind:     by_value
      - .address_space:  global
        .offset:         48
        .size:           8
        .value_kind:     global_buffer
      - .offset:         56
        .size:           8
        .value_kind:     by_value
      - .offset:         64
        .size:           8
        .value_kind:     by_value
      - .offset:         72
        .size:           8
        .value_kind:     by_value
      - .address_space:  global
        .offset:         80
        .size:           8
        .value_kind:     global_buffer
      - .offset:         88
        .size:           8
        .value_kind:     by_value
      - .offset:         96
        .size:           8
        .value_kind:     by_value
      - .offset:         104
        .size:           4
        .value_kind:     by_value
    .group_segment_fixed_size: 4096
    .kernarg_segment_align: 8
    .kernarg_segment_size: 108
    .language:       OpenCL C
    .language_version:
      - 2
      - 0
    .max_flat_workgroup_size: 256
    .name:           _ZL34rocblas_syrkx_herkx_general_kernelIl19rocblas_complex_numIfELi16ELi32ELi8ELb1ELb0ELc78ELc85EKPKS1_KPS1_EviT_T0_PT8_S7_lSA_S7_lS8_PT9_S7_li
    .private_segment_fixed_size: 0
    .sgpr_count:     29
    .sgpr_spill_count: 0
    .symbol:         _ZL34rocblas_syrkx_herkx_general_kernelIl19rocblas_complex_numIfELi16ELi32ELi8ELb1ELb0ELc78ELc85EKPKS1_KPS1_EviT_T0_PT8_S7_lSA_S7_lS8_PT9_S7_li.kd
    .uniform_work_group_size: 1
    .uses_dynamic_stack: false
    .vgpr_count:     48
    .vgpr_spill_count: 0
    .wavefront_size: 64
  - .args:
      - .offset:         0
        .size:           4
        .value_kind:     by_value
      - .offset:         8
        .size:           8
        .value_kind:     by_value
      - .offset:         16
        .size:           8
        .value_kind:     by_value
      - .address_space:  global
        .offset:         24
        .size:           8
        .value_kind:     global_buffer
      - .offset:         32
        .size:           8
        .value_kind:     by_value
      - .offset:         40
        .size:           8
        .value_kind:     by_value
      - .address_space:  global
        .offset:         48
        .size:           8
        .value_kind:     global_buffer
      - .offset:         56
        .size:           8
        .value_kind:     by_value
      - .offset:         64
        .size:           8
        .value_kind:     by_value
      - .offset:         72
        .size:           8
        .value_kind:     by_value
      - .address_space:  global
        .offset:         80
        .size:           8
        .value_kind:     global_buffer
      - .offset:         88
        .size:           8
        .value_kind:     by_value
      - .offset:         96
        .size:           8
        .value_kind:     by_value
      - .offset:         104
        .size:           4
        .value_kind:     by_value
    .group_segment_fixed_size: 4096
    .kernarg_segment_align: 8
    .kernarg_segment_size: 108
    .language:       OpenCL C
    .language_version:
      - 2
      - 0
    .max_flat_workgroup_size: 256
    .name:           _ZL34rocblas_syrkx_herkx_general_kernelIl19rocblas_complex_numIfELi16ELi32ELi8ELb0ELb0ELc84ELc76EKPKS1_KPS1_EviT_T0_PT8_S7_lSA_S7_lS8_PT9_S7_li
    .private_segment_fixed_size: 0
    .sgpr_count:     29
    .sgpr_spill_count: 0
    .symbol:         _ZL34rocblas_syrkx_herkx_general_kernelIl19rocblas_complex_numIfELi16ELi32ELi8ELb0ELb0ELc84ELc76EKPKS1_KPS1_EviT_T0_PT8_S7_lSA_S7_lS8_PT9_S7_li.kd
    .uniform_work_group_size: 1
    .uses_dynamic_stack: false
    .vgpr_count:     50
    .vgpr_spill_count: 0
    .wavefront_size: 64
  - .args:
      - .offset:         0
        .size:           4
        .value_kind:     by_value
      - .offset:         8
        .size:           8
        .value_kind:     by_value
      - .offset:         16
        .size:           8
        .value_kind:     by_value
      - .address_space:  global
        .offset:         24
        .size:           8
        .value_kind:     global_buffer
      - .offset:         32
        .size:           8
        .value_kind:     by_value
      - .offset:         40
        .size:           8
        .value_kind:     by_value
      - .address_space:  global
        .offset:         48
        .size:           8
        .value_kind:     global_buffer
      - .offset:         56
        .size:           8
        .value_kind:     by_value
      - .offset:         64
        .size:           8
        .value_kind:     by_value
      - .offset:         72
        .size:           8
        .value_kind:     by_value
      - .address_space:  global
        .offset:         80
        .size:           8
        .value_kind:     global_buffer
      - .offset:         88
        .size:           8
        .value_kind:     by_value
      - .offset:         96
        .size:           8
        .value_kind:     by_value
      - .offset:         104
        .size:           4
        .value_kind:     by_value
    .group_segment_fixed_size: 4096
    .kernarg_segment_align: 8
    .kernarg_segment_size: 108
    .language:       OpenCL C
    .language_version:
      - 2
      - 0
    .max_flat_workgroup_size: 256
    .name:           _ZL34rocblas_syrkx_herkx_general_kernelIl19rocblas_complex_numIfELi16ELi32ELi8ELb0ELb0ELc67ELc76EKPKS1_KPS1_EviT_T0_PT8_S7_lSA_S7_lS8_PT9_S7_li
    .private_segment_fixed_size: 0
    .sgpr_count:     29
    .sgpr_spill_count: 0
    .symbol:         _ZL34rocblas_syrkx_herkx_general_kernelIl19rocblas_complex_numIfELi16ELi32ELi8ELb0ELb0ELc67ELc76EKPKS1_KPS1_EviT_T0_PT8_S7_lSA_S7_lS8_PT9_S7_li.kd
    .uniform_work_group_size: 1
    .uses_dynamic_stack: false
    .vgpr_count:     50
    .vgpr_spill_count: 0
    .wavefront_size: 64
  - .args:
      - .offset:         0
        .size:           4
        .value_kind:     by_value
      - .offset:         8
        .size:           8
        .value_kind:     by_value
      - .offset:         16
        .size:           8
        .value_kind:     by_value
      - .address_space:  global
        .offset:         24
        .size:           8
        .value_kind:     global_buffer
      - .offset:         32
        .size:           8
        .value_kind:     by_value
      - .offset:         40
        .size:           8
        .value_kind:     by_value
      - .address_space:  global
        .offset:         48
        .size:           8
        .value_kind:     global_buffer
      - .offset:         56
        .size:           8
        .value_kind:     by_value
      - .offset:         64
        .size:           8
        .value_kind:     by_value
      - .offset:         72
        .size:           8
        .value_kind:     by_value
      - .address_space:  global
        .offset:         80
        .size:           8
        .value_kind:     global_buffer
      - .offset:         88
        .size:           8
        .value_kind:     by_value
      - .offset:         96
        .size:           8
        .value_kind:     by_value
      - .offset:         104
        .size:           4
        .value_kind:     by_value
    .group_segment_fixed_size: 4096
    .kernarg_segment_align: 8
    .kernarg_segment_size: 108
    .language:       OpenCL C
    .language_version:
      - 2
      - 0
    .max_flat_workgroup_size: 256
    .name:           _ZL34rocblas_syrkx_herkx_general_kernelIl19rocblas_complex_numIfELi16ELi32ELi8ELb0ELb0ELc78ELc76EKPKS1_KPS1_EviT_T0_PT8_S7_lSA_S7_lS8_PT9_S7_li
    .private_segment_fixed_size: 0
    .sgpr_count:     32
    .sgpr_spill_count: 0
    .symbol:         _ZL34rocblas_syrkx_herkx_general_kernelIl19rocblas_complex_numIfELi16ELi32ELi8ELb0ELb0ELc78ELc76EKPKS1_KPS1_EviT_T0_PT8_S7_lSA_S7_lS8_PT9_S7_li.kd
    .uniform_work_group_size: 1
    .uses_dynamic_stack: false
    .vgpr_count:     48
    .vgpr_spill_count: 0
    .wavefront_size: 64
  - .args:
      - .offset:         0
        .size:           4
        .value_kind:     by_value
      - .offset:         8
        .size:           8
        .value_kind:     by_value
      - .offset:         16
        .size:           8
        .value_kind:     by_value
      - .address_space:  global
        .offset:         24
        .size:           8
        .value_kind:     global_buffer
      - .offset:         32
        .size:           8
        .value_kind:     by_value
      - .offset:         40
        .size:           8
        .value_kind:     by_value
      - .address_space:  global
        .offset:         48
        .size:           8
        .value_kind:     global_buffer
      - .offset:         56
        .size:           8
        .value_kind:     by_value
      - .offset:         64
        .size:           8
        .value_kind:     by_value
      - .offset:         72
        .size:           8
        .value_kind:     by_value
      - .address_space:  global
        .offset:         80
        .size:           8
        .value_kind:     global_buffer
      - .offset:         88
        .size:           8
        .value_kind:     by_value
      - .offset:         96
        .size:           8
        .value_kind:     by_value
      - .offset:         104
        .size:           4
        .value_kind:     by_value
    .group_segment_fixed_size: 4096
    .kernarg_segment_align: 8
    .kernarg_segment_size: 108
    .language:       OpenCL C
    .language_version:
      - 2
      - 0
    .max_flat_workgroup_size: 256
    .name:           _ZL34rocblas_syrkx_herkx_general_kernelIl19rocblas_complex_numIfELi16ELi32ELi8ELb0ELb0ELc84ELc85EKPKS1_KPS1_EviT_T0_PT8_S7_lSA_S7_lS8_PT9_S7_li
    .private_segment_fixed_size: 0
    .sgpr_count:     29
    .sgpr_spill_count: 0
    .symbol:         _ZL34rocblas_syrkx_herkx_general_kernelIl19rocblas_complex_numIfELi16ELi32ELi8ELb0ELb0ELc84ELc85EKPKS1_KPS1_EviT_T0_PT8_S7_lSA_S7_lS8_PT9_S7_li.kd
    .uniform_work_group_size: 1
    .uses_dynamic_stack: false
    .vgpr_count:     50
    .vgpr_spill_count: 0
    .wavefront_size: 64
  - .args:
      - .offset:         0
        .size:           4
        .value_kind:     by_value
      - .offset:         8
        .size:           8
        .value_kind:     by_value
      - .offset:         16
        .size:           8
        .value_kind:     by_value
      - .address_space:  global
        .offset:         24
        .size:           8
        .value_kind:     global_buffer
      - .offset:         32
        .size:           8
        .value_kind:     by_value
      - .offset:         40
        .size:           8
        .value_kind:     by_value
      - .address_space:  global
        .offset:         48
        .size:           8
        .value_kind:     global_buffer
      - .offset:         56
        .size:           8
        .value_kind:     by_value
      - .offset:         64
        .size:           8
        .value_kind:     by_value
      - .offset:         72
        .size:           8
        .value_kind:     by_value
      - .address_space:  global
        .offset:         80
        .size:           8
        .value_kind:     global_buffer
      - .offset:         88
        .size:           8
        .value_kind:     by_value
      - .offset:         96
        .size:           8
        .value_kind:     by_value
      - .offset:         104
        .size:           4
        .value_kind:     by_value
    .group_segment_fixed_size: 4096
    .kernarg_segment_align: 8
    .kernarg_segment_size: 108
    .language:       OpenCL C
    .language_version:
      - 2
      - 0
    .max_flat_workgroup_size: 256
    .name:           _ZL34rocblas_syrkx_herkx_general_kernelIl19rocblas_complex_numIfELi16ELi32ELi8ELb0ELb0ELc67ELc85EKPKS1_KPS1_EviT_T0_PT8_S7_lSA_S7_lS8_PT9_S7_li
    .private_segment_fixed_size: 0
    .sgpr_count:     29
    .sgpr_spill_count: 0
    .symbol:         _ZL34rocblas_syrkx_herkx_general_kernelIl19rocblas_complex_numIfELi16ELi32ELi8ELb0ELb0ELc67ELc85EKPKS1_KPS1_EviT_T0_PT8_S7_lSA_S7_lS8_PT9_S7_li.kd
    .uniform_work_group_size: 1
    .uses_dynamic_stack: false
    .vgpr_count:     50
    .vgpr_spill_count: 0
    .wavefront_size: 64
  - .args:
      - .offset:         0
        .size:           4
        .value_kind:     by_value
      - .offset:         8
        .size:           8
        .value_kind:     by_value
      - .offset:         16
        .size:           8
        .value_kind:     by_value
      - .address_space:  global
        .offset:         24
        .size:           8
        .value_kind:     global_buffer
      - .offset:         32
        .size:           8
        .value_kind:     by_value
      - .offset:         40
        .size:           8
        .value_kind:     by_value
      - .address_space:  global
        .offset:         48
        .size:           8
        .value_kind:     global_buffer
      - .offset:         56
        .size:           8
        .value_kind:     by_value
      - .offset:         64
        .size:           8
        .value_kind:     by_value
      - .offset:         72
        .size:           8
        .value_kind:     by_value
      - .address_space:  global
        .offset:         80
        .size:           8
        .value_kind:     global_buffer
      - .offset:         88
        .size:           8
        .value_kind:     by_value
      - .offset:         96
        .size:           8
        .value_kind:     by_value
      - .offset:         104
        .size:           4
        .value_kind:     by_value
    .group_segment_fixed_size: 4096
    .kernarg_segment_align: 8
    .kernarg_segment_size: 108
    .language:       OpenCL C
    .language_version:
      - 2
      - 0
    .max_flat_workgroup_size: 256
    .name:           _ZL34rocblas_syrkx_herkx_general_kernelIl19rocblas_complex_numIfELi16ELi32ELi8ELb0ELb0ELc78ELc85EKPKS1_KPS1_EviT_T0_PT8_S7_lSA_S7_lS8_PT9_S7_li
    .private_segment_fixed_size: 0
    .sgpr_count:     32
    .sgpr_spill_count: 0
    .symbol:         _ZL34rocblas_syrkx_herkx_general_kernelIl19rocblas_complex_numIfELi16ELi32ELi8ELb0ELb0ELc78ELc85EKPKS1_KPS1_EviT_T0_PT8_S7_lSA_S7_lS8_PT9_S7_li.kd
    .uniform_work_group_size: 1
    .uses_dynamic_stack: false
    .vgpr_count:     48
    .vgpr_spill_count: 0
    .wavefront_size: 64
  - .args:
      - .offset:         0
        .size:           1
        .value_kind:     by_value
      - .offset:         4
        .size:           4
        .value_kind:     by_value
      - .offset:         8
        .size:           8
        .value_kind:     by_value
      - .offset:         16
        .size:           8
        .value_kind:     by_value
      - .offset:         24
        .size:           8
        .value_kind:     by_value
      - .address_space:  global
        .offset:         32
        .size:           8
        .value_kind:     global_buffer
      - .offset:         40
        .size:           8
        .value_kind:     by_value
      - .offset:         48
        .size:           8
        .value_kind:     by_value
      - .offset:         56
        .size:           4
        .value_kind:     by_value
      - .offset:         64
        .size:           4
        .value_kind:     hidden_block_count_x
      - .offset:         68
        .size:           4
        .value_kind:     hidden_block_count_y
      - .offset:         72
        .size:           4
        .value_kind:     hidden_block_count_z
      - .offset:         76
        .size:           2
        .value_kind:     hidden_group_size_x
      - .offset:         78
        .size:           2
        .value_kind:     hidden_group_size_y
      - .offset:         80
        .size:           2
        .value_kind:     hidden_group_size_z
      - .offset:         82
        .size:           2
        .value_kind:     hidden_remainder_x
      - .offset:         84
        .size:           2
        .value_kind:     hidden_remainder_y
      - .offset:         86
        .size:           2
        .value_kind:     hidden_remainder_z
      - .offset:         104
        .size:           8
        .value_kind:     hidden_global_offset_x
      - .offset:         112
        .size:           8
        .value_kind:     hidden_global_offset_y
      - .offset:         120
        .size:           8
        .value_kind:     hidden_global_offset_z
      - .offset:         128
        .size:           2
        .value_kind:     hidden_grid_dims
    .group_segment_fixed_size: 0
    .kernarg_segment_align: 8
    .kernarg_segment_size: 320
    .language:       OpenCL C
    .language_version:
      - 2
      - 0
    .max_flat_workgroup_size: 1024
    .name:           _ZL26rocblas_syr2k_scale_kernelIlLi128ELi8ELb0E19rocblas_complex_numIfES1_PKPS1_EvbiT_T3_T4_T5_S5_li
    .private_segment_fixed_size: 0
    .sgpr_count:     20
    .sgpr_spill_count: 0
    .symbol:         _ZL26rocblas_syr2k_scale_kernelIlLi128ELi8ELb0E19rocblas_complex_numIfES1_PKPS1_EvbiT_T3_T4_T5_S5_li.kd
    .uniform_work_group_size: 1
    .uses_dynamic_stack: false
    .vgpr_count:     6
    .vgpr_spill_count: 0
    .wavefront_size: 64
  - .args:
      - .offset:         0
        .size:           1
        .value_kind:     by_value
      - .offset:         4
        .size:           4
        .value_kind:     by_value
      - .offset:         8
        .size:           8
        .value_kind:     by_value
      - .address_space:  global
        .offset:         16
        .size:           8
        .value_kind:     global_buffer
      - .address_space:  global
        .offset:         24
        .size:           8
        .value_kind:     global_buffer
      - .offset:         32
        .size:           8
        .value_kind:     by_value
      - .offset:         40
        .size:           8
        .value_kind:     by_value
      - .address_space:  global
        .offset:         48
        .size:           8
        .value_kind:     global_buffer
      - .offset:         56
        .size:           8
        .value_kind:     by_value
      - .offset:         64
        .size:           8
        .value_kind:     by_value
      - .address_space:  global
        .offset:         72
        .size:           8
        .value_kind:     global_buffer
      - .offset:         80
        .size:           8
        .value_kind:     by_value
      - .offset:         88
        .size:           8
        .value_kind:     by_value
      - .offset:         96
        .size:           4
        .value_kind:     by_value
    .group_segment_fixed_size: 16384
    .kernarg_segment_align: 8
    .kernarg_segment_size: 100
    .language:       OpenCL C
    .language_version:
      - 2
      - 0
    .max_flat_workgroup_size: 1024
    .name:           _ZL26rocblas_syr2k_her2k_kernelIlLb0ELb0ELb0ELi32EPK19rocblas_complex_numIfEPKS3_PKPS1_EvbiT_T4_T5_S9_lSB_S9_lT6_S9_li
    .private_segment_fixed_size: 0
    .sgpr_count:     40
    .sgpr_spill_count: 0
    .symbol:         _ZL26rocblas_syr2k_her2k_kernelIlLb0ELb0ELb0ELi32EPK19rocblas_complex_numIfEPKS3_PKPS1_EvbiT_T4_T5_S9_lSB_S9_lT6_S9_li.kd
    .uniform_work_group_size: 1
    .uses_dynamic_stack: false
    .vgpr_count:     32
    .vgpr_spill_count: 0
    .wavefront_size: 64
  - .args:
      - .offset:         0
        .size:           1
        .value_kind:     by_value
      - .offset:         4
        .size:           4
        .value_kind:     by_value
      - .offset:         8
        .size:           8
        .value_kind:     by_value
      - .address_space:  global
        .offset:         16
        .size:           8
        .value_kind:     global_buffer
      - .address_space:  global
        .offset:         24
        .size:           8
        .value_kind:     global_buffer
      - .offset:         32
        .size:           8
        .value_kind:     by_value
      - .offset:         40
        .size:           8
        .value_kind:     by_value
      - .address_space:  global
        .offset:         48
        .size:           8
        .value_kind:     global_buffer
      - .offset:         56
        .size:           8
        .value_kind:     by_value
      - .offset:         64
        .size:           8
        .value_kind:     by_value
      - .address_space:  global
        .offset:         72
        .size:           8
        .value_kind:     global_buffer
      - .offset:         80
        .size:           8
        .value_kind:     by_value
      - .offset:         88
        .size:           8
        .value_kind:     by_value
      - .offset:         96
        .size:           4
        .value_kind:     by_value
    .group_segment_fixed_size: 16384
    .kernarg_segment_align: 8
    .kernarg_segment_size: 100
    .language:       OpenCL C
    .language_version:
      - 2
      - 0
    .max_flat_workgroup_size: 1024
    .name:           _ZL26rocblas_syr2k_her2k_kernelIlLb0ELb0ELb1ELi32EPK19rocblas_complex_numIfEPKS3_PKPS1_EvbiT_T4_T5_S9_lSB_S9_lT6_S9_li
    .private_segment_fixed_size: 0
    .sgpr_count:     40
    .sgpr_spill_count: 0
    .symbol:         _ZL26rocblas_syr2k_her2k_kernelIlLb0ELb0ELb1ELi32EPK19rocblas_complex_numIfEPKS3_PKPS1_EvbiT_T4_T5_S9_lSB_S9_lT6_S9_li.kd
    .uniform_work_group_size: 1
    .uses_dynamic_stack: false
    .vgpr_count:     36
    .vgpr_spill_count: 0
    .wavefront_size: 64
  - .args:
      - .offset:         0
        .size:           1
        .value_kind:     by_value
      - .offset:         4
        .size:           4
        .value_kind:     by_value
      - .offset:         8
        .size:           8
        .value_kind:     by_value
      - .offset:         16
        .size:           16
        .value_kind:     by_value
      - .address_space:  global
        .offset:         32
        .size:           8
        .value_kind:     global_buffer
      - .offset:         40
        .size:           8
        .value_kind:     by_value
      - .offset:         48
        .size:           8
        .value_kind:     by_value
      - .address_space:  global
        .offset:         56
        .size:           8
        .value_kind:     global_buffer
      - .offset:         64
        .size:           8
        .value_kind:     by_value
      - .offset:         72
        .size:           8
        .value_kind:     by_value
      - .address_space:  global
        .offset:         80
        .size:           8
        .value_kind:     global_buffer
      - .offset:         88
        .size:           8
        .value_kind:     by_value
      - .offset:         96
        .size:           8
        .value_kind:     by_value
      - .offset:         104
        .size:           4
        .value_kind:     by_value
    .group_segment_fixed_size: 32768
    .kernarg_segment_align: 8
    .kernarg_segment_size: 108
    .language:       OpenCL C
    .language_version:
      - 2
      - 0
    .max_flat_workgroup_size: 1024
    .name:           _ZL26rocblas_syr2k_her2k_kernelIlLb0ELb0ELb0ELi32E19rocblas_complex_numIdEPKPKS1_PKPS1_EvbiT_T4_T5_S9_lSB_S9_lT6_S9_li
    .private_segment_fixed_size: 0
    .sgpr_count:     48
    .sgpr_spill_count: 0
    .symbol:         _ZL26rocblas_syr2k_her2k_kernelIlLb0ELb0ELb0ELi32E19rocblas_complex_numIdEPKPKS1_PKPS1_EvbiT_T4_T5_S9_lSB_S9_lT6_S9_li.kd
    .uniform_work_group_size: 1
    .uses_dynamic_stack: false
    .vgpr_count:     34
    .vgpr_spill_count: 0
    .wavefront_size: 64
  - .args:
      - .offset:         0
        .size:           1
        .value_kind:     by_value
      - .offset:         4
        .size:           4
        .value_kind:     by_value
      - .offset:         8
        .size:           8
        .value_kind:     by_value
      - .offset:         16
        .size:           16
        .value_kind:     by_value
      - .address_space:  global
        .offset:         32
        .size:           8
        .value_kind:     global_buffer
      - .offset:         40
        .size:           8
        .value_kind:     by_value
      - .offset:         48
        .size:           8
        .value_kind:     by_value
      - .address_space:  global
        .offset:         56
        .size:           8
        .value_kind:     global_buffer
      - .offset:         64
        .size:           8
        .value_kind:     by_value
      - .offset:         72
        .size:           8
        .value_kind:     by_value
      - .address_space:  global
        .offset:         80
        .size:           8
        .value_kind:     global_buffer
      - .offset:         88
        .size:           8
        .value_kind:     by_value
      - .offset:         96
        .size:           8
        .value_kind:     by_value
      - .offset:         104
        .size:           4
        .value_kind:     by_value
    .group_segment_fixed_size: 32768
    .kernarg_segment_align: 8
    .kernarg_segment_size: 108
    .language:       OpenCL C
    .language_version:
      - 2
      - 0
    .max_flat_workgroup_size: 1024
    .name:           _ZL26rocblas_syr2k_her2k_kernelIlLb0ELb0ELb1ELi32E19rocblas_complex_numIdEPKPKS1_PKPS1_EvbiT_T4_T5_S9_lSB_S9_lT6_S9_li
    .private_segment_fixed_size: 0
    .sgpr_count:     48
    .sgpr_spill_count: 0
    .symbol:         _ZL26rocblas_syr2k_her2k_kernelIlLb0ELb0ELb1ELi32E19rocblas_complex_numIdEPKPKS1_PKPS1_EvbiT_T4_T5_S9_lSB_S9_lT6_S9_li.kd
    .uniform_work_group_size: 1
    .uses_dynamic_stack: false
    .vgpr_count:     34
    .vgpr_spill_count: 0
    .wavefront_size: 64
  - .args:
      - .offset:         0
        .size:           4
        .value_kind:     by_value
      - .offset:         8
        .size:           8
        .value_kind:     by_value
      - .address_space:  global
        .offset:         16
        .size:           8
        .value_kind:     global_buffer
      - .offset:         24
        .size:           8
        .value_kind:     by_value
      - .offset:         32
        .size:           8
        .value_kind:     by_value
      - .address_space:  global
        .offset:         40
        .size:           8
        .value_kind:     global_buffer
      - .offset:         48
        .size:           8
        .value_kind:     by_value
      - .offset:         56
        .size:           8
        .value_kind:     by_value
      - .address_space:  global
        .offset:         64
        .size:           8
        .value_kind:     global_buffer
      - .offset:         72
        .size:           8
        .value_kind:     by_value
      - .offset:         80
        .size:           8
        .value_kind:     by_value
      - .offset:         88
        .size:           4
        .value_kind:     by_value
    .group_segment_fixed_size: 8192
    .kernarg_segment_align: 8
    .kernarg_segment_size: 92
    .language:       OpenCL C
    .language_version:
      - 2
      - 0
    .max_flat_workgroup_size: 256
    .name:           _ZL37rocblas_syrkx_herkx_restricted_kernelIl19rocblas_complex_numIdELi16ELi32ELi8ELi1ELi1ELb0ELc84ELc76EKPKS1_KPS1_EviT_PT9_S7_lS9_S7_lPT10_S7_li
    .private_segment_fixed_size: 0
    .sgpr_count:     24
    .sgpr_spill_count: 0
    .symbol:         _ZL37rocblas_syrkx_herkx_restricted_kernelIl19rocblas_complex_numIdELi16ELi32ELi8ELi1ELi1ELb0ELc84ELc76EKPKS1_KPS1_EviT_PT9_S7_lS9_S7_lPT10_S7_li.kd
    .uniform_work_group_size: 1
    .uses_dynamic_stack: false
    .vgpr_count:     52
    .vgpr_spill_count: 0
    .wavefront_size: 64
  - .args:
      - .offset:         0
        .size:           4
        .value_kind:     by_value
      - .offset:         8
        .size:           8
        .value_kind:     by_value
      - .address_space:  global
        .offset:         16
        .size:           8
        .value_kind:     global_buffer
      - .offset:         24
        .size:           8
        .value_kind:     by_value
      - .offset:         32
        .size:           8
        .value_kind:     by_value
      - .address_space:  global
        .offset:         40
        .size:           8
        .value_kind:     global_buffer
      - .offset:         48
        .size:           8
        .value_kind:     by_value
      - .offset:         56
        .size:           8
        .value_kind:     by_value
      - .address_space:  global
        .offset:         64
        .size:           8
        .value_kind:     global_buffer
      - .offset:         72
        .size:           8
        .value_kind:     by_value
      - .offset:         80
        .size:           8
        .value_kind:     by_value
      - .offset:         88
        .size:           4
        .value_kind:     by_value
    .group_segment_fixed_size: 8192
    .kernarg_segment_align: 8
    .kernarg_segment_size: 92
    .language:       OpenCL C
    .language_version:
      - 2
      - 0
    .max_flat_workgroup_size: 256
    .name:           _ZL37rocblas_syrkx_herkx_restricted_kernelIl19rocblas_complex_numIdELi16ELi32ELi8ELi1ELi1ELb0ELc67ELc76EKPKS1_KPS1_EviT_PT9_S7_lS9_S7_lPT10_S7_li
    .private_segment_fixed_size: 0
    .sgpr_count:     24
    .sgpr_spill_count: 0
    .symbol:         _ZL37rocblas_syrkx_herkx_restricted_kernelIl19rocblas_complex_numIdELi16ELi32ELi8ELi1ELi1ELb0ELc67ELc76EKPKS1_KPS1_EviT_PT9_S7_lS9_S7_lPT10_S7_li.kd
    .uniform_work_group_size: 1
    .uses_dynamic_stack: false
    .vgpr_count:     52
    .vgpr_spill_count: 0
    .wavefront_size: 64
  - .args:
      - .offset:         0
        .size:           4
        .value_kind:     by_value
      - .offset:         8
        .size:           8
        .value_kind:     by_value
      - .address_space:  global
        .offset:         16
        .size:           8
        .value_kind:     global_buffer
      - .offset:         24
        .size:           8
        .value_kind:     by_value
      - .offset:         32
        .size:           8
        .value_kind:     by_value
      - .address_space:  global
        .offset:         40
        .size:           8
        .value_kind:     global_buffer
      - .offset:         48
        .size:           8
        .value_kind:     by_value
      - .offset:         56
        .size:           8
        .value_kind:     by_value
      - .address_space:  global
        .offset:         64
        .size:           8
        .value_kind:     global_buffer
      - .offset:         72
        .size:           8
        .value_kind:     by_value
      - .offset:         80
        .size:           8
        .value_kind:     by_value
      - .offset:         88
        .size:           4
        .value_kind:     by_value
    .group_segment_fixed_size: 8192
    .kernarg_segment_align: 8
    .kernarg_segment_size: 92
    .language:       OpenCL C
    .language_version:
      - 2
      - 0
    .max_flat_workgroup_size: 256
    .name:           _ZL37rocblas_syrkx_herkx_restricted_kernelIl19rocblas_complex_numIdELi16ELi32ELi8ELi1ELi1ELb0ELc78ELc76EKPKS1_KPS1_EviT_PT9_S7_lS9_S7_lPT10_S7_li
    .private_segment_fixed_size: 0
    .sgpr_count:     26
    .sgpr_spill_count: 0
    .symbol:         _ZL37rocblas_syrkx_herkx_restricted_kernelIl19rocblas_complex_numIdELi16ELi32ELi8ELi1ELi1ELb0ELc78ELc76EKPKS1_KPS1_EviT_PT9_S7_lS9_S7_lPT10_S7_li.kd
    .uniform_work_group_size: 1
    .uses_dynamic_stack: false
    .vgpr_count:     54
    .vgpr_spill_count: 0
    .wavefront_size: 64
  - .args:
      - .offset:         0
        .size:           4
        .value_kind:     by_value
      - .offset:         8
        .size:           8
        .value_kind:     by_value
      - .address_space:  global
        .offset:         16
        .size:           8
        .value_kind:     global_buffer
      - .offset:         24
        .size:           8
        .value_kind:     by_value
      - .offset:         32
        .size:           8
        .value_kind:     by_value
      - .address_space:  global
        .offset:         40
        .size:           8
        .value_kind:     global_buffer
      - .offset:         48
        .size:           8
        .value_kind:     by_value
      - .offset:         56
        .size:           8
        .value_kind:     by_value
      - .address_space:  global
        .offset:         64
        .size:           8
        .value_kind:     global_buffer
      - .offset:         72
        .size:           8
        .value_kind:     by_value
      - .offset:         80
        .size:           8
        .value_kind:     by_value
      - .offset:         88
        .size:           4
        .value_kind:     by_value
    .group_segment_fixed_size: 8192
    .kernarg_segment_align: 8
    .kernarg_segment_size: 92
    .language:       OpenCL C
    .language_version:
      - 2
      - 0
    .max_flat_workgroup_size: 256
    .name:           _ZL37rocblas_syrkx_herkx_restricted_kernelIl19rocblas_complex_numIdELi16ELi32ELi8ELi1ELi1ELb0ELc84ELc85EKPKS1_KPS1_EviT_PT9_S7_lS9_S7_lPT10_S7_li
    .private_segment_fixed_size: 0
    .sgpr_count:     24
    .sgpr_spill_count: 0
    .symbol:         _ZL37rocblas_syrkx_herkx_restricted_kernelIl19rocblas_complex_numIdELi16ELi32ELi8ELi1ELi1ELb0ELc84ELc85EKPKS1_KPS1_EviT_PT9_S7_lS9_S7_lPT10_S7_li.kd
    .uniform_work_group_size: 1
    .uses_dynamic_stack: false
    .vgpr_count:     52
    .vgpr_spill_count: 0
    .wavefront_size: 64
  - .args:
      - .offset:         0
        .size:           4
        .value_kind:     by_value
      - .offset:         8
        .size:           8
        .value_kind:     by_value
      - .address_space:  global
        .offset:         16
        .size:           8
        .value_kind:     global_buffer
      - .offset:         24
        .size:           8
        .value_kind:     by_value
      - .offset:         32
        .size:           8
        .value_kind:     by_value
      - .address_space:  global
        .offset:         40
        .size:           8
        .value_kind:     global_buffer
      - .offset:         48
        .size:           8
        .value_kind:     by_value
      - .offset:         56
        .size:           8
        .value_kind:     by_value
      - .address_space:  global
        .offset:         64
        .size:           8
        .value_kind:     global_buffer
      - .offset:         72
        .size:           8
        .value_kind:     by_value
      - .offset:         80
        .size:           8
        .value_kind:     by_value
      - .offset:         88
        .size:           4
        .value_kind:     by_value
    .group_segment_fixed_size: 8192
    .kernarg_segment_align: 8
    .kernarg_segment_size: 92
    .language:       OpenCL C
    .language_version:
      - 2
      - 0
    .max_flat_workgroup_size: 256
    .name:           _ZL37rocblas_syrkx_herkx_restricted_kernelIl19rocblas_complex_numIdELi16ELi32ELi8ELi1ELi1ELb0ELc67ELc85EKPKS1_KPS1_EviT_PT9_S7_lS9_S7_lPT10_S7_li
    .private_segment_fixed_size: 0
    .sgpr_count:     24
    .sgpr_spill_count: 0
    .symbol:         _ZL37rocblas_syrkx_herkx_restricted_kernelIl19rocblas_complex_numIdELi16ELi32ELi8ELi1ELi1ELb0ELc67ELc85EKPKS1_KPS1_EviT_PT9_S7_lS9_S7_lPT10_S7_li.kd
    .uniform_work_group_size: 1
    .uses_dynamic_stack: false
    .vgpr_count:     52
    .vgpr_spill_count: 0
    .wavefront_size: 64
  - .args:
      - .offset:         0
        .size:           4
        .value_kind:     by_value
      - .offset:         8
        .size:           8
        .value_kind:     by_value
      - .address_space:  global
        .offset:         16
        .size:           8
        .value_kind:     global_buffer
      - .offset:         24
        .size:           8
        .value_kind:     by_value
      - .offset:         32
        .size:           8
        .value_kind:     by_value
      - .address_space:  global
        .offset:         40
        .size:           8
        .value_kind:     global_buffer
      - .offset:         48
        .size:           8
        .value_kind:     by_value
      - .offset:         56
        .size:           8
        .value_kind:     by_value
      - .address_space:  global
        .offset:         64
        .size:           8
        .value_kind:     global_buffer
      - .offset:         72
        .size:           8
        .value_kind:     by_value
      - .offset:         80
        .size:           8
        .value_kind:     by_value
      - .offset:         88
        .size:           4
        .value_kind:     by_value
    .group_segment_fixed_size: 8192
    .kernarg_segment_align: 8
    .kernarg_segment_size: 92
    .language:       OpenCL C
    .language_version:
      - 2
      - 0
    .max_flat_workgroup_size: 256
    .name:           _ZL37rocblas_syrkx_herkx_restricted_kernelIl19rocblas_complex_numIdELi16ELi32ELi8ELi1ELi1ELb0ELc78ELc85EKPKS1_KPS1_EviT_PT9_S7_lS9_S7_lPT10_S7_li
    .private_segment_fixed_size: 0
    .sgpr_count:     26
    .sgpr_spill_count: 0
    .symbol:         _ZL37rocblas_syrkx_herkx_restricted_kernelIl19rocblas_complex_numIdELi16ELi32ELi8ELi1ELi1ELb0ELc78ELc85EKPKS1_KPS1_EviT_PT9_S7_lS9_S7_lPT10_S7_li.kd
    .uniform_work_group_size: 1
    .uses_dynamic_stack: false
    .vgpr_count:     54
    .vgpr_spill_count: 0
    .wavefront_size: 64
  - .args:
      - .offset:         0
        .size:           4
        .value_kind:     by_value
      - .offset:         8
        .size:           8
        .value_kind:     by_value
      - .address_space:  global
        .offset:         16
        .size:           8
        .value_kind:     global_buffer
      - .offset:         24
        .size:           8
        .value_kind:     by_value
      - .offset:         32
        .size:           8
        .value_kind:     by_value
      - .address_space:  global
        .offset:         40
        .size:           8
        .value_kind:     global_buffer
      - .offset:         48
        .size:           8
        .value_kind:     by_value
      - .offset:         56
        .size:           8
        .value_kind:     by_value
      - .address_space:  global
        .offset:         64
        .size:           8
        .value_kind:     global_buffer
      - .offset:         72
        .size:           8
        .value_kind:     by_value
      - .offset:         80
        .size:           8
        .value_kind:     by_value
      - .offset:         88
        .size:           4
        .value_kind:     by_value
    .group_segment_fixed_size: 8192
    .kernarg_segment_align: 8
    .kernarg_segment_size: 92
    .language:       OpenCL C
    .language_version:
      - 2
      - 0
    .max_flat_workgroup_size: 256
    .name:           _ZL37rocblas_syrkx_herkx_restricted_kernelIl19rocblas_complex_numIdELi16ELi32ELi8ELi1ELin1ELb0ELc84ELc76EKPKS1_KPS1_EviT_PT9_S7_lS9_S7_lPT10_S7_li
    .private_segment_fixed_size: 0
    .sgpr_count:     24
    .sgpr_spill_count: 0
    .symbol:         _ZL37rocblas_syrkx_herkx_restricted_kernelIl19rocblas_complex_numIdELi16ELi32ELi8ELi1ELin1ELb0ELc84ELc76EKPKS1_KPS1_EviT_PT9_S7_lS9_S7_lPT10_S7_li.kd
    .uniform_work_group_size: 1
    .uses_dynamic_stack: false
    .vgpr_count:     52
    .vgpr_spill_count: 0
    .wavefront_size: 64
  - .args:
      - .offset:         0
        .size:           4
        .value_kind:     by_value
      - .offset:         8
        .size:           8
        .value_kind:     by_value
      - .address_space:  global
        .offset:         16
        .size:           8
        .value_kind:     global_buffer
      - .offset:         24
        .size:           8
        .value_kind:     by_value
      - .offset:         32
        .size:           8
        .value_kind:     by_value
      - .address_space:  global
        .offset:         40
        .size:           8
        .value_kind:     global_buffer
      - .offset:         48
        .size:           8
        .value_kind:     by_value
      - .offset:         56
        .size:           8
        .value_kind:     by_value
      - .address_space:  global
        .offset:         64
        .size:           8
        .value_kind:     global_buffer
      - .offset:         72
        .size:           8
        .value_kind:     by_value
      - .offset:         80
        .size:           8
        .value_kind:     by_value
      - .offset:         88
        .size:           4
        .value_kind:     by_value
    .group_segment_fixed_size: 8192
    .kernarg_segment_align: 8
    .kernarg_segment_size: 92
    .language:       OpenCL C
    .language_version:
      - 2
      - 0
    .max_flat_workgroup_size: 256
    .name:           _ZL37rocblas_syrkx_herkx_restricted_kernelIl19rocblas_complex_numIdELi16ELi32ELi8ELi1ELin1ELb0ELc67ELc76EKPKS1_KPS1_EviT_PT9_S7_lS9_S7_lPT10_S7_li
    .private_segment_fixed_size: 0
    .sgpr_count:     24
    .sgpr_spill_count: 0
    .symbol:         _ZL37rocblas_syrkx_herkx_restricted_kernelIl19rocblas_complex_numIdELi16ELi32ELi8ELi1ELin1ELb0ELc67ELc76EKPKS1_KPS1_EviT_PT9_S7_lS9_S7_lPT10_S7_li.kd
    .uniform_work_group_size: 1
    .uses_dynamic_stack: false
    .vgpr_count:     52
    .vgpr_spill_count: 0
    .wavefront_size: 64
  - .args:
      - .offset:         0
        .size:           4
        .value_kind:     by_value
      - .offset:         8
        .size:           8
        .value_kind:     by_value
      - .address_space:  global
        .offset:         16
        .size:           8
        .value_kind:     global_buffer
      - .offset:         24
        .size:           8
        .value_kind:     by_value
      - .offset:         32
        .size:           8
        .value_kind:     by_value
      - .address_space:  global
        .offset:         40
        .size:           8
        .value_kind:     global_buffer
      - .offset:         48
        .size:           8
        .value_kind:     by_value
      - .offset:         56
        .size:           8
        .value_kind:     by_value
      - .address_space:  global
        .offset:         64
        .size:           8
        .value_kind:     global_buffer
      - .offset:         72
        .size:           8
        .value_kind:     by_value
      - .offset:         80
        .size:           8
        .value_kind:     by_value
      - .offset:         88
        .size:           4
        .value_kind:     by_value
    .group_segment_fixed_size: 8192
    .kernarg_segment_align: 8
    .kernarg_segment_size: 92
    .language:       OpenCL C
    .language_version:
      - 2
      - 0
    .max_flat_workgroup_size: 256
    .name:           _ZL37rocblas_syrkx_herkx_restricted_kernelIl19rocblas_complex_numIdELi16ELi32ELi8ELi1ELin1ELb0ELc78ELc76EKPKS1_KPS1_EviT_PT9_S7_lS9_S7_lPT10_S7_li
    .private_segment_fixed_size: 0
    .sgpr_count:     26
    .sgpr_spill_count: 0
    .symbol:         _ZL37rocblas_syrkx_herkx_restricted_kernelIl19rocblas_complex_numIdELi16ELi32ELi8ELi1ELin1ELb0ELc78ELc76EKPKS1_KPS1_EviT_PT9_S7_lS9_S7_lPT10_S7_li.kd
    .uniform_work_group_size: 1
    .uses_dynamic_stack: false
    .vgpr_count:     54
    .vgpr_spill_count: 0
    .wavefront_size: 64
  - .args:
      - .offset:         0
        .size:           4
        .value_kind:     by_value
      - .offset:         8
        .size:           8
        .value_kind:     by_value
      - .address_space:  global
        .offset:         16
        .size:           8
        .value_kind:     global_buffer
      - .offset:         24
        .size:           8
        .value_kind:     by_value
      - .offset:         32
        .size:           8
        .value_kind:     by_value
      - .address_space:  global
        .offset:         40
        .size:           8
        .value_kind:     global_buffer
      - .offset:         48
        .size:           8
        .value_kind:     by_value
      - .offset:         56
        .size:           8
        .value_kind:     by_value
      - .address_space:  global
        .offset:         64
        .size:           8
        .value_kind:     global_buffer
      - .offset:         72
        .size:           8
        .value_kind:     by_value
      - .offset:         80
        .size:           8
        .value_kind:     by_value
      - .offset:         88
        .size:           4
        .value_kind:     by_value
    .group_segment_fixed_size: 8192
    .kernarg_segment_align: 8
    .kernarg_segment_size: 92
    .language:       OpenCL C
    .language_version:
      - 2
      - 0
    .max_flat_workgroup_size: 256
    .name:           _ZL37rocblas_syrkx_herkx_restricted_kernelIl19rocblas_complex_numIdELi16ELi32ELi8ELi1ELin1ELb0ELc84ELc85EKPKS1_KPS1_EviT_PT9_S7_lS9_S7_lPT10_S7_li
    .private_segment_fixed_size: 0
    .sgpr_count:     24
    .sgpr_spill_count: 0
    .symbol:         _ZL37rocblas_syrkx_herkx_restricted_kernelIl19rocblas_complex_numIdELi16ELi32ELi8ELi1ELin1ELb0ELc84ELc85EKPKS1_KPS1_EviT_PT9_S7_lS9_S7_lPT10_S7_li.kd
    .uniform_work_group_size: 1
    .uses_dynamic_stack: false
    .vgpr_count:     52
    .vgpr_spill_count: 0
    .wavefront_size: 64
  - .args:
      - .offset:         0
        .size:           4
        .value_kind:     by_value
      - .offset:         8
        .size:           8
        .value_kind:     by_value
      - .address_space:  global
        .offset:         16
        .size:           8
        .value_kind:     global_buffer
      - .offset:         24
        .size:           8
        .value_kind:     by_value
      - .offset:         32
        .size:           8
        .value_kind:     by_value
      - .address_space:  global
        .offset:         40
        .size:           8
        .value_kind:     global_buffer
      - .offset:         48
        .size:           8
        .value_kind:     by_value
      - .offset:         56
        .size:           8
        .value_kind:     by_value
      - .address_space:  global
        .offset:         64
        .size:           8
        .value_kind:     global_buffer
      - .offset:         72
        .size:           8
        .value_kind:     by_value
      - .offset:         80
        .size:           8
        .value_kind:     by_value
      - .offset:         88
        .size:           4
        .value_kind:     by_value
    .group_segment_fixed_size: 8192
    .kernarg_segment_align: 8
    .kernarg_segment_size: 92
    .language:       OpenCL C
    .language_version:
      - 2
      - 0
    .max_flat_workgroup_size: 256
    .name:           _ZL37rocblas_syrkx_herkx_restricted_kernelIl19rocblas_complex_numIdELi16ELi32ELi8ELi1ELin1ELb0ELc67ELc85EKPKS1_KPS1_EviT_PT9_S7_lS9_S7_lPT10_S7_li
    .private_segment_fixed_size: 0
    .sgpr_count:     24
    .sgpr_spill_count: 0
    .symbol:         _ZL37rocblas_syrkx_herkx_restricted_kernelIl19rocblas_complex_numIdELi16ELi32ELi8ELi1ELin1ELb0ELc67ELc85EKPKS1_KPS1_EviT_PT9_S7_lS9_S7_lPT10_S7_li.kd
    .uniform_work_group_size: 1
    .uses_dynamic_stack: false
    .vgpr_count:     52
    .vgpr_spill_count: 0
    .wavefront_size: 64
  - .args:
      - .offset:         0
        .size:           4
        .value_kind:     by_value
      - .offset:         8
        .size:           8
        .value_kind:     by_value
      - .address_space:  global
        .offset:         16
        .size:           8
        .value_kind:     global_buffer
      - .offset:         24
        .size:           8
        .value_kind:     by_value
      - .offset:         32
        .size:           8
        .value_kind:     by_value
      - .address_space:  global
        .offset:         40
        .size:           8
        .value_kind:     global_buffer
      - .offset:         48
        .size:           8
        .value_kind:     by_value
      - .offset:         56
        .size:           8
        .value_kind:     by_value
      - .address_space:  global
        .offset:         64
        .size:           8
        .value_kind:     global_buffer
      - .offset:         72
        .size:           8
        .value_kind:     by_value
      - .offset:         80
        .size:           8
        .value_kind:     by_value
      - .offset:         88
        .size:           4
        .value_kind:     by_value
    .group_segment_fixed_size: 8192
    .kernarg_segment_align: 8
    .kernarg_segment_size: 92
    .language:       OpenCL C
    .language_version:
      - 2
      - 0
    .max_flat_workgroup_size: 256
    .name:           _ZL37rocblas_syrkx_herkx_restricted_kernelIl19rocblas_complex_numIdELi16ELi32ELi8ELi1ELin1ELb0ELc78ELc85EKPKS1_KPS1_EviT_PT9_S7_lS9_S7_lPT10_S7_li
    .private_segment_fixed_size: 0
    .sgpr_count:     26
    .sgpr_spill_count: 0
    .symbol:         _ZL37rocblas_syrkx_herkx_restricted_kernelIl19rocblas_complex_numIdELi16ELi32ELi8ELi1ELin1ELb0ELc78ELc85EKPKS1_KPS1_EviT_PT9_S7_lS9_S7_lPT10_S7_li.kd
    .uniform_work_group_size: 1
    .uses_dynamic_stack: false
    .vgpr_count:     54
    .vgpr_spill_count: 0
    .wavefront_size: 64
  - .args:
      - .offset:         0
        .size:           4
        .value_kind:     by_value
      - .offset:         8
        .size:           8
        .value_kind:     by_value
      - .address_space:  global
        .offset:         16
        .size:           8
        .value_kind:     global_buffer
      - .offset:         24
        .size:           8
        .value_kind:     by_value
      - .offset:         32
        .size:           8
        .value_kind:     by_value
      - .address_space:  global
        .offset:         40
        .size:           8
        .value_kind:     global_buffer
      - .offset:         48
        .size:           8
        .value_kind:     by_value
      - .offset:         56
        .size:           8
        .value_kind:     by_value
      - .address_space:  global
        .offset:         64
        .size:           8
        .value_kind:     global_buffer
      - .offset:         72
        .size:           8
        .value_kind:     by_value
      - .offset:         80
        .size:           8
        .value_kind:     by_value
      - .offset:         88
        .size:           4
        .value_kind:     by_value
    .group_segment_fixed_size: 8192
    .kernarg_segment_align: 8
    .kernarg_segment_size: 92
    .language:       OpenCL C
    .language_version:
      - 2
      - 0
    .max_flat_workgroup_size: 256
    .name:           _ZL37rocblas_syrkx_herkx_restricted_kernelIl19rocblas_complex_numIdELi16ELi32ELi8ELi1ELi0ELb0ELc84ELc76EKPKS1_KPS1_EviT_PT9_S7_lS9_S7_lPT10_S7_li
    .private_segment_fixed_size: 0
    .sgpr_count:     24
    .sgpr_spill_count: 0
    .symbol:         _ZL37rocblas_syrkx_herkx_restricted_kernelIl19rocblas_complex_numIdELi16ELi32ELi8ELi1ELi0ELb0ELc84ELc76EKPKS1_KPS1_EviT_PT9_S7_lS9_S7_lPT10_S7_li.kd
    .uniform_work_group_size: 1
    .uses_dynamic_stack: false
    .vgpr_count:     52
    .vgpr_spill_count: 0
    .wavefront_size: 64
  - .args:
      - .offset:         0
        .size:           4
        .value_kind:     by_value
      - .offset:         8
        .size:           8
        .value_kind:     by_value
      - .address_space:  global
        .offset:         16
        .size:           8
        .value_kind:     global_buffer
      - .offset:         24
        .size:           8
        .value_kind:     by_value
      - .offset:         32
        .size:           8
        .value_kind:     by_value
      - .address_space:  global
        .offset:         40
        .size:           8
        .value_kind:     global_buffer
      - .offset:         48
        .size:           8
        .value_kind:     by_value
      - .offset:         56
        .size:           8
        .value_kind:     by_value
      - .address_space:  global
        .offset:         64
        .size:           8
        .value_kind:     global_buffer
      - .offset:         72
        .size:           8
        .value_kind:     by_value
      - .offset:         80
        .size:           8
        .value_kind:     by_value
      - .offset:         88
        .size:           4
        .value_kind:     by_value
    .group_segment_fixed_size: 8192
    .kernarg_segment_align: 8
    .kernarg_segment_size: 92
    .language:       OpenCL C
    .language_version:
      - 2
      - 0
    .max_flat_workgroup_size: 256
    .name:           _ZL37rocblas_syrkx_herkx_restricted_kernelIl19rocblas_complex_numIdELi16ELi32ELi8ELi1ELi0ELb0ELc67ELc76EKPKS1_KPS1_EviT_PT9_S7_lS9_S7_lPT10_S7_li
    .private_segment_fixed_size: 0
    .sgpr_count:     24
    .sgpr_spill_count: 0
    .symbol:         _ZL37rocblas_syrkx_herkx_restricted_kernelIl19rocblas_complex_numIdELi16ELi32ELi8ELi1ELi0ELb0ELc67ELc76EKPKS1_KPS1_EviT_PT9_S7_lS9_S7_lPT10_S7_li.kd
    .uniform_work_group_size: 1
    .uses_dynamic_stack: false
    .vgpr_count:     52
    .vgpr_spill_count: 0
    .wavefront_size: 64
  - .args:
      - .offset:         0
        .size:           4
        .value_kind:     by_value
      - .offset:         8
        .size:           8
        .value_kind:     by_value
      - .address_space:  global
        .offset:         16
        .size:           8
        .value_kind:     global_buffer
      - .offset:         24
        .size:           8
        .value_kind:     by_value
      - .offset:         32
        .size:           8
        .value_kind:     by_value
      - .address_space:  global
        .offset:         40
        .size:           8
        .value_kind:     global_buffer
      - .offset:         48
        .size:           8
        .value_kind:     by_value
      - .offset:         56
        .size:           8
        .value_kind:     by_value
      - .address_space:  global
        .offset:         64
        .size:           8
        .value_kind:     global_buffer
      - .offset:         72
        .size:           8
        .value_kind:     by_value
      - .offset:         80
        .size:           8
        .value_kind:     by_value
      - .offset:         88
        .size:           4
        .value_kind:     by_value
    .group_segment_fixed_size: 8192
    .kernarg_segment_align: 8
    .kernarg_segment_size: 92
    .language:       OpenCL C
    .language_version:
      - 2
      - 0
    .max_flat_workgroup_size: 256
    .name:           _ZL37rocblas_syrkx_herkx_restricted_kernelIl19rocblas_complex_numIdELi16ELi32ELi8ELi1ELi0ELb0ELc78ELc76EKPKS1_KPS1_EviT_PT9_S7_lS9_S7_lPT10_S7_li
    .private_segment_fixed_size: 0
    .sgpr_count:     26
    .sgpr_spill_count: 0
    .symbol:         _ZL37rocblas_syrkx_herkx_restricted_kernelIl19rocblas_complex_numIdELi16ELi32ELi8ELi1ELi0ELb0ELc78ELc76EKPKS1_KPS1_EviT_PT9_S7_lS9_S7_lPT10_S7_li.kd
    .uniform_work_group_size: 1
    .uses_dynamic_stack: false
    .vgpr_count:     54
    .vgpr_spill_count: 0
    .wavefront_size: 64
  - .args:
      - .offset:         0
        .size:           4
        .value_kind:     by_value
      - .offset:         8
        .size:           8
        .value_kind:     by_value
      - .address_space:  global
        .offset:         16
        .size:           8
        .value_kind:     global_buffer
      - .offset:         24
        .size:           8
        .value_kind:     by_value
      - .offset:         32
        .size:           8
        .value_kind:     by_value
      - .address_space:  global
        .offset:         40
        .size:           8
        .value_kind:     global_buffer
      - .offset:         48
        .size:           8
        .value_kind:     by_value
      - .offset:         56
        .size:           8
        .value_kind:     by_value
      - .address_space:  global
        .offset:         64
        .size:           8
        .value_kind:     global_buffer
      - .offset:         72
        .size:           8
        .value_kind:     by_value
      - .offset:         80
        .size:           8
        .value_kind:     by_value
      - .offset:         88
        .size:           4
        .value_kind:     by_value
    .group_segment_fixed_size: 8192
    .kernarg_segment_align: 8
    .kernarg_segment_size: 92
    .language:       OpenCL C
    .language_version:
      - 2
      - 0
    .max_flat_workgroup_size: 256
    .name:           _ZL37rocblas_syrkx_herkx_restricted_kernelIl19rocblas_complex_numIdELi16ELi32ELi8ELi1ELi0ELb0ELc84ELc85EKPKS1_KPS1_EviT_PT9_S7_lS9_S7_lPT10_S7_li
    .private_segment_fixed_size: 0
    .sgpr_count:     24
    .sgpr_spill_count: 0
    .symbol:         _ZL37rocblas_syrkx_herkx_restricted_kernelIl19rocblas_complex_numIdELi16ELi32ELi8ELi1ELi0ELb0ELc84ELc85EKPKS1_KPS1_EviT_PT9_S7_lS9_S7_lPT10_S7_li.kd
    .uniform_work_group_size: 1
    .uses_dynamic_stack: false
    .vgpr_count:     52
    .vgpr_spill_count: 0
    .wavefront_size: 64
  - .args:
      - .offset:         0
        .size:           4
        .value_kind:     by_value
      - .offset:         8
        .size:           8
        .value_kind:     by_value
      - .address_space:  global
        .offset:         16
        .size:           8
        .value_kind:     global_buffer
      - .offset:         24
        .size:           8
        .value_kind:     by_value
      - .offset:         32
        .size:           8
        .value_kind:     by_value
      - .address_space:  global
        .offset:         40
        .size:           8
        .value_kind:     global_buffer
      - .offset:         48
        .size:           8
        .value_kind:     by_value
      - .offset:         56
        .size:           8
        .value_kind:     by_value
      - .address_space:  global
        .offset:         64
        .size:           8
        .value_kind:     global_buffer
      - .offset:         72
        .size:           8
        .value_kind:     by_value
      - .offset:         80
        .size:           8
        .value_kind:     by_value
      - .offset:         88
        .size:           4
        .value_kind:     by_value
    .group_segment_fixed_size: 8192
    .kernarg_segment_align: 8
    .kernarg_segment_size: 92
    .language:       OpenCL C
    .language_version:
      - 2
      - 0
    .max_flat_workgroup_size: 256
    .name:           _ZL37rocblas_syrkx_herkx_restricted_kernelIl19rocblas_complex_numIdELi16ELi32ELi8ELi1ELi0ELb0ELc67ELc85EKPKS1_KPS1_EviT_PT9_S7_lS9_S7_lPT10_S7_li
    .private_segment_fixed_size: 0
    .sgpr_count:     24
    .sgpr_spill_count: 0
    .symbol:         _ZL37rocblas_syrkx_herkx_restricted_kernelIl19rocblas_complex_numIdELi16ELi32ELi8ELi1ELi0ELb0ELc67ELc85EKPKS1_KPS1_EviT_PT9_S7_lS9_S7_lPT10_S7_li.kd
    .uniform_work_group_size: 1
    .uses_dynamic_stack: false
    .vgpr_count:     52
    .vgpr_spill_count: 0
    .wavefront_size: 64
  - .args:
      - .offset:         0
        .size:           4
        .value_kind:     by_value
      - .offset:         8
        .size:           8
        .value_kind:     by_value
      - .address_space:  global
        .offset:         16
        .size:           8
        .value_kind:     global_buffer
      - .offset:         24
        .size:           8
        .value_kind:     by_value
      - .offset:         32
        .size:           8
        .value_kind:     by_value
      - .address_space:  global
        .offset:         40
        .size:           8
        .value_kind:     global_buffer
      - .offset:         48
        .size:           8
        .value_kind:     by_value
      - .offset:         56
        .size:           8
        .value_kind:     by_value
      - .address_space:  global
        .offset:         64
        .size:           8
        .value_kind:     global_buffer
      - .offset:         72
        .size:           8
        .value_kind:     by_value
      - .offset:         80
        .size:           8
        .value_kind:     by_value
      - .offset:         88
        .size:           4
        .value_kind:     by_value
    .group_segment_fixed_size: 8192
    .kernarg_segment_align: 8
    .kernarg_segment_size: 92
    .language:       OpenCL C
    .language_version:
      - 2
      - 0
    .max_flat_workgroup_size: 256
    .name:           _ZL37rocblas_syrkx_herkx_restricted_kernelIl19rocblas_complex_numIdELi16ELi32ELi8ELi1ELi0ELb0ELc78ELc85EKPKS1_KPS1_EviT_PT9_S7_lS9_S7_lPT10_S7_li
    .private_segment_fixed_size: 0
    .sgpr_count:     26
    .sgpr_spill_count: 0
    .symbol:         _ZL37rocblas_syrkx_herkx_restricted_kernelIl19rocblas_complex_numIdELi16ELi32ELi8ELi1ELi0ELb0ELc78ELc85EKPKS1_KPS1_EviT_PT9_S7_lS9_S7_lPT10_S7_li.kd
    .uniform_work_group_size: 1
    .uses_dynamic_stack: false
    .vgpr_count:     54
    .vgpr_spill_count: 0
    .wavefront_size: 64
  - .args:
      - .offset:         0
        .size:           4
        .value_kind:     by_value
      - .offset:         8
        .size:           8
        .value_kind:     by_value
      - .address_space:  global
        .offset:         16
        .size:           8
        .value_kind:     global_buffer
      - .offset:         24
        .size:           8
        .value_kind:     by_value
      - .offset:         32
        .size:           8
        .value_kind:     by_value
      - .address_space:  global
        .offset:         40
        .size:           8
        .value_kind:     global_buffer
      - .offset:         48
        .size:           8
        .value_kind:     by_value
      - .offset:         56
        .size:           8
        .value_kind:     by_value
      - .address_space:  global
        .offset:         64
        .size:           8
        .value_kind:     global_buffer
      - .offset:         72
        .size:           8
        .value_kind:     by_value
      - .offset:         80
        .size:           8
        .value_kind:     by_value
      - .offset:         88
        .size:           4
        .value_kind:     by_value
    .group_segment_fixed_size: 8192
    .kernarg_segment_align: 8
    .kernarg_segment_size: 92
    .language:       OpenCL C
    .language_version:
      - 2
      - 0
    .max_flat_workgroup_size: 256
    .name:           _ZL37rocblas_syrkx_herkx_restricted_kernelIl19rocblas_complex_numIdELi16ELi32ELi8ELin1ELi0ELb0ELc84ELc76EKPKS1_KPS1_EviT_PT9_S7_lS9_S7_lPT10_S7_li
    .private_segment_fixed_size: 0
    .sgpr_count:     24
    .sgpr_spill_count: 0
    .symbol:         _ZL37rocblas_syrkx_herkx_restricted_kernelIl19rocblas_complex_numIdELi16ELi32ELi8ELin1ELi0ELb0ELc84ELc76EKPKS1_KPS1_EviT_PT9_S7_lS9_S7_lPT10_S7_li.kd
    .uniform_work_group_size: 1
    .uses_dynamic_stack: false
    .vgpr_count:     52
    .vgpr_spill_count: 0
    .wavefront_size: 64
  - .args:
      - .offset:         0
        .size:           4
        .value_kind:     by_value
      - .offset:         8
        .size:           8
        .value_kind:     by_value
      - .address_space:  global
        .offset:         16
        .size:           8
        .value_kind:     global_buffer
      - .offset:         24
        .size:           8
        .value_kind:     by_value
      - .offset:         32
        .size:           8
        .value_kind:     by_value
      - .address_space:  global
        .offset:         40
        .size:           8
        .value_kind:     global_buffer
      - .offset:         48
        .size:           8
        .value_kind:     by_value
      - .offset:         56
        .size:           8
        .value_kind:     by_value
      - .address_space:  global
        .offset:         64
        .size:           8
        .value_kind:     global_buffer
      - .offset:         72
        .size:           8
        .value_kind:     by_value
      - .offset:         80
        .size:           8
        .value_kind:     by_value
      - .offset:         88
        .size:           4
        .value_kind:     by_value
    .group_segment_fixed_size: 8192
    .kernarg_segment_align: 8
    .kernarg_segment_size: 92
    .language:       OpenCL C
    .language_version:
      - 2
      - 0
    .max_flat_workgroup_size: 256
    .name:           _ZL37rocblas_syrkx_herkx_restricted_kernelIl19rocblas_complex_numIdELi16ELi32ELi8ELin1ELi0ELb0ELc67ELc76EKPKS1_KPS1_EviT_PT9_S7_lS9_S7_lPT10_S7_li
    .private_segment_fixed_size: 0
    .sgpr_count:     24
    .sgpr_spill_count: 0
    .symbol:         _ZL37rocblas_syrkx_herkx_restricted_kernelIl19rocblas_complex_numIdELi16ELi32ELi8ELin1ELi0ELb0ELc67ELc76EKPKS1_KPS1_EviT_PT9_S7_lS9_S7_lPT10_S7_li.kd
    .uniform_work_group_size: 1
    .uses_dynamic_stack: false
    .vgpr_count:     52
    .vgpr_spill_count: 0
    .wavefront_size: 64
  - .args:
      - .offset:         0
        .size:           4
        .value_kind:     by_value
      - .offset:         8
        .size:           8
        .value_kind:     by_value
      - .address_space:  global
        .offset:         16
        .size:           8
        .value_kind:     global_buffer
      - .offset:         24
        .size:           8
        .value_kind:     by_value
      - .offset:         32
        .size:           8
        .value_kind:     by_value
      - .address_space:  global
        .offset:         40
        .size:           8
        .value_kind:     global_buffer
      - .offset:         48
        .size:           8
        .value_kind:     by_value
      - .offset:         56
        .size:           8
        .value_kind:     by_value
      - .address_space:  global
        .offset:         64
        .size:           8
        .value_kind:     global_buffer
      - .offset:         72
        .size:           8
        .value_kind:     by_value
      - .offset:         80
        .size:           8
        .value_kind:     by_value
      - .offset:         88
        .size:           4
        .value_kind:     by_value
    .group_segment_fixed_size: 8192
    .kernarg_segment_align: 8
    .kernarg_segment_size: 92
    .language:       OpenCL C
    .language_version:
      - 2
      - 0
    .max_flat_workgroup_size: 256
    .name:           _ZL37rocblas_syrkx_herkx_restricted_kernelIl19rocblas_complex_numIdELi16ELi32ELi8ELin1ELi0ELb0ELc78ELc76EKPKS1_KPS1_EviT_PT9_S7_lS9_S7_lPT10_S7_li
    .private_segment_fixed_size: 0
    .sgpr_count:     26
    .sgpr_spill_count: 0
    .symbol:         _ZL37rocblas_syrkx_herkx_restricted_kernelIl19rocblas_complex_numIdELi16ELi32ELi8ELin1ELi0ELb0ELc78ELc76EKPKS1_KPS1_EviT_PT9_S7_lS9_S7_lPT10_S7_li.kd
    .uniform_work_group_size: 1
    .uses_dynamic_stack: false
    .vgpr_count:     54
    .vgpr_spill_count: 0
    .wavefront_size: 64
  - .args:
      - .offset:         0
        .size:           4
        .value_kind:     by_value
      - .offset:         8
        .size:           8
        .value_kind:     by_value
      - .address_space:  global
        .offset:         16
        .size:           8
        .value_kind:     global_buffer
      - .offset:         24
        .size:           8
        .value_kind:     by_value
      - .offset:         32
        .size:           8
        .value_kind:     by_value
      - .address_space:  global
        .offset:         40
        .size:           8
        .value_kind:     global_buffer
      - .offset:         48
        .size:           8
        .value_kind:     by_value
      - .offset:         56
        .size:           8
        .value_kind:     by_value
      - .address_space:  global
        .offset:         64
        .size:           8
        .value_kind:     global_buffer
      - .offset:         72
        .size:           8
        .value_kind:     by_value
      - .offset:         80
        .size:           8
        .value_kind:     by_value
      - .offset:         88
        .size:           4
        .value_kind:     by_value
    .group_segment_fixed_size: 8192
    .kernarg_segment_align: 8
    .kernarg_segment_size: 92
    .language:       OpenCL C
    .language_version:
      - 2
      - 0
    .max_flat_workgroup_size: 256
    .name:           _ZL37rocblas_syrkx_herkx_restricted_kernelIl19rocblas_complex_numIdELi16ELi32ELi8ELin1ELi0ELb0ELc84ELc85EKPKS1_KPS1_EviT_PT9_S7_lS9_S7_lPT10_S7_li
    .private_segment_fixed_size: 0
    .sgpr_count:     24
    .sgpr_spill_count: 0
    .symbol:         _ZL37rocblas_syrkx_herkx_restricted_kernelIl19rocblas_complex_numIdELi16ELi32ELi8ELin1ELi0ELb0ELc84ELc85EKPKS1_KPS1_EviT_PT9_S7_lS9_S7_lPT10_S7_li.kd
    .uniform_work_group_size: 1
    .uses_dynamic_stack: false
    .vgpr_count:     52
    .vgpr_spill_count: 0
    .wavefront_size: 64
  - .args:
      - .offset:         0
        .size:           4
        .value_kind:     by_value
      - .offset:         8
        .size:           8
        .value_kind:     by_value
      - .address_space:  global
        .offset:         16
        .size:           8
        .value_kind:     global_buffer
      - .offset:         24
        .size:           8
        .value_kind:     by_value
      - .offset:         32
        .size:           8
        .value_kind:     by_value
      - .address_space:  global
        .offset:         40
        .size:           8
        .value_kind:     global_buffer
      - .offset:         48
        .size:           8
        .value_kind:     by_value
      - .offset:         56
        .size:           8
        .value_kind:     by_value
      - .address_space:  global
        .offset:         64
        .size:           8
        .value_kind:     global_buffer
      - .offset:         72
        .size:           8
        .value_kind:     by_value
      - .offset:         80
        .size:           8
        .value_kind:     by_value
      - .offset:         88
        .size:           4
        .value_kind:     by_value
    .group_segment_fixed_size: 8192
    .kernarg_segment_align: 8
    .kernarg_segment_size: 92
    .language:       OpenCL C
    .language_version:
      - 2
      - 0
    .max_flat_workgroup_size: 256
    .name:           _ZL37rocblas_syrkx_herkx_restricted_kernelIl19rocblas_complex_numIdELi16ELi32ELi8ELin1ELi0ELb0ELc67ELc85EKPKS1_KPS1_EviT_PT9_S7_lS9_S7_lPT10_S7_li
    .private_segment_fixed_size: 0
    .sgpr_count:     24
    .sgpr_spill_count: 0
    .symbol:         _ZL37rocblas_syrkx_herkx_restricted_kernelIl19rocblas_complex_numIdELi16ELi32ELi8ELin1ELi0ELb0ELc67ELc85EKPKS1_KPS1_EviT_PT9_S7_lS9_S7_lPT10_S7_li.kd
    .uniform_work_group_size: 1
    .uses_dynamic_stack: false
    .vgpr_count:     52
    .vgpr_spill_count: 0
    .wavefront_size: 64
  - .args:
      - .offset:         0
        .size:           4
        .value_kind:     by_value
      - .offset:         8
        .size:           8
        .value_kind:     by_value
      - .address_space:  global
        .offset:         16
        .size:           8
        .value_kind:     global_buffer
      - .offset:         24
        .size:           8
        .value_kind:     by_value
      - .offset:         32
        .size:           8
        .value_kind:     by_value
      - .address_space:  global
        .offset:         40
        .size:           8
        .value_kind:     global_buffer
      - .offset:         48
        .size:           8
        .value_kind:     by_value
      - .offset:         56
        .size:           8
        .value_kind:     by_value
      - .address_space:  global
        .offset:         64
        .size:           8
        .value_kind:     global_buffer
      - .offset:         72
        .size:           8
        .value_kind:     by_value
      - .offset:         80
        .size:           8
        .value_kind:     by_value
      - .offset:         88
        .size:           4
        .value_kind:     by_value
    .group_segment_fixed_size: 8192
    .kernarg_segment_align: 8
    .kernarg_segment_size: 92
    .language:       OpenCL C
    .language_version:
      - 2
      - 0
    .max_flat_workgroup_size: 256
    .name:           _ZL37rocblas_syrkx_herkx_restricted_kernelIl19rocblas_complex_numIdELi16ELi32ELi8ELin1ELi0ELb0ELc78ELc85EKPKS1_KPS1_EviT_PT9_S7_lS9_S7_lPT10_S7_li
    .private_segment_fixed_size: 0
    .sgpr_count:     26
    .sgpr_spill_count: 0
    .symbol:         _ZL37rocblas_syrkx_herkx_restricted_kernelIl19rocblas_complex_numIdELi16ELi32ELi8ELin1ELi0ELb0ELc78ELc85EKPKS1_KPS1_EviT_PT9_S7_lS9_S7_lPT10_S7_li.kd
    .uniform_work_group_size: 1
    .uses_dynamic_stack: false
    .vgpr_count:     54
    .vgpr_spill_count: 0
    .wavefront_size: 64
  - .args:
      - .offset:         0
        .size:           4
        .value_kind:     by_value
      - .offset:         8
        .size:           8
        .value_kind:     by_value
      - .offset:         16
        .size:           16
        .value_kind:     by_value
      - .address_space:  global
        .offset:         32
        .size:           8
        .value_kind:     global_buffer
      - .offset:         40
        .size:           8
        .value_kind:     by_value
      - .offset:         48
        .size:           8
        .value_kind:     by_value
      - .address_space:  global
        .offset:         56
        .size:           8
        .value_kind:     global_buffer
      - .offset:         64
        .size:           8
        .value_kind:     by_value
      - .offset:         72
        .size:           8
        .value_kind:     by_value
      - .offset:         80
        .size:           16
        .value_kind:     by_value
      - .address_space:  global
        .offset:         96
        .size:           8
        .value_kind:     global_buffer
      - .offset:         104
        .size:           8
        .value_kind:     by_value
      - .offset:         112
        .size:           8
        .value_kind:     by_value
      - .offset:         120
        .size:           4
        .value_kind:     by_value
    .group_segment_fixed_size: 8192
    .kernarg_segment_align: 8
    .kernarg_segment_size: 124
    .language:       OpenCL C
    .language_version:
      - 2
      - 0
    .max_flat_workgroup_size: 256
    .name:           _ZL37rocblas_syrkx_herkx_restricted_kernelIl19rocblas_complex_numIdELi16ELi32ELi8ELb1ELb0ELc84ELc76EKPKS1_KPS1_EviT_T0_PT8_S7_lSA_S7_lS8_PT9_S7_li
    .private_segment_fixed_size: 0
    .sgpr_count:     32
    .sgpr_spill_count: 0
    .symbol:         _ZL37rocblas_syrkx_herkx_restricted_kernelIl19rocblas_complex_numIdELi16ELi32ELi8ELb1ELb0ELc84ELc76EKPKS1_KPS1_EviT_T0_PT8_S7_lSA_S7_lS8_PT9_S7_li.kd
    .uniform_work_group_size: 1
    .uses_dynamic_stack: false
    .vgpr_count:     52
    .vgpr_spill_count: 0
    .wavefront_size: 64
  - .args:
      - .offset:         0
        .size:           4
        .value_kind:     by_value
      - .offset:         8
        .size:           8
        .value_kind:     by_value
      - .offset:         16
        .size:           16
        .value_kind:     by_value
      - .address_space:  global
        .offset:         32
        .size:           8
        .value_kind:     global_buffer
      - .offset:         40
        .size:           8
        .value_kind:     by_value
      - .offset:         48
        .size:           8
        .value_kind:     by_value
      - .address_space:  global
        .offset:         56
        .size:           8
        .value_kind:     global_buffer
      - .offset:         64
        .size:           8
        .value_kind:     by_value
      - .offset:         72
        .size:           8
        .value_kind:     by_value
      - .offset:         80
        .size:           16
        .value_kind:     by_value
      - .address_space:  global
        .offset:         96
        .size:           8
        .value_kind:     global_buffer
      - .offset:         104
        .size:           8
        .value_kind:     by_value
      - .offset:         112
        .size:           8
        .value_kind:     by_value
      - .offset:         120
        .size:           4
        .value_kind:     by_value
    .group_segment_fixed_size: 8192
    .kernarg_segment_align: 8
    .kernarg_segment_size: 124
    .language:       OpenCL C
    .language_version:
      - 2
      - 0
    .max_flat_workgroup_size: 256
    .name:           _ZL37rocblas_syrkx_herkx_restricted_kernelIl19rocblas_complex_numIdELi16ELi32ELi8ELb1ELb0ELc67ELc76EKPKS1_KPS1_EviT_T0_PT8_S7_lSA_S7_lS8_PT9_S7_li
    .private_segment_fixed_size: 0
    .sgpr_count:     32
    .sgpr_spill_count: 0
    .symbol:         _ZL37rocblas_syrkx_herkx_restricted_kernelIl19rocblas_complex_numIdELi16ELi32ELi8ELb1ELb0ELc67ELc76EKPKS1_KPS1_EviT_T0_PT8_S7_lSA_S7_lS8_PT9_S7_li.kd
    .uniform_work_group_size: 1
    .uses_dynamic_stack: false
    .vgpr_count:     52
    .vgpr_spill_count: 0
    .wavefront_size: 64
  - .args:
      - .offset:         0
        .size:           4
        .value_kind:     by_value
      - .offset:         8
        .size:           8
        .value_kind:     by_value
      - .offset:         16
        .size:           16
        .value_kind:     by_value
      - .address_space:  global
        .offset:         32
        .size:           8
        .value_kind:     global_buffer
      - .offset:         40
        .size:           8
        .value_kind:     by_value
      - .offset:         48
        .size:           8
        .value_kind:     by_value
      - .address_space:  global
        .offset:         56
        .size:           8
        .value_kind:     global_buffer
      - .offset:         64
        .size:           8
        .value_kind:     by_value
      - .offset:         72
        .size:           8
        .value_kind:     by_value
      - .offset:         80
        .size:           16
        .value_kind:     by_value
      - .address_space:  global
        .offset:         96
        .size:           8
        .value_kind:     global_buffer
      - .offset:         104
        .size:           8
        .value_kind:     by_value
      - .offset:         112
        .size:           8
        .value_kind:     by_value
      - .offset:         120
        .size:           4
        .value_kind:     by_value
    .group_segment_fixed_size: 8192
    .kernarg_segment_align: 8
    .kernarg_segment_size: 124
    .language:       OpenCL C
    .language_version:
      - 2
      - 0
    .max_flat_workgroup_size: 256
    .name:           _ZL37rocblas_syrkx_herkx_restricted_kernelIl19rocblas_complex_numIdELi16ELi32ELi8ELb1ELb0ELc78ELc76EKPKS1_KPS1_EviT_T0_PT8_S7_lSA_S7_lS8_PT9_S7_li
    .private_segment_fixed_size: 0
    .sgpr_count:     30
    .sgpr_spill_count: 0
    .symbol:         _ZL37rocblas_syrkx_herkx_restricted_kernelIl19rocblas_complex_numIdELi16ELi32ELi8ELb1ELb0ELc78ELc76EKPKS1_KPS1_EviT_T0_PT8_S7_lSA_S7_lS8_PT9_S7_li.kd
    .uniform_work_group_size: 1
    .uses_dynamic_stack: false
    .vgpr_count:     54
    .vgpr_spill_count: 0
    .wavefront_size: 64
  - .args:
      - .offset:         0
        .size:           4
        .value_kind:     by_value
      - .offset:         8
        .size:           8
        .value_kind:     by_value
      - .offset:         16
        .size:           16
        .value_kind:     by_value
      - .address_space:  global
        .offset:         32
        .size:           8
        .value_kind:     global_buffer
      - .offset:         40
        .size:           8
        .value_kind:     by_value
      - .offset:         48
        .size:           8
        .value_kind:     by_value
      - .address_space:  global
        .offset:         56
        .size:           8
        .value_kind:     global_buffer
      - .offset:         64
        .size:           8
        .value_kind:     by_value
      - .offset:         72
        .size:           8
        .value_kind:     by_value
      - .offset:         80
        .size:           16
        .value_kind:     by_value
      - .address_space:  global
        .offset:         96
        .size:           8
        .value_kind:     global_buffer
      - .offset:         104
        .size:           8
        .value_kind:     by_value
      - .offset:         112
        .size:           8
        .value_kind:     by_value
      - .offset:         120
        .size:           4
        .value_kind:     by_value
    .group_segment_fixed_size: 8192
    .kernarg_segment_align: 8
    .kernarg_segment_size: 124
    .language:       OpenCL C
    .language_version:
      - 2
      - 0
    .max_flat_workgroup_size: 256
    .name:           _ZL37rocblas_syrkx_herkx_restricted_kernelIl19rocblas_complex_numIdELi16ELi32ELi8ELb1ELb0ELc84ELc85EKPKS1_KPS1_EviT_T0_PT8_S7_lSA_S7_lS8_PT9_S7_li
    .private_segment_fixed_size: 0
    .sgpr_count:     32
    .sgpr_spill_count: 0
    .symbol:         _ZL37rocblas_syrkx_herkx_restricted_kernelIl19rocblas_complex_numIdELi16ELi32ELi8ELb1ELb0ELc84ELc85EKPKS1_KPS1_EviT_T0_PT8_S7_lSA_S7_lS8_PT9_S7_li.kd
    .uniform_work_group_size: 1
    .uses_dynamic_stack: false
    .vgpr_count:     52
    .vgpr_spill_count: 0
    .wavefront_size: 64
  - .args:
      - .offset:         0
        .size:           4
        .value_kind:     by_value
      - .offset:         8
        .size:           8
        .value_kind:     by_value
      - .offset:         16
        .size:           16
        .value_kind:     by_value
      - .address_space:  global
        .offset:         32
        .size:           8
        .value_kind:     global_buffer
      - .offset:         40
        .size:           8
        .value_kind:     by_value
      - .offset:         48
        .size:           8
        .value_kind:     by_value
      - .address_space:  global
        .offset:         56
        .size:           8
        .value_kind:     global_buffer
      - .offset:         64
        .size:           8
        .value_kind:     by_value
      - .offset:         72
        .size:           8
        .value_kind:     by_value
      - .offset:         80
        .size:           16
        .value_kind:     by_value
      - .address_space:  global
        .offset:         96
        .size:           8
        .value_kind:     global_buffer
      - .offset:         104
        .size:           8
        .value_kind:     by_value
      - .offset:         112
        .size:           8
        .value_kind:     by_value
      - .offset:         120
        .size:           4
        .value_kind:     by_value
    .group_segment_fixed_size: 8192
    .kernarg_segment_align: 8
    .kernarg_segment_size: 124
    .language:       OpenCL C
    .language_version:
      - 2
      - 0
    .max_flat_workgroup_size: 256
    .name:           _ZL37rocblas_syrkx_herkx_restricted_kernelIl19rocblas_complex_numIdELi16ELi32ELi8ELb1ELb0ELc67ELc85EKPKS1_KPS1_EviT_T0_PT8_S7_lSA_S7_lS8_PT9_S7_li
    .private_segment_fixed_size: 0
    .sgpr_count:     32
    .sgpr_spill_count: 0
    .symbol:         _ZL37rocblas_syrkx_herkx_restricted_kernelIl19rocblas_complex_numIdELi16ELi32ELi8ELb1ELb0ELc67ELc85EKPKS1_KPS1_EviT_T0_PT8_S7_lSA_S7_lS8_PT9_S7_li.kd
    .uniform_work_group_size: 1
    .uses_dynamic_stack: false
    .vgpr_count:     52
    .vgpr_spill_count: 0
    .wavefront_size: 64
  - .args:
      - .offset:         0
        .size:           4
        .value_kind:     by_value
      - .offset:         8
        .size:           8
        .value_kind:     by_value
      - .offset:         16
        .size:           16
        .value_kind:     by_value
      - .address_space:  global
        .offset:         32
        .size:           8
        .value_kind:     global_buffer
      - .offset:         40
        .size:           8
        .value_kind:     by_value
      - .offset:         48
        .size:           8
        .value_kind:     by_value
      - .address_space:  global
        .offset:         56
        .size:           8
        .value_kind:     global_buffer
      - .offset:         64
        .size:           8
        .value_kind:     by_value
      - .offset:         72
        .size:           8
        .value_kind:     by_value
      - .offset:         80
        .size:           16
        .value_kind:     by_value
      - .address_space:  global
        .offset:         96
        .size:           8
        .value_kind:     global_buffer
      - .offset:         104
        .size:           8
        .value_kind:     by_value
      - .offset:         112
        .size:           8
        .value_kind:     by_value
      - .offset:         120
        .size:           4
        .value_kind:     by_value
    .group_segment_fixed_size: 8192
    .kernarg_segment_align: 8
    .kernarg_segment_size: 124
    .language:       OpenCL C
    .language_version:
      - 2
      - 0
    .max_flat_workgroup_size: 256
    .name:           _ZL37rocblas_syrkx_herkx_restricted_kernelIl19rocblas_complex_numIdELi16ELi32ELi8ELb1ELb0ELc78ELc85EKPKS1_KPS1_EviT_T0_PT8_S7_lSA_S7_lS8_PT9_S7_li
    .private_segment_fixed_size: 0
    .sgpr_count:     32
    .sgpr_spill_count: 0
    .symbol:         _ZL37rocblas_syrkx_herkx_restricted_kernelIl19rocblas_complex_numIdELi16ELi32ELi8ELb1ELb0ELc78ELc85EKPKS1_KPS1_EviT_T0_PT8_S7_lSA_S7_lS8_PT9_S7_li.kd
    .uniform_work_group_size: 1
    .uses_dynamic_stack: false
    .vgpr_count:     54
    .vgpr_spill_count: 0
    .wavefront_size: 64
  - .args:
      - .offset:         0
        .size:           4
        .value_kind:     by_value
      - .offset:         8
        .size:           8
        .value_kind:     by_value
      - .offset:         16
        .size:           16
        .value_kind:     by_value
      - .address_space:  global
        .offset:         32
        .size:           8
        .value_kind:     global_buffer
      - .offset:         40
        .size:           8
        .value_kind:     by_value
      - .offset:         48
        .size:           8
        .value_kind:     by_value
      - .address_space:  global
        .offset:         56
        .size:           8
        .value_kind:     global_buffer
      - .offset:         64
        .size:           8
        .value_kind:     by_value
      - .offset:         72
        .size:           8
        .value_kind:     by_value
      - .offset:         80
        .size:           16
        .value_kind:     by_value
      - .address_space:  global
        .offset:         96
        .size:           8
        .value_kind:     global_buffer
      - .offset:         104
        .size:           8
        .value_kind:     by_value
      - .offset:         112
        .size:           8
        .value_kind:     by_value
      - .offset:         120
        .size:           4
        .value_kind:     by_value
    .group_segment_fixed_size: 8192
    .kernarg_segment_align: 8
    .kernarg_segment_size: 124
    .language:       OpenCL C
    .language_version:
      - 2
      - 0
    .max_flat_workgroup_size: 256
    .name:           _ZL37rocblas_syrkx_herkx_restricted_kernelIl19rocblas_complex_numIdELi16ELi32ELi8ELb0ELb0ELc84ELc76EKPKS1_KPS1_EviT_T0_PT8_S7_lSA_S7_lS8_PT9_S7_li
    .private_segment_fixed_size: 0
    .sgpr_count:     36
    .sgpr_spill_count: 0
    .symbol:         _ZL37rocblas_syrkx_herkx_restricted_kernelIl19rocblas_complex_numIdELi16ELi32ELi8ELb0ELb0ELc84ELc76EKPKS1_KPS1_EviT_T0_PT8_S7_lSA_S7_lS8_PT9_S7_li.kd
    .uniform_work_group_size: 1
    .uses_dynamic_stack: false
    .vgpr_count:     54
    .vgpr_spill_count: 0
    .wavefront_size: 64
  - .args:
      - .offset:         0
        .size:           4
        .value_kind:     by_value
      - .offset:         8
        .size:           8
        .value_kind:     by_value
      - .offset:         16
        .size:           16
        .value_kind:     by_value
      - .address_space:  global
        .offset:         32
        .size:           8
        .value_kind:     global_buffer
      - .offset:         40
        .size:           8
        .value_kind:     by_value
      - .offset:         48
        .size:           8
        .value_kind:     by_value
      - .address_space:  global
        .offset:         56
        .size:           8
        .value_kind:     global_buffer
      - .offset:         64
        .size:           8
        .value_kind:     by_value
      - .offset:         72
        .size:           8
        .value_kind:     by_value
      - .offset:         80
        .size:           16
        .value_kind:     by_value
      - .address_space:  global
        .offset:         96
        .size:           8
        .value_kind:     global_buffer
      - .offset:         104
        .size:           8
        .value_kind:     by_value
      - .offset:         112
        .size:           8
        .value_kind:     by_value
      - .offset:         120
        .size:           4
        .value_kind:     by_value
    .group_segment_fixed_size: 8192
    .kernarg_segment_align: 8
    .kernarg_segment_size: 124
    .language:       OpenCL C
    .language_version:
      - 2
      - 0
    .max_flat_workgroup_size: 256
    .name:           _ZL37rocblas_syrkx_herkx_restricted_kernelIl19rocblas_complex_numIdELi16ELi32ELi8ELb0ELb0ELc67ELc76EKPKS1_KPS1_EviT_T0_PT8_S7_lSA_S7_lS8_PT9_S7_li
    .private_segment_fixed_size: 0
    .sgpr_count:     36
    .sgpr_spill_count: 0
    .symbol:         _ZL37rocblas_syrkx_herkx_restricted_kernelIl19rocblas_complex_numIdELi16ELi32ELi8ELb0ELb0ELc67ELc76EKPKS1_KPS1_EviT_T0_PT8_S7_lSA_S7_lS8_PT9_S7_li.kd
    .uniform_work_group_size: 1
    .uses_dynamic_stack: false
    .vgpr_count:     54
    .vgpr_spill_count: 0
    .wavefront_size: 64
  - .args:
      - .offset:         0
        .size:           4
        .value_kind:     by_value
      - .offset:         8
        .size:           8
        .value_kind:     by_value
      - .offset:         16
        .size:           16
        .value_kind:     by_value
      - .address_space:  global
        .offset:         32
        .size:           8
        .value_kind:     global_buffer
      - .offset:         40
        .size:           8
        .value_kind:     by_value
      - .offset:         48
        .size:           8
        .value_kind:     by_value
      - .address_space:  global
        .offset:         56
        .size:           8
        .value_kind:     global_buffer
      - .offset:         64
        .size:           8
        .value_kind:     by_value
      - .offset:         72
        .size:           8
        .value_kind:     by_value
      - .offset:         80
        .size:           16
        .value_kind:     by_value
      - .address_space:  global
        .offset:         96
        .size:           8
        .value_kind:     global_buffer
      - .offset:         104
        .size:           8
        .value_kind:     by_value
      - .offset:         112
        .size:           8
        .value_kind:     by_value
      - .offset:         120
        .size:           4
        .value_kind:     by_value
    .group_segment_fixed_size: 8192
    .kernarg_segment_align: 8
    .kernarg_segment_size: 124
    .language:       OpenCL C
    .language_version:
      - 2
      - 0
    .max_flat_workgroup_size: 256
    .name:           _ZL37rocblas_syrkx_herkx_restricted_kernelIl19rocblas_complex_numIdELi16ELi32ELi8ELb0ELb0ELc78ELc76EKPKS1_KPS1_EviT_T0_PT8_S7_lSA_S7_lS8_PT9_S7_li
    .private_segment_fixed_size: 0
    .sgpr_count:     34
    .sgpr_spill_count: 0
    .symbol:         _ZL37rocblas_syrkx_herkx_restricted_kernelIl19rocblas_complex_numIdELi16ELi32ELi8ELb0ELb0ELc78ELc76EKPKS1_KPS1_EviT_T0_PT8_S7_lSA_S7_lS8_PT9_S7_li.kd
    .uniform_work_group_size: 1
    .uses_dynamic_stack: false
    .vgpr_count:     54
    .vgpr_spill_count: 0
    .wavefront_size: 64
  - .args:
      - .offset:         0
        .size:           4
        .value_kind:     by_value
      - .offset:         8
        .size:           8
        .value_kind:     by_value
      - .offset:         16
        .size:           16
        .value_kind:     by_value
      - .address_space:  global
        .offset:         32
        .size:           8
        .value_kind:     global_buffer
      - .offset:         40
        .size:           8
        .value_kind:     by_value
      - .offset:         48
        .size:           8
        .value_kind:     by_value
      - .address_space:  global
        .offset:         56
        .size:           8
        .value_kind:     global_buffer
      - .offset:         64
        .size:           8
        .value_kind:     by_value
      - .offset:         72
        .size:           8
        .value_kind:     by_value
      - .offset:         80
        .size:           16
        .value_kind:     by_value
      - .address_space:  global
        .offset:         96
        .size:           8
        .value_kind:     global_buffer
      - .offset:         104
        .size:           8
        .value_kind:     by_value
      - .offset:         112
        .size:           8
        .value_kind:     by_value
      - .offset:         120
        .size:           4
        .value_kind:     by_value
    .group_segment_fixed_size: 8192
    .kernarg_segment_align: 8
    .kernarg_segment_size: 124
    .language:       OpenCL C
    .language_version:
      - 2
      - 0
    .max_flat_workgroup_size: 256
    .name:           _ZL37rocblas_syrkx_herkx_restricted_kernelIl19rocblas_complex_numIdELi16ELi32ELi8ELb0ELb0ELc84ELc85EKPKS1_KPS1_EviT_T0_PT8_S7_lSA_S7_lS8_PT9_S7_li
    .private_segment_fixed_size: 0
    .sgpr_count:     36
    .sgpr_spill_count: 0
    .symbol:         _ZL37rocblas_syrkx_herkx_restricted_kernelIl19rocblas_complex_numIdELi16ELi32ELi8ELb0ELb0ELc84ELc85EKPKS1_KPS1_EviT_T0_PT8_S7_lSA_S7_lS8_PT9_S7_li.kd
    .uniform_work_group_size: 1
    .uses_dynamic_stack: false
    .vgpr_count:     54
    .vgpr_spill_count: 0
    .wavefront_size: 64
  - .args:
      - .offset:         0
        .size:           4
        .value_kind:     by_value
      - .offset:         8
        .size:           8
        .value_kind:     by_value
      - .offset:         16
        .size:           16
        .value_kind:     by_value
      - .address_space:  global
        .offset:         32
        .size:           8
        .value_kind:     global_buffer
      - .offset:         40
        .size:           8
        .value_kind:     by_value
      - .offset:         48
        .size:           8
        .value_kind:     by_value
      - .address_space:  global
        .offset:         56
        .size:           8
        .value_kind:     global_buffer
      - .offset:         64
        .size:           8
        .value_kind:     by_value
      - .offset:         72
        .size:           8
        .value_kind:     by_value
      - .offset:         80
        .size:           16
        .value_kind:     by_value
      - .address_space:  global
        .offset:         96
        .size:           8
        .value_kind:     global_buffer
      - .offset:         104
        .size:           8
        .value_kind:     by_value
      - .offset:         112
        .size:           8
        .value_kind:     by_value
      - .offset:         120
        .size:           4
        .value_kind:     by_value
    .group_segment_fixed_size: 8192
    .kernarg_segment_align: 8
    .kernarg_segment_size: 124
    .language:       OpenCL C
    .language_version:
      - 2
      - 0
    .max_flat_workgroup_size: 256
    .name:           _ZL37rocblas_syrkx_herkx_restricted_kernelIl19rocblas_complex_numIdELi16ELi32ELi8ELb0ELb0ELc67ELc85EKPKS1_KPS1_EviT_T0_PT8_S7_lSA_S7_lS8_PT9_S7_li
    .private_segment_fixed_size: 0
    .sgpr_count:     36
    .sgpr_spill_count: 0
    .symbol:         _ZL37rocblas_syrkx_herkx_restricted_kernelIl19rocblas_complex_numIdELi16ELi32ELi8ELb0ELb0ELc67ELc85EKPKS1_KPS1_EviT_T0_PT8_S7_lSA_S7_lS8_PT9_S7_li.kd
    .uniform_work_group_size: 1
    .uses_dynamic_stack: false
    .vgpr_count:     54
    .vgpr_spill_count: 0
    .wavefront_size: 64
  - .args:
      - .offset:         0
        .size:           4
        .value_kind:     by_value
      - .offset:         8
        .size:           8
        .value_kind:     by_value
      - .offset:         16
        .size:           16
        .value_kind:     by_value
      - .address_space:  global
        .offset:         32
        .size:           8
        .value_kind:     global_buffer
      - .offset:         40
        .size:           8
        .value_kind:     by_value
      - .offset:         48
        .size:           8
        .value_kind:     by_value
      - .address_space:  global
        .offset:         56
        .size:           8
        .value_kind:     global_buffer
      - .offset:         64
        .size:           8
        .value_kind:     by_value
      - .offset:         72
        .size:           8
        .value_kind:     by_value
      - .offset:         80
        .size:           16
        .value_kind:     by_value
      - .address_space:  global
        .offset:         96
        .size:           8
        .value_kind:     global_buffer
      - .offset:         104
        .size:           8
        .value_kind:     by_value
      - .offset:         112
        .size:           8
        .value_kind:     by_value
      - .offset:         120
        .size:           4
        .value_kind:     by_value
    .group_segment_fixed_size: 8192
    .kernarg_segment_align: 8
    .kernarg_segment_size: 124
    .language:       OpenCL C
    .language_version:
      - 2
      - 0
    .max_flat_workgroup_size: 256
    .name:           _ZL37rocblas_syrkx_herkx_restricted_kernelIl19rocblas_complex_numIdELi16ELi32ELi8ELb0ELb0ELc78ELc85EKPKS1_KPS1_EviT_T0_PT8_S7_lSA_S7_lS8_PT9_S7_li
    .private_segment_fixed_size: 0
    .sgpr_count:     34
    .sgpr_spill_count: 0
    .symbol:         _ZL37rocblas_syrkx_herkx_restricted_kernelIl19rocblas_complex_numIdELi16ELi32ELi8ELb0ELb0ELc78ELc85EKPKS1_KPS1_EviT_T0_PT8_S7_lSA_S7_lS8_PT9_S7_li.kd
    .uniform_work_group_size: 1
    .uses_dynamic_stack: false
    .vgpr_count:     54
    .vgpr_spill_count: 0
    .wavefront_size: 64
  - .args:
      - .offset:         0
        .size:           4
        .value_kind:     by_value
      - .offset:         8
        .size:           8
        .value_kind:     by_value
      - .offset:         16
        .size:           16
        .value_kind:     by_value
      - .address_space:  global
        .offset:         32
        .size:           8
        .value_kind:     global_buffer
      - .offset:         40
        .size:           8
        .value_kind:     by_value
      - .offset:         48
        .size:           8
        .value_kind:     by_value
      - .address_space:  global
        .offset:         56
        .size:           8
        .value_kind:     global_buffer
      - .offset:         64
        .size:           8
        .value_kind:     by_value
      - .offset:         72
        .size:           8
        .value_kind:     by_value
      - .offset:         80
        .size:           16
        .value_kind:     by_value
      - .address_space:  global
        .offset:         96
        .size:           8
        .value_kind:     global_buffer
      - .offset:         104
        .size:           8
        .value_kind:     by_value
      - .offset:         112
        .size:           8
        .value_kind:     by_value
      - .offset:         120
        .size:           4
        .value_kind:     by_value
    .group_segment_fixed_size: 8192
    .kernarg_segment_align: 8
    .kernarg_segment_size: 124
    .language:       OpenCL C
    .language_version:
      - 2
      - 0
    .max_flat_workgroup_size: 256
    .name:           _ZL41rocblas_syrkx_herkx_small_restrict_kernelIl19rocblas_complex_numIdELi16ELb1ELb0ELc84ELc76EKPKS1_KPS1_EviT_T0_PT6_S7_lSA_S7_lS8_PT7_S7_li
    .private_segment_fixed_size: 0
    .sgpr_count:     28
    .sgpr_spill_count: 0
    .symbol:         _ZL41rocblas_syrkx_herkx_small_restrict_kernelIl19rocblas_complex_numIdELi16ELb1ELb0ELc84ELc76EKPKS1_KPS1_EviT_T0_PT6_S7_lSA_S7_lS8_PT7_S7_li.kd
    .uniform_work_group_size: 1
    .uses_dynamic_stack: false
    .vgpr_count:     40
    .vgpr_spill_count: 0
    .wavefront_size: 64
  - .args:
      - .offset:         0
        .size:           4
        .value_kind:     by_value
      - .offset:         8
        .size:           8
        .value_kind:     by_value
      - .offset:         16
        .size:           16
        .value_kind:     by_value
      - .address_space:  global
        .offset:         32
        .size:           8
        .value_kind:     global_buffer
      - .offset:         40
        .size:           8
        .value_kind:     by_value
      - .offset:         48
        .size:           8
        .value_kind:     by_value
      - .address_space:  global
        .offset:         56
        .size:           8
        .value_kind:     global_buffer
      - .offset:         64
        .size:           8
        .value_kind:     by_value
      - .offset:         72
        .size:           8
        .value_kind:     by_value
      - .offset:         80
        .size:           16
        .value_kind:     by_value
      - .address_space:  global
        .offset:         96
        .size:           8
        .value_kind:     global_buffer
      - .offset:         104
        .size:           8
        .value_kind:     by_value
      - .offset:         112
        .size:           8
        .value_kind:     by_value
      - .offset:         120
        .size:           4
        .value_kind:     by_value
    .group_segment_fixed_size: 8192
    .kernarg_segment_align: 8
    .kernarg_segment_size: 124
    .language:       OpenCL C
    .language_version:
      - 2
      - 0
    .max_flat_workgroup_size: 256
    .name:           _ZL41rocblas_syrkx_herkx_small_restrict_kernelIl19rocblas_complex_numIdELi16ELb1ELb0ELc67ELc76EKPKS1_KPS1_EviT_T0_PT6_S7_lSA_S7_lS8_PT7_S7_li
    .private_segment_fixed_size: 0
    .sgpr_count:     28
    .sgpr_spill_count: 0
    .symbol:         _ZL41rocblas_syrkx_herkx_small_restrict_kernelIl19rocblas_complex_numIdELi16ELb1ELb0ELc67ELc76EKPKS1_KPS1_EviT_T0_PT6_S7_lSA_S7_lS8_PT7_S7_li.kd
    .uniform_work_group_size: 1
    .uses_dynamic_stack: false
    .vgpr_count:     40
    .vgpr_spill_count: 0
    .wavefront_size: 64
  - .args:
      - .offset:         0
        .size:           4
        .value_kind:     by_value
      - .offset:         8
        .size:           8
        .value_kind:     by_value
      - .offset:         16
        .size:           16
        .value_kind:     by_value
      - .address_space:  global
        .offset:         32
        .size:           8
        .value_kind:     global_buffer
      - .offset:         40
        .size:           8
        .value_kind:     by_value
      - .offset:         48
        .size:           8
        .value_kind:     by_value
      - .address_space:  global
        .offset:         56
        .size:           8
        .value_kind:     global_buffer
      - .offset:         64
        .size:           8
        .value_kind:     by_value
      - .offset:         72
        .size:           8
        .value_kind:     by_value
      - .offset:         80
        .size:           16
        .value_kind:     by_value
      - .address_space:  global
        .offset:         96
        .size:           8
        .value_kind:     global_buffer
      - .offset:         104
        .size:           8
        .value_kind:     by_value
      - .offset:         112
        .size:           8
        .value_kind:     by_value
      - .offset:         120
        .size:           4
        .value_kind:     by_value
    .group_segment_fixed_size: 8192
    .kernarg_segment_align: 8
    .kernarg_segment_size: 124
    .language:       OpenCL C
    .language_version:
      - 2
      - 0
    .max_flat_workgroup_size: 256
    .name:           _ZL41rocblas_syrkx_herkx_small_restrict_kernelIl19rocblas_complex_numIdELi16ELb1ELb0ELc78ELc76EKPKS1_KPS1_EviT_T0_PT6_S7_lSA_S7_lS8_PT7_S7_li
    .private_segment_fixed_size: 0
    .sgpr_count:     28
    .sgpr_spill_count: 0
    .symbol:         _ZL41rocblas_syrkx_herkx_small_restrict_kernelIl19rocblas_complex_numIdELi16ELb1ELb0ELc78ELc76EKPKS1_KPS1_EviT_T0_PT6_S7_lSA_S7_lS8_PT7_S7_li.kd
    .uniform_work_group_size: 1
    .uses_dynamic_stack: false
    .vgpr_count:     42
    .vgpr_spill_count: 0
    .wavefront_size: 64
  - .args:
      - .offset:         0
        .size:           4
        .value_kind:     by_value
      - .offset:         8
        .size:           8
        .value_kind:     by_value
      - .offset:         16
        .size:           16
        .value_kind:     by_value
      - .address_space:  global
        .offset:         32
        .size:           8
        .value_kind:     global_buffer
      - .offset:         40
        .size:           8
        .value_kind:     by_value
      - .offset:         48
        .size:           8
        .value_kind:     by_value
      - .address_space:  global
        .offset:         56
        .size:           8
        .value_kind:     global_buffer
      - .offset:         64
        .size:           8
        .value_kind:     by_value
      - .offset:         72
        .size:           8
        .value_kind:     by_value
      - .offset:         80
        .size:           16
        .value_kind:     by_value
      - .address_space:  global
        .offset:         96
        .size:           8
        .value_kind:     global_buffer
      - .offset:         104
        .size:           8
        .value_kind:     by_value
      - .offset:         112
        .size:           8
        .value_kind:     by_value
      - .offset:         120
        .size:           4
        .value_kind:     by_value
    .group_segment_fixed_size: 8192
    .kernarg_segment_align: 8
    .kernarg_segment_size: 124
    .language:       OpenCL C
    .language_version:
      - 2
      - 0
    .max_flat_workgroup_size: 256
    .name:           _ZL41rocblas_syrkx_herkx_small_restrict_kernelIl19rocblas_complex_numIdELi16ELb1ELb0ELc84ELc85EKPKS1_KPS1_EviT_T0_PT6_S7_lSA_S7_lS8_PT7_S7_li
    .private_segment_fixed_size: 0
    .sgpr_count:     28
    .sgpr_spill_count: 0
    .symbol:         _ZL41rocblas_syrkx_herkx_small_restrict_kernelIl19rocblas_complex_numIdELi16ELb1ELb0ELc84ELc85EKPKS1_KPS1_EviT_T0_PT6_S7_lSA_S7_lS8_PT7_S7_li.kd
    .uniform_work_group_size: 1
    .uses_dynamic_stack: false
    .vgpr_count:     40
    .vgpr_spill_count: 0
    .wavefront_size: 64
  - .args:
      - .offset:         0
        .size:           4
        .value_kind:     by_value
      - .offset:         8
        .size:           8
        .value_kind:     by_value
      - .offset:         16
        .size:           16
        .value_kind:     by_value
      - .address_space:  global
        .offset:         32
        .size:           8
        .value_kind:     global_buffer
      - .offset:         40
        .size:           8
        .value_kind:     by_value
      - .offset:         48
        .size:           8
        .value_kind:     by_value
      - .address_space:  global
        .offset:         56
        .size:           8
        .value_kind:     global_buffer
      - .offset:         64
        .size:           8
        .value_kind:     by_value
      - .offset:         72
        .size:           8
        .value_kind:     by_value
      - .offset:         80
        .size:           16
        .value_kind:     by_value
      - .address_space:  global
        .offset:         96
        .size:           8
        .value_kind:     global_buffer
      - .offset:         104
        .size:           8
        .value_kind:     by_value
      - .offset:         112
        .size:           8
        .value_kind:     by_value
      - .offset:         120
        .size:           4
        .value_kind:     by_value
    .group_segment_fixed_size: 8192
    .kernarg_segment_align: 8
    .kernarg_segment_size: 124
    .language:       OpenCL C
    .language_version:
      - 2
      - 0
    .max_flat_workgroup_size: 256
    .name:           _ZL41rocblas_syrkx_herkx_small_restrict_kernelIl19rocblas_complex_numIdELi16ELb1ELb0ELc67ELc85EKPKS1_KPS1_EviT_T0_PT6_S7_lSA_S7_lS8_PT7_S7_li
    .private_segment_fixed_size: 0
    .sgpr_count:     28
    .sgpr_spill_count: 0
    .symbol:         _ZL41rocblas_syrkx_herkx_small_restrict_kernelIl19rocblas_complex_numIdELi16ELb1ELb0ELc67ELc85EKPKS1_KPS1_EviT_T0_PT6_S7_lSA_S7_lS8_PT7_S7_li.kd
    .uniform_work_group_size: 1
    .uses_dynamic_stack: false
    .vgpr_count:     40
    .vgpr_spill_count: 0
    .wavefront_size: 64
  - .args:
      - .offset:         0
        .size:           4
        .value_kind:     by_value
      - .offset:         8
        .size:           8
        .value_kind:     by_value
      - .offset:         16
        .size:           16
        .value_kind:     by_value
      - .address_space:  global
        .offset:         32
        .size:           8
        .value_kind:     global_buffer
      - .offset:         40
        .size:           8
        .value_kind:     by_value
      - .offset:         48
        .size:           8
        .value_kind:     by_value
      - .address_space:  global
        .offset:         56
        .size:           8
        .value_kind:     global_buffer
      - .offset:         64
        .size:           8
        .value_kind:     by_value
      - .offset:         72
        .size:           8
        .value_kind:     by_value
      - .offset:         80
        .size:           16
        .value_kind:     by_value
      - .address_space:  global
        .offset:         96
        .size:           8
        .value_kind:     global_buffer
      - .offset:         104
        .size:           8
        .value_kind:     by_value
      - .offset:         112
        .size:           8
        .value_kind:     by_value
      - .offset:         120
        .size:           4
        .value_kind:     by_value
    .group_segment_fixed_size: 8192
    .kernarg_segment_align: 8
    .kernarg_segment_size: 124
    .language:       OpenCL C
    .language_version:
      - 2
      - 0
    .max_flat_workgroup_size: 256
    .name:           _ZL41rocblas_syrkx_herkx_small_restrict_kernelIl19rocblas_complex_numIdELi16ELb1ELb0ELc78ELc85EKPKS1_KPS1_EviT_T0_PT6_S7_lSA_S7_lS8_PT7_S7_li
    .private_segment_fixed_size: 0
    .sgpr_count:     28
    .sgpr_spill_count: 0
    .symbol:         _ZL41rocblas_syrkx_herkx_small_restrict_kernelIl19rocblas_complex_numIdELi16ELb1ELb0ELc78ELc85EKPKS1_KPS1_EviT_T0_PT6_S7_lSA_S7_lS8_PT7_S7_li.kd
    .uniform_work_group_size: 1
    .uses_dynamic_stack: false
    .vgpr_count:     42
    .vgpr_spill_count: 0
    .wavefront_size: 64
  - .args:
      - .offset:         0
        .size:           4
        .value_kind:     by_value
      - .offset:         8
        .size:           8
        .value_kind:     by_value
      - .offset:         16
        .size:           16
        .value_kind:     by_value
      - .address_space:  global
        .offset:         32
        .size:           8
        .value_kind:     global_buffer
      - .offset:         40
        .size:           8
        .value_kind:     by_value
      - .offset:         48
        .size:           8
        .value_kind:     by_value
      - .address_space:  global
        .offset:         56
        .size:           8
        .value_kind:     global_buffer
      - .offset:         64
        .size:           8
        .value_kind:     by_value
      - .offset:         72
        .size:           8
        .value_kind:     by_value
      - .offset:         80
        .size:           16
        .value_kind:     by_value
      - .address_space:  global
        .offset:         96
        .size:           8
        .value_kind:     global_buffer
      - .offset:         104
        .size:           8
        .value_kind:     by_value
      - .offset:         112
        .size:           8
        .value_kind:     by_value
      - .offset:         120
        .size:           4
        .value_kind:     by_value
    .group_segment_fixed_size: 8192
    .kernarg_segment_align: 8
    .kernarg_segment_size: 124
    .language:       OpenCL C
    .language_version:
      - 2
      - 0
    .max_flat_workgroup_size: 256
    .name:           _ZL41rocblas_syrkx_herkx_small_restrict_kernelIl19rocblas_complex_numIdELi16ELb0ELb0ELc84ELc76EKPKS1_KPS1_EviT_T0_PT6_S7_lSA_S7_lS8_PT7_S7_li
    .private_segment_fixed_size: 0
    .sgpr_count:     36
    .sgpr_spill_count: 0
    .symbol:         _ZL41rocblas_syrkx_herkx_small_restrict_kernelIl19rocblas_complex_numIdELi16ELb0ELb0ELc84ELc76EKPKS1_KPS1_EviT_T0_PT6_S7_lSA_S7_lS8_PT7_S7_li.kd
    .uniform_work_group_size: 1
    .uses_dynamic_stack: false
    .vgpr_count:     40
    .vgpr_spill_count: 0
    .wavefront_size: 64
  - .args:
      - .offset:         0
        .size:           4
        .value_kind:     by_value
      - .offset:         8
        .size:           8
        .value_kind:     by_value
      - .offset:         16
        .size:           16
        .value_kind:     by_value
      - .address_space:  global
        .offset:         32
        .size:           8
        .value_kind:     global_buffer
      - .offset:         40
        .size:           8
        .value_kind:     by_value
      - .offset:         48
        .size:           8
        .value_kind:     by_value
      - .address_space:  global
        .offset:         56
        .size:           8
        .value_kind:     global_buffer
      - .offset:         64
        .size:           8
        .value_kind:     by_value
      - .offset:         72
        .size:           8
        .value_kind:     by_value
      - .offset:         80
        .size:           16
        .value_kind:     by_value
      - .address_space:  global
        .offset:         96
        .size:           8
        .value_kind:     global_buffer
      - .offset:         104
        .size:           8
        .value_kind:     by_value
      - .offset:         112
        .size:           8
        .value_kind:     by_value
      - .offset:         120
        .size:           4
        .value_kind:     by_value
    .group_segment_fixed_size: 8192
    .kernarg_segment_align: 8
    .kernarg_segment_size: 124
    .language:       OpenCL C
    .language_version:
      - 2
      - 0
    .max_flat_workgroup_size: 256
    .name:           _ZL41rocblas_syrkx_herkx_small_restrict_kernelIl19rocblas_complex_numIdELi16ELb0ELb0ELc67ELc76EKPKS1_KPS1_EviT_T0_PT6_S7_lSA_S7_lS8_PT7_S7_li
    .private_segment_fixed_size: 0
    .sgpr_count:     36
    .sgpr_spill_count: 0
    .symbol:         _ZL41rocblas_syrkx_herkx_small_restrict_kernelIl19rocblas_complex_numIdELi16ELb0ELb0ELc67ELc76EKPKS1_KPS1_EviT_T0_PT6_S7_lSA_S7_lS8_PT7_S7_li.kd
    .uniform_work_group_size: 1
    .uses_dynamic_stack: false
    .vgpr_count:     40
    .vgpr_spill_count: 0
    .wavefront_size: 64
  - .args:
      - .offset:         0
        .size:           4
        .value_kind:     by_value
      - .offset:         8
        .size:           8
        .value_kind:     by_value
      - .offset:         16
        .size:           16
        .value_kind:     by_value
      - .address_space:  global
        .offset:         32
        .size:           8
        .value_kind:     global_buffer
      - .offset:         40
        .size:           8
        .value_kind:     by_value
      - .offset:         48
        .size:           8
        .value_kind:     by_value
      - .address_space:  global
        .offset:         56
        .size:           8
        .value_kind:     global_buffer
      - .offset:         64
        .size:           8
        .value_kind:     by_value
      - .offset:         72
        .size:           8
        .value_kind:     by_value
      - .offset:         80
        .size:           16
        .value_kind:     by_value
      - .address_space:  global
        .offset:         96
        .size:           8
        .value_kind:     global_buffer
      - .offset:         104
        .size:           8
        .value_kind:     by_value
      - .offset:         112
        .size:           8
        .value_kind:     by_value
      - .offset:         120
        .size:           4
        .value_kind:     by_value
    .group_segment_fixed_size: 8192
    .kernarg_segment_align: 8
    .kernarg_segment_size: 124
    .language:       OpenCL C
    .language_version:
      - 2
      - 0
    .max_flat_workgroup_size: 256
    .name:           _ZL41rocblas_syrkx_herkx_small_restrict_kernelIl19rocblas_complex_numIdELi16ELb0ELb0ELc78ELc76EKPKS1_KPS1_EviT_T0_PT6_S7_lSA_S7_lS8_PT7_S7_li
    .private_segment_fixed_size: 0
    .sgpr_count:     34
    .sgpr_spill_count: 0
    .symbol:         _ZL41rocblas_syrkx_herkx_small_restrict_kernelIl19rocblas_complex_numIdELi16ELb0ELb0ELc78ELc76EKPKS1_KPS1_EviT_T0_PT6_S7_lSA_S7_lS8_PT7_S7_li.kd
    .uniform_work_group_size: 1
    .uses_dynamic_stack: false
    .vgpr_count:     42
    .vgpr_spill_count: 0
    .wavefront_size: 64
  - .args:
      - .offset:         0
        .size:           4
        .value_kind:     by_value
      - .offset:         8
        .size:           8
        .value_kind:     by_value
      - .offset:         16
        .size:           16
        .value_kind:     by_value
      - .address_space:  global
        .offset:         32
        .size:           8
        .value_kind:     global_buffer
      - .offset:         40
        .size:           8
        .value_kind:     by_value
      - .offset:         48
        .size:           8
        .value_kind:     by_value
      - .address_space:  global
        .offset:         56
        .size:           8
        .value_kind:     global_buffer
      - .offset:         64
        .size:           8
        .value_kind:     by_value
      - .offset:         72
        .size:           8
        .value_kind:     by_value
      - .offset:         80
        .size:           16
        .value_kind:     by_value
      - .address_space:  global
        .offset:         96
        .size:           8
        .value_kind:     global_buffer
      - .offset:         104
        .size:           8
        .value_kind:     by_value
      - .offset:         112
        .size:           8
        .value_kind:     by_value
      - .offset:         120
        .size:           4
        .value_kind:     by_value
    .group_segment_fixed_size: 8192
    .kernarg_segment_align: 8
    .kernarg_segment_size: 124
    .language:       OpenCL C
    .language_version:
      - 2
      - 0
    .max_flat_workgroup_size: 256
    .name:           _ZL41rocblas_syrkx_herkx_small_restrict_kernelIl19rocblas_complex_numIdELi16ELb0ELb0ELc84ELc85EKPKS1_KPS1_EviT_T0_PT6_S7_lSA_S7_lS8_PT7_S7_li
    .private_segment_fixed_size: 0
    .sgpr_count:     36
    .sgpr_spill_count: 0
    .symbol:         _ZL41rocblas_syrkx_herkx_small_restrict_kernelIl19rocblas_complex_numIdELi16ELb0ELb0ELc84ELc85EKPKS1_KPS1_EviT_T0_PT6_S7_lSA_S7_lS8_PT7_S7_li.kd
    .uniform_work_group_size: 1
    .uses_dynamic_stack: false
    .vgpr_count:     40
    .vgpr_spill_count: 0
    .wavefront_size: 64
  - .args:
      - .offset:         0
        .size:           4
        .value_kind:     by_value
      - .offset:         8
        .size:           8
        .value_kind:     by_value
      - .offset:         16
        .size:           16
        .value_kind:     by_value
      - .address_space:  global
        .offset:         32
        .size:           8
        .value_kind:     global_buffer
      - .offset:         40
        .size:           8
        .value_kind:     by_value
      - .offset:         48
        .size:           8
        .value_kind:     by_value
      - .address_space:  global
        .offset:         56
        .size:           8
        .value_kind:     global_buffer
      - .offset:         64
        .size:           8
        .value_kind:     by_value
      - .offset:         72
        .size:           8
        .value_kind:     by_value
      - .offset:         80
        .size:           16
        .value_kind:     by_value
      - .address_space:  global
        .offset:         96
        .size:           8
        .value_kind:     global_buffer
      - .offset:         104
        .size:           8
        .value_kind:     by_value
      - .offset:         112
        .size:           8
        .value_kind:     by_value
      - .offset:         120
        .size:           4
        .value_kind:     by_value
    .group_segment_fixed_size: 8192
    .kernarg_segment_align: 8
    .kernarg_segment_size: 124
    .language:       OpenCL C
    .language_version:
      - 2
      - 0
    .max_flat_workgroup_size: 256
    .name:           _ZL41rocblas_syrkx_herkx_small_restrict_kernelIl19rocblas_complex_numIdELi16ELb0ELb0ELc67ELc85EKPKS1_KPS1_EviT_T0_PT6_S7_lSA_S7_lS8_PT7_S7_li
    .private_segment_fixed_size: 0
    .sgpr_count:     36
    .sgpr_spill_count: 0
    .symbol:         _ZL41rocblas_syrkx_herkx_small_restrict_kernelIl19rocblas_complex_numIdELi16ELb0ELb0ELc67ELc85EKPKS1_KPS1_EviT_T0_PT6_S7_lSA_S7_lS8_PT7_S7_li.kd
    .uniform_work_group_size: 1
    .uses_dynamic_stack: false
    .vgpr_count:     40
    .vgpr_spill_count: 0
    .wavefront_size: 64
  - .args:
      - .offset:         0
        .size:           4
        .value_kind:     by_value
      - .offset:         8
        .size:           8
        .value_kind:     by_value
      - .offset:         16
        .size:           16
        .value_kind:     by_value
      - .address_space:  global
        .offset:         32
        .size:           8
        .value_kind:     global_buffer
      - .offset:         40
        .size:           8
        .value_kind:     by_value
      - .offset:         48
        .size:           8
        .value_kind:     by_value
      - .address_space:  global
        .offset:         56
        .size:           8
        .value_kind:     global_buffer
      - .offset:         64
        .size:           8
        .value_kind:     by_value
      - .offset:         72
        .size:           8
        .value_kind:     by_value
      - .offset:         80
        .size:           16
        .value_kind:     by_value
      - .address_space:  global
        .offset:         96
        .size:           8
        .value_kind:     global_buffer
      - .offset:         104
        .size:           8
        .value_kind:     by_value
      - .offset:         112
        .size:           8
        .value_kind:     by_value
      - .offset:         120
        .size:           4
        .value_kind:     by_value
    .group_segment_fixed_size: 8192
    .kernarg_segment_align: 8
    .kernarg_segment_size: 124
    .language:       OpenCL C
    .language_version:
      - 2
      - 0
    .max_flat_workgroup_size: 256
    .name:           _ZL41rocblas_syrkx_herkx_small_restrict_kernelIl19rocblas_complex_numIdELi16ELb0ELb0ELc78ELc85EKPKS1_KPS1_EviT_T0_PT6_S7_lSA_S7_lS8_PT7_S7_li
    .private_segment_fixed_size: 0
    .sgpr_count:     34
    .sgpr_spill_count: 0
    .symbol:         _ZL41rocblas_syrkx_herkx_small_restrict_kernelIl19rocblas_complex_numIdELi16ELb0ELb0ELc78ELc85EKPKS1_KPS1_EviT_T0_PT6_S7_lSA_S7_lS8_PT7_S7_li.kd
    .uniform_work_group_size: 1
    .uses_dynamic_stack: false
    .vgpr_count:     42
    .vgpr_spill_count: 0
    .wavefront_size: 64
  - .args:
      - .offset:         0
        .size:           4
        .value_kind:     by_value
      - .offset:         8
        .size:           8
        .value_kind:     by_value
      - .offset:         16
        .size:           16
        .value_kind:     by_value
      - .address_space:  global
        .offset:         32
        .size:           8
        .value_kind:     global_buffer
      - .offset:         40
        .size:           8
        .value_kind:     by_value
      - .offset:         48
        .size:           8
        .value_kind:     by_value
      - .address_space:  global
        .offset:         56
        .size:           8
        .value_kind:     global_buffer
      - .offset:         64
        .size:           8
        .value_kind:     by_value
      - .offset:         72
        .size:           8
        .value_kind:     by_value
      - .offset:         80
        .size:           16
        .value_kind:     by_value
      - .address_space:  global
        .offset:         96
        .size:           8
        .value_kind:     global_buffer
      - .offset:         104
        .size:           8
        .value_kind:     by_value
      - .offset:         112
        .size:           8
        .value_kind:     by_value
      - .offset:         120
        .size:           4
        .value_kind:     by_value
    .group_segment_fixed_size: 8192
    .kernarg_segment_align: 8
    .kernarg_segment_size: 124
    .language:       OpenCL C
    .language_version:
      - 2
      - 0
    .max_flat_workgroup_size: 256
    .name:           _ZL32rocblas_syrkx_herkx_small_kernelIl19rocblas_complex_numIdELi16ELb1ELb0ELc84ELc76EKPKS1_KPS1_EviT_T0_PT6_S7_lSA_S7_lS8_PT7_S7_li
    .private_segment_fixed_size: 0
    .sgpr_count:     36
    .sgpr_spill_count: 0
    .symbol:         _ZL32rocblas_syrkx_herkx_small_kernelIl19rocblas_complex_numIdELi16ELb1ELb0ELc84ELc76EKPKS1_KPS1_EviT_T0_PT6_S7_lSA_S7_lS8_PT7_S7_li.kd
    .uniform_work_group_size: 1
    .uses_dynamic_stack: false
    .vgpr_count:     54
    .vgpr_spill_count: 0
    .wavefront_size: 64
  - .args:
      - .offset:         0
        .size:           4
        .value_kind:     by_value
      - .offset:         8
        .size:           8
        .value_kind:     by_value
      - .offset:         16
        .size:           16
        .value_kind:     by_value
      - .address_space:  global
        .offset:         32
        .size:           8
        .value_kind:     global_buffer
      - .offset:         40
        .size:           8
        .value_kind:     by_value
      - .offset:         48
        .size:           8
        .value_kind:     by_value
      - .address_space:  global
        .offset:         56
        .size:           8
        .value_kind:     global_buffer
      - .offset:         64
        .size:           8
        .value_kind:     by_value
      - .offset:         72
        .size:           8
        .value_kind:     by_value
      - .offset:         80
        .size:           16
        .value_kind:     by_value
      - .address_space:  global
        .offset:         96
        .size:           8
        .value_kind:     global_buffer
      - .offset:         104
        .size:           8
        .value_kind:     by_value
      - .offset:         112
        .size:           8
        .value_kind:     by_value
      - .offset:         120
        .size:           4
        .value_kind:     by_value
    .group_segment_fixed_size: 8192
    .kernarg_segment_align: 8
    .kernarg_segment_size: 124
    .language:       OpenCL C
    .language_version:
      - 2
      - 0
    .max_flat_workgroup_size: 256
    .name:           _ZL32rocblas_syrkx_herkx_small_kernelIl19rocblas_complex_numIdELi16ELb1ELb0ELc67ELc76EKPKS1_KPS1_EviT_T0_PT6_S7_lSA_S7_lS8_PT7_S7_li
    .private_segment_fixed_size: 0
    .sgpr_count:     36
    .sgpr_spill_count: 0
    .symbol:         _ZL32rocblas_syrkx_herkx_small_kernelIl19rocblas_complex_numIdELi16ELb1ELb0ELc67ELc76EKPKS1_KPS1_EviT_T0_PT6_S7_lSA_S7_lS8_PT7_S7_li.kd
    .uniform_work_group_size: 1
    .uses_dynamic_stack: false
    .vgpr_count:     53
    .vgpr_spill_count: 0
    .wavefront_size: 64
  - .args:
      - .offset:         0
        .size:           4
        .value_kind:     by_value
      - .offset:         8
        .size:           8
        .value_kind:     by_value
      - .offset:         16
        .size:           16
        .value_kind:     by_value
      - .address_space:  global
        .offset:         32
        .size:           8
        .value_kind:     global_buffer
      - .offset:         40
        .size:           8
        .value_kind:     by_value
      - .offset:         48
        .size:           8
        .value_kind:     by_value
      - .address_space:  global
        .offset:         56
        .size:           8
        .value_kind:     global_buffer
      - .offset:         64
        .size:           8
        .value_kind:     by_value
      - .offset:         72
        .size:           8
        .value_kind:     by_value
      - .offset:         80
        .size:           16
        .value_kind:     by_value
      - .address_space:  global
        .offset:         96
        .size:           8
        .value_kind:     global_buffer
      - .offset:         104
        .size:           8
        .value_kind:     by_value
      - .offset:         112
        .size:           8
        .value_kind:     by_value
      - .offset:         120
        .size:           4
        .value_kind:     by_value
    .group_segment_fixed_size: 8192
    .kernarg_segment_align: 8
    .kernarg_segment_size: 124
    .language:       OpenCL C
    .language_version:
      - 2
      - 0
    .max_flat_workgroup_size: 256
    .name:           _ZL32rocblas_syrkx_herkx_small_kernelIl19rocblas_complex_numIdELi16ELb1ELb0ELc78ELc76EKPKS1_KPS1_EviT_T0_PT6_S7_lSA_S7_lS8_PT7_S7_li
    .private_segment_fixed_size: 0
    .sgpr_count:     31
    .sgpr_spill_count: 0
    .symbol:         _ZL32rocblas_syrkx_herkx_small_kernelIl19rocblas_complex_numIdELi16ELb1ELb0ELc78ELc76EKPKS1_KPS1_EviT_T0_PT6_S7_lSA_S7_lS8_PT7_S7_li.kd
    .uniform_work_group_size: 1
    .uses_dynamic_stack: false
    .vgpr_count:     49
    .vgpr_spill_count: 0
    .wavefront_size: 64
  - .args:
      - .offset:         0
        .size:           4
        .value_kind:     by_value
      - .offset:         8
        .size:           8
        .value_kind:     by_value
      - .offset:         16
        .size:           16
        .value_kind:     by_value
      - .address_space:  global
        .offset:         32
        .size:           8
        .value_kind:     global_buffer
      - .offset:         40
        .size:           8
        .value_kind:     by_value
      - .offset:         48
        .size:           8
        .value_kind:     by_value
      - .address_space:  global
        .offset:         56
        .size:           8
        .value_kind:     global_buffer
      - .offset:         64
        .size:           8
        .value_kind:     by_value
      - .offset:         72
        .size:           8
        .value_kind:     by_value
      - .offset:         80
        .size:           16
        .value_kind:     by_value
      - .address_space:  global
        .offset:         96
        .size:           8
        .value_kind:     global_buffer
      - .offset:         104
        .size:           8
        .value_kind:     by_value
      - .offset:         112
        .size:           8
        .value_kind:     by_value
      - .offset:         120
        .size:           4
        .value_kind:     by_value
    .group_segment_fixed_size: 8192
    .kernarg_segment_align: 8
    .kernarg_segment_size: 124
    .language:       OpenCL C
    .language_version:
      - 2
      - 0
    .max_flat_workgroup_size: 256
    .name:           _ZL32rocblas_syrkx_herkx_small_kernelIl19rocblas_complex_numIdELi16ELb1ELb0ELc84ELc85EKPKS1_KPS1_EviT_T0_PT6_S7_lSA_S7_lS8_PT7_S7_li
    .private_segment_fixed_size: 0
    .sgpr_count:     36
    .sgpr_spill_count: 0
    .symbol:         _ZL32rocblas_syrkx_herkx_small_kernelIl19rocblas_complex_numIdELi16ELb1ELb0ELc84ELc85EKPKS1_KPS1_EviT_T0_PT6_S7_lSA_S7_lS8_PT7_S7_li.kd
    .uniform_work_group_size: 1
    .uses_dynamic_stack: false
    .vgpr_count:     54
    .vgpr_spill_count: 0
    .wavefront_size: 64
  - .args:
      - .offset:         0
        .size:           4
        .value_kind:     by_value
      - .offset:         8
        .size:           8
        .value_kind:     by_value
      - .offset:         16
        .size:           16
        .value_kind:     by_value
      - .address_space:  global
        .offset:         32
        .size:           8
        .value_kind:     global_buffer
      - .offset:         40
        .size:           8
        .value_kind:     by_value
      - .offset:         48
        .size:           8
        .value_kind:     by_value
      - .address_space:  global
        .offset:         56
        .size:           8
        .value_kind:     global_buffer
      - .offset:         64
        .size:           8
        .value_kind:     by_value
      - .offset:         72
        .size:           8
        .value_kind:     by_value
      - .offset:         80
        .size:           16
        .value_kind:     by_value
      - .address_space:  global
        .offset:         96
        .size:           8
        .value_kind:     global_buffer
      - .offset:         104
        .size:           8
        .value_kind:     by_value
      - .offset:         112
        .size:           8
        .value_kind:     by_value
      - .offset:         120
        .size:           4
        .value_kind:     by_value
    .group_segment_fixed_size: 8192
    .kernarg_segment_align: 8
    .kernarg_segment_size: 124
    .language:       OpenCL C
    .language_version:
      - 2
      - 0
    .max_flat_workgroup_size: 256
    .name:           _ZL32rocblas_syrkx_herkx_small_kernelIl19rocblas_complex_numIdELi16ELb1ELb0ELc67ELc85EKPKS1_KPS1_EviT_T0_PT6_S7_lSA_S7_lS8_PT7_S7_li
    .private_segment_fixed_size: 0
    .sgpr_count:     36
    .sgpr_spill_count: 0
    .symbol:         _ZL32rocblas_syrkx_herkx_small_kernelIl19rocblas_complex_numIdELi16ELb1ELb0ELc67ELc85EKPKS1_KPS1_EviT_T0_PT6_S7_lSA_S7_lS8_PT7_S7_li.kd
    .uniform_work_group_size: 1
    .uses_dynamic_stack: false
    .vgpr_count:     53
    .vgpr_spill_count: 0
    .wavefront_size: 64
  - .args:
      - .offset:         0
        .size:           4
        .value_kind:     by_value
      - .offset:         8
        .size:           8
        .value_kind:     by_value
      - .offset:         16
        .size:           16
        .value_kind:     by_value
      - .address_space:  global
        .offset:         32
        .size:           8
        .value_kind:     global_buffer
      - .offset:         40
        .size:           8
        .value_kind:     by_value
      - .offset:         48
        .size:           8
        .value_kind:     by_value
      - .address_space:  global
        .offset:         56
        .size:           8
        .value_kind:     global_buffer
      - .offset:         64
        .size:           8
        .value_kind:     by_value
      - .offset:         72
        .size:           8
        .value_kind:     by_value
      - .offset:         80
        .size:           16
        .value_kind:     by_value
      - .address_space:  global
        .offset:         96
        .size:           8
        .value_kind:     global_buffer
      - .offset:         104
        .size:           8
        .value_kind:     by_value
      - .offset:         112
        .size:           8
        .value_kind:     by_value
      - .offset:         120
        .size:           4
        .value_kind:     by_value
    .group_segment_fixed_size: 8192
    .kernarg_segment_align: 8
    .kernarg_segment_size: 124
    .language:       OpenCL C
    .language_version:
      - 2
      - 0
    .max_flat_workgroup_size: 256
    .name:           _ZL32rocblas_syrkx_herkx_small_kernelIl19rocblas_complex_numIdELi16ELb1ELb0ELc78ELc85EKPKS1_KPS1_EviT_T0_PT6_S7_lSA_S7_lS8_PT7_S7_li
    .private_segment_fixed_size: 0
    .sgpr_count:     31
    .sgpr_spill_count: 0
    .symbol:         _ZL32rocblas_syrkx_herkx_small_kernelIl19rocblas_complex_numIdELi16ELb1ELb0ELc78ELc85EKPKS1_KPS1_EviT_T0_PT6_S7_lSA_S7_lS8_PT7_S7_li.kd
    .uniform_work_group_size: 1
    .uses_dynamic_stack: false
    .vgpr_count:     49
    .vgpr_spill_count: 0
    .wavefront_size: 64
  - .args:
      - .offset:         0
        .size:           4
        .value_kind:     by_value
      - .offset:         8
        .size:           8
        .value_kind:     by_value
      - .offset:         16
        .size:           16
        .value_kind:     by_value
      - .address_space:  global
        .offset:         32
        .size:           8
        .value_kind:     global_buffer
      - .offset:         40
        .size:           8
        .value_kind:     by_value
      - .offset:         48
        .size:           8
        .value_kind:     by_value
      - .address_space:  global
        .offset:         56
        .size:           8
        .value_kind:     global_buffer
      - .offset:         64
        .size:           8
        .value_kind:     by_value
      - .offset:         72
        .size:           8
        .value_kind:     by_value
      - .offset:         80
        .size:           16
        .value_kind:     by_value
      - .address_space:  global
        .offset:         96
        .size:           8
        .value_kind:     global_buffer
      - .offset:         104
        .size:           8
        .value_kind:     by_value
      - .offset:         112
        .size:           8
        .value_kind:     by_value
      - .offset:         120
        .size:           4
        .value_kind:     by_value
    .group_segment_fixed_size: 8192
    .kernarg_segment_align: 8
    .kernarg_segment_size: 124
    .language:       OpenCL C
    .language_version:
      - 2
      - 0
    .max_flat_workgroup_size: 256
    .name:           _ZL32rocblas_syrkx_herkx_small_kernelIl19rocblas_complex_numIdELi16ELb0ELb0ELc84ELc76EKPKS1_KPS1_EviT_T0_PT6_S7_lSA_S7_lS8_PT7_S7_li
    .private_segment_fixed_size: 0
    .sgpr_count:     44
    .sgpr_spill_count: 0
    .symbol:         _ZL32rocblas_syrkx_herkx_small_kernelIl19rocblas_complex_numIdELi16ELb0ELb0ELc84ELc76EKPKS1_KPS1_EviT_T0_PT6_S7_lSA_S7_lS8_PT7_S7_li.kd
    .uniform_work_group_size: 1
    .uses_dynamic_stack: false
    .vgpr_count:     54
    .vgpr_spill_count: 0
    .wavefront_size: 64
  - .args:
      - .offset:         0
        .size:           4
        .value_kind:     by_value
      - .offset:         8
        .size:           8
        .value_kind:     by_value
      - .offset:         16
        .size:           16
        .value_kind:     by_value
      - .address_space:  global
        .offset:         32
        .size:           8
        .value_kind:     global_buffer
      - .offset:         40
        .size:           8
        .value_kind:     by_value
      - .offset:         48
        .size:           8
        .value_kind:     by_value
      - .address_space:  global
        .offset:         56
        .size:           8
        .value_kind:     global_buffer
      - .offset:         64
        .size:           8
        .value_kind:     by_value
      - .offset:         72
        .size:           8
        .value_kind:     by_value
      - .offset:         80
        .size:           16
        .value_kind:     by_value
      - .address_space:  global
        .offset:         96
        .size:           8
        .value_kind:     global_buffer
      - .offset:         104
        .size:           8
        .value_kind:     by_value
      - .offset:         112
        .size:           8
        .value_kind:     by_value
      - .offset:         120
        .size:           4
        .value_kind:     by_value
    .group_segment_fixed_size: 8192
    .kernarg_segment_align: 8
    .kernarg_segment_size: 124
    .language:       OpenCL C
    .language_version:
      - 2
      - 0
    .max_flat_workgroup_size: 256
    .name:           _ZL32rocblas_syrkx_herkx_small_kernelIl19rocblas_complex_numIdELi16ELb0ELb0ELc67ELc76EKPKS1_KPS1_EviT_T0_PT6_S7_lSA_S7_lS8_PT7_S7_li
    .private_segment_fixed_size: 0
    .sgpr_count:     44
    .sgpr_spill_count: 0
    .symbol:         _ZL32rocblas_syrkx_herkx_small_kernelIl19rocblas_complex_numIdELi16ELb0ELb0ELc67ELc76EKPKS1_KPS1_EviT_T0_PT6_S7_lSA_S7_lS8_PT7_S7_li.kd
    .uniform_work_group_size: 1
    .uses_dynamic_stack: false
    .vgpr_count:     53
    .vgpr_spill_count: 0
    .wavefront_size: 64
  - .args:
      - .offset:         0
        .size:           4
        .value_kind:     by_value
      - .offset:         8
        .size:           8
        .value_kind:     by_value
      - .offset:         16
        .size:           16
        .value_kind:     by_value
      - .address_space:  global
        .offset:         32
        .size:           8
        .value_kind:     global_buffer
      - .offset:         40
        .size:           8
        .value_kind:     by_value
      - .offset:         48
        .size:           8
        .value_kind:     by_value
      - .address_space:  global
        .offset:         56
        .size:           8
        .value_kind:     global_buffer
      - .offset:         64
        .size:           8
        .value_kind:     by_value
      - .offset:         72
        .size:           8
        .value_kind:     by_value
      - .offset:         80
        .size:           16
        .value_kind:     by_value
      - .address_space:  global
        .offset:         96
        .size:           8
        .value_kind:     global_buffer
      - .offset:         104
        .size:           8
        .value_kind:     by_value
      - .offset:         112
        .size:           8
        .value_kind:     by_value
      - .offset:         120
        .size:           4
        .value_kind:     by_value
    .group_segment_fixed_size: 8192
    .kernarg_segment_align: 8
    .kernarg_segment_size: 124
    .language:       OpenCL C
    .language_version:
      - 2
      - 0
    .max_flat_workgroup_size: 256
    .name:           _ZL32rocblas_syrkx_herkx_small_kernelIl19rocblas_complex_numIdELi16ELb0ELb0ELc78ELc76EKPKS1_KPS1_EviT_T0_PT6_S7_lSA_S7_lS8_PT7_S7_li
    .private_segment_fixed_size: 0
    .sgpr_count:     35
    .sgpr_spill_count: 0
    .symbol:         _ZL32rocblas_syrkx_herkx_small_kernelIl19rocblas_complex_numIdELi16ELb0ELb0ELc78ELc76EKPKS1_KPS1_EviT_T0_PT6_S7_lSA_S7_lS8_PT7_S7_li.kd
    .uniform_work_group_size: 1
    .uses_dynamic_stack: false
    .vgpr_count:     49
    .vgpr_spill_count: 0
    .wavefront_size: 64
  - .args:
      - .offset:         0
        .size:           4
        .value_kind:     by_value
      - .offset:         8
        .size:           8
        .value_kind:     by_value
      - .offset:         16
        .size:           16
        .value_kind:     by_value
      - .address_space:  global
        .offset:         32
        .size:           8
        .value_kind:     global_buffer
      - .offset:         40
        .size:           8
        .value_kind:     by_value
      - .offset:         48
        .size:           8
        .value_kind:     by_value
      - .address_space:  global
        .offset:         56
        .size:           8
        .value_kind:     global_buffer
      - .offset:         64
        .size:           8
        .value_kind:     by_value
      - .offset:         72
        .size:           8
        .value_kind:     by_value
      - .offset:         80
        .size:           16
        .value_kind:     by_value
      - .address_space:  global
        .offset:         96
        .size:           8
        .value_kind:     global_buffer
      - .offset:         104
        .size:           8
        .value_kind:     by_value
      - .offset:         112
        .size:           8
        .value_kind:     by_value
      - .offset:         120
        .size:           4
        .value_kind:     by_value
    .group_segment_fixed_size: 8192
    .kernarg_segment_align: 8
    .kernarg_segment_size: 124
    .language:       OpenCL C
    .language_version:
      - 2
      - 0
    .max_flat_workgroup_size: 256
    .name:           _ZL32rocblas_syrkx_herkx_small_kernelIl19rocblas_complex_numIdELi16ELb0ELb0ELc84ELc85EKPKS1_KPS1_EviT_T0_PT6_S7_lSA_S7_lS8_PT7_S7_li
    .private_segment_fixed_size: 0
    .sgpr_count:     44
    .sgpr_spill_count: 0
    .symbol:         _ZL32rocblas_syrkx_herkx_small_kernelIl19rocblas_complex_numIdELi16ELb0ELb0ELc84ELc85EKPKS1_KPS1_EviT_T0_PT6_S7_lSA_S7_lS8_PT7_S7_li.kd
    .uniform_work_group_size: 1
    .uses_dynamic_stack: false
    .vgpr_count:     54
    .vgpr_spill_count: 0
    .wavefront_size: 64
  - .args:
      - .offset:         0
        .size:           4
        .value_kind:     by_value
      - .offset:         8
        .size:           8
        .value_kind:     by_value
      - .offset:         16
        .size:           16
        .value_kind:     by_value
      - .address_space:  global
        .offset:         32
        .size:           8
        .value_kind:     global_buffer
      - .offset:         40
        .size:           8
        .value_kind:     by_value
      - .offset:         48
        .size:           8
        .value_kind:     by_value
      - .address_space:  global
        .offset:         56
        .size:           8
        .value_kind:     global_buffer
      - .offset:         64
        .size:           8
        .value_kind:     by_value
      - .offset:         72
        .size:           8
        .value_kind:     by_value
      - .offset:         80
        .size:           16
        .value_kind:     by_value
      - .address_space:  global
        .offset:         96
        .size:           8
        .value_kind:     global_buffer
      - .offset:         104
        .size:           8
        .value_kind:     by_value
      - .offset:         112
        .size:           8
        .value_kind:     by_value
      - .offset:         120
        .size:           4
        .value_kind:     by_value
    .group_segment_fixed_size: 8192
    .kernarg_segment_align: 8
    .kernarg_segment_size: 124
    .language:       OpenCL C
    .language_version:
      - 2
      - 0
    .max_flat_workgroup_size: 256
    .name:           _ZL32rocblas_syrkx_herkx_small_kernelIl19rocblas_complex_numIdELi16ELb0ELb0ELc67ELc85EKPKS1_KPS1_EviT_T0_PT6_S7_lSA_S7_lS8_PT7_S7_li
    .private_segment_fixed_size: 0
    .sgpr_count:     44
    .sgpr_spill_count: 0
    .symbol:         _ZL32rocblas_syrkx_herkx_small_kernelIl19rocblas_complex_numIdELi16ELb0ELb0ELc67ELc85EKPKS1_KPS1_EviT_T0_PT6_S7_lSA_S7_lS8_PT7_S7_li.kd
    .uniform_work_group_size: 1
    .uses_dynamic_stack: false
    .vgpr_count:     53
    .vgpr_spill_count: 0
    .wavefront_size: 64
  - .args:
      - .offset:         0
        .size:           4
        .value_kind:     by_value
      - .offset:         8
        .size:           8
        .value_kind:     by_value
      - .offset:         16
        .size:           16
        .value_kind:     by_value
      - .address_space:  global
        .offset:         32
        .size:           8
        .value_kind:     global_buffer
      - .offset:         40
        .size:           8
        .value_kind:     by_value
      - .offset:         48
        .size:           8
        .value_kind:     by_value
      - .address_space:  global
        .offset:         56
        .size:           8
        .value_kind:     global_buffer
      - .offset:         64
        .size:           8
        .value_kind:     by_value
      - .offset:         72
        .size:           8
        .value_kind:     by_value
      - .offset:         80
        .size:           16
        .value_kind:     by_value
      - .address_space:  global
        .offset:         96
        .size:           8
        .value_kind:     global_buffer
      - .offset:         104
        .size:           8
        .value_kind:     by_value
      - .offset:         112
        .size:           8
        .value_kind:     by_value
      - .offset:         120
        .size:           4
        .value_kind:     by_value
    .group_segment_fixed_size: 8192
    .kernarg_segment_align: 8
    .kernarg_segment_size: 124
    .language:       OpenCL C
    .language_version:
      - 2
      - 0
    .max_flat_workgroup_size: 256
    .name:           _ZL32rocblas_syrkx_herkx_small_kernelIl19rocblas_complex_numIdELi16ELb0ELb0ELc78ELc85EKPKS1_KPS1_EviT_T0_PT6_S7_lSA_S7_lS8_PT7_S7_li
    .private_segment_fixed_size: 0
    .sgpr_count:     35
    .sgpr_spill_count: 0
    .symbol:         _ZL32rocblas_syrkx_herkx_small_kernelIl19rocblas_complex_numIdELi16ELb0ELb0ELc78ELc85EKPKS1_KPS1_EviT_T0_PT6_S7_lSA_S7_lS8_PT7_S7_li.kd
    .uniform_work_group_size: 1
    .uses_dynamic_stack: false
    .vgpr_count:     49
    .vgpr_spill_count: 0
    .wavefront_size: 64
  - .args:
      - .offset:         0
        .size:           4
        .value_kind:     by_value
      - .offset:         8
        .size:           8
        .value_kind:     by_value
      - .offset:         16
        .size:           16
        .value_kind:     by_value
      - .address_space:  global
        .offset:         32
        .size:           8
        .value_kind:     global_buffer
      - .offset:         40
        .size:           8
        .value_kind:     by_value
      - .offset:         48
        .size:           8
        .value_kind:     by_value
      - .address_space:  global
        .offset:         56
        .size:           8
        .value_kind:     global_buffer
      - .offset:         64
        .size:           8
        .value_kind:     by_value
      - .offset:         72
        .size:           8
        .value_kind:     by_value
      - .offset:         80
        .size:           16
        .value_kind:     by_value
      - .address_space:  global
        .offset:         96
        .size:           8
        .value_kind:     global_buffer
      - .offset:         104
        .size:           8
        .value_kind:     by_value
      - .offset:         112
        .size:           8
        .value_kind:     by_value
      - .offset:         120
        .size:           4
        .value_kind:     by_value
    .group_segment_fixed_size: 8192
    .kernarg_segment_align: 8
    .kernarg_segment_size: 124
    .language:       OpenCL C
    .language_version:
      - 2
      - 0
    .max_flat_workgroup_size: 256
    .name:           _ZL34rocblas_syrkx_herkx_general_kernelIl19rocblas_complex_numIdELi16ELi32ELi8ELb1ELb0ELc84ELc76EKPKS1_KPS1_EviT_T0_PT8_S7_lSA_S7_lS8_PT9_S7_li
    .private_segment_fixed_size: 0
    .sgpr_count:     31
    .sgpr_spill_count: 0
    .symbol:         _ZL34rocblas_syrkx_herkx_general_kernelIl19rocblas_complex_numIdELi16ELi32ELi8ELb1ELb0ELc84ELc76EKPKS1_KPS1_EviT_T0_PT8_S7_lSA_S7_lS8_PT9_S7_li.kd
    .uniform_work_group_size: 1
    .uses_dynamic_stack: false
    .vgpr_count:     58
    .vgpr_spill_count: 0
    .wavefront_size: 64
  - .args:
      - .offset:         0
        .size:           4
        .value_kind:     by_value
      - .offset:         8
        .size:           8
        .value_kind:     by_value
      - .offset:         16
        .size:           16
        .value_kind:     by_value
      - .address_space:  global
        .offset:         32
        .size:           8
        .value_kind:     global_buffer
      - .offset:         40
        .size:           8
        .value_kind:     by_value
      - .offset:         48
        .size:           8
        .value_kind:     by_value
      - .address_space:  global
        .offset:         56
        .size:           8
        .value_kind:     global_buffer
      - .offset:         64
        .size:           8
        .value_kind:     by_value
      - .offset:         72
        .size:           8
        .value_kind:     by_value
      - .offset:         80
        .size:           16
        .value_kind:     by_value
      - .address_space:  global
        .offset:         96
        .size:           8
        .value_kind:     global_buffer
      - .offset:         104
        .size:           8
        .value_kind:     by_value
      - .offset:         112
        .size:           8
        .value_kind:     by_value
      - .offset:         120
        .size:           4
        .value_kind:     by_value
    .group_segment_fixed_size: 8192
    .kernarg_segment_align: 8
    .kernarg_segment_size: 124
    .language:       OpenCL C
    .language_version:
      - 2
      - 0
    .max_flat_workgroup_size: 256
    .name:           _ZL34rocblas_syrkx_herkx_general_kernelIl19rocblas_complex_numIdELi16ELi32ELi8ELb1ELb0ELc67ELc76EKPKS1_KPS1_EviT_T0_PT8_S7_lSA_S7_lS8_PT9_S7_li
    .private_segment_fixed_size: 0
    .sgpr_count:     31
    .sgpr_spill_count: 0
    .symbol:         _ZL34rocblas_syrkx_herkx_general_kernelIl19rocblas_complex_numIdELi16ELi32ELi8ELb1ELb0ELc67ELc76EKPKS1_KPS1_EviT_T0_PT8_S7_lSA_S7_lS8_PT9_S7_li.kd
    .uniform_work_group_size: 1
    .uses_dynamic_stack: false
    .vgpr_count:     59
    .vgpr_spill_count: 0
    .wavefront_size: 64
  - .args:
      - .offset:         0
        .size:           4
        .value_kind:     by_value
      - .offset:         8
        .size:           8
        .value_kind:     by_value
      - .offset:         16
        .size:           16
        .value_kind:     by_value
      - .address_space:  global
        .offset:         32
        .size:           8
        .value_kind:     global_buffer
      - .offset:         40
        .size:           8
        .value_kind:     by_value
      - .offset:         48
        .size:           8
        .value_kind:     by_value
      - .address_space:  global
        .offset:         56
        .size:           8
        .value_kind:     global_buffer
      - .offset:         64
        .size:           8
        .value_kind:     by_value
      - .offset:         72
        .size:           8
        .value_kind:     by_value
      - .offset:         80
        .size:           16
        .value_kind:     by_value
      - .address_space:  global
        .offset:         96
        .size:           8
        .value_kind:     global_buffer
      - .offset:         104
        .size:           8
        .value_kind:     by_value
      - .offset:         112
        .size:           8
        .value_kind:     by_value
      - .offset:         120
        .size:           4
        .value_kind:     by_value
    .group_segment_fixed_size: 8192
    .kernarg_segment_align: 8
    .kernarg_segment_size: 124
    .language:       OpenCL C
    .language_version:
      - 2
      - 0
    .max_flat_workgroup_size: 256
    .name:           _ZL34rocblas_syrkx_herkx_general_kernelIl19rocblas_complex_numIdELi16ELi32ELi8ELb1ELb0ELc78ELc76EKPKS1_KPS1_EviT_T0_PT8_S7_lSA_S7_lS8_PT9_S7_li
    .private_segment_fixed_size: 0
    .sgpr_count:     33
    .sgpr_spill_count: 0
    .symbol:         _ZL34rocblas_syrkx_herkx_general_kernelIl19rocblas_complex_numIdELi16ELi32ELi8ELb1ELb0ELc78ELc76EKPKS1_KPS1_EviT_T0_PT8_S7_lSA_S7_lS8_PT9_S7_li.kd
    .uniform_work_group_size: 1
    .uses_dynamic_stack: false
    .vgpr_count:     61
    .vgpr_spill_count: 0
    .wavefront_size: 64
  - .args:
      - .offset:         0
        .size:           4
        .value_kind:     by_value
      - .offset:         8
        .size:           8
        .value_kind:     by_value
      - .offset:         16
        .size:           16
        .value_kind:     by_value
      - .address_space:  global
        .offset:         32
        .size:           8
        .value_kind:     global_buffer
      - .offset:         40
        .size:           8
        .value_kind:     by_value
      - .offset:         48
        .size:           8
        .value_kind:     by_value
      - .address_space:  global
        .offset:         56
        .size:           8
        .value_kind:     global_buffer
      - .offset:         64
        .size:           8
        .value_kind:     by_value
      - .offset:         72
        .size:           8
        .value_kind:     by_value
      - .offset:         80
        .size:           16
        .value_kind:     by_value
      - .address_space:  global
        .offset:         96
        .size:           8
        .value_kind:     global_buffer
      - .offset:         104
        .size:           8
        .value_kind:     by_value
      - .offset:         112
        .size:           8
        .value_kind:     by_value
      - .offset:         120
        .size:           4
        .value_kind:     by_value
    .group_segment_fixed_size: 8192
    .kernarg_segment_align: 8
    .kernarg_segment_size: 124
    .language:       OpenCL C
    .language_version:
      - 2
      - 0
    .max_flat_workgroup_size: 256
    .name:           _ZL34rocblas_syrkx_herkx_general_kernelIl19rocblas_complex_numIdELi16ELi32ELi8ELb1ELb0ELc84ELc85EKPKS1_KPS1_EviT_T0_PT8_S7_lSA_S7_lS8_PT9_S7_li
    .private_segment_fixed_size: 0
    .sgpr_count:     31
    .sgpr_spill_count: 0
    .symbol:         _ZL34rocblas_syrkx_herkx_general_kernelIl19rocblas_complex_numIdELi16ELi32ELi8ELb1ELb0ELc84ELc85EKPKS1_KPS1_EviT_T0_PT8_S7_lSA_S7_lS8_PT9_S7_li.kd
    .uniform_work_group_size: 1
    .uses_dynamic_stack: false
    .vgpr_count:     58
    .vgpr_spill_count: 0
    .wavefront_size: 64
  - .args:
      - .offset:         0
        .size:           4
        .value_kind:     by_value
      - .offset:         8
        .size:           8
        .value_kind:     by_value
      - .offset:         16
        .size:           16
        .value_kind:     by_value
      - .address_space:  global
        .offset:         32
        .size:           8
        .value_kind:     global_buffer
      - .offset:         40
        .size:           8
        .value_kind:     by_value
      - .offset:         48
        .size:           8
        .value_kind:     by_value
      - .address_space:  global
        .offset:         56
        .size:           8
        .value_kind:     global_buffer
      - .offset:         64
        .size:           8
        .value_kind:     by_value
      - .offset:         72
        .size:           8
        .value_kind:     by_value
      - .offset:         80
        .size:           16
        .value_kind:     by_value
      - .address_space:  global
        .offset:         96
        .size:           8
        .value_kind:     global_buffer
      - .offset:         104
        .size:           8
        .value_kind:     by_value
      - .offset:         112
        .size:           8
        .value_kind:     by_value
      - .offset:         120
        .size:           4
        .value_kind:     by_value
    .group_segment_fixed_size: 8192
    .kernarg_segment_align: 8
    .kernarg_segment_size: 124
    .language:       OpenCL C
    .language_version:
      - 2
      - 0
    .max_flat_workgroup_size: 256
    .name:           _ZL34rocblas_syrkx_herkx_general_kernelIl19rocblas_complex_numIdELi16ELi32ELi8ELb1ELb0ELc67ELc85EKPKS1_KPS1_EviT_T0_PT8_S7_lSA_S7_lS8_PT9_S7_li
    .private_segment_fixed_size: 0
    .sgpr_count:     31
    .sgpr_spill_count: 0
    .symbol:         _ZL34rocblas_syrkx_herkx_general_kernelIl19rocblas_complex_numIdELi16ELi32ELi8ELb1ELb0ELc67ELc85EKPKS1_KPS1_EviT_T0_PT8_S7_lSA_S7_lS8_PT9_S7_li.kd
    .uniform_work_group_size: 1
    .uses_dynamic_stack: false
    .vgpr_count:     59
    .vgpr_spill_count: 0
    .wavefront_size: 64
  - .args:
      - .offset:         0
        .size:           4
        .value_kind:     by_value
      - .offset:         8
        .size:           8
        .value_kind:     by_value
      - .offset:         16
        .size:           16
        .value_kind:     by_value
      - .address_space:  global
        .offset:         32
        .size:           8
        .value_kind:     global_buffer
      - .offset:         40
        .size:           8
        .value_kind:     by_value
      - .offset:         48
        .size:           8
        .value_kind:     by_value
      - .address_space:  global
        .offset:         56
        .size:           8
        .value_kind:     global_buffer
      - .offset:         64
        .size:           8
        .value_kind:     by_value
      - .offset:         72
        .size:           8
        .value_kind:     by_value
      - .offset:         80
        .size:           16
        .value_kind:     by_value
      - .address_space:  global
        .offset:         96
        .size:           8
        .value_kind:     global_buffer
      - .offset:         104
        .size:           8
        .value_kind:     by_value
      - .offset:         112
        .size:           8
        .value_kind:     by_value
      - .offset:         120
        .size:           4
        .value_kind:     by_value
    .group_segment_fixed_size: 8192
    .kernarg_segment_align: 8
    .kernarg_segment_size: 124
    .language:       OpenCL C
    .language_version:
      - 2
      - 0
    .max_flat_workgroup_size: 256
    .name:           _ZL34rocblas_syrkx_herkx_general_kernelIl19rocblas_complex_numIdELi16ELi32ELi8ELb1ELb0ELc78ELc85EKPKS1_KPS1_EviT_T0_PT8_S7_lSA_S7_lS8_PT9_S7_li
    .private_segment_fixed_size: 0
    .sgpr_count:     33
    .sgpr_spill_count: 0
    .symbol:         _ZL34rocblas_syrkx_herkx_general_kernelIl19rocblas_complex_numIdELi16ELi32ELi8ELb1ELb0ELc78ELc85EKPKS1_KPS1_EviT_T0_PT8_S7_lSA_S7_lS8_PT9_S7_li.kd
    .uniform_work_group_size: 1
    .uses_dynamic_stack: false
    .vgpr_count:     61
    .vgpr_spill_count: 0
    .wavefront_size: 64
  - .args:
      - .offset:         0
        .size:           4
        .value_kind:     by_value
      - .offset:         8
        .size:           8
        .value_kind:     by_value
      - .offset:         16
        .size:           16
        .value_kind:     by_value
      - .address_space:  global
        .offset:         32
        .size:           8
        .value_kind:     global_buffer
      - .offset:         40
        .size:           8
        .value_kind:     by_value
      - .offset:         48
        .size:           8
        .value_kind:     by_value
      - .address_space:  global
        .offset:         56
        .size:           8
        .value_kind:     global_buffer
      - .offset:         64
        .size:           8
        .value_kind:     by_value
      - .offset:         72
        .size:           8
        .value_kind:     by_value
      - .offset:         80
        .size:           16
        .value_kind:     by_value
      - .address_space:  global
        .offset:         96
        .size:           8
        .value_kind:     global_buffer
      - .offset:         104
        .size:           8
        .value_kind:     by_value
      - .offset:         112
        .size:           8
        .value_kind:     by_value
      - .offset:         120
        .size:           4
        .value_kind:     by_value
    .group_segment_fixed_size: 8192
    .kernarg_segment_align: 8
    .kernarg_segment_size: 124
    .language:       OpenCL C
    .language_version:
      - 2
      - 0
    .max_flat_workgroup_size: 256
    .name:           _ZL34rocblas_syrkx_herkx_general_kernelIl19rocblas_complex_numIdELi16ELi32ELi8ELb0ELb0ELc84ELc76EKPKS1_KPS1_EviT_T0_PT8_S7_lSA_S7_lS8_PT9_S7_li
    .private_segment_fixed_size: 0
    .sgpr_count:     35
    .sgpr_spill_count: 0
    .symbol:         _ZL34rocblas_syrkx_herkx_general_kernelIl19rocblas_complex_numIdELi16ELi32ELi8ELb0ELb0ELc84ELc76EKPKS1_KPS1_EviT_T0_PT8_S7_lSA_S7_lS8_PT9_S7_li.kd
    .uniform_work_group_size: 1
    .uses_dynamic_stack: false
    .vgpr_count:     58
    .vgpr_spill_count: 0
    .wavefront_size: 64
  - .args:
      - .offset:         0
        .size:           4
        .value_kind:     by_value
      - .offset:         8
        .size:           8
        .value_kind:     by_value
      - .offset:         16
        .size:           16
        .value_kind:     by_value
      - .address_space:  global
        .offset:         32
        .size:           8
        .value_kind:     global_buffer
      - .offset:         40
        .size:           8
        .value_kind:     by_value
      - .offset:         48
        .size:           8
        .value_kind:     by_value
      - .address_space:  global
        .offset:         56
        .size:           8
        .value_kind:     global_buffer
      - .offset:         64
        .size:           8
        .value_kind:     by_value
      - .offset:         72
        .size:           8
        .value_kind:     by_value
      - .offset:         80
        .size:           16
        .value_kind:     by_value
      - .address_space:  global
        .offset:         96
        .size:           8
        .value_kind:     global_buffer
      - .offset:         104
        .size:           8
        .value_kind:     by_value
      - .offset:         112
        .size:           8
        .value_kind:     by_value
      - .offset:         120
        .size:           4
        .value_kind:     by_value
    .group_segment_fixed_size: 8192
    .kernarg_segment_align: 8
    .kernarg_segment_size: 124
    .language:       OpenCL C
    .language_version:
      - 2
      - 0
    .max_flat_workgroup_size: 256
    .name:           _ZL34rocblas_syrkx_herkx_general_kernelIl19rocblas_complex_numIdELi16ELi32ELi8ELb0ELb0ELc67ELc76EKPKS1_KPS1_EviT_T0_PT8_S7_lSA_S7_lS8_PT9_S7_li
    .private_segment_fixed_size: 0
    .sgpr_count:     35
    .sgpr_spill_count: 0
    .symbol:         _ZL34rocblas_syrkx_herkx_general_kernelIl19rocblas_complex_numIdELi16ELi32ELi8ELb0ELb0ELc67ELc76EKPKS1_KPS1_EviT_T0_PT8_S7_lSA_S7_lS8_PT9_S7_li.kd
    .uniform_work_group_size: 1
    .uses_dynamic_stack: false
    .vgpr_count:     59
    .vgpr_spill_count: 0
    .wavefront_size: 64
  - .args:
      - .offset:         0
        .size:           4
        .value_kind:     by_value
      - .offset:         8
        .size:           8
        .value_kind:     by_value
      - .offset:         16
        .size:           16
        .value_kind:     by_value
      - .address_space:  global
        .offset:         32
        .size:           8
        .value_kind:     global_buffer
      - .offset:         40
        .size:           8
        .value_kind:     by_value
      - .offset:         48
        .size:           8
        .value_kind:     by_value
      - .address_space:  global
        .offset:         56
        .size:           8
        .value_kind:     global_buffer
      - .offset:         64
        .size:           8
        .value_kind:     by_value
      - .offset:         72
        .size:           8
        .value_kind:     by_value
      - .offset:         80
        .size:           16
        .value_kind:     by_value
      - .address_space:  global
        .offset:         96
        .size:           8
        .value_kind:     global_buffer
      - .offset:         104
        .size:           8
        .value_kind:     by_value
      - .offset:         112
        .size:           8
        .value_kind:     by_value
      - .offset:         120
        .size:           4
        .value_kind:     by_value
    .group_segment_fixed_size: 8192
    .kernarg_segment_align: 8
    .kernarg_segment_size: 124
    .language:       OpenCL C
    .language_version:
      - 2
      - 0
    .max_flat_workgroup_size: 256
    .name:           _ZL34rocblas_syrkx_herkx_general_kernelIl19rocblas_complex_numIdELi16ELi32ELi8ELb0ELb0ELc78ELc76EKPKS1_KPS1_EviT_T0_PT8_S7_lSA_S7_lS8_PT9_S7_li
    .private_segment_fixed_size: 0
    .sgpr_count:     38
    .sgpr_spill_count: 0
    .symbol:         _ZL34rocblas_syrkx_herkx_general_kernelIl19rocblas_complex_numIdELi16ELi32ELi8ELb0ELb0ELc78ELc76EKPKS1_KPS1_EviT_T0_PT8_S7_lSA_S7_lS8_PT9_S7_li.kd
    .uniform_work_group_size: 1
    .uses_dynamic_stack: false
    .vgpr_count:     61
    .vgpr_spill_count: 0
    .wavefront_size: 64
  - .args:
      - .offset:         0
        .size:           4
        .value_kind:     by_value
      - .offset:         8
        .size:           8
        .value_kind:     by_value
      - .offset:         16
        .size:           16
        .value_kind:     by_value
      - .address_space:  global
        .offset:         32
        .size:           8
        .value_kind:     global_buffer
      - .offset:         40
        .size:           8
        .value_kind:     by_value
      - .offset:         48
        .size:           8
        .value_kind:     by_value
      - .address_space:  global
        .offset:         56
        .size:           8
        .value_kind:     global_buffer
      - .offset:         64
        .size:           8
        .value_kind:     by_value
      - .offset:         72
        .size:           8
        .value_kind:     by_value
      - .offset:         80
        .size:           16
        .value_kind:     by_value
      - .address_space:  global
        .offset:         96
        .size:           8
        .value_kind:     global_buffer
      - .offset:         104
        .size:           8
        .value_kind:     by_value
      - .offset:         112
        .size:           8
        .value_kind:     by_value
      - .offset:         120
        .size:           4
        .value_kind:     by_value
    .group_segment_fixed_size: 8192
    .kernarg_segment_align: 8
    .kernarg_segment_size: 124
    .language:       OpenCL C
    .language_version:
      - 2
      - 0
    .max_flat_workgroup_size: 256
    .name:           _ZL34rocblas_syrkx_herkx_general_kernelIl19rocblas_complex_numIdELi16ELi32ELi8ELb0ELb0ELc84ELc85EKPKS1_KPS1_EviT_T0_PT8_S7_lSA_S7_lS8_PT9_S7_li
    .private_segment_fixed_size: 0
    .sgpr_count:     35
    .sgpr_spill_count: 0
    .symbol:         _ZL34rocblas_syrkx_herkx_general_kernelIl19rocblas_complex_numIdELi16ELi32ELi8ELb0ELb0ELc84ELc85EKPKS1_KPS1_EviT_T0_PT8_S7_lSA_S7_lS8_PT9_S7_li.kd
    .uniform_work_group_size: 1
    .uses_dynamic_stack: false
    .vgpr_count:     58
    .vgpr_spill_count: 0
    .wavefront_size: 64
  - .args:
      - .offset:         0
        .size:           4
        .value_kind:     by_value
      - .offset:         8
        .size:           8
        .value_kind:     by_value
      - .offset:         16
        .size:           16
        .value_kind:     by_value
      - .address_space:  global
        .offset:         32
        .size:           8
        .value_kind:     global_buffer
      - .offset:         40
        .size:           8
        .value_kind:     by_value
      - .offset:         48
        .size:           8
        .value_kind:     by_value
      - .address_space:  global
        .offset:         56
        .size:           8
        .value_kind:     global_buffer
      - .offset:         64
        .size:           8
        .value_kind:     by_value
      - .offset:         72
        .size:           8
        .value_kind:     by_value
      - .offset:         80
        .size:           16
        .value_kind:     by_value
      - .address_space:  global
        .offset:         96
        .size:           8
        .value_kind:     global_buffer
      - .offset:         104
        .size:           8
        .value_kind:     by_value
      - .offset:         112
        .size:           8
        .value_kind:     by_value
      - .offset:         120
        .size:           4
        .value_kind:     by_value
    .group_segment_fixed_size: 8192
    .kernarg_segment_align: 8
    .kernarg_segment_size: 124
    .language:       OpenCL C
    .language_version:
      - 2
      - 0
    .max_flat_workgroup_size: 256
    .name:           _ZL34rocblas_syrkx_herkx_general_kernelIl19rocblas_complex_numIdELi16ELi32ELi8ELb0ELb0ELc67ELc85EKPKS1_KPS1_EviT_T0_PT8_S7_lSA_S7_lS8_PT9_S7_li
    .private_segment_fixed_size: 0
    .sgpr_count:     35
    .sgpr_spill_count: 0
    .symbol:         _ZL34rocblas_syrkx_herkx_general_kernelIl19rocblas_complex_numIdELi16ELi32ELi8ELb0ELb0ELc67ELc85EKPKS1_KPS1_EviT_T0_PT8_S7_lSA_S7_lS8_PT9_S7_li.kd
    .uniform_work_group_size: 1
    .uses_dynamic_stack: false
    .vgpr_count:     59
    .vgpr_spill_count: 0
    .wavefront_size: 64
  - .args:
      - .offset:         0
        .size:           4
        .value_kind:     by_value
      - .offset:         8
        .size:           8
        .value_kind:     by_value
      - .offset:         16
        .size:           16
        .value_kind:     by_value
      - .address_space:  global
        .offset:         32
        .size:           8
        .value_kind:     global_buffer
      - .offset:         40
        .size:           8
        .value_kind:     by_value
      - .offset:         48
        .size:           8
        .value_kind:     by_value
      - .address_space:  global
        .offset:         56
        .size:           8
        .value_kind:     global_buffer
      - .offset:         64
        .size:           8
        .value_kind:     by_value
      - .offset:         72
        .size:           8
        .value_kind:     by_value
      - .offset:         80
        .size:           16
        .value_kind:     by_value
      - .address_space:  global
        .offset:         96
        .size:           8
        .value_kind:     global_buffer
      - .offset:         104
        .size:           8
        .value_kind:     by_value
      - .offset:         112
        .size:           8
        .value_kind:     by_value
      - .offset:         120
        .size:           4
        .value_kind:     by_value
    .group_segment_fixed_size: 8192
    .kernarg_segment_align: 8
    .kernarg_segment_size: 124
    .language:       OpenCL C
    .language_version:
      - 2
      - 0
    .max_flat_workgroup_size: 256
    .name:           _ZL34rocblas_syrkx_herkx_general_kernelIl19rocblas_complex_numIdELi16ELi32ELi8ELb0ELb0ELc78ELc85EKPKS1_KPS1_EviT_T0_PT8_S7_lSA_S7_lS8_PT9_S7_li
    .private_segment_fixed_size: 0
    .sgpr_count:     38
    .sgpr_spill_count: 0
    .symbol:         _ZL34rocblas_syrkx_herkx_general_kernelIl19rocblas_complex_numIdELi16ELi32ELi8ELb0ELb0ELc78ELc85EKPKS1_KPS1_EviT_T0_PT8_S7_lSA_S7_lS8_PT9_S7_li.kd
    .uniform_work_group_size: 1
    .uses_dynamic_stack: false
    .vgpr_count:     61
    .vgpr_spill_count: 0
    .wavefront_size: 64
  - .args:
      - .offset:         0
        .size:           1
        .value_kind:     by_value
      - .offset:         4
        .size:           4
        .value_kind:     by_value
      - .offset:         8
        .size:           8
        .value_kind:     by_value
      - .offset:         16
        .size:           16
        .value_kind:     by_value
      - .offset:         32
        .size:           16
        .value_kind:     by_value
      - .address_space:  global
        .offset:         48
        .size:           8
        .value_kind:     global_buffer
      - .offset:         56
        .size:           8
        .value_kind:     by_value
      - .offset:         64
        .size:           8
        .value_kind:     by_value
      - .offset:         72
        .size:           4
        .value_kind:     by_value
      - .offset:         80
        .size:           4
        .value_kind:     hidden_block_count_x
      - .offset:         84
        .size:           4
        .value_kind:     hidden_block_count_y
      - .offset:         88
        .size:           4
        .value_kind:     hidden_block_count_z
      - .offset:         92
        .size:           2
        .value_kind:     hidden_group_size_x
      - .offset:         94
        .size:           2
        .value_kind:     hidden_group_size_y
      - .offset:         96
        .size:           2
        .value_kind:     hidden_group_size_z
      - .offset:         98
        .size:           2
        .value_kind:     hidden_remainder_x
      - .offset:         100
        .size:           2
        .value_kind:     hidden_remainder_y
      - .offset:         102
        .size:           2
        .value_kind:     hidden_remainder_z
      - .offset:         120
        .size:           8
        .value_kind:     hidden_global_offset_x
      - .offset:         128
        .size:           8
        .value_kind:     hidden_global_offset_y
      - .offset:         136
        .size:           8
        .value_kind:     hidden_global_offset_z
      - .offset:         144
        .size:           2
        .value_kind:     hidden_grid_dims
    .group_segment_fixed_size: 0
    .kernarg_segment_align: 8
    .kernarg_segment_size: 336
    .language:       OpenCL C
    .language_version:
      - 2
      - 0
    .max_flat_workgroup_size: 1024
    .name:           _ZL26rocblas_syr2k_scale_kernelIlLi128ELi8ELb0E19rocblas_complex_numIdES1_PKPS1_EvbiT_T3_T4_T5_S5_li
    .private_segment_fixed_size: 0
    .sgpr_count:     24
    .sgpr_spill_count: 0
    .symbol:         _ZL26rocblas_syr2k_scale_kernelIlLi128ELi8ELb0E19rocblas_complex_numIdES1_PKPS1_EvbiT_T3_T4_T5_S5_li.kd
    .uniform_work_group_size: 1
    .uses_dynamic_stack: false
    .vgpr_count:     10
    .vgpr_spill_count: 0
    .wavefront_size: 64
  - .args:
      - .offset:         0
        .size:           1
        .value_kind:     by_value
      - .offset:         4
        .size:           4
        .value_kind:     by_value
      - .offset:         8
        .size:           8
        .value_kind:     by_value
      - .address_space:  global
        .offset:         16
        .size:           8
        .value_kind:     global_buffer
      - .address_space:  global
        .offset:         24
        .size:           8
        .value_kind:     global_buffer
      - .offset:         32
        .size:           8
        .value_kind:     by_value
      - .offset:         40
        .size:           8
        .value_kind:     by_value
      - .address_space:  global
        .offset:         48
        .size:           8
        .value_kind:     global_buffer
      - .offset:         56
        .size:           8
        .value_kind:     by_value
      - .offset:         64
        .size:           8
        .value_kind:     by_value
      - .address_space:  global
        .offset:         72
        .size:           8
        .value_kind:     global_buffer
      - .offset:         80
        .size:           8
        .value_kind:     by_value
      - .offset:         88
        .size:           8
        .value_kind:     by_value
      - .offset:         96
        .size:           4
        .value_kind:     by_value
    .group_segment_fixed_size: 32768
    .kernarg_segment_align: 8
    .kernarg_segment_size: 100
    .language:       OpenCL C
    .language_version:
      - 2
      - 0
    .max_flat_workgroup_size: 1024
    .name:           _ZL26rocblas_syr2k_her2k_kernelIlLb0ELb0ELb0ELi32EPK19rocblas_complex_numIdEPKS3_PKPS1_EvbiT_T4_T5_S9_lSB_S9_lT6_S9_li
    .private_segment_fixed_size: 0
    .sgpr_count:     44
    .sgpr_spill_count: 0
    .symbol:         _ZL26rocblas_syr2k_her2k_kernelIlLb0ELb0ELb0ELi32EPK19rocblas_complex_numIdEPKS3_PKPS1_EvbiT_T4_T5_S9_lSB_S9_lT6_S9_li.kd
    .uniform_work_group_size: 1
    .uses_dynamic_stack: false
    .vgpr_count:     34
    .vgpr_spill_count: 0
    .wavefront_size: 64
  - .args:
      - .offset:         0
        .size:           1
        .value_kind:     by_value
      - .offset:         4
        .size:           4
        .value_kind:     by_value
      - .offset:         8
        .size:           8
        .value_kind:     by_value
      - .address_space:  global
        .offset:         16
        .size:           8
        .value_kind:     global_buffer
      - .address_space:  global
        .offset:         24
        .size:           8
        .value_kind:     global_buffer
      - .offset:         32
        .size:           8
        .value_kind:     by_value
      - .offset:         40
        .size:           8
        .value_kind:     by_value
      - .address_space:  global
        .offset:         48
        .size:           8
        .value_kind:     global_buffer
      - .offset:         56
        .size:           8
        .value_kind:     by_value
      - .offset:         64
        .size:           8
        .value_kind:     by_value
      - .address_space:  global
        .offset:         72
        .size:           8
        .value_kind:     global_buffer
      - .offset:         80
        .size:           8
        .value_kind:     by_value
      - .offset:         88
        .size:           8
        .value_kind:     by_value
      - .offset:         96
        .size:           4
        .value_kind:     by_value
    .group_segment_fixed_size: 32768
    .kernarg_segment_align: 8
    .kernarg_segment_size: 100
    .language:       OpenCL C
    .language_version:
      - 2
      - 0
    .max_flat_workgroup_size: 1024
    .name:           _ZL26rocblas_syr2k_her2k_kernelIlLb0ELb0ELb1ELi32EPK19rocblas_complex_numIdEPKS3_PKPS1_EvbiT_T4_T5_S9_lSB_S9_lT6_S9_li
    .private_segment_fixed_size: 0
    .sgpr_count:     44
    .sgpr_spill_count: 0
    .symbol:         _ZL26rocblas_syr2k_her2k_kernelIlLb0ELb0ELb1ELi32EPK19rocblas_complex_numIdEPKS3_PKPS1_EvbiT_T4_T5_S9_lSB_S9_lT6_S9_li.kd
    .uniform_work_group_size: 1
    .uses_dynamic_stack: false
    .vgpr_count:     34
    .vgpr_spill_count: 0
    .wavefront_size: 64
  - .args:
      - .offset:         0
        .size:           1
        .value_kind:     by_value
      - .offset:         4
        .size:           4
        .value_kind:     by_value
      - .offset:         8
        .size:           8
        .value_kind:     by_value
      - .offset:         16
        .size:           8
        .value_kind:     by_value
      - .address_space:  global
        .offset:         24
        .size:           8
        .value_kind:     global_buffer
      - .offset:         32
        .size:           8
        .value_kind:     by_value
      - .offset:         40
        .size:           8
        .value_kind:     by_value
      - .address_space:  global
        .offset:         48
        .size:           8
        .value_kind:     global_buffer
      - .offset:         56
        .size:           8
        .value_kind:     by_value
      - .offset:         64
        .size:           8
        .value_kind:     by_value
      - .address_space:  global
        .offset:         72
        .size:           8
        .value_kind:     global_buffer
      - .offset:         80
        .size:           8
        .value_kind:     by_value
      - .offset:         88
        .size:           8
        .value_kind:     by_value
      - .offset:         96
        .size:           4
        .value_kind:     by_value
    .group_segment_fixed_size: 16384
    .kernarg_segment_align: 8
    .kernarg_segment_size: 100
    .language:       OpenCL C
    .language_version:
      - 2
      - 0
    .max_flat_workgroup_size: 1024
    .name:           _ZL26rocblas_syr2k_her2k_kernelIlLb0ELb1ELb0ELi32E19rocblas_complex_numIfEPKPKS1_PKPS1_EvbiT_T4_T5_S9_lSB_S9_lT6_S9_li
    .private_segment_fixed_size: 0
    .sgpr_count:     40
    .sgpr_spill_count: 0
    .symbol:         _ZL26rocblas_syr2k_her2k_kernelIlLb0ELb1ELb0ELi32E19rocblas_complex_numIfEPKPKS1_PKPS1_EvbiT_T4_T5_S9_lSB_S9_lT6_S9_li.kd
    .uniform_work_group_size: 1
    .uses_dynamic_stack: false
    .vgpr_count:     36
    .vgpr_spill_count: 0
    .wavefront_size: 64
  - .args:
      - .offset:         0
        .size:           1
        .value_kind:     by_value
      - .offset:         4
        .size:           4
        .value_kind:     by_value
      - .offset:         8
        .size:           8
        .value_kind:     by_value
      - .offset:         16
        .size:           8
        .value_kind:     by_value
      - .address_space:  global
        .offset:         24
        .size:           8
        .value_kind:     global_buffer
      - .offset:         32
        .size:           8
        .value_kind:     by_value
      - .offset:         40
        .size:           8
        .value_kind:     by_value
      - .address_space:  global
        .offset:         48
        .size:           8
        .value_kind:     global_buffer
      - .offset:         56
        .size:           8
        .value_kind:     by_value
      - .offset:         64
        .size:           8
        .value_kind:     by_value
      - .address_space:  global
        .offset:         72
        .size:           8
        .value_kind:     global_buffer
      - .offset:         80
        .size:           8
        .value_kind:     by_value
      - .offset:         88
        .size:           8
        .value_kind:     by_value
      - .offset:         96
        .size:           4
        .value_kind:     by_value
    .group_segment_fixed_size: 16384
    .kernarg_segment_align: 8
    .kernarg_segment_size: 100
    .language:       OpenCL C
    .language_version:
      - 2
      - 0
    .max_flat_workgroup_size: 1024
    .name:           _ZL26rocblas_syr2k_her2k_kernelIlLb0ELb1ELb1ELi32E19rocblas_complex_numIfEPKPKS1_PKPS1_EvbiT_T4_T5_S9_lSB_S9_lT6_S9_li
    .private_segment_fixed_size: 0
    .sgpr_count:     40
    .sgpr_spill_count: 0
    .symbol:         _ZL26rocblas_syr2k_her2k_kernelIlLb0ELb1ELb1ELi32E19rocblas_complex_numIfEPKPKS1_PKPS1_EvbiT_T4_T5_S9_lSB_S9_lT6_S9_li.kd
    .uniform_work_group_size: 1
    .uses_dynamic_stack: false
    .vgpr_count:     38
    .vgpr_spill_count: 0
    .wavefront_size: 64
  - .args:
      - .offset:         0
        .size:           4
        .value_kind:     by_value
      - .offset:         8
        .size:           8
        .value_kind:     by_value
      - .address_space:  global
        .offset:         16
        .size:           8
        .value_kind:     global_buffer
      - .offset:         24
        .size:           8
        .value_kind:     by_value
      - .offset:         32
        .size:           8
        .value_kind:     by_value
      - .address_space:  global
        .offset:         40
        .size:           8
        .value_kind:     global_buffer
      - .offset:         48
        .size:           8
        .value_kind:     by_value
      - .offset:         56
        .size:           8
        .value_kind:     by_value
      - .address_space:  global
        .offset:         64
        .size:           8
        .value_kind:     global_buffer
      - .offset:         72
        .size:           8
        .value_kind:     by_value
      - .offset:         80
        .size:           8
        .value_kind:     by_value
      - .offset:         88
        .size:           4
        .value_kind:     by_value
    .group_segment_fixed_size: 4096
    .kernarg_segment_align: 8
    .kernarg_segment_size: 92
    .language:       OpenCL C
    .language_version:
      - 2
      - 0
    .max_flat_workgroup_size: 256
    .name:           _ZL37rocblas_syrkx_herkx_restricted_kernelIl19rocblas_complex_numIfELi16ELi32ELi8ELi1ELi1ELb1ELc84ELc76EKPKS1_KPS1_EviT_PT9_S7_lS9_S7_lPT10_S7_li
    .private_segment_fixed_size: 0
    .sgpr_count:     24
    .sgpr_spill_count: 0
    .symbol:         _ZL37rocblas_syrkx_herkx_restricted_kernelIl19rocblas_complex_numIfELi16ELi32ELi8ELi1ELi1ELb1ELc84ELc76EKPKS1_KPS1_EviT_PT9_S7_lS9_S7_lPT10_S7_li.kd
    .uniform_work_group_size: 1
    .uses_dynamic_stack: false
    .vgpr_count:     41
    .vgpr_spill_count: 0
    .wavefront_size: 64
  - .args:
      - .offset:         0
        .size:           4
        .value_kind:     by_value
      - .offset:         8
        .size:           8
        .value_kind:     by_value
      - .address_space:  global
        .offset:         16
        .size:           8
        .value_kind:     global_buffer
      - .offset:         24
        .size:           8
        .value_kind:     by_value
      - .offset:         32
        .size:           8
        .value_kind:     by_value
      - .address_space:  global
        .offset:         40
        .size:           8
        .value_kind:     global_buffer
      - .offset:         48
        .size:           8
        .value_kind:     by_value
      - .offset:         56
        .size:           8
        .value_kind:     by_value
      - .address_space:  global
        .offset:         64
        .size:           8
        .value_kind:     global_buffer
      - .offset:         72
        .size:           8
        .value_kind:     by_value
      - .offset:         80
        .size:           8
        .value_kind:     by_value
      - .offset:         88
        .size:           4
        .value_kind:     by_value
    .group_segment_fixed_size: 4096
    .kernarg_segment_align: 8
    .kernarg_segment_size: 92
    .language:       OpenCL C
    .language_version:
      - 2
      - 0
    .max_flat_workgroup_size: 256
    .name:           _ZL37rocblas_syrkx_herkx_restricted_kernelIl19rocblas_complex_numIfELi16ELi32ELi8ELi1ELi1ELb1ELc67ELc76EKPKS1_KPS1_EviT_PT9_S7_lS9_S7_lPT10_S7_li
    .private_segment_fixed_size: 0
    .sgpr_count:     24
    .sgpr_spill_count: 0
    .symbol:         _ZL37rocblas_syrkx_herkx_restricted_kernelIl19rocblas_complex_numIfELi16ELi32ELi8ELi1ELi1ELb1ELc67ELc76EKPKS1_KPS1_EviT_PT9_S7_lS9_S7_lPT10_S7_li.kd
    .uniform_work_group_size: 1
    .uses_dynamic_stack: false
    .vgpr_count:     41
    .vgpr_spill_count: 0
    .wavefront_size: 64
  - .args:
      - .offset:         0
        .size:           4
        .value_kind:     by_value
      - .offset:         8
        .size:           8
        .value_kind:     by_value
      - .address_space:  global
        .offset:         16
        .size:           8
        .value_kind:     global_buffer
      - .offset:         24
        .size:           8
        .value_kind:     by_value
      - .offset:         32
        .size:           8
        .value_kind:     by_value
      - .address_space:  global
        .offset:         40
        .size:           8
        .value_kind:     global_buffer
      - .offset:         48
        .size:           8
        .value_kind:     by_value
      - .offset:         56
        .size:           8
        .value_kind:     by_value
      - .address_space:  global
        .offset:         64
        .size:           8
        .value_kind:     global_buffer
      - .offset:         72
        .size:           8
        .value_kind:     by_value
      - .offset:         80
        .size:           8
        .value_kind:     by_value
      - .offset:         88
        .size:           4
        .value_kind:     by_value
    .group_segment_fixed_size: 4096
    .kernarg_segment_align: 8
    .kernarg_segment_size: 92
    .language:       OpenCL C
    .language_version:
      - 2
      - 0
    .max_flat_workgroup_size: 256
    .name:           _ZL37rocblas_syrkx_herkx_restricted_kernelIl19rocblas_complex_numIfELi16ELi32ELi8ELi1ELi1ELb1ELc78ELc76EKPKS1_KPS1_EviT_PT9_S7_lS9_S7_lPT10_S7_li
    .private_segment_fixed_size: 0
    .sgpr_count:     26
    .sgpr_spill_count: 0
    .symbol:         _ZL37rocblas_syrkx_herkx_restricted_kernelIl19rocblas_complex_numIfELi16ELi32ELi8ELi1ELi1ELb1ELc78ELc76EKPKS1_KPS1_EviT_PT9_S7_lS9_S7_lPT10_S7_li.kd
    .uniform_work_group_size: 1
    .uses_dynamic_stack: false
    .vgpr_count:     43
    .vgpr_spill_count: 0
    .wavefront_size: 64
  - .args:
      - .offset:         0
        .size:           4
        .value_kind:     by_value
      - .offset:         8
        .size:           8
        .value_kind:     by_value
      - .address_space:  global
        .offset:         16
        .size:           8
        .value_kind:     global_buffer
      - .offset:         24
        .size:           8
        .value_kind:     by_value
      - .offset:         32
        .size:           8
        .value_kind:     by_value
      - .address_space:  global
        .offset:         40
        .size:           8
        .value_kind:     global_buffer
      - .offset:         48
        .size:           8
        .value_kind:     by_value
      - .offset:         56
        .size:           8
        .value_kind:     by_value
      - .address_space:  global
        .offset:         64
        .size:           8
        .value_kind:     global_buffer
      - .offset:         72
        .size:           8
        .value_kind:     by_value
      - .offset:         80
        .size:           8
        .value_kind:     by_value
      - .offset:         88
        .size:           4
        .value_kind:     by_value
    .group_segment_fixed_size: 4096
    .kernarg_segment_align: 8
    .kernarg_segment_size: 92
    .language:       OpenCL C
    .language_version:
      - 2
      - 0
    .max_flat_workgroup_size: 256
    .name:           _ZL37rocblas_syrkx_herkx_restricted_kernelIl19rocblas_complex_numIfELi16ELi32ELi8ELi1ELi1ELb1ELc84ELc85EKPKS1_KPS1_EviT_PT9_S7_lS9_S7_lPT10_S7_li
    .private_segment_fixed_size: 0
    .sgpr_count:     24
    .sgpr_spill_count: 0
    .symbol:         _ZL37rocblas_syrkx_herkx_restricted_kernelIl19rocblas_complex_numIfELi16ELi32ELi8ELi1ELi1ELb1ELc84ELc85EKPKS1_KPS1_EviT_PT9_S7_lS9_S7_lPT10_S7_li.kd
    .uniform_work_group_size: 1
    .uses_dynamic_stack: false
    .vgpr_count:     41
    .vgpr_spill_count: 0
    .wavefront_size: 64
  - .args:
      - .offset:         0
        .size:           4
        .value_kind:     by_value
      - .offset:         8
        .size:           8
        .value_kind:     by_value
      - .address_space:  global
        .offset:         16
        .size:           8
        .value_kind:     global_buffer
      - .offset:         24
        .size:           8
        .value_kind:     by_value
      - .offset:         32
        .size:           8
        .value_kind:     by_value
      - .address_space:  global
        .offset:         40
        .size:           8
        .value_kind:     global_buffer
      - .offset:         48
        .size:           8
        .value_kind:     by_value
      - .offset:         56
        .size:           8
        .value_kind:     by_value
      - .address_space:  global
        .offset:         64
        .size:           8
        .value_kind:     global_buffer
      - .offset:         72
        .size:           8
        .value_kind:     by_value
      - .offset:         80
        .size:           8
        .value_kind:     by_value
      - .offset:         88
        .size:           4
        .value_kind:     by_value
    .group_segment_fixed_size: 4096
    .kernarg_segment_align: 8
    .kernarg_segment_size: 92
    .language:       OpenCL C
    .language_version:
      - 2
      - 0
    .max_flat_workgroup_size: 256
    .name:           _ZL37rocblas_syrkx_herkx_restricted_kernelIl19rocblas_complex_numIfELi16ELi32ELi8ELi1ELi1ELb1ELc67ELc85EKPKS1_KPS1_EviT_PT9_S7_lS9_S7_lPT10_S7_li
    .private_segment_fixed_size: 0
    .sgpr_count:     24
    .sgpr_spill_count: 0
    .symbol:         _ZL37rocblas_syrkx_herkx_restricted_kernelIl19rocblas_complex_numIfELi16ELi32ELi8ELi1ELi1ELb1ELc67ELc85EKPKS1_KPS1_EviT_PT9_S7_lS9_S7_lPT10_S7_li.kd
    .uniform_work_group_size: 1
    .uses_dynamic_stack: false
    .vgpr_count:     41
    .vgpr_spill_count: 0
    .wavefront_size: 64
  - .args:
      - .offset:         0
        .size:           4
        .value_kind:     by_value
      - .offset:         8
        .size:           8
        .value_kind:     by_value
      - .address_space:  global
        .offset:         16
        .size:           8
        .value_kind:     global_buffer
      - .offset:         24
        .size:           8
        .value_kind:     by_value
      - .offset:         32
        .size:           8
        .value_kind:     by_value
      - .address_space:  global
        .offset:         40
        .size:           8
        .value_kind:     global_buffer
      - .offset:         48
        .size:           8
        .value_kind:     by_value
      - .offset:         56
        .size:           8
        .value_kind:     by_value
      - .address_space:  global
        .offset:         64
        .size:           8
        .value_kind:     global_buffer
      - .offset:         72
        .size:           8
        .value_kind:     by_value
      - .offset:         80
        .size:           8
        .value_kind:     by_value
      - .offset:         88
        .size:           4
        .value_kind:     by_value
    .group_segment_fixed_size: 4096
    .kernarg_segment_align: 8
    .kernarg_segment_size: 92
    .language:       OpenCL C
    .language_version:
      - 2
      - 0
    .max_flat_workgroup_size: 256
    .name:           _ZL37rocblas_syrkx_herkx_restricted_kernelIl19rocblas_complex_numIfELi16ELi32ELi8ELi1ELi1ELb1ELc78ELc85EKPKS1_KPS1_EviT_PT9_S7_lS9_S7_lPT10_S7_li
    .private_segment_fixed_size: 0
    .sgpr_count:     26
    .sgpr_spill_count: 0
    .symbol:         _ZL37rocblas_syrkx_herkx_restricted_kernelIl19rocblas_complex_numIfELi16ELi32ELi8ELi1ELi1ELb1ELc78ELc85EKPKS1_KPS1_EviT_PT9_S7_lS9_S7_lPT10_S7_li.kd
    .uniform_work_group_size: 1
    .uses_dynamic_stack: false
    .vgpr_count:     43
    .vgpr_spill_count: 0
    .wavefront_size: 64
  - .args:
      - .offset:         0
        .size:           4
        .value_kind:     by_value
      - .offset:         8
        .size:           8
        .value_kind:     by_value
      - .address_space:  global
        .offset:         16
        .size:           8
        .value_kind:     global_buffer
      - .offset:         24
        .size:           8
        .value_kind:     by_value
      - .offset:         32
        .size:           8
        .value_kind:     by_value
      - .address_space:  global
        .offset:         40
        .size:           8
        .value_kind:     global_buffer
      - .offset:         48
        .size:           8
        .value_kind:     by_value
      - .offset:         56
        .size:           8
        .value_kind:     by_value
      - .address_space:  global
        .offset:         64
        .size:           8
        .value_kind:     global_buffer
      - .offset:         72
        .size:           8
        .value_kind:     by_value
      - .offset:         80
        .size:           8
        .value_kind:     by_value
      - .offset:         88
        .size:           4
        .value_kind:     by_value
    .group_segment_fixed_size: 4096
    .kernarg_segment_align: 8
    .kernarg_segment_size: 92
    .language:       OpenCL C
    .language_version:
      - 2
      - 0
    .max_flat_workgroup_size: 256
    .name:           _ZL37rocblas_syrkx_herkx_restricted_kernelIl19rocblas_complex_numIfELi16ELi32ELi8ELi1ELin1ELb1ELc84ELc76EKPKS1_KPS1_EviT_PT9_S7_lS9_S7_lPT10_S7_li
    .private_segment_fixed_size: 0
    .sgpr_count:     24
    .sgpr_spill_count: 0
    .symbol:         _ZL37rocblas_syrkx_herkx_restricted_kernelIl19rocblas_complex_numIfELi16ELi32ELi8ELi1ELin1ELb1ELc84ELc76EKPKS1_KPS1_EviT_PT9_S7_lS9_S7_lPT10_S7_li.kd
    .uniform_work_group_size: 1
    .uses_dynamic_stack: false
    .vgpr_count:     41
    .vgpr_spill_count: 0
    .wavefront_size: 64
  - .args:
      - .offset:         0
        .size:           4
        .value_kind:     by_value
      - .offset:         8
        .size:           8
        .value_kind:     by_value
      - .address_space:  global
        .offset:         16
        .size:           8
        .value_kind:     global_buffer
      - .offset:         24
        .size:           8
        .value_kind:     by_value
      - .offset:         32
        .size:           8
        .value_kind:     by_value
      - .address_space:  global
        .offset:         40
        .size:           8
        .value_kind:     global_buffer
      - .offset:         48
        .size:           8
        .value_kind:     by_value
      - .offset:         56
        .size:           8
        .value_kind:     by_value
      - .address_space:  global
        .offset:         64
        .size:           8
        .value_kind:     global_buffer
      - .offset:         72
        .size:           8
        .value_kind:     by_value
      - .offset:         80
        .size:           8
        .value_kind:     by_value
      - .offset:         88
        .size:           4
        .value_kind:     by_value
    .group_segment_fixed_size: 4096
    .kernarg_segment_align: 8
    .kernarg_segment_size: 92
    .language:       OpenCL C
    .language_version:
      - 2
      - 0
    .max_flat_workgroup_size: 256
    .name:           _ZL37rocblas_syrkx_herkx_restricted_kernelIl19rocblas_complex_numIfELi16ELi32ELi8ELi1ELin1ELb1ELc67ELc76EKPKS1_KPS1_EviT_PT9_S7_lS9_S7_lPT10_S7_li
    .private_segment_fixed_size: 0
    .sgpr_count:     24
    .sgpr_spill_count: 0
    .symbol:         _ZL37rocblas_syrkx_herkx_restricted_kernelIl19rocblas_complex_numIfELi16ELi32ELi8ELi1ELin1ELb1ELc67ELc76EKPKS1_KPS1_EviT_PT9_S7_lS9_S7_lPT10_S7_li.kd
    .uniform_work_group_size: 1
    .uses_dynamic_stack: false
    .vgpr_count:     41
    .vgpr_spill_count: 0
    .wavefront_size: 64
  - .args:
      - .offset:         0
        .size:           4
        .value_kind:     by_value
      - .offset:         8
        .size:           8
        .value_kind:     by_value
      - .address_space:  global
        .offset:         16
        .size:           8
        .value_kind:     global_buffer
      - .offset:         24
        .size:           8
        .value_kind:     by_value
      - .offset:         32
        .size:           8
        .value_kind:     by_value
      - .address_space:  global
        .offset:         40
        .size:           8
        .value_kind:     global_buffer
      - .offset:         48
        .size:           8
        .value_kind:     by_value
      - .offset:         56
        .size:           8
        .value_kind:     by_value
      - .address_space:  global
        .offset:         64
        .size:           8
        .value_kind:     global_buffer
      - .offset:         72
        .size:           8
        .value_kind:     by_value
      - .offset:         80
        .size:           8
        .value_kind:     by_value
      - .offset:         88
        .size:           4
        .value_kind:     by_value
    .group_segment_fixed_size: 4096
    .kernarg_segment_align: 8
    .kernarg_segment_size: 92
    .language:       OpenCL C
    .language_version:
      - 2
      - 0
    .max_flat_workgroup_size: 256
    .name:           _ZL37rocblas_syrkx_herkx_restricted_kernelIl19rocblas_complex_numIfELi16ELi32ELi8ELi1ELin1ELb1ELc78ELc76EKPKS1_KPS1_EviT_PT9_S7_lS9_S7_lPT10_S7_li
    .private_segment_fixed_size: 0
    .sgpr_count:     26
    .sgpr_spill_count: 0
    .symbol:         _ZL37rocblas_syrkx_herkx_restricted_kernelIl19rocblas_complex_numIfELi16ELi32ELi8ELi1ELin1ELb1ELc78ELc76EKPKS1_KPS1_EviT_PT9_S7_lS9_S7_lPT10_S7_li.kd
    .uniform_work_group_size: 1
    .uses_dynamic_stack: false
    .vgpr_count:     43
    .vgpr_spill_count: 0
    .wavefront_size: 64
  - .args:
      - .offset:         0
        .size:           4
        .value_kind:     by_value
      - .offset:         8
        .size:           8
        .value_kind:     by_value
      - .address_space:  global
        .offset:         16
        .size:           8
        .value_kind:     global_buffer
      - .offset:         24
        .size:           8
        .value_kind:     by_value
      - .offset:         32
        .size:           8
        .value_kind:     by_value
      - .address_space:  global
        .offset:         40
        .size:           8
        .value_kind:     global_buffer
      - .offset:         48
        .size:           8
        .value_kind:     by_value
      - .offset:         56
        .size:           8
        .value_kind:     by_value
      - .address_space:  global
        .offset:         64
        .size:           8
        .value_kind:     global_buffer
      - .offset:         72
        .size:           8
        .value_kind:     by_value
      - .offset:         80
        .size:           8
        .value_kind:     by_value
      - .offset:         88
        .size:           4
        .value_kind:     by_value
    .group_segment_fixed_size: 4096
    .kernarg_segment_align: 8
    .kernarg_segment_size: 92
    .language:       OpenCL C
    .language_version:
      - 2
      - 0
    .max_flat_workgroup_size: 256
    .name:           _ZL37rocblas_syrkx_herkx_restricted_kernelIl19rocblas_complex_numIfELi16ELi32ELi8ELi1ELin1ELb1ELc84ELc85EKPKS1_KPS1_EviT_PT9_S7_lS9_S7_lPT10_S7_li
    .private_segment_fixed_size: 0
    .sgpr_count:     24
    .sgpr_spill_count: 0
    .symbol:         _ZL37rocblas_syrkx_herkx_restricted_kernelIl19rocblas_complex_numIfELi16ELi32ELi8ELi1ELin1ELb1ELc84ELc85EKPKS1_KPS1_EviT_PT9_S7_lS9_S7_lPT10_S7_li.kd
    .uniform_work_group_size: 1
    .uses_dynamic_stack: false
    .vgpr_count:     41
    .vgpr_spill_count: 0
    .wavefront_size: 64
  - .args:
      - .offset:         0
        .size:           4
        .value_kind:     by_value
      - .offset:         8
        .size:           8
        .value_kind:     by_value
      - .address_space:  global
        .offset:         16
        .size:           8
        .value_kind:     global_buffer
      - .offset:         24
        .size:           8
        .value_kind:     by_value
      - .offset:         32
        .size:           8
        .value_kind:     by_value
      - .address_space:  global
        .offset:         40
        .size:           8
        .value_kind:     global_buffer
      - .offset:         48
        .size:           8
        .value_kind:     by_value
      - .offset:         56
        .size:           8
        .value_kind:     by_value
      - .address_space:  global
        .offset:         64
        .size:           8
        .value_kind:     global_buffer
      - .offset:         72
        .size:           8
        .value_kind:     by_value
      - .offset:         80
        .size:           8
        .value_kind:     by_value
      - .offset:         88
        .size:           4
        .value_kind:     by_value
    .group_segment_fixed_size: 4096
    .kernarg_segment_align: 8
    .kernarg_segment_size: 92
    .language:       OpenCL C
    .language_version:
      - 2
      - 0
    .max_flat_workgroup_size: 256
    .name:           _ZL37rocblas_syrkx_herkx_restricted_kernelIl19rocblas_complex_numIfELi16ELi32ELi8ELi1ELin1ELb1ELc67ELc85EKPKS1_KPS1_EviT_PT9_S7_lS9_S7_lPT10_S7_li
    .private_segment_fixed_size: 0
    .sgpr_count:     24
    .sgpr_spill_count: 0
    .symbol:         _ZL37rocblas_syrkx_herkx_restricted_kernelIl19rocblas_complex_numIfELi16ELi32ELi8ELi1ELin1ELb1ELc67ELc85EKPKS1_KPS1_EviT_PT9_S7_lS9_S7_lPT10_S7_li.kd
    .uniform_work_group_size: 1
    .uses_dynamic_stack: false
    .vgpr_count:     41
    .vgpr_spill_count: 0
    .wavefront_size: 64
  - .args:
      - .offset:         0
        .size:           4
        .value_kind:     by_value
      - .offset:         8
        .size:           8
        .value_kind:     by_value
      - .address_space:  global
        .offset:         16
        .size:           8
        .value_kind:     global_buffer
      - .offset:         24
        .size:           8
        .value_kind:     by_value
      - .offset:         32
        .size:           8
        .value_kind:     by_value
      - .address_space:  global
        .offset:         40
        .size:           8
        .value_kind:     global_buffer
      - .offset:         48
        .size:           8
        .value_kind:     by_value
      - .offset:         56
        .size:           8
        .value_kind:     by_value
      - .address_space:  global
        .offset:         64
        .size:           8
        .value_kind:     global_buffer
      - .offset:         72
        .size:           8
        .value_kind:     by_value
      - .offset:         80
        .size:           8
        .value_kind:     by_value
      - .offset:         88
        .size:           4
        .value_kind:     by_value
    .group_segment_fixed_size: 4096
    .kernarg_segment_align: 8
    .kernarg_segment_size: 92
    .language:       OpenCL C
    .language_version:
      - 2
      - 0
    .max_flat_workgroup_size: 256
    .name:           _ZL37rocblas_syrkx_herkx_restricted_kernelIl19rocblas_complex_numIfELi16ELi32ELi8ELi1ELin1ELb1ELc78ELc85EKPKS1_KPS1_EviT_PT9_S7_lS9_S7_lPT10_S7_li
    .private_segment_fixed_size: 0
    .sgpr_count:     26
    .sgpr_spill_count: 0
    .symbol:         _ZL37rocblas_syrkx_herkx_restricted_kernelIl19rocblas_complex_numIfELi16ELi32ELi8ELi1ELin1ELb1ELc78ELc85EKPKS1_KPS1_EviT_PT9_S7_lS9_S7_lPT10_S7_li.kd
    .uniform_work_group_size: 1
    .uses_dynamic_stack: false
    .vgpr_count:     43
    .vgpr_spill_count: 0
    .wavefront_size: 64
  - .args:
      - .offset:         0
        .size:           4
        .value_kind:     by_value
      - .offset:         8
        .size:           8
        .value_kind:     by_value
      - .address_space:  global
        .offset:         16
        .size:           8
        .value_kind:     global_buffer
      - .offset:         24
        .size:           8
        .value_kind:     by_value
      - .offset:         32
        .size:           8
        .value_kind:     by_value
      - .address_space:  global
        .offset:         40
        .size:           8
        .value_kind:     global_buffer
      - .offset:         48
        .size:           8
        .value_kind:     by_value
      - .offset:         56
        .size:           8
        .value_kind:     by_value
      - .address_space:  global
        .offset:         64
        .size:           8
        .value_kind:     global_buffer
      - .offset:         72
        .size:           8
        .value_kind:     by_value
      - .offset:         80
        .size:           8
        .value_kind:     by_value
      - .offset:         88
        .size:           4
        .value_kind:     by_value
    .group_segment_fixed_size: 4096
    .kernarg_segment_align: 8
    .kernarg_segment_size: 92
    .language:       OpenCL C
    .language_version:
      - 2
      - 0
    .max_flat_workgroup_size: 256
    .name:           _ZL37rocblas_syrkx_herkx_restricted_kernelIl19rocblas_complex_numIfELi16ELi32ELi8ELi1ELi0ELb1ELc84ELc76EKPKS1_KPS1_EviT_PT9_S7_lS9_S7_lPT10_S7_li
    .private_segment_fixed_size: 0
    .sgpr_count:     24
    .sgpr_spill_count: 0
    .symbol:         _ZL37rocblas_syrkx_herkx_restricted_kernelIl19rocblas_complex_numIfELi16ELi32ELi8ELi1ELi0ELb1ELc84ELc76EKPKS1_KPS1_EviT_PT9_S7_lS9_S7_lPT10_S7_li.kd
    .uniform_work_group_size: 1
    .uses_dynamic_stack: false
    .vgpr_count:     41
    .vgpr_spill_count: 0
    .wavefront_size: 64
  - .args:
      - .offset:         0
        .size:           4
        .value_kind:     by_value
      - .offset:         8
        .size:           8
        .value_kind:     by_value
      - .address_space:  global
        .offset:         16
        .size:           8
        .value_kind:     global_buffer
      - .offset:         24
        .size:           8
        .value_kind:     by_value
      - .offset:         32
        .size:           8
        .value_kind:     by_value
      - .address_space:  global
        .offset:         40
        .size:           8
        .value_kind:     global_buffer
      - .offset:         48
        .size:           8
        .value_kind:     by_value
      - .offset:         56
        .size:           8
        .value_kind:     by_value
      - .address_space:  global
        .offset:         64
        .size:           8
        .value_kind:     global_buffer
      - .offset:         72
        .size:           8
        .value_kind:     by_value
      - .offset:         80
        .size:           8
        .value_kind:     by_value
      - .offset:         88
        .size:           4
        .value_kind:     by_value
    .group_segment_fixed_size: 4096
    .kernarg_segment_align: 8
    .kernarg_segment_size: 92
    .language:       OpenCL C
    .language_version:
      - 2
      - 0
    .max_flat_workgroup_size: 256
    .name:           _ZL37rocblas_syrkx_herkx_restricted_kernelIl19rocblas_complex_numIfELi16ELi32ELi8ELi1ELi0ELb1ELc67ELc76EKPKS1_KPS1_EviT_PT9_S7_lS9_S7_lPT10_S7_li
    .private_segment_fixed_size: 0
    .sgpr_count:     24
    .sgpr_spill_count: 0
    .symbol:         _ZL37rocblas_syrkx_herkx_restricted_kernelIl19rocblas_complex_numIfELi16ELi32ELi8ELi1ELi0ELb1ELc67ELc76EKPKS1_KPS1_EviT_PT9_S7_lS9_S7_lPT10_S7_li.kd
    .uniform_work_group_size: 1
    .uses_dynamic_stack: false
    .vgpr_count:     41
    .vgpr_spill_count: 0
    .wavefront_size: 64
  - .args:
      - .offset:         0
        .size:           4
        .value_kind:     by_value
      - .offset:         8
        .size:           8
        .value_kind:     by_value
      - .address_space:  global
        .offset:         16
        .size:           8
        .value_kind:     global_buffer
      - .offset:         24
        .size:           8
        .value_kind:     by_value
      - .offset:         32
        .size:           8
        .value_kind:     by_value
      - .address_space:  global
        .offset:         40
        .size:           8
        .value_kind:     global_buffer
      - .offset:         48
        .size:           8
        .value_kind:     by_value
      - .offset:         56
        .size:           8
        .value_kind:     by_value
      - .address_space:  global
        .offset:         64
        .size:           8
        .value_kind:     global_buffer
      - .offset:         72
        .size:           8
        .value_kind:     by_value
      - .offset:         80
        .size:           8
        .value_kind:     by_value
      - .offset:         88
        .size:           4
        .value_kind:     by_value
    .group_segment_fixed_size: 4096
    .kernarg_segment_align: 8
    .kernarg_segment_size: 92
    .language:       OpenCL C
    .language_version:
      - 2
      - 0
    .max_flat_workgroup_size: 256
    .name:           _ZL37rocblas_syrkx_herkx_restricted_kernelIl19rocblas_complex_numIfELi16ELi32ELi8ELi1ELi0ELb1ELc78ELc76EKPKS1_KPS1_EviT_PT9_S7_lS9_S7_lPT10_S7_li
    .private_segment_fixed_size: 0
    .sgpr_count:     26
    .sgpr_spill_count: 0
    .symbol:         _ZL37rocblas_syrkx_herkx_restricted_kernelIl19rocblas_complex_numIfELi16ELi32ELi8ELi1ELi0ELb1ELc78ELc76EKPKS1_KPS1_EviT_PT9_S7_lS9_S7_lPT10_S7_li.kd
    .uniform_work_group_size: 1
    .uses_dynamic_stack: false
    .vgpr_count:     44
    .vgpr_spill_count: 0
    .wavefront_size: 64
  - .args:
      - .offset:         0
        .size:           4
        .value_kind:     by_value
      - .offset:         8
        .size:           8
        .value_kind:     by_value
      - .address_space:  global
        .offset:         16
        .size:           8
        .value_kind:     global_buffer
      - .offset:         24
        .size:           8
        .value_kind:     by_value
      - .offset:         32
        .size:           8
        .value_kind:     by_value
      - .address_space:  global
        .offset:         40
        .size:           8
        .value_kind:     global_buffer
      - .offset:         48
        .size:           8
        .value_kind:     by_value
      - .offset:         56
        .size:           8
        .value_kind:     by_value
      - .address_space:  global
        .offset:         64
        .size:           8
        .value_kind:     global_buffer
      - .offset:         72
        .size:           8
        .value_kind:     by_value
      - .offset:         80
        .size:           8
        .value_kind:     by_value
      - .offset:         88
        .size:           4
        .value_kind:     by_value
    .group_segment_fixed_size: 4096
    .kernarg_segment_align: 8
    .kernarg_segment_size: 92
    .language:       OpenCL C
    .language_version:
      - 2
      - 0
    .max_flat_workgroup_size: 256
    .name:           _ZL37rocblas_syrkx_herkx_restricted_kernelIl19rocblas_complex_numIfELi16ELi32ELi8ELi1ELi0ELb1ELc84ELc85EKPKS1_KPS1_EviT_PT9_S7_lS9_S7_lPT10_S7_li
    .private_segment_fixed_size: 0
    .sgpr_count:     24
    .sgpr_spill_count: 0
    .symbol:         _ZL37rocblas_syrkx_herkx_restricted_kernelIl19rocblas_complex_numIfELi16ELi32ELi8ELi1ELi0ELb1ELc84ELc85EKPKS1_KPS1_EviT_PT9_S7_lS9_S7_lPT10_S7_li.kd
    .uniform_work_group_size: 1
    .uses_dynamic_stack: false
    .vgpr_count:     41
    .vgpr_spill_count: 0
    .wavefront_size: 64
  - .args:
      - .offset:         0
        .size:           4
        .value_kind:     by_value
      - .offset:         8
        .size:           8
        .value_kind:     by_value
      - .address_space:  global
        .offset:         16
        .size:           8
        .value_kind:     global_buffer
      - .offset:         24
        .size:           8
        .value_kind:     by_value
      - .offset:         32
        .size:           8
        .value_kind:     by_value
      - .address_space:  global
        .offset:         40
        .size:           8
        .value_kind:     global_buffer
      - .offset:         48
        .size:           8
        .value_kind:     by_value
      - .offset:         56
        .size:           8
        .value_kind:     by_value
      - .address_space:  global
        .offset:         64
        .size:           8
        .value_kind:     global_buffer
      - .offset:         72
        .size:           8
        .value_kind:     by_value
      - .offset:         80
        .size:           8
        .value_kind:     by_value
      - .offset:         88
        .size:           4
        .value_kind:     by_value
    .group_segment_fixed_size: 4096
    .kernarg_segment_align: 8
    .kernarg_segment_size: 92
    .language:       OpenCL C
    .language_version:
      - 2
      - 0
    .max_flat_workgroup_size: 256
    .name:           _ZL37rocblas_syrkx_herkx_restricted_kernelIl19rocblas_complex_numIfELi16ELi32ELi8ELi1ELi0ELb1ELc67ELc85EKPKS1_KPS1_EviT_PT9_S7_lS9_S7_lPT10_S7_li
    .private_segment_fixed_size: 0
    .sgpr_count:     24
    .sgpr_spill_count: 0
    .symbol:         _ZL37rocblas_syrkx_herkx_restricted_kernelIl19rocblas_complex_numIfELi16ELi32ELi8ELi1ELi0ELb1ELc67ELc85EKPKS1_KPS1_EviT_PT9_S7_lS9_S7_lPT10_S7_li.kd
    .uniform_work_group_size: 1
    .uses_dynamic_stack: false
    .vgpr_count:     41
    .vgpr_spill_count: 0
    .wavefront_size: 64
  - .args:
      - .offset:         0
        .size:           4
        .value_kind:     by_value
      - .offset:         8
        .size:           8
        .value_kind:     by_value
      - .address_space:  global
        .offset:         16
        .size:           8
        .value_kind:     global_buffer
      - .offset:         24
        .size:           8
        .value_kind:     by_value
      - .offset:         32
        .size:           8
        .value_kind:     by_value
      - .address_space:  global
        .offset:         40
        .size:           8
        .value_kind:     global_buffer
      - .offset:         48
        .size:           8
        .value_kind:     by_value
      - .offset:         56
        .size:           8
        .value_kind:     by_value
      - .address_space:  global
        .offset:         64
        .size:           8
        .value_kind:     global_buffer
      - .offset:         72
        .size:           8
        .value_kind:     by_value
      - .offset:         80
        .size:           8
        .value_kind:     by_value
      - .offset:         88
        .size:           4
        .value_kind:     by_value
    .group_segment_fixed_size: 4096
    .kernarg_segment_align: 8
    .kernarg_segment_size: 92
    .language:       OpenCL C
    .language_version:
      - 2
      - 0
    .max_flat_workgroup_size: 256
    .name:           _ZL37rocblas_syrkx_herkx_restricted_kernelIl19rocblas_complex_numIfELi16ELi32ELi8ELi1ELi0ELb1ELc78ELc85EKPKS1_KPS1_EviT_PT9_S7_lS9_S7_lPT10_S7_li
    .private_segment_fixed_size: 0
    .sgpr_count:     26
    .sgpr_spill_count: 0
    .symbol:         _ZL37rocblas_syrkx_herkx_restricted_kernelIl19rocblas_complex_numIfELi16ELi32ELi8ELi1ELi0ELb1ELc78ELc85EKPKS1_KPS1_EviT_PT9_S7_lS9_S7_lPT10_S7_li.kd
    .uniform_work_group_size: 1
    .uses_dynamic_stack: false
    .vgpr_count:     44
    .vgpr_spill_count: 0
    .wavefront_size: 64
  - .args:
      - .offset:         0
        .size:           4
        .value_kind:     by_value
      - .offset:         8
        .size:           8
        .value_kind:     by_value
      - .address_space:  global
        .offset:         16
        .size:           8
        .value_kind:     global_buffer
      - .offset:         24
        .size:           8
        .value_kind:     by_value
      - .offset:         32
        .size:           8
        .value_kind:     by_value
      - .address_space:  global
        .offset:         40
        .size:           8
        .value_kind:     global_buffer
      - .offset:         48
        .size:           8
        .value_kind:     by_value
      - .offset:         56
        .size:           8
        .value_kind:     by_value
      - .address_space:  global
        .offset:         64
        .size:           8
        .value_kind:     global_buffer
      - .offset:         72
        .size:           8
        .value_kind:     by_value
      - .offset:         80
        .size:           8
        .value_kind:     by_value
      - .offset:         88
        .size:           4
        .value_kind:     by_value
    .group_segment_fixed_size: 4096
    .kernarg_segment_align: 8
    .kernarg_segment_size: 92
    .language:       OpenCL C
    .language_version:
      - 2
      - 0
    .max_flat_workgroup_size: 256
    .name:           _ZL37rocblas_syrkx_herkx_restricted_kernelIl19rocblas_complex_numIfELi16ELi32ELi8ELin1ELi0ELb1ELc84ELc76EKPKS1_KPS1_EviT_PT9_S7_lS9_S7_lPT10_S7_li
    .private_segment_fixed_size: 0
    .sgpr_count:     24
    .sgpr_spill_count: 0
    .symbol:         _ZL37rocblas_syrkx_herkx_restricted_kernelIl19rocblas_complex_numIfELi16ELi32ELi8ELin1ELi0ELb1ELc84ELc76EKPKS1_KPS1_EviT_PT9_S7_lS9_S7_lPT10_S7_li.kd
    .uniform_work_group_size: 1
    .uses_dynamic_stack: false
    .vgpr_count:     41
    .vgpr_spill_count: 0
    .wavefront_size: 64
  - .args:
      - .offset:         0
        .size:           4
        .value_kind:     by_value
      - .offset:         8
        .size:           8
        .value_kind:     by_value
      - .address_space:  global
        .offset:         16
        .size:           8
        .value_kind:     global_buffer
      - .offset:         24
        .size:           8
        .value_kind:     by_value
      - .offset:         32
        .size:           8
        .value_kind:     by_value
      - .address_space:  global
        .offset:         40
        .size:           8
        .value_kind:     global_buffer
      - .offset:         48
        .size:           8
        .value_kind:     by_value
      - .offset:         56
        .size:           8
        .value_kind:     by_value
      - .address_space:  global
        .offset:         64
        .size:           8
        .value_kind:     global_buffer
      - .offset:         72
        .size:           8
        .value_kind:     by_value
      - .offset:         80
        .size:           8
        .value_kind:     by_value
      - .offset:         88
        .size:           4
        .value_kind:     by_value
    .group_segment_fixed_size: 4096
    .kernarg_segment_align: 8
    .kernarg_segment_size: 92
    .language:       OpenCL C
    .language_version:
      - 2
      - 0
    .max_flat_workgroup_size: 256
    .name:           _ZL37rocblas_syrkx_herkx_restricted_kernelIl19rocblas_complex_numIfELi16ELi32ELi8ELin1ELi0ELb1ELc67ELc76EKPKS1_KPS1_EviT_PT9_S7_lS9_S7_lPT10_S7_li
    .private_segment_fixed_size: 0
    .sgpr_count:     24
    .sgpr_spill_count: 0
    .symbol:         _ZL37rocblas_syrkx_herkx_restricted_kernelIl19rocblas_complex_numIfELi16ELi32ELi8ELin1ELi0ELb1ELc67ELc76EKPKS1_KPS1_EviT_PT9_S7_lS9_S7_lPT10_S7_li.kd
    .uniform_work_group_size: 1
    .uses_dynamic_stack: false
    .vgpr_count:     41
    .vgpr_spill_count: 0
    .wavefront_size: 64
  - .args:
      - .offset:         0
        .size:           4
        .value_kind:     by_value
      - .offset:         8
        .size:           8
        .value_kind:     by_value
      - .address_space:  global
        .offset:         16
        .size:           8
        .value_kind:     global_buffer
      - .offset:         24
        .size:           8
        .value_kind:     by_value
      - .offset:         32
        .size:           8
        .value_kind:     by_value
      - .address_space:  global
        .offset:         40
        .size:           8
        .value_kind:     global_buffer
      - .offset:         48
        .size:           8
        .value_kind:     by_value
      - .offset:         56
        .size:           8
        .value_kind:     by_value
      - .address_space:  global
        .offset:         64
        .size:           8
        .value_kind:     global_buffer
      - .offset:         72
        .size:           8
        .value_kind:     by_value
      - .offset:         80
        .size:           8
        .value_kind:     by_value
      - .offset:         88
        .size:           4
        .value_kind:     by_value
    .group_segment_fixed_size: 4096
    .kernarg_segment_align: 8
    .kernarg_segment_size: 92
    .language:       OpenCL C
    .language_version:
      - 2
      - 0
    .max_flat_workgroup_size: 256
    .name:           _ZL37rocblas_syrkx_herkx_restricted_kernelIl19rocblas_complex_numIfELi16ELi32ELi8ELin1ELi0ELb1ELc78ELc76EKPKS1_KPS1_EviT_PT9_S7_lS9_S7_lPT10_S7_li
    .private_segment_fixed_size: 0
    .sgpr_count:     26
    .sgpr_spill_count: 0
    .symbol:         _ZL37rocblas_syrkx_herkx_restricted_kernelIl19rocblas_complex_numIfELi16ELi32ELi8ELin1ELi0ELb1ELc78ELc76EKPKS1_KPS1_EviT_PT9_S7_lS9_S7_lPT10_S7_li.kd
    .uniform_work_group_size: 1
    .uses_dynamic_stack: false
    .vgpr_count:     43
    .vgpr_spill_count: 0
    .wavefront_size: 64
  - .args:
      - .offset:         0
        .size:           4
        .value_kind:     by_value
      - .offset:         8
        .size:           8
        .value_kind:     by_value
      - .address_space:  global
        .offset:         16
        .size:           8
        .value_kind:     global_buffer
      - .offset:         24
        .size:           8
        .value_kind:     by_value
      - .offset:         32
        .size:           8
        .value_kind:     by_value
      - .address_space:  global
        .offset:         40
        .size:           8
        .value_kind:     global_buffer
      - .offset:         48
        .size:           8
        .value_kind:     by_value
      - .offset:         56
        .size:           8
        .value_kind:     by_value
      - .address_space:  global
        .offset:         64
        .size:           8
        .value_kind:     global_buffer
      - .offset:         72
        .size:           8
        .value_kind:     by_value
      - .offset:         80
        .size:           8
        .value_kind:     by_value
      - .offset:         88
        .size:           4
        .value_kind:     by_value
    .group_segment_fixed_size: 4096
    .kernarg_segment_align: 8
    .kernarg_segment_size: 92
    .language:       OpenCL C
    .language_version:
      - 2
      - 0
    .max_flat_workgroup_size: 256
    .name:           _ZL37rocblas_syrkx_herkx_restricted_kernelIl19rocblas_complex_numIfELi16ELi32ELi8ELin1ELi0ELb1ELc84ELc85EKPKS1_KPS1_EviT_PT9_S7_lS9_S7_lPT10_S7_li
    .private_segment_fixed_size: 0
    .sgpr_count:     24
    .sgpr_spill_count: 0
    .symbol:         _ZL37rocblas_syrkx_herkx_restricted_kernelIl19rocblas_complex_numIfELi16ELi32ELi8ELin1ELi0ELb1ELc84ELc85EKPKS1_KPS1_EviT_PT9_S7_lS9_S7_lPT10_S7_li.kd
    .uniform_work_group_size: 1
    .uses_dynamic_stack: false
    .vgpr_count:     41
    .vgpr_spill_count: 0
    .wavefront_size: 64
  - .args:
      - .offset:         0
        .size:           4
        .value_kind:     by_value
      - .offset:         8
        .size:           8
        .value_kind:     by_value
      - .address_space:  global
        .offset:         16
        .size:           8
        .value_kind:     global_buffer
      - .offset:         24
        .size:           8
        .value_kind:     by_value
      - .offset:         32
        .size:           8
        .value_kind:     by_value
      - .address_space:  global
        .offset:         40
        .size:           8
        .value_kind:     global_buffer
      - .offset:         48
        .size:           8
        .value_kind:     by_value
      - .offset:         56
        .size:           8
        .value_kind:     by_value
      - .address_space:  global
        .offset:         64
        .size:           8
        .value_kind:     global_buffer
      - .offset:         72
        .size:           8
        .value_kind:     by_value
      - .offset:         80
        .size:           8
        .value_kind:     by_value
      - .offset:         88
        .size:           4
        .value_kind:     by_value
    .group_segment_fixed_size: 4096
    .kernarg_segment_align: 8
    .kernarg_segment_size: 92
    .language:       OpenCL C
    .language_version:
      - 2
      - 0
    .max_flat_workgroup_size: 256
    .name:           _ZL37rocblas_syrkx_herkx_restricted_kernelIl19rocblas_complex_numIfELi16ELi32ELi8ELin1ELi0ELb1ELc67ELc85EKPKS1_KPS1_EviT_PT9_S7_lS9_S7_lPT10_S7_li
    .private_segment_fixed_size: 0
    .sgpr_count:     24
    .sgpr_spill_count: 0
    .symbol:         _ZL37rocblas_syrkx_herkx_restricted_kernelIl19rocblas_complex_numIfELi16ELi32ELi8ELin1ELi0ELb1ELc67ELc85EKPKS1_KPS1_EviT_PT9_S7_lS9_S7_lPT10_S7_li.kd
    .uniform_work_group_size: 1
    .uses_dynamic_stack: false
    .vgpr_count:     41
    .vgpr_spill_count: 0
    .wavefront_size: 64
  - .args:
      - .offset:         0
        .size:           4
        .value_kind:     by_value
      - .offset:         8
        .size:           8
        .value_kind:     by_value
      - .address_space:  global
        .offset:         16
        .size:           8
        .value_kind:     global_buffer
      - .offset:         24
        .size:           8
        .value_kind:     by_value
      - .offset:         32
        .size:           8
        .value_kind:     by_value
      - .address_space:  global
        .offset:         40
        .size:           8
        .value_kind:     global_buffer
      - .offset:         48
        .size:           8
        .value_kind:     by_value
      - .offset:         56
        .size:           8
        .value_kind:     by_value
      - .address_space:  global
        .offset:         64
        .size:           8
        .value_kind:     global_buffer
      - .offset:         72
        .size:           8
        .value_kind:     by_value
      - .offset:         80
        .size:           8
        .value_kind:     by_value
      - .offset:         88
        .size:           4
        .value_kind:     by_value
    .group_segment_fixed_size: 4096
    .kernarg_segment_align: 8
    .kernarg_segment_size: 92
    .language:       OpenCL C
    .language_version:
      - 2
      - 0
    .max_flat_workgroup_size: 256
    .name:           _ZL37rocblas_syrkx_herkx_restricted_kernelIl19rocblas_complex_numIfELi16ELi32ELi8ELin1ELi0ELb1ELc78ELc85EKPKS1_KPS1_EviT_PT9_S7_lS9_S7_lPT10_S7_li
    .private_segment_fixed_size: 0
    .sgpr_count:     26
    .sgpr_spill_count: 0
    .symbol:         _ZL37rocblas_syrkx_herkx_restricted_kernelIl19rocblas_complex_numIfELi16ELi32ELi8ELin1ELi0ELb1ELc78ELc85EKPKS1_KPS1_EviT_PT9_S7_lS9_S7_lPT10_S7_li.kd
    .uniform_work_group_size: 1
    .uses_dynamic_stack: false
    .vgpr_count:     43
    .vgpr_spill_count: 0
    .wavefront_size: 64
  - .args:
      - .offset:         0
        .size:           4
        .value_kind:     by_value
      - .offset:         8
        .size:           8
        .value_kind:     by_value
      - .offset:         16
        .size:           8
        .value_kind:     by_value
      - .address_space:  global
        .offset:         24
        .size:           8
        .value_kind:     global_buffer
      - .offset:         32
        .size:           8
        .value_kind:     by_value
      - .offset:         40
        .size:           8
        .value_kind:     by_value
      - .address_space:  global
        .offset:         48
        .size:           8
        .value_kind:     global_buffer
      - .offset:         56
        .size:           8
        .value_kind:     by_value
      - .offset:         64
        .size:           8
        .value_kind:     by_value
      - .offset:         72
        .size:           8
        .value_kind:     by_value
      - .address_space:  global
        .offset:         80
        .size:           8
        .value_kind:     global_buffer
      - .offset:         88
        .size:           8
        .value_kind:     by_value
      - .offset:         96
        .size:           8
        .value_kind:     by_value
      - .offset:         104
        .size:           4
        .value_kind:     by_value
    .group_segment_fixed_size: 4096
    .kernarg_segment_align: 8
    .kernarg_segment_size: 108
    .language:       OpenCL C
    .language_version:
      - 2
      - 0
    .max_flat_workgroup_size: 256
    .name:           _ZL37rocblas_syrkx_herkx_restricted_kernelIl19rocblas_complex_numIfELi16ELi32ELi8ELb1ELb1ELc84ELc76EKPKS1_KPS1_EviT_T0_PT8_S7_lSA_S7_lS8_PT9_S7_li
    .private_segment_fixed_size: 0
    .sgpr_count:     32
    .sgpr_spill_count: 0
    .symbol:         _ZL37rocblas_syrkx_herkx_restricted_kernelIl19rocblas_complex_numIfELi16ELi32ELi8ELb1ELb1ELc84ELc76EKPKS1_KPS1_EviT_T0_PT8_S7_lSA_S7_lS8_PT9_S7_li.kd
    .uniform_work_group_size: 1
    .uses_dynamic_stack: false
    .vgpr_count:     41
    .vgpr_spill_count: 0
    .wavefront_size: 64
  - .args:
      - .offset:         0
        .size:           4
        .value_kind:     by_value
      - .offset:         8
        .size:           8
        .value_kind:     by_value
      - .offset:         16
        .size:           8
        .value_kind:     by_value
      - .address_space:  global
        .offset:         24
        .size:           8
        .value_kind:     global_buffer
      - .offset:         32
        .size:           8
        .value_kind:     by_value
      - .offset:         40
        .size:           8
        .value_kind:     by_value
      - .address_space:  global
        .offset:         48
        .size:           8
        .value_kind:     global_buffer
      - .offset:         56
        .size:           8
        .value_kind:     by_value
      - .offset:         64
        .size:           8
        .value_kind:     by_value
      - .offset:         72
        .size:           8
        .value_kind:     by_value
      - .address_space:  global
        .offset:         80
        .size:           8
        .value_kind:     global_buffer
      - .offset:         88
        .size:           8
        .value_kind:     by_value
      - .offset:         96
        .size:           8
        .value_kind:     by_value
      - .offset:         104
        .size:           4
        .value_kind:     by_value
    .group_segment_fixed_size: 4096
    .kernarg_segment_align: 8
    .kernarg_segment_size: 108
    .language:       OpenCL C
    .language_version:
      - 2
      - 0
    .max_flat_workgroup_size: 256
    .name:           _ZL37rocblas_syrkx_herkx_restricted_kernelIl19rocblas_complex_numIfELi16ELi32ELi8ELb1ELb1ELc67ELc76EKPKS1_KPS1_EviT_T0_PT8_S7_lSA_S7_lS8_PT9_S7_li
    .private_segment_fixed_size: 0
    .sgpr_count:     32
    .sgpr_spill_count: 0
    .symbol:         _ZL37rocblas_syrkx_herkx_restricted_kernelIl19rocblas_complex_numIfELi16ELi32ELi8ELb1ELb1ELc67ELc76EKPKS1_KPS1_EviT_T0_PT8_S7_lSA_S7_lS8_PT9_S7_li.kd
    .uniform_work_group_size: 1
    .uses_dynamic_stack: false
    .vgpr_count:     41
    .vgpr_spill_count: 0
    .wavefront_size: 64
  - .args:
      - .offset:         0
        .size:           4
        .value_kind:     by_value
      - .offset:         8
        .size:           8
        .value_kind:     by_value
      - .offset:         16
        .size:           8
        .value_kind:     by_value
      - .address_space:  global
        .offset:         24
        .size:           8
        .value_kind:     global_buffer
      - .offset:         32
        .size:           8
        .value_kind:     by_value
      - .offset:         40
        .size:           8
        .value_kind:     by_value
      - .address_space:  global
        .offset:         48
        .size:           8
        .value_kind:     global_buffer
      - .offset:         56
        .size:           8
        .value_kind:     by_value
      - .offset:         64
        .size:           8
        .value_kind:     by_value
      - .offset:         72
        .size:           8
        .value_kind:     by_value
      - .address_space:  global
        .offset:         80
        .size:           8
        .value_kind:     global_buffer
      - .offset:         88
        .size:           8
        .value_kind:     by_value
      - .offset:         96
        .size:           8
        .value_kind:     by_value
      - .offset:         104
        .size:           4
        .value_kind:     by_value
    .group_segment_fixed_size: 4096
    .kernarg_segment_align: 8
    .kernarg_segment_size: 108
    .language:       OpenCL C
    .language_version:
      - 2
      - 0
    .max_flat_workgroup_size: 256
    .name:           _ZL37rocblas_syrkx_herkx_restricted_kernelIl19rocblas_complex_numIfELi16ELi32ELi8ELb1ELb1ELc78ELc76EKPKS1_KPS1_EviT_T0_PT8_S7_lSA_S7_lS8_PT9_S7_li
    .private_segment_fixed_size: 0
    .sgpr_count:     28
    .sgpr_spill_count: 0
    .symbol:         _ZL37rocblas_syrkx_herkx_restricted_kernelIl19rocblas_complex_numIfELi16ELi32ELi8ELb1ELb1ELc78ELc76EKPKS1_KPS1_EviT_T0_PT8_S7_lSA_S7_lS8_PT9_S7_li.kd
    .uniform_work_group_size: 1
    .uses_dynamic_stack: false
    .vgpr_count:     43
    .vgpr_spill_count: 0
    .wavefront_size: 64
  - .args:
      - .offset:         0
        .size:           4
        .value_kind:     by_value
      - .offset:         8
        .size:           8
        .value_kind:     by_value
      - .offset:         16
        .size:           8
        .value_kind:     by_value
      - .address_space:  global
        .offset:         24
        .size:           8
        .value_kind:     global_buffer
      - .offset:         32
        .size:           8
        .value_kind:     by_value
      - .offset:         40
        .size:           8
        .value_kind:     by_value
      - .address_space:  global
        .offset:         48
        .size:           8
        .value_kind:     global_buffer
      - .offset:         56
        .size:           8
        .value_kind:     by_value
      - .offset:         64
        .size:           8
        .value_kind:     by_value
      - .offset:         72
        .size:           8
        .value_kind:     by_value
      - .address_space:  global
        .offset:         80
        .size:           8
        .value_kind:     global_buffer
      - .offset:         88
        .size:           8
        .value_kind:     by_value
      - .offset:         96
        .size:           8
        .value_kind:     by_value
      - .offset:         104
        .size:           4
        .value_kind:     by_value
    .group_segment_fixed_size: 4096
    .kernarg_segment_align: 8
    .kernarg_segment_size: 108
    .language:       OpenCL C
    .language_version:
      - 2
      - 0
    .max_flat_workgroup_size: 256
    .name:           _ZL37rocblas_syrkx_herkx_restricted_kernelIl19rocblas_complex_numIfELi16ELi32ELi8ELb1ELb1ELc84ELc85EKPKS1_KPS1_EviT_T0_PT8_S7_lSA_S7_lS8_PT9_S7_li
    .private_segment_fixed_size: 0
    .sgpr_count:     28
    .sgpr_spill_count: 0
    .symbol:         _ZL37rocblas_syrkx_herkx_restricted_kernelIl19rocblas_complex_numIfELi16ELi32ELi8ELb1ELb1ELc84ELc85EKPKS1_KPS1_EviT_T0_PT8_S7_lSA_S7_lS8_PT9_S7_li.kd
    .uniform_work_group_size: 1
    .uses_dynamic_stack: false
    .vgpr_count:     41
    .vgpr_spill_count: 0
    .wavefront_size: 64
  - .args:
      - .offset:         0
        .size:           4
        .value_kind:     by_value
      - .offset:         8
        .size:           8
        .value_kind:     by_value
      - .offset:         16
        .size:           8
        .value_kind:     by_value
      - .address_space:  global
        .offset:         24
        .size:           8
        .value_kind:     global_buffer
      - .offset:         32
        .size:           8
        .value_kind:     by_value
      - .offset:         40
        .size:           8
        .value_kind:     by_value
      - .address_space:  global
        .offset:         48
        .size:           8
        .value_kind:     global_buffer
      - .offset:         56
        .size:           8
        .value_kind:     by_value
      - .offset:         64
        .size:           8
        .value_kind:     by_value
      - .offset:         72
        .size:           8
        .value_kind:     by_value
      - .address_space:  global
        .offset:         80
        .size:           8
        .value_kind:     global_buffer
      - .offset:         88
        .size:           8
        .value_kind:     by_value
      - .offset:         96
        .size:           8
        .value_kind:     by_value
      - .offset:         104
        .size:           4
        .value_kind:     by_value
    .group_segment_fixed_size: 4096
    .kernarg_segment_align: 8
    .kernarg_segment_size: 108
    .language:       OpenCL C
    .language_version:
      - 2
      - 0
    .max_flat_workgroup_size: 256
    .name:           _ZL37rocblas_syrkx_herkx_restricted_kernelIl19rocblas_complex_numIfELi16ELi32ELi8ELb1ELb1ELc67ELc85EKPKS1_KPS1_EviT_T0_PT8_S7_lSA_S7_lS8_PT9_S7_li
    .private_segment_fixed_size: 0
    .sgpr_count:     28
    .sgpr_spill_count: 0
    .symbol:         _ZL37rocblas_syrkx_herkx_restricted_kernelIl19rocblas_complex_numIfELi16ELi32ELi8ELb1ELb1ELc67ELc85EKPKS1_KPS1_EviT_T0_PT8_S7_lSA_S7_lS8_PT9_S7_li.kd
    .uniform_work_group_size: 1
    .uses_dynamic_stack: false
    .vgpr_count:     41
    .vgpr_spill_count: 0
    .wavefront_size: 64
  - .args:
      - .offset:         0
        .size:           4
        .value_kind:     by_value
      - .offset:         8
        .size:           8
        .value_kind:     by_value
      - .offset:         16
        .size:           8
        .value_kind:     by_value
      - .address_space:  global
        .offset:         24
        .size:           8
        .value_kind:     global_buffer
      - .offset:         32
        .size:           8
        .value_kind:     by_value
      - .offset:         40
        .size:           8
        .value_kind:     by_value
      - .address_space:  global
        .offset:         48
        .size:           8
        .value_kind:     global_buffer
      - .offset:         56
        .size:           8
        .value_kind:     by_value
      - .offset:         64
        .size:           8
        .value_kind:     by_value
      - .offset:         72
        .size:           8
        .value_kind:     by_value
      - .address_space:  global
        .offset:         80
        .size:           8
        .value_kind:     global_buffer
      - .offset:         88
        .size:           8
        .value_kind:     by_value
      - .offset:         96
        .size:           8
        .value_kind:     by_value
      - .offset:         104
        .size:           4
        .value_kind:     by_value
    .group_segment_fixed_size: 4096
    .kernarg_segment_align: 8
    .kernarg_segment_size: 108
    .language:       OpenCL C
    .language_version:
      - 2
      - 0
    .max_flat_workgroup_size: 256
    .name:           _ZL37rocblas_syrkx_herkx_restricted_kernelIl19rocblas_complex_numIfELi16ELi32ELi8ELb1ELb1ELc78ELc85EKPKS1_KPS1_EviT_T0_PT8_S7_lSA_S7_lS8_PT9_S7_li
    .private_segment_fixed_size: 0
    .sgpr_count:     30
    .sgpr_spill_count: 0
    .symbol:         _ZL37rocblas_syrkx_herkx_restricted_kernelIl19rocblas_complex_numIfELi16ELi32ELi8ELb1ELb1ELc78ELc85EKPKS1_KPS1_EviT_T0_PT8_S7_lSA_S7_lS8_PT9_S7_li.kd
    .uniform_work_group_size: 1
    .uses_dynamic_stack: false
    .vgpr_count:     43
    .vgpr_spill_count: 0
    .wavefront_size: 64
  - .args:
      - .offset:         0
        .size:           4
        .value_kind:     by_value
      - .offset:         8
        .size:           8
        .value_kind:     by_value
      - .offset:         16
        .size:           8
        .value_kind:     by_value
      - .address_space:  global
        .offset:         24
        .size:           8
        .value_kind:     global_buffer
      - .offset:         32
        .size:           8
        .value_kind:     by_value
      - .offset:         40
        .size:           8
        .value_kind:     by_value
      - .address_space:  global
        .offset:         48
        .size:           8
        .value_kind:     global_buffer
      - .offset:         56
        .size:           8
        .value_kind:     by_value
      - .offset:         64
        .size:           8
        .value_kind:     by_value
      - .offset:         72
        .size:           8
        .value_kind:     by_value
      - .address_space:  global
        .offset:         80
        .size:           8
        .value_kind:     global_buffer
      - .offset:         88
        .size:           8
        .value_kind:     by_value
      - .offset:         96
        .size:           8
        .value_kind:     by_value
      - .offset:         104
        .size:           4
        .value_kind:     by_value
    .group_segment_fixed_size: 4096
    .kernarg_segment_align: 8
    .kernarg_segment_size: 108
    .language:       OpenCL C
    .language_version:
      - 2
      - 0
    .max_flat_workgroup_size: 256
    .name:           _ZL37rocblas_syrkx_herkx_restricted_kernelIl19rocblas_complex_numIfELi16ELi32ELi8ELb0ELb1ELc84ELc76EKPKS1_KPS1_EviT_T0_PT8_S7_lSA_S7_lS8_PT9_S7_li
    .private_segment_fixed_size: 0
    .sgpr_count:     32
    .sgpr_spill_count: 0
    .symbol:         _ZL37rocblas_syrkx_herkx_restricted_kernelIl19rocblas_complex_numIfELi16ELi32ELi8ELb0ELb1ELc84ELc76EKPKS1_KPS1_EviT_T0_PT8_S7_lSA_S7_lS8_PT9_S7_li.kd
    .uniform_work_group_size: 1
    .uses_dynamic_stack: false
    .vgpr_count:     41
    .vgpr_spill_count: 0
    .wavefront_size: 64
  - .args:
      - .offset:         0
        .size:           4
        .value_kind:     by_value
      - .offset:         8
        .size:           8
        .value_kind:     by_value
      - .offset:         16
        .size:           8
        .value_kind:     by_value
      - .address_space:  global
        .offset:         24
        .size:           8
        .value_kind:     global_buffer
      - .offset:         32
        .size:           8
        .value_kind:     by_value
      - .offset:         40
        .size:           8
        .value_kind:     by_value
      - .address_space:  global
        .offset:         48
        .size:           8
        .value_kind:     global_buffer
      - .offset:         56
        .size:           8
        .value_kind:     by_value
      - .offset:         64
        .size:           8
        .value_kind:     by_value
      - .offset:         72
        .size:           8
        .value_kind:     by_value
      - .address_space:  global
        .offset:         80
        .size:           8
        .value_kind:     global_buffer
      - .offset:         88
        .size:           8
        .value_kind:     by_value
      - .offset:         96
        .size:           8
        .value_kind:     by_value
      - .offset:         104
        .size:           4
        .value_kind:     by_value
    .group_segment_fixed_size: 4096
    .kernarg_segment_align: 8
    .kernarg_segment_size: 108
    .language:       OpenCL C
    .language_version:
      - 2
      - 0
    .max_flat_workgroup_size: 256
    .name:           _ZL37rocblas_syrkx_herkx_restricted_kernelIl19rocblas_complex_numIfELi16ELi32ELi8ELb0ELb1ELc67ELc76EKPKS1_KPS1_EviT_T0_PT8_S7_lSA_S7_lS8_PT9_S7_li
    .private_segment_fixed_size: 0
    .sgpr_count:     32
    .sgpr_spill_count: 0
    .symbol:         _ZL37rocblas_syrkx_herkx_restricted_kernelIl19rocblas_complex_numIfELi16ELi32ELi8ELb0ELb1ELc67ELc76EKPKS1_KPS1_EviT_T0_PT8_S7_lSA_S7_lS8_PT9_S7_li.kd
    .uniform_work_group_size: 1
    .uses_dynamic_stack: false
    .vgpr_count:     41
    .vgpr_spill_count: 0
    .wavefront_size: 64
  - .args:
      - .offset:         0
        .size:           4
        .value_kind:     by_value
      - .offset:         8
        .size:           8
        .value_kind:     by_value
      - .offset:         16
        .size:           8
        .value_kind:     by_value
      - .address_space:  global
        .offset:         24
        .size:           8
        .value_kind:     global_buffer
      - .offset:         32
        .size:           8
        .value_kind:     by_value
      - .offset:         40
        .size:           8
        .value_kind:     by_value
      - .address_space:  global
        .offset:         48
        .size:           8
        .value_kind:     global_buffer
      - .offset:         56
        .size:           8
        .value_kind:     by_value
      - .offset:         64
        .size:           8
        .value_kind:     by_value
      - .offset:         72
        .size:           8
        .value_kind:     by_value
      - .address_space:  global
        .offset:         80
        .size:           8
        .value_kind:     global_buffer
      - .offset:         88
        .size:           8
        .value_kind:     by_value
      - .offset:         96
        .size:           8
        .value_kind:     by_value
      - .offset:         104
        .size:           4
        .value_kind:     by_value
    .group_segment_fixed_size: 4096
    .kernarg_segment_align: 8
    .kernarg_segment_size: 108
    .language:       OpenCL C
    .language_version:
      - 2
      - 0
    .max_flat_workgroup_size: 256
    .name:           _ZL37rocblas_syrkx_herkx_restricted_kernelIl19rocblas_complex_numIfELi16ELi32ELi8ELb0ELb1ELc78ELc76EKPKS1_KPS1_EviT_T0_PT8_S7_lSA_S7_lS8_PT9_S7_li
    .private_segment_fixed_size: 0
    .sgpr_count:     30
    .sgpr_spill_count: 0
    .symbol:         _ZL37rocblas_syrkx_herkx_restricted_kernelIl19rocblas_complex_numIfELi16ELi32ELi8ELb0ELb1ELc78ELc76EKPKS1_KPS1_EviT_T0_PT8_S7_lSA_S7_lS8_PT9_S7_li.kd
    .uniform_work_group_size: 1
    .uses_dynamic_stack: false
    .vgpr_count:     43
    .vgpr_spill_count: 0
    .wavefront_size: 64
  - .args:
      - .offset:         0
        .size:           4
        .value_kind:     by_value
      - .offset:         8
        .size:           8
        .value_kind:     by_value
      - .offset:         16
        .size:           8
        .value_kind:     by_value
      - .address_space:  global
        .offset:         24
        .size:           8
        .value_kind:     global_buffer
      - .offset:         32
        .size:           8
        .value_kind:     by_value
      - .offset:         40
        .size:           8
        .value_kind:     by_value
      - .address_space:  global
        .offset:         48
        .size:           8
        .value_kind:     global_buffer
      - .offset:         56
        .size:           8
        .value_kind:     by_value
      - .offset:         64
        .size:           8
        .value_kind:     by_value
      - .offset:         72
        .size:           8
        .value_kind:     by_value
      - .address_space:  global
        .offset:         80
        .size:           8
        .value_kind:     global_buffer
      - .offset:         88
        .size:           8
        .value_kind:     by_value
      - .offset:         96
        .size:           8
        .value_kind:     by_value
      - .offset:         104
        .size:           4
        .value_kind:     by_value
    .group_segment_fixed_size: 4096
    .kernarg_segment_align: 8
    .kernarg_segment_size: 108
    .language:       OpenCL C
    .language_version:
      - 2
      - 0
    .max_flat_workgroup_size: 256
    .name:           _ZL37rocblas_syrkx_herkx_restricted_kernelIl19rocblas_complex_numIfELi16ELi32ELi8ELb0ELb1ELc84ELc85EKPKS1_KPS1_EviT_T0_PT8_S7_lSA_S7_lS8_PT9_S7_li
    .private_segment_fixed_size: 0
    .sgpr_count:     32
    .sgpr_spill_count: 0
    .symbol:         _ZL37rocblas_syrkx_herkx_restricted_kernelIl19rocblas_complex_numIfELi16ELi32ELi8ELb0ELb1ELc84ELc85EKPKS1_KPS1_EviT_T0_PT8_S7_lSA_S7_lS8_PT9_S7_li.kd
    .uniform_work_group_size: 1
    .uses_dynamic_stack: false
    .vgpr_count:     41
    .vgpr_spill_count: 0
    .wavefront_size: 64
  - .args:
      - .offset:         0
        .size:           4
        .value_kind:     by_value
      - .offset:         8
        .size:           8
        .value_kind:     by_value
      - .offset:         16
        .size:           8
        .value_kind:     by_value
      - .address_space:  global
        .offset:         24
        .size:           8
        .value_kind:     global_buffer
      - .offset:         32
        .size:           8
        .value_kind:     by_value
      - .offset:         40
        .size:           8
        .value_kind:     by_value
      - .address_space:  global
        .offset:         48
        .size:           8
        .value_kind:     global_buffer
      - .offset:         56
        .size:           8
        .value_kind:     by_value
      - .offset:         64
        .size:           8
        .value_kind:     by_value
      - .offset:         72
        .size:           8
        .value_kind:     by_value
      - .address_space:  global
        .offset:         80
        .size:           8
        .value_kind:     global_buffer
      - .offset:         88
        .size:           8
        .value_kind:     by_value
      - .offset:         96
        .size:           8
        .value_kind:     by_value
      - .offset:         104
        .size:           4
        .value_kind:     by_value
    .group_segment_fixed_size: 4096
    .kernarg_segment_align: 8
    .kernarg_segment_size: 108
    .language:       OpenCL C
    .language_version:
      - 2
      - 0
    .max_flat_workgroup_size: 256
    .name:           _ZL37rocblas_syrkx_herkx_restricted_kernelIl19rocblas_complex_numIfELi16ELi32ELi8ELb0ELb1ELc67ELc85EKPKS1_KPS1_EviT_T0_PT8_S7_lSA_S7_lS8_PT9_S7_li
    .private_segment_fixed_size: 0
    .sgpr_count:     32
    .sgpr_spill_count: 0
    .symbol:         _ZL37rocblas_syrkx_herkx_restricted_kernelIl19rocblas_complex_numIfELi16ELi32ELi8ELb0ELb1ELc67ELc85EKPKS1_KPS1_EviT_T0_PT8_S7_lSA_S7_lS8_PT9_S7_li.kd
    .uniform_work_group_size: 1
    .uses_dynamic_stack: false
    .vgpr_count:     41
    .vgpr_spill_count: 0
    .wavefront_size: 64
  - .args:
      - .offset:         0
        .size:           4
        .value_kind:     by_value
      - .offset:         8
        .size:           8
        .value_kind:     by_value
      - .offset:         16
        .size:           8
        .value_kind:     by_value
      - .address_space:  global
        .offset:         24
        .size:           8
        .value_kind:     global_buffer
      - .offset:         32
        .size:           8
        .value_kind:     by_value
      - .offset:         40
        .size:           8
        .value_kind:     by_value
      - .address_space:  global
        .offset:         48
        .size:           8
        .value_kind:     global_buffer
      - .offset:         56
        .size:           8
        .value_kind:     by_value
      - .offset:         64
        .size:           8
        .value_kind:     by_value
      - .offset:         72
        .size:           8
        .value_kind:     by_value
      - .address_space:  global
        .offset:         80
        .size:           8
        .value_kind:     global_buffer
      - .offset:         88
        .size:           8
        .value_kind:     by_value
      - .offset:         96
        .size:           8
        .value_kind:     by_value
      - .offset:         104
        .size:           4
        .value_kind:     by_value
    .group_segment_fixed_size: 4096
    .kernarg_segment_align: 8
    .kernarg_segment_size: 108
    .language:       OpenCL C
    .language_version:
      - 2
      - 0
    .max_flat_workgroup_size: 256
    .name:           _ZL37rocblas_syrkx_herkx_restricted_kernelIl19rocblas_complex_numIfELi16ELi32ELi8ELb0ELb1ELc78ELc85EKPKS1_KPS1_EviT_T0_PT8_S7_lSA_S7_lS8_PT9_S7_li
    .private_segment_fixed_size: 0
    .sgpr_count:     30
    .sgpr_spill_count: 0
    .symbol:         _ZL37rocblas_syrkx_herkx_restricted_kernelIl19rocblas_complex_numIfELi16ELi32ELi8ELb0ELb1ELc78ELc85EKPKS1_KPS1_EviT_T0_PT8_S7_lSA_S7_lS8_PT9_S7_li.kd
    .uniform_work_group_size: 1
    .uses_dynamic_stack: false
    .vgpr_count:     43
    .vgpr_spill_count: 0
    .wavefront_size: 64
  - .args:
      - .offset:         0
        .size:           4
        .value_kind:     by_value
      - .offset:         8
        .size:           8
        .value_kind:     by_value
      - .offset:         16
        .size:           8
        .value_kind:     by_value
      - .address_space:  global
        .offset:         24
        .size:           8
        .value_kind:     global_buffer
      - .offset:         32
        .size:           8
        .value_kind:     by_value
      - .offset:         40
        .size:           8
        .value_kind:     by_value
      - .address_space:  global
        .offset:         48
        .size:           8
        .value_kind:     global_buffer
      - .offset:         56
        .size:           8
        .value_kind:     by_value
      - .offset:         64
        .size:           8
        .value_kind:     by_value
      - .offset:         72
        .size:           8
        .value_kind:     by_value
      - .address_space:  global
        .offset:         80
        .size:           8
        .value_kind:     global_buffer
      - .offset:         88
        .size:           8
        .value_kind:     by_value
      - .offset:         96
        .size:           8
        .value_kind:     by_value
      - .offset:         104
        .size:           4
        .value_kind:     by_value
    .group_segment_fixed_size: 4096
    .kernarg_segment_align: 8
    .kernarg_segment_size: 108
    .language:       OpenCL C
    .language_version:
      - 2
      - 0
    .max_flat_workgroup_size: 256
    .name:           _ZL41rocblas_syrkx_herkx_small_restrict_kernelIl19rocblas_complex_numIfELi16ELb1ELb1ELc84ELc76EKPKS1_KPS1_EviT_T0_PT6_S7_lSA_S7_lS8_PT7_S7_li
    .private_segment_fixed_size: 0
    .sgpr_count:     28
    .sgpr_spill_count: 0
    .symbol:         _ZL41rocblas_syrkx_herkx_small_restrict_kernelIl19rocblas_complex_numIfELi16ELb1ELb1ELc84ELc76EKPKS1_KPS1_EviT_T0_PT6_S7_lSA_S7_lS8_PT7_S7_li.kd
    .uniform_work_group_size: 1
    .uses_dynamic_stack: false
    .vgpr_count:     70
    .vgpr_spill_count: 0
    .wavefront_size: 64
  - .args:
      - .offset:         0
        .size:           4
        .value_kind:     by_value
      - .offset:         8
        .size:           8
        .value_kind:     by_value
      - .offset:         16
        .size:           8
        .value_kind:     by_value
      - .address_space:  global
        .offset:         24
        .size:           8
        .value_kind:     global_buffer
      - .offset:         32
        .size:           8
        .value_kind:     by_value
      - .offset:         40
        .size:           8
        .value_kind:     by_value
      - .address_space:  global
        .offset:         48
        .size:           8
        .value_kind:     global_buffer
      - .offset:         56
        .size:           8
        .value_kind:     by_value
      - .offset:         64
        .size:           8
        .value_kind:     by_value
      - .offset:         72
        .size:           8
        .value_kind:     by_value
      - .address_space:  global
        .offset:         80
        .size:           8
        .value_kind:     global_buffer
      - .offset:         88
        .size:           8
        .value_kind:     by_value
      - .offset:         96
        .size:           8
        .value_kind:     by_value
      - .offset:         104
        .size:           4
        .value_kind:     by_value
    .group_segment_fixed_size: 4096
    .kernarg_segment_align: 8
    .kernarg_segment_size: 108
    .language:       OpenCL C
    .language_version:
      - 2
      - 0
    .max_flat_workgroup_size: 256
    .name:           _ZL41rocblas_syrkx_herkx_small_restrict_kernelIl19rocblas_complex_numIfELi16ELb1ELb1ELc67ELc76EKPKS1_KPS1_EviT_T0_PT6_S7_lSA_S7_lS8_PT7_S7_li
    .private_segment_fixed_size: 0
    .sgpr_count:     28
    .sgpr_spill_count: 0
    .symbol:         _ZL41rocblas_syrkx_herkx_small_restrict_kernelIl19rocblas_complex_numIfELi16ELb1ELb1ELc67ELc76EKPKS1_KPS1_EviT_T0_PT6_S7_lSA_S7_lS8_PT7_S7_li.kd
    .uniform_work_group_size: 1
    .uses_dynamic_stack: false
    .vgpr_count:     70
    .vgpr_spill_count: 0
    .wavefront_size: 64
  - .args:
      - .offset:         0
        .size:           4
        .value_kind:     by_value
      - .offset:         8
        .size:           8
        .value_kind:     by_value
      - .offset:         16
        .size:           8
        .value_kind:     by_value
      - .address_space:  global
        .offset:         24
        .size:           8
        .value_kind:     global_buffer
      - .offset:         32
        .size:           8
        .value_kind:     by_value
      - .offset:         40
        .size:           8
        .value_kind:     by_value
      - .address_space:  global
        .offset:         48
        .size:           8
        .value_kind:     global_buffer
      - .offset:         56
        .size:           8
        .value_kind:     by_value
      - .offset:         64
        .size:           8
        .value_kind:     by_value
      - .offset:         72
        .size:           8
        .value_kind:     by_value
      - .address_space:  global
        .offset:         80
        .size:           8
        .value_kind:     global_buffer
      - .offset:         88
        .size:           8
        .value_kind:     by_value
      - .offset:         96
        .size:           8
        .value_kind:     by_value
      - .offset:         104
        .size:           4
        .value_kind:     by_value
    .group_segment_fixed_size: 4096
    .kernarg_segment_align: 8
    .kernarg_segment_size: 108
    .language:       OpenCL C
    .language_version:
      - 2
      - 0
    .max_flat_workgroup_size: 256
    .name:           _ZL41rocblas_syrkx_herkx_small_restrict_kernelIl19rocblas_complex_numIfELi16ELb1ELb1ELc78ELc76EKPKS1_KPS1_EviT_T0_PT6_S7_lSA_S7_lS8_PT7_S7_li
    .private_segment_fixed_size: 0
    .sgpr_count:     26
    .sgpr_spill_count: 0
    .symbol:         _ZL41rocblas_syrkx_herkx_small_restrict_kernelIl19rocblas_complex_numIfELi16ELb1ELb1ELc78ELc76EKPKS1_KPS1_EviT_T0_PT6_S7_lSA_S7_lS8_PT7_S7_li.kd
    .uniform_work_group_size: 1
    .uses_dynamic_stack: false
    .vgpr_count:     68
    .vgpr_spill_count: 0
    .wavefront_size: 64
  - .args:
      - .offset:         0
        .size:           4
        .value_kind:     by_value
      - .offset:         8
        .size:           8
        .value_kind:     by_value
      - .offset:         16
        .size:           8
        .value_kind:     by_value
      - .address_space:  global
        .offset:         24
        .size:           8
        .value_kind:     global_buffer
      - .offset:         32
        .size:           8
        .value_kind:     by_value
      - .offset:         40
        .size:           8
        .value_kind:     by_value
      - .address_space:  global
        .offset:         48
        .size:           8
        .value_kind:     global_buffer
      - .offset:         56
        .size:           8
        .value_kind:     by_value
      - .offset:         64
        .size:           8
        .value_kind:     by_value
      - .offset:         72
        .size:           8
        .value_kind:     by_value
      - .address_space:  global
        .offset:         80
        .size:           8
        .value_kind:     global_buffer
      - .offset:         88
        .size:           8
        .value_kind:     by_value
      - .offset:         96
        .size:           8
        .value_kind:     by_value
      - .offset:         104
        .size:           4
        .value_kind:     by_value
    .group_segment_fixed_size: 4096
    .kernarg_segment_align: 8
    .kernarg_segment_size: 108
    .language:       OpenCL C
    .language_version:
      - 2
      - 0
    .max_flat_workgroup_size: 256
    .name:           _ZL41rocblas_syrkx_herkx_small_restrict_kernelIl19rocblas_complex_numIfELi16ELb1ELb1ELc84ELc85EKPKS1_KPS1_EviT_T0_PT6_S7_lSA_S7_lS8_PT7_S7_li
    .private_segment_fixed_size: 0
    .sgpr_count:     28
    .sgpr_spill_count: 0
    .symbol:         _ZL41rocblas_syrkx_herkx_small_restrict_kernelIl19rocblas_complex_numIfELi16ELb1ELb1ELc84ELc85EKPKS1_KPS1_EviT_T0_PT6_S7_lSA_S7_lS8_PT7_S7_li.kd
    .uniform_work_group_size: 1
    .uses_dynamic_stack: false
    .vgpr_count:     70
    .vgpr_spill_count: 0
    .wavefront_size: 64
  - .args:
      - .offset:         0
        .size:           4
        .value_kind:     by_value
      - .offset:         8
        .size:           8
        .value_kind:     by_value
      - .offset:         16
        .size:           8
        .value_kind:     by_value
      - .address_space:  global
        .offset:         24
        .size:           8
        .value_kind:     global_buffer
      - .offset:         32
        .size:           8
        .value_kind:     by_value
      - .offset:         40
        .size:           8
        .value_kind:     by_value
      - .address_space:  global
        .offset:         48
        .size:           8
        .value_kind:     global_buffer
      - .offset:         56
        .size:           8
        .value_kind:     by_value
      - .offset:         64
        .size:           8
        .value_kind:     by_value
      - .offset:         72
        .size:           8
        .value_kind:     by_value
      - .address_space:  global
        .offset:         80
        .size:           8
        .value_kind:     global_buffer
      - .offset:         88
        .size:           8
        .value_kind:     by_value
      - .offset:         96
        .size:           8
        .value_kind:     by_value
      - .offset:         104
        .size:           4
        .value_kind:     by_value
    .group_segment_fixed_size: 4096
    .kernarg_segment_align: 8
    .kernarg_segment_size: 108
    .language:       OpenCL C
    .language_version:
      - 2
      - 0
    .max_flat_workgroup_size: 256
    .name:           _ZL41rocblas_syrkx_herkx_small_restrict_kernelIl19rocblas_complex_numIfELi16ELb1ELb1ELc67ELc85EKPKS1_KPS1_EviT_T0_PT6_S7_lSA_S7_lS8_PT7_S7_li
    .private_segment_fixed_size: 0
    .sgpr_count:     28
    .sgpr_spill_count: 0
    .symbol:         _ZL41rocblas_syrkx_herkx_small_restrict_kernelIl19rocblas_complex_numIfELi16ELb1ELb1ELc67ELc85EKPKS1_KPS1_EviT_T0_PT6_S7_lSA_S7_lS8_PT7_S7_li.kd
    .uniform_work_group_size: 1
    .uses_dynamic_stack: false
    .vgpr_count:     70
    .vgpr_spill_count: 0
    .wavefront_size: 64
  - .args:
      - .offset:         0
        .size:           4
        .value_kind:     by_value
      - .offset:         8
        .size:           8
        .value_kind:     by_value
      - .offset:         16
        .size:           8
        .value_kind:     by_value
      - .address_space:  global
        .offset:         24
        .size:           8
        .value_kind:     global_buffer
      - .offset:         32
        .size:           8
        .value_kind:     by_value
      - .offset:         40
        .size:           8
        .value_kind:     by_value
      - .address_space:  global
        .offset:         48
        .size:           8
        .value_kind:     global_buffer
      - .offset:         56
        .size:           8
        .value_kind:     by_value
      - .offset:         64
        .size:           8
        .value_kind:     by_value
      - .offset:         72
        .size:           8
        .value_kind:     by_value
      - .address_space:  global
        .offset:         80
        .size:           8
        .value_kind:     global_buffer
      - .offset:         88
        .size:           8
        .value_kind:     by_value
      - .offset:         96
        .size:           8
        .value_kind:     by_value
      - .offset:         104
        .size:           4
        .value_kind:     by_value
    .group_segment_fixed_size: 4096
    .kernarg_segment_align: 8
    .kernarg_segment_size: 108
    .language:       OpenCL C
    .language_version:
      - 2
      - 0
    .max_flat_workgroup_size: 256
    .name:           _ZL41rocblas_syrkx_herkx_small_restrict_kernelIl19rocblas_complex_numIfELi16ELb1ELb1ELc78ELc85EKPKS1_KPS1_EviT_T0_PT6_S7_lSA_S7_lS8_PT7_S7_li
    .private_segment_fixed_size: 0
    .sgpr_count:     26
    .sgpr_spill_count: 0
    .symbol:         _ZL41rocblas_syrkx_herkx_small_restrict_kernelIl19rocblas_complex_numIfELi16ELb1ELb1ELc78ELc85EKPKS1_KPS1_EviT_T0_PT6_S7_lSA_S7_lS8_PT7_S7_li.kd
    .uniform_work_group_size: 1
    .uses_dynamic_stack: false
    .vgpr_count:     68
    .vgpr_spill_count: 0
    .wavefront_size: 64
  - .args:
      - .offset:         0
        .size:           4
        .value_kind:     by_value
      - .offset:         8
        .size:           8
        .value_kind:     by_value
      - .offset:         16
        .size:           8
        .value_kind:     by_value
      - .address_space:  global
        .offset:         24
        .size:           8
        .value_kind:     global_buffer
      - .offset:         32
        .size:           8
        .value_kind:     by_value
      - .offset:         40
        .size:           8
        .value_kind:     by_value
      - .address_space:  global
        .offset:         48
        .size:           8
        .value_kind:     global_buffer
      - .offset:         56
        .size:           8
        .value_kind:     by_value
      - .offset:         64
        .size:           8
        .value_kind:     by_value
      - .offset:         72
        .size:           8
        .value_kind:     by_value
      - .address_space:  global
        .offset:         80
        .size:           8
        .value_kind:     global_buffer
      - .offset:         88
        .size:           8
        .value_kind:     by_value
      - .offset:         96
        .size:           8
        .value_kind:     by_value
      - .offset:         104
        .size:           4
        .value_kind:     by_value
    .group_segment_fixed_size: 4096
    .kernarg_segment_align: 8
    .kernarg_segment_size: 108
    .language:       OpenCL C
    .language_version:
      - 2
      - 0
    .max_flat_workgroup_size: 256
    .name:           _ZL41rocblas_syrkx_herkx_small_restrict_kernelIl19rocblas_complex_numIfELi16ELb0ELb1ELc84ELc76EKPKS1_KPS1_EviT_T0_PT6_S7_lSA_S7_lS8_PT7_S7_li
    .private_segment_fixed_size: 0
    .sgpr_count:     28
    .sgpr_spill_count: 0
    .symbol:         _ZL41rocblas_syrkx_herkx_small_restrict_kernelIl19rocblas_complex_numIfELi16ELb0ELb1ELc84ELc76EKPKS1_KPS1_EviT_T0_PT6_S7_lSA_S7_lS8_PT7_S7_li.kd
    .uniform_work_group_size: 1
    .uses_dynamic_stack: false
    .vgpr_count:     70
    .vgpr_spill_count: 0
    .wavefront_size: 64
  - .args:
      - .offset:         0
        .size:           4
        .value_kind:     by_value
      - .offset:         8
        .size:           8
        .value_kind:     by_value
      - .offset:         16
        .size:           8
        .value_kind:     by_value
      - .address_space:  global
        .offset:         24
        .size:           8
        .value_kind:     global_buffer
      - .offset:         32
        .size:           8
        .value_kind:     by_value
      - .offset:         40
        .size:           8
        .value_kind:     by_value
      - .address_space:  global
        .offset:         48
        .size:           8
        .value_kind:     global_buffer
      - .offset:         56
        .size:           8
        .value_kind:     by_value
      - .offset:         64
        .size:           8
        .value_kind:     by_value
      - .offset:         72
        .size:           8
        .value_kind:     by_value
      - .address_space:  global
        .offset:         80
        .size:           8
        .value_kind:     global_buffer
      - .offset:         88
        .size:           8
        .value_kind:     by_value
      - .offset:         96
        .size:           8
        .value_kind:     by_value
      - .offset:         104
        .size:           4
        .value_kind:     by_value
    .group_segment_fixed_size: 4096
    .kernarg_segment_align: 8
    .kernarg_segment_size: 108
    .language:       OpenCL C
    .language_version:
      - 2
      - 0
    .max_flat_workgroup_size: 256
    .name:           _ZL41rocblas_syrkx_herkx_small_restrict_kernelIl19rocblas_complex_numIfELi16ELb0ELb1ELc67ELc76EKPKS1_KPS1_EviT_T0_PT6_S7_lSA_S7_lS8_PT7_S7_li
    .private_segment_fixed_size: 0
    .sgpr_count:     28
    .sgpr_spill_count: 0
    .symbol:         _ZL41rocblas_syrkx_herkx_small_restrict_kernelIl19rocblas_complex_numIfELi16ELb0ELb1ELc67ELc76EKPKS1_KPS1_EviT_T0_PT6_S7_lSA_S7_lS8_PT7_S7_li.kd
    .uniform_work_group_size: 1
    .uses_dynamic_stack: false
    .vgpr_count:     70
    .vgpr_spill_count: 0
    .wavefront_size: 64
  - .args:
      - .offset:         0
        .size:           4
        .value_kind:     by_value
      - .offset:         8
        .size:           8
        .value_kind:     by_value
      - .offset:         16
        .size:           8
        .value_kind:     by_value
      - .address_space:  global
        .offset:         24
        .size:           8
        .value_kind:     global_buffer
      - .offset:         32
        .size:           8
        .value_kind:     by_value
      - .offset:         40
        .size:           8
        .value_kind:     by_value
      - .address_space:  global
        .offset:         48
        .size:           8
        .value_kind:     global_buffer
      - .offset:         56
        .size:           8
        .value_kind:     by_value
      - .offset:         64
        .size:           8
        .value_kind:     by_value
      - .offset:         72
        .size:           8
        .value_kind:     by_value
      - .address_space:  global
        .offset:         80
        .size:           8
        .value_kind:     global_buffer
      - .offset:         88
        .size:           8
        .value_kind:     by_value
      - .offset:         96
        .size:           8
        .value_kind:     by_value
      - .offset:         104
        .size:           4
        .value_kind:     by_value
    .group_segment_fixed_size: 4096
    .kernarg_segment_align: 8
    .kernarg_segment_size: 108
    .language:       OpenCL C
    .language_version:
      - 2
      - 0
    .max_flat_workgroup_size: 256
    .name:           _ZL41rocblas_syrkx_herkx_small_restrict_kernelIl19rocblas_complex_numIfELi16ELb0ELb1ELc78ELc76EKPKS1_KPS1_EviT_T0_PT6_S7_lSA_S7_lS8_PT7_S7_li
    .private_segment_fixed_size: 0
    .sgpr_count:     30
    .sgpr_spill_count: 0
    .symbol:         _ZL41rocblas_syrkx_herkx_small_restrict_kernelIl19rocblas_complex_numIfELi16ELb0ELb1ELc78ELc76EKPKS1_KPS1_EviT_T0_PT6_S7_lSA_S7_lS8_PT7_S7_li.kd
    .uniform_work_group_size: 1
    .uses_dynamic_stack: false
    .vgpr_count:     68
    .vgpr_spill_count: 0
    .wavefront_size: 64
  - .args:
      - .offset:         0
        .size:           4
        .value_kind:     by_value
      - .offset:         8
        .size:           8
        .value_kind:     by_value
      - .offset:         16
        .size:           8
        .value_kind:     by_value
      - .address_space:  global
        .offset:         24
        .size:           8
        .value_kind:     global_buffer
      - .offset:         32
        .size:           8
        .value_kind:     by_value
      - .offset:         40
        .size:           8
        .value_kind:     by_value
      - .address_space:  global
        .offset:         48
        .size:           8
        .value_kind:     global_buffer
      - .offset:         56
        .size:           8
        .value_kind:     by_value
      - .offset:         64
        .size:           8
        .value_kind:     by_value
      - .offset:         72
        .size:           8
        .value_kind:     by_value
      - .address_space:  global
        .offset:         80
        .size:           8
        .value_kind:     global_buffer
      - .offset:         88
        .size:           8
        .value_kind:     by_value
      - .offset:         96
        .size:           8
        .value_kind:     by_value
      - .offset:         104
        .size:           4
        .value_kind:     by_value
    .group_segment_fixed_size: 4096
    .kernarg_segment_align: 8
    .kernarg_segment_size: 108
    .language:       OpenCL C
    .language_version:
      - 2
      - 0
    .max_flat_workgroup_size: 256
    .name:           _ZL41rocblas_syrkx_herkx_small_restrict_kernelIl19rocblas_complex_numIfELi16ELb0ELb1ELc84ELc85EKPKS1_KPS1_EviT_T0_PT6_S7_lSA_S7_lS8_PT7_S7_li
    .private_segment_fixed_size: 0
    .sgpr_count:     28
    .sgpr_spill_count: 0
    .symbol:         _ZL41rocblas_syrkx_herkx_small_restrict_kernelIl19rocblas_complex_numIfELi16ELb0ELb1ELc84ELc85EKPKS1_KPS1_EviT_T0_PT6_S7_lSA_S7_lS8_PT7_S7_li.kd
    .uniform_work_group_size: 1
    .uses_dynamic_stack: false
    .vgpr_count:     70
    .vgpr_spill_count: 0
    .wavefront_size: 64
  - .args:
      - .offset:         0
        .size:           4
        .value_kind:     by_value
      - .offset:         8
        .size:           8
        .value_kind:     by_value
      - .offset:         16
        .size:           8
        .value_kind:     by_value
      - .address_space:  global
        .offset:         24
        .size:           8
        .value_kind:     global_buffer
      - .offset:         32
        .size:           8
        .value_kind:     by_value
      - .offset:         40
        .size:           8
        .value_kind:     by_value
      - .address_space:  global
        .offset:         48
        .size:           8
        .value_kind:     global_buffer
      - .offset:         56
        .size:           8
        .value_kind:     by_value
      - .offset:         64
        .size:           8
        .value_kind:     by_value
      - .offset:         72
        .size:           8
        .value_kind:     by_value
      - .address_space:  global
        .offset:         80
        .size:           8
        .value_kind:     global_buffer
      - .offset:         88
        .size:           8
        .value_kind:     by_value
      - .offset:         96
        .size:           8
        .value_kind:     by_value
      - .offset:         104
        .size:           4
        .value_kind:     by_value
    .group_segment_fixed_size: 4096
    .kernarg_segment_align: 8
    .kernarg_segment_size: 108
    .language:       OpenCL C
    .language_version:
      - 2
      - 0
    .max_flat_workgroup_size: 256
    .name:           _ZL41rocblas_syrkx_herkx_small_restrict_kernelIl19rocblas_complex_numIfELi16ELb0ELb1ELc67ELc85EKPKS1_KPS1_EviT_T0_PT6_S7_lSA_S7_lS8_PT7_S7_li
    .private_segment_fixed_size: 0
    .sgpr_count:     28
    .sgpr_spill_count: 0
    .symbol:         _ZL41rocblas_syrkx_herkx_small_restrict_kernelIl19rocblas_complex_numIfELi16ELb0ELb1ELc67ELc85EKPKS1_KPS1_EviT_T0_PT6_S7_lSA_S7_lS8_PT7_S7_li.kd
    .uniform_work_group_size: 1
    .uses_dynamic_stack: false
    .vgpr_count:     70
    .vgpr_spill_count: 0
    .wavefront_size: 64
  - .args:
      - .offset:         0
        .size:           4
        .value_kind:     by_value
      - .offset:         8
        .size:           8
        .value_kind:     by_value
      - .offset:         16
        .size:           8
        .value_kind:     by_value
      - .address_space:  global
        .offset:         24
        .size:           8
        .value_kind:     global_buffer
      - .offset:         32
        .size:           8
        .value_kind:     by_value
      - .offset:         40
        .size:           8
        .value_kind:     by_value
      - .address_space:  global
        .offset:         48
        .size:           8
        .value_kind:     global_buffer
      - .offset:         56
        .size:           8
        .value_kind:     by_value
      - .offset:         64
        .size:           8
        .value_kind:     by_value
      - .offset:         72
        .size:           8
        .value_kind:     by_value
      - .address_space:  global
        .offset:         80
        .size:           8
        .value_kind:     global_buffer
      - .offset:         88
        .size:           8
        .value_kind:     by_value
      - .offset:         96
        .size:           8
        .value_kind:     by_value
      - .offset:         104
        .size:           4
        .value_kind:     by_value
    .group_segment_fixed_size: 4096
    .kernarg_segment_align: 8
    .kernarg_segment_size: 108
    .language:       OpenCL C
    .language_version:
      - 2
      - 0
    .max_flat_workgroup_size: 256
    .name:           _ZL41rocblas_syrkx_herkx_small_restrict_kernelIl19rocblas_complex_numIfELi16ELb0ELb1ELc78ELc85EKPKS1_KPS1_EviT_T0_PT6_S7_lSA_S7_lS8_PT7_S7_li
    .private_segment_fixed_size: 0
    .sgpr_count:     30
    .sgpr_spill_count: 0
    .symbol:         _ZL41rocblas_syrkx_herkx_small_restrict_kernelIl19rocblas_complex_numIfELi16ELb0ELb1ELc78ELc85EKPKS1_KPS1_EviT_T0_PT6_S7_lSA_S7_lS8_PT7_S7_li.kd
    .uniform_work_group_size: 1
    .uses_dynamic_stack: false
    .vgpr_count:     68
    .vgpr_spill_count: 0
    .wavefront_size: 64
  - .args:
      - .offset:         0
        .size:           4
        .value_kind:     by_value
      - .offset:         8
        .size:           8
        .value_kind:     by_value
      - .offset:         16
        .size:           8
        .value_kind:     by_value
      - .address_space:  global
        .offset:         24
        .size:           8
        .value_kind:     global_buffer
      - .offset:         32
        .size:           8
        .value_kind:     by_value
      - .offset:         40
        .size:           8
        .value_kind:     by_value
      - .address_space:  global
        .offset:         48
        .size:           8
        .value_kind:     global_buffer
      - .offset:         56
        .size:           8
        .value_kind:     by_value
      - .offset:         64
        .size:           8
        .value_kind:     by_value
      - .offset:         72
        .size:           8
        .value_kind:     by_value
      - .address_space:  global
        .offset:         80
        .size:           8
        .value_kind:     global_buffer
      - .offset:         88
        .size:           8
        .value_kind:     by_value
      - .offset:         96
        .size:           8
        .value_kind:     by_value
      - .offset:         104
        .size:           4
        .value_kind:     by_value
    .group_segment_fixed_size: 4096
    .kernarg_segment_align: 8
    .kernarg_segment_size: 108
    .language:       OpenCL C
    .language_version:
      - 2
      - 0
    .max_flat_workgroup_size: 256
    .name:           _ZL32rocblas_syrkx_herkx_small_kernelIl19rocblas_complex_numIfELi16ELb1ELb1ELc84ELc76EKPKS1_KPS1_EviT_T0_PT6_S7_lSA_S7_lS8_PT7_S7_li
    .private_segment_fixed_size: 0
    .sgpr_count:     28
    .sgpr_spill_count: 0
    .symbol:         _ZL32rocblas_syrkx_herkx_small_kernelIl19rocblas_complex_numIfELi16ELb1ELb1ELc84ELc76EKPKS1_KPS1_EviT_T0_PT6_S7_lSA_S7_lS8_PT7_S7_li.kd
    .uniform_work_group_size: 1
    .uses_dynamic_stack: false
    .vgpr_count:     56
    .vgpr_spill_count: 0
    .wavefront_size: 64
  - .args:
      - .offset:         0
        .size:           4
        .value_kind:     by_value
      - .offset:         8
        .size:           8
        .value_kind:     by_value
      - .offset:         16
        .size:           8
        .value_kind:     by_value
      - .address_space:  global
        .offset:         24
        .size:           8
        .value_kind:     global_buffer
      - .offset:         32
        .size:           8
        .value_kind:     by_value
      - .offset:         40
        .size:           8
        .value_kind:     by_value
      - .address_space:  global
        .offset:         48
        .size:           8
        .value_kind:     global_buffer
      - .offset:         56
        .size:           8
        .value_kind:     by_value
      - .offset:         64
        .size:           8
        .value_kind:     by_value
      - .offset:         72
        .size:           8
        .value_kind:     by_value
      - .address_space:  global
        .offset:         80
        .size:           8
        .value_kind:     global_buffer
      - .offset:         88
        .size:           8
        .value_kind:     by_value
      - .offset:         96
        .size:           8
        .value_kind:     by_value
      - .offset:         104
        .size:           4
        .value_kind:     by_value
    .group_segment_fixed_size: 4096
    .kernarg_segment_align: 8
    .kernarg_segment_size: 108
    .language:       OpenCL C
    .language_version:
      - 2
      - 0
    .max_flat_workgroup_size: 256
    .name:           _ZL32rocblas_syrkx_herkx_small_kernelIl19rocblas_complex_numIfELi16ELb1ELb1ELc67ELc76EKPKS1_KPS1_EviT_T0_PT6_S7_lSA_S7_lS8_PT7_S7_li
    .private_segment_fixed_size: 0
    .sgpr_count:     28
    .sgpr_spill_count: 0
    .symbol:         _ZL32rocblas_syrkx_herkx_small_kernelIl19rocblas_complex_numIfELi16ELb1ELb1ELc67ELc76EKPKS1_KPS1_EviT_T0_PT6_S7_lSA_S7_lS8_PT7_S7_li.kd
    .uniform_work_group_size: 1
    .uses_dynamic_stack: false
    .vgpr_count:     56
    .vgpr_spill_count: 0
    .wavefront_size: 64
  - .args:
      - .offset:         0
        .size:           4
        .value_kind:     by_value
      - .offset:         8
        .size:           8
        .value_kind:     by_value
      - .offset:         16
        .size:           8
        .value_kind:     by_value
      - .address_space:  global
        .offset:         24
        .size:           8
        .value_kind:     global_buffer
      - .offset:         32
        .size:           8
        .value_kind:     by_value
      - .offset:         40
        .size:           8
        .value_kind:     by_value
      - .address_space:  global
        .offset:         48
        .size:           8
        .value_kind:     global_buffer
      - .offset:         56
        .size:           8
        .value_kind:     by_value
      - .offset:         64
        .size:           8
        .value_kind:     by_value
      - .offset:         72
        .size:           8
        .value_kind:     by_value
      - .address_space:  global
        .offset:         80
        .size:           8
        .value_kind:     global_buffer
      - .offset:         88
        .size:           8
        .value_kind:     by_value
      - .offset:         96
        .size:           8
        .value_kind:     by_value
      - .offset:         104
        .size:           4
        .value_kind:     by_value
    .group_segment_fixed_size: 4096
    .kernarg_segment_align: 8
    .kernarg_segment_size: 108
    .language:       OpenCL C
    .language_version:
      - 2
      - 0
    .max_flat_workgroup_size: 256
    .name:           _ZL32rocblas_syrkx_herkx_small_kernelIl19rocblas_complex_numIfELi16ELb1ELb1ELc78ELc76EKPKS1_KPS1_EviT_T0_PT6_S7_lSA_S7_lS8_PT7_S7_li
    .private_segment_fixed_size: 0
    .sgpr_count:     29
    .sgpr_spill_count: 0
    .symbol:         _ZL32rocblas_syrkx_herkx_small_kernelIl19rocblas_complex_numIfELi16ELb1ELb1ELc78ELc76EKPKS1_KPS1_EviT_T0_PT6_S7_lSA_S7_lS8_PT7_S7_li.kd
    .uniform_work_group_size: 1
    .uses_dynamic_stack: false
    .vgpr_count:     62
    .vgpr_spill_count: 0
    .wavefront_size: 64
  - .args:
      - .offset:         0
        .size:           4
        .value_kind:     by_value
      - .offset:         8
        .size:           8
        .value_kind:     by_value
      - .offset:         16
        .size:           8
        .value_kind:     by_value
      - .address_space:  global
        .offset:         24
        .size:           8
        .value_kind:     global_buffer
      - .offset:         32
        .size:           8
        .value_kind:     by_value
      - .offset:         40
        .size:           8
        .value_kind:     by_value
      - .address_space:  global
        .offset:         48
        .size:           8
        .value_kind:     global_buffer
      - .offset:         56
        .size:           8
        .value_kind:     by_value
      - .offset:         64
        .size:           8
        .value_kind:     by_value
      - .offset:         72
        .size:           8
        .value_kind:     by_value
      - .address_space:  global
        .offset:         80
        .size:           8
        .value_kind:     global_buffer
      - .offset:         88
        .size:           8
        .value_kind:     by_value
      - .offset:         96
        .size:           8
        .value_kind:     by_value
      - .offset:         104
        .size:           4
        .value_kind:     by_value
    .group_segment_fixed_size: 4096
    .kernarg_segment_align: 8
    .kernarg_segment_size: 108
    .language:       OpenCL C
    .language_version:
      - 2
      - 0
    .max_flat_workgroup_size: 256
    .name:           _ZL32rocblas_syrkx_herkx_small_kernelIl19rocblas_complex_numIfELi16ELb1ELb1ELc84ELc85EKPKS1_KPS1_EviT_T0_PT6_S7_lSA_S7_lS8_PT7_S7_li
    .private_segment_fixed_size: 0
    .sgpr_count:     28
    .sgpr_spill_count: 0
    .symbol:         _ZL32rocblas_syrkx_herkx_small_kernelIl19rocblas_complex_numIfELi16ELb1ELb1ELc84ELc85EKPKS1_KPS1_EviT_T0_PT6_S7_lSA_S7_lS8_PT7_S7_li.kd
    .uniform_work_group_size: 1
    .uses_dynamic_stack: false
    .vgpr_count:     56
    .vgpr_spill_count: 0
    .wavefront_size: 64
  - .args:
      - .offset:         0
        .size:           4
        .value_kind:     by_value
      - .offset:         8
        .size:           8
        .value_kind:     by_value
      - .offset:         16
        .size:           8
        .value_kind:     by_value
      - .address_space:  global
        .offset:         24
        .size:           8
        .value_kind:     global_buffer
      - .offset:         32
        .size:           8
        .value_kind:     by_value
      - .offset:         40
        .size:           8
        .value_kind:     by_value
      - .address_space:  global
        .offset:         48
        .size:           8
        .value_kind:     global_buffer
      - .offset:         56
        .size:           8
        .value_kind:     by_value
      - .offset:         64
        .size:           8
        .value_kind:     by_value
      - .offset:         72
        .size:           8
        .value_kind:     by_value
      - .address_space:  global
        .offset:         80
        .size:           8
        .value_kind:     global_buffer
      - .offset:         88
        .size:           8
        .value_kind:     by_value
      - .offset:         96
        .size:           8
        .value_kind:     by_value
      - .offset:         104
        .size:           4
        .value_kind:     by_value
    .group_segment_fixed_size: 4096
    .kernarg_segment_align: 8
    .kernarg_segment_size: 108
    .language:       OpenCL C
    .language_version:
      - 2
      - 0
    .max_flat_workgroup_size: 256
    .name:           _ZL32rocblas_syrkx_herkx_small_kernelIl19rocblas_complex_numIfELi16ELb1ELb1ELc67ELc85EKPKS1_KPS1_EviT_T0_PT6_S7_lSA_S7_lS8_PT7_S7_li
    .private_segment_fixed_size: 0
    .sgpr_count:     28
    .sgpr_spill_count: 0
    .symbol:         _ZL32rocblas_syrkx_herkx_small_kernelIl19rocblas_complex_numIfELi16ELb1ELb1ELc67ELc85EKPKS1_KPS1_EviT_T0_PT6_S7_lSA_S7_lS8_PT7_S7_li.kd
    .uniform_work_group_size: 1
    .uses_dynamic_stack: false
    .vgpr_count:     56
    .vgpr_spill_count: 0
    .wavefront_size: 64
  - .args:
      - .offset:         0
        .size:           4
        .value_kind:     by_value
      - .offset:         8
        .size:           8
        .value_kind:     by_value
      - .offset:         16
        .size:           8
        .value_kind:     by_value
      - .address_space:  global
        .offset:         24
        .size:           8
        .value_kind:     global_buffer
      - .offset:         32
        .size:           8
        .value_kind:     by_value
      - .offset:         40
        .size:           8
        .value_kind:     by_value
      - .address_space:  global
        .offset:         48
        .size:           8
        .value_kind:     global_buffer
      - .offset:         56
        .size:           8
        .value_kind:     by_value
      - .offset:         64
        .size:           8
        .value_kind:     by_value
      - .offset:         72
        .size:           8
        .value_kind:     by_value
      - .address_space:  global
        .offset:         80
        .size:           8
        .value_kind:     global_buffer
      - .offset:         88
        .size:           8
        .value_kind:     by_value
      - .offset:         96
        .size:           8
        .value_kind:     by_value
      - .offset:         104
        .size:           4
        .value_kind:     by_value
    .group_segment_fixed_size: 4096
    .kernarg_segment_align: 8
    .kernarg_segment_size: 108
    .language:       OpenCL C
    .language_version:
      - 2
      - 0
    .max_flat_workgroup_size: 256
    .name:           _ZL32rocblas_syrkx_herkx_small_kernelIl19rocblas_complex_numIfELi16ELb1ELb1ELc78ELc85EKPKS1_KPS1_EviT_T0_PT6_S7_lSA_S7_lS8_PT7_S7_li
    .private_segment_fixed_size: 0
    .sgpr_count:     29
    .sgpr_spill_count: 0
    .symbol:         _ZL32rocblas_syrkx_herkx_small_kernelIl19rocblas_complex_numIfELi16ELb1ELb1ELc78ELc85EKPKS1_KPS1_EviT_T0_PT6_S7_lSA_S7_lS8_PT7_S7_li.kd
    .uniform_work_group_size: 1
    .uses_dynamic_stack: false
    .vgpr_count:     62
    .vgpr_spill_count: 0
    .wavefront_size: 64
  - .args:
      - .offset:         0
        .size:           4
        .value_kind:     by_value
      - .offset:         8
        .size:           8
        .value_kind:     by_value
      - .offset:         16
        .size:           8
        .value_kind:     by_value
      - .address_space:  global
        .offset:         24
        .size:           8
        .value_kind:     global_buffer
      - .offset:         32
        .size:           8
        .value_kind:     by_value
      - .offset:         40
        .size:           8
        .value_kind:     by_value
      - .address_space:  global
        .offset:         48
        .size:           8
        .value_kind:     global_buffer
      - .offset:         56
        .size:           8
        .value_kind:     by_value
      - .offset:         64
        .size:           8
        .value_kind:     by_value
      - .offset:         72
        .size:           8
        .value_kind:     by_value
      - .address_space:  global
        .offset:         80
        .size:           8
        .value_kind:     global_buffer
      - .offset:         88
        .size:           8
        .value_kind:     by_value
      - .offset:         96
        .size:           8
        .value_kind:     by_value
      - .offset:         104
        .size:           4
        .value_kind:     by_value
    .group_segment_fixed_size: 4096
    .kernarg_segment_align: 8
    .kernarg_segment_size: 108
    .language:       OpenCL C
    .language_version:
      - 2
      - 0
    .max_flat_workgroup_size: 256
    .name:           _ZL32rocblas_syrkx_herkx_small_kernelIl19rocblas_complex_numIfELi16ELb0ELb1ELc84ELc76EKPKS1_KPS1_EviT_T0_PT6_S7_lSA_S7_lS8_PT7_S7_li
    .private_segment_fixed_size: 0
    .sgpr_count:     29
    .sgpr_spill_count: 0
    .symbol:         _ZL32rocblas_syrkx_herkx_small_kernelIl19rocblas_complex_numIfELi16ELb0ELb1ELc84ELc76EKPKS1_KPS1_EviT_T0_PT6_S7_lSA_S7_lS8_PT7_S7_li.kd
    .uniform_work_group_size: 1
    .uses_dynamic_stack: false
    .vgpr_count:     56
    .vgpr_spill_count: 0
    .wavefront_size: 64
  - .args:
      - .offset:         0
        .size:           4
        .value_kind:     by_value
      - .offset:         8
        .size:           8
        .value_kind:     by_value
      - .offset:         16
        .size:           8
        .value_kind:     by_value
      - .address_space:  global
        .offset:         24
        .size:           8
        .value_kind:     global_buffer
      - .offset:         32
        .size:           8
        .value_kind:     by_value
      - .offset:         40
        .size:           8
        .value_kind:     by_value
      - .address_space:  global
        .offset:         48
        .size:           8
        .value_kind:     global_buffer
      - .offset:         56
        .size:           8
        .value_kind:     by_value
      - .offset:         64
        .size:           8
        .value_kind:     by_value
      - .offset:         72
        .size:           8
        .value_kind:     by_value
      - .address_space:  global
        .offset:         80
        .size:           8
        .value_kind:     global_buffer
      - .offset:         88
        .size:           8
        .value_kind:     by_value
      - .offset:         96
        .size:           8
        .value_kind:     by_value
      - .offset:         104
        .size:           4
        .value_kind:     by_value
    .group_segment_fixed_size: 4096
    .kernarg_segment_align: 8
    .kernarg_segment_size: 108
    .language:       OpenCL C
    .language_version:
      - 2
      - 0
    .max_flat_workgroup_size: 256
    .name:           _ZL32rocblas_syrkx_herkx_small_kernelIl19rocblas_complex_numIfELi16ELb0ELb1ELc67ELc76EKPKS1_KPS1_EviT_T0_PT6_S7_lSA_S7_lS8_PT7_S7_li
    .private_segment_fixed_size: 0
    .sgpr_count:     29
    .sgpr_spill_count: 0
    .symbol:         _ZL32rocblas_syrkx_herkx_small_kernelIl19rocblas_complex_numIfELi16ELb0ELb1ELc67ELc76EKPKS1_KPS1_EviT_T0_PT6_S7_lSA_S7_lS8_PT7_S7_li.kd
    .uniform_work_group_size: 1
    .uses_dynamic_stack: false
    .vgpr_count:     56
    .vgpr_spill_count: 0
    .wavefront_size: 64
  - .args:
      - .offset:         0
        .size:           4
        .value_kind:     by_value
      - .offset:         8
        .size:           8
        .value_kind:     by_value
      - .offset:         16
        .size:           8
        .value_kind:     by_value
      - .address_space:  global
        .offset:         24
        .size:           8
        .value_kind:     global_buffer
      - .offset:         32
        .size:           8
        .value_kind:     by_value
      - .offset:         40
        .size:           8
        .value_kind:     by_value
      - .address_space:  global
        .offset:         48
        .size:           8
        .value_kind:     global_buffer
      - .offset:         56
        .size:           8
        .value_kind:     by_value
      - .offset:         64
        .size:           8
        .value_kind:     by_value
      - .offset:         72
        .size:           8
        .value_kind:     by_value
      - .address_space:  global
        .offset:         80
        .size:           8
        .value_kind:     global_buffer
      - .offset:         88
        .size:           8
        .value_kind:     by_value
      - .offset:         96
        .size:           8
        .value_kind:     by_value
      - .offset:         104
        .size:           4
        .value_kind:     by_value
    .group_segment_fixed_size: 4096
    .kernarg_segment_align: 8
    .kernarg_segment_size: 108
    .language:       OpenCL C
    .language_version:
      - 2
      - 0
    .max_flat_workgroup_size: 256
    .name:           _ZL32rocblas_syrkx_herkx_small_kernelIl19rocblas_complex_numIfELi16ELb0ELb1ELc78ELc76EKPKS1_KPS1_EviT_T0_PT6_S7_lSA_S7_lS8_PT7_S7_li
    .private_segment_fixed_size: 0
    .sgpr_count:     29
    .sgpr_spill_count: 0
    .symbol:         _ZL32rocblas_syrkx_herkx_small_kernelIl19rocblas_complex_numIfELi16ELb0ELb1ELc78ELc76EKPKS1_KPS1_EviT_T0_PT6_S7_lSA_S7_lS8_PT7_S7_li.kd
    .uniform_work_group_size: 1
    .uses_dynamic_stack: false
    .vgpr_count:     62
    .vgpr_spill_count: 0
    .wavefront_size: 64
  - .args:
      - .offset:         0
        .size:           4
        .value_kind:     by_value
      - .offset:         8
        .size:           8
        .value_kind:     by_value
      - .offset:         16
        .size:           8
        .value_kind:     by_value
      - .address_space:  global
        .offset:         24
        .size:           8
        .value_kind:     global_buffer
      - .offset:         32
        .size:           8
        .value_kind:     by_value
      - .offset:         40
        .size:           8
        .value_kind:     by_value
      - .address_space:  global
        .offset:         48
        .size:           8
        .value_kind:     global_buffer
      - .offset:         56
        .size:           8
        .value_kind:     by_value
      - .offset:         64
        .size:           8
        .value_kind:     by_value
      - .offset:         72
        .size:           8
        .value_kind:     by_value
      - .address_space:  global
        .offset:         80
        .size:           8
        .value_kind:     global_buffer
      - .offset:         88
        .size:           8
        .value_kind:     by_value
      - .offset:         96
        .size:           8
        .value_kind:     by_value
      - .offset:         104
        .size:           4
        .value_kind:     by_value
    .group_segment_fixed_size: 4096
    .kernarg_segment_align: 8
    .kernarg_segment_size: 108
    .language:       OpenCL C
    .language_version:
      - 2
      - 0
    .max_flat_workgroup_size: 256
    .name:           _ZL32rocblas_syrkx_herkx_small_kernelIl19rocblas_complex_numIfELi16ELb0ELb1ELc84ELc85EKPKS1_KPS1_EviT_T0_PT6_S7_lSA_S7_lS8_PT7_S7_li
    .private_segment_fixed_size: 0
    .sgpr_count:     29
    .sgpr_spill_count: 0
    .symbol:         _ZL32rocblas_syrkx_herkx_small_kernelIl19rocblas_complex_numIfELi16ELb0ELb1ELc84ELc85EKPKS1_KPS1_EviT_T0_PT6_S7_lSA_S7_lS8_PT7_S7_li.kd
    .uniform_work_group_size: 1
    .uses_dynamic_stack: false
    .vgpr_count:     56
    .vgpr_spill_count: 0
    .wavefront_size: 64
  - .args:
      - .offset:         0
        .size:           4
        .value_kind:     by_value
      - .offset:         8
        .size:           8
        .value_kind:     by_value
      - .offset:         16
        .size:           8
        .value_kind:     by_value
      - .address_space:  global
        .offset:         24
        .size:           8
        .value_kind:     global_buffer
      - .offset:         32
        .size:           8
        .value_kind:     by_value
      - .offset:         40
        .size:           8
        .value_kind:     by_value
      - .address_space:  global
        .offset:         48
        .size:           8
        .value_kind:     global_buffer
      - .offset:         56
        .size:           8
        .value_kind:     by_value
      - .offset:         64
        .size:           8
        .value_kind:     by_value
      - .offset:         72
        .size:           8
        .value_kind:     by_value
      - .address_space:  global
        .offset:         80
        .size:           8
        .value_kind:     global_buffer
      - .offset:         88
        .size:           8
        .value_kind:     by_value
      - .offset:         96
        .size:           8
        .value_kind:     by_value
      - .offset:         104
        .size:           4
        .value_kind:     by_value
    .group_segment_fixed_size: 4096
    .kernarg_segment_align: 8
    .kernarg_segment_size: 108
    .language:       OpenCL C
    .language_version:
      - 2
      - 0
    .max_flat_workgroup_size: 256
    .name:           _ZL32rocblas_syrkx_herkx_small_kernelIl19rocblas_complex_numIfELi16ELb0ELb1ELc67ELc85EKPKS1_KPS1_EviT_T0_PT6_S7_lSA_S7_lS8_PT7_S7_li
    .private_segment_fixed_size: 0
    .sgpr_count:     29
    .sgpr_spill_count: 0
    .symbol:         _ZL32rocblas_syrkx_herkx_small_kernelIl19rocblas_complex_numIfELi16ELb0ELb1ELc67ELc85EKPKS1_KPS1_EviT_T0_PT6_S7_lSA_S7_lS8_PT7_S7_li.kd
    .uniform_work_group_size: 1
    .uses_dynamic_stack: false
    .vgpr_count:     56
    .vgpr_spill_count: 0
    .wavefront_size: 64
  - .args:
      - .offset:         0
        .size:           4
        .value_kind:     by_value
      - .offset:         8
        .size:           8
        .value_kind:     by_value
      - .offset:         16
        .size:           8
        .value_kind:     by_value
      - .address_space:  global
        .offset:         24
        .size:           8
        .value_kind:     global_buffer
      - .offset:         32
        .size:           8
        .value_kind:     by_value
      - .offset:         40
        .size:           8
        .value_kind:     by_value
      - .address_space:  global
        .offset:         48
        .size:           8
        .value_kind:     global_buffer
      - .offset:         56
        .size:           8
        .value_kind:     by_value
      - .offset:         64
        .size:           8
        .value_kind:     by_value
      - .offset:         72
        .size:           8
        .value_kind:     by_value
      - .address_space:  global
        .offset:         80
        .size:           8
        .value_kind:     global_buffer
      - .offset:         88
        .size:           8
        .value_kind:     by_value
      - .offset:         96
        .size:           8
        .value_kind:     by_value
      - .offset:         104
        .size:           4
        .value_kind:     by_value
    .group_segment_fixed_size: 4096
    .kernarg_segment_align: 8
    .kernarg_segment_size: 108
    .language:       OpenCL C
    .language_version:
      - 2
      - 0
    .max_flat_workgroup_size: 256
    .name:           _ZL32rocblas_syrkx_herkx_small_kernelIl19rocblas_complex_numIfELi16ELb0ELb1ELc78ELc85EKPKS1_KPS1_EviT_T0_PT6_S7_lSA_S7_lS8_PT7_S7_li
    .private_segment_fixed_size: 0
    .sgpr_count:     29
    .sgpr_spill_count: 0
    .symbol:         _ZL32rocblas_syrkx_herkx_small_kernelIl19rocblas_complex_numIfELi16ELb0ELb1ELc78ELc85EKPKS1_KPS1_EviT_T0_PT6_S7_lSA_S7_lS8_PT7_S7_li.kd
    .uniform_work_group_size: 1
    .uses_dynamic_stack: false
    .vgpr_count:     62
    .vgpr_spill_count: 0
    .wavefront_size: 64
  - .args:
      - .offset:         0
        .size:           4
        .value_kind:     by_value
      - .offset:         8
        .size:           8
        .value_kind:     by_value
      - .offset:         16
        .size:           8
        .value_kind:     by_value
      - .address_space:  global
        .offset:         24
        .size:           8
        .value_kind:     global_buffer
      - .offset:         32
        .size:           8
        .value_kind:     by_value
      - .offset:         40
        .size:           8
        .value_kind:     by_value
      - .address_space:  global
        .offset:         48
        .size:           8
        .value_kind:     global_buffer
      - .offset:         56
        .size:           8
        .value_kind:     by_value
      - .offset:         64
        .size:           8
        .value_kind:     by_value
      - .offset:         72
        .size:           8
        .value_kind:     by_value
      - .address_space:  global
        .offset:         80
        .size:           8
        .value_kind:     global_buffer
      - .offset:         88
        .size:           8
        .value_kind:     by_value
      - .offset:         96
        .size:           8
        .value_kind:     by_value
      - .offset:         104
        .size:           4
        .value_kind:     by_value
    .group_segment_fixed_size: 4096
    .kernarg_segment_align: 8
    .kernarg_segment_size: 108
    .language:       OpenCL C
    .language_version:
      - 2
      - 0
    .max_flat_workgroup_size: 256
    .name:           _ZL34rocblas_syrkx_herkx_general_kernelIl19rocblas_complex_numIfELi16ELi32ELi8ELb1ELb1ELc84ELc76EKPKS1_KPS1_EviT_T0_PT8_S7_lSA_S7_lS8_PT9_S7_li
    .private_segment_fixed_size: 0
    .sgpr_count:     28
    .sgpr_spill_count: 0
    .symbol:         _ZL34rocblas_syrkx_herkx_general_kernelIl19rocblas_complex_numIfELi16ELi32ELi8ELb1ELb1ELc84ELc76EKPKS1_KPS1_EviT_T0_PT8_S7_lSA_S7_lS8_PT9_S7_li.kd
    .uniform_work_group_size: 1
    .uses_dynamic_stack: false
    .vgpr_count:     50
    .vgpr_spill_count: 0
    .wavefront_size: 64
  - .args:
      - .offset:         0
        .size:           4
        .value_kind:     by_value
      - .offset:         8
        .size:           8
        .value_kind:     by_value
      - .offset:         16
        .size:           8
        .value_kind:     by_value
      - .address_space:  global
        .offset:         24
        .size:           8
        .value_kind:     global_buffer
      - .offset:         32
        .size:           8
        .value_kind:     by_value
      - .offset:         40
        .size:           8
        .value_kind:     by_value
      - .address_space:  global
        .offset:         48
        .size:           8
        .value_kind:     global_buffer
      - .offset:         56
        .size:           8
        .value_kind:     by_value
      - .offset:         64
        .size:           8
        .value_kind:     by_value
      - .offset:         72
        .size:           8
        .value_kind:     by_value
      - .address_space:  global
        .offset:         80
        .size:           8
        .value_kind:     global_buffer
      - .offset:         88
        .size:           8
        .value_kind:     by_value
      - .offset:         96
        .size:           8
        .value_kind:     by_value
      - .offset:         104
        .size:           4
        .value_kind:     by_value
    .group_segment_fixed_size: 4096
    .kernarg_segment_align: 8
    .kernarg_segment_size: 108
    .language:       OpenCL C
    .language_version:
      - 2
      - 0
    .max_flat_workgroup_size: 256
    .name:           _ZL34rocblas_syrkx_herkx_general_kernelIl19rocblas_complex_numIfELi16ELi32ELi8ELb1ELb1ELc67ELc76EKPKS1_KPS1_EviT_T0_PT8_S7_lSA_S7_lS8_PT9_S7_li
    .private_segment_fixed_size: 0
    .sgpr_count:     28
    .sgpr_spill_count: 0
    .symbol:         _ZL34rocblas_syrkx_herkx_general_kernelIl19rocblas_complex_numIfELi16ELi32ELi8ELb1ELb1ELc67ELc76EKPKS1_KPS1_EviT_T0_PT8_S7_lSA_S7_lS8_PT9_S7_li.kd
    .uniform_work_group_size: 1
    .uses_dynamic_stack: false
    .vgpr_count:     50
    .vgpr_spill_count: 0
    .wavefront_size: 64
  - .args:
      - .offset:         0
        .size:           4
        .value_kind:     by_value
      - .offset:         8
        .size:           8
        .value_kind:     by_value
      - .offset:         16
        .size:           8
        .value_kind:     by_value
      - .address_space:  global
        .offset:         24
        .size:           8
        .value_kind:     global_buffer
      - .offset:         32
        .size:           8
        .value_kind:     by_value
      - .offset:         40
        .size:           8
        .value_kind:     by_value
      - .address_space:  global
        .offset:         48
        .size:           8
        .value_kind:     global_buffer
      - .offset:         56
        .size:           8
        .value_kind:     by_value
      - .offset:         64
        .size:           8
        .value_kind:     by_value
      - .offset:         72
        .size:           8
        .value_kind:     by_value
      - .address_space:  global
        .offset:         80
        .size:           8
        .value_kind:     global_buffer
      - .offset:         88
        .size:           8
        .value_kind:     by_value
      - .offset:         96
        .size:           8
        .value_kind:     by_value
      - .offset:         104
        .size:           4
        .value_kind:     by_value
    .group_segment_fixed_size: 4096
    .kernarg_segment_align: 8
    .kernarg_segment_size: 108
    .language:       OpenCL C
    .language_version:
      - 2
      - 0
    .max_flat_workgroup_size: 256
    .name:           _ZL34rocblas_syrkx_herkx_general_kernelIl19rocblas_complex_numIfELi16ELi32ELi8ELb1ELb1ELc78ELc76EKPKS1_KPS1_EviT_T0_PT8_S7_lSA_S7_lS8_PT9_S7_li
    .private_segment_fixed_size: 0
    .sgpr_count:     29
    .sgpr_spill_count: 0
    .symbol:         _ZL34rocblas_syrkx_herkx_general_kernelIl19rocblas_complex_numIfELi16ELi32ELi8ELb1ELb1ELc78ELc76EKPKS1_KPS1_EviT_T0_PT8_S7_lSA_S7_lS8_PT9_S7_li.kd
    .uniform_work_group_size: 1
    .uses_dynamic_stack: false
    .vgpr_count:     48
    .vgpr_spill_count: 0
    .wavefront_size: 64
  - .args:
      - .offset:         0
        .size:           4
        .value_kind:     by_value
      - .offset:         8
        .size:           8
        .value_kind:     by_value
      - .offset:         16
        .size:           8
        .value_kind:     by_value
      - .address_space:  global
        .offset:         24
        .size:           8
        .value_kind:     global_buffer
      - .offset:         32
        .size:           8
        .value_kind:     by_value
      - .offset:         40
        .size:           8
        .value_kind:     by_value
      - .address_space:  global
        .offset:         48
        .size:           8
        .value_kind:     global_buffer
      - .offset:         56
        .size:           8
        .value_kind:     by_value
      - .offset:         64
        .size:           8
        .value_kind:     by_value
      - .offset:         72
        .size:           8
        .value_kind:     by_value
      - .address_space:  global
        .offset:         80
        .size:           8
        .value_kind:     global_buffer
      - .offset:         88
        .size:           8
        .value_kind:     by_value
      - .offset:         96
        .size:           8
        .value_kind:     by_value
      - .offset:         104
        .size:           4
        .value_kind:     by_value
    .group_segment_fixed_size: 4096
    .kernarg_segment_align: 8
    .kernarg_segment_size: 108
    .language:       OpenCL C
    .language_version:
      - 2
      - 0
    .max_flat_workgroup_size: 256
    .name:           _ZL34rocblas_syrkx_herkx_general_kernelIl19rocblas_complex_numIfELi16ELi32ELi8ELb1ELb1ELc84ELc85EKPKS1_KPS1_EviT_T0_PT8_S7_lSA_S7_lS8_PT9_S7_li
    .private_segment_fixed_size: 0
    .sgpr_count:     28
    .sgpr_spill_count: 0
    .symbol:         _ZL34rocblas_syrkx_herkx_general_kernelIl19rocblas_complex_numIfELi16ELi32ELi8ELb1ELb1ELc84ELc85EKPKS1_KPS1_EviT_T0_PT8_S7_lSA_S7_lS8_PT9_S7_li.kd
    .uniform_work_group_size: 1
    .uses_dynamic_stack: false
    .vgpr_count:     50
    .vgpr_spill_count: 0
    .wavefront_size: 64
  - .args:
      - .offset:         0
        .size:           4
        .value_kind:     by_value
      - .offset:         8
        .size:           8
        .value_kind:     by_value
      - .offset:         16
        .size:           8
        .value_kind:     by_value
      - .address_space:  global
        .offset:         24
        .size:           8
        .value_kind:     global_buffer
      - .offset:         32
        .size:           8
        .value_kind:     by_value
      - .offset:         40
        .size:           8
        .value_kind:     by_value
      - .address_space:  global
        .offset:         48
        .size:           8
        .value_kind:     global_buffer
      - .offset:         56
        .size:           8
        .value_kind:     by_value
      - .offset:         64
        .size:           8
        .value_kind:     by_value
      - .offset:         72
        .size:           8
        .value_kind:     by_value
      - .address_space:  global
        .offset:         80
        .size:           8
        .value_kind:     global_buffer
      - .offset:         88
        .size:           8
        .value_kind:     by_value
      - .offset:         96
        .size:           8
        .value_kind:     by_value
      - .offset:         104
        .size:           4
        .value_kind:     by_value
    .group_segment_fixed_size: 4096
    .kernarg_segment_align: 8
    .kernarg_segment_size: 108
    .language:       OpenCL C
    .language_version:
      - 2
      - 0
    .max_flat_workgroup_size: 256
    .name:           _ZL34rocblas_syrkx_herkx_general_kernelIl19rocblas_complex_numIfELi16ELi32ELi8ELb1ELb1ELc67ELc85EKPKS1_KPS1_EviT_T0_PT8_S7_lSA_S7_lS8_PT9_S7_li
    .private_segment_fixed_size: 0
    .sgpr_count:     28
    .sgpr_spill_count: 0
    .symbol:         _ZL34rocblas_syrkx_herkx_general_kernelIl19rocblas_complex_numIfELi16ELi32ELi8ELb1ELb1ELc67ELc85EKPKS1_KPS1_EviT_T0_PT8_S7_lSA_S7_lS8_PT9_S7_li.kd
    .uniform_work_group_size: 1
    .uses_dynamic_stack: false
    .vgpr_count:     50
    .vgpr_spill_count: 0
    .wavefront_size: 64
  - .args:
      - .offset:         0
        .size:           4
        .value_kind:     by_value
      - .offset:         8
        .size:           8
        .value_kind:     by_value
      - .offset:         16
        .size:           8
        .value_kind:     by_value
      - .address_space:  global
        .offset:         24
        .size:           8
        .value_kind:     global_buffer
      - .offset:         32
        .size:           8
        .value_kind:     by_value
      - .offset:         40
        .size:           8
        .value_kind:     by_value
      - .address_space:  global
        .offset:         48
        .size:           8
        .value_kind:     global_buffer
      - .offset:         56
        .size:           8
        .value_kind:     by_value
      - .offset:         64
        .size:           8
        .value_kind:     by_value
      - .offset:         72
        .size:           8
        .value_kind:     by_value
      - .address_space:  global
        .offset:         80
        .size:           8
        .value_kind:     global_buffer
      - .offset:         88
        .size:           8
        .value_kind:     by_value
      - .offset:         96
        .size:           8
        .value_kind:     by_value
      - .offset:         104
        .size:           4
        .value_kind:     by_value
    .group_segment_fixed_size: 4096
    .kernarg_segment_align: 8
    .kernarg_segment_size: 108
    .language:       OpenCL C
    .language_version:
      - 2
      - 0
    .max_flat_workgroup_size: 256
    .name:           _ZL34rocblas_syrkx_herkx_general_kernelIl19rocblas_complex_numIfELi16ELi32ELi8ELb1ELb1ELc78ELc85EKPKS1_KPS1_EviT_T0_PT8_S7_lSA_S7_lS8_PT9_S7_li
    .private_segment_fixed_size: 0
    .sgpr_count:     29
    .sgpr_spill_count: 0
    .symbol:         _ZL34rocblas_syrkx_herkx_general_kernelIl19rocblas_complex_numIfELi16ELi32ELi8ELb1ELb1ELc78ELc85EKPKS1_KPS1_EviT_T0_PT8_S7_lSA_S7_lS8_PT9_S7_li.kd
    .uniform_work_group_size: 1
    .uses_dynamic_stack: false
    .vgpr_count:     48
    .vgpr_spill_count: 0
    .wavefront_size: 64
  - .args:
      - .offset:         0
        .size:           4
        .value_kind:     by_value
      - .offset:         8
        .size:           8
        .value_kind:     by_value
      - .offset:         16
        .size:           8
        .value_kind:     by_value
      - .address_space:  global
        .offset:         24
        .size:           8
        .value_kind:     global_buffer
      - .offset:         32
        .size:           8
        .value_kind:     by_value
      - .offset:         40
        .size:           8
        .value_kind:     by_value
      - .address_space:  global
        .offset:         48
        .size:           8
        .value_kind:     global_buffer
      - .offset:         56
        .size:           8
        .value_kind:     by_value
      - .offset:         64
        .size:           8
        .value_kind:     by_value
      - .offset:         72
        .size:           8
        .value_kind:     by_value
      - .address_space:  global
        .offset:         80
        .size:           8
        .value_kind:     global_buffer
      - .offset:         88
        .size:           8
        .value_kind:     by_value
      - .offset:         96
        .size:           8
        .value_kind:     by_value
      - .offset:         104
        .size:           4
        .value_kind:     by_value
    .group_segment_fixed_size: 4096
    .kernarg_segment_align: 8
    .kernarg_segment_size: 108
    .language:       OpenCL C
    .language_version:
      - 2
      - 0
    .max_flat_workgroup_size: 256
    .name:           _ZL34rocblas_syrkx_herkx_general_kernelIl19rocblas_complex_numIfELi16ELi32ELi8ELb0ELb1ELc84ELc76EKPKS1_KPS1_EviT_T0_PT8_S7_lSA_S7_lS8_PT9_S7_li
    .private_segment_fixed_size: 0
    .sgpr_count:     29
    .sgpr_spill_count: 0
    .symbol:         _ZL34rocblas_syrkx_herkx_general_kernelIl19rocblas_complex_numIfELi16ELi32ELi8ELb0ELb1ELc84ELc76EKPKS1_KPS1_EviT_T0_PT8_S7_lSA_S7_lS8_PT9_S7_li.kd
    .uniform_work_group_size: 1
    .uses_dynamic_stack: false
    .vgpr_count:     50
    .vgpr_spill_count: 0
    .wavefront_size: 64
  - .args:
      - .offset:         0
        .size:           4
        .value_kind:     by_value
      - .offset:         8
        .size:           8
        .value_kind:     by_value
      - .offset:         16
        .size:           8
        .value_kind:     by_value
      - .address_space:  global
        .offset:         24
        .size:           8
        .value_kind:     global_buffer
      - .offset:         32
        .size:           8
        .value_kind:     by_value
      - .offset:         40
        .size:           8
        .value_kind:     by_value
      - .address_space:  global
        .offset:         48
        .size:           8
        .value_kind:     global_buffer
      - .offset:         56
        .size:           8
        .value_kind:     by_value
      - .offset:         64
        .size:           8
        .value_kind:     by_value
      - .offset:         72
        .size:           8
        .value_kind:     by_value
      - .address_space:  global
        .offset:         80
        .size:           8
        .value_kind:     global_buffer
      - .offset:         88
        .size:           8
        .value_kind:     by_value
      - .offset:         96
        .size:           8
        .value_kind:     by_value
      - .offset:         104
        .size:           4
        .value_kind:     by_value
    .group_segment_fixed_size: 4096
    .kernarg_segment_align: 8
    .kernarg_segment_size: 108
    .language:       OpenCL C
    .language_version:
      - 2
      - 0
    .max_flat_workgroup_size: 256
    .name:           _ZL34rocblas_syrkx_herkx_general_kernelIl19rocblas_complex_numIfELi16ELi32ELi8ELb0ELb1ELc67ELc76EKPKS1_KPS1_EviT_T0_PT8_S7_lSA_S7_lS8_PT9_S7_li
    .private_segment_fixed_size: 0
    .sgpr_count:     29
    .sgpr_spill_count: 0
    .symbol:         _ZL34rocblas_syrkx_herkx_general_kernelIl19rocblas_complex_numIfELi16ELi32ELi8ELb0ELb1ELc67ELc76EKPKS1_KPS1_EviT_T0_PT8_S7_lSA_S7_lS8_PT9_S7_li.kd
    .uniform_work_group_size: 1
    .uses_dynamic_stack: false
    .vgpr_count:     50
    .vgpr_spill_count: 0
    .wavefront_size: 64
  - .args:
      - .offset:         0
        .size:           4
        .value_kind:     by_value
      - .offset:         8
        .size:           8
        .value_kind:     by_value
      - .offset:         16
        .size:           8
        .value_kind:     by_value
      - .address_space:  global
        .offset:         24
        .size:           8
        .value_kind:     global_buffer
      - .offset:         32
        .size:           8
        .value_kind:     by_value
      - .offset:         40
        .size:           8
        .value_kind:     by_value
      - .address_space:  global
        .offset:         48
        .size:           8
        .value_kind:     global_buffer
      - .offset:         56
        .size:           8
        .value_kind:     by_value
      - .offset:         64
        .size:           8
        .value_kind:     by_value
      - .offset:         72
        .size:           8
        .value_kind:     by_value
      - .address_space:  global
        .offset:         80
        .size:           8
        .value_kind:     global_buffer
      - .offset:         88
        .size:           8
        .value_kind:     by_value
      - .offset:         96
        .size:           8
        .value_kind:     by_value
      - .offset:         104
        .size:           4
        .value_kind:     by_value
    .group_segment_fixed_size: 4096
    .kernarg_segment_align: 8
    .kernarg_segment_size: 108
    .language:       OpenCL C
    .language_version:
      - 2
      - 0
    .max_flat_workgroup_size: 256
    .name:           _ZL34rocblas_syrkx_herkx_general_kernelIl19rocblas_complex_numIfELi16ELi32ELi8ELb0ELb1ELc78ELc76EKPKS1_KPS1_EviT_T0_PT8_S7_lSA_S7_lS8_PT9_S7_li
    .private_segment_fixed_size: 0
    .sgpr_count:     32
    .sgpr_spill_count: 0
    .symbol:         _ZL34rocblas_syrkx_herkx_general_kernelIl19rocblas_complex_numIfELi16ELi32ELi8ELb0ELb1ELc78ELc76EKPKS1_KPS1_EviT_T0_PT8_S7_lSA_S7_lS8_PT9_S7_li.kd
    .uniform_work_group_size: 1
    .uses_dynamic_stack: false
    .vgpr_count:     48
    .vgpr_spill_count: 0
    .wavefront_size: 64
  - .args:
      - .offset:         0
        .size:           4
        .value_kind:     by_value
      - .offset:         8
        .size:           8
        .value_kind:     by_value
      - .offset:         16
        .size:           8
        .value_kind:     by_value
      - .address_space:  global
        .offset:         24
        .size:           8
        .value_kind:     global_buffer
      - .offset:         32
        .size:           8
        .value_kind:     by_value
      - .offset:         40
        .size:           8
        .value_kind:     by_value
      - .address_space:  global
        .offset:         48
        .size:           8
        .value_kind:     global_buffer
      - .offset:         56
        .size:           8
        .value_kind:     by_value
      - .offset:         64
        .size:           8
        .value_kind:     by_value
      - .offset:         72
        .size:           8
        .value_kind:     by_value
      - .address_space:  global
        .offset:         80
        .size:           8
        .value_kind:     global_buffer
      - .offset:         88
        .size:           8
        .value_kind:     by_value
      - .offset:         96
        .size:           8
        .value_kind:     by_value
      - .offset:         104
        .size:           4
        .value_kind:     by_value
    .group_segment_fixed_size: 4096
    .kernarg_segment_align: 8
    .kernarg_segment_size: 108
    .language:       OpenCL C
    .language_version:
      - 2
      - 0
    .max_flat_workgroup_size: 256
    .name:           _ZL34rocblas_syrkx_herkx_general_kernelIl19rocblas_complex_numIfELi16ELi32ELi8ELb0ELb1ELc84ELc85EKPKS1_KPS1_EviT_T0_PT8_S7_lSA_S7_lS8_PT9_S7_li
    .private_segment_fixed_size: 0
    .sgpr_count:     29
    .sgpr_spill_count: 0
    .symbol:         _ZL34rocblas_syrkx_herkx_general_kernelIl19rocblas_complex_numIfELi16ELi32ELi8ELb0ELb1ELc84ELc85EKPKS1_KPS1_EviT_T0_PT8_S7_lSA_S7_lS8_PT9_S7_li.kd
    .uniform_work_group_size: 1
    .uses_dynamic_stack: false
    .vgpr_count:     50
    .vgpr_spill_count: 0
    .wavefront_size: 64
  - .args:
      - .offset:         0
        .size:           4
        .value_kind:     by_value
      - .offset:         8
        .size:           8
        .value_kind:     by_value
      - .offset:         16
        .size:           8
        .value_kind:     by_value
      - .address_space:  global
        .offset:         24
        .size:           8
        .value_kind:     global_buffer
      - .offset:         32
        .size:           8
        .value_kind:     by_value
      - .offset:         40
        .size:           8
        .value_kind:     by_value
      - .address_space:  global
        .offset:         48
        .size:           8
        .value_kind:     global_buffer
      - .offset:         56
        .size:           8
        .value_kind:     by_value
      - .offset:         64
        .size:           8
        .value_kind:     by_value
      - .offset:         72
        .size:           8
        .value_kind:     by_value
      - .address_space:  global
        .offset:         80
        .size:           8
        .value_kind:     global_buffer
      - .offset:         88
        .size:           8
        .value_kind:     by_value
      - .offset:         96
        .size:           8
        .value_kind:     by_value
      - .offset:         104
        .size:           4
        .value_kind:     by_value
    .group_segment_fixed_size: 4096
    .kernarg_segment_align: 8
    .kernarg_segment_size: 108
    .language:       OpenCL C
    .language_version:
      - 2
      - 0
    .max_flat_workgroup_size: 256
    .name:           _ZL34rocblas_syrkx_herkx_general_kernelIl19rocblas_complex_numIfELi16ELi32ELi8ELb0ELb1ELc67ELc85EKPKS1_KPS1_EviT_T0_PT8_S7_lSA_S7_lS8_PT9_S7_li
    .private_segment_fixed_size: 0
    .sgpr_count:     29
    .sgpr_spill_count: 0
    .symbol:         _ZL34rocblas_syrkx_herkx_general_kernelIl19rocblas_complex_numIfELi16ELi32ELi8ELb0ELb1ELc67ELc85EKPKS1_KPS1_EviT_T0_PT8_S7_lSA_S7_lS8_PT9_S7_li.kd
    .uniform_work_group_size: 1
    .uses_dynamic_stack: false
    .vgpr_count:     50
    .vgpr_spill_count: 0
    .wavefront_size: 64
  - .args:
      - .offset:         0
        .size:           4
        .value_kind:     by_value
      - .offset:         8
        .size:           8
        .value_kind:     by_value
      - .offset:         16
        .size:           8
        .value_kind:     by_value
      - .address_space:  global
        .offset:         24
        .size:           8
        .value_kind:     global_buffer
      - .offset:         32
        .size:           8
        .value_kind:     by_value
      - .offset:         40
        .size:           8
        .value_kind:     by_value
      - .address_space:  global
        .offset:         48
        .size:           8
        .value_kind:     global_buffer
      - .offset:         56
        .size:           8
        .value_kind:     by_value
      - .offset:         64
        .size:           8
        .value_kind:     by_value
      - .offset:         72
        .size:           8
        .value_kind:     by_value
      - .address_space:  global
        .offset:         80
        .size:           8
        .value_kind:     global_buffer
      - .offset:         88
        .size:           8
        .value_kind:     by_value
      - .offset:         96
        .size:           8
        .value_kind:     by_value
      - .offset:         104
        .size:           4
        .value_kind:     by_value
    .group_segment_fixed_size: 4096
    .kernarg_segment_align: 8
    .kernarg_segment_size: 108
    .language:       OpenCL C
    .language_version:
      - 2
      - 0
    .max_flat_workgroup_size: 256
    .name:           _ZL34rocblas_syrkx_herkx_general_kernelIl19rocblas_complex_numIfELi16ELi32ELi8ELb0ELb1ELc78ELc85EKPKS1_KPS1_EviT_T0_PT8_S7_lSA_S7_lS8_PT9_S7_li
    .private_segment_fixed_size: 0
    .sgpr_count:     32
    .sgpr_spill_count: 0
    .symbol:         _ZL34rocblas_syrkx_herkx_general_kernelIl19rocblas_complex_numIfELi16ELi32ELi8ELb0ELb1ELc78ELc85EKPKS1_KPS1_EviT_T0_PT8_S7_lSA_S7_lS8_PT9_S7_li.kd
    .uniform_work_group_size: 1
    .uses_dynamic_stack: false
    .vgpr_count:     48
    .vgpr_spill_count: 0
    .wavefront_size: 64
  - .args:
      - .offset:         0
        .size:           1
        .value_kind:     by_value
      - .offset:         4
        .size:           4
        .value_kind:     by_value
      - .offset:         8
        .size:           8
        .value_kind:     by_value
      - .offset:         16
        .size:           8
        .value_kind:     by_value
      - .offset:         24
        .size:           8
        .value_kind:     by_value
      - .address_space:  global
        .offset:         32
        .size:           8
        .value_kind:     global_buffer
      - .offset:         40
        .size:           8
        .value_kind:     by_value
      - .offset:         48
        .size:           8
        .value_kind:     by_value
      - .offset:         56
        .size:           4
        .value_kind:     by_value
      - .offset:         64
        .size:           4
        .value_kind:     hidden_block_count_x
      - .offset:         68
        .size:           4
        .value_kind:     hidden_block_count_y
      - .offset:         72
        .size:           4
        .value_kind:     hidden_block_count_z
      - .offset:         76
        .size:           2
        .value_kind:     hidden_group_size_x
      - .offset:         78
        .size:           2
        .value_kind:     hidden_group_size_y
      - .offset:         80
        .size:           2
        .value_kind:     hidden_group_size_z
      - .offset:         82
        .size:           2
        .value_kind:     hidden_remainder_x
      - .offset:         84
        .size:           2
        .value_kind:     hidden_remainder_y
      - .offset:         86
        .size:           2
        .value_kind:     hidden_remainder_z
      - .offset:         104
        .size:           8
        .value_kind:     hidden_global_offset_x
      - .offset:         112
        .size:           8
        .value_kind:     hidden_global_offset_y
      - .offset:         120
        .size:           8
        .value_kind:     hidden_global_offset_z
      - .offset:         128
        .size:           2
        .value_kind:     hidden_grid_dims
    .group_segment_fixed_size: 0
    .kernarg_segment_align: 8
    .kernarg_segment_size: 320
    .language:       OpenCL C
    .language_version:
      - 2
      - 0
    .max_flat_workgroup_size: 1024
    .name:           _ZL26rocblas_syr2k_scale_kernelIlLi128ELi8ELb1E19rocblas_complex_numIfES1_PKPS1_EvbiT_T3_T4_T5_S5_li
    .private_segment_fixed_size: 0
    .sgpr_count:     20
    .sgpr_spill_count: 0
    .symbol:         _ZL26rocblas_syr2k_scale_kernelIlLi128ELi8ELb1E19rocblas_complex_numIfES1_PKPS1_EvbiT_T3_T4_T5_S5_li.kd
    .uniform_work_group_size: 1
    .uses_dynamic_stack: false
    .vgpr_count:     8
    .vgpr_spill_count: 0
    .wavefront_size: 64
  - .args:
      - .offset:         0
        .size:           1
        .value_kind:     by_value
      - .offset:         4
        .size:           4
        .value_kind:     by_value
      - .offset:         8
        .size:           8
        .value_kind:     by_value
      - .address_space:  global
        .offset:         16
        .size:           8
        .value_kind:     global_buffer
      - .address_space:  global
        .offset:         24
        .size:           8
        .value_kind:     global_buffer
      - .offset:         32
        .size:           8
        .value_kind:     by_value
      - .offset:         40
        .size:           8
        .value_kind:     by_value
      - .address_space:  global
        .offset:         48
        .size:           8
        .value_kind:     global_buffer
      - .offset:         56
        .size:           8
        .value_kind:     by_value
      - .offset:         64
        .size:           8
        .value_kind:     by_value
      - .address_space:  global
        .offset:         72
        .size:           8
        .value_kind:     global_buffer
      - .offset:         80
        .size:           8
        .value_kind:     by_value
      - .offset:         88
        .size:           8
        .value_kind:     by_value
      - .offset:         96
        .size:           4
        .value_kind:     by_value
    .group_segment_fixed_size: 16384
    .kernarg_segment_align: 8
    .kernarg_segment_size: 100
    .language:       OpenCL C
    .language_version:
      - 2
      - 0
    .max_flat_workgroup_size: 1024
    .name:           _ZL26rocblas_syr2k_her2k_kernelIlLb0ELb1ELb0ELi32EPK19rocblas_complex_numIfEPKS3_PKPS1_EvbiT_T4_T5_S9_lSB_S9_lT6_S9_li
    .private_segment_fixed_size: 0
    .sgpr_count:     40
    .sgpr_spill_count: 0
    .symbol:         _ZL26rocblas_syr2k_her2k_kernelIlLb0ELb1ELb0ELi32EPK19rocblas_complex_numIfEPKS3_PKPS1_EvbiT_T4_T5_S9_lSB_S9_lT6_S9_li.kd
    .uniform_work_group_size: 1
    .uses_dynamic_stack: false
    .vgpr_count:     36
    .vgpr_spill_count: 0
    .wavefront_size: 64
  - .args:
      - .offset:         0
        .size:           1
        .value_kind:     by_value
      - .offset:         4
        .size:           4
        .value_kind:     by_value
      - .offset:         8
        .size:           8
        .value_kind:     by_value
      - .address_space:  global
        .offset:         16
        .size:           8
        .value_kind:     global_buffer
      - .address_space:  global
        .offset:         24
        .size:           8
        .value_kind:     global_buffer
      - .offset:         32
        .size:           8
        .value_kind:     by_value
      - .offset:         40
        .size:           8
        .value_kind:     by_value
      - .address_space:  global
        .offset:         48
        .size:           8
        .value_kind:     global_buffer
      - .offset:         56
        .size:           8
        .value_kind:     by_value
      - .offset:         64
        .size:           8
        .value_kind:     by_value
      - .address_space:  global
        .offset:         72
        .size:           8
        .value_kind:     global_buffer
      - .offset:         80
        .size:           8
        .value_kind:     by_value
      - .offset:         88
        .size:           8
        .value_kind:     by_value
      - .offset:         96
        .size:           4
        .value_kind:     by_value
    .group_segment_fixed_size: 16384
    .kernarg_segment_align: 8
    .kernarg_segment_size: 100
    .language:       OpenCL C
    .language_version:
      - 2
      - 0
    .max_flat_workgroup_size: 1024
    .name:           _ZL26rocblas_syr2k_her2k_kernelIlLb0ELb1ELb1ELi32EPK19rocblas_complex_numIfEPKS3_PKPS1_EvbiT_T4_T5_S9_lSB_S9_lT6_S9_li
    .private_segment_fixed_size: 0
    .sgpr_count:     40
    .sgpr_spill_count: 0
    .symbol:         _ZL26rocblas_syr2k_her2k_kernelIlLb0ELb1ELb1ELi32EPK19rocblas_complex_numIfEPKS3_PKPS1_EvbiT_T4_T5_S9_lSB_S9_lT6_S9_li.kd
    .uniform_work_group_size: 1
    .uses_dynamic_stack: false
    .vgpr_count:     38
    .vgpr_spill_count: 0
    .wavefront_size: 64
  - .args:
      - .offset:         0
        .size:           1
        .value_kind:     by_value
      - .offset:         4
        .size:           4
        .value_kind:     by_value
      - .offset:         8
        .size:           8
        .value_kind:     by_value
      - .offset:         16
        .size:           16
        .value_kind:     by_value
      - .address_space:  global
        .offset:         32
        .size:           8
        .value_kind:     global_buffer
      - .offset:         40
        .size:           8
        .value_kind:     by_value
      - .offset:         48
        .size:           8
        .value_kind:     by_value
      - .address_space:  global
        .offset:         56
        .size:           8
        .value_kind:     global_buffer
      - .offset:         64
        .size:           8
        .value_kind:     by_value
      - .offset:         72
        .size:           8
        .value_kind:     by_value
      - .address_space:  global
        .offset:         80
        .size:           8
        .value_kind:     global_buffer
      - .offset:         88
        .size:           8
        .value_kind:     by_value
      - .offset:         96
        .size:           8
        .value_kind:     by_value
      - .offset:         104
        .size:           4
        .value_kind:     by_value
    .group_segment_fixed_size: 32768
    .kernarg_segment_align: 8
    .kernarg_segment_size: 108
    .language:       OpenCL C
    .language_version:
      - 2
      - 0
    .max_flat_workgroup_size: 1024
    .name:           _ZL26rocblas_syr2k_her2k_kernelIlLb0ELb1ELb0ELi32E19rocblas_complex_numIdEPKPKS1_PKPS1_EvbiT_T4_T5_S9_lSB_S9_lT6_S9_li
    .private_segment_fixed_size: 0
    .sgpr_count:     48
    .sgpr_spill_count: 0
    .symbol:         _ZL26rocblas_syr2k_her2k_kernelIlLb0ELb1ELb0ELi32E19rocblas_complex_numIdEPKPKS1_PKPS1_EvbiT_T4_T5_S9_lSB_S9_lT6_S9_li.kd
    .uniform_work_group_size: 1
    .uses_dynamic_stack: false
    .vgpr_count:     38
    .vgpr_spill_count: 0
    .wavefront_size: 64
  - .args:
      - .offset:         0
        .size:           1
        .value_kind:     by_value
      - .offset:         4
        .size:           4
        .value_kind:     by_value
      - .offset:         8
        .size:           8
        .value_kind:     by_value
      - .offset:         16
        .size:           16
        .value_kind:     by_value
      - .address_space:  global
        .offset:         32
        .size:           8
        .value_kind:     global_buffer
      - .offset:         40
        .size:           8
        .value_kind:     by_value
      - .offset:         48
        .size:           8
        .value_kind:     by_value
      - .address_space:  global
        .offset:         56
        .size:           8
        .value_kind:     global_buffer
      - .offset:         64
        .size:           8
        .value_kind:     by_value
      - .offset:         72
        .size:           8
        .value_kind:     by_value
      - .address_space:  global
        .offset:         80
        .size:           8
        .value_kind:     global_buffer
      - .offset:         88
        .size:           8
        .value_kind:     by_value
      - .offset:         96
        .size:           8
        .value_kind:     by_value
      - .offset:         104
        .size:           4
        .value_kind:     by_value
    .group_segment_fixed_size: 32768
    .kernarg_segment_align: 8
    .kernarg_segment_size: 108
    .language:       OpenCL C
    .language_version:
      - 2
      - 0
    .max_flat_workgroup_size: 1024
    .name:           _ZL26rocblas_syr2k_her2k_kernelIlLb0ELb1ELb1ELi32E19rocblas_complex_numIdEPKPKS1_PKPS1_EvbiT_T4_T5_S9_lSB_S9_lT6_S9_li
    .private_segment_fixed_size: 0
    .sgpr_count:     48
    .sgpr_spill_count: 0
    .symbol:         _ZL26rocblas_syr2k_her2k_kernelIlLb0ELb1ELb1ELi32E19rocblas_complex_numIdEPKPKS1_PKPS1_EvbiT_T4_T5_S9_lSB_S9_lT6_S9_li.kd
    .uniform_work_group_size: 1
    .uses_dynamic_stack: false
    .vgpr_count:     38
    .vgpr_spill_count: 0
    .wavefront_size: 64
  - .args:
      - .offset:         0
        .size:           4
        .value_kind:     by_value
      - .offset:         8
        .size:           8
        .value_kind:     by_value
      - .address_space:  global
        .offset:         16
        .size:           8
        .value_kind:     global_buffer
      - .offset:         24
        .size:           8
        .value_kind:     by_value
      - .offset:         32
        .size:           8
        .value_kind:     by_value
      - .address_space:  global
        .offset:         40
        .size:           8
        .value_kind:     global_buffer
      - .offset:         48
        .size:           8
        .value_kind:     by_value
      - .offset:         56
        .size:           8
        .value_kind:     by_value
      - .address_space:  global
        .offset:         64
        .size:           8
        .value_kind:     global_buffer
      - .offset:         72
        .size:           8
        .value_kind:     by_value
      - .offset:         80
        .size:           8
        .value_kind:     by_value
      - .offset:         88
        .size:           4
        .value_kind:     by_value
    .group_segment_fixed_size: 8192
    .kernarg_segment_align: 8
    .kernarg_segment_size: 92
    .language:       OpenCL C
    .language_version:
      - 2
      - 0
    .max_flat_workgroup_size: 256
    .name:           _ZL37rocblas_syrkx_herkx_restricted_kernelIl19rocblas_complex_numIdELi16ELi32ELi8ELi1ELi1ELb1ELc84ELc76EKPKS1_KPS1_EviT_PT9_S7_lS9_S7_lPT10_S7_li
    .private_segment_fixed_size: 0
    .sgpr_count:     24
    .sgpr_spill_count: 0
    .symbol:         _ZL37rocblas_syrkx_herkx_restricted_kernelIl19rocblas_complex_numIdELi16ELi32ELi8ELi1ELi1ELb1ELc84ELc76EKPKS1_KPS1_EviT_PT9_S7_lS9_S7_lPT10_S7_li.kd
    .uniform_work_group_size: 1
    .uses_dynamic_stack: false
    .vgpr_count:     52
    .vgpr_spill_count: 0
    .wavefront_size: 64
  - .args:
      - .offset:         0
        .size:           4
        .value_kind:     by_value
      - .offset:         8
        .size:           8
        .value_kind:     by_value
      - .address_space:  global
        .offset:         16
        .size:           8
        .value_kind:     global_buffer
      - .offset:         24
        .size:           8
        .value_kind:     by_value
      - .offset:         32
        .size:           8
        .value_kind:     by_value
      - .address_space:  global
        .offset:         40
        .size:           8
        .value_kind:     global_buffer
      - .offset:         48
        .size:           8
        .value_kind:     by_value
      - .offset:         56
        .size:           8
        .value_kind:     by_value
      - .address_space:  global
        .offset:         64
        .size:           8
        .value_kind:     global_buffer
      - .offset:         72
        .size:           8
        .value_kind:     by_value
      - .offset:         80
        .size:           8
        .value_kind:     by_value
      - .offset:         88
        .size:           4
        .value_kind:     by_value
    .group_segment_fixed_size: 8192
    .kernarg_segment_align: 8
    .kernarg_segment_size: 92
    .language:       OpenCL C
    .language_version:
      - 2
      - 0
    .max_flat_workgroup_size: 256
    .name:           _ZL37rocblas_syrkx_herkx_restricted_kernelIl19rocblas_complex_numIdELi16ELi32ELi8ELi1ELi1ELb1ELc67ELc76EKPKS1_KPS1_EviT_PT9_S7_lS9_S7_lPT10_S7_li
    .private_segment_fixed_size: 0
    .sgpr_count:     24
    .sgpr_spill_count: 0
    .symbol:         _ZL37rocblas_syrkx_herkx_restricted_kernelIl19rocblas_complex_numIdELi16ELi32ELi8ELi1ELi1ELb1ELc67ELc76EKPKS1_KPS1_EviT_PT9_S7_lS9_S7_lPT10_S7_li.kd
    .uniform_work_group_size: 1
    .uses_dynamic_stack: false
    .vgpr_count:     52
    .vgpr_spill_count: 0
    .wavefront_size: 64
  - .args:
      - .offset:         0
        .size:           4
        .value_kind:     by_value
      - .offset:         8
        .size:           8
        .value_kind:     by_value
      - .address_space:  global
        .offset:         16
        .size:           8
        .value_kind:     global_buffer
      - .offset:         24
        .size:           8
        .value_kind:     by_value
      - .offset:         32
        .size:           8
        .value_kind:     by_value
      - .address_space:  global
        .offset:         40
        .size:           8
        .value_kind:     global_buffer
      - .offset:         48
        .size:           8
        .value_kind:     by_value
      - .offset:         56
        .size:           8
        .value_kind:     by_value
      - .address_space:  global
        .offset:         64
        .size:           8
        .value_kind:     global_buffer
      - .offset:         72
        .size:           8
        .value_kind:     by_value
      - .offset:         80
        .size:           8
        .value_kind:     by_value
      - .offset:         88
        .size:           4
        .value_kind:     by_value
    .group_segment_fixed_size: 8192
    .kernarg_segment_align: 8
    .kernarg_segment_size: 92
    .language:       OpenCL C
    .language_version:
      - 2
      - 0
    .max_flat_workgroup_size: 256
    .name:           _ZL37rocblas_syrkx_herkx_restricted_kernelIl19rocblas_complex_numIdELi16ELi32ELi8ELi1ELi1ELb1ELc78ELc76EKPKS1_KPS1_EviT_PT9_S7_lS9_S7_lPT10_S7_li
    .private_segment_fixed_size: 0
    .sgpr_count:     26
    .sgpr_spill_count: 0
    .symbol:         _ZL37rocblas_syrkx_herkx_restricted_kernelIl19rocblas_complex_numIdELi16ELi32ELi8ELi1ELi1ELb1ELc78ELc76EKPKS1_KPS1_EviT_PT9_S7_lS9_S7_lPT10_S7_li.kd
    .uniform_work_group_size: 1
    .uses_dynamic_stack: false
    .vgpr_count:     54
    .vgpr_spill_count: 0
    .wavefront_size: 64
  - .args:
      - .offset:         0
        .size:           4
        .value_kind:     by_value
      - .offset:         8
        .size:           8
        .value_kind:     by_value
      - .address_space:  global
        .offset:         16
        .size:           8
        .value_kind:     global_buffer
      - .offset:         24
        .size:           8
        .value_kind:     by_value
      - .offset:         32
        .size:           8
        .value_kind:     by_value
      - .address_space:  global
        .offset:         40
        .size:           8
        .value_kind:     global_buffer
      - .offset:         48
        .size:           8
        .value_kind:     by_value
      - .offset:         56
        .size:           8
        .value_kind:     by_value
      - .address_space:  global
        .offset:         64
        .size:           8
        .value_kind:     global_buffer
      - .offset:         72
        .size:           8
        .value_kind:     by_value
      - .offset:         80
        .size:           8
        .value_kind:     by_value
      - .offset:         88
        .size:           4
        .value_kind:     by_value
    .group_segment_fixed_size: 8192
    .kernarg_segment_align: 8
    .kernarg_segment_size: 92
    .language:       OpenCL C
    .language_version:
      - 2
      - 0
    .max_flat_workgroup_size: 256
    .name:           _ZL37rocblas_syrkx_herkx_restricted_kernelIl19rocblas_complex_numIdELi16ELi32ELi8ELi1ELi1ELb1ELc84ELc85EKPKS1_KPS1_EviT_PT9_S7_lS9_S7_lPT10_S7_li
    .private_segment_fixed_size: 0
    .sgpr_count:     24
    .sgpr_spill_count: 0
    .symbol:         _ZL37rocblas_syrkx_herkx_restricted_kernelIl19rocblas_complex_numIdELi16ELi32ELi8ELi1ELi1ELb1ELc84ELc85EKPKS1_KPS1_EviT_PT9_S7_lS9_S7_lPT10_S7_li.kd
    .uniform_work_group_size: 1
    .uses_dynamic_stack: false
    .vgpr_count:     52
    .vgpr_spill_count: 0
    .wavefront_size: 64
  - .args:
      - .offset:         0
        .size:           4
        .value_kind:     by_value
      - .offset:         8
        .size:           8
        .value_kind:     by_value
      - .address_space:  global
        .offset:         16
        .size:           8
        .value_kind:     global_buffer
      - .offset:         24
        .size:           8
        .value_kind:     by_value
      - .offset:         32
        .size:           8
        .value_kind:     by_value
      - .address_space:  global
        .offset:         40
        .size:           8
        .value_kind:     global_buffer
      - .offset:         48
        .size:           8
        .value_kind:     by_value
      - .offset:         56
        .size:           8
        .value_kind:     by_value
      - .address_space:  global
        .offset:         64
        .size:           8
        .value_kind:     global_buffer
      - .offset:         72
        .size:           8
        .value_kind:     by_value
      - .offset:         80
        .size:           8
        .value_kind:     by_value
      - .offset:         88
        .size:           4
        .value_kind:     by_value
    .group_segment_fixed_size: 8192
    .kernarg_segment_align: 8
    .kernarg_segment_size: 92
    .language:       OpenCL C
    .language_version:
      - 2
      - 0
    .max_flat_workgroup_size: 256
    .name:           _ZL37rocblas_syrkx_herkx_restricted_kernelIl19rocblas_complex_numIdELi16ELi32ELi8ELi1ELi1ELb1ELc67ELc85EKPKS1_KPS1_EviT_PT9_S7_lS9_S7_lPT10_S7_li
    .private_segment_fixed_size: 0
    .sgpr_count:     24
    .sgpr_spill_count: 0
    .symbol:         _ZL37rocblas_syrkx_herkx_restricted_kernelIl19rocblas_complex_numIdELi16ELi32ELi8ELi1ELi1ELb1ELc67ELc85EKPKS1_KPS1_EviT_PT9_S7_lS9_S7_lPT10_S7_li.kd
    .uniform_work_group_size: 1
    .uses_dynamic_stack: false
    .vgpr_count:     52
    .vgpr_spill_count: 0
    .wavefront_size: 64
  - .args:
      - .offset:         0
        .size:           4
        .value_kind:     by_value
      - .offset:         8
        .size:           8
        .value_kind:     by_value
      - .address_space:  global
        .offset:         16
        .size:           8
        .value_kind:     global_buffer
      - .offset:         24
        .size:           8
        .value_kind:     by_value
      - .offset:         32
        .size:           8
        .value_kind:     by_value
      - .address_space:  global
        .offset:         40
        .size:           8
        .value_kind:     global_buffer
      - .offset:         48
        .size:           8
        .value_kind:     by_value
      - .offset:         56
        .size:           8
        .value_kind:     by_value
      - .address_space:  global
        .offset:         64
        .size:           8
        .value_kind:     global_buffer
      - .offset:         72
        .size:           8
        .value_kind:     by_value
      - .offset:         80
        .size:           8
        .value_kind:     by_value
      - .offset:         88
        .size:           4
        .value_kind:     by_value
    .group_segment_fixed_size: 8192
    .kernarg_segment_align: 8
    .kernarg_segment_size: 92
    .language:       OpenCL C
    .language_version:
      - 2
      - 0
    .max_flat_workgroup_size: 256
    .name:           _ZL37rocblas_syrkx_herkx_restricted_kernelIl19rocblas_complex_numIdELi16ELi32ELi8ELi1ELi1ELb1ELc78ELc85EKPKS1_KPS1_EviT_PT9_S7_lS9_S7_lPT10_S7_li
    .private_segment_fixed_size: 0
    .sgpr_count:     26
    .sgpr_spill_count: 0
    .symbol:         _ZL37rocblas_syrkx_herkx_restricted_kernelIl19rocblas_complex_numIdELi16ELi32ELi8ELi1ELi1ELb1ELc78ELc85EKPKS1_KPS1_EviT_PT9_S7_lS9_S7_lPT10_S7_li.kd
    .uniform_work_group_size: 1
    .uses_dynamic_stack: false
    .vgpr_count:     54
    .vgpr_spill_count: 0
    .wavefront_size: 64
  - .args:
      - .offset:         0
        .size:           4
        .value_kind:     by_value
      - .offset:         8
        .size:           8
        .value_kind:     by_value
      - .address_space:  global
        .offset:         16
        .size:           8
        .value_kind:     global_buffer
      - .offset:         24
        .size:           8
        .value_kind:     by_value
      - .offset:         32
        .size:           8
        .value_kind:     by_value
      - .address_space:  global
        .offset:         40
        .size:           8
        .value_kind:     global_buffer
      - .offset:         48
        .size:           8
        .value_kind:     by_value
      - .offset:         56
        .size:           8
        .value_kind:     by_value
      - .address_space:  global
        .offset:         64
        .size:           8
        .value_kind:     global_buffer
      - .offset:         72
        .size:           8
        .value_kind:     by_value
      - .offset:         80
        .size:           8
        .value_kind:     by_value
      - .offset:         88
        .size:           4
        .value_kind:     by_value
    .group_segment_fixed_size: 8192
    .kernarg_segment_align: 8
    .kernarg_segment_size: 92
    .language:       OpenCL C
    .language_version:
      - 2
      - 0
    .max_flat_workgroup_size: 256
    .name:           _ZL37rocblas_syrkx_herkx_restricted_kernelIl19rocblas_complex_numIdELi16ELi32ELi8ELi1ELin1ELb1ELc84ELc76EKPKS1_KPS1_EviT_PT9_S7_lS9_S7_lPT10_S7_li
    .private_segment_fixed_size: 0
    .sgpr_count:     24
    .sgpr_spill_count: 0
    .symbol:         _ZL37rocblas_syrkx_herkx_restricted_kernelIl19rocblas_complex_numIdELi16ELi32ELi8ELi1ELin1ELb1ELc84ELc76EKPKS1_KPS1_EviT_PT9_S7_lS9_S7_lPT10_S7_li.kd
    .uniform_work_group_size: 1
    .uses_dynamic_stack: false
    .vgpr_count:     52
    .vgpr_spill_count: 0
    .wavefront_size: 64
  - .args:
      - .offset:         0
        .size:           4
        .value_kind:     by_value
      - .offset:         8
        .size:           8
        .value_kind:     by_value
      - .address_space:  global
        .offset:         16
        .size:           8
        .value_kind:     global_buffer
      - .offset:         24
        .size:           8
        .value_kind:     by_value
      - .offset:         32
        .size:           8
        .value_kind:     by_value
      - .address_space:  global
        .offset:         40
        .size:           8
        .value_kind:     global_buffer
      - .offset:         48
        .size:           8
        .value_kind:     by_value
      - .offset:         56
        .size:           8
        .value_kind:     by_value
      - .address_space:  global
        .offset:         64
        .size:           8
        .value_kind:     global_buffer
      - .offset:         72
        .size:           8
        .value_kind:     by_value
      - .offset:         80
        .size:           8
        .value_kind:     by_value
      - .offset:         88
        .size:           4
        .value_kind:     by_value
    .group_segment_fixed_size: 8192
    .kernarg_segment_align: 8
    .kernarg_segment_size: 92
    .language:       OpenCL C
    .language_version:
      - 2
      - 0
    .max_flat_workgroup_size: 256
    .name:           _ZL37rocblas_syrkx_herkx_restricted_kernelIl19rocblas_complex_numIdELi16ELi32ELi8ELi1ELin1ELb1ELc67ELc76EKPKS1_KPS1_EviT_PT9_S7_lS9_S7_lPT10_S7_li
    .private_segment_fixed_size: 0
    .sgpr_count:     24
    .sgpr_spill_count: 0
    .symbol:         _ZL37rocblas_syrkx_herkx_restricted_kernelIl19rocblas_complex_numIdELi16ELi32ELi8ELi1ELin1ELb1ELc67ELc76EKPKS1_KPS1_EviT_PT9_S7_lS9_S7_lPT10_S7_li.kd
    .uniform_work_group_size: 1
    .uses_dynamic_stack: false
    .vgpr_count:     52
    .vgpr_spill_count: 0
    .wavefront_size: 64
  - .args:
      - .offset:         0
        .size:           4
        .value_kind:     by_value
      - .offset:         8
        .size:           8
        .value_kind:     by_value
      - .address_space:  global
        .offset:         16
        .size:           8
        .value_kind:     global_buffer
      - .offset:         24
        .size:           8
        .value_kind:     by_value
      - .offset:         32
        .size:           8
        .value_kind:     by_value
      - .address_space:  global
        .offset:         40
        .size:           8
        .value_kind:     global_buffer
      - .offset:         48
        .size:           8
        .value_kind:     by_value
      - .offset:         56
        .size:           8
        .value_kind:     by_value
      - .address_space:  global
        .offset:         64
        .size:           8
        .value_kind:     global_buffer
      - .offset:         72
        .size:           8
        .value_kind:     by_value
      - .offset:         80
        .size:           8
        .value_kind:     by_value
      - .offset:         88
        .size:           4
        .value_kind:     by_value
    .group_segment_fixed_size: 8192
    .kernarg_segment_align: 8
    .kernarg_segment_size: 92
    .language:       OpenCL C
    .language_version:
      - 2
      - 0
    .max_flat_workgroup_size: 256
    .name:           _ZL37rocblas_syrkx_herkx_restricted_kernelIl19rocblas_complex_numIdELi16ELi32ELi8ELi1ELin1ELb1ELc78ELc76EKPKS1_KPS1_EviT_PT9_S7_lS9_S7_lPT10_S7_li
    .private_segment_fixed_size: 0
    .sgpr_count:     26
    .sgpr_spill_count: 0
    .symbol:         _ZL37rocblas_syrkx_herkx_restricted_kernelIl19rocblas_complex_numIdELi16ELi32ELi8ELi1ELin1ELb1ELc78ELc76EKPKS1_KPS1_EviT_PT9_S7_lS9_S7_lPT10_S7_li.kd
    .uniform_work_group_size: 1
    .uses_dynamic_stack: false
    .vgpr_count:     54
    .vgpr_spill_count: 0
    .wavefront_size: 64
  - .args:
      - .offset:         0
        .size:           4
        .value_kind:     by_value
      - .offset:         8
        .size:           8
        .value_kind:     by_value
      - .address_space:  global
        .offset:         16
        .size:           8
        .value_kind:     global_buffer
      - .offset:         24
        .size:           8
        .value_kind:     by_value
      - .offset:         32
        .size:           8
        .value_kind:     by_value
      - .address_space:  global
        .offset:         40
        .size:           8
        .value_kind:     global_buffer
      - .offset:         48
        .size:           8
        .value_kind:     by_value
      - .offset:         56
        .size:           8
        .value_kind:     by_value
      - .address_space:  global
        .offset:         64
        .size:           8
        .value_kind:     global_buffer
      - .offset:         72
        .size:           8
        .value_kind:     by_value
      - .offset:         80
        .size:           8
        .value_kind:     by_value
      - .offset:         88
        .size:           4
        .value_kind:     by_value
    .group_segment_fixed_size: 8192
    .kernarg_segment_align: 8
    .kernarg_segment_size: 92
    .language:       OpenCL C
    .language_version:
      - 2
      - 0
    .max_flat_workgroup_size: 256
    .name:           _ZL37rocblas_syrkx_herkx_restricted_kernelIl19rocblas_complex_numIdELi16ELi32ELi8ELi1ELin1ELb1ELc84ELc85EKPKS1_KPS1_EviT_PT9_S7_lS9_S7_lPT10_S7_li
    .private_segment_fixed_size: 0
    .sgpr_count:     24
    .sgpr_spill_count: 0
    .symbol:         _ZL37rocblas_syrkx_herkx_restricted_kernelIl19rocblas_complex_numIdELi16ELi32ELi8ELi1ELin1ELb1ELc84ELc85EKPKS1_KPS1_EviT_PT9_S7_lS9_S7_lPT10_S7_li.kd
    .uniform_work_group_size: 1
    .uses_dynamic_stack: false
    .vgpr_count:     52
    .vgpr_spill_count: 0
    .wavefront_size: 64
  - .args:
      - .offset:         0
        .size:           4
        .value_kind:     by_value
      - .offset:         8
        .size:           8
        .value_kind:     by_value
      - .address_space:  global
        .offset:         16
        .size:           8
        .value_kind:     global_buffer
      - .offset:         24
        .size:           8
        .value_kind:     by_value
      - .offset:         32
        .size:           8
        .value_kind:     by_value
      - .address_space:  global
        .offset:         40
        .size:           8
        .value_kind:     global_buffer
      - .offset:         48
        .size:           8
        .value_kind:     by_value
      - .offset:         56
        .size:           8
        .value_kind:     by_value
      - .address_space:  global
        .offset:         64
        .size:           8
        .value_kind:     global_buffer
      - .offset:         72
        .size:           8
        .value_kind:     by_value
      - .offset:         80
        .size:           8
        .value_kind:     by_value
      - .offset:         88
        .size:           4
        .value_kind:     by_value
    .group_segment_fixed_size: 8192
    .kernarg_segment_align: 8
    .kernarg_segment_size: 92
    .language:       OpenCL C
    .language_version:
      - 2
      - 0
    .max_flat_workgroup_size: 256
    .name:           _ZL37rocblas_syrkx_herkx_restricted_kernelIl19rocblas_complex_numIdELi16ELi32ELi8ELi1ELin1ELb1ELc67ELc85EKPKS1_KPS1_EviT_PT9_S7_lS9_S7_lPT10_S7_li
    .private_segment_fixed_size: 0
    .sgpr_count:     24
    .sgpr_spill_count: 0
    .symbol:         _ZL37rocblas_syrkx_herkx_restricted_kernelIl19rocblas_complex_numIdELi16ELi32ELi8ELi1ELin1ELb1ELc67ELc85EKPKS1_KPS1_EviT_PT9_S7_lS9_S7_lPT10_S7_li.kd
    .uniform_work_group_size: 1
    .uses_dynamic_stack: false
    .vgpr_count:     52
    .vgpr_spill_count: 0
    .wavefront_size: 64
  - .args:
      - .offset:         0
        .size:           4
        .value_kind:     by_value
      - .offset:         8
        .size:           8
        .value_kind:     by_value
      - .address_space:  global
        .offset:         16
        .size:           8
        .value_kind:     global_buffer
      - .offset:         24
        .size:           8
        .value_kind:     by_value
      - .offset:         32
        .size:           8
        .value_kind:     by_value
      - .address_space:  global
        .offset:         40
        .size:           8
        .value_kind:     global_buffer
      - .offset:         48
        .size:           8
        .value_kind:     by_value
      - .offset:         56
        .size:           8
        .value_kind:     by_value
      - .address_space:  global
        .offset:         64
        .size:           8
        .value_kind:     global_buffer
      - .offset:         72
        .size:           8
        .value_kind:     by_value
      - .offset:         80
        .size:           8
        .value_kind:     by_value
      - .offset:         88
        .size:           4
        .value_kind:     by_value
    .group_segment_fixed_size: 8192
    .kernarg_segment_align: 8
    .kernarg_segment_size: 92
    .language:       OpenCL C
    .language_version:
      - 2
      - 0
    .max_flat_workgroup_size: 256
    .name:           _ZL37rocblas_syrkx_herkx_restricted_kernelIl19rocblas_complex_numIdELi16ELi32ELi8ELi1ELin1ELb1ELc78ELc85EKPKS1_KPS1_EviT_PT9_S7_lS9_S7_lPT10_S7_li
    .private_segment_fixed_size: 0
    .sgpr_count:     26
    .sgpr_spill_count: 0
    .symbol:         _ZL37rocblas_syrkx_herkx_restricted_kernelIl19rocblas_complex_numIdELi16ELi32ELi8ELi1ELin1ELb1ELc78ELc85EKPKS1_KPS1_EviT_PT9_S7_lS9_S7_lPT10_S7_li.kd
    .uniform_work_group_size: 1
    .uses_dynamic_stack: false
    .vgpr_count:     54
    .vgpr_spill_count: 0
    .wavefront_size: 64
  - .args:
      - .offset:         0
        .size:           4
        .value_kind:     by_value
      - .offset:         8
        .size:           8
        .value_kind:     by_value
      - .address_space:  global
        .offset:         16
        .size:           8
        .value_kind:     global_buffer
      - .offset:         24
        .size:           8
        .value_kind:     by_value
      - .offset:         32
        .size:           8
        .value_kind:     by_value
      - .address_space:  global
        .offset:         40
        .size:           8
        .value_kind:     global_buffer
      - .offset:         48
        .size:           8
        .value_kind:     by_value
      - .offset:         56
        .size:           8
        .value_kind:     by_value
      - .address_space:  global
        .offset:         64
        .size:           8
        .value_kind:     global_buffer
      - .offset:         72
        .size:           8
        .value_kind:     by_value
      - .offset:         80
        .size:           8
        .value_kind:     by_value
      - .offset:         88
        .size:           4
        .value_kind:     by_value
    .group_segment_fixed_size: 8192
    .kernarg_segment_align: 8
    .kernarg_segment_size: 92
    .language:       OpenCL C
    .language_version:
      - 2
      - 0
    .max_flat_workgroup_size: 256
    .name:           _ZL37rocblas_syrkx_herkx_restricted_kernelIl19rocblas_complex_numIdELi16ELi32ELi8ELi1ELi0ELb1ELc84ELc76EKPKS1_KPS1_EviT_PT9_S7_lS9_S7_lPT10_S7_li
    .private_segment_fixed_size: 0
    .sgpr_count:     24
    .sgpr_spill_count: 0
    .symbol:         _ZL37rocblas_syrkx_herkx_restricted_kernelIl19rocblas_complex_numIdELi16ELi32ELi8ELi1ELi0ELb1ELc84ELc76EKPKS1_KPS1_EviT_PT9_S7_lS9_S7_lPT10_S7_li.kd
    .uniform_work_group_size: 1
    .uses_dynamic_stack: false
    .vgpr_count:     52
    .vgpr_spill_count: 0
    .wavefront_size: 64
  - .args:
      - .offset:         0
        .size:           4
        .value_kind:     by_value
      - .offset:         8
        .size:           8
        .value_kind:     by_value
      - .address_space:  global
        .offset:         16
        .size:           8
        .value_kind:     global_buffer
      - .offset:         24
        .size:           8
        .value_kind:     by_value
      - .offset:         32
        .size:           8
        .value_kind:     by_value
      - .address_space:  global
        .offset:         40
        .size:           8
        .value_kind:     global_buffer
      - .offset:         48
        .size:           8
        .value_kind:     by_value
      - .offset:         56
        .size:           8
        .value_kind:     by_value
      - .address_space:  global
        .offset:         64
        .size:           8
        .value_kind:     global_buffer
      - .offset:         72
        .size:           8
        .value_kind:     by_value
      - .offset:         80
        .size:           8
        .value_kind:     by_value
      - .offset:         88
        .size:           4
        .value_kind:     by_value
    .group_segment_fixed_size: 8192
    .kernarg_segment_align: 8
    .kernarg_segment_size: 92
    .language:       OpenCL C
    .language_version:
      - 2
      - 0
    .max_flat_workgroup_size: 256
    .name:           _ZL37rocblas_syrkx_herkx_restricted_kernelIl19rocblas_complex_numIdELi16ELi32ELi8ELi1ELi0ELb1ELc67ELc76EKPKS1_KPS1_EviT_PT9_S7_lS9_S7_lPT10_S7_li
    .private_segment_fixed_size: 0
    .sgpr_count:     24
    .sgpr_spill_count: 0
    .symbol:         _ZL37rocblas_syrkx_herkx_restricted_kernelIl19rocblas_complex_numIdELi16ELi32ELi8ELi1ELi0ELb1ELc67ELc76EKPKS1_KPS1_EviT_PT9_S7_lS9_S7_lPT10_S7_li.kd
    .uniform_work_group_size: 1
    .uses_dynamic_stack: false
    .vgpr_count:     52
    .vgpr_spill_count: 0
    .wavefront_size: 64
  - .args:
      - .offset:         0
        .size:           4
        .value_kind:     by_value
      - .offset:         8
        .size:           8
        .value_kind:     by_value
      - .address_space:  global
        .offset:         16
        .size:           8
        .value_kind:     global_buffer
      - .offset:         24
        .size:           8
        .value_kind:     by_value
      - .offset:         32
        .size:           8
        .value_kind:     by_value
      - .address_space:  global
        .offset:         40
        .size:           8
        .value_kind:     global_buffer
      - .offset:         48
        .size:           8
        .value_kind:     by_value
      - .offset:         56
        .size:           8
        .value_kind:     by_value
      - .address_space:  global
        .offset:         64
        .size:           8
        .value_kind:     global_buffer
      - .offset:         72
        .size:           8
        .value_kind:     by_value
      - .offset:         80
        .size:           8
        .value_kind:     by_value
      - .offset:         88
        .size:           4
        .value_kind:     by_value
    .group_segment_fixed_size: 8192
    .kernarg_segment_align: 8
    .kernarg_segment_size: 92
    .language:       OpenCL C
    .language_version:
      - 2
      - 0
    .max_flat_workgroup_size: 256
    .name:           _ZL37rocblas_syrkx_herkx_restricted_kernelIl19rocblas_complex_numIdELi16ELi32ELi8ELi1ELi0ELb1ELc78ELc76EKPKS1_KPS1_EviT_PT9_S7_lS9_S7_lPT10_S7_li
    .private_segment_fixed_size: 0
    .sgpr_count:     26
    .sgpr_spill_count: 0
    .symbol:         _ZL37rocblas_syrkx_herkx_restricted_kernelIl19rocblas_complex_numIdELi16ELi32ELi8ELi1ELi0ELb1ELc78ELc76EKPKS1_KPS1_EviT_PT9_S7_lS9_S7_lPT10_S7_li.kd
    .uniform_work_group_size: 1
    .uses_dynamic_stack: false
    .vgpr_count:     54
    .vgpr_spill_count: 0
    .wavefront_size: 64
  - .args:
      - .offset:         0
        .size:           4
        .value_kind:     by_value
      - .offset:         8
        .size:           8
        .value_kind:     by_value
      - .address_space:  global
        .offset:         16
        .size:           8
        .value_kind:     global_buffer
      - .offset:         24
        .size:           8
        .value_kind:     by_value
      - .offset:         32
        .size:           8
        .value_kind:     by_value
      - .address_space:  global
        .offset:         40
        .size:           8
        .value_kind:     global_buffer
      - .offset:         48
        .size:           8
        .value_kind:     by_value
      - .offset:         56
        .size:           8
        .value_kind:     by_value
      - .address_space:  global
        .offset:         64
        .size:           8
        .value_kind:     global_buffer
      - .offset:         72
        .size:           8
        .value_kind:     by_value
      - .offset:         80
        .size:           8
        .value_kind:     by_value
      - .offset:         88
        .size:           4
        .value_kind:     by_value
    .group_segment_fixed_size: 8192
    .kernarg_segment_align: 8
    .kernarg_segment_size: 92
    .language:       OpenCL C
    .language_version:
      - 2
      - 0
    .max_flat_workgroup_size: 256
    .name:           _ZL37rocblas_syrkx_herkx_restricted_kernelIl19rocblas_complex_numIdELi16ELi32ELi8ELi1ELi0ELb1ELc84ELc85EKPKS1_KPS1_EviT_PT9_S7_lS9_S7_lPT10_S7_li
    .private_segment_fixed_size: 0
    .sgpr_count:     24
    .sgpr_spill_count: 0
    .symbol:         _ZL37rocblas_syrkx_herkx_restricted_kernelIl19rocblas_complex_numIdELi16ELi32ELi8ELi1ELi0ELb1ELc84ELc85EKPKS1_KPS1_EviT_PT9_S7_lS9_S7_lPT10_S7_li.kd
    .uniform_work_group_size: 1
    .uses_dynamic_stack: false
    .vgpr_count:     52
    .vgpr_spill_count: 0
    .wavefront_size: 64
  - .args:
      - .offset:         0
        .size:           4
        .value_kind:     by_value
      - .offset:         8
        .size:           8
        .value_kind:     by_value
      - .address_space:  global
        .offset:         16
        .size:           8
        .value_kind:     global_buffer
      - .offset:         24
        .size:           8
        .value_kind:     by_value
      - .offset:         32
        .size:           8
        .value_kind:     by_value
      - .address_space:  global
        .offset:         40
        .size:           8
        .value_kind:     global_buffer
      - .offset:         48
        .size:           8
        .value_kind:     by_value
      - .offset:         56
        .size:           8
        .value_kind:     by_value
      - .address_space:  global
        .offset:         64
        .size:           8
        .value_kind:     global_buffer
      - .offset:         72
        .size:           8
        .value_kind:     by_value
      - .offset:         80
        .size:           8
        .value_kind:     by_value
      - .offset:         88
        .size:           4
        .value_kind:     by_value
    .group_segment_fixed_size: 8192
    .kernarg_segment_align: 8
    .kernarg_segment_size: 92
    .language:       OpenCL C
    .language_version:
      - 2
      - 0
    .max_flat_workgroup_size: 256
    .name:           _ZL37rocblas_syrkx_herkx_restricted_kernelIl19rocblas_complex_numIdELi16ELi32ELi8ELi1ELi0ELb1ELc67ELc85EKPKS1_KPS1_EviT_PT9_S7_lS9_S7_lPT10_S7_li
    .private_segment_fixed_size: 0
    .sgpr_count:     24
    .sgpr_spill_count: 0
    .symbol:         _ZL37rocblas_syrkx_herkx_restricted_kernelIl19rocblas_complex_numIdELi16ELi32ELi8ELi1ELi0ELb1ELc67ELc85EKPKS1_KPS1_EviT_PT9_S7_lS9_S7_lPT10_S7_li.kd
    .uniform_work_group_size: 1
    .uses_dynamic_stack: false
    .vgpr_count:     52
    .vgpr_spill_count: 0
    .wavefront_size: 64
  - .args:
      - .offset:         0
        .size:           4
        .value_kind:     by_value
      - .offset:         8
        .size:           8
        .value_kind:     by_value
      - .address_space:  global
        .offset:         16
        .size:           8
        .value_kind:     global_buffer
      - .offset:         24
        .size:           8
        .value_kind:     by_value
      - .offset:         32
        .size:           8
        .value_kind:     by_value
      - .address_space:  global
        .offset:         40
        .size:           8
        .value_kind:     global_buffer
      - .offset:         48
        .size:           8
        .value_kind:     by_value
      - .offset:         56
        .size:           8
        .value_kind:     by_value
      - .address_space:  global
        .offset:         64
        .size:           8
        .value_kind:     global_buffer
      - .offset:         72
        .size:           8
        .value_kind:     by_value
      - .offset:         80
        .size:           8
        .value_kind:     by_value
      - .offset:         88
        .size:           4
        .value_kind:     by_value
    .group_segment_fixed_size: 8192
    .kernarg_segment_align: 8
    .kernarg_segment_size: 92
    .language:       OpenCL C
    .language_version:
      - 2
      - 0
    .max_flat_workgroup_size: 256
    .name:           _ZL37rocblas_syrkx_herkx_restricted_kernelIl19rocblas_complex_numIdELi16ELi32ELi8ELi1ELi0ELb1ELc78ELc85EKPKS1_KPS1_EviT_PT9_S7_lS9_S7_lPT10_S7_li
    .private_segment_fixed_size: 0
    .sgpr_count:     26
    .sgpr_spill_count: 0
    .symbol:         _ZL37rocblas_syrkx_herkx_restricted_kernelIl19rocblas_complex_numIdELi16ELi32ELi8ELi1ELi0ELb1ELc78ELc85EKPKS1_KPS1_EviT_PT9_S7_lS9_S7_lPT10_S7_li.kd
    .uniform_work_group_size: 1
    .uses_dynamic_stack: false
    .vgpr_count:     54
    .vgpr_spill_count: 0
    .wavefront_size: 64
  - .args:
      - .offset:         0
        .size:           4
        .value_kind:     by_value
      - .offset:         8
        .size:           8
        .value_kind:     by_value
      - .address_space:  global
        .offset:         16
        .size:           8
        .value_kind:     global_buffer
      - .offset:         24
        .size:           8
        .value_kind:     by_value
      - .offset:         32
        .size:           8
        .value_kind:     by_value
      - .address_space:  global
        .offset:         40
        .size:           8
        .value_kind:     global_buffer
      - .offset:         48
        .size:           8
        .value_kind:     by_value
      - .offset:         56
        .size:           8
        .value_kind:     by_value
      - .address_space:  global
        .offset:         64
        .size:           8
        .value_kind:     global_buffer
      - .offset:         72
        .size:           8
        .value_kind:     by_value
      - .offset:         80
        .size:           8
        .value_kind:     by_value
      - .offset:         88
        .size:           4
        .value_kind:     by_value
    .group_segment_fixed_size: 8192
    .kernarg_segment_align: 8
    .kernarg_segment_size: 92
    .language:       OpenCL C
    .language_version:
      - 2
      - 0
    .max_flat_workgroup_size: 256
    .name:           _ZL37rocblas_syrkx_herkx_restricted_kernelIl19rocblas_complex_numIdELi16ELi32ELi8ELin1ELi0ELb1ELc84ELc76EKPKS1_KPS1_EviT_PT9_S7_lS9_S7_lPT10_S7_li
    .private_segment_fixed_size: 0
    .sgpr_count:     24
    .sgpr_spill_count: 0
    .symbol:         _ZL37rocblas_syrkx_herkx_restricted_kernelIl19rocblas_complex_numIdELi16ELi32ELi8ELin1ELi0ELb1ELc84ELc76EKPKS1_KPS1_EviT_PT9_S7_lS9_S7_lPT10_S7_li.kd
    .uniform_work_group_size: 1
    .uses_dynamic_stack: false
    .vgpr_count:     52
    .vgpr_spill_count: 0
    .wavefront_size: 64
  - .args:
      - .offset:         0
        .size:           4
        .value_kind:     by_value
      - .offset:         8
        .size:           8
        .value_kind:     by_value
      - .address_space:  global
        .offset:         16
        .size:           8
        .value_kind:     global_buffer
      - .offset:         24
        .size:           8
        .value_kind:     by_value
      - .offset:         32
        .size:           8
        .value_kind:     by_value
      - .address_space:  global
        .offset:         40
        .size:           8
        .value_kind:     global_buffer
      - .offset:         48
        .size:           8
        .value_kind:     by_value
      - .offset:         56
        .size:           8
        .value_kind:     by_value
      - .address_space:  global
        .offset:         64
        .size:           8
        .value_kind:     global_buffer
      - .offset:         72
        .size:           8
        .value_kind:     by_value
      - .offset:         80
        .size:           8
        .value_kind:     by_value
      - .offset:         88
        .size:           4
        .value_kind:     by_value
    .group_segment_fixed_size: 8192
    .kernarg_segment_align: 8
    .kernarg_segment_size: 92
    .language:       OpenCL C
    .language_version:
      - 2
      - 0
    .max_flat_workgroup_size: 256
    .name:           _ZL37rocblas_syrkx_herkx_restricted_kernelIl19rocblas_complex_numIdELi16ELi32ELi8ELin1ELi0ELb1ELc67ELc76EKPKS1_KPS1_EviT_PT9_S7_lS9_S7_lPT10_S7_li
    .private_segment_fixed_size: 0
    .sgpr_count:     24
    .sgpr_spill_count: 0
    .symbol:         _ZL37rocblas_syrkx_herkx_restricted_kernelIl19rocblas_complex_numIdELi16ELi32ELi8ELin1ELi0ELb1ELc67ELc76EKPKS1_KPS1_EviT_PT9_S7_lS9_S7_lPT10_S7_li.kd
    .uniform_work_group_size: 1
    .uses_dynamic_stack: false
    .vgpr_count:     52
    .vgpr_spill_count: 0
    .wavefront_size: 64
  - .args:
      - .offset:         0
        .size:           4
        .value_kind:     by_value
      - .offset:         8
        .size:           8
        .value_kind:     by_value
      - .address_space:  global
        .offset:         16
        .size:           8
        .value_kind:     global_buffer
      - .offset:         24
        .size:           8
        .value_kind:     by_value
      - .offset:         32
        .size:           8
        .value_kind:     by_value
      - .address_space:  global
        .offset:         40
        .size:           8
        .value_kind:     global_buffer
      - .offset:         48
        .size:           8
        .value_kind:     by_value
      - .offset:         56
        .size:           8
        .value_kind:     by_value
      - .address_space:  global
        .offset:         64
        .size:           8
        .value_kind:     global_buffer
      - .offset:         72
        .size:           8
        .value_kind:     by_value
      - .offset:         80
        .size:           8
        .value_kind:     by_value
      - .offset:         88
        .size:           4
        .value_kind:     by_value
    .group_segment_fixed_size: 8192
    .kernarg_segment_align: 8
    .kernarg_segment_size: 92
    .language:       OpenCL C
    .language_version:
      - 2
      - 0
    .max_flat_workgroup_size: 256
    .name:           _ZL37rocblas_syrkx_herkx_restricted_kernelIl19rocblas_complex_numIdELi16ELi32ELi8ELin1ELi0ELb1ELc78ELc76EKPKS1_KPS1_EviT_PT9_S7_lS9_S7_lPT10_S7_li
    .private_segment_fixed_size: 0
    .sgpr_count:     26
    .sgpr_spill_count: 0
    .symbol:         _ZL37rocblas_syrkx_herkx_restricted_kernelIl19rocblas_complex_numIdELi16ELi32ELi8ELin1ELi0ELb1ELc78ELc76EKPKS1_KPS1_EviT_PT9_S7_lS9_S7_lPT10_S7_li.kd
    .uniform_work_group_size: 1
    .uses_dynamic_stack: false
    .vgpr_count:     54
    .vgpr_spill_count: 0
    .wavefront_size: 64
  - .args:
      - .offset:         0
        .size:           4
        .value_kind:     by_value
      - .offset:         8
        .size:           8
        .value_kind:     by_value
      - .address_space:  global
        .offset:         16
        .size:           8
        .value_kind:     global_buffer
      - .offset:         24
        .size:           8
        .value_kind:     by_value
      - .offset:         32
        .size:           8
        .value_kind:     by_value
      - .address_space:  global
        .offset:         40
        .size:           8
        .value_kind:     global_buffer
      - .offset:         48
        .size:           8
        .value_kind:     by_value
      - .offset:         56
        .size:           8
        .value_kind:     by_value
      - .address_space:  global
        .offset:         64
        .size:           8
        .value_kind:     global_buffer
      - .offset:         72
        .size:           8
        .value_kind:     by_value
      - .offset:         80
        .size:           8
        .value_kind:     by_value
      - .offset:         88
        .size:           4
        .value_kind:     by_value
    .group_segment_fixed_size: 8192
    .kernarg_segment_align: 8
    .kernarg_segment_size: 92
    .language:       OpenCL C
    .language_version:
      - 2
      - 0
    .max_flat_workgroup_size: 256
    .name:           _ZL37rocblas_syrkx_herkx_restricted_kernelIl19rocblas_complex_numIdELi16ELi32ELi8ELin1ELi0ELb1ELc84ELc85EKPKS1_KPS1_EviT_PT9_S7_lS9_S7_lPT10_S7_li
    .private_segment_fixed_size: 0
    .sgpr_count:     24
    .sgpr_spill_count: 0
    .symbol:         _ZL37rocblas_syrkx_herkx_restricted_kernelIl19rocblas_complex_numIdELi16ELi32ELi8ELin1ELi0ELb1ELc84ELc85EKPKS1_KPS1_EviT_PT9_S7_lS9_S7_lPT10_S7_li.kd
    .uniform_work_group_size: 1
    .uses_dynamic_stack: false
    .vgpr_count:     52
    .vgpr_spill_count: 0
    .wavefront_size: 64
  - .args:
      - .offset:         0
        .size:           4
        .value_kind:     by_value
      - .offset:         8
        .size:           8
        .value_kind:     by_value
      - .address_space:  global
        .offset:         16
        .size:           8
        .value_kind:     global_buffer
      - .offset:         24
        .size:           8
        .value_kind:     by_value
      - .offset:         32
        .size:           8
        .value_kind:     by_value
      - .address_space:  global
        .offset:         40
        .size:           8
        .value_kind:     global_buffer
      - .offset:         48
        .size:           8
        .value_kind:     by_value
      - .offset:         56
        .size:           8
        .value_kind:     by_value
      - .address_space:  global
        .offset:         64
        .size:           8
        .value_kind:     global_buffer
      - .offset:         72
        .size:           8
        .value_kind:     by_value
      - .offset:         80
        .size:           8
        .value_kind:     by_value
      - .offset:         88
        .size:           4
        .value_kind:     by_value
    .group_segment_fixed_size: 8192
    .kernarg_segment_align: 8
    .kernarg_segment_size: 92
    .language:       OpenCL C
    .language_version:
      - 2
      - 0
    .max_flat_workgroup_size: 256
    .name:           _ZL37rocblas_syrkx_herkx_restricted_kernelIl19rocblas_complex_numIdELi16ELi32ELi8ELin1ELi0ELb1ELc67ELc85EKPKS1_KPS1_EviT_PT9_S7_lS9_S7_lPT10_S7_li
    .private_segment_fixed_size: 0
    .sgpr_count:     24
    .sgpr_spill_count: 0
    .symbol:         _ZL37rocblas_syrkx_herkx_restricted_kernelIl19rocblas_complex_numIdELi16ELi32ELi8ELin1ELi0ELb1ELc67ELc85EKPKS1_KPS1_EviT_PT9_S7_lS9_S7_lPT10_S7_li.kd
    .uniform_work_group_size: 1
    .uses_dynamic_stack: false
    .vgpr_count:     52
    .vgpr_spill_count: 0
    .wavefront_size: 64
  - .args:
      - .offset:         0
        .size:           4
        .value_kind:     by_value
      - .offset:         8
        .size:           8
        .value_kind:     by_value
      - .address_space:  global
        .offset:         16
        .size:           8
        .value_kind:     global_buffer
      - .offset:         24
        .size:           8
        .value_kind:     by_value
      - .offset:         32
        .size:           8
        .value_kind:     by_value
      - .address_space:  global
        .offset:         40
        .size:           8
        .value_kind:     global_buffer
      - .offset:         48
        .size:           8
        .value_kind:     by_value
      - .offset:         56
        .size:           8
        .value_kind:     by_value
      - .address_space:  global
        .offset:         64
        .size:           8
        .value_kind:     global_buffer
      - .offset:         72
        .size:           8
        .value_kind:     by_value
      - .offset:         80
        .size:           8
        .value_kind:     by_value
      - .offset:         88
        .size:           4
        .value_kind:     by_value
    .group_segment_fixed_size: 8192
    .kernarg_segment_align: 8
    .kernarg_segment_size: 92
    .language:       OpenCL C
    .language_version:
      - 2
      - 0
    .max_flat_workgroup_size: 256
    .name:           _ZL37rocblas_syrkx_herkx_restricted_kernelIl19rocblas_complex_numIdELi16ELi32ELi8ELin1ELi0ELb1ELc78ELc85EKPKS1_KPS1_EviT_PT9_S7_lS9_S7_lPT10_S7_li
    .private_segment_fixed_size: 0
    .sgpr_count:     26
    .sgpr_spill_count: 0
    .symbol:         _ZL37rocblas_syrkx_herkx_restricted_kernelIl19rocblas_complex_numIdELi16ELi32ELi8ELin1ELi0ELb1ELc78ELc85EKPKS1_KPS1_EviT_PT9_S7_lS9_S7_lPT10_S7_li.kd
    .uniform_work_group_size: 1
    .uses_dynamic_stack: false
    .vgpr_count:     54
    .vgpr_spill_count: 0
    .wavefront_size: 64
  - .args:
      - .offset:         0
        .size:           4
        .value_kind:     by_value
      - .offset:         8
        .size:           8
        .value_kind:     by_value
      - .offset:         16
        .size:           16
        .value_kind:     by_value
      - .address_space:  global
        .offset:         32
        .size:           8
        .value_kind:     global_buffer
      - .offset:         40
        .size:           8
        .value_kind:     by_value
      - .offset:         48
        .size:           8
        .value_kind:     by_value
      - .address_space:  global
        .offset:         56
        .size:           8
        .value_kind:     global_buffer
      - .offset:         64
        .size:           8
        .value_kind:     by_value
      - .offset:         72
        .size:           8
        .value_kind:     by_value
      - .offset:         80
        .size:           16
        .value_kind:     by_value
      - .address_space:  global
        .offset:         96
        .size:           8
        .value_kind:     global_buffer
      - .offset:         104
        .size:           8
        .value_kind:     by_value
      - .offset:         112
        .size:           8
        .value_kind:     by_value
      - .offset:         120
        .size:           4
        .value_kind:     by_value
    .group_segment_fixed_size: 8192
    .kernarg_segment_align: 8
    .kernarg_segment_size: 124
    .language:       OpenCL C
    .language_version:
      - 2
      - 0
    .max_flat_workgroup_size: 256
    .name:           _ZL37rocblas_syrkx_herkx_restricted_kernelIl19rocblas_complex_numIdELi16ELi32ELi8ELb1ELb1ELc84ELc76EKPKS1_KPS1_EviT_T0_PT8_S7_lSA_S7_lS8_PT9_S7_li
    .private_segment_fixed_size: 0
    .sgpr_count:     32
    .sgpr_spill_count: 0
    .symbol:         _ZL37rocblas_syrkx_herkx_restricted_kernelIl19rocblas_complex_numIdELi16ELi32ELi8ELb1ELb1ELc84ELc76EKPKS1_KPS1_EviT_T0_PT8_S7_lSA_S7_lS8_PT9_S7_li.kd
    .uniform_work_group_size: 1
    .uses_dynamic_stack: false
    .vgpr_count:     52
    .vgpr_spill_count: 0
    .wavefront_size: 64
  - .args:
      - .offset:         0
        .size:           4
        .value_kind:     by_value
      - .offset:         8
        .size:           8
        .value_kind:     by_value
      - .offset:         16
        .size:           16
        .value_kind:     by_value
      - .address_space:  global
        .offset:         32
        .size:           8
        .value_kind:     global_buffer
      - .offset:         40
        .size:           8
        .value_kind:     by_value
      - .offset:         48
        .size:           8
        .value_kind:     by_value
      - .address_space:  global
        .offset:         56
        .size:           8
        .value_kind:     global_buffer
      - .offset:         64
        .size:           8
        .value_kind:     by_value
      - .offset:         72
        .size:           8
        .value_kind:     by_value
      - .offset:         80
        .size:           16
        .value_kind:     by_value
      - .address_space:  global
        .offset:         96
        .size:           8
        .value_kind:     global_buffer
      - .offset:         104
        .size:           8
        .value_kind:     by_value
      - .offset:         112
        .size:           8
        .value_kind:     by_value
      - .offset:         120
        .size:           4
        .value_kind:     by_value
    .group_segment_fixed_size: 8192
    .kernarg_segment_align: 8
    .kernarg_segment_size: 124
    .language:       OpenCL C
    .language_version:
      - 2
      - 0
    .max_flat_workgroup_size: 256
    .name:           _ZL37rocblas_syrkx_herkx_restricted_kernelIl19rocblas_complex_numIdELi16ELi32ELi8ELb1ELb1ELc67ELc76EKPKS1_KPS1_EviT_T0_PT8_S7_lSA_S7_lS8_PT9_S7_li
    .private_segment_fixed_size: 0
    .sgpr_count:     32
    .sgpr_spill_count: 0
    .symbol:         _ZL37rocblas_syrkx_herkx_restricted_kernelIl19rocblas_complex_numIdELi16ELi32ELi8ELb1ELb1ELc67ELc76EKPKS1_KPS1_EviT_T0_PT8_S7_lSA_S7_lS8_PT9_S7_li.kd
    .uniform_work_group_size: 1
    .uses_dynamic_stack: false
    .vgpr_count:     52
    .vgpr_spill_count: 0
    .wavefront_size: 64
  - .args:
      - .offset:         0
        .size:           4
        .value_kind:     by_value
      - .offset:         8
        .size:           8
        .value_kind:     by_value
      - .offset:         16
        .size:           16
        .value_kind:     by_value
      - .address_space:  global
        .offset:         32
        .size:           8
        .value_kind:     global_buffer
      - .offset:         40
        .size:           8
        .value_kind:     by_value
      - .offset:         48
        .size:           8
        .value_kind:     by_value
      - .address_space:  global
        .offset:         56
        .size:           8
        .value_kind:     global_buffer
      - .offset:         64
        .size:           8
        .value_kind:     by_value
      - .offset:         72
        .size:           8
        .value_kind:     by_value
      - .offset:         80
        .size:           16
        .value_kind:     by_value
      - .address_space:  global
        .offset:         96
        .size:           8
        .value_kind:     global_buffer
      - .offset:         104
        .size:           8
        .value_kind:     by_value
      - .offset:         112
        .size:           8
        .value_kind:     by_value
      - .offset:         120
        .size:           4
        .value_kind:     by_value
    .group_segment_fixed_size: 8192
    .kernarg_segment_align: 8
    .kernarg_segment_size: 124
    .language:       OpenCL C
    .language_version:
      - 2
      - 0
    .max_flat_workgroup_size: 256
    .name:           _ZL37rocblas_syrkx_herkx_restricted_kernelIl19rocblas_complex_numIdELi16ELi32ELi8ELb1ELb1ELc78ELc76EKPKS1_KPS1_EviT_T0_PT8_S7_lSA_S7_lS8_PT9_S7_li
    .private_segment_fixed_size: 0
    .sgpr_count:     30
    .sgpr_spill_count: 0
    .symbol:         _ZL37rocblas_syrkx_herkx_restricted_kernelIl19rocblas_complex_numIdELi16ELi32ELi8ELb1ELb1ELc78ELc76EKPKS1_KPS1_EviT_T0_PT8_S7_lSA_S7_lS8_PT9_S7_li.kd
    .uniform_work_group_size: 1
    .uses_dynamic_stack: false
    .vgpr_count:     54
    .vgpr_spill_count: 0
    .wavefront_size: 64
  - .args:
      - .offset:         0
        .size:           4
        .value_kind:     by_value
      - .offset:         8
        .size:           8
        .value_kind:     by_value
      - .offset:         16
        .size:           16
        .value_kind:     by_value
      - .address_space:  global
        .offset:         32
        .size:           8
        .value_kind:     global_buffer
      - .offset:         40
        .size:           8
        .value_kind:     by_value
      - .offset:         48
        .size:           8
        .value_kind:     by_value
      - .address_space:  global
        .offset:         56
        .size:           8
        .value_kind:     global_buffer
      - .offset:         64
        .size:           8
        .value_kind:     by_value
      - .offset:         72
        .size:           8
        .value_kind:     by_value
      - .offset:         80
        .size:           16
        .value_kind:     by_value
      - .address_space:  global
        .offset:         96
        .size:           8
        .value_kind:     global_buffer
      - .offset:         104
        .size:           8
        .value_kind:     by_value
      - .offset:         112
        .size:           8
        .value_kind:     by_value
      - .offset:         120
        .size:           4
        .value_kind:     by_value
    .group_segment_fixed_size: 8192
    .kernarg_segment_align: 8
    .kernarg_segment_size: 124
    .language:       OpenCL C
    .language_version:
      - 2
      - 0
    .max_flat_workgroup_size: 256
    .name:           _ZL37rocblas_syrkx_herkx_restricted_kernelIl19rocblas_complex_numIdELi16ELi32ELi8ELb1ELb1ELc84ELc85EKPKS1_KPS1_EviT_T0_PT8_S7_lSA_S7_lS8_PT9_S7_li
    .private_segment_fixed_size: 0
    .sgpr_count:     32
    .sgpr_spill_count: 0
    .symbol:         _ZL37rocblas_syrkx_herkx_restricted_kernelIl19rocblas_complex_numIdELi16ELi32ELi8ELb1ELb1ELc84ELc85EKPKS1_KPS1_EviT_T0_PT8_S7_lSA_S7_lS8_PT9_S7_li.kd
    .uniform_work_group_size: 1
    .uses_dynamic_stack: false
    .vgpr_count:     52
    .vgpr_spill_count: 0
    .wavefront_size: 64
  - .args:
      - .offset:         0
        .size:           4
        .value_kind:     by_value
      - .offset:         8
        .size:           8
        .value_kind:     by_value
      - .offset:         16
        .size:           16
        .value_kind:     by_value
      - .address_space:  global
        .offset:         32
        .size:           8
        .value_kind:     global_buffer
      - .offset:         40
        .size:           8
        .value_kind:     by_value
      - .offset:         48
        .size:           8
        .value_kind:     by_value
      - .address_space:  global
        .offset:         56
        .size:           8
        .value_kind:     global_buffer
      - .offset:         64
        .size:           8
        .value_kind:     by_value
      - .offset:         72
        .size:           8
        .value_kind:     by_value
      - .offset:         80
        .size:           16
        .value_kind:     by_value
      - .address_space:  global
        .offset:         96
        .size:           8
        .value_kind:     global_buffer
      - .offset:         104
        .size:           8
        .value_kind:     by_value
      - .offset:         112
        .size:           8
        .value_kind:     by_value
      - .offset:         120
        .size:           4
        .value_kind:     by_value
    .group_segment_fixed_size: 8192
    .kernarg_segment_align: 8
    .kernarg_segment_size: 124
    .language:       OpenCL C
    .language_version:
      - 2
      - 0
    .max_flat_workgroup_size: 256
    .name:           _ZL37rocblas_syrkx_herkx_restricted_kernelIl19rocblas_complex_numIdELi16ELi32ELi8ELb1ELb1ELc67ELc85EKPKS1_KPS1_EviT_T0_PT8_S7_lSA_S7_lS8_PT9_S7_li
    .private_segment_fixed_size: 0
    .sgpr_count:     32
    .sgpr_spill_count: 0
    .symbol:         _ZL37rocblas_syrkx_herkx_restricted_kernelIl19rocblas_complex_numIdELi16ELi32ELi8ELb1ELb1ELc67ELc85EKPKS1_KPS1_EviT_T0_PT8_S7_lSA_S7_lS8_PT9_S7_li.kd
    .uniform_work_group_size: 1
    .uses_dynamic_stack: false
    .vgpr_count:     52
    .vgpr_spill_count: 0
    .wavefront_size: 64
  - .args:
      - .offset:         0
        .size:           4
        .value_kind:     by_value
      - .offset:         8
        .size:           8
        .value_kind:     by_value
      - .offset:         16
        .size:           16
        .value_kind:     by_value
      - .address_space:  global
        .offset:         32
        .size:           8
        .value_kind:     global_buffer
      - .offset:         40
        .size:           8
        .value_kind:     by_value
      - .offset:         48
        .size:           8
        .value_kind:     by_value
      - .address_space:  global
        .offset:         56
        .size:           8
        .value_kind:     global_buffer
      - .offset:         64
        .size:           8
        .value_kind:     by_value
      - .offset:         72
        .size:           8
        .value_kind:     by_value
      - .offset:         80
        .size:           16
        .value_kind:     by_value
      - .address_space:  global
        .offset:         96
        .size:           8
        .value_kind:     global_buffer
      - .offset:         104
        .size:           8
        .value_kind:     by_value
      - .offset:         112
        .size:           8
        .value_kind:     by_value
      - .offset:         120
        .size:           4
        .value_kind:     by_value
    .group_segment_fixed_size: 8192
    .kernarg_segment_align: 8
    .kernarg_segment_size: 124
    .language:       OpenCL C
    .language_version:
      - 2
      - 0
    .max_flat_workgroup_size: 256
    .name:           _ZL37rocblas_syrkx_herkx_restricted_kernelIl19rocblas_complex_numIdELi16ELi32ELi8ELb1ELb1ELc78ELc85EKPKS1_KPS1_EviT_T0_PT8_S7_lSA_S7_lS8_PT9_S7_li
    .private_segment_fixed_size: 0
    .sgpr_count:     32
    .sgpr_spill_count: 0
    .symbol:         _ZL37rocblas_syrkx_herkx_restricted_kernelIl19rocblas_complex_numIdELi16ELi32ELi8ELb1ELb1ELc78ELc85EKPKS1_KPS1_EviT_T0_PT8_S7_lSA_S7_lS8_PT9_S7_li.kd
    .uniform_work_group_size: 1
    .uses_dynamic_stack: false
    .vgpr_count:     54
    .vgpr_spill_count: 0
    .wavefront_size: 64
  - .args:
      - .offset:         0
        .size:           4
        .value_kind:     by_value
      - .offset:         8
        .size:           8
        .value_kind:     by_value
      - .offset:         16
        .size:           16
        .value_kind:     by_value
      - .address_space:  global
        .offset:         32
        .size:           8
        .value_kind:     global_buffer
      - .offset:         40
        .size:           8
        .value_kind:     by_value
      - .offset:         48
        .size:           8
        .value_kind:     by_value
      - .address_space:  global
        .offset:         56
        .size:           8
        .value_kind:     global_buffer
      - .offset:         64
        .size:           8
        .value_kind:     by_value
      - .offset:         72
        .size:           8
        .value_kind:     by_value
      - .offset:         80
        .size:           16
        .value_kind:     by_value
      - .address_space:  global
        .offset:         96
        .size:           8
        .value_kind:     global_buffer
      - .offset:         104
        .size:           8
        .value_kind:     by_value
      - .offset:         112
        .size:           8
        .value_kind:     by_value
      - .offset:         120
        .size:           4
        .value_kind:     by_value
    .group_segment_fixed_size: 8192
    .kernarg_segment_align: 8
    .kernarg_segment_size: 124
    .language:       OpenCL C
    .language_version:
      - 2
      - 0
    .max_flat_workgroup_size: 256
    .name:           _ZL37rocblas_syrkx_herkx_restricted_kernelIl19rocblas_complex_numIdELi16ELi32ELi8ELb0ELb1ELc84ELc76EKPKS1_KPS1_EviT_T0_PT8_S7_lSA_S7_lS8_PT9_S7_li
    .private_segment_fixed_size: 0
    .sgpr_count:     36
    .sgpr_spill_count: 0
    .symbol:         _ZL37rocblas_syrkx_herkx_restricted_kernelIl19rocblas_complex_numIdELi16ELi32ELi8ELb0ELb1ELc84ELc76EKPKS1_KPS1_EviT_T0_PT8_S7_lSA_S7_lS8_PT9_S7_li.kd
    .uniform_work_group_size: 1
    .uses_dynamic_stack: false
    .vgpr_count:     52
    .vgpr_spill_count: 0
    .wavefront_size: 64
  - .args:
      - .offset:         0
        .size:           4
        .value_kind:     by_value
      - .offset:         8
        .size:           8
        .value_kind:     by_value
      - .offset:         16
        .size:           16
        .value_kind:     by_value
      - .address_space:  global
        .offset:         32
        .size:           8
        .value_kind:     global_buffer
      - .offset:         40
        .size:           8
        .value_kind:     by_value
      - .offset:         48
        .size:           8
        .value_kind:     by_value
      - .address_space:  global
        .offset:         56
        .size:           8
        .value_kind:     global_buffer
      - .offset:         64
        .size:           8
        .value_kind:     by_value
      - .offset:         72
        .size:           8
        .value_kind:     by_value
      - .offset:         80
        .size:           16
        .value_kind:     by_value
      - .address_space:  global
        .offset:         96
        .size:           8
        .value_kind:     global_buffer
      - .offset:         104
        .size:           8
        .value_kind:     by_value
      - .offset:         112
        .size:           8
        .value_kind:     by_value
      - .offset:         120
        .size:           4
        .value_kind:     by_value
    .group_segment_fixed_size: 8192
    .kernarg_segment_align: 8
    .kernarg_segment_size: 124
    .language:       OpenCL C
    .language_version:
      - 2
      - 0
    .max_flat_workgroup_size: 256
    .name:           _ZL37rocblas_syrkx_herkx_restricted_kernelIl19rocblas_complex_numIdELi16ELi32ELi8ELb0ELb1ELc67ELc76EKPKS1_KPS1_EviT_T0_PT8_S7_lSA_S7_lS8_PT9_S7_li
    .private_segment_fixed_size: 0
    .sgpr_count:     36
    .sgpr_spill_count: 0
    .symbol:         _ZL37rocblas_syrkx_herkx_restricted_kernelIl19rocblas_complex_numIdELi16ELi32ELi8ELb0ELb1ELc67ELc76EKPKS1_KPS1_EviT_T0_PT8_S7_lSA_S7_lS8_PT9_S7_li.kd
    .uniform_work_group_size: 1
    .uses_dynamic_stack: false
    .vgpr_count:     52
    .vgpr_spill_count: 0
    .wavefront_size: 64
  - .args:
      - .offset:         0
        .size:           4
        .value_kind:     by_value
      - .offset:         8
        .size:           8
        .value_kind:     by_value
      - .offset:         16
        .size:           16
        .value_kind:     by_value
      - .address_space:  global
        .offset:         32
        .size:           8
        .value_kind:     global_buffer
      - .offset:         40
        .size:           8
        .value_kind:     by_value
      - .offset:         48
        .size:           8
        .value_kind:     by_value
      - .address_space:  global
        .offset:         56
        .size:           8
        .value_kind:     global_buffer
      - .offset:         64
        .size:           8
        .value_kind:     by_value
      - .offset:         72
        .size:           8
        .value_kind:     by_value
      - .offset:         80
        .size:           16
        .value_kind:     by_value
      - .address_space:  global
        .offset:         96
        .size:           8
        .value_kind:     global_buffer
      - .offset:         104
        .size:           8
        .value_kind:     by_value
      - .offset:         112
        .size:           8
        .value_kind:     by_value
      - .offset:         120
        .size:           4
        .value_kind:     by_value
    .group_segment_fixed_size: 8192
    .kernarg_segment_align: 8
    .kernarg_segment_size: 124
    .language:       OpenCL C
    .language_version:
      - 2
      - 0
    .max_flat_workgroup_size: 256
    .name:           _ZL37rocblas_syrkx_herkx_restricted_kernelIl19rocblas_complex_numIdELi16ELi32ELi8ELb0ELb1ELc78ELc76EKPKS1_KPS1_EviT_T0_PT8_S7_lSA_S7_lS8_PT9_S7_li
    .private_segment_fixed_size: 0
    .sgpr_count:     34
    .sgpr_spill_count: 0
    .symbol:         _ZL37rocblas_syrkx_herkx_restricted_kernelIl19rocblas_complex_numIdELi16ELi32ELi8ELb0ELb1ELc78ELc76EKPKS1_KPS1_EviT_T0_PT8_S7_lSA_S7_lS8_PT9_S7_li.kd
    .uniform_work_group_size: 1
    .uses_dynamic_stack: false
    .vgpr_count:     54
    .vgpr_spill_count: 0
    .wavefront_size: 64
  - .args:
      - .offset:         0
        .size:           4
        .value_kind:     by_value
      - .offset:         8
        .size:           8
        .value_kind:     by_value
      - .offset:         16
        .size:           16
        .value_kind:     by_value
      - .address_space:  global
        .offset:         32
        .size:           8
        .value_kind:     global_buffer
      - .offset:         40
        .size:           8
        .value_kind:     by_value
      - .offset:         48
        .size:           8
        .value_kind:     by_value
      - .address_space:  global
        .offset:         56
        .size:           8
        .value_kind:     global_buffer
      - .offset:         64
        .size:           8
        .value_kind:     by_value
      - .offset:         72
        .size:           8
        .value_kind:     by_value
      - .offset:         80
        .size:           16
        .value_kind:     by_value
      - .address_space:  global
        .offset:         96
        .size:           8
        .value_kind:     global_buffer
      - .offset:         104
        .size:           8
        .value_kind:     by_value
      - .offset:         112
        .size:           8
        .value_kind:     by_value
      - .offset:         120
        .size:           4
        .value_kind:     by_value
    .group_segment_fixed_size: 8192
    .kernarg_segment_align: 8
    .kernarg_segment_size: 124
    .language:       OpenCL C
    .language_version:
      - 2
      - 0
    .max_flat_workgroup_size: 256
    .name:           _ZL37rocblas_syrkx_herkx_restricted_kernelIl19rocblas_complex_numIdELi16ELi32ELi8ELb0ELb1ELc84ELc85EKPKS1_KPS1_EviT_T0_PT8_S7_lSA_S7_lS8_PT9_S7_li
    .private_segment_fixed_size: 0
    .sgpr_count:     36
    .sgpr_spill_count: 0
    .symbol:         _ZL37rocblas_syrkx_herkx_restricted_kernelIl19rocblas_complex_numIdELi16ELi32ELi8ELb0ELb1ELc84ELc85EKPKS1_KPS1_EviT_T0_PT8_S7_lSA_S7_lS8_PT9_S7_li.kd
    .uniform_work_group_size: 1
    .uses_dynamic_stack: false
    .vgpr_count:     52
    .vgpr_spill_count: 0
    .wavefront_size: 64
  - .args:
      - .offset:         0
        .size:           4
        .value_kind:     by_value
      - .offset:         8
        .size:           8
        .value_kind:     by_value
      - .offset:         16
        .size:           16
        .value_kind:     by_value
      - .address_space:  global
        .offset:         32
        .size:           8
        .value_kind:     global_buffer
      - .offset:         40
        .size:           8
        .value_kind:     by_value
      - .offset:         48
        .size:           8
        .value_kind:     by_value
      - .address_space:  global
        .offset:         56
        .size:           8
        .value_kind:     global_buffer
      - .offset:         64
        .size:           8
        .value_kind:     by_value
      - .offset:         72
        .size:           8
        .value_kind:     by_value
      - .offset:         80
        .size:           16
        .value_kind:     by_value
      - .address_space:  global
        .offset:         96
        .size:           8
        .value_kind:     global_buffer
      - .offset:         104
        .size:           8
        .value_kind:     by_value
      - .offset:         112
        .size:           8
        .value_kind:     by_value
      - .offset:         120
        .size:           4
        .value_kind:     by_value
    .group_segment_fixed_size: 8192
    .kernarg_segment_align: 8
    .kernarg_segment_size: 124
    .language:       OpenCL C
    .language_version:
      - 2
      - 0
    .max_flat_workgroup_size: 256
    .name:           _ZL37rocblas_syrkx_herkx_restricted_kernelIl19rocblas_complex_numIdELi16ELi32ELi8ELb0ELb1ELc67ELc85EKPKS1_KPS1_EviT_T0_PT8_S7_lSA_S7_lS8_PT9_S7_li
    .private_segment_fixed_size: 0
    .sgpr_count:     36
    .sgpr_spill_count: 0
    .symbol:         _ZL37rocblas_syrkx_herkx_restricted_kernelIl19rocblas_complex_numIdELi16ELi32ELi8ELb0ELb1ELc67ELc85EKPKS1_KPS1_EviT_T0_PT8_S7_lSA_S7_lS8_PT9_S7_li.kd
    .uniform_work_group_size: 1
    .uses_dynamic_stack: false
    .vgpr_count:     52
    .vgpr_spill_count: 0
    .wavefront_size: 64
  - .args:
      - .offset:         0
        .size:           4
        .value_kind:     by_value
      - .offset:         8
        .size:           8
        .value_kind:     by_value
      - .offset:         16
        .size:           16
        .value_kind:     by_value
      - .address_space:  global
        .offset:         32
        .size:           8
        .value_kind:     global_buffer
      - .offset:         40
        .size:           8
        .value_kind:     by_value
      - .offset:         48
        .size:           8
        .value_kind:     by_value
      - .address_space:  global
        .offset:         56
        .size:           8
        .value_kind:     global_buffer
      - .offset:         64
        .size:           8
        .value_kind:     by_value
      - .offset:         72
        .size:           8
        .value_kind:     by_value
      - .offset:         80
        .size:           16
        .value_kind:     by_value
      - .address_space:  global
        .offset:         96
        .size:           8
        .value_kind:     global_buffer
      - .offset:         104
        .size:           8
        .value_kind:     by_value
      - .offset:         112
        .size:           8
        .value_kind:     by_value
      - .offset:         120
        .size:           4
        .value_kind:     by_value
    .group_segment_fixed_size: 8192
    .kernarg_segment_align: 8
    .kernarg_segment_size: 124
    .language:       OpenCL C
    .language_version:
      - 2
      - 0
    .max_flat_workgroup_size: 256
    .name:           _ZL37rocblas_syrkx_herkx_restricted_kernelIl19rocblas_complex_numIdELi16ELi32ELi8ELb0ELb1ELc78ELc85EKPKS1_KPS1_EviT_T0_PT8_S7_lSA_S7_lS8_PT9_S7_li
    .private_segment_fixed_size: 0
    .sgpr_count:     34
    .sgpr_spill_count: 0
    .symbol:         _ZL37rocblas_syrkx_herkx_restricted_kernelIl19rocblas_complex_numIdELi16ELi32ELi8ELb0ELb1ELc78ELc85EKPKS1_KPS1_EviT_T0_PT8_S7_lSA_S7_lS8_PT9_S7_li.kd
    .uniform_work_group_size: 1
    .uses_dynamic_stack: false
    .vgpr_count:     54
    .vgpr_spill_count: 0
    .wavefront_size: 64
  - .args:
      - .offset:         0
        .size:           4
        .value_kind:     by_value
      - .offset:         8
        .size:           8
        .value_kind:     by_value
      - .offset:         16
        .size:           16
        .value_kind:     by_value
      - .address_space:  global
        .offset:         32
        .size:           8
        .value_kind:     global_buffer
      - .offset:         40
        .size:           8
        .value_kind:     by_value
      - .offset:         48
        .size:           8
        .value_kind:     by_value
      - .address_space:  global
        .offset:         56
        .size:           8
        .value_kind:     global_buffer
      - .offset:         64
        .size:           8
        .value_kind:     by_value
      - .offset:         72
        .size:           8
        .value_kind:     by_value
      - .offset:         80
        .size:           16
        .value_kind:     by_value
      - .address_space:  global
        .offset:         96
        .size:           8
        .value_kind:     global_buffer
      - .offset:         104
        .size:           8
        .value_kind:     by_value
      - .offset:         112
        .size:           8
        .value_kind:     by_value
      - .offset:         120
        .size:           4
        .value_kind:     by_value
    .group_segment_fixed_size: 8192
    .kernarg_segment_align: 8
    .kernarg_segment_size: 124
    .language:       OpenCL C
    .language_version:
      - 2
      - 0
    .max_flat_workgroup_size: 256
    .name:           _ZL41rocblas_syrkx_herkx_small_restrict_kernelIl19rocblas_complex_numIdELi16ELb1ELb1ELc84ELc76EKPKS1_KPS1_EviT_T0_PT6_S7_lSA_S7_lS8_PT7_S7_li
    .private_segment_fixed_size: 0
    .sgpr_count:     28
    .sgpr_spill_count: 0
    .symbol:         _ZL41rocblas_syrkx_herkx_small_restrict_kernelIl19rocblas_complex_numIdELi16ELb1ELb1ELc84ELc76EKPKS1_KPS1_EviT_T0_PT6_S7_lSA_S7_lS8_PT7_S7_li.kd
    .uniform_work_group_size: 1
    .uses_dynamic_stack: false
    .vgpr_count:     40
    .vgpr_spill_count: 0
    .wavefront_size: 64
  - .args:
      - .offset:         0
        .size:           4
        .value_kind:     by_value
      - .offset:         8
        .size:           8
        .value_kind:     by_value
      - .offset:         16
        .size:           16
        .value_kind:     by_value
      - .address_space:  global
        .offset:         32
        .size:           8
        .value_kind:     global_buffer
      - .offset:         40
        .size:           8
        .value_kind:     by_value
      - .offset:         48
        .size:           8
        .value_kind:     by_value
      - .address_space:  global
        .offset:         56
        .size:           8
        .value_kind:     global_buffer
      - .offset:         64
        .size:           8
        .value_kind:     by_value
      - .offset:         72
        .size:           8
        .value_kind:     by_value
      - .offset:         80
        .size:           16
        .value_kind:     by_value
      - .address_space:  global
        .offset:         96
        .size:           8
        .value_kind:     global_buffer
      - .offset:         104
        .size:           8
        .value_kind:     by_value
      - .offset:         112
        .size:           8
        .value_kind:     by_value
      - .offset:         120
        .size:           4
        .value_kind:     by_value
    .group_segment_fixed_size: 8192
    .kernarg_segment_align: 8
    .kernarg_segment_size: 124
    .language:       OpenCL C
    .language_version:
      - 2
      - 0
    .max_flat_workgroup_size: 256
    .name:           _ZL41rocblas_syrkx_herkx_small_restrict_kernelIl19rocblas_complex_numIdELi16ELb1ELb1ELc67ELc76EKPKS1_KPS1_EviT_T0_PT6_S7_lSA_S7_lS8_PT7_S7_li
    .private_segment_fixed_size: 0
    .sgpr_count:     28
    .sgpr_spill_count: 0
    .symbol:         _ZL41rocblas_syrkx_herkx_small_restrict_kernelIl19rocblas_complex_numIdELi16ELb1ELb1ELc67ELc76EKPKS1_KPS1_EviT_T0_PT6_S7_lSA_S7_lS8_PT7_S7_li.kd
    .uniform_work_group_size: 1
    .uses_dynamic_stack: false
    .vgpr_count:     40
    .vgpr_spill_count: 0
    .wavefront_size: 64
  - .args:
      - .offset:         0
        .size:           4
        .value_kind:     by_value
      - .offset:         8
        .size:           8
        .value_kind:     by_value
      - .offset:         16
        .size:           16
        .value_kind:     by_value
      - .address_space:  global
        .offset:         32
        .size:           8
        .value_kind:     global_buffer
      - .offset:         40
        .size:           8
        .value_kind:     by_value
      - .offset:         48
        .size:           8
        .value_kind:     by_value
      - .address_space:  global
        .offset:         56
        .size:           8
        .value_kind:     global_buffer
      - .offset:         64
        .size:           8
        .value_kind:     by_value
      - .offset:         72
        .size:           8
        .value_kind:     by_value
      - .offset:         80
        .size:           16
        .value_kind:     by_value
      - .address_space:  global
        .offset:         96
        .size:           8
        .value_kind:     global_buffer
      - .offset:         104
        .size:           8
        .value_kind:     by_value
      - .offset:         112
        .size:           8
        .value_kind:     by_value
      - .offset:         120
        .size:           4
        .value_kind:     by_value
    .group_segment_fixed_size: 8192
    .kernarg_segment_align: 8
    .kernarg_segment_size: 124
    .language:       OpenCL C
    .language_version:
      - 2
      - 0
    .max_flat_workgroup_size: 256
    .name:           _ZL41rocblas_syrkx_herkx_small_restrict_kernelIl19rocblas_complex_numIdELi16ELb1ELb1ELc78ELc76EKPKS1_KPS1_EviT_T0_PT6_S7_lSA_S7_lS8_PT7_S7_li
    .private_segment_fixed_size: 0
    .sgpr_count:     28
    .sgpr_spill_count: 0
    .symbol:         _ZL41rocblas_syrkx_herkx_small_restrict_kernelIl19rocblas_complex_numIdELi16ELb1ELb1ELc78ELc76EKPKS1_KPS1_EviT_T0_PT6_S7_lSA_S7_lS8_PT7_S7_li.kd
    .uniform_work_group_size: 1
    .uses_dynamic_stack: false
    .vgpr_count:     42
    .vgpr_spill_count: 0
    .wavefront_size: 64
  - .args:
      - .offset:         0
        .size:           4
        .value_kind:     by_value
      - .offset:         8
        .size:           8
        .value_kind:     by_value
      - .offset:         16
        .size:           16
        .value_kind:     by_value
      - .address_space:  global
        .offset:         32
        .size:           8
        .value_kind:     global_buffer
      - .offset:         40
        .size:           8
        .value_kind:     by_value
      - .offset:         48
        .size:           8
        .value_kind:     by_value
      - .address_space:  global
        .offset:         56
        .size:           8
        .value_kind:     global_buffer
      - .offset:         64
        .size:           8
        .value_kind:     by_value
      - .offset:         72
        .size:           8
        .value_kind:     by_value
      - .offset:         80
        .size:           16
        .value_kind:     by_value
      - .address_space:  global
        .offset:         96
        .size:           8
        .value_kind:     global_buffer
      - .offset:         104
        .size:           8
        .value_kind:     by_value
      - .offset:         112
        .size:           8
        .value_kind:     by_value
      - .offset:         120
        .size:           4
        .value_kind:     by_value
    .group_segment_fixed_size: 8192
    .kernarg_segment_align: 8
    .kernarg_segment_size: 124
    .language:       OpenCL C
    .language_version:
      - 2
      - 0
    .max_flat_workgroup_size: 256
    .name:           _ZL41rocblas_syrkx_herkx_small_restrict_kernelIl19rocblas_complex_numIdELi16ELb1ELb1ELc84ELc85EKPKS1_KPS1_EviT_T0_PT6_S7_lSA_S7_lS8_PT7_S7_li
    .private_segment_fixed_size: 0
    .sgpr_count:     28
    .sgpr_spill_count: 0
    .symbol:         _ZL41rocblas_syrkx_herkx_small_restrict_kernelIl19rocblas_complex_numIdELi16ELb1ELb1ELc84ELc85EKPKS1_KPS1_EviT_T0_PT6_S7_lSA_S7_lS8_PT7_S7_li.kd
    .uniform_work_group_size: 1
    .uses_dynamic_stack: false
    .vgpr_count:     40
    .vgpr_spill_count: 0
    .wavefront_size: 64
  - .args:
      - .offset:         0
        .size:           4
        .value_kind:     by_value
      - .offset:         8
        .size:           8
        .value_kind:     by_value
      - .offset:         16
        .size:           16
        .value_kind:     by_value
      - .address_space:  global
        .offset:         32
        .size:           8
        .value_kind:     global_buffer
      - .offset:         40
        .size:           8
        .value_kind:     by_value
      - .offset:         48
        .size:           8
        .value_kind:     by_value
      - .address_space:  global
        .offset:         56
        .size:           8
        .value_kind:     global_buffer
      - .offset:         64
        .size:           8
        .value_kind:     by_value
      - .offset:         72
        .size:           8
        .value_kind:     by_value
      - .offset:         80
        .size:           16
        .value_kind:     by_value
      - .address_space:  global
        .offset:         96
        .size:           8
        .value_kind:     global_buffer
      - .offset:         104
        .size:           8
        .value_kind:     by_value
      - .offset:         112
        .size:           8
        .value_kind:     by_value
      - .offset:         120
        .size:           4
        .value_kind:     by_value
    .group_segment_fixed_size: 8192
    .kernarg_segment_align: 8
    .kernarg_segment_size: 124
    .language:       OpenCL C
    .language_version:
      - 2
      - 0
    .max_flat_workgroup_size: 256
    .name:           _ZL41rocblas_syrkx_herkx_small_restrict_kernelIl19rocblas_complex_numIdELi16ELb1ELb1ELc67ELc85EKPKS1_KPS1_EviT_T0_PT6_S7_lSA_S7_lS8_PT7_S7_li
    .private_segment_fixed_size: 0
    .sgpr_count:     28
    .sgpr_spill_count: 0
    .symbol:         _ZL41rocblas_syrkx_herkx_small_restrict_kernelIl19rocblas_complex_numIdELi16ELb1ELb1ELc67ELc85EKPKS1_KPS1_EviT_T0_PT6_S7_lSA_S7_lS8_PT7_S7_li.kd
    .uniform_work_group_size: 1
    .uses_dynamic_stack: false
    .vgpr_count:     40
    .vgpr_spill_count: 0
    .wavefront_size: 64
  - .args:
      - .offset:         0
        .size:           4
        .value_kind:     by_value
      - .offset:         8
        .size:           8
        .value_kind:     by_value
      - .offset:         16
        .size:           16
        .value_kind:     by_value
      - .address_space:  global
        .offset:         32
        .size:           8
        .value_kind:     global_buffer
      - .offset:         40
        .size:           8
        .value_kind:     by_value
      - .offset:         48
        .size:           8
        .value_kind:     by_value
      - .address_space:  global
        .offset:         56
        .size:           8
        .value_kind:     global_buffer
      - .offset:         64
        .size:           8
        .value_kind:     by_value
      - .offset:         72
        .size:           8
        .value_kind:     by_value
      - .offset:         80
        .size:           16
        .value_kind:     by_value
      - .address_space:  global
        .offset:         96
        .size:           8
        .value_kind:     global_buffer
      - .offset:         104
        .size:           8
        .value_kind:     by_value
      - .offset:         112
        .size:           8
        .value_kind:     by_value
      - .offset:         120
        .size:           4
        .value_kind:     by_value
    .group_segment_fixed_size: 8192
    .kernarg_segment_align: 8
    .kernarg_segment_size: 124
    .language:       OpenCL C
    .language_version:
      - 2
      - 0
    .max_flat_workgroup_size: 256
    .name:           _ZL41rocblas_syrkx_herkx_small_restrict_kernelIl19rocblas_complex_numIdELi16ELb1ELb1ELc78ELc85EKPKS1_KPS1_EviT_T0_PT6_S7_lSA_S7_lS8_PT7_S7_li
    .private_segment_fixed_size: 0
    .sgpr_count:     28
    .sgpr_spill_count: 0
    .symbol:         _ZL41rocblas_syrkx_herkx_small_restrict_kernelIl19rocblas_complex_numIdELi16ELb1ELb1ELc78ELc85EKPKS1_KPS1_EviT_T0_PT6_S7_lSA_S7_lS8_PT7_S7_li.kd
    .uniform_work_group_size: 1
    .uses_dynamic_stack: false
    .vgpr_count:     42
    .vgpr_spill_count: 0
    .wavefront_size: 64
  - .args:
      - .offset:         0
        .size:           4
        .value_kind:     by_value
      - .offset:         8
        .size:           8
        .value_kind:     by_value
      - .offset:         16
        .size:           16
        .value_kind:     by_value
      - .address_space:  global
        .offset:         32
        .size:           8
        .value_kind:     global_buffer
      - .offset:         40
        .size:           8
        .value_kind:     by_value
      - .offset:         48
        .size:           8
        .value_kind:     by_value
      - .address_space:  global
        .offset:         56
        .size:           8
        .value_kind:     global_buffer
      - .offset:         64
        .size:           8
        .value_kind:     by_value
      - .offset:         72
        .size:           8
        .value_kind:     by_value
      - .offset:         80
        .size:           16
        .value_kind:     by_value
      - .address_space:  global
        .offset:         96
        .size:           8
        .value_kind:     global_buffer
      - .offset:         104
        .size:           8
        .value_kind:     by_value
      - .offset:         112
        .size:           8
        .value_kind:     by_value
      - .offset:         120
        .size:           4
        .value_kind:     by_value
    .group_segment_fixed_size: 8192
    .kernarg_segment_align: 8
    .kernarg_segment_size: 124
    .language:       OpenCL C
    .language_version:
      - 2
      - 0
    .max_flat_workgroup_size: 256
    .name:           _ZL41rocblas_syrkx_herkx_small_restrict_kernelIl19rocblas_complex_numIdELi16ELb0ELb1ELc84ELc76EKPKS1_KPS1_EviT_T0_PT6_S7_lSA_S7_lS8_PT7_S7_li
    .private_segment_fixed_size: 0
    .sgpr_count:     36
    .sgpr_spill_count: 0
    .symbol:         _ZL41rocblas_syrkx_herkx_small_restrict_kernelIl19rocblas_complex_numIdELi16ELb0ELb1ELc84ELc76EKPKS1_KPS1_EviT_T0_PT6_S7_lSA_S7_lS8_PT7_S7_li.kd
    .uniform_work_group_size: 1
    .uses_dynamic_stack: false
    .vgpr_count:     40
    .vgpr_spill_count: 0
    .wavefront_size: 64
  - .args:
      - .offset:         0
        .size:           4
        .value_kind:     by_value
      - .offset:         8
        .size:           8
        .value_kind:     by_value
      - .offset:         16
        .size:           16
        .value_kind:     by_value
      - .address_space:  global
        .offset:         32
        .size:           8
        .value_kind:     global_buffer
      - .offset:         40
        .size:           8
        .value_kind:     by_value
      - .offset:         48
        .size:           8
        .value_kind:     by_value
      - .address_space:  global
        .offset:         56
        .size:           8
        .value_kind:     global_buffer
      - .offset:         64
        .size:           8
        .value_kind:     by_value
      - .offset:         72
        .size:           8
        .value_kind:     by_value
      - .offset:         80
        .size:           16
        .value_kind:     by_value
      - .address_space:  global
        .offset:         96
        .size:           8
        .value_kind:     global_buffer
      - .offset:         104
        .size:           8
        .value_kind:     by_value
      - .offset:         112
        .size:           8
        .value_kind:     by_value
      - .offset:         120
        .size:           4
        .value_kind:     by_value
    .group_segment_fixed_size: 8192
    .kernarg_segment_align: 8
    .kernarg_segment_size: 124
    .language:       OpenCL C
    .language_version:
      - 2
      - 0
    .max_flat_workgroup_size: 256
    .name:           _ZL41rocblas_syrkx_herkx_small_restrict_kernelIl19rocblas_complex_numIdELi16ELb0ELb1ELc67ELc76EKPKS1_KPS1_EviT_T0_PT6_S7_lSA_S7_lS8_PT7_S7_li
    .private_segment_fixed_size: 0
    .sgpr_count:     36
    .sgpr_spill_count: 0
    .symbol:         _ZL41rocblas_syrkx_herkx_small_restrict_kernelIl19rocblas_complex_numIdELi16ELb0ELb1ELc67ELc76EKPKS1_KPS1_EviT_T0_PT6_S7_lSA_S7_lS8_PT7_S7_li.kd
    .uniform_work_group_size: 1
    .uses_dynamic_stack: false
    .vgpr_count:     40
    .vgpr_spill_count: 0
    .wavefront_size: 64
  - .args:
      - .offset:         0
        .size:           4
        .value_kind:     by_value
      - .offset:         8
        .size:           8
        .value_kind:     by_value
      - .offset:         16
        .size:           16
        .value_kind:     by_value
      - .address_space:  global
        .offset:         32
        .size:           8
        .value_kind:     global_buffer
      - .offset:         40
        .size:           8
        .value_kind:     by_value
      - .offset:         48
        .size:           8
        .value_kind:     by_value
      - .address_space:  global
        .offset:         56
        .size:           8
        .value_kind:     global_buffer
      - .offset:         64
        .size:           8
        .value_kind:     by_value
      - .offset:         72
        .size:           8
        .value_kind:     by_value
      - .offset:         80
        .size:           16
        .value_kind:     by_value
      - .address_space:  global
        .offset:         96
        .size:           8
        .value_kind:     global_buffer
      - .offset:         104
        .size:           8
        .value_kind:     by_value
      - .offset:         112
        .size:           8
        .value_kind:     by_value
      - .offset:         120
        .size:           4
        .value_kind:     by_value
    .group_segment_fixed_size: 8192
    .kernarg_segment_align: 8
    .kernarg_segment_size: 124
    .language:       OpenCL C
    .language_version:
      - 2
      - 0
    .max_flat_workgroup_size: 256
    .name:           _ZL41rocblas_syrkx_herkx_small_restrict_kernelIl19rocblas_complex_numIdELi16ELb0ELb1ELc78ELc76EKPKS1_KPS1_EviT_T0_PT6_S7_lSA_S7_lS8_PT7_S7_li
    .private_segment_fixed_size: 0
    .sgpr_count:     34
    .sgpr_spill_count: 0
    .symbol:         _ZL41rocblas_syrkx_herkx_small_restrict_kernelIl19rocblas_complex_numIdELi16ELb0ELb1ELc78ELc76EKPKS1_KPS1_EviT_T0_PT6_S7_lSA_S7_lS8_PT7_S7_li.kd
    .uniform_work_group_size: 1
    .uses_dynamic_stack: false
    .vgpr_count:     42
    .vgpr_spill_count: 0
    .wavefront_size: 64
  - .args:
      - .offset:         0
        .size:           4
        .value_kind:     by_value
      - .offset:         8
        .size:           8
        .value_kind:     by_value
      - .offset:         16
        .size:           16
        .value_kind:     by_value
      - .address_space:  global
        .offset:         32
        .size:           8
        .value_kind:     global_buffer
      - .offset:         40
        .size:           8
        .value_kind:     by_value
      - .offset:         48
        .size:           8
        .value_kind:     by_value
      - .address_space:  global
        .offset:         56
        .size:           8
        .value_kind:     global_buffer
      - .offset:         64
        .size:           8
        .value_kind:     by_value
      - .offset:         72
        .size:           8
        .value_kind:     by_value
      - .offset:         80
        .size:           16
        .value_kind:     by_value
      - .address_space:  global
        .offset:         96
        .size:           8
        .value_kind:     global_buffer
      - .offset:         104
        .size:           8
        .value_kind:     by_value
      - .offset:         112
        .size:           8
        .value_kind:     by_value
      - .offset:         120
        .size:           4
        .value_kind:     by_value
    .group_segment_fixed_size: 8192
    .kernarg_segment_align: 8
    .kernarg_segment_size: 124
    .language:       OpenCL C
    .language_version:
      - 2
      - 0
    .max_flat_workgroup_size: 256
    .name:           _ZL41rocblas_syrkx_herkx_small_restrict_kernelIl19rocblas_complex_numIdELi16ELb0ELb1ELc84ELc85EKPKS1_KPS1_EviT_T0_PT6_S7_lSA_S7_lS8_PT7_S7_li
    .private_segment_fixed_size: 0
    .sgpr_count:     36
    .sgpr_spill_count: 0
    .symbol:         _ZL41rocblas_syrkx_herkx_small_restrict_kernelIl19rocblas_complex_numIdELi16ELb0ELb1ELc84ELc85EKPKS1_KPS1_EviT_T0_PT6_S7_lSA_S7_lS8_PT7_S7_li.kd
    .uniform_work_group_size: 1
    .uses_dynamic_stack: false
    .vgpr_count:     40
    .vgpr_spill_count: 0
    .wavefront_size: 64
  - .args:
      - .offset:         0
        .size:           4
        .value_kind:     by_value
      - .offset:         8
        .size:           8
        .value_kind:     by_value
      - .offset:         16
        .size:           16
        .value_kind:     by_value
      - .address_space:  global
        .offset:         32
        .size:           8
        .value_kind:     global_buffer
      - .offset:         40
        .size:           8
        .value_kind:     by_value
      - .offset:         48
        .size:           8
        .value_kind:     by_value
      - .address_space:  global
        .offset:         56
        .size:           8
        .value_kind:     global_buffer
      - .offset:         64
        .size:           8
        .value_kind:     by_value
      - .offset:         72
        .size:           8
        .value_kind:     by_value
      - .offset:         80
        .size:           16
        .value_kind:     by_value
      - .address_space:  global
        .offset:         96
        .size:           8
        .value_kind:     global_buffer
      - .offset:         104
        .size:           8
        .value_kind:     by_value
      - .offset:         112
        .size:           8
        .value_kind:     by_value
      - .offset:         120
        .size:           4
        .value_kind:     by_value
    .group_segment_fixed_size: 8192
    .kernarg_segment_align: 8
    .kernarg_segment_size: 124
    .language:       OpenCL C
    .language_version:
      - 2
      - 0
    .max_flat_workgroup_size: 256
    .name:           _ZL41rocblas_syrkx_herkx_small_restrict_kernelIl19rocblas_complex_numIdELi16ELb0ELb1ELc67ELc85EKPKS1_KPS1_EviT_T0_PT6_S7_lSA_S7_lS8_PT7_S7_li
    .private_segment_fixed_size: 0
    .sgpr_count:     36
    .sgpr_spill_count: 0
    .symbol:         _ZL41rocblas_syrkx_herkx_small_restrict_kernelIl19rocblas_complex_numIdELi16ELb0ELb1ELc67ELc85EKPKS1_KPS1_EviT_T0_PT6_S7_lSA_S7_lS8_PT7_S7_li.kd
    .uniform_work_group_size: 1
    .uses_dynamic_stack: false
    .vgpr_count:     40
    .vgpr_spill_count: 0
    .wavefront_size: 64
  - .args:
      - .offset:         0
        .size:           4
        .value_kind:     by_value
      - .offset:         8
        .size:           8
        .value_kind:     by_value
      - .offset:         16
        .size:           16
        .value_kind:     by_value
      - .address_space:  global
        .offset:         32
        .size:           8
        .value_kind:     global_buffer
      - .offset:         40
        .size:           8
        .value_kind:     by_value
      - .offset:         48
        .size:           8
        .value_kind:     by_value
      - .address_space:  global
        .offset:         56
        .size:           8
        .value_kind:     global_buffer
      - .offset:         64
        .size:           8
        .value_kind:     by_value
      - .offset:         72
        .size:           8
        .value_kind:     by_value
      - .offset:         80
        .size:           16
        .value_kind:     by_value
      - .address_space:  global
        .offset:         96
        .size:           8
        .value_kind:     global_buffer
      - .offset:         104
        .size:           8
        .value_kind:     by_value
      - .offset:         112
        .size:           8
        .value_kind:     by_value
      - .offset:         120
        .size:           4
        .value_kind:     by_value
    .group_segment_fixed_size: 8192
    .kernarg_segment_align: 8
    .kernarg_segment_size: 124
    .language:       OpenCL C
    .language_version:
      - 2
      - 0
    .max_flat_workgroup_size: 256
    .name:           _ZL41rocblas_syrkx_herkx_small_restrict_kernelIl19rocblas_complex_numIdELi16ELb0ELb1ELc78ELc85EKPKS1_KPS1_EviT_T0_PT6_S7_lSA_S7_lS8_PT7_S7_li
    .private_segment_fixed_size: 0
    .sgpr_count:     34
    .sgpr_spill_count: 0
    .symbol:         _ZL41rocblas_syrkx_herkx_small_restrict_kernelIl19rocblas_complex_numIdELi16ELb0ELb1ELc78ELc85EKPKS1_KPS1_EviT_T0_PT6_S7_lSA_S7_lS8_PT7_S7_li.kd
    .uniform_work_group_size: 1
    .uses_dynamic_stack: false
    .vgpr_count:     42
    .vgpr_spill_count: 0
    .wavefront_size: 64
  - .args:
      - .offset:         0
        .size:           4
        .value_kind:     by_value
      - .offset:         8
        .size:           8
        .value_kind:     by_value
      - .offset:         16
        .size:           16
        .value_kind:     by_value
      - .address_space:  global
        .offset:         32
        .size:           8
        .value_kind:     global_buffer
      - .offset:         40
        .size:           8
        .value_kind:     by_value
      - .offset:         48
        .size:           8
        .value_kind:     by_value
      - .address_space:  global
        .offset:         56
        .size:           8
        .value_kind:     global_buffer
      - .offset:         64
        .size:           8
        .value_kind:     by_value
      - .offset:         72
        .size:           8
        .value_kind:     by_value
      - .offset:         80
        .size:           16
        .value_kind:     by_value
      - .address_space:  global
        .offset:         96
        .size:           8
        .value_kind:     global_buffer
      - .offset:         104
        .size:           8
        .value_kind:     by_value
      - .offset:         112
        .size:           8
        .value_kind:     by_value
      - .offset:         120
        .size:           4
        .value_kind:     by_value
    .group_segment_fixed_size: 8192
    .kernarg_segment_align: 8
    .kernarg_segment_size: 124
    .language:       OpenCL C
    .language_version:
      - 2
      - 0
    .max_flat_workgroup_size: 256
    .name:           _ZL32rocblas_syrkx_herkx_small_kernelIl19rocblas_complex_numIdELi16ELb1ELb1ELc84ELc76EKPKS1_KPS1_EviT_T0_PT6_S7_lSA_S7_lS8_PT7_S7_li
    .private_segment_fixed_size: 0
    .sgpr_count:     36
    .sgpr_spill_count: 0
    .symbol:         _ZL32rocblas_syrkx_herkx_small_kernelIl19rocblas_complex_numIdELi16ELb1ELb1ELc84ELc76EKPKS1_KPS1_EviT_T0_PT6_S7_lSA_S7_lS8_PT7_S7_li.kd
    .uniform_work_group_size: 1
    .uses_dynamic_stack: false
    .vgpr_count:     54
    .vgpr_spill_count: 0
    .wavefront_size: 64
  - .args:
      - .offset:         0
        .size:           4
        .value_kind:     by_value
      - .offset:         8
        .size:           8
        .value_kind:     by_value
      - .offset:         16
        .size:           16
        .value_kind:     by_value
      - .address_space:  global
        .offset:         32
        .size:           8
        .value_kind:     global_buffer
      - .offset:         40
        .size:           8
        .value_kind:     by_value
      - .offset:         48
        .size:           8
        .value_kind:     by_value
      - .address_space:  global
        .offset:         56
        .size:           8
        .value_kind:     global_buffer
      - .offset:         64
        .size:           8
        .value_kind:     by_value
      - .offset:         72
        .size:           8
        .value_kind:     by_value
      - .offset:         80
        .size:           16
        .value_kind:     by_value
      - .address_space:  global
        .offset:         96
        .size:           8
        .value_kind:     global_buffer
      - .offset:         104
        .size:           8
        .value_kind:     by_value
      - .offset:         112
        .size:           8
        .value_kind:     by_value
      - .offset:         120
        .size:           4
        .value_kind:     by_value
    .group_segment_fixed_size: 8192
    .kernarg_segment_align: 8
    .kernarg_segment_size: 124
    .language:       OpenCL C
    .language_version:
      - 2
      - 0
    .max_flat_workgroup_size: 256
    .name:           _ZL32rocblas_syrkx_herkx_small_kernelIl19rocblas_complex_numIdELi16ELb1ELb1ELc67ELc76EKPKS1_KPS1_EviT_T0_PT6_S7_lSA_S7_lS8_PT7_S7_li
    .private_segment_fixed_size: 0
    .sgpr_count:     36
    .sgpr_spill_count: 0
    .symbol:         _ZL32rocblas_syrkx_herkx_small_kernelIl19rocblas_complex_numIdELi16ELb1ELb1ELc67ELc76EKPKS1_KPS1_EviT_T0_PT6_S7_lSA_S7_lS8_PT7_S7_li.kd
    .uniform_work_group_size: 1
    .uses_dynamic_stack: false
    .vgpr_count:     53
    .vgpr_spill_count: 0
    .wavefront_size: 64
  - .args:
      - .offset:         0
        .size:           4
        .value_kind:     by_value
      - .offset:         8
        .size:           8
        .value_kind:     by_value
      - .offset:         16
        .size:           16
        .value_kind:     by_value
      - .address_space:  global
        .offset:         32
        .size:           8
        .value_kind:     global_buffer
      - .offset:         40
        .size:           8
        .value_kind:     by_value
      - .offset:         48
        .size:           8
        .value_kind:     by_value
      - .address_space:  global
        .offset:         56
        .size:           8
        .value_kind:     global_buffer
      - .offset:         64
        .size:           8
        .value_kind:     by_value
      - .offset:         72
        .size:           8
        .value_kind:     by_value
      - .offset:         80
        .size:           16
        .value_kind:     by_value
      - .address_space:  global
        .offset:         96
        .size:           8
        .value_kind:     global_buffer
      - .offset:         104
        .size:           8
        .value_kind:     by_value
      - .offset:         112
        .size:           8
        .value_kind:     by_value
      - .offset:         120
        .size:           4
        .value_kind:     by_value
    .group_segment_fixed_size: 8192
    .kernarg_segment_align: 8
    .kernarg_segment_size: 124
    .language:       OpenCL C
    .language_version:
      - 2
      - 0
    .max_flat_workgroup_size: 256
    .name:           _ZL32rocblas_syrkx_herkx_small_kernelIl19rocblas_complex_numIdELi16ELb1ELb1ELc78ELc76EKPKS1_KPS1_EviT_T0_PT6_S7_lSA_S7_lS8_PT7_S7_li
    .private_segment_fixed_size: 0
    .sgpr_count:     31
    .sgpr_spill_count: 0
    .symbol:         _ZL32rocblas_syrkx_herkx_small_kernelIl19rocblas_complex_numIdELi16ELb1ELb1ELc78ELc76EKPKS1_KPS1_EviT_T0_PT6_S7_lSA_S7_lS8_PT7_S7_li.kd
    .uniform_work_group_size: 1
    .uses_dynamic_stack: false
    .vgpr_count:     49
    .vgpr_spill_count: 0
    .wavefront_size: 64
  - .args:
      - .offset:         0
        .size:           4
        .value_kind:     by_value
      - .offset:         8
        .size:           8
        .value_kind:     by_value
      - .offset:         16
        .size:           16
        .value_kind:     by_value
      - .address_space:  global
        .offset:         32
        .size:           8
        .value_kind:     global_buffer
      - .offset:         40
        .size:           8
        .value_kind:     by_value
      - .offset:         48
        .size:           8
        .value_kind:     by_value
      - .address_space:  global
        .offset:         56
        .size:           8
        .value_kind:     global_buffer
      - .offset:         64
        .size:           8
        .value_kind:     by_value
      - .offset:         72
        .size:           8
        .value_kind:     by_value
      - .offset:         80
        .size:           16
        .value_kind:     by_value
      - .address_space:  global
        .offset:         96
        .size:           8
        .value_kind:     global_buffer
      - .offset:         104
        .size:           8
        .value_kind:     by_value
      - .offset:         112
        .size:           8
        .value_kind:     by_value
      - .offset:         120
        .size:           4
        .value_kind:     by_value
    .group_segment_fixed_size: 8192
    .kernarg_segment_align: 8
    .kernarg_segment_size: 124
    .language:       OpenCL C
    .language_version:
      - 2
      - 0
    .max_flat_workgroup_size: 256
    .name:           _ZL32rocblas_syrkx_herkx_small_kernelIl19rocblas_complex_numIdELi16ELb1ELb1ELc84ELc85EKPKS1_KPS1_EviT_T0_PT6_S7_lSA_S7_lS8_PT7_S7_li
    .private_segment_fixed_size: 0
    .sgpr_count:     36
    .sgpr_spill_count: 0
    .symbol:         _ZL32rocblas_syrkx_herkx_small_kernelIl19rocblas_complex_numIdELi16ELb1ELb1ELc84ELc85EKPKS1_KPS1_EviT_T0_PT6_S7_lSA_S7_lS8_PT7_S7_li.kd
    .uniform_work_group_size: 1
    .uses_dynamic_stack: false
    .vgpr_count:     54
    .vgpr_spill_count: 0
    .wavefront_size: 64
  - .args:
      - .offset:         0
        .size:           4
        .value_kind:     by_value
      - .offset:         8
        .size:           8
        .value_kind:     by_value
      - .offset:         16
        .size:           16
        .value_kind:     by_value
      - .address_space:  global
        .offset:         32
        .size:           8
        .value_kind:     global_buffer
      - .offset:         40
        .size:           8
        .value_kind:     by_value
      - .offset:         48
        .size:           8
        .value_kind:     by_value
      - .address_space:  global
        .offset:         56
        .size:           8
        .value_kind:     global_buffer
      - .offset:         64
        .size:           8
        .value_kind:     by_value
      - .offset:         72
        .size:           8
        .value_kind:     by_value
      - .offset:         80
        .size:           16
        .value_kind:     by_value
      - .address_space:  global
        .offset:         96
        .size:           8
        .value_kind:     global_buffer
      - .offset:         104
        .size:           8
        .value_kind:     by_value
      - .offset:         112
        .size:           8
        .value_kind:     by_value
      - .offset:         120
        .size:           4
        .value_kind:     by_value
    .group_segment_fixed_size: 8192
    .kernarg_segment_align: 8
    .kernarg_segment_size: 124
    .language:       OpenCL C
    .language_version:
      - 2
      - 0
    .max_flat_workgroup_size: 256
    .name:           _ZL32rocblas_syrkx_herkx_small_kernelIl19rocblas_complex_numIdELi16ELb1ELb1ELc67ELc85EKPKS1_KPS1_EviT_T0_PT6_S7_lSA_S7_lS8_PT7_S7_li
    .private_segment_fixed_size: 0
    .sgpr_count:     36
    .sgpr_spill_count: 0
    .symbol:         _ZL32rocblas_syrkx_herkx_small_kernelIl19rocblas_complex_numIdELi16ELb1ELb1ELc67ELc85EKPKS1_KPS1_EviT_T0_PT6_S7_lSA_S7_lS8_PT7_S7_li.kd
    .uniform_work_group_size: 1
    .uses_dynamic_stack: false
    .vgpr_count:     53
    .vgpr_spill_count: 0
    .wavefront_size: 64
  - .args:
      - .offset:         0
        .size:           4
        .value_kind:     by_value
      - .offset:         8
        .size:           8
        .value_kind:     by_value
      - .offset:         16
        .size:           16
        .value_kind:     by_value
      - .address_space:  global
        .offset:         32
        .size:           8
        .value_kind:     global_buffer
      - .offset:         40
        .size:           8
        .value_kind:     by_value
      - .offset:         48
        .size:           8
        .value_kind:     by_value
      - .address_space:  global
        .offset:         56
        .size:           8
        .value_kind:     global_buffer
      - .offset:         64
        .size:           8
        .value_kind:     by_value
      - .offset:         72
        .size:           8
        .value_kind:     by_value
      - .offset:         80
        .size:           16
        .value_kind:     by_value
      - .address_space:  global
        .offset:         96
        .size:           8
        .value_kind:     global_buffer
      - .offset:         104
        .size:           8
        .value_kind:     by_value
      - .offset:         112
        .size:           8
        .value_kind:     by_value
      - .offset:         120
        .size:           4
        .value_kind:     by_value
    .group_segment_fixed_size: 8192
    .kernarg_segment_align: 8
    .kernarg_segment_size: 124
    .language:       OpenCL C
    .language_version:
      - 2
      - 0
    .max_flat_workgroup_size: 256
    .name:           _ZL32rocblas_syrkx_herkx_small_kernelIl19rocblas_complex_numIdELi16ELb1ELb1ELc78ELc85EKPKS1_KPS1_EviT_T0_PT6_S7_lSA_S7_lS8_PT7_S7_li
    .private_segment_fixed_size: 0
    .sgpr_count:     31
    .sgpr_spill_count: 0
    .symbol:         _ZL32rocblas_syrkx_herkx_small_kernelIl19rocblas_complex_numIdELi16ELb1ELb1ELc78ELc85EKPKS1_KPS1_EviT_T0_PT6_S7_lSA_S7_lS8_PT7_S7_li.kd
    .uniform_work_group_size: 1
    .uses_dynamic_stack: false
    .vgpr_count:     49
    .vgpr_spill_count: 0
    .wavefront_size: 64
  - .args:
      - .offset:         0
        .size:           4
        .value_kind:     by_value
      - .offset:         8
        .size:           8
        .value_kind:     by_value
      - .offset:         16
        .size:           16
        .value_kind:     by_value
      - .address_space:  global
        .offset:         32
        .size:           8
        .value_kind:     global_buffer
      - .offset:         40
        .size:           8
        .value_kind:     by_value
      - .offset:         48
        .size:           8
        .value_kind:     by_value
      - .address_space:  global
        .offset:         56
        .size:           8
        .value_kind:     global_buffer
      - .offset:         64
        .size:           8
        .value_kind:     by_value
      - .offset:         72
        .size:           8
        .value_kind:     by_value
      - .offset:         80
        .size:           16
        .value_kind:     by_value
      - .address_space:  global
        .offset:         96
        .size:           8
        .value_kind:     global_buffer
      - .offset:         104
        .size:           8
        .value_kind:     by_value
      - .offset:         112
        .size:           8
        .value_kind:     by_value
      - .offset:         120
        .size:           4
        .value_kind:     by_value
    .group_segment_fixed_size: 8192
    .kernarg_segment_align: 8
    .kernarg_segment_size: 124
    .language:       OpenCL C
    .language_version:
      - 2
      - 0
    .max_flat_workgroup_size: 256
    .name:           _ZL32rocblas_syrkx_herkx_small_kernelIl19rocblas_complex_numIdELi16ELb0ELb1ELc84ELc76EKPKS1_KPS1_EviT_T0_PT6_S7_lSA_S7_lS8_PT7_S7_li
    .private_segment_fixed_size: 0
    .sgpr_count:     44
    .sgpr_spill_count: 0
    .symbol:         _ZL32rocblas_syrkx_herkx_small_kernelIl19rocblas_complex_numIdELi16ELb0ELb1ELc84ELc76EKPKS1_KPS1_EviT_T0_PT6_S7_lSA_S7_lS8_PT7_S7_li.kd
    .uniform_work_group_size: 1
    .uses_dynamic_stack: false
    .vgpr_count:     54
    .vgpr_spill_count: 0
    .wavefront_size: 64
  - .args:
      - .offset:         0
        .size:           4
        .value_kind:     by_value
      - .offset:         8
        .size:           8
        .value_kind:     by_value
      - .offset:         16
        .size:           16
        .value_kind:     by_value
      - .address_space:  global
        .offset:         32
        .size:           8
        .value_kind:     global_buffer
      - .offset:         40
        .size:           8
        .value_kind:     by_value
      - .offset:         48
        .size:           8
        .value_kind:     by_value
      - .address_space:  global
        .offset:         56
        .size:           8
        .value_kind:     global_buffer
      - .offset:         64
        .size:           8
        .value_kind:     by_value
      - .offset:         72
        .size:           8
        .value_kind:     by_value
      - .offset:         80
        .size:           16
        .value_kind:     by_value
      - .address_space:  global
        .offset:         96
        .size:           8
        .value_kind:     global_buffer
      - .offset:         104
        .size:           8
        .value_kind:     by_value
      - .offset:         112
        .size:           8
        .value_kind:     by_value
      - .offset:         120
        .size:           4
        .value_kind:     by_value
    .group_segment_fixed_size: 8192
    .kernarg_segment_align: 8
    .kernarg_segment_size: 124
    .language:       OpenCL C
    .language_version:
      - 2
      - 0
    .max_flat_workgroup_size: 256
    .name:           _ZL32rocblas_syrkx_herkx_small_kernelIl19rocblas_complex_numIdELi16ELb0ELb1ELc67ELc76EKPKS1_KPS1_EviT_T0_PT6_S7_lSA_S7_lS8_PT7_S7_li
    .private_segment_fixed_size: 0
    .sgpr_count:     44
    .sgpr_spill_count: 0
    .symbol:         _ZL32rocblas_syrkx_herkx_small_kernelIl19rocblas_complex_numIdELi16ELb0ELb1ELc67ELc76EKPKS1_KPS1_EviT_T0_PT6_S7_lSA_S7_lS8_PT7_S7_li.kd
    .uniform_work_group_size: 1
    .uses_dynamic_stack: false
    .vgpr_count:     53
    .vgpr_spill_count: 0
    .wavefront_size: 64
  - .args:
      - .offset:         0
        .size:           4
        .value_kind:     by_value
      - .offset:         8
        .size:           8
        .value_kind:     by_value
      - .offset:         16
        .size:           16
        .value_kind:     by_value
      - .address_space:  global
        .offset:         32
        .size:           8
        .value_kind:     global_buffer
      - .offset:         40
        .size:           8
        .value_kind:     by_value
      - .offset:         48
        .size:           8
        .value_kind:     by_value
      - .address_space:  global
        .offset:         56
        .size:           8
        .value_kind:     global_buffer
      - .offset:         64
        .size:           8
        .value_kind:     by_value
      - .offset:         72
        .size:           8
        .value_kind:     by_value
      - .offset:         80
        .size:           16
        .value_kind:     by_value
      - .address_space:  global
        .offset:         96
        .size:           8
        .value_kind:     global_buffer
      - .offset:         104
        .size:           8
        .value_kind:     by_value
      - .offset:         112
        .size:           8
        .value_kind:     by_value
      - .offset:         120
        .size:           4
        .value_kind:     by_value
    .group_segment_fixed_size: 8192
    .kernarg_segment_align: 8
    .kernarg_segment_size: 124
    .language:       OpenCL C
    .language_version:
      - 2
      - 0
    .max_flat_workgroup_size: 256
    .name:           _ZL32rocblas_syrkx_herkx_small_kernelIl19rocblas_complex_numIdELi16ELb0ELb1ELc78ELc76EKPKS1_KPS1_EviT_T0_PT6_S7_lSA_S7_lS8_PT7_S7_li
    .private_segment_fixed_size: 0
    .sgpr_count:     35
    .sgpr_spill_count: 0
    .symbol:         _ZL32rocblas_syrkx_herkx_small_kernelIl19rocblas_complex_numIdELi16ELb0ELb1ELc78ELc76EKPKS1_KPS1_EviT_T0_PT6_S7_lSA_S7_lS8_PT7_S7_li.kd
    .uniform_work_group_size: 1
    .uses_dynamic_stack: false
    .vgpr_count:     49
    .vgpr_spill_count: 0
    .wavefront_size: 64
  - .args:
      - .offset:         0
        .size:           4
        .value_kind:     by_value
      - .offset:         8
        .size:           8
        .value_kind:     by_value
      - .offset:         16
        .size:           16
        .value_kind:     by_value
      - .address_space:  global
        .offset:         32
        .size:           8
        .value_kind:     global_buffer
      - .offset:         40
        .size:           8
        .value_kind:     by_value
      - .offset:         48
        .size:           8
        .value_kind:     by_value
      - .address_space:  global
        .offset:         56
        .size:           8
        .value_kind:     global_buffer
      - .offset:         64
        .size:           8
        .value_kind:     by_value
      - .offset:         72
        .size:           8
        .value_kind:     by_value
      - .offset:         80
        .size:           16
        .value_kind:     by_value
      - .address_space:  global
        .offset:         96
        .size:           8
        .value_kind:     global_buffer
      - .offset:         104
        .size:           8
        .value_kind:     by_value
      - .offset:         112
        .size:           8
        .value_kind:     by_value
      - .offset:         120
        .size:           4
        .value_kind:     by_value
    .group_segment_fixed_size: 8192
    .kernarg_segment_align: 8
    .kernarg_segment_size: 124
    .language:       OpenCL C
    .language_version:
      - 2
      - 0
    .max_flat_workgroup_size: 256
    .name:           _ZL32rocblas_syrkx_herkx_small_kernelIl19rocblas_complex_numIdELi16ELb0ELb1ELc84ELc85EKPKS1_KPS1_EviT_T0_PT6_S7_lSA_S7_lS8_PT7_S7_li
    .private_segment_fixed_size: 0
    .sgpr_count:     44
    .sgpr_spill_count: 0
    .symbol:         _ZL32rocblas_syrkx_herkx_small_kernelIl19rocblas_complex_numIdELi16ELb0ELb1ELc84ELc85EKPKS1_KPS1_EviT_T0_PT6_S7_lSA_S7_lS8_PT7_S7_li.kd
    .uniform_work_group_size: 1
    .uses_dynamic_stack: false
    .vgpr_count:     54
    .vgpr_spill_count: 0
    .wavefront_size: 64
  - .args:
      - .offset:         0
        .size:           4
        .value_kind:     by_value
      - .offset:         8
        .size:           8
        .value_kind:     by_value
      - .offset:         16
        .size:           16
        .value_kind:     by_value
      - .address_space:  global
        .offset:         32
        .size:           8
        .value_kind:     global_buffer
      - .offset:         40
        .size:           8
        .value_kind:     by_value
      - .offset:         48
        .size:           8
        .value_kind:     by_value
      - .address_space:  global
        .offset:         56
        .size:           8
        .value_kind:     global_buffer
      - .offset:         64
        .size:           8
        .value_kind:     by_value
      - .offset:         72
        .size:           8
        .value_kind:     by_value
      - .offset:         80
        .size:           16
        .value_kind:     by_value
      - .address_space:  global
        .offset:         96
        .size:           8
        .value_kind:     global_buffer
      - .offset:         104
        .size:           8
        .value_kind:     by_value
      - .offset:         112
        .size:           8
        .value_kind:     by_value
      - .offset:         120
        .size:           4
        .value_kind:     by_value
    .group_segment_fixed_size: 8192
    .kernarg_segment_align: 8
    .kernarg_segment_size: 124
    .language:       OpenCL C
    .language_version:
      - 2
      - 0
    .max_flat_workgroup_size: 256
    .name:           _ZL32rocblas_syrkx_herkx_small_kernelIl19rocblas_complex_numIdELi16ELb0ELb1ELc67ELc85EKPKS1_KPS1_EviT_T0_PT6_S7_lSA_S7_lS8_PT7_S7_li
    .private_segment_fixed_size: 0
    .sgpr_count:     44
    .sgpr_spill_count: 0
    .symbol:         _ZL32rocblas_syrkx_herkx_small_kernelIl19rocblas_complex_numIdELi16ELb0ELb1ELc67ELc85EKPKS1_KPS1_EviT_T0_PT6_S7_lSA_S7_lS8_PT7_S7_li.kd
    .uniform_work_group_size: 1
    .uses_dynamic_stack: false
    .vgpr_count:     53
    .vgpr_spill_count: 0
    .wavefront_size: 64
  - .args:
      - .offset:         0
        .size:           4
        .value_kind:     by_value
      - .offset:         8
        .size:           8
        .value_kind:     by_value
      - .offset:         16
        .size:           16
        .value_kind:     by_value
      - .address_space:  global
        .offset:         32
        .size:           8
        .value_kind:     global_buffer
      - .offset:         40
        .size:           8
        .value_kind:     by_value
      - .offset:         48
        .size:           8
        .value_kind:     by_value
      - .address_space:  global
        .offset:         56
        .size:           8
        .value_kind:     global_buffer
      - .offset:         64
        .size:           8
        .value_kind:     by_value
      - .offset:         72
        .size:           8
        .value_kind:     by_value
      - .offset:         80
        .size:           16
        .value_kind:     by_value
      - .address_space:  global
        .offset:         96
        .size:           8
        .value_kind:     global_buffer
      - .offset:         104
        .size:           8
        .value_kind:     by_value
      - .offset:         112
        .size:           8
        .value_kind:     by_value
      - .offset:         120
        .size:           4
        .value_kind:     by_value
    .group_segment_fixed_size: 8192
    .kernarg_segment_align: 8
    .kernarg_segment_size: 124
    .language:       OpenCL C
    .language_version:
      - 2
      - 0
    .max_flat_workgroup_size: 256
    .name:           _ZL32rocblas_syrkx_herkx_small_kernelIl19rocblas_complex_numIdELi16ELb0ELb1ELc78ELc85EKPKS1_KPS1_EviT_T0_PT6_S7_lSA_S7_lS8_PT7_S7_li
    .private_segment_fixed_size: 0
    .sgpr_count:     35
    .sgpr_spill_count: 0
    .symbol:         _ZL32rocblas_syrkx_herkx_small_kernelIl19rocblas_complex_numIdELi16ELb0ELb1ELc78ELc85EKPKS1_KPS1_EviT_T0_PT6_S7_lSA_S7_lS8_PT7_S7_li.kd
    .uniform_work_group_size: 1
    .uses_dynamic_stack: false
    .vgpr_count:     49
    .vgpr_spill_count: 0
    .wavefront_size: 64
  - .args:
      - .offset:         0
        .size:           4
        .value_kind:     by_value
      - .offset:         8
        .size:           8
        .value_kind:     by_value
      - .offset:         16
        .size:           16
        .value_kind:     by_value
      - .address_space:  global
        .offset:         32
        .size:           8
        .value_kind:     global_buffer
      - .offset:         40
        .size:           8
        .value_kind:     by_value
      - .offset:         48
        .size:           8
        .value_kind:     by_value
      - .address_space:  global
        .offset:         56
        .size:           8
        .value_kind:     global_buffer
      - .offset:         64
        .size:           8
        .value_kind:     by_value
      - .offset:         72
        .size:           8
        .value_kind:     by_value
      - .offset:         80
        .size:           16
        .value_kind:     by_value
      - .address_space:  global
        .offset:         96
        .size:           8
        .value_kind:     global_buffer
      - .offset:         104
        .size:           8
        .value_kind:     by_value
      - .offset:         112
        .size:           8
        .value_kind:     by_value
      - .offset:         120
        .size:           4
        .value_kind:     by_value
    .group_segment_fixed_size: 8192
    .kernarg_segment_align: 8
    .kernarg_segment_size: 124
    .language:       OpenCL C
    .language_version:
      - 2
      - 0
    .max_flat_workgroup_size: 256
    .name:           _ZL34rocblas_syrkx_herkx_general_kernelIl19rocblas_complex_numIdELi16ELi32ELi8ELb1ELb1ELc84ELc76EKPKS1_KPS1_EviT_T0_PT8_S7_lSA_S7_lS8_PT9_S7_li
    .private_segment_fixed_size: 0
    .sgpr_count:     31
    .sgpr_spill_count: 0
    .symbol:         _ZL34rocblas_syrkx_herkx_general_kernelIl19rocblas_complex_numIdELi16ELi32ELi8ELb1ELb1ELc84ELc76EKPKS1_KPS1_EviT_T0_PT8_S7_lSA_S7_lS8_PT9_S7_li.kd
    .uniform_work_group_size: 1
    .uses_dynamic_stack: false
    .vgpr_count:     58
    .vgpr_spill_count: 0
    .wavefront_size: 64
  - .args:
      - .offset:         0
        .size:           4
        .value_kind:     by_value
      - .offset:         8
        .size:           8
        .value_kind:     by_value
      - .offset:         16
        .size:           16
        .value_kind:     by_value
      - .address_space:  global
        .offset:         32
        .size:           8
        .value_kind:     global_buffer
      - .offset:         40
        .size:           8
        .value_kind:     by_value
      - .offset:         48
        .size:           8
        .value_kind:     by_value
      - .address_space:  global
        .offset:         56
        .size:           8
        .value_kind:     global_buffer
      - .offset:         64
        .size:           8
        .value_kind:     by_value
      - .offset:         72
        .size:           8
        .value_kind:     by_value
      - .offset:         80
        .size:           16
        .value_kind:     by_value
      - .address_space:  global
        .offset:         96
        .size:           8
        .value_kind:     global_buffer
      - .offset:         104
        .size:           8
        .value_kind:     by_value
      - .offset:         112
        .size:           8
        .value_kind:     by_value
      - .offset:         120
        .size:           4
        .value_kind:     by_value
    .group_segment_fixed_size: 8192
    .kernarg_segment_align: 8
    .kernarg_segment_size: 124
    .language:       OpenCL C
    .language_version:
      - 2
      - 0
    .max_flat_workgroup_size: 256
    .name:           _ZL34rocblas_syrkx_herkx_general_kernelIl19rocblas_complex_numIdELi16ELi32ELi8ELb1ELb1ELc67ELc76EKPKS1_KPS1_EviT_T0_PT8_S7_lSA_S7_lS8_PT9_S7_li
    .private_segment_fixed_size: 0
    .sgpr_count:     31
    .sgpr_spill_count: 0
    .symbol:         _ZL34rocblas_syrkx_herkx_general_kernelIl19rocblas_complex_numIdELi16ELi32ELi8ELb1ELb1ELc67ELc76EKPKS1_KPS1_EviT_T0_PT8_S7_lSA_S7_lS8_PT9_S7_li.kd
    .uniform_work_group_size: 1
    .uses_dynamic_stack: false
    .vgpr_count:     59
    .vgpr_spill_count: 0
    .wavefront_size: 64
  - .args:
      - .offset:         0
        .size:           4
        .value_kind:     by_value
      - .offset:         8
        .size:           8
        .value_kind:     by_value
      - .offset:         16
        .size:           16
        .value_kind:     by_value
      - .address_space:  global
        .offset:         32
        .size:           8
        .value_kind:     global_buffer
      - .offset:         40
        .size:           8
        .value_kind:     by_value
      - .offset:         48
        .size:           8
        .value_kind:     by_value
      - .address_space:  global
        .offset:         56
        .size:           8
        .value_kind:     global_buffer
      - .offset:         64
        .size:           8
        .value_kind:     by_value
      - .offset:         72
        .size:           8
        .value_kind:     by_value
      - .offset:         80
        .size:           16
        .value_kind:     by_value
      - .address_space:  global
        .offset:         96
        .size:           8
        .value_kind:     global_buffer
      - .offset:         104
        .size:           8
        .value_kind:     by_value
      - .offset:         112
        .size:           8
        .value_kind:     by_value
      - .offset:         120
        .size:           4
        .value_kind:     by_value
    .group_segment_fixed_size: 8192
    .kernarg_segment_align: 8
    .kernarg_segment_size: 124
    .language:       OpenCL C
    .language_version:
      - 2
      - 0
    .max_flat_workgroup_size: 256
    .name:           _ZL34rocblas_syrkx_herkx_general_kernelIl19rocblas_complex_numIdELi16ELi32ELi8ELb1ELb1ELc78ELc76EKPKS1_KPS1_EviT_T0_PT8_S7_lSA_S7_lS8_PT9_S7_li
    .private_segment_fixed_size: 0
    .sgpr_count:     33
    .sgpr_spill_count: 0
    .symbol:         _ZL34rocblas_syrkx_herkx_general_kernelIl19rocblas_complex_numIdELi16ELi32ELi8ELb1ELb1ELc78ELc76EKPKS1_KPS1_EviT_T0_PT8_S7_lSA_S7_lS8_PT9_S7_li.kd
    .uniform_work_group_size: 1
    .uses_dynamic_stack: false
    .vgpr_count:     61
    .vgpr_spill_count: 0
    .wavefront_size: 64
  - .args:
      - .offset:         0
        .size:           4
        .value_kind:     by_value
      - .offset:         8
        .size:           8
        .value_kind:     by_value
      - .offset:         16
        .size:           16
        .value_kind:     by_value
      - .address_space:  global
        .offset:         32
        .size:           8
        .value_kind:     global_buffer
      - .offset:         40
        .size:           8
        .value_kind:     by_value
      - .offset:         48
        .size:           8
        .value_kind:     by_value
      - .address_space:  global
        .offset:         56
        .size:           8
        .value_kind:     global_buffer
      - .offset:         64
        .size:           8
        .value_kind:     by_value
      - .offset:         72
        .size:           8
        .value_kind:     by_value
      - .offset:         80
        .size:           16
        .value_kind:     by_value
      - .address_space:  global
        .offset:         96
        .size:           8
        .value_kind:     global_buffer
      - .offset:         104
        .size:           8
        .value_kind:     by_value
      - .offset:         112
        .size:           8
        .value_kind:     by_value
      - .offset:         120
        .size:           4
        .value_kind:     by_value
    .group_segment_fixed_size: 8192
    .kernarg_segment_align: 8
    .kernarg_segment_size: 124
    .language:       OpenCL C
    .language_version:
      - 2
      - 0
    .max_flat_workgroup_size: 256
    .name:           _ZL34rocblas_syrkx_herkx_general_kernelIl19rocblas_complex_numIdELi16ELi32ELi8ELb1ELb1ELc84ELc85EKPKS1_KPS1_EviT_T0_PT8_S7_lSA_S7_lS8_PT9_S7_li
    .private_segment_fixed_size: 0
    .sgpr_count:     31
    .sgpr_spill_count: 0
    .symbol:         _ZL34rocblas_syrkx_herkx_general_kernelIl19rocblas_complex_numIdELi16ELi32ELi8ELb1ELb1ELc84ELc85EKPKS1_KPS1_EviT_T0_PT8_S7_lSA_S7_lS8_PT9_S7_li.kd
    .uniform_work_group_size: 1
    .uses_dynamic_stack: false
    .vgpr_count:     58
    .vgpr_spill_count: 0
    .wavefront_size: 64
  - .args:
      - .offset:         0
        .size:           4
        .value_kind:     by_value
      - .offset:         8
        .size:           8
        .value_kind:     by_value
      - .offset:         16
        .size:           16
        .value_kind:     by_value
      - .address_space:  global
        .offset:         32
        .size:           8
        .value_kind:     global_buffer
      - .offset:         40
        .size:           8
        .value_kind:     by_value
      - .offset:         48
        .size:           8
        .value_kind:     by_value
      - .address_space:  global
        .offset:         56
        .size:           8
        .value_kind:     global_buffer
      - .offset:         64
        .size:           8
        .value_kind:     by_value
      - .offset:         72
        .size:           8
        .value_kind:     by_value
      - .offset:         80
        .size:           16
        .value_kind:     by_value
      - .address_space:  global
        .offset:         96
        .size:           8
        .value_kind:     global_buffer
      - .offset:         104
        .size:           8
        .value_kind:     by_value
      - .offset:         112
        .size:           8
        .value_kind:     by_value
      - .offset:         120
        .size:           4
        .value_kind:     by_value
    .group_segment_fixed_size: 8192
    .kernarg_segment_align: 8
    .kernarg_segment_size: 124
    .language:       OpenCL C
    .language_version:
      - 2
      - 0
    .max_flat_workgroup_size: 256
    .name:           _ZL34rocblas_syrkx_herkx_general_kernelIl19rocblas_complex_numIdELi16ELi32ELi8ELb1ELb1ELc67ELc85EKPKS1_KPS1_EviT_T0_PT8_S7_lSA_S7_lS8_PT9_S7_li
    .private_segment_fixed_size: 0
    .sgpr_count:     31
    .sgpr_spill_count: 0
    .symbol:         _ZL34rocblas_syrkx_herkx_general_kernelIl19rocblas_complex_numIdELi16ELi32ELi8ELb1ELb1ELc67ELc85EKPKS1_KPS1_EviT_T0_PT8_S7_lSA_S7_lS8_PT9_S7_li.kd
    .uniform_work_group_size: 1
    .uses_dynamic_stack: false
    .vgpr_count:     59
    .vgpr_spill_count: 0
    .wavefront_size: 64
  - .args:
      - .offset:         0
        .size:           4
        .value_kind:     by_value
      - .offset:         8
        .size:           8
        .value_kind:     by_value
      - .offset:         16
        .size:           16
        .value_kind:     by_value
      - .address_space:  global
        .offset:         32
        .size:           8
        .value_kind:     global_buffer
      - .offset:         40
        .size:           8
        .value_kind:     by_value
      - .offset:         48
        .size:           8
        .value_kind:     by_value
      - .address_space:  global
        .offset:         56
        .size:           8
        .value_kind:     global_buffer
      - .offset:         64
        .size:           8
        .value_kind:     by_value
      - .offset:         72
        .size:           8
        .value_kind:     by_value
      - .offset:         80
        .size:           16
        .value_kind:     by_value
      - .address_space:  global
        .offset:         96
        .size:           8
        .value_kind:     global_buffer
      - .offset:         104
        .size:           8
        .value_kind:     by_value
      - .offset:         112
        .size:           8
        .value_kind:     by_value
      - .offset:         120
        .size:           4
        .value_kind:     by_value
    .group_segment_fixed_size: 8192
    .kernarg_segment_align: 8
    .kernarg_segment_size: 124
    .language:       OpenCL C
    .language_version:
      - 2
      - 0
    .max_flat_workgroup_size: 256
    .name:           _ZL34rocblas_syrkx_herkx_general_kernelIl19rocblas_complex_numIdELi16ELi32ELi8ELb1ELb1ELc78ELc85EKPKS1_KPS1_EviT_T0_PT8_S7_lSA_S7_lS8_PT9_S7_li
    .private_segment_fixed_size: 0
    .sgpr_count:     33
    .sgpr_spill_count: 0
    .symbol:         _ZL34rocblas_syrkx_herkx_general_kernelIl19rocblas_complex_numIdELi16ELi32ELi8ELb1ELb1ELc78ELc85EKPKS1_KPS1_EviT_T0_PT8_S7_lSA_S7_lS8_PT9_S7_li.kd
    .uniform_work_group_size: 1
    .uses_dynamic_stack: false
    .vgpr_count:     61
    .vgpr_spill_count: 0
    .wavefront_size: 64
  - .args:
      - .offset:         0
        .size:           4
        .value_kind:     by_value
      - .offset:         8
        .size:           8
        .value_kind:     by_value
      - .offset:         16
        .size:           16
        .value_kind:     by_value
      - .address_space:  global
        .offset:         32
        .size:           8
        .value_kind:     global_buffer
      - .offset:         40
        .size:           8
        .value_kind:     by_value
      - .offset:         48
        .size:           8
        .value_kind:     by_value
      - .address_space:  global
        .offset:         56
        .size:           8
        .value_kind:     global_buffer
      - .offset:         64
        .size:           8
        .value_kind:     by_value
      - .offset:         72
        .size:           8
        .value_kind:     by_value
      - .offset:         80
        .size:           16
        .value_kind:     by_value
      - .address_space:  global
        .offset:         96
        .size:           8
        .value_kind:     global_buffer
      - .offset:         104
        .size:           8
        .value_kind:     by_value
      - .offset:         112
        .size:           8
        .value_kind:     by_value
      - .offset:         120
        .size:           4
        .value_kind:     by_value
    .group_segment_fixed_size: 8192
    .kernarg_segment_align: 8
    .kernarg_segment_size: 124
    .language:       OpenCL C
    .language_version:
      - 2
      - 0
    .max_flat_workgroup_size: 256
    .name:           _ZL34rocblas_syrkx_herkx_general_kernelIl19rocblas_complex_numIdELi16ELi32ELi8ELb0ELb1ELc84ELc76EKPKS1_KPS1_EviT_T0_PT8_S7_lSA_S7_lS8_PT9_S7_li
    .private_segment_fixed_size: 0
    .sgpr_count:     35
    .sgpr_spill_count: 0
    .symbol:         _ZL34rocblas_syrkx_herkx_general_kernelIl19rocblas_complex_numIdELi16ELi32ELi8ELb0ELb1ELc84ELc76EKPKS1_KPS1_EviT_T0_PT8_S7_lSA_S7_lS8_PT9_S7_li.kd
    .uniform_work_group_size: 1
    .uses_dynamic_stack: false
    .vgpr_count:     58
    .vgpr_spill_count: 0
    .wavefront_size: 64
  - .args:
      - .offset:         0
        .size:           4
        .value_kind:     by_value
      - .offset:         8
        .size:           8
        .value_kind:     by_value
      - .offset:         16
        .size:           16
        .value_kind:     by_value
      - .address_space:  global
        .offset:         32
        .size:           8
        .value_kind:     global_buffer
      - .offset:         40
        .size:           8
        .value_kind:     by_value
      - .offset:         48
        .size:           8
        .value_kind:     by_value
      - .address_space:  global
        .offset:         56
        .size:           8
        .value_kind:     global_buffer
      - .offset:         64
        .size:           8
        .value_kind:     by_value
      - .offset:         72
        .size:           8
        .value_kind:     by_value
      - .offset:         80
        .size:           16
        .value_kind:     by_value
      - .address_space:  global
        .offset:         96
        .size:           8
        .value_kind:     global_buffer
      - .offset:         104
        .size:           8
        .value_kind:     by_value
      - .offset:         112
        .size:           8
        .value_kind:     by_value
      - .offset:         120
        .size:           4
        .value_kind:     by_value
    .group_segment_fixed_size: 8192
    .kernarg_segment_align: 8
    .kernarg_segment_size: 124
    .language:       OpenCL C
    .language_version:
      - 2
      - 0
    .max_flat_workgroup_size: 256
    .name:           _ZL34rocblas_syrkx_herkx_general_kernelIl19rocblas_complex_numIdELi16ELi32ELi8ELb0ELb1ELc67ELc76EKPKS1_KPS1_EviT_T0_PT8_S7_lSA_S7_lS8_PT9_S7_li
    .private_segment_fixed_size: 0
    .sgpr_count:     35
    .sgpr_spill_count: 0
    .symbol:         _ZL34rocblas_syrkx_herkx_general_kernelIl19rocblas_complex_numIdELi16ELi32ELi8ELb0ELb1ELc67ELc76EKPKS1_KPS1_EviT_T0_PT8_S7_lSA_S7_lS8_PT9_S7_li.kd
    .uniform_work_group_size: 1
    .uses_dynamic_stack: false
    .vgpr_count:     59
    .vgpr_spill_count: 0
    .wavefront_size: 64
  - .args:
      - .offset:         0
        .size:           4
        .value_kind:     by_value
      - .offset:         8
        .size:           8
        .value_kind:     by_value
      - .offset:         16
        .size:           16
        .value_kind:     by_value
      - .address_space:  global
        .offset:         32
        .size:           8
        .value_kind:     global_buffer
      - .offset:         40
        .size:           8
        .value_kind:     by_value
      - .offset:         48
        .size:           8
        .value_kind:     by_value
      - .address_space:  global
        .offset:         56
        .size:           8
        .value_kind:     global_buffer
      - .offset:         64
        .size:           8
        .value_kind:     by_value
      - .offset:         72
        .size:           8
        .value_kind:     by_value
      - .offset:         80
        .size:           16
        .value_kind:     by_value
      - .address_space:  global
        .offset:         96
        .size:           8
        .value_kind:     global_buffer
      - .offset:         104
        .size:           8
        .value_kind:     by_value
      - .offset:         112
        .size:           8
        .value_kind:     by_value
      - .offset:         120
        .size:           4
        .value_kind:     by_value
    .group_segment_fixed_size: 8192
    .kernarg_segment_align: 8
    .kernarg_segment_size: 124
    .language:       OpenCL C
    .language_version:
      - 2
      - 0
    .max_flat_workgroup_size: 256
    .name:           _ZL34rocblas_syrkx_herkx_general_kernelIl19rocblas_complex_numIdELi16ELi32ELi8ELb0ELb1ELc78ELc76EKPKS1_KPS1_EviT_T0_PT8_S7_lSA_S7_lS8_PT9_S7_li
    .private_segment_fixed_size: 0
    .sgpr_count:     38
    .sgpr_spill_count: 0
    .symbol:         _ZL34rocblas_syrkx_herkx_general_kernelIl19rocblas_complex_numIdELi16ELi32ELi8ELb0ELb1ELc78ELc76EKPKS1_KPS1_EviT_T0_PT8_S7_lSA_S7_lS8_PT9_S7_li.kd
    .uniform_work_group_size: 1
    .uses_dynamic_stack: false
    .vgpr_count:     61
    .vgpr_spill_count: 0
    .wavefront_size: 64
  - .args:
      - .offset:         0
        .size:           4
        .value_kind:     by_value
      - .offset:         8
        .size:           8
        .value_kind:     by_value
      - .offset:         16
        .size:           16
        .value_kind:     by_value
      - .address_space:  global
        .offset:         32
        .size:           8
        .value_kind:     global_buffer
      - .offset:         40
        .size:           8
        .value_kind:     by_value
      - .offset:         48
        .size:           8
        .value_kind:     by_value
      - .address_space:  global
        .offset:         56
        .size:           8
        .value_kind:     global_buffer
      - .offset:         64
        .size:           8
        .value_kind:     by_value
      - .offset:         72
        .size:           8
        .value_kind:     by_value
      - .offset:         80
        .size:           16
        .value_kind:     by_value
      - .address_space:  global
        .offset:         96
        .size:           8
        .value_kind:     global_buffer
      - .offset:         104
        .size:           8
        .value_kind:     by_value
      - .offset:         112
        .size:           8
        .value_kind:     by_value
      - .offset:         120
        .size:           4
        .value_kind:     by_value
    .group_segment_fixed_size: 8192
    .kernarg_segment_align: 8
    .kernarg_segment_size: 124
    .language:       OpenCL C
    .language_version:
      - 2
      - 0
    .max_flat_workgroup_size: 256
    .name:           _ZL34rocblas_syrkx_herkx_general_kernelIl19rocblas_complex_numIdELi16ELi32ELi8ELb0ELb1ELc84ELc85EKPKS1_KPS1_EviT_T0_PT8_S7_lSA_S7_lS8_PT9_S7_li
    .private_segment_fixed_size: 0
    .sgpr_count:     35
    .sgpr_spill_count: 0
    .symbol:         _ZL34rocblas_syrkx_herkx_general_kernelIl19rocblas_complex_numIdELi16ELi32ELi8ELb0ELb1ELc84ELc85EKPKS1_KPS1_EviT_T0_PT8_S7_lSA_S7_lS8_PT9_S7_li.kd
    .uniform_work_group_size: 1
    .uses_dynamic_stack: false
    .vgpr_count:     58
    .vgpr_spill_count: 0
    .wavefront_size: 64
  - .args:
      - .offset:         0
        .size:           4
        .value_kind:     by_value
      - .offset:         8
        .size:           8
        .value_kind:     by_value
      - .offset:         16
        .size:           16
        .value_kind:     by_value
      - .address_space:  global
        .offset:         32
        .size:           8
        .value_kind:     global_buffer
      - .offset:         40
        .size:           8
        .value_kind:     by_value
      - .offset:         48
        .size:           8
        .value_kind:     by_value
      - .address_space:  global
        .offset:         56
        .size:           8
        .value_kind:     global_buffer
      - .offset:         64
        .size:           8
        .value_kind:     by_value
      - .offset:         72
        .size:           8
        .value_kind:     by_value
      - .offset:         80
        .size:           16
        .value_kind:     by_value
      - .address_space:  global
        .offset:         96
        .size:           8
        .value_kind:     global_buffer
      - .offset:         104
        .size:           8
        .value_kind:     by_value
      - .offset:         112
        .size:           8
        .value_kind:     by_value
      - .offset:         120
        .size:           4
        .value_kind:     by_value
    .group_segment_fixed_size: 8192
    .kernarg_segment_align: 8
    .kernarg_segment_size: 124
    .language:       OpenCL C
    .language_version:
      - 2
      - 0
    .max_flat_workgroup_size: 256
    .name:           _ZL34rocblas_syrkx_herkx_general_kernelIl19rocblas_complex_numIdELi16ELi32ELi8ELb0ELb1ELc67ELc85EKPKS1_KPS1_EviT_T0_PT8_S7_lSA_S7_lS8_PT9_S7_li
    .private_segment_fixed_size: 0
    .sgpr_count:     35
    .sgpr_spill_count: 0
    .symbol:         _ZL34rocblas_syrkx_herkx_general_kernelIl19rocblas_complex_numIdELi16ELi32ELi8ELb0ELb1ELc67ELc85EKPKS1_KPS1_EviT_T0_PT8_S7_lSA_S7_lS8_PT9_S7_li.kd
    .uniform_work_group_size: 1
    .uses_dynamic_stack: false
    .vgpr_count:     59
    .vgpr_spill_count: 0
    .wavefront_size: 64
  - .args:
      - .offset:         0
        .size:           4
        .value_kind:     by_value
      - .offset:         8
        .size:           8
        .value_kind:     by_value
      - .offset:         16
        .size:           16
        .value_kind:     by_value
      - .address_space:  global
        .offset:         32
        .size:           8
        .value_kind:     global_buffer
      - .offset:         40
        .size:           8
        .value_kind:     by_value
      - .offset:         48
        .size:           8
        .value_kind:     by_value
      - .address_space:  global
        .offset:         56
        .size:           8
        .value_kind:     global_buffer
      - .offset:         64
        .size:           8
        .value_kind:     by_value
      - .offset:         72
        .size:           8
        .value_kind:     by_value
      - .offset:         80
        .size:           16
        .value_kind:     by_value
      - .address_space:  global
        .offset:         96
        .size:           8
        .value_kind:     global_buffer
      - .offset:         104
        .size:           8
        .value_kind:     by_value
      - .offset:         112
        .size:           8
        .value_kind:     by_value
      - .offset:         120
        .size:           4
        .value_kind:     by_value
    .group_segment_fixed_size: 8192
    .kernarg_segment_align: 8
    .kernarg_segment_size: 124
    .language:       OpenCL C
    .language_version:
      - 2
      - 0
    .max_flat_workgroup_size: 256
    .name:           _ZL34rocblas_syrkx_herkx_general_kernelIl19rocblas_complex_numIdELi16ELi32ELi8ELb0ELb1ELc78ELc85EKPKS1_KPS1_EviT_T0_PT8_S7_lSA_S7_lS8_PT9_S7_li
    .private_segment_fixed_size: 0
    .sgpr_count:     38
    .sgpr_spill_count: 0
    .symbol:         _ZL34rocblas_syrkx_herkx_general_kernelIl19rocblas_complex_numIdELi16ELi32ELi8ELb0ELb1ELc78ELc85EKPKS1_KPS1_EviT_T0_PT8_S7_lSA_S7_lS8_PT9_S7_li.kd
    .uniform_work_group_size: 1
    .uses_dynamic_stack: false
    .vgpr_count:     61
    .vgpr_spill_count: 0
    .wavefront_size: 64
  - .args:
      - .offset:         0
        .size:           1
        .value_kind:     by_value
      - .offset:         4
        .size:           4
        .value_kind:     by_value
      - .offset:         8
        .size:           8
        .value_kind:     by_value
      - .offset:         16
        .size:           16
        .value_kind:     by_value
      - .offset:         32
        .size:           16
        .value_kind:     by_value
      - .address_space:  global
        .offset:         48
        .size:           8
        .value_kind:     global_buffer
      - .offset:         56
        .size:           8
        .value_kind:     by_value
      - .offset:         64
        .size:           8
        .value_kind:     by_value
      - .offset:         72
        .size:           4
        .value_kind:     by_value
      - .offset:         80
        .size:           4
        .value_kind:     hidden_block_count_x
      - .offset:         84
        .size:           4
        .value_kind:     hidden_block_count_y
      - .offset:         88
        .size:           4
        .value_kind:     hidden_block_count_z
      - .offset:         92
        .size:           2
        .value_kind:     hidden_group_size_x
      - .offset:         94
        .size:           2
        .value_kind:     hidden_group_size_y
      - .offset:         96
        .size:           2
        .value_kind:     hidden_group_size_z
      - .offset:         98
        .size:           2
        .value_kind:     hidden_remainder_x
      - .offset:         100
        .size:           2
        .value_kind:     hidden_remainder_y
      - .offset:         102
        .size:           2
        .value_kind:     hidden_remainder_z
      - .offset:         120
        .size:           8
        .value_kind:     hidden_global_offset_x
      - .offset:         128
        .size:           8
        .value_kind:     hidden_global_offset_y
      - .offset:         136
        .size:           8
        .value_kind:     hidden_global_offset_z
      - .offset:         144
        .size:           2
        .value_kind:     hidden_grid_dims
    .group_segment_fixed_size: 0
    .kernarg_segment_align: 8
    .kernarg_segment_size: 336
    .language:       OpenCL C
    .language_version:
      - 2
      - 0
    .max_flat_workgroup_size: 1024
    .name:           _ZL26rocblas_syr2k_scale_kernelIlLi128ELi8ELb1E19rocblas_complex_numIdES1_PKPS1_EvbiT_T3_T4_T5_S5_li
    .private_segment_fixed_size: 0
    .sgpr_count:     32
    .sgpr_spill_count: 0
    .symbol:         _ZL26rocblas_syr2k_scale_kernelIlLi128ELi8ELb1E19rocblas_complex_numIdES1_PKPS1_EvbiT_T3_T4_T5_S5_li.kd
    .uniform_work_group_size: 1
    .uses_dynamic_stack: false
    .vgpr_count:     13
    .vgpr_spill_count: 0
    .wavefront_size: 64
  - .args:
      - .offset:         0
        .size:           1
        .value_kind:     by_value
      - .offset:         4
        .size:           4
        .value_kind:     by_value
      - .offset:         8
        .size:           8
        .value_kind:     by_value
      - .address_space:  global
        .offset:         16
        .size:           8
        .value_kind:     global_buffer
      - .address_space:  global
        .offset:         24
        .size:           8
        .value_kind:     global_buffer
      - .offset:         32
        .size:           8
        .value_kind:     by_value
      - .offset:         40
        .size:           8
        .value_kind:     by_value
      - .address_space:  global
        .offset:         48
        .size:           8
        .value_kind:     global_buffer
      - .offset:         56
        .size:           8
        .value_kind:     by_value
      - .offset:         64
        .size:           8
        .value_kind:     by_value
      - .address_space:  global
        .offset:         72
        .size:           8
        .value_kind:     global_buffer
      - .offset:         80
        .size:           8
        .value_kind:     by_value
      - .offset:         88
        .size:           8
        .value_kind:     by_value
      - .offset:         96
        .size:           4
        .value_kind:     by_value
    .group_segment_fixed_size: 32768
    .kernarg_segment_align: 8
    .kernarg_segment_size: 100
    .language:       OpenCL C
    .language_version:
      - 2
      - 0
    .max_flat_workgroup_size: 1024
    .name:           _ZL26rocblas_syr2k_her2k_kernelIlLb0ELb1ELb0ELi32EPK19rocblas_complex_numIdEPKS3_PKPS1_EvbiT_T4_T5_S9_lSB_S9_lT6_S9_li
    .private_segment_fixed_size: 0
    .sgpr_count:     44
    .sgpr_spill_count: 0
    .symbol:         _ZL26rocblas_syr2k_her2k_kernelIlLb0ELb1ELb0ELi32EPK19rocblas_complex_numIdEPKS3_PKPS1_EvbiT_T4_T5_S9_lSB_S9_lT6_S9_li.kd
    .uniform_work_group_size: 1
    .uses_dynamic_stack: false
    .vgpr_count:     38
    .vgpr_spill_count: 0
    .wavefront_size: 64
  - .args:
      - .offset:         0
        .size:           1
        .value_kind:     by_value
      - .offset:         4
        .size:           4
        .value_kind:     by_value
      - .offset:         8
        .size:           8
        .value_kind:     by_value
      - .address_space:  global
        .offset:         16
        .size:           8
        .value_kind:     global_buffer
      - .address_space:  global
        .offset:         24
        .size:           8
        .value_kind:     global_buffer
      - .offset:         32
        .size:           8
        .value_kind:     by_value
      - .offset:         40
        .size:           8
        .value_kind:     by_value
      - .address_space:  global
        .offset:         48
        .size:           8
        .value_kind:     global_buffer
      - .offset:         56
        .size:           8
        .value_kind:     by_value
      - .offset:         64
        .size:           8
        .value_kind:     by_value
      - .address_space:  global
        .offset:         72
        .size:           8
        .value_kind:     global_buffer
      - .offset:         80
        .size:           8
        .value_kind:     by_value
      - .offset:         88
        .size:           8
        .value_kind:     by_value
      - .offset:         96
        .size:           4
        .value_kind:     by_value
    .group_segment_fixed_size: 32768
    .kernarg_segment_align: 8
    .kernarg_segment_size: 100
    .language:       OpenCL C
    .language_version:
      - 2
      - 0
    .max_flat_workgroup_size: 1024
    .name:           _ZL26rocblas_syr2k_her2k_kernelIlLb0ELb1ELb1ELi32EPK19rocblas_complex_numIdEPKS3_PKPS1_EvbiT_T4_T5_S9_lSB_S9_lT6_S9_li
    .private_segment_fixed_size: 0
    .sgpr_count:     44
    .sgpr_spill_count: 0
    .symbol:         _ZL26rocblas_syr2k_her2k_kernelIlLb0ELb1ELb1ELi32EPK19rocblas_complex_numIdEPKS3_PKPS1_EvbiT_T4_T5_S9_lSB_S9_lT6_S9_li.kd
    .uniform_work_group_size: 1
    .uses_dynamic_stack: false
    .vgpr_count:     38
    .vgpr_spill_count: 0
    .wavefront_size: 64
  - .args:
      - .offset:         0
        .size:           1
        .value_kind:     by_value
      - .offset:         4
        .size:           4
        .value_kind:     by_value
      - .offset:         8
        .size:           8
        .value_kind:     by_value
      - .offset:         16
        .size:           4
        .value_kind:     by_value
      - .address_space:  global
        .offset:         24
        .size:           8
        .value_kind:     global_buffer
      - .offset:         32
        .size:           8
        .value_kind:     by_value
      - .offset:         40
        .size:           8
        .value_kind:     by_value
      - .address_space:  global
        .offset:         48
        .size:           8
        .value_kind:     global_buffer
      - .offset:         56
        .size:           8
        .value_kind:     by_value
      - .offset:         64
        .size:           8
        .value_kind:     by_value
      - .address_space:  global
        .offset:         72
        .size:           8
        .value_kind:     global_buffer
      - .offset:         80
        .size:           8
        .value_kind:     by_value
      - .offset:         88
        .size:           8
        .value_kind:     by_value
      - .offset:         96
        .size:           4
        .value_kind:     by_value
    .group_segment_fixed_size: 8192
    .kernarg_segment_align: 8
    .kernarg_segment_size: 100
    .language:       OpenCL C
    .language_version:
      - 2
      - 0
    .max_flat_workgroup_size: 1024
    .name:           _ZL26rocblas_syr2k_her2k_kernelIlLb1ELb0ELb0ELi32EfPKfPfEvbiT_T4_T5_S3_lS5_S3_lT6_S3_li
    .private_segment_fixed_size: 0
    .sgpr_count:     38
    .sgpr_spill_count: 0
    .symbol:         _ZL26rocblas_syr2k_her2k_kernelIlLb1ELb0ELb0ELi32EfPKfPfEvbiT_T4_T5_S3_lS5_S3_lT6_S3_li.kd
    .uniform_work_group_size: 1
    .uses_dynamic_stack: false
    .vgpr_count:     34
    .vgpr_spill_count: 0
    .wavefront_size: 64
  - .args:
      - .offset:         0
        .size:           1
        .value_kind:     by_value
      - .offset:         4
        .size:           4
        .value_kind:     by_value
      - .offset:         8
        .size:           8
        .value_kind:     by_value
      - .offset:         16
        .size:           4
        .value_kind:     by_value
      - .address_space:  global
        .offset:         24
        .size:           8
        .value_kind:     global_buffer
      - .offset:         32
        .size:           8
        .value_kind:     by_value
      - .offset:         40
        .size:           8
        .value_kind:     by_value
      - .address_space:  global
        .offset:         48
        .size:           8
        .value_kind:     global_buffer
      - .offset:         56
        .size:           8
        .value_kind:     by_value
      - .offset:         64
        .size:           8
        .value_kind:     by_value
      - .address_space:  global
        .offset:         72
        .size:           8
        .value_kind:     global_buffer
      - .offset:         80
        .size:           8
        .value_kind:     by_value
      - .offset:         88
        .size:           8
        .value_kind:     by_value
      - .offset:         96
        .size:           4
        .value_kind:     by_value
    .group_segment_fixed_size: 8192
    .kernarg_segment_align: 8
    .kernarg_segment_size: 100
    .language:       OpenCL C
    .language_version:
      - 2
      - 0
    .max_flat_workgroup_size: 1024
    .name:           _ZL26rocblas_syr2k_her2k_kernelIlLb1ELb0ELb1ELi32EfPKfPfEvbiT_T4_T5_S3_lS5_S3_lT6_S3_li
    .private_segment_fixed_size: 0
    .sgpr_count:     38
    .sgpr_spill_count: 0
    .symbol:         _ZL26rocblas_syr2k_her2k_kernelIlLb1ELb0ELb1ELi32EfPKfPfEvbiT_T4_T5_S3_lS5_S3_lT6_S3_li.kd
    .uniform_work_group_size: 1
    .uses_dynamic_stack: false
    .vgpr_count:     34
    .vgpr_spill_count: 0
    .wavefront_size: 64
  - .args:
      - .offset:         0
        .size:           1
        .value_kind:     by_value
      - .offset:         4
        .size:           4
        .value_kind:     by_value
      - .offset:         8
        .size:           8
        .value_kind:     by_value
      - .address_space:  global
        .offset:         16
        .size:           8
        .value_kind:     global_buffer
      - .address_space:  global
        .offset:         24
        .size:           8
        .value_kind:     global_buffer
      - .offset:         32
        .size:           8
        .value_kind:     by_value
      - .offset:         40
        .size:           8
        .value_kind:     by_value
      - .address_space:  global
        .offset:         48
        .size:           8
        .value_kind:     global_buffer
      - .offset:         56
        .size:           8
        .value_kind:     by_value
      - .offset:         64
        .size:           8
        .value_kind:     by_value
      - .address_space:  global
        .offset:         72
        .size:           8
        .value_kind:     global_buffer
      - .offset:         80
        .size:           8
        .value_kind:     by_value
      - .offset:         88
        .size:           8
        .value_kind:     by_value
      - .offset:         96
        .size:           4
        .value_kind:     by_value
    .group_segment_fixed_size: 8192
    .kernarg_segment_align: 8
    .kernarg_segment_size: 100
    .language:       OpenCL C
    .language_version:
      - 2
      - 0
    .max_flat_workgroup_size: 1024
    .name:           _ZL26rocblas_syr2k_her2k_kernelIlLb1ELb0ELb0ELi32EPKfS1_PfEvbiT_T4_T5_S3_lS5_S3_lT6_S3_li
    .private_segment_fixed_size: 0
    .sgpr_count:     38
    .sgpr_spill_count: 0
    .symbol:         _ZL26rocblas_syr2k_her2k_kernelIlLb1ELb0ELb0ELi32EPKfS1_PfEvbiT_T4_T5_S3_lS5_S3_lT6_S3_li.kd
    .uniform_work_group_size: 1
    .uses_dynamic_stack: false
    .vgpr_count:     34
    .vgpr_spill_count: 0
    .wavefront_size: 64
  - .args:
      - .offset:         0
        .size:           1
        .value_kind:     by_value
      - .offset:         4
        .size:           4
        .value_kind:     by_value
      - .offset:         8
        .size:           8
        .value_kind:     by_value
      - .address_space:  global
        .offset:         16
        .size:           8
        .value_kind:     global_buffer
      - .address_space:  global
        .offset:         24
        .size:           8
        .value_kind:     global_buffer
      - .offset:         32
        .size:           8
        .value_kind:     by_value
      - .offset:         40
        .size:           8
        .value_kind:     by_value
      - .address_space:  global
        .offset:         48
        .size:           8
        .value_kind:     global_buffer
      - .offset:         56
        .size:           8
        .value_kind:     by_value
      - .offset:         64
        .size:           8
        .value_kind:     by_value
      - .address_space:  global
        .offset:         72
        .size:           8
        .value_kind:     global_buffer
      - .offset:         80
        .size:           8
        .value_kind:     by_value
      - .offset:         88
        .size:           8
        .value_kind:     by_value
      - .offset:         96
        .size:           4
        .value_kind:     by_value
    .group_segment_fixed_size: 8192
    .kernarg_segment_align: 8
    .kernarg_segment_size: 100
    .language:       OpenCL C
    .language_version:
      - 2
      - 0
    .max_flat_workgroup_size: 1024
    .name:           _ZL26rocblas_syr2k_her2k_kernelIlLb1ELb0ELb1ELi32EPKfS1_PfEvbiT_T4_T5_S3_lS5_S3_lT6_S3_li
    .private_segment_fixed_size: 0
    .sgpr_count:     44
    .sgpr_spill_count: 0
    .symbol:         _ZL26rocblas_syr2k_her2k_kernelIlLb1ELb0ELb1ELi32EPKfS1_PfEvbiT_T4_T5_S3_lS5_S3_lT6_S3_li.kd
    .uniform_work_group_size: 1
    .uses_dynamic_stack: false
    .vgpr_count:     34
    .vgpr_spill_count: 0
    .wavefront_size: 64
  - .args:
      - .offset:         0
        .size:           1
        .value_kind:     by_value
      - .offset:         4
        .size:           4
        .value_kind:     by_value
      - .offset:         8
        .size:           8
        .value_kind:     by_value
      - .offset:         16
        .size:           8
        .value_kind:     by_value
      - .address_space:  global
        .offset:         24
        .size:           8
        .value_kind:     global_buffer
      - .offset:         32
        .size:           8
        .value_kind:     by_value
      - .offset:         40
        .size:           8
        .value_kind:     by_value
      - .address_space:  global
        .offset:         48
        .size:           8
        .value_kind:     global_buffer
      - .offset:         56
        .size:           8
        .value_kind:     by_value
      - .offset:         64
        .size:           8
        .value_kind:     by_value
      - .address_space:  global
        .offset:         72
        .size:           8
        .value_kind:     global_buffer
      - .offset:         80
        .size:           8
        .value_kind:     by_value
      - .offset:         88
        .size:           8
        .value_kind:     by_value
      - .offset:         96
        .size:           4
        .value_kind:     by_value
    .group_segment_fixed_size: 16384
    .kernarg_segment_align: 8
    .kernarg_segment_size: 100
    .language:       OpenCL C
    .language_version:
      - 2
      - 0
    .max_flat_workgroup_size: 1024
    .name:           _ZL26rocblas_syr2k_her2k_kernelIlLb1ELb0ELb0ELi32EdPKdPdEvbiT_T4_T5_S3_lS5_S3_lT6_S3_li
    .private_segment_fixed_size: 0
    .sgpr_count:     36
    .sgpr_spill_count: 0
    .symbol:         _ZL26rocblas_syr2k_her2k_kernelIlLb1ELb0ELb0ELi32EdPKdPdEvbiT_T4_T5_S3_lS5_S3_lT6_S3_li.kd
    .uniform_work_group_size: 1
    .uses_dynamic_stack: false
    .vgpr_count:     29
    .vgpr_spill_count: 0
    .wavefront_size: 64
  - .args:
      - .offset:         0
        .size:           1
        .value_kind:     by_value
      - .offset:         4
        .size:           4
        .value_kind:     by_value
      - .offset:         8
        .size:           8
        .value_kind:     by_value
      - .offset:         16
        .size:           8
        .value_kind:     by_value
      - .address_space:  global
        .offset:         24
        .size:           8
        .value_kind:     global_buffer
      - .offset:         32
        .size:           8
        .value_kind:     by_value
      - .offset:         40
        .size:           8
        .value_kind:     by_value
      - .address_space:  global
        .offset:         48
        .size:           8
        .value_kind:     global_buffer
      - .offset:         56
        .size:           8
        .value_kind:     by_value
      - .offset:         64
        .size:           8
        .value_kind:     by_value
      - .address_space:  global
        .offset:         72
        .size:           8
        .value_kind:     global_buffer
      - .offset:         80
        .size:           8
        .value_kind:     by_value
      - .offset:         88
        .size:           8
        .value_kind:     by_value
      - .offset:         96
        .size:           4
        .value_kind:     by_value
    .group_segment_fixed_size: 16384
    .kernarg_segment_align: 8
    .kernarg_segment_size: 100
    .language:       OpenCL C
    .language_version:
      - 2
      - 0
    .max_flat_workgroup_size: 1024
    .name:           _ZL26rocblas_syr2k_her2k_kernelIlLb1ELb0ELb1ELi32EdPKdPdEvbiT_T4_T5_S3_lS5_S3_lT6_S3_li
    .private_segment_fixed_size: 0
    .sgpr_count:     36
    .sgpr_spill_count: 0
    .symbol:         _ZL26rocblas_syr2k_her2k_kernelIlLb1ELb0ELb1ELi32EdPKdPdEvbiT_T4_T5_S3_lS5_S3_lT6_S3_li.kd
    .uniform_work_group_size: 1
    .uses_dynamic_stack: false
    .vgpr_count:     29
    .vgpr_spill_count: 0
    .wavefront_size: 64
  - .args:
      - .offset:         0
        .size:           1
        .value_kind:     by_value
      - .offset:         4
        .size:           4
        .value_kind:     by_value
      - .offset:         8
        .size:           8
        .value_kind:     by_value
      - .address_space:  global
        .offset:         16
        .size:           8
        .value_kind:     global_buffer
      - .address_space:  global
        .offset:         24
        .size:           8
        .value_kind:     global_buffer
      - .offset:         32
        .size:           8
        .value_kind:     by_value
      - .offset:         40
        .size:           8
        .value_kind:     by_value
      - .address_space:  global
        .offset:         48
        .size:           8
        .value_kind:     global_buffer
      - .offset:         56
        .size:           8
        .value_kind:     by_value
      - .offset:         64
        .size:           8
        .value_kind:     by_value
      - .address_space:  global
        .offset:         72
        .size:           8
        .value_kind:     global_buffer
      - .offset:         80
        .size:           8
        .value_kind:     by_value
      - .offset:         88
        .size:           8
        .value_kind:     by_value
      - .offset:         96
        .size:           4
        .value_kind:     by_value
    .group_segment_fixed_size: 16384
    .kernarg_segment_align: 8
    .kernarg_segment_size: 100
    .language:       OpenCL C
    .language_version:
      - 2
      - 0
    .max_flat_workgroup_size: 1024
    .name:           _ZL26rocblas_syr2k_her2k_kernelIlLb1ELb0ELb0ELi32EPKdS1_PdEvbiT_T4_T5_S3_lS5_S3_lT6_S3_li
    .private_segment_fixed_size: 0
    .sgpr_count:     36
    .sgpr_spill_count: 0
    .symbol:         _ZL26rocblas_syr2k_her2k_kernelIlLb1ELb0ELb0ELi32EPKdS1_PdEvbiT_T4_T5_S3_lS5_S3_lT6_S3_li.kd
    .uniform_work_group_size: 1
    .uses_dynamic_stack: false
    .vgpr_count:     29
    .vgpr_spill_count: 0
    .wavefront_size: 64
  - .args:
      - .offset:         0
        .size:           1
        .value_kind:     by_value
      - .offset:         4
        .size:           4
        .value_kind:     by_value
      - .offset:         8
        .size:           8
        .value_kind:     by_value
      - .address_space:  global
        .offset:         16
        .size:           8
        .value_kind:     global_buffer
      - .address_space:  global
        .offset:         24
        .size:           8
        .value_kind:     global_buffer
      - .offset:         32
        .size:           8
        .value_kind:     by_value
      - .offset:         40
        .size:           8
        .value_kind:     by_value
      - .address_space:  global
        .offset:         48
        .size:           8
        .value_kind:     global_buffer
      - .offset:         56
        .size:           8
        .value_kind:     by_value
      - .offset:         64
        .size:           8
        .value_kind:     by_value
      - .address_space:  global
        .offset:         72
        .size:           8
        .value_kind:     global_buffer
      - .offset:         80
        .size:           8
        .value_kind:     by_value
      - .offset:         88
        .size:           8
        .value_kind:     by_value
      - .offset:         96
        .size:           4
        .value_kind:     by_value
    .group_segment_fixed_size: 16384
    .kernarg_segment_align: 8
    .kernarg_segment_size: 100
    .language:       OpenCL C
    .language_version:
      - 2
      - 0
    .max_flat_workgroup_size: 1024
    .name:           _ZL26rocblas_syr2k_her2k_kernelIlLb1ELb0ELb1ELi32EPKdS1_PdEvbiT_T4_T5_S3_lS5_S3_lT6_S3_li
    .private_segment_fixed_size: 0
    .sgpr_count:     36
    .sgpr_spill_count: 0
    .symbol:         _ZL26rocblas_syr2k_her2k_kernelIlLb1ELb0ELb1ELi32EPKdS1_PdEvbiT_T4_T5_S3_lS5_S3_lT6_S3_li.kd
    .uniform_work_group_size: 1
    .uses_dynamic_stack: false
    .vgpr_count:     29
    .vgpr_spill_count: 0
    .wavefront_size: 64
  - .args:
      - .offset:         0
        .size:           1
        .value_kind:     by_value
      - .offset:         4
        .size:           4
        .value_kind:     by_value
      - .offset:         8
        .size:           8
        .value_kind:     by_value
      - .offset:         16
        .size:           8
        .value_kind:     by_value
      - .address_space:  global
        .offset:         24
        .size:           8
        .value_kind:     global_buffer
      - .offset:         32
        .size:           8
        .value_kind:     by_value
      - .offset:         40
        .size:           8
        .value_kind:     by_value
      - .address_space:  global
        .offset:         48
        .size:           8
        .value_kind:     global_buffer
      - .offset:         56
        .size:           8
        .value_kind:     by_value
      - .offset:         64
        .size:           8
        .value_kind:     by_value
      - .address_space:  global
        .offset:         72
        .size:           8
        .value_kind:     global_buffer
      - .offset:         80
        .size:           8
        .value_kind:     by_value
      - .offset:         88
        .size:           8
        .value_kind:     by_value
      - .offset:         96
        .size:           4
        .value_kind:     by_value
    .group_segment_fixed_size: 16384
    .kernarg_segment_align: 8
    .kernarg_segment_size: 100
    .language:       OpenCL C
    .language_version:
      - 2
      - 0
    .max_flat_workgroup_size: 1024
    .name:           _ZL26rocblas_syr2k_her2k_kernelIlLb1ELb0ELb0ELi32E19rocblas_complex_numIfEPKS1_PS1_EvbiT_T4_T5_S5_lS7_S5_lT6_S5_li
    .private_segment_fixed_size: 0
    .sgpr_count:     36
    .sgpr_spill_count: 0
    .symbol:         _ZL26rocblas_syr2k_her2k_kernelIlLb1ELb0ELb0ELi32E19rocblas_complex_numIfEPKS1_PS1_EvbiT_T4_T5_S5_lS7_S5_lT6_S5_li.kd
    .uniform_work_group_size: 1
    .uses_dynamic_stack: false
    .vgpr_count:     40
    .vgpr_spill_count: 0
    .wavefront_size: 64
  - .args:
      - .offset:         0
        .size:           1
        .value_kind:     by_value
      - .offset:         4
        .size:           4
        .value_kind:     by_value
      - .offset:         8
        .size:           8
        .value_kind:     by_value
      - .offset:         16
        .size:           8
        .value_kind:     by_value
      - .address_space:  global
        .offset:         24
        .size:           8
        .value_kind:     global_buffer
      - .offset:         32
        .size:           8
        .value_kind:     by_value
      - .offset:         40
        .size:           8
        .value_kind:     by_value
      - .address_space:  global
        .offset:         48
        .size:           8
        .value_kind:     global_buffer
      - .offset:         56
        .size:           8
        .value_kind:     by_value
      - .offset:         64
        .size:           8
        .value_kind:     by_value
      - .address_space:  global
        .offset:         72
        .size:           8
        .value_kind:     global_buffer
      - .offset:         80
        .size:           8
        .value_kind:     by_value
      - .offset:         88
        .size:           8
        .value_kind:     by_value
      - .offset:         96
        .size:           4
        .value_kind:     by_value
    .group_segment_fixed_size: 16384
    .kernarg_segment_align: 8
    .kernarg_segment_size: 100
    .language:       OpenCL C
    .language_version:
      - 2
      - 0
    .max_flat_workgroup_size: 1024
    .name:           _ZL26rocblas_syr2k_her2k_kernelIlLb1ELb0ELb1ELi32E19rocblas_complex_numIfEPKS1_PS1_EvbiT_T4_T5_S5_lS7_S5_lT6_S5_li
    .private_segment_fixed_size: 0
    .sgpr_count:     36
    .sgpr_spill_count: 0
    .symbol:         _ZL26rocblas_syr2k_her2k_kernelIlLb1ELb0ELb1ELi32E19rocblas_complex_numIfEPKS1_PS1_EvbiT_T4_T5_S5_lS7_S5_lT6_S5_li.kd
    .uniform_work_group_size: 1
    .uses_dynamic_stack: false
    .vgpr_count:     40
    .vgpr_spill_count: 0
    .wavefront_size: 64
  - .args:
      - .offset:         0
        .size:           1
        .value_kind:     by_value
      - .offset:         4
        .size:           4
        .value_kind:     by_value
      - .offset:         8
        .size:           8
        .value_kind:     by_value
      - .address_space:  global
        .offset:         16
        .size:           8
        .value_kind:     global_buffer
      - .address_space:  global
        .offset:         24
        .size:           8
        .value_kind:     global_buffer
      - .offset:         32
        .size:           8
        .value_kind:     by_value
      - .offset:         40
        .size:           8
        .value_kind:     by_value
      - .address_space:  global
        .offset:         48
        .size:           8
        .value_kind:     global_buffer
      - .offset:         56
        .size:           8
        .value_kind:     by_value
      - .offset:         64
        .size:           8
        .value_kind:     by_value
      - .address_space:  global
        .offset:         72
        .size:           8
        .value_kind:     global_buffer
      - .offset:         80
        .size:           8
        .value_kind:     by_value
      - .offset:         88
        .size:           8
        .value_kind:     by_value
      - .offset:         96
        .size:           4
        .value_kind:     by_value
    .group_segment_fixed_size: 16384
    .kernarg_segment_align: 8
    .kernarg_segment_size: 100
    .language:       OpenCL C
    .language_version:
      - 2
      - 0
    .max_flat_workgroup_size: 1024
    .name:           _ZL26rocblas_syr2k_her2k_kernelIlLb1ELb0ELb0ELi32EPK19rocblas_complex_numIfES3_PS1_EvbiT_T4_T5_S5_lS7_S5_lT6_S5_li
    .private_segment_fixed_size: 0
    .sgpr_count:     36
    .sgpr_spill_count: 0
    .symbol:         _ZL26rocblas_syr2k_her2k_kernelIlLb1ELb0ELb0ELi32EPK19rocblas_complex_numIfES3_PS1_EvbiT_T4_T5_S5_lS7_S5_lT6_S5_li.kd
    .uniform_work_group_size: 1
    .uses_dynamic_stack: false
    .vgpr_count:     40
    .vgpr_spill_count: 0
    .wavefront_size: 64
  - .args:
      - .offset:         0
        .size:           1
        .value_kind:     by_value
      - .offset:         4
        .size:           4
        .value_kind:     by_value
      - .offset:         8
        .size:           8
        .value_kind:     by_value
      - .address_space:  global
        .offset:         16
        .size:           8
        .value_kind:     global_buffer
      - .address_space:  global
        .offset:         24
        .size:           8
        .value_kind:     global_buffer
      - .offset:         32
        .size:           8
        .value_kind:     by_value
      - .offset:         40
        .size:           8
        .value_kind:     by_value
      - .address_space:  global
        .offset:         48
        .size:           8
        .value_kind:     global_buffer
      - .offset:         56
        .size:           8
        .value_kind:     by_value
      - .offset:         64
        .size:           8
        .value_kind:     by_value
      - .address_space:  global
        .offset:         72
        .size:           8
        .value_kind:     global_buffer
      - .offset:         80
        .size:           8
        .value_kind:     by_value
      - .offset:         88
        .size:           8
        .value_kind:     by_value
      - .offset:         96
        .size:           4
        .value_kind:     by_value
    .group_segment_fixed_size: 16384
    .kernarg_segment_align: 8
    .kernarg_segment_size: 100
    .language:       OpenCL C
    .language_version:
      - 2
      - 0
    .max_flat_workgroup_size: 1024
    .name:           _ZL26rocblas_syr2k_her2k_kernelIlLb1ELb0ELb1ELi32EPK19rocblas_complex_numIfES3_PS1_EvbiT_T4_T5_S5_lS7_S5_lT6_S5_li
    .private_segment_fixed_size: 0
    .sgpr_count:     36
    .sgpr_spill_count: 0
    .symbol:         _ZL26rocblas_syr2k_her2k_kernelIlLb1ELb0ELb1ELi32EPK19rocblas_complex_numIfES3_PS1_EvbiT_T4_T5_S5_lS7_S5_lT6_S5_li.kd
    .uniform_work_group_size: 1
    .uses_dynamic_stack: false
    .vgpr_count:     40
    .vgpr_spill_count: 0
    .wavefront_size: 64
  - .args:
      - .offset:         0
        .size:           1
        .value_kind:     by_value
      - .offset:         4
        .size:           4
        .value_kind:     by_value
      - .offset:         8
        .size:           8
        .value_kind:     by_value
      - .offset:         16
        .size:           16
        .value_kind:     by_value
      - .address_space:  global
        .offset:         32
        .size:           8
        .value_kind:     global_buffer
      - .offset:         40
        .size:           8
        .value_kind:     by_value
      - .offset:         48
        .size:           8
        .value_kind:     by_value
      - .address_space:  global
        .offset:         56
        .size:           8
        .value_kind:     global_buffer
      - .offset:         64
        .size:           8
        .value_kind:     by_value
      - .offset:         72
        .size:           8
        .value_kind:     by_value
      - .address_space:  global
        .offset:         80
        .size:           8
        .value_kind:     global_buffer
      - .offset:         88
        .size:           8
        .value_kind:     by_value
      - .offset:         96
        .size:           8
        .value_kind:     by_value
      - .offset:         104
        .size:           4
        .value_kind:     by_value
    .group_segment_fixed_size: 32768
    .kernarg_segment_align: 8
    .kernarg_segment_size: 108
    .language:       OpenCL C
    .language_version:
      - 2
      - 0
    .max_flat_workgroup_size: 1024
    .name:           _ZL26rocblas_syr2k_her2k_kernelIlLb1ELb0ELb0ELi32E19rocblas_complex_numIdEPKS1_PS1_EvbiT_T4_T5_S5_lS7_S5_lT6_S5_li
    .private_segment_fixed_size: 0
    .sgpr_count:     48
    .sgpr_spill_count: 0
    .symbol:         _ZL26rocblas_syr2k_her2k_kernelIlLb1ELb0ELb0ELi32E19rocblas_complex_numIdEPKS1_PS1_EvbiT_T4_T5_S5_lS7_S5_lT6_S5_li.kd
    .uniform_work_group_size: 1
    .uses_dynamic_stack: false
    .vgpr_count:     58
    .vgpr_spill_count: 0
    .wavefront_size: 64
  - .args:
      - .offset:         0
        .size:           1
        .value_kind:     by_value
      - .offset:         4
        .size:           4
        .value_kind:     by_value
      - .offset:         8
        .size:           8
        .value_kind:     by_value
      - .offset:         16
        .size:           16
        .value_kind:     by_value
      - .address_space:  global
        .offset:         32
        .size:           8
        .value_kind:     global_buffer
      - .offset:         40
        .size:           8
        .value_kind:     by_value
      - .offset:         48
        .size:           8
        .value_kind:     by_value
      - .address_space:  global
        .offset:         56
        .size:           8
        .value_kind:     global_buffer
      - .offset:         64
        .size:           8
        .value_kind:     by_value
      - .offset:         72
        .size:           8
        .value_kind:     by_value
      - .address_space:  global
        .offset:         80
        .size:           8
        .value_kind:     global_buffer
      - .offset:         88
        .size:           8
        .value_kind:     by_value
      - .offset:         96
        .size:           8
        .value_kind:     by_value
      - .offset:         104
        .size:           4
        .value_kind:     by_value
    .group_segment_fixed_size: 32768
    .kernarg_segment_align: 8
    .kernarg_segment_size: 108
    .language:       OpenCL C
    .language_version:
      - 2
      - 0
    .max_flat_workgroup_size: 1024
    .name:           _ZL26rocblas_syr2k_her2k_kernelIlLb1ELb0ELb1ELi32E19rocblas_complex_numIdEPKS1_PS1_EvbiT_T4_T5_S5_lS7_S5_lT6_S5_li
    .private_segment_fixed_size: 0
    .sgpr_count:     48
    .sgpr_spill_count: 0
    .symbol:         _ZL26rocblas_syr2k_her2k_kernelIlLb1ELb0ELb1ELi32E19rocblas_complex_numIdEPKS1_PS1_EvbiT_T4_T5_S5_lS7_S5_lT6_S5_li.kd
    .uniform_work_group_size: 1
    .uses_dynamic_stack: false
    .vgpr_count:     58
    .vgpr_spill_count: 0
    .wavefront_size: 64
  - .args:
      - .offset:         0
        .size:           1
        .value_kind:     by_value
      - .offset:         4
        .size:           4
        .value_kind:     by_value
      - .offset:         8
        .size:           8
        .value_kind:     by_value
      - .address_space:  global
        .offset:         16
        .size:           8
        .value_kind:     global_buffer
      - .address_space:  global
        .offset:         24
        .size:           8
        .value_kind:     global_buffer
      - .offset:         32
        .size:           8
        .value_kind:     by_value
      - .offset:         40
        .size:           8
        .value_kind:     by_value
      - .address_space:  global
        .offset:         48
        .size:           8
        .value_kind:     global_buffer
      - .offset:         56
        .size:           8
        .value_kind:     by_value
      - .offset:         64
        .size:           8
        .value_kind:     by_value
      - .address_space:  global
        .offset:         72
        .size:           8
        .value_kind:     global_buffer
      - .offset:         80
        .size:           8
        .value_kind:     by_value
      - .offset:         88
        .size:           8
        .value_kind:     by_value
      - .offset:         96
        .size:           4
        .value_kind:     by_value
    .group_segment_fixed_size: 32768
    .kernarg_segment_align: 8
    .kernarg_segment_size: 100
    .language:       OpenCL C
    .language_version:
      - 2
      - 0
    .max_flat_workgroup_size: 1024
    .name:           _ZL26rocblas_syr2k_her2k_kernelIlLb1ELb0ELb0ELi32EPK19rocblas_complex_numIdES3_PS1_EvbiT_T4_T5_S5_lS7_S5_lT6_S5_li
    .private_segment_fixed_size: 0
    .sgpr_count:     44
    .sgpr_spill_count: 0
    .symbol:         _ZL26rocblas_syr2k_her2k_kernelIlLb1ELb0ELb0ELi32EPK19rocblas_complex_numIdES3_PS1_EvbiT_T4_T5_S5_lS7_S5_lT6_S5_li.kd
    .uniform_work_group_size: 1
    .uses_dynamic_stack: false
    .vgpr_count:     58
    .vgpr_spill_count: 0
    .wavefront_size: 64
  - .args:
      - .offset:         0
        .size:           1
        .value_kind:     by_value
      - .offset:         4
        .size:           4
        .value_kind:     by_value
      - .offset:         8
        .size:           8
        .value_kind:     by_value
      - .address_space:  global
        .offset:         16
        .size:           8
        .value_kind:     global_buffer
      - .address_space:  global
        .offset:         24
        .size:           8
        .value_kind:     global_buffer
      - .offset:         32
        .size:           8
        .value_kind:     by_value
      - .offset:         40
        .size:           8
        .value_kind:     by_value
      - .address_space:  global
        .offset:         48
        .size:           8
        .value_kind:     global_buffer
      - .offset:         56
        .size:           8
        .value_kind:     by_value
      - .offset:         64
        .size:           8
        .value_kind:     by_value
      - .address_space:  global
        .offset:         72
        .size:           8
        .value_kind:     global_buffer
      - .offset:         80
        .size:           8
        .value_kind:     by_value
      - .offset:         88
        .size:           8
        .value_kind:     by_value
      - .offset:         96
        .size:           4
        .value_kind:     by_value
    .group_segment_fixed_size: 32768
    .kernarg_segment_align: 8
    .kernarg_segment_size: 100
    .language:       OpenCL C
    .language_version:
      - 2
      - 0
    .max_flat_workgroup_size: 1024
    .name:           _ZL26rocblas_syr2k_her2k_kernelIlLb1ELb0ELb1ELi32EPK19rocblas_complex_numIdES3_PS1_EvbiT_T4_T5_S5_lS7_S5_lT6_S5_li
    .private_segment_fixed_size: 0
    .sgpr_count:     44
    .sgpr_spill_count: 0
    .symbol:         _ZL26rocblas_syr2k_her2k_kernelIlLb1ELb0ELb1ELi32EPK19rocblas_complex_numIdES3_PS1_EvbiT_T4_T5_S5_lS7_S5_lT6_S5_li.kd
    .uniform_work_group_size: 1
    .uses_dynamic_stack: false
    .vgpr_count:     58
    .vgpr_spill_count: 0
    .wavefront_size: 64
  - .args:
      - .offset:         0
        .size:           1
        .value_kind:     by_value
      - .offset:         4
        .size:           4
        .value_kind:     by_value
      - .offset:         8
        .size:           8
        .value_kind:     by_value
      - .offset:         16
        .size:           8
        .value_kind:     by_value
      - .address_space:  global
        .offset:         24
        .size:           8
        .value_kind:     global_buffer
      - .offset:         32
        .size:           8
        .value_kind:     by_value
      - .offset:         40
        .size:           8
        .value_kind:     by_value
      - .address_space:  global
        .offset:         48
        .size:           8
        .value_kind:     global_buffer
      - .offset:         56
        .size:           8
        .value_kind:     by_value
      - .offset:         64
        .size:           8
        .value_kind:     by_value
      - .address_space:  global
        .offset:         72
        .size:           8
        .value_kind:     global_buffer
      - .offset:         80
        .size:           8
        .value_kind:     by_value
      - .offset:         88
        .size:           8
        .value_kind:     by_value
      - .offset:         96
        .size:           4
        .value_kind:     by_value
    .group_segment_fixed_size: 16384
    .kernarg_segment_align: 8
    .kernarg_segment_size: 100
    .language:       OpenCL C
    .language_version:
      - 2
      - 0
    .max_flat_workgroup_size: 1024
    .name:           _ZL26rocblas_syr2k_her2k_kernelIlLb1ELb1ELb0ELi32E19rocblas_complex_numIfEPKS1_PS1_EvbiT_T4_T5_S5_lS7_S5_lT6_S5_li
    .private_segment_fixed_size: 0
    .sgpr_count:     36
    .sgpr_spill_count: 0
    .symbol:         _ZL26rocblas_syr2k_her2k_kernelIlLb1ELb1ELb0ELi32E19rocblas_complex_numIfEPKS1_PS1_EvbiT_T4_T5_S5_lS7_S5_lT6_S5_li.kd
    .uniform_work_group_size: 1
    .uses_dynamic_stack: false
    .vgpr_count:     42
    .vgpr_spill_count: 0
    .wavefront_size: 64
  - .args:
      - .offset:         0
        .size:           1
        .value_kind:     by_value
      - .offset:         4
        .size:           4
        .value_kind:     by_value
      - .offset:         8
        .size:           8
        .value_kind:     by_value
      - .offset:         16
        .size:           8
        .value_kind:     by_value
      - .address_space:  global
        .offset:         24
        .size:           8
        .value_kind:     global_buffer
      - .offset:         32
        .size:           8
        .value_kind:     by_value
      - .offset:         40
        .size:           8
        .value_kind:     by_value
      - .address_space:  global
        .offset:         48
        .size:           8
        .value_kind:     global_buffer
      - .offset:         56
        .size:           8
        .value_kind:     by_value
      - .offset:         64
        .size:           8
        .value_kind:     by_value
      - .address_space:  global
        .offset:         72
        .size:           8
        .value_kind:     global_buffer
      - .offset:         80
        .size:           8
        .value_kind:     by_value
      - .offset:         88
        .size:           8
        .value_kind:     by_value
      - .offset:         96
        .size:           4
        .value_kind:     by_value
    .group_segment_fixed_size: 16384
    .kernarg_segment_align: 8
    .kernarg_segment_size: 100
    .language:       OpenCL C
    .language_version:
      - 2
      - 0
    .max_flat_workgroup_size: 1024
    .name:           _ZL26rocblas_syr2k_her2k_kernelIlLb1ELb1ELb1ELi32E19rocblas_complex_numIfEPKS1_PS1_EvbiT_T4_T5_S5_lS7_S5_lT6_S5_li
    .private_segment_fixed_size: 0
    .sgpr_count:     36
    .sgpr_spill_count: 0
    .symbol:         _ZL26rocblas_syr2k_her2k_kernelIlLb1ELb1ELb1ELi32E19rocblas_complex_numIfEPKS1_PS1_EvbiT_T4_T5_S5_lS7_S5_lT6_S5_li.kd
    .uniform_work_group_size: 1
    .uses_dynamic_stack: false
    .vgpr_count:     40
    .vgpr_spill_count: 0
    .wavefront_size: 64
  - .args:
      - .offset:         0
        .size:           1
        .value_kind:     by_value
      - .offset:         4
        .size:           4
        .value_kind:     by_value
      - .offset:         8
        .size:           8
        .value_kind:     by_value
      - .address_space:  global
        .offset:         16
        .size:           8
        .value_kind:     global_buffer
      - .address_space:  global
        .offset:         24
        .size:           8
        .value_kind:     global_buffer
      - .offset:         32
        .size:           8
        .value_kind:     by_value
      - .offset:         40
        .size:           8
        .value_kind:     by_value
      - .address_space:  global
        .offset:         48
        .size:           8
        .value_kind:     global_buffer
      - .offset:         56
        .size:           8
        .value_kind:     by_value
      - .offset:         64
        .size:           8
        .value_kind:     by_value
      - .address_space:  global
        .offset:         72
        .size:           8
        .value_kind:     global_buffer
      - .offset:         80
        .size:           8
        .value_kind:     by_value
      - .offset:         88
        .size:           8
        .value_kind:     by_value
      - .offset:         96
        .size:           4
        .value_kind:     by_value
    .group_segment_fixed_size: 16384
    .kernarg_segment_align: 8
    .kernarg_segment_size: 100
    .language:       OpenCL C
    .language_version:
      - 2
      - 0
    .max_flat_workgroup_size: 1024
    .name:           _ZL26rocblas_syr2k_her2k_kernelIlLb1ELb1ELb0ELi32EPK19rocblas_complex_numIfES3_PS1_EvbiT_T4_T5_S5_lS7_S5_lT6_S5_li
    .private_segment_fixed_size: 0
    .sgpr_count:     36
    .sgpr_spill_count: 0
    .symbol:         _ZL26rocblas_syr2k_her2k_kernelIlLb1ELb1ELb0ELi32EPK19rocblas_complex_numIfES3_PS1_EvbiT_T4_T5_S5_lS7_S5_lT6_S5_li.kd
    .uniform_work_group_size: 1
    .uses_dynamic_stack: false
    .vgpr_count:     42
    .vgpr_spill_count: 0
    .wavefront_size: 64
  - .args:
      - .offset:         0
        .size:           1
        .value_kind:     by_value
      - .offset:         4
        .size:           4
        .value_kind:     by_value
      - .offset:         8
        .size:           8
        .value_kind:     by_value
      - .address_space:  global
        .offset:         16
        .size:           8
        .value_kind:     global_buffer
      - .address_space:  global
        .offset:         24
        .size:           8
        .value_kind:     global_buffer
      - .offset:         32
        .size:           8
        .value_kind:     by_value
      - .offset:         40
        .size:           8
        .value_kind:     by_value
      - .address_space:  global
        .offset:         48
        .size:           8
        .value_kind:     global_buffer
      - .offset:         56
        .size:           8
        .value_kind:     by_value
      - .offset:         64
        .size:           8
        .value_kind:     by_value
      - .address_space:  global
        .offset:         72
        .size:           8
        .value_kind:     global_buffer
      - .offset:         80
        .size:           8
        .value_kind:     by_value
      - .offset:         88
        .size:           8
        .value_kind:     by_value
      - .offset:         96
        .size:           4
        .value_kind:     by_value
    .group_segment_fixed_size: 16384
    .kernarg_segment_align: 8
    .kernarg_segment_size: 100
    .language:       OpenCL C
    .language_version:
      - 2
      - 0
    .max_flat_workgroup_size: 1024
    .name:           _ZL26rocblas_syr2k_her2k_kernelIlLb1ELb1ELb1ELi32EPK19rocblas_complex_numIfES3_PS1_EvbiT_T4_T5_S5_lS7_S5_lT6_S5_li
    .private_segment_fixed_size: 0
    .sgpr_count:     36
    .sgpr_spill_count: 0
    .symbol:         _ZL26rocblas_syr2k_her2k_kernelIlLb1ELb1ELb1ELi32EPK19rocblas_complex_numIfES3_PS1_EvbiT_T4_T5_S5_lS7_S5_lT6_S5_li.kd
    .uniform_work_group_size: 1
    .uses_dynamic_stack: false
    .vgpr_count:     40
    .vgpr_spill_count: 0
    .wavefront_size: 64
  - .args:
      - .offset:         0
        .size:           1
        .value_kind:     by_value
      - .offset:         4
        .size:           4
        .value_kind:     by_value
      - .offset:         8
        .size:           8
        .value_kind:     by_value
      - .offset:         16
        .size:           16
        .value_kind:     by_value
      - .address_space:  global
        .offset:         32
        .size:           8
        .value_kind:     global_buffer
      - .offset:         40
        .size:           8
        .value_kind:     by_value
      - .offset:         48
        .size:           8
        .value_kind:     by_value
      - .address_space:  global
        .offset:         56
        .size:           8
        .value_kind:     global_buffer
      - .offset:         64
        .size:           8
        .value_kind:     by_value
      - .offset:         72
        .size:           8
        .value_kind:     by_value
      - .address_space:  global
        .offset:         80
        .size:           8
        .value_kind:     global_buffer
      - .offset:         88
        .size:           8
        .value_kind:     by_value
      - .offset:         96
        .size:           8
        .value_kind:     by_value
      - .offset:         104
        .size:           4
        .value_kind:     by_value
    .group_segment_fixed_size: 32768
    .kernarg_segment_align: 8
    .kernarg_segment_size: 108
    .language:       OpenCL C
    .language_version:
      - 2
      - 0
    .max_flat_workgroup_size: 1024
    .name:           _ZL26rocblas_syr2k_her2k_kernelIlLb1ELb1ELb0ELi32E19rocblas_complex_numIdEPKS1_PS1_EvbiT_T4_T5_S5_lS7_S5_lT6_S5_li
    .private_segment_fixed_size: 0
    .sgpr_count:     48
    .sgpr_spill_count: 0
    .symbol:         _ZL26rocblas_syr2k_her2k_kernelIlLb1ELb1ELb0ELi32E19rocblas_complex_numIdEPKS1_PS1_EvbiT_T4_T5_S5_lS7_S5_lT6_S5_li.kd
    .uniform_work_group_size: 1
    .uses_dynamic_stack: false
    .vgpr_count:     64
    .vgpr_spill_count: 0
    .wavefront_size: 64
  - .args:
      - .offset:         0
        .size:           1
        .value_kind:     by_value
      - .offset:         4
        .size:           4
        .value_kind:     by_value
      - .offset:         8
        .size:           8
        .value_kind:     by_value
      - .offset:         16
        .size:           16
        .value_kind:     by_value
      - .address_space:  global
        .offset:         32
        .size:           8
        .value_kind:     global_buffer
      - .offset:         40
        .size:           8
        .value_kind:     by_value
      - .offset:         48
        .size:           8
        .value_kind:     by_value
      - .address_space:  global
        .offset:         56
        .size:           8
        .value_kind:     global_buffer
      - .offset:         64
        .size:           8
        .value_kind:     by_value
      - .offset:         72
        .size:           8
        .value_kind:     by_value
      - .address_space:  global
        .offset:         80
        .size:           8
        .value_kind:     global_buffer
      - .offset:         88
        .size:           8
        .value_kind:     by_value
      - .offset:         96
        .size:           8
        .value_kind:     by_value
      - .offset:         104
        .size:           4
        .value_kind:     by_value
    .group_segment_fixed_size: 32768
    .kernarg_segment_align: 8
    .kernarg_segment_size: 108
    .language:       OpenCL C
    .language_version:
      - 2
      - 0
    .max_flat_workgroup_size: 1024
    .name:           _ZL26rocblas_syr2k_her2k_kernelIlLb1ELb1ELb1ELi32E19rocblas_complex_numIdEPKS1_PS1_EvbiT_T4_T5_S5_lS7_S5_lT6_S5_li
    .private_segment_fixed_size: 0
    .sgpr_count:     48
    .sgpr_spill_count: 0
    .symbol:         _ZL26rocblas_syr2k_her2k_kernelIlLb1ELb1ELb1ELi32E19rocblas_complex_numIdEPKS1_PS1_EvbiT_T4_T5_S5_lS7_S5_lT6_S5_li.kd
    .uniform_work_group_size: 1
    .uses_dynamic_stack: false
    .vgpr_count:     64
    .vgpr_spill_count: 0
    .wavefront_size: 64
  - .args:
      - .offset:         0
        .size:           1
        .value_kind:     by_value
      - .offset:         4
        .size:           4
        .value_kind:     by_value
      - .offset:         8
        .size:           8
        .value_kind:     by_value
      - .address_space:  global
        .offset:         16
        .size:           8
        .value_kind:     global_buffer
      - .address_space:  global
        .offset:         24
        .size:           8
        .value_kind:     global_buffer
      - .offset:         32
        .size:           8
        .value_kind:     by_value
      - .offset:         40
        .size:           8
        .value_kind:     by_value
      - .address_space:  global
        .offset:         48
        .size:           8
        .value_kind:     global_buffer
      - .offset:         56
        .size:           8
        .value_kind:     by_value
      - .offset:         64
        .size:           8
        .value_kind:     by_value
      - .address_space:  global
        .offset:         72
        .size:           8
        .value_kind:     global_buffer
      - .offset:         80
        .size:           8
        .value_kind:     by_value
      - .offset:         88
        .size:           8
        .value_kind:     by_value
      - .offset:         96
        .size:           4
        .value_kind:     by_value
    .group_segment_fixed_size: 32768
    .kernarg_segment_align: 8
    .kernarg_segment_size: 100
    .language:       OpenCL C
    .language_version:
      - 2
      - 0
    .max_flat_workgroup_size: 1024
    .name:           _ZL26rocblas_syr2k_her2k_kernelIlLb1ELb1ELb0ELi32EPK19rocblas_complex_numIdES3_PS1_EvbiT_T4_T5_S5_lS7_S5_lT6_S5_li
    .private_segment_fixed_size: 0
    .sgpr_count:     44
    .sgpr_spill_count: 0
    .symbol:         _ZL26rocblas_syr2k_her2k_kernelIlLb1ELb1ELb0ELi32EPK19rocblas_complex_numIdES3_PS1_EvbiT_T4_T5_S5_lS7_S5_lT6_S5_li.kd
    .uniform_work_group_size: 1
    .uses_dynamic_stack: false
    .vgpr_count:     64
    .vgpr_spill_count: 0
    .wavefront_size: 64
  - .args:
      - .offset:         0
        .size:           1
        .value_kind:     by_value
      - .offset:         4
        .size:           4
        .value_kind:     by_value
      - .offset:         8
        .size:           8
        .value_kind:     by_value
      - .address_space:  global
        .offset:         16
        .size:           8
        .value_kind:     global_buffer
      - .address_space:  global
        .offset:         24
        .size:           8
        .value_kind:     global_buffer
      - .offset:         32
        .size:           8
        .value_kind:     by_value
      - .offset:         40
        .size:           8
        .value_kind:     by_value
      - .address_space:  global
        .offset:         48
        .size:           8
        .value_kind:     global_buffer
      - .offset:         56
        .size:           8
        .value_kind:     by_value
      - .offset:         64
        .size:           8
        .value_kind:     by_value
      - .address_space:  global
        .offset:         72
        .size:           8
        .value_kind:     global_buffer
      - .offset:         80
        .size:           8
        .value_kind:     by_value
      - .offset:         88
        .size:           8
        .value_kind:     by_value
      - .offset:         96
        .size:           4
        .value_kind:     by_value
    .group_segment_fixed_size: 32768
    .kernarg_segment_align: 8
    .kernarg_segment_size: 100
    .language:       OpenCL C
    .language_version:
      - 2
      - 0
    .max_flat_workgroup_size: 1024
    .name:           _ZL26rocblas_syr2k_her2k_kernelIlLb1ELb1ELb1ELi32EPK19rocblas_complex_numIdES3_PS1_EvbiT_T4_T5_S5_lS7_S5_lT6_S5_li
    .private_segment_fixed_size: 0
    .sgpr_count:     44
    .sgpr_spill_count: 0
    .symbol:         _ZL26rocblas_syr2k_her2k_kernelIlLb1ELb1ELb1ELi32EPK19rocblas_complex_numIdES3_PS1_EvbiT_T4_T5_S5_lS7_S5_lT6_S5_li.kd
    .uniform_work_group_size: 1
    .uses_dynamic_stack: false
    .vgpr_count:     64
    .vgpr_spill_count: 0
    .wavefront_size: 64
  - .args:
      - .offset:         0
        .size:           1
        .value_kind:     by_value
      - .offset:         4
        .size:           4
        .value_kind:     by_value
      - .offset:         8
        .size:           8
        .value_kind:     by_value
      - .offset:         16
        .size:           4
        .value_kind:     by_value
      - .address_space:  global
        .offset:         24
        .size:           8
        .value_kind:     global_buffer
      - .offset:         32
        .size:           8
        .value_kind:     by_value
      - .offset:         40
        .size:           8
        .value_kind:     by_value
      - .address_space:  global
        .offset:         48
        .size:           8
        .value_kind:     global_buffer
      - .offset:         56
        .size:           8
        .value_kind:     by_value
      - .offset:         64
        .size:           8
        .value_kind:     by_value
      - .address_space:  global
        .offset:         72
        .size:           8
        .value_kind:     global_buffer
      - .offset:         80
        .size:           8
        .value_kind:     by_value
      - .offset:         88
        .size:           8
        .value_kind:     by_value
      - .offset:         96
        .size:           4
        .value_kind:     by_value
    .group_segment_fixed_size: 8192
    .kernarg_segment_align: 8
    .kernarg_segment_size: 100
    .language:       OpenCL C
    .language_version:
      - 2
      - 0
    .max_flat_workgroup_size: 1024
    .name:           _ZL26rocblas_syr2k_her2k_kernelIlLb1ELb0ELb0ELi32EfPKPKfPKPfEvbiT_T4_T5_S7_lS9_S7_lT6_S7_li
    .private_segment_fixed_size: 0
    .sgpr_count:     38
    .sgpr_spill_count: 0
    .symbol:         _ZL26rocblas_syr2k_her2k_kernelIlLb1ELb0ELb0ELi32EfPKPKfPKPfEvbiT_T4_T5_S7_lS9_S7_lT6_S7_li.kd
    .uniform_work_group_size: 1
    .uses_dynamic_stack: false
    .vgpr_count:     39
    .vgpr_spill_count: 0
    .wavefront_size: 64
  - .args:
      - .offset:         0
        .size:           1
        .value_kind:     by_value
      - .offset:         4
        .size:           4
        .value_kind:     by_value
      - .offset:         8
        .size:           8
        .value_kind:     by_value
      - .offset:         16
        .size:           4
        .value_kind:     by_value
      - .address_space:  global
        .offset:         24
        .size:           8
        .value_kind:     global_buffer
      - .offset:         32
        .size:           8
        .value_kind:     by_value
      - .offset:         40
        .size:           8
        .value_kind:     by_value
      - .address_space:  global
        .offset:         48
        .size:           8
        .value_kind:     global_buffer
      - .offset:         56
        .size:           8
        .value_kind:     by_value
      - .offset:         64
        .size:           8
        .value_kind:     by_value
      - .address_space:  global
        .offset:         72
        .size:           8
        .value_kind:     global_buffer
      - .offset:         80
        .size:           8
        .value_kind:     by_value
      - .offset:         88
        .size:           8
        .value_kind:     by_value
      - .offset:         96
        .size:           4
        .value_kind:     by_value
    .group_segment_fixed_size: 8192
    .kernarg_segment_align: 8
    .kernarg_segment_size: 100
    .language:       OpenCL C
    .language_version:
      - 2
      - 0
    .max_flat_workgroup_size: 1024
    .name:           _ZL26rocblas_syr2k_her2k_kernelIlLb1ELb0ELb1ELi32EfPKPKfPKPfEvbiT_T4_T5_S7_lS9_S7_lT6_S7_li
    .private_segment_fixed_size: 0
    .sgpr_count:     38
    .sgpr_spill_count: 0
    .symbol:         _ZL26rocblas_syr2k_her2k_kernelIlLb1ELb0ELb1ELi32EfPKPKfPKPfEvbiT_T4_T5_S7_lS9_S7_lT6_S7_li.kd
    .uniform_work_group_size: 1
    .uses_dynamic_stack: false
    .vgpr_count:     39
    .vgpr_spill_count: 0
    .wavefront_size: 64
  - .args:
      - .offset:         0
        .size:           1
        .value_kind:     by_value
      - .offset:         4
        .size:           4
        .value_kind:     by_value
      - .offset:         8
        .size:           8
        .value_kind:     by_value
      - .address_space:  global
        .offset:         16
        .size:           8
        .value_kind:     global_buffer
      - .address_space:  global
        .offset:         24
        .size:           8
        .value_kind:     global_buffer
      - .offset:         32
        .size:           8
        .value_kind:     by_value
      - .offset:         40
        .size:           8
        .value_kind:     by_value
      - .address_space:  global
        .offset:         48
        .size:           8
        .value_kind:     global_buffer
      - .offset:         56
        .size:           8
        .value_kind:     by_value
      - .offset:         64
        .size:           8
        .value_kind:     by_value
      - .address_space:  global
        .offset:         72
        .size:           8
        .value_kind:     global_buffer
      - .offset:         80
        .size:           8
        .value_kind:     by_value
      - .offset:         88
        .size:           8
        .value_kind:     by_value
      - .offset:         96
        .size:           4
        .value_kind:     by_value
    .group_segment_fixed_size: 8192
    .kernarg_segment_align: 8
    .kernarg_segment_size: 100
    .language:       OpenCL C
    .language_version:
      - 2
      - 0
    .max_flat_workgroup_size: 1024
    .name:           _ZL26rocblas_syr2k_her2k_kernelIlLb1ELb0ELb0ELi32EPKfPKS1_PKPfEvbiT_T4_T5_S7_lS9_S7_lT6_S7_li
    .private_segment_fixed_size: 0
    .sgpr_count:     38
    .sgpr_spill_count: 0
    .symbol:         _ZL26rocblas_syr2k_her2k_kernelIlLb1ELb0ELb0ELi32EPKfPKS1_PKPfEvbiT_T4_T5_S7_lS9_S7_lT6_S7_li.kd
    .uniform_work_group_size: 1
    .uses_dynamic_stack: false
    .vgpr_count:     39
    .vgpr_spill_count: 0
    .wavefront_size: 64
  - .args:
      - .offset:         0
        .size:           1
        .value_kind:     by_value
      - .offset:         4
        .size:           4
        .value_kind:     by_value
      - .offset:         8
        .size:           8
        .value_kind:     by_value
      - .address_space:  global
        .offset:         16
        .size:           8
        .value_kind:     global_buffer
      - .address_space:  global
        .offset:         24
        .size:           8
        .value_kind:     global_buffer
      - .offset:         32
        .size:           8
        .value_kind:     by_value
      - .offset:         40
        .size:           8
        .value_kind:     by_value
      - .address_space:  global
        .offset:         48
        .size:           8
        .value_kind:     global_buffer
      - .offset:         56
        .size:           8
        .value_kind:     by_value
      - .offset:         64
        .size:           8
        .value_kind:     by_value
      - .address_space:  global
        .offset:         72
        .size:           8
        .value_kind:     global_buffer
      - .offset:         80
        .size:           8
        .value_kind:     by_value
      - .offset:         88
        .size:           8
        .value_kind:     by_value
      - .offset:         96
        .size:           4
        .value_kind:     by_value
    .group_segment_fixed_size: 8192
    .kernarg_segment_align: 8
    .kernarg_segment_size: 100
    .language:       OpenCL C
    .language_version:
      - 2
      - 0
    .max_flat_workgroup_size: 1024
    .name:           _ZL26rocblas_syr2k_her2k_kernelIlLb1ELb0ELb1ELi32EPKfPKS1_PKPfEvbiT_T4_T5_S7_lS9_S7_lT6_S7_li
    .private_segment_fixed_size: 0
    .sgpr_count:     38
    .sgpr_spill_count: 0
    .symbol:         _ZL26rocblas_syr2k_her2k_kernelIlLb1ELb0ELb1ELi32EPKfPKS1_PKPfEvbiT_T4_T5_S7_lS9_S7_lT6_S7_li.kd
    .uniform_work_group_size: 1
    .uses_dynamic_stack: false
    .vgpr_count:     39
    .vgpr_spill_count: 0
    .wavefront_size: 64
  - .args:
      - .offset:         0
        .size:           1
        .value_kind:     by_value
      - .offset:         4
        .size:           4
        .value_kind:     by_value
      - .offset:         8
        .size:           8
        .value_kind:     by_value
      - .offset:         16
        .size:           8
        .value_kind:     by_value
      - .address_space:  global
        .offset:         24
        .size:           8
        .value_kind:     global_buffer
      - .offset:         32
        .size:           8
        .value_kind:     by_value
      - .offset:         40
        .size:           8
        .value_kind:     by_value
      - .address_space:  global
        .offset:         48
        .size:           8
        .value_kind:     global_buffer
      - .offset:         56
        .size:           8
        .value_kind:     by_value
      - .offset:         64
        .size:           8
        .value_kind:     by_value
      - .address_space:  global
        .offset:         72
        .size:           8
        .value_kind:     global_buffer
      - .offset:         80
        .size:           8
        .value_kind:     by_value
      - .offset:         88
        .size:           8
        .value_kind:     by_value
      - .offset:         96
        .size:           4
        .value_kind:     by_value
    .group_segment_fixed_size: 16384
    .kernarg_segment_align: 8
    .kernarg_segment_size: 100
    .language:       OpenCL C
    .language_version:
      - 2
      - 0
    .max_flat_workgroup_size: 1024
    .name:           _ZL26rocblas_syr2k_her2k_kernelIlLb1ELb0ELb0ELi32EdPKPKdPKPdEvbiT_T4_T5_S7_lS9_S7_lT6_S7_li
    .private_segment_fixed_size: 0
    .sgpr_count:     40
    .sgpr_spill_count: 0
    .symbol:         _ZL26rocblas_syr2k_her2k_kernelIlLb1ELb0ELb0ELi32EdPKPKdPKPdEvbiT_T4_T5_S7_lS9_S7_lT6_S7_li.kd
    .uniform_work_group_size: 1
    .uses_dynamic_stack: false
    .vgpr_count:     29
    .vgpr_spill_count: 0
    .wavefront_size: 64
  - .args:
      - .offset:         0
        .size:           1
        .value_kind:     by_value
      - .offset:         4
        .size:           4
        .value_kind:     by_value
      - .offset:         8
        .size:           8
        .value_kind:     by_value
      - .offset:         16
        .size:           8
        .value_kind:     by_value
      - .address_space:  global
        .offset:         24
        .size:           8
        .value_kind:     global_buffer
      - .offset:         32
        .size:           8
        .value_kind:     by_value
      - .offset:         40
        .size:           8
        .value_kind:     by_value
      - .address_space:  global
        .offset:         48
        .size:           8
        .value_kind:     global_buffer
      - .offset:         56
        .size:           8
        .value_kind:     by_value
      - .offset:         64
        .size:           8
        .value_kind:     by_value
      - .address_space:  global
        .offset:         72
        .size:           8
        .value_kind:     global_buffer
      - .offset:         80
        .size:           8
        .value_kind:     by_value
      - .offset:         88
        .size:           8
        .value_kind:     by_value
      - .offset:         96
        .size:           4
        .value_kind:     by_value
    .group_segment_fixed_size: 16384
    .kernarg_segment_align: 8
    .kernarg_segment_size: 100
    .language:       OpenCL C
    .language_version:
      - 2
      - 0
    .max_flat_workgroup_size: 1024
    .name:           _ZL26rocblas_syr2k_her2k_kernelIlLb1ELb0ELb1ELi32EdPKPKdPKPdEvbiT_T4_T5_S7_lS9_S7_lT6_S7_li
    .private_segment_fixed_size: 0
    .sgpr_count:     40
    .sgpr_spill_count: 0
    .symbol:         _ZL26rocblas_syr2k_her2k_kernelIlLb1ELb0ELb1ELi32EdPKPKdPKPdEvbiT_T4_T5_S7_lS9_S7_lT6_S7_li.kd
    .uniform_work_group_size: 1
    .uses_dynamic_stack: false
    .vgpr_count:     29
    .vgpr_spill_count: 0
    .wavefront_size: 64
  - .args:
      - .offset:         0
        .size:           1
        .value_kind:     by_value
      - .offset:         4
        .size:           4
        .value_kind:     by_value
      - .offset:         8
        .size:           8
        .value_kind:     by_value
      - .address_space:  global
        .offset:         16
        .size:           8
        .value_kind:     global_buffer
      - .address_space:  global
        .offset:         24
        .size:           8
        .value_kind:     global_buffer
      - .offset:         32
        .size:           8
        .value_kind:     by_value
      - .offset:         40
        .size:           8
        .value_kind:     by_value
      - .address_space:  global
        .offset:         48
        .size:           8
        .value_kind:     global_buffer
      - .offset:         56
        .size:           8
        .value_kind:     by_value
      - .offset:         64
        .size:           8
        .value_kind:     by_value
      - .address_space:  global
        .offset:         72
        .size:           8
        .value_kind:     global_buffer
      - .offset:         80
        .size:           8
        .value_kind:     by_value
      - .offset:         88
        .size:           8
        .value_kind:     by_value
      - .offset:         96
        .size:           4
        .value_kind:     by_value
    .group_segment_fixed_size: 16384
    .kernarg_segment_align: 8
    .kernarg_segment_size: 100
    .language:       OpenCL C
    .language_version:
      - 2
      - 0
    .max_flat_workgroup_size: 1024
    .name:           _ZL26rocblas_syr2k_her2k_kernelIlLb1ELb0ELb0ELi32EPKdPKS1_PKPdEvbiT_T4_T5_S7_lS9_S7_lT6_S7_li
    .private_segment_fixed_size: 0
    .sgpr_count:     40
    .sgpr_spill_count: 0
    .symbol:         _ZL26rocblas_syr2k_her2k_kernelIlLb1ELb0ELb0ELi32EPKdPKS1_PKPdEvbiT_T4_T5_S7_lS9_S7_lT6_S7_li.kd
    .uniform_work_group_size: 1
    .uses_dynamic_stack: false
    .vgpr_count:     29
    .vgpr_spill_count: 0
    .wavefront_size: 64
  - .args:
      - .offset:         0
        .size:           1
        .value_kind:     by_value
      - .offset:         4
        .size:           4
        .value_kind:     by_value
      - .offset:         8
        .size:           8
        .value_kind:     by_value
      - .address_space:  global
        .offset:         16
        .size:           8
        .value_kind:     global_buffer
      - .address_space:  global
        .offset:         24
        .size:           8
        .value_kind:     global_buffer
      - .offset:         32
        .size:           8
        .value_kind:     by_value
      - .offset:         40
        .size:           8
        .value_kind:     by_value
      - .address_space:  global
        .offset:         48
        .size:           8
        .value_kind:     global_buffer
      - .offset:         56
        .size:           8
        .value_kind:     by_value
      - .offset:         64
        .size:           8
        .value_kind:     by_value
      - .address_space:  global
        .offset:         72
        .size:           8
        .value_kind:     global_buffer
      - .offset:         80
        .size:           8
        .value_kind:     by_value
      - .offset:         88
        .size:           8
        .value_kind:     by_value
      - .offset:         96
        .size:           4
        .value_kind:     by_value
    .group_segment_fixed_size: 16384
    .kernarg_segment_align: 8
    .kernarg_segment_size: 100
    .language:       OpenCL C
    .language_version:
      - 2
      - 0
    .max_flat_workgroup_size: 1024
    .name:           _ZL26rocblas_syr2k_her2k_kernelIlLb1ELb0ELb1ELi32EPKdPKS1_PKPdEvbiT_T4_T5_S7_lS9_S7_lT6_S7_li
    .private_segment_fixed_size: 0
    .sgpr_count:     40
    .sgpr_spill_count: 0
    .symbol:         _ZL26rocblas_syr2k_her2k_kernelIlLb1ELb0ELb1ELi32EPKdPKS1_PKPdEvbiT_T4_T5_S7_lS9_S7_lT6_S7_li.kd
    .uniform_work_group_size: 1
    .uses_dynamic_stack: false
    .vgpr_count:     29
    .vgpr_spill_count: 0
    .wavefront_size: 64
  - .args:
      - .offset:         0
        .size:           1
        .value_kind:     by_value
      - .offset:         4
        .size:           4
        .value_kind:     by_value
      - .offset:         8
        .size:           8
        .value_kind:     by_value
      - .offset:         16
        .size:           8
        .value_kind:     by_value
      - .address_space:  global
        .offset:         24
        .size:           8
        .value_kind:     global_buffer
      - .offset:         32
        .size:           8
        .value_kind:     by_value
      - .offset:         40
        .size:           8
        .value_kind:     by_value
      - .address_space:  global
        .offset:         48
        .size:           8
        .value_kind:     global_buffer
      - .offset:         56
        .size:           8
        .value_kind:     by_value
      - .offset:         64
        .size:           8
        .value_kind:     by_value
      - .address_space:  global
        .offset:         72
        .size:           8
        .value_kind:     global_buffer
      - .offset:         80
        .size:           8
        .value_kind:     by_value
      - .offset:         88
        .size:           8
        .value_kind:     by_value
      - .offset:         96
        .size:           4
        .value_kind:     by_value
    .group_segment_fixed_size: 16384
    .kernarg_segment_align: 8
    .kernarg_segment_size: 100
    .language:       OpenCL C
    .language_version:
      - 2
      - 0
    .max_flat_workgroup_size: 1024
    .name:           _ZL26rocblas_syr2k_her2k_kernelIlLb1ELb0ELb0ELi32E19rocblas_complex_numIfEPKPKS1_PKPS1_EvbiT_T4_T5_S9_lSB_S9_lT6_S9_li
    .private_segment_fixed_size: 0
    .sgpr_count:     40
    .sgpr_spill_count: 0
    .symbol:         _ZL26rocblas_syr2k_her2k_kernelIlLb1ELb0ELb0ELi32E19rocblas_complex_numIfEPKPKS1_PKPS1_EvbiT_T4_T5_S9_lSB_S9_lT6_S9_li.kd
    .uniform_work_group_size: 1
    .uses_dynamic_stack: false
    .vgpr_count:     40
    .vgpr_spill_count: 0
    .wavefront_size: 64
  - .args:
      - .offset:         0
        .size:           1
        .value_kind:     by_value
      - .offset:         4
        .size:           4
        .value_kind:     by_value
      - .offset:         8
        .size:           8
        .value_kind:     by_value
      - .offset:         16
        .size:           8
        .value_kind:     by_value
      - .address_space:  global
        .offset:         24
        .size:           8
        .value_kind:     global_buffer
      - .offset:         32
        .size:           8
        .value_kind:     by_value
      - .offset:         40
        .size:           8
        .value_kind:     by_value
      - .address_space:  global
        .offset:         48
        .size:           8
        .value_kind:     global_buffer
      - .offset:         56
        .size:           8
        .value_kind:     by_value
      - .offset:         64
        .size:           8
        .value_kind:     by_value
      - .address_space:  global
        .offset:         72
        .size:           8
        .value_kind:     global_buffer
      - .offset:         80
        .size:           8
        .value_kind:     by_value
      - .offset:         88
        .size:           8
        .value_kind:     by_value
      - .offset:         96
        .size:           4
        .value_kind:     by_value
    .group_segment_fixed_size: 16384
    .kernarg_segment_align: 8
    .kernarg_segment_size: 100
    .language:       OpenCL C
    .language_version:
      - 2
      - 0
    .max_flat_workgroup_size: 1024
    .name:           _ZL26rocblas_syr2k_her2k_kernelIlLb1ELb0ELb1ELi32E19rocblas_complex_numIfEPKPKS1_PKPS1_EvbiT_T4_T5_S9_lSB_S9_lT6_S9_li
    .private_segment_fixed_size: 0
    .sgpr_count:     36
    .sgpr_spill_count: 0
    .symbol:         _ZL26rocblas_syr2k_her2k_kernelIlLb1ELb0ELb1ELi32E19rocblas_complex_numIfEPKPKS1_PKPS1_EvbiT_T4_T5_S9_lSB_S9_lT6_S9_li.kd
    .uniform_work_group_size: 1
    .uses_dynamic_stack: false
    .vgpr_count:     40
    .vgpr_spill_count: 0
    .wavefront_size: 64
  - .args:
      - .offset:         0
        .size:           1
        .value_kind:     by_value
      - .offset:         4
        .size:           4
        .value_kind:     by_value
      - .offset:         8
        .size:           8
        .value_kind:     by_value
      - .address_space:  global
        .offset:         16
        .size:           8
        .value_kind:     global_buffer
      - .address_space:  global
        .offset:         24
        .size:           8
        .value_kind:     global_buffer
      - .offset:         32
        .size:           8
        .value_kind:     by_value
      - .offset:         40
        .size:           8
        .value_kind:     by_value
      - .address_space:  global
        .offset:         48
        .size:           8
        .value_kind:     global_buffer
      - .offset:         56
        .size:           8
        .value_kind:     by_value
      - .offset:         64
        .size:           8
        .value_kind:     by_value
      - .address_space:  global
        .offset:         72
        .size:           8
        .value_kind:     global_buffer
      - .offset:         80
        .size:           8
        .value_kind:     by_value
      - .offset:         88
        .size:           8
        .value_kind:     by_value
      - .offset:         96
        .size:           4
        .value_kind:     by_value
    .group_segment_fixed_size: 16384
    .kernarg_segment_align: 8
    .kernarg_segment_size: 100
    .language:       OpenCL C
    .language_version:
      - 2
      - 0
    .max_flat_workgroup_size: 1024
    .name:           _ZL26rocblas_syr2k_her2k_kernelIlLb1ELb0ELb0ELi32EPK19rocblas_complex_numIfEPKS3_PKPS1_EvbiT_T4_T5_S9_lSB_S9_lT6_S9_li
    .private_segment_fixed_size: 0
    .sgpr_count:     40
    .sgpr_spill_count: 0
    .symbol:         _ZL26rocblas_syr2k_her2k_kernelIlLb1ELb0ELb0ELi32EPK19rocblas_complex_numIfEPKS3_PKPS1_EvbiT_T4_T5_S9_lSB_S9_lT6_S9_li.kd
    .uniform_work_group_size: 1
    .uses_dynamic_stack: false
    .vgpr_count:     40
    .vgpr_spill_count: 0
    .wavefront_size: 64
  - .args:
      - .offset:         0
        .size:           1
        .value_kind:     by_value
      - .offset:         4
        .size:           4
        .value_kind:     by_value
      - .offset:         8
        .size:           8
        .value_kind:     by_value
      - .address_space:  global
        .offset:         16
        .size:           8
        .value_kind:     global_buffer
      - .address_space:  global
        .offset:         24
        .size:           8
        .value_kind:     global_buffer
      - .offset:         32
        .size:           8
        .value_kind:     by_value
      - .offset:         40
        .size:           8
        .value_kind:     by_value
      - .address_space:  global
        .offset:         48
        .size:           8
        .value_kind:     global_buffer
      - .offset:         56
        .size:           8
        .value_kind:     by_value
      - .offset:         64
        .size:           8
        .value_kind:     by_value
      - .address_space:  global
        .offset:         72
        .size:           8
        .value_kind:     global_buffer
      - .offset:         80
        .size:           8
        .value_kind:     by_value
      - .offset:         88
        .size:           8
        .value_kind:     by_value
      - .offset:         96
        .size:           4
        .value_kind:     by_value
    .group_segment_fixed_size: 16384
    .kernarg_segment_align: 8
    .kernarg_segment_size: 100
    .language:       OpenCL C
    .language_version:
      - 2
      - 0
    .max_flat_workgroup_size: 1024
    .name:           _ZL26rocblas_syr2k_her2k_kernelIlLb1ELb0ELb1ELi32EPK19rocblas_complex_numIfEPKS3_PKPS1_EvbiT_T4_T5_S9_lSB_S9_lT6_S9_li
    .private_segment_fixed_size: 0
    .sgpr_count:     40
    .sgpr_spill_count: 0
    .symbol:         _ZL26rocblas_syr2k_her2k_kernelIlLb1ELb0ELb1ELi32EPK19rocblas_complex_numIfEPKS3_PKPS1_EvbiT_T4_T5_S9_lSB_S9_lT6_S9_li.kd
    .uniform_work_group_size: 1
    .uses_dynamic_stack: false
    .vgpr_count:     40
    .vgpr_spill_count: 0
    .wavefront_size: 64
  - .args:
      - .offset:         0
        .size:           1
        .value_kind:     by_value
      - .offset:         4
        .size:           4
        .value_kind:     by_value
      - .offset:         8
        .size:           8
        .value_kind:     by_value
      - .offset:         16
        .size:           16
        .value_kind:     by_value
      - .address_space:  global
        .offset:         32
        .size:           8
        .value_kind:     global_buffer
      - .offset:         40
        .size:           8
        .value_kind:     by_value
      - .offset:         48
        .size:           8
        .value_kind:     by_value
      - .address_space:  global
        .offset:         56
        .size:           8
        .value_kind:     global_buffer
      - .offset:         64
        .size:           8
        .value_kind:     by_value
      - .offset:         72
        .size:           8
        .value_kind:     by_value
      - .address_space:  global
        .offset:         80
        .size:           8
        .value_kind:     global_buffer
      - .offset:         88
        .size:           8
        .value_kind:     by_value
      - .offset:         96
        .size:           8
        .value_kind:     by_value
      - .offset:         104
        .size:           4
        .value_kind:     by_value
    .group_segment_fixed_size: 32768
    .kernarg_segment_align: 8
    .kernarg_segment_size: 108
    .language:       OpenCL C
    .language_version:
      - 2
      - 0
    .max_flat_workgroup_size: 1024
    .name:           _ZL26rocblas_syr2k_her2k_kernelIlLb1ELb0ELb0ELi32E19rocblas_complex_numIdEPKPKS1_PKPS1_EvbiT_T4_T5_S9_lSB_S9_lT6_S9_li
    .private_segment_fixed_size: 0
    .sgpr_count:     48
    .sgpr_spill_count: 0
    .symbol:         _ZL26rocblas_syr2k_her2k_kernelIlLb1ELb0ELb0ELi32E19rocblas_complex_numIdEPKPKS1_PKPS1_EvbiT_T4_T5_S9_lSB_S9_lT6_S9_li.kd
    .uniform_work_group_size: 1
    .uses_dynamic_stack: false
    .vgpr_count:     58
    .vgpr_spill_count: 0
    .wavefront_size: 64
  - .args:
      - .offset:         0
        .size:           1
        .value_kind:     by_value
      - .offset:         4
        .size:           4
        .value_kind:     by_value
      - .offset:         8
        .size:           8
        .value_kind:     by_value
      - .offset:         16
        .size:           16
        .value_kind:     by_value
      - .address_space:  global
        .offset:         32
        .size:           8
        .value_kind:     global_buffer
      - .offset:         40
        .size:           8
        .value_kind:     by_value
      - .offset:         48
        .size:           8
        .value_kind:     by_value
      - .address_space:  global
        .offset:         56
        .size:           8
        .value_kind:     global_buffer
      - .offset:         64
        .size:           8
        .value_kind:     by_value
      - .offset:         72
        .size:           8
        .value_kind:     by_value
      - .address_space:  global
        .offset:         80
        .size:           8
        .value_kind:     global_buffer
      - .offset:         88
        .size:           8
        .value_kind:     by_value
      - .offset:         96
        .size:           8
        .value_kind:     by_value
      - .offset:         104
        .size:           4
        .value_kind:     by_value
    .group_segment_fixed_size: 32768
    .kernarg_segment_align: 8
    .kernarg_segment_size: 108
    .language:       OpenCL C
    .language_version:
      - 2
      - 0
    .max_flat_workgroup_size: 1024
    .name:           _ZL26rocblas_syr2k_her2k_kernelIlLb1ELb0ELb1ELi32E19rocblas_complex_numIdEPKPKS1_PKPS1_EvbiT_T4_T5_S9_lSB_S9_lT6_S9_li
    .private_segment_fixed_size: 0
    .sgpr_count:     48
    .sgpr_spill_count: 0
    .symbol:         _ZL26rocblas_syr2k_her2k_kernelIlLb1ELb0ELb1ELi32E19rocblas_complex_numIdEPKPKS1_PKPS1_EvbiT_T4_T5_S9_lSB_S9_lT6_S9_li.kd
    .uniform_work_group_size: 1
    .uses_dynamic_stack: false
    .vgpr_count:     58
    .vgpr_spill_count: 0
    .wavefront_size: 64
  - .args:
      - .offset:         0
        .size:           1
        .value_kind:     by_value
      - .offset:         4
        .size:           4
        .value_kind:     by_value
      - .offset:         8
        .size:           8
        .value_kind:     by_value
      - .address_space:  global
        .offset:         16
        .size:           8
        .value_kind:     global_buffer
      - .address_space:  global
        .offset:         24
        .size:           8
        .value_kind:     global_buffer
      - .offset:         32
        .size:           8
        .value_kind:     by_value
      - .offset:         40
        .size:           8
        .value_kind:     by_value
      - .address_space:  global
        .offset:         48
        .size:           8
        .value_kind:     global_buffer
      - .offset:         56
        .size:           8
        .value_kind:     by_value
      - .offset:         64
        .size:           8
        .value_kind:     by_value
      - .address_space:  global
        .offset:         72
        .size:           8
        .value_kind:     global_buffer
      - .offset:         80
        .size:           8
        .value_kind:     by_value
      - .offset:         88
        .size:           8
        .value_kind:     by_value
      - .offset:         96
        .size:           4
        .value_kind:     by_value
    .group_segment_fixed_size: 32768
    .kernarg_segment_align: 8
    .kernarg_segment_size: 100
    .language:       OpenCL C
    .language_version:
      - 2
      - 0
    .max_flat_workgroup_size: 1024
    .name:           _ZL26rocblas_syr2k_her2k_kernelIlLb1ELb0ELb0ELi32EPK19rocblas_complex_numIdEPKS3_PKPS1_EvbiT_T4_T5_S9_lSB_S9_lT6_S9_li
    .private_segment_fixed_size: 0
    .sgpr_count:     44
    .sgpr_spill_count: 0
    .symbol:         _ZL26rocblas_syr2k_her2k_kernelIlLb1ELb0ELb0ELi32EPK19rocblas_complex_numIdEPKS3_PKPS1_EvbiT_T4_T5_S9_lSB_S9_lT6_S9_li.kd
    .uniform_work_group_size: 1
    .uses_dynamic_stack: false
    .vgpr_count:     58
    .vgpr_spill_count: 0
    .wavefront_size: 64
  - .args:
      - .offset:         0
        .size:           1
        .value_kind:     by_value
      - .offset:         4
        .size:           4
        .value_kind:     by_value
      - .offset:         8
        .size:           8
        .value_kind:     by_value
      - .address_space:  global
        .offset:         16
        .size:           8
        .value_kind:     global_buffer
      - .address_space:  global
        .offset:         24
        .size:           8
        .value_kind:     global_buffer
      - .offset:         32
        .size:           8
        .value_kind:     by_value
      - .offset:         40
        .size:           8
        .value_kind:     by_value
      - .address_space:  global
        .offset:         48
        .size:           8
        .value_kind:     global_buffer
      - .offset:         56
        .size:           8
        .value_kind:     by_value
      - .offset:         64
        .size:           8
        .value_kind:     by_value
      - .address_space:  global
        .offset:         72
        .size:           8
        .value_kind:     global_buffer
      - .offset:         80
        .size:           8
        .value_kind:     by_value
      - .offset:         88
        .size:           8
        .value_kind:     by_value
      - .offset:         96
        .size:           4
        .value_kind:     by_value
    .group_segment_fixed_size: 32768
    .kernarg_segment_align: 8
    .kernarg_segment_size: 100
    .language:       OpenCL C
    .language_version:
      - 2
      - 0
    .max_flat_workgroup_size: 1024
    .name:           _ZL26rocblas_syr2k_her2k_kernelIlLb1ELb0ELb1ELi32EPK19rocblas_complex_numIdEPKS3_PKPS1_EvbiT_T4_T5_S9_lSB_S9_lT6_S9_li
    .private_segment_fixed_size: 0
    .sgpr_count:     44
    .sgpr_spill_count: 0
    .symbol:         _ZL26rocblas_syr2k_her2k_kernelIlLb1ELb0ELb1ELi32EPK19rocblas_complex_numIdEPKS3_PKPS1_EvbiT_T4_T5_S9_lSB_S9_lT6_S9_li.kd
    .uniform_work_group_size: 1
    .uses_dynamic_stack: false
    .vgpr_count:     58
    .vgpr_spill_count: 0
    .wavefront_size: 64
  - .args:
      - .offset:         0
        .size:           1
        .value_kind:     by_value
      - .offset:         4
        .size:           4
        .value_kind:     by_value
      - .offset:         8
        .size:           8
        .value_kind:     by_value
      - .offset:         16
        .size:           8
        .value_kind:     by_value
      - .address_space:  global
        .offset:         24
        .size:           8
        .value_kind:     global_buffer
      - .offset:         32
        .size:           8
        .value_kind:     by_value
      - .offset:         40
        .size:           8
        .value_kind:     by_value
      - .address_space:  global
        .offset:         48
        .size:           8
        .value_kind:     global_buffer
      - .offset:         56
        .size:           8
        .value_kind:     by_value
      - .offset:         64
        .size:           8
        .value_kind:     by_value
      - .address_space:  global
        .offset:         72
        .size:           8
        .value_kind:     global_buffer
      - .offset:         80
        .size:           8
        .value_kind:     by_value
      - .offset:         88
        .size:           8
        .value_kind:     by_value
      - .offset:         96
        .size:           4
        .value_kind:     by_value
    .group_segment_fixed_size: 16384
    .kernarg_segment_align: 8
    .kernarg_segment_size: 100
    .language:       OpenCL C
    .language_version:
      - 2
      - 0
    .max_flat_workgroup_size: 1024
    .name:           _ZL26rocblas_syr2k_her2k_kernelIlLb1ELb1ELb0ELi32E19rocblas_complex_numIfEPKPKS1_PKPS1_EvbiT_T4_T5_S9_lSB_S9_lT6_S9_li
    .private_segment_fixed_size: 0
    .sgpr_count:     36
    .sgpr_spill_count: 0
    .symbol:         _ZL26rocblas_syr2k_her2k_kernelIlLb1ELb1ELb0ELi32E19rocblas_complex_numIfEPKPKS1_PKPS1_EvbiT_T4_T5_S9_lSB_S9_lT6_S9_li.kd
    .uniform_work_group_size: 1
    .uses_dynamic_stack: false
    .vgpr_count:     42
    .vgpr_spill_count: 0
    .wavefront_size: 64
  - .args:
      - .offset:         0
        .size:           1
        .value_kind:     by_value
      - .offset:         4
        .size:           4
        .value_kind:     by_value
      - .offset:         8
        .size:           8
        .value_kind:     by_value
      - .offset:         16
        .size:           8
        .value_kind:     by_value
      - .address_space:  global
        .offset:         24
        .size:           8
        .value_kind:     global_buffer
      - .offset:         32
        .size:           8
        .value_kind:     by_value
      - .offset:         40
        .size:           8
        .value_kind:     by_value
      - .address_space:  global
        .offset:         48
        .size:           8
        .value_kind:     global_buffer
      - .offset:         56
        .size:           8
        .value_kind:     by_value
      - .offset:         64
        .size:           8
        .value_kind:     by_value
      - .address_space:  global
        .offset:         72
        .size:           8
        .value_kind:     global_buffer
      - .offset:         80
        .size:           8
        .value_kind:     by_value
      - .offset:         88
        .size:           8
        .value_kind:     by_value
      - .offset:         96
        .size:           4
        .value_kind:     by_value
    .group_segment_fixed_size: 16384
    .kernarg_segment_align: 8
    .kernarg_segment_size: 100
    .language:       OpenCL C
    .language_version:
      - 2
      - 0
    .max_flat_workgroup_size: 1024
    .name:           _ZL26rocblas_syr2k_her2k_kernelIlLb1ELb1ELb1ELi32E19rocblas_complex_numIfEPKPKS1_PKPS1_EvbiT_T4_T5_S9_lSB_S9_lT6_S9_li
    .private_segment_fixed_size: 0
    .sgpr_count:     36
    .sgpr_spill_count: 0
    .symbol:         _ZL26rocblas_syr2k_her2k_kernelIlLb1ELb1ELb1ELi32E19rocblas_complex_numIfEPKPKS1_PKPS1_EvbiT_T4_T5_S9_lSB_S9_lT6_S9_li.kd
    .uniform_work_group_size: 1
    .uses_dynamic_stack: false
    .vgpr_count:     40
    .vgpr_spill_count: 0
    .wavefront_size: 64
  - .args:
      - .offset:         0
        .size:           1
        .value_kind:     by_value
      - .offset:         4
        .size:           4
        .value_kind:     by_value
      - .offset:         8
        .size:           8
        .value_kind:     by_value
      - .address_space:  global
        .offset:         16
        .size:           8
        .value_kind:     global_buffer
      - .address_space:  global
        .offset:         24
        .size:           8
        .value_kind:     global_buffer
      - .offset:         32
        .size:           8
        .value_kind:     by_value
      - .offset:         40
        .size:           8
        .value_kind:     by_value
      - .address_space:  global
        .offset:         48
        .size:           8
        .value_kind:     global_buffer
      - .offset:         56
        .size:           8
        .value_kind:     by_value
      - .offset:         64
        .size:           8
        .value_kind:     by_value
      - .address_space:  global
        .offset:         72
        .size:           8
        .value_kind:     global_buffer
      - .offset:         80
        .size:           8
        .value_kind:     by_value
      - .offset:         88
        .size:           8
        .value_kind:     by_value
      - .offset:         96
        .size:           4
        .value_kind:     by_value
    .group_segment_fixed_size: 16384
    .kernarg_segment_align: 8
    .kernarg_segment_size: 100
    .language:       OpenCL C
    .language_version:
      - 2
      - 0
    .max_flat_workgroup_size: 1024
    .name:           _ZL26rocblas_syr2k_her2k_kernelIlLb1ELb1ELb0ELi32EPK19rocblas_complex_numIfEPKS3_PKPS1_EvbiT_T4_T5_S9_lSB_S9_lT6_S9_li
    .private_segment_fixed_size: 0
    .sgpr_count:     40
    .sgpr_spill_count: 0
    .symbol:         _ZL26rocblas_syr2k_her2k_kernelIlLb1ELb1ELb0ELi32EPK19rocblas_complex_numIfEPKS3_PKPS1_EvbiT_T4_T5_S9_lSB_S9_lT6_S9_li.kd
    .uniform_work_group_size: 1
    .uses_dynamic_stack: false
    .vgpr_count:     42
    .vgpr_spill_count: 0
    .wavefront_size: 64
  - .args:
      - .offset:         0
        .size:           1
        .value_kind:     by_value
      - .offset:         4
        .size:           4
        .value_kind:     by_value
      - .offset:         8
        .size:           8
        .value_kind:     by_value
      - .address_space:  global
        .offset:         16
        .size:           8
        .value_kind:     global_buffer
      - .address_space:  global
        .offset:         24
        .size:           8
        .value_kind:     global_buffer
      - .offset:         32
        .size:           8
        .value_kind:     by_value
      - .offset:         40
        .size:           8
        .value_kind:     by_value
      - .address_space:  global
        .offset:         48
        .size:           8
        .value_kind:     global_buffer
      - .offset:         56
        .size:           8
        .value_kind:     by_value
      - .offset:         64
        .size:           8
        .value_kind:     by_value
      - .address_space:  global
        .offset:         72
        .size:           8
        .value_kind:     global_buffer
      - .offset:         80
        .size:           8
        .value_kind:     by_value
      - .offset:         88
        .size:           8
        .value_kind:     by_value
      - .offset:         96
        .size:           4
        .value_kind:     by_value
    .group_segment_fixed_size: 16384
    .kernarg_segment_align: 8
    .kernarg_segment_size: 100
    .language:       OpenCL C
    .language_version:
      - 2
      - 0
    .max_flat_workgroup_size: 1024
    .name:           _ZL26rocblas_syr2k_her2k_kernelIlLb1ELb1ELb1ELi32EPK19rocblas_complex_numIfEPKS3_PKPS1_EvbiT_T4_T5_S9_lSB_S9_lT6_S9_li
    .private_segment_fixed_size: 0
    .sgpr_count:     40
    .sgpr_spill_count: 0
    .symbol:         _ZL26rocblas_syr2k_her2k_kernelIlLb1ELb1ELb1ELi32EPK19rocblas_complex_numIfEPKS3_PKPS1_EvbiT_T4_T5_S9_lSB_S9_lT6_S9_li.kd
    .uniform_work_group_size: 1
    .uses_dynamic_stack: false
    .vgpr_count:     40
    .vgpr_spill_count: 0
    .wavefront_size: 64
  - .args:
      - .offset:         0
        .size:           1
        .value_kind:     by_value
      - .offset:         4
        .size:           4
        .value_kind:     by_value
      - .offset:         8
        .size:           8
        .value_kind:     by_value
      - .offset:         16
        .size:           16
        .value_kind:     by_value
      - .address_space:  global
        .offset:         32
        .size:           8
        .value_kind:     global_buffer
      - .offset:         40
        .size:           8
        .value_kind:     by_value
      - .offset:         48
        .size:           8
        .value_kind:     by_value
      - .address_space:  global
        .offset:         56
        .size:           8
        .value_kind:     global_buffer
      - .offset:         64
        .size:           8
        .value_kind:     by_value
      - .offset:         72
        .size:           8
        .value_kind:     by_value
      - .address_space:  global
        .offset:         80
        .size:           8
        .value_kind:     global_buffer
      - .offset:         88
        .size:           8
        .value_kind:     by_value
      - .offset:         96
        .size:           8
        .value_kind:     by_value
      - .offset:         104
        .size:           4
        .value_kind:     by_value
    .group_segment_fixed_size: 32768
    .kernarg_segment_align: 8
    .kernarg_segment_size: 108
    .language:       OpenCL C
    .language_version:
      - 2
      - 0
    .max_flat_workgroup_size: 1024
    .name:           _ZL26rocblas_syr2k_her2k_kernelIlLb1ELb1ELb0ELi32E19rocblas_complex_numIdEPKPKS1_PKPS1_EvbiT_T4_T5_S9_lSB_S9_lT6_S9_li
    .private_segment_fixed_size: 0
    .sgpr_count:     48
    .sgpr_spill_count: 0
    .symbol:         _ZL26rocblas_syr2k_her2k_kernelIlLb1ELb1ELb0ELi32E19rocblas_complex_numIdEPKPKS1_PKPS1_EvbiT_T4_T5_S9_lSB_S9_lT6_S9_li.kd
    .uniform_work_group_size: 1
    .uses_dynamic_stack: false
    .vgpr_count:     64
    .vgpr_spill_count: 0
    .wavefront_size: 64
  - .args:
      - .offset:         0
        .size:           1
        .value_kind:     by_value
      - .offset:         4
        .size:           4
        .value_kind:     by_value
      - .offset:         8
        .size:           8
        .value_kind:     by_value
      - .offset:         16
        .size:           16
        .value_kind:     by_value
      - .address_space:  global
        .offset:         32
        .size:           8
        .value_kind:     global_buffer
      - .offset:         40
        .size:           8
        .value_kind:     by_value
      - .offset:         48
        .size:           8
        .value_kind:     by_value
      - .address_space:  global
        .offset:         56
        .size:           8
        .value_kind:     global_buffer
      - .offset:         64
        .size:           8
        .value_kind:     by_value
      - .offset:         72
        .size:           8
        .value_kind:     by_value
      - .address_space:  global
        .offset:         80
        .size:           8
        .value_kind:     global_buffer
      - .offset:         88
        .size:           8
        .value_kind:     by_value
      - .offset:         96
        .size:           8
        .value_kind:     by_value
      - .offset:         104
        .size:           4
        .value_kind:     by_value
    .group_segment_fixed_size: 32768
    .kernarg_segment_align: 8
    .kernarg_segment_size: 108
    .language:       OpenCL C
    .language_version:
      - 2
      - 0
    .max_flat_workgroup_size: 1024
    .name:           _ZL26rocblas_syr2k_her2k_kernelIlLb1ELb1ELb1ELi32E19rocblas_complex_numIdEPKPKS1_PKPS1_EvbiT_T4_T5_S9_lSB_S9_lT6_S9_li
    .private_segment_fixed_size: 0
    .sgpr_count:     48
    .sgpr_spill_count: 0
    .symbol:         _ZL26rocblas_syr2k_her2k_kernelIlLb1ELb1ELb1ELi32E19rocblas_complex_numIdEPKPKS1_PKPS1_EvbiT_T4_T5_S9_lSB_S9_lT6_S9_li.kd
    .uniform_work_group_size: 1
    .uses_dynamic_stack: false
    .vgpr_count:     64
    .vgpr_spill_count: 0
    .wavefront_size: 64
  - .args:
      - .offset:         0
        .size:           1
        .value_kind:     by_value
      - .offset:         4
        .size:           4
        .value_kind:     by_value
      - .offset:         8
        .size:           8
        .value_kind:     by_value
      - .address_space:  global
        .offset:         16
        .size:           8
        .value_kind:     global_buffer
      - .address_space:  global
        .offset:         24
        .size:           8
        .value_kind:     global_buffer
      - .offset:         32
        .size:           8
        .value_kind:     by_value
      - .offset:         40
        .size:           8
        .value_kind:     by_value
      - .address_space:  global
        .offset:         48
        .size:           8
        .value_kind:     global_buffer
      - .offset:         56
        .size:           8
        .value_kind:     by_value
      - .offset:         64
        .size:           8
        .value_kind:     by_value
      - .address_space:  global
        .offset:         72
        .size:           8
        .value_kind:     global_buffer
      - .offset:         80
        .size:           8
        .value_kind:     by_value
      - .offset:         88
        .size:           8
        .value_kind:     by_value
      - .offset:         96
        .size:           4
        .value_kind:     by_value
    .group_segment_fixed_size: 32768
    .kernarg_segment_align: 8
    .kernarg_segment_size: 100
    .language:       OpenCL C
    .language_version:
      - 2
      - 0
    .max_flat_workgroup_size: 1024
    .name:           _ZL26rocblas_syr2k_her2k_kernelIlLb1ELb1ELb0ELi32EPK19rocblas_complex_numIdEPKS3_PKPS1_EvbiT_T4_T5_S9_lSB_S9_lT6_S9_li
    .private_segment_fixed_size: 0
    .sgpr_count:     44
    .sgpr_spill_count: 0
    .symbol:         _ZL26rocblas_syr2k_her2k_kernelIlLb1ELb1ELb0ELi32EPK19rocblas_complex_numIdEPKS3_PKPS1_EvbiT_T4_T5_S9_lSB_S9_lT6_S9_li.kd
    .uniform_work_group_size: 1
    .uses_dynamic_stack: false
    .vgpr_count:     64
    .vgpr_spill_count: 0
    .wavefront_size: 64
  - .args:
      - .offset:         0
        .size:           1
        .value_kind:     by_value
      - .offset:         4
        .size:           4
        .value_kind:     by_value
      - .offset:         8
        .size:           8
        .value_kind:     by_value
      - .address_space:  global
        .offset:         16
        .size:           8
        .value_kind:     global_buffer
      - .address_space:  global
        .offset:         24
        .size:           8
        .value_kind:     global_buffer
      - .offset:         32
        .size:           8
        .value_kind:     by_value
      - .offset:         40
        .size:           8
        .value_kind:     by_value
      - .address_space:  global
        .offset:         48
        .size:           8
        .value_kind:     global_buffer
      - .offset:         56
        .size:           8
        .value_kind:     by_value
      - .offset:         64
        .size:           8
        .value_kind:     by_value
      - .address_space:  global
        .offset:         72
        .size:           8
        .value_kind:     global_buffer
      - .offset:         80
        .size:           8
        .value_kind:     by_value
      - .offset:         88
        .size:           8
        .value_kind:     by_value
      - .offset:         96
        .size:           4
        .value_kind:     by_value
    .group_segment_fixed_size: 32768
    .kernarg_segment_align: 8
    .kernarg_segment_size: 100
    .language:       OpenCL C
    .language_version:
      - 2
      - 0
    .max_flat_workgroup_size: 1024
    .name:           _ZL26rocblas_syr2k_her2k_kernelIlLb1ELb1ELb1ELi32EPK19rocblas_complex_numIdEPKS3_PKPS1_EvbiT_T4_T5_S9_lSB_S9_lT6_S9_li
    .private_segment_fixed_size: 0
    .sgpr_count:     44
    .sgpr_spill_count: 0
    .symbol:         _ZL26rocblas_syr2k_her2k_kernelIlLb1ELb1ELb1ELi32EPK19rocblas_complex_numIdEPKS3_PKPS1_EvbiT_T4_T5_S9_lSB_S9_lT6_S9_li.kd
    .uniform_work_group_size: 1
    .uses_dynamic_stack: false
    .vgpr_count:     64
    .vgpr_spill_count: 0
    .wavefront_size: 64
  - .args:
      - .offset:         0
        .size:           1
        .value_kind:     by_value
      - .offset:         4
        .size:           4
        .value_kind:     by_value
      - .offset:         8
        .size:           4
        .value_kind:     by_value
      - .offset:         12
        .size:           4
        .value_kind:     by_value
      - .address_space:  global
        .offset:         16
        .size:           8
        .value_kind:     global_buffer
      - .offset:         24
        .size:           4
        .value_kind:     by_value
      - .offset:         32
        .size:           8
        .value_kind:     by_value
      - .address_space:  global
        .offset:         40
        .size:           8
        .value_kind:     global_buffer
      - .offset:         48
        .size:           4
        .value_kind:     by_value
      - .offset:         56
        .size:           8
        .value_kind:     by_value
      - .address_space:  global
        .offset:         64
        .size:           8
        .value_kind:     global_buffer
      - .offset:         72
        .size:           4
        .value_kind:     by_value
      - .offset:         80
        .size:           8
        .value_kind:     by_value
      - .offset:         88
        .size:           4
        .value_kind:     by_value
    .group_segment_fixed_size: 8192
    .kernarg_segment_align: 8
    .kernarg_segment_size: 92
    .language:       OpenCL C
    .language_version:
      - 2
      - 0
    .max_flat_workgroup_size: 1024
    .name:           _ZL26rocblas_syr2k_her2k_kernelIiLb1ELb0ELb0ELi32EfPKfPfEvbiT_T4_T5_S3_lS5_S3_lT6_S3_li
    .private_segment_fixed_size: 0
    .sgpr_count:     32
    .sgpr_spill_count: 0
    .symbol:         _ZL26rocblas_syr2k_her2k_kernelIiLb1ELb0ELb0ELi32EfPKfPfEvbiT_T4_T5_S3_lS5_S3_lT6_S3_li.kd
    .uniform_work_group_size: 1
    .uses_dynamic_stack: false
    .vgpr_count:     37
    .vgpr_spill_count: 0
    .wavefront_size: 64
  - .args:
      - .offset:         0
        .size:           1
        .value_kind:     by_value
      - .offset:         4
        .size:           4
        .value_kind:     by_value
      - .offset:         8
        .size:           4
        .value_kind:     by_value
      - .offset:         12
        .size:           4
        .value_kind:     by_value
      - .address_space:  global
        .offset:         16
        .size:           8
        .value_kind:     global_buffer
      - .offset:         24
        .size:           4
        .value_kind:     by_value
      - .offset:         32
        .size:           8
        .value_kind:     by_value
      - .address_space:  global
        .offset:         40
        .size:           8
        .value_kind:     global_buffer
      - .offset:         48
        .size:           4
        .value_kind:     by_value
      - .offset:         56
        .size:           8
        .value_kind:     by_value
      - .address_space:  global
        .offset:         64
        .size:           8
        .value_kind:     global_buffer
      - .offset:         72
        .size:           4
        .value_kind:     by_value
      - .offset:         80
        .size:           8
        .value_kind:     by_value
      - .offset:         88
        .size:           4
        .value_kind:     by_value
    .group_segment_fixed_size: 8192
    .kernarg_segment_align: 8
    .kernarg_segment_size: 92
    .language:       OpenCL C
    .language_version:
      - 2
      - 0
    .max_flat_workgroup_size: 1024
    .name:           _ZL26rocblas_syr2k_her2k_kernelIiLb1ELb0ELb1ELi32EfPKfPfEvbiT_T4_T5_S3_lS5_S3_lT6_S3_li
    .private_segment_fixed_size: 0
    .sgpr_count:     28
    .sgpr_spill_count: 0
    .symbol:         _ZL26rocblas_syr2k_her2k_kernelIiLb1ELb0ELb1ELi32EfPKfPfEvbiT_T4_T5_S3_lS5_S3_lT6_S3_li.kd
    .uniform_work_group_size: 1
    .uses_dynamic_stack: false
    .vgpr_count:     43
    .vgpr_spill_count: 0
    .wavefront_size: 64
  - .args:
      - .offset:         0
        .size:           1
        .value_kind:     by_value
      - .offset:         4
        .size:           4
        .value_kind:     by_value
      - .offset:         8
        .size:           4
        .value_kind:     by_value
      - .address_space:  global
        .offset:         16
        .size:           8
        .value_kind:     global_buffer
      - .address_space:  global
        .offset:         24
        .size:           8
        .value_kind:     global_buffer
      - .offset:         32
        .size:           4
        .value_kind:     by_value
      - .offset:         40
        .size:           8
        .value_kind:     by_value
      - .address_space:  global
        .offset:         48
        .size:           8
        .value_kind:     global_buffer
      - .offset:         56
        .size:           4
        .value_kind:     by_value
      - .offset:         64
        .size:           8
        .value_kind:     by_value
      - .address_space:  global
        .offset:         72
        .size:           8
        .value_kind:     global_buffer
      - .offset:         80
        .size:           4
        .value_kind:     by_value
      - .offset:         88
        .size:           8
        .value_kind:     by_value
      - .offset:         96
        .size:           4
        .value_kind:     by_value
    .group_segment_fixed_size: 8192
    .kernarg_segment_align: 8
    .kernarg_segment_size: 100
    .language:       OpenCL C
    .language_version:
      - 2
      - 0
    .max_flat_workgroup_size: 1024
    .name:           _ZL26rocblas_syr2k_her2k_kernelIiLb1ELb0ELb0ELi32EPKfS1_PfEvbiT_T4_T5_S3_lS5_S3_lT6_S3_li
    .private_segment_fixed_size: 0
    .sgpr_count:     32
    .sgpr_spill_count: 0
    .symbol:         _ZL26rocblas_syr2k_her2k_kernelIiLb1ELb0ELb0ELi32EPKfS1_PfEvbiT_T4_T5_S3_lS5_S3_lT6_S3_li.kd
    .uniform_work_group_size: 1
    .uses_dynamic_stack: false
    .vgpr_count:     37
    .vgpr_spill_count: 0
    .wavefront_size: 64
  - .args:
      - .offset:         0
        .size:           1
        .value_kind:     by_value
      - .offset:         4
        .size:           4
        .value_kind:     by_value
      - .offset:         8
        .size:           4
        .value_kind:     by_value
      - .address_space:  global
        .offset:         16
        .size:           8
        .value_kind:     global_buffer
      - .address_space:  global
        .offset:         24
        .size:           8
        .value_kind:     global_buffer
      - .offset:         32
        .size:           4
        .value_kind:     by_value
      - .offset:         40
        .size:           8
        .value_kind:     by_value
      - .address_space:  global
        .offset:         48
        .size:           8
        .value_kind:     global_buffer
      - .offset:         56
        .size:           4
        .value_kind:     by_value
      - .offset:         64
        .size:           8
        .value_kind:     by_value
      - .address_space:  global
        .offset:         72
        .size:           8
        .value_kind:     global_buffer
      - .offset:         80
        .size:           4
        .value_kind:     by_value
      - .offset:         88
        .size:           8
        .value_kind:     by_value
      - .offset:         96
        .size:           4
        .value_kind:     by_value
    .group_segment_fixed_size: 8192
    .kernarg_segment_align: 8
    .kernarg_segment_size: 100
    .language:       OpenCL C
    .language_version:
      - 2
      - 0
    .max_flat_workgroup_size: 1024
    .name:           _ZL26rocblas_syr2k_her2k_kernelIiLb1ELb0ELb1ELi32EPKfS1_PfEvbiT_T4_T5_S3_lS5_S3_lT6_S3_li
    .private_segment_fixed_size: 0
    .sgpr_count:     32
    .sgpr_spill_count: 0
    .symbol:         _ZL26rocblas_syr2k_her2k_kernelIiLb1ELb0ELb1ELi32EPKfS1_PfEvbiT_T4_T5_S3_lS5_S3_lT6_S3_li.kd
    .uniform_work_group_size: 1
    .uses_dynamic_stack: false
    .vgpr_count:     43
    .vgpr_spill_count: 0
    .wavefront_size: 64
  - .args:
      - .offset:         0
        .size:           1
        .value_kind:     by_value
      - .offset:         4
        .size:           4
        .value_kind:     by_value
      - .offset:         8
        .size:           4
        .value_kind:     by_value
      - .offset:         16
        .size:           8
        .value_kind:     by_value
      - .address_space:  global
        .offset:         24
        .size:           8
        .value_kind:     global_buffer
      - .offset:         32
        .size:           4
        .value_kind:     by_value
      - .offset:         40
        .size:           8
        .value_kind:     by_value
      - .address_space:  global
        .offset:         48
        .size:           8
        .value_kind:     global_buffer
      - .offset:         56
        .size:           4
        .value_kind:     by_value
      - .offset:         64
        .size:           8
        .value_kind:     by_value
      - .address_space:  global
        .offset:         72
        .size:           8
        .value_kind:     global_buffer
      - .offset:         80
        .size:           4
        .value_kind:     by_value
      - .offset:         88
        .size:           8
        .value_kind:     by_value
      - .offset:         96
        .size:           4
        .value_kind:     by_value
    .group_segment_fixed_size: 16384
    .kernarg_segment_align: 8
    .kernarg_segment_size: 100
    .language:       OpenCL C
    .language_version:
      - 2
      - 0
    .max_flat_workgroup_size: 1024
    .name:           _ZL26rocblas_syr2k_her2k_kernelIiLb1ELb0ELb0ELi32EdPKdPdEvbiT_T4_T5_S3_lS5_S3_lT6_S3_li
    .private_segment_fixed_size: 0
    .sgpr_count:     32
    .sgpr_spill_count: 0
    .symbol:         _ZL26rocblas_syr2k_her2k_kernelIiLb1ELb0ELb0ELi32EdPKdPdEvbiT_T4_T5_S3_lS5_S3_lT6_S3_li.kd
    .uniform_work_group_size: 1
    .uses_dynamic_stack: false
    .vgpr_count:     33
    .vgpr_spill_count: 0
    .wavefront_size: 64
  - .args:
      - .offset:         0
        .size:           1
        .value_kind:     by_value
      - .offset:         4
        .size:           4
        .value_kind:     by_value
      - .offset:         8
        .size:           4
        .value_kind:     by_value
      - .offset:         16
        .size:           8
        .value_kind:     by_value
      - .address_space:  global
        .offset:         24
        .size:           8
        .value_kind:     global_buffer
      - .offset:         32
        .size:           4
        .value_kind:     by_value
      - .offset:         40
        .size:           8
        .value_kind:     by_value
      - .address_space:  global
        .offset:         48
        .size:           8
        .value_kind:     global_buffer
      - .offset:         56
        .size:           4
        .value_kind:     by_value
      - .offset:         64
        .size:           8
        .value_kind:     by_value
      - .address_space:  global
        .offset:         72
        .size:           8
        .value_kind:     global_buffer
      - .offset:         80
        .size:           4
        .value_kind:     by_value
      - .offset:         88
        .size:           8
        .value_kind:     by_value
      - .offset:         96
        .size:           4
        .value_kind:     by_value
    .group_segment_fixed_size: 16384
    .kernarg_segment_align: 8
    .kernarg_segment_size: 100
    .language:       OpenCL C
    .language_version:
      - 2
      - 0
    .max_flat_workgroup_size: 1024
    .name:           _ZL26rocblas_syr2k_her2k_kernelIiLb1ELb0ELb1ELi32EdPKdPdEvbiT_T4_T5_S3_lS5_S3_lT6_S3_li
    .private_segment_fixed_size: 0
    .sgpr_count:     32
    .sgpr_spill_count: 0
    .symbol:         _ZL26rocblas_syr2k_her2k_kernelIiLb1ELb0ELb1ELi32EdPKdPdEvbiT_T4_T5_S3_lS5_S3_lT6_S3_li.kd
    .uniform_work_group_size: 1
    .uses_dynamic_stack: false
    .vgpr_count:     35
    .vgpr_spill_count: 0
    .wavefront_size: 64
  - .args:
      - .offset:         0
        .size:           1
        .value_kind:     by_value
      - .offset:         4
        .size:           4
        .value_kind:     by_value
      - .offset:         8
        .size:           4
        .value_kind:     by_value
      - .address_space:  global
        .offset:         16
        .size:           8
        .value_kind:     global_buffer
      - .address_space:  global
        .offset:         24
        .size:           8
        .value_kind:     global_buffer
      - .offset:         32
        .size:           4
        .value_kind:     by_value
      - .offset:         40
        .size:           8
        .value_kind:     by_value
      - .address_space:  global
        .offset:         48
        .size:           8
        .value_kind:     global_buffer
      - .offset:         56
        .size:           4
        .value_kind:     by_value
      - .offset:         64
        .size:           8
        .value_kind:     by_value
      - .address_space:  global
        .offset:         72
        .size:           8
        .value_kind:     global_buffer
      - .offset:         80
        .size:           4
        .value_kind:     by_value
      - .offset:         88
        .size:           8
        .value_kind:     by_value
      - .offset:         96
        .size:           4
        .value_kind:     by_value
    .group_segment_fixed_size: 16384
    .kernarg_segment_align: 8
    .kernarg_segment_size: 100
    .language:       OpenCL C
    .language_version:
      - 2
      - 0
    .max_flat_workgroup_size: 1024
    .name:           _ZL26rocblas_syr2k_her2k_kernelIiLb1ELb0ELb0ELi32EPKdS1_PdEvbiT_T4_T5_S3_lS5_S3_lT6_S3_li
    .private_segment_fixed_size: 0
    .sgpr_count:     32
    .sgpr_spill_count: 0
    .symbol:         _ZL26rocblas_syr2k_her2k_kernelIiLb1ELb0ELb0ELi32EPKdS1_PdEvbiT_T4_T5_S3_lS5_S3_lT6_S3_li.kd
    .uniform_work_group_size: 1
    .uses_dynamic_stack: false
    .vgpr_count:     33
    .vgpr_spill_count: 0
    .wavefront_size: 64
  - .args:
      - .offset:         0
        .size:           1
        .value_kind:     by_value
      - .offset:         4
        .size:           4
        .value_kind:     by_value
      - .offset:         8
        .size:           4
        .value_kind:     by_value
      - .address_space:  global
        .offset:         16
        .size:           8
        .value_kind:     global_buffer
      - .address_space:  global
        .offset:         24
        .size:           8
        .value_kind:     global_buffer
      - .offset:         32
        .size:           4
        .value_kind:     by_value
      - .offset:         40
        .size:           8
        .value_kind:     by_value
      - .address_space:  global
        .offset:         48
        .size:           8
        .value_kind:     global_buffer
      - .offset:         56
        .size:           4
        .value_kind:     by_value
      - .offset:         64
        .size:           8
        .value_kind:     by_value
      - .address_space:  global
        .offset:         72
        .size:           8
        .value_kind:     global_buffer
      - .offset:         80
        .size:           4
        .value_kind:     by_value
      - .offset:         88
        .size:           8
        .value_kind:     by_value
      - .offset:         96
        .size:           4
        .value_kind:     by_value
    .group_segment_fixed_size: 16384
    .kernarg_segment_align: 8
    .kernarg_segment_size: 100
    .language:       OpenCL C
    .language_version:
      - 2
      - 0
    .max_flat_workgroup_size: 1024
    .name:           _ZL26rocblas_syr2k_her2k_kernelIiLb1ELb0ELb1ELi32EPKdS1_PdEvbiT_T4_T5_S3_lS5_S3_lT6_S3_li
    .private_segment_fixed_size: 0
    .sgpr_count:     28
    .sgpr_spill_count: 0
    .symbol:         _ZL26rocblas_syr2k_her2k_kernelIiLb1ELb0ELb1ELi32EPKdS1_PdEvbiT_T4_T5_S3_lS5_S3_lT6_S3_li.kd
    .uniform_work_group_size: 1
    .uses_dynamic_stack: false
    .vgpr_count:     35
    .vgpr_spill_count: 0
    .wavefront_size: 64
  - .args:
      - .offset:         0
        .size:           1
        .value_kind:     by_value
      - .offset:         4
        .size:           4
        .value_kind:     by_value
      - .offset:         8
        .size:           4
        .value_kind:     by_value
      - .offset:         12
        .size:           8
        .value_kind:     by_value
      - .address_space:  global
        .offset:         24
        .size:           8
        .value_kind:     global_buffer
      - .offset:         32
        .size:           4
        .value_kind:     by_value
      - .offset:         40
        .size:           8
        .value_kind:     by_value
      - .address_space:  global
        .offset:         48
        .size:           8
        .value_kind:     global_buffer
      - .offset:         56
        .size:           4
        .value_kind:     by_value
      - .offset:         64
        .size:           8
        .value_kind:     by_value
      - .address_space:  global
        .offset:         72
        .size:           8
        .value_kind:     global_buffer
      - .offset:         80
        .size:           4
        .value_kind:     by_value
      - .offset:         88
        .size:           8
        .value_kind:     by_value
      - .offset:         96
        .size:           4
        .value_kind:     by_value
    .group_segment_fixed_size: 16384
    .kernarg_segment_align: 8
    .kernarg_segment_size: 100
    .language:       OpenCL C
    .language_version:
      - 2
      - 0
    .max_flat_workgroup_size: 1024
    .name:           _ZL26rocblas_syr2k_her2k_kernelIiLb1ELb0ELb0ELi32E19rocblas_complex_numIfEPKS1_PS1_EvbiT_T4_T5_S5_lS7_S5_lT6_S5_li
    .private_segment_fixed_size: 0
    .sgpr_count:     32
    .sgpr_spill_count: 0
    .symbol:         _ZL26rocblas_syr2k_her2k_kernelIiLb1ELb0ELb0ELi32E19rocblas_complex_numIfEPKS1_PS1_EvbiT_T4_T5_S5_lS7_S5_lT6_S5_li.kd
    .uniform_work_group_size: 1
    .uses_dynamic_stack: false
    .vgpr_count:     42
    .vgpr_spill_count: 0
    .wavefront_size: 64
  - .args:
      - .offset:         0
        .size:           1
        .value_kind:     by_value
      - .offset:         4
        .size:           4
        .value_kind:     by_value
      - .offset:         8
        .size:           4
        .value_kind:     by_value
      - .offset:         12
        .size:           8
        .value_kind:     by_value
      - .address_space:  global
        .offset:         24
        .size:           8
        .value_kind:     global_buffer
      - .offset:         32
        .size:           4
        .value_kind:     by_value
      - .offset:         40
        .size:           8
        .value_kind:     by_value
      - .address_space:  global
        .offset:         48
        .size:           8
        .value_kind:     global_buffer
      - .offset:         56
        .size:           4
        .value_kind:     by_value
      - .offset:         64
        .size:           8
        .value_kind:     by_value
      - .address_space:  global
        .offset:         72
        .size:           8
        .value_kind:     global_buffer
      - .offset:         80
        .size:           4
        .value_kind:     by_value
      - .offset:         88
        .size:           8
        .value_kind:     by_value
      - .offset:         96
        .size:           4
        .value_kind:     by_value
    .group_segment_fixed_size: 16384
    .kernarg_segment_align: 8
    .kernarg_segment_size: 100
    .language:       OpenCL C
    .language_version:
      - 2
      - 0
    .max_flat_workgroup_size: 1024
    .name:           _ZL26rocblas_syr2k_her2k_kernelIiLb1ELb0ELb1ELi32E19rocblas_complex_numIfEPKS1_PS1_EvbiT_T4_T5_S5_lS7_S5_lT6_S5_li
    .private_segment_fixed_size: 0
    .sgpr_count:     32
    .sgpr_spill_count: 0
    .symbol:         _ZL26rocblas_syr2k_her2k_kernelIiLb1ELb0ELb1ELi32E19rocblas_complex_numIfEPKS1_PS1_EvbiT_T4_T5_S5_lS7_S5_lT6_S5_li.kd
    .uniform_work_group_size: 1
    .uses_dynamic_stack: false
    .vgpr_count:     43
    .vgpr_spill_count: 0
    .wavefront_size: 64
  - .args:
      - .offset:         0
        .size:           1
        .value_kind:     by_value
      - .offset:         4
        .size:           4
        .value_kind:     by_value
      - .offset:         8
        .size:           4
        .value_kind:     by_value
      - .address_space:  global
        .offset:         16
        .size:           8
        .value_kind:     global_buffer
      - .address_space:  global
        .offset:         24
        .size:           8
        .value_kind:     global_buffer
      - .offset:         32
        .size:           4
        .value_kind:     by_value
      - .offset:         40
        .size:           8
        .value_kind:     by_value
      - .address_space:  global
        .offset:         48
        .size:           8
        .value_kind:     global_buffer
      - .offset:         56
        .size:           4
        .value_kind:     by_value
      - .offset:         64
        .size:           8
        .value_kind:     by_value
      - .address_space:  global
        .offset:         72
        .size:           8
        .value_kind:     global_buffer
      - .offset:         80
        .size:           4
        .value_kind:     by_value
      - .offset:         88
        .size:           8
        .value_kind:     by_value
      - .offset:         96
        .size:           4
        .value_kind:     by_value
    .group_segment_fixed_size: 16384
    .kernarg_segment_align: 8
    .kernarg_segment_size: 100
    .language:       OpenCL C
    .language_version:
      - 2
      - 0
    .max_flat_workgroup_size: 1024
    .name:           _ZL26rocblas_syr2k_her2k_kernelIiLb1ELb0ELb0ELi32EPK19rocblas_complex_numIfES3_PS1_EvbiT_T4_T5_S5_lS7_S5_lT6_S5_li
    .private_segment_fixed_size: 0
    .sgpr_count:     32
    .sgpr_spill_count: 0
    .symbol:         _ZL26rocblas_syr2k_her2k_kernelIiLb1ELb0ELb0ELi32EPK19rocblas_complex_numIfES3_PS1_EvbiT_T4_T5_S5_lS7_S5_lT6_S5_li.kd
    .uniform_work_group_size: 1
    .uses_dynamic_stack: false
    .vgpr_count:     42
    .vgpr_spill_count: 0
    .wavefront_size: 64
  - .args:
      - .offset:         0
        .size:           1
        .value_kind:     by_value
      - .offset:         4
        .size:           4
        .value_kind:     by_value
      - .offset:         8
        .size:           4
        .value_kind:     by_value
      - .address_space:  global
        .offset:         16
        .size:           8
        .value_kind:     global_buffer
      - .address_space:  global
        .offset:         24
        .size:           8
        .value_kind:     global_buffer
      - .offset:         32
        .size:           4
        .value_kind:     by_value
      - .offset:         40
        .size:           8
        .value_kind:     by_value
      - .address_space:  global
        .offset:         48
        .size:           8
        .value_kind:     global_buffer
      - .offset:         56
        .size:           4
        .value_kind:     by_value
      - .offset:         64
        .size:           8
        .value_kind:     by_value
      - .address_space:  global
        .offset:         72
        .size:           8
        .value_kind:     global_buffer
      - .offset:         80
        .size:           4
        .value_kind:     by_value
      - .offset:         88
        .size:           8
        .value_kind:     by_value
      - .offset:         96
        .size:           4
        .value_kind:     by_value
    .group_segment_fixed_size: 16384
    .kernarg_segment_align: 8
    .kernarg_segment_size: 100
    .language:       OpenCL C
    .language_version:
      - 2
      - 0
    .max_flat_workgroup_size: 1024
    .name:           _ZL26rocblas_syr2k_her2k_kernelIiLb1ELb0ELb1ELi32EPK19rocblas_complex_numIfES3_PS1_EvbiT_T4_T5_S5_lS7_S5_lT6_S5_li
    .private_segment_fixed_size: 0
    .sgpr_count:     28
    .sgpr_spill_count: 0
    .symbol:         _ZL26rocblas_syr2k_her2k_kernelIiLb1ELb0ELb1ELi32EPK19rocblas_complex_numIfES3_PS1_EvbiT_T4_T5_S5_lS7_S5_lT6_S5_li.kd
    .uniform_work_group_size: 1
    .uses_dynamic_stack: false
    .vgpr_count:     43
    .vgpr_spill_count: 0
    .wavefront_size: 64
  - .args:
      - .offset:         0
        .size:           1
        .value_kind:     by_value
      - .offset:         4
        .size:           4
        .value_kind:     by_value
      - .offset:         8
        .size:           4
        .value_kind:     by_value
      - .offset:         16
        .size:           16
        .value_kind:     by_value
      - .address_space:  global
        .offset:         32
        .size:           8
        .value_kind:     global_buffer
      - .offset:         40
        .size:           4
        .value_kind:     by_value
      - .offset:         48
        .size:           8
        .value_kind:     by_value
      - .address_space:  global
        .offset:         56
        .size:           8
        .value_kind:     global_buffer
      - .offset:         64
        .size:           4
        .value_kind:     by_value
      - .offset:         72
        .size:           8
        .value_kind:     by_value
      - .address_space:  global
        .offset:         80
        .size:           8
        .value_kind:     global_buffer
      - .offset:         88
        .size:           4
        .value_kind:     by_value
      - .offset:         96
        .size:           8
        .value_kind:     by_value
      - .offset:         104
        .size:           4
        .value_kind:     by_value
    .group_segment_fixed_size: 32768
    .kernarg_segment_align: 8
    .kernarg_segment_size: 108
    .language:       OpenCL C
    .language_version:
      - 2
      - 0
    .max_flat_workgroup_size: 1024
    .name:           _ZL26rocblas_syr2k_her2k_kernelIiLb1ELb0ELb0ELi32E19rocblas_complex_numIdEPKS1_PS1_EvbiT_T4_T5_S5_lS7_S5_lT6_S5_li
    .private_segment_fixed_size: 0
    .sgpr_count:     32
    .sgpr_spill_count: 0
    .symbol:         _ZL26rocblas_syr2k_her2k_kernelIiLb1ELb0ELb0ELi32E19rocblas_complex_numIdEPKS1_PS1_EvbiT_T4_T5_S5_lS7_S5_lT6_S5_li.kd
    .uniform_work_group_size: 1
    .uses_dynamic_stack: false
    .vgpr_count:     58
    .vgpr_spill_count: 0
    .wavefront_size: 64
  - .args:
      - .offset:         0
        .size:           1
        .value_kind:     by_value
      - .offset:         4
        .size:           4
        .value_kind:     by_value
      - .offset:         8
        .size:           4
        .value_kind:     by_value
      - .offset:         16
        .size:           16
        .value_kind:     by_value
      - .address_space:  global
        .offset:         32
        .size:           8
        .value_kind:     global_buffer
      - .offset:         40
        .size:           4
        .value_kind:     by_value
      - .offset:         48
        .size:           8
        .value_kind:     by_value
      - .address_space:  global
        .offset:         56
        .size:           8
        .value_kind:     global_buffer
      - .offset:         64
        .size:           4
        .value_kind:     by_value
      - .offset:         72
        .size:           8
        .value_kind:     by_value
      - .address_space:  global
        .offset:         80
        .size:           8
        .value_kind:     global_buffer
      - .offset:         88
        .size:           4
        .value_kind:     by_value
      - .offset:         96
        .size:           8
        .value_kind:     by_value
      - .offset:         104
        .size:           4
        .value_kind:     by_value
    .group_segment_fixed_size: 32768
    .kernarg_segment_align: 8
    .kernarg_segment_size: 108
    .language:       OpenCL C
    .language_version:
      - 2
      - 0
    .max_flat_workgroup_size: 1024
    .name:           _ZL26rocblas_syr2k_her2k_kernelIiLb1ELb0ELb1ELi32E19rocblas_complex_numIdEPKS1_PS1_EvbiT_T4_T5_S5_lS7_S5_lT6_S5_li
    .private_segment_fixed_size: 0
    .sgpr_count:     32
    .sgpr_spill_count: 0
    .symbol:         _ZL26rocblas_syr2k_her2k_kernelIiLb1ELb0ELb1ELi32E19rocblas_complex_numIdEPKS1_PS1_EvbiT_T4_T5_S5_lS7_S5_lT6_S5_li.kd
    .uniform_work_group_size: 1
    .uses_dynamic_stack: false
    .vgpr_count:     58
    .vgpr_spill_count: 0
    .wavefront_size: 64
  - .args:
      - .offset:         0
        .size:           1
        .value_kind:     by_value
      - .offset:         4
        .size:           4
        .value_kind:     by_value
      - .offset:         8
        .size:           4
        .value_kind:     by_value
      - .address_space:  global
        .offset:         16
        .size:           8
        .value_kind:     global_buffer
      - .address_space:  global
        .offset:         24
        .size:           8
        .value_kind:     global_buffer
      - .offset:         32
        .size:           4
        .value_kind:     by_value
      - .offset:         40
        .size:           8
        .value_kind:     by_value
      - .address_space:  global
        .offset:         48
        .size:           8
        .value_kind:     global_buffer
      - .offset:         56
        .size:           4
        .value_kind:     by_value
      - .offset:         64
        .size:           8
        .value_kind:     by_value
      - .address_space:  global
        .offset:         72
        .size:           8
        .value_kind:     global_buffer
      - .offset:         80
        .size:           4
        .value_kind:     by_value
      - .offset:         88
        .size:           8
        .value_kind:     by_value
      - .offset:         96
        .size:           4
        .value_kind:     by_value
    .group_segment_fixed_size: 32768
    .kernarg_segment_align: 8
    .kernarg_segment_size: 100
    .language:       OpenCL C
    .language_version:
      - 2
      - 0
    .max_flat_workgroup_size: 1024
    .name:           _ZL26rocblas_syr2k_her2k_kernelIiLb1ELb0ELb0ELi32EPK19rocblas_complex_numIdES3_PS1_EvbiT_T4_T5_S5_lS7_S5_lT6_S5_li
    .private_segment_fixed_size: 0
    .sgpr_count:     32
    .sgpr_spill_count: 0
    .symbol:         _ZL26rocblas_syr2k_her2k_kernelIiLb1ELb0ELb0ELi32EPK19rocblas_complex_numIdES3_PS1_EvbiT_T4_T5_S5_lS7_S5_lT6_S5_li.kd
    .uniform_work_group_size: 1
    .uses_dynamic_stack: false
    .vgpr_count:     58
    .vgpr_spill_count: 0
    .wavefront_size: 64
  - .args:
      - .offset:         0
        .size:           1
        .value_kind:     by_value
      - .offset:         4
        .size:           4
        .value_kind:     by_value
      - .offset:         8
        .size:           4
        .value_kind:     by_value
      - .address_space:  global
        .offset:         16
        .size:           8
        .value_kind:     global_buffer
      - .address_space:  global
        .offset:         24
        .size:           8
        .value_kind:     global_buffer
      - .offset:         32
        .size:           4
        .value_kind:     by_value
      - .offset:         40
        .size:           8
        .value_kind:     by_value
      - .address_space:  global
        .offset:         48
        .size:           8
        .value_kind:     global_buffer
      - .offset:         56
        .size:           4
        .value_kind:     by_value
      - .offset:         64
        .size:           8
        .value_kind:     by_value
      - .address_space:  global
        .offset:         72
        .size:           8
        .value_kind:     global_buffer
      - .offset:         80
        .size:           4
        .value_kind:     by_value
      - .offset:         88
        .size:           8
        .value_kind:     by_value
      - .offset:         96
        .size:           4
        .value_kind:     by_value
    .group_segment_fixed_size: 32768
    .kernarg_segment_align: 8
    .kernarg_segment_size: 100
    .language:       OpenCL C
    .language_version:
      - 2
      - 0
    .max_flat_workgroup_size: 1024
    .name:           _ZL26rocblas_syr2k_her2k_kernelIiLb1ELb0ELb1ELi32EPK19rocblas_complex_numIdES3_PS1_EvbiT_T4_T5_S5_lS7_S5_lT6_S5_li
    .private_segment_fixed_size: 0
    .sgpr_count:     32
    .sgpr_spill_count: 0
    .symbol:         _ZL26rocblas_syr2k_her2k_kernelIiLb1ELb0ELb1ELi32EPK19rocblas_complex_numIdES3_PS1_EvbiT_T4_T5_S5_lS7_S5_lT6_S5_li.kd
    .uniform_work_group_size: 1
    .uses_dynamic_stack: false
    .vgpr_count:     58
    .vgpr_spill_count: 0
    .wavefront_size: 64
  - .args:
      - .offset:         0
        .size:           1
        .value_kind:     by_value
      - .offset:         4
        .size:           4
        .value_kind:     by_value
      - .offset:         8
        .size:           4
        .value_kind:     by_value
      - .offset:         12
        .size:           4
        .value_kind:     by_value
      - .address_space:  global
        .offset:         16
        .size:           8
        .value_kind:     global_buffer
      - .offset:         24
        .size:           4
        .value_kind:     by_value
      - .offset:         32
        .size:           8
        .value_kind:     by_value
      - .address_space:  global
        .offset:         40
        .size:           8
        .value_kind:     global_buffer
      - .offset:         48
        .size:           4
        .value_kind:     by_value
      - .offset:         56
        .size:           8
        .value_kind:     by_value
      - .address_space:  global
        .offset:         64
        .size:           8
        .value_kind:     global_buffer
      - .offset:         72
        .size:           4
        .value_kind:     by_value
      - .offset:         80
        .size:           8
        .value_kind:     by_value
      - .offset:         88
        .size:           4
        .value_kind:     by_value
    .group_segment_fixed_size: 8192
    .kernarg_segment_align: 8
    .kernarg_segment_size: 92
    .language:       OpenCL C
    .language_version:
      - 2
      - 0
    .max_flat_workgroup_size: 1024
    .name:           _ZL26rocblas_syr2k_her2k_kernelIiLb1ELb0ELb0ELi32EfPKPKfPKPfEvbiT_T4_T5_S7_lS9_S7_lT6_S7_li
    .private_segment_fixed_size: 0
    .sgpr_count:     32
    .sgpr_spill_count: 0
    .symbol:         _ZL26rocblas_syr2k_her2k_kernelIiLb1ELb0ELb0ELi32EfPKPKfPKPfEvbiT_T4_T5_S7_lS9_S7_lT6_S7_li.kd
    .uniform_work_group_size: 1
    .uses_dynamic_stack: false
    .vgpr_count:     41
    .vgpr_spill_count: 0
    .wavefront_size: 64
  - .args:
      - .offset:         0
        .size:           1
        .value_kind:     by_value
      - .offset:         4
        .size:           4
        .value_kind:     by_value
      - .offset:         8
        .size:           4
        .value_kind:     by_value
      - .offset:         12
        .size:           4
        .value_kind:     by_value
      - .address_space:  global
        .offset:         16
        .size:           8
        .value_kind:     global_buffer
      - .offset:         24
        .size:           4
        .value_kind:     by_value
      - .offset:         32
        .size:           8
        .value_kind:     by_value
      - .address_space:  global
        .offset:         40
        .size:           8
        .value_kind:     global_buffer
      - .offset:         48
        .size:           4
        .value_kind:     by_value
      - .offset:         56
        .size:           8
        .value_kind:     by_value
      - .address_space:  global
        .offset:         64
        .size:           8
        .value_kind:     global_buffer
      - .offset:         72
        .size:           4
        .value_kind:     by_value
      - .offset:         80
        .size:           8
        .value_kind:     by_value
      - .offset:         88
        .size:           4
        .value_kind:     by_value
    .group_segment_fixed_size: 8192
    .kernarg_segment_align: 8
    .kernarg_segment_size: 92
    .language:       OpenCL C
    .language_version:
      - 2
      - 0
    .max_flat_workgroup_size: 1024
    .name:           _ZL26rocblas_syr2k_her2k_kernelIiLb1ELb0ELb1ELi32EfPKPKfPKPfEvbiT_T4_T5_S7_lS9_S7_lT6_S7_li
    .private_segment_fixed_size: 0
    .sgpr_count:     30
    .sgpr_spill_count: 0
    .symbol:         _ZL26rocblas_syr2k_her2k_kernelIiLb1ELb0ELb1ELi32EfPKPKfPKPfEvbiT_T4_T5_S7_lS9_S7_lT6_S7_li.kd
    .uniform_work_group_size: 1
    .uses_dynamic_stack: false
    .vgpr_count:     43
    .vgpr_spill_count: 0
    .wavefront_size: 64
  - .args:
      - .offset:         0
        .size:           1
        .value_kind:     by_value
      - .offset:         4
        .size:           4
        .value_kind:     by_value
      - .offset:         8
        .size:           4
        .value_kind:     by_value
      - .address_space:  global
        .offset:         16
        .size:           8
        .value_kind:     global_buffer
      - .address_space:  global
        .offset:         24
        .size:           8
        .value_kind:     global_buffer
      - .offset:         32
        .size:           4
        .value_kind:     by_value
      - .offset:         40
        .size:           8
        .value_kind:     by_value
      - .address_space:  global
        .offset:         48
        .size:           8
        .value_kind:     global_buffer
      - .offset:         56
        .size:           4
        .value_kind:     by_value
      - .offset:         64
        .size:           8
        .value_kind:     by_value
      - .address_space:  global
        .offset:         72
        .size:           8
        .value_kind:     global_buffer
      - .offset:         80
        .size:           4
        .value_kind:     by_value
      - .offset:         88
        .size:           8
        .value_kind:     by_value
      - .offset:         96
        .size:           4
        .value_kind:     by_value
    .group_segment_fixed_size: 8192
    .kernarg_segment_align: 8
    .kernarg_segment_size: 100
    .language:       OpenCL C
    .language_version:
      - 2
      - 0
    .max_flat_workgroup_size: 1024
    .name:           _ZL26rocblas_syr2k_her2k_kernelIiLb1ELb0ELb0ELi32EPKfPKS1_PKPfEvbiT_T4_T5_S7_lS9_S7_lT6_S7_li
    .private_segment_fixed_size: 0
    .sgpr_count:     32
    .sgpr_spill_count: 0
    .symbol:         _ZL26rocblas_syr2k_her2k_kernelIiLb1ELb0ELb0ELi32EPKfPKS1_PKPfEvbiT_T4_T5_S7_lS9_S7_lT6_S7_li.kd
    .uniform_work_group_size: 1
    .uses_dynamic_stack: false
    .vgpr_count:     41
    .vgpr_spill_count: 0
    .wavefront_size: 64
  - .args:
      - .offset:         0
        .size:           1
        .value_kind:     by_value
      - .offset:         4
        .size:           4
        .value_kind:     by_value
      - .offset:         8
        .size:           4
        .value_kind:     by_value
      - .address_space:  global
        .offset:         16
        .size:           8
        .value_kind:     global_buffer
      - .address_space:  global
        .offset:         24
        .size:           8
        .value_kind:     global_buffer
      - .offset:         32
        .size:           4
        .value_kind:     by_value
      - .offset:         40
        .size:           8
        .value_kind:     by_value
      - .address_space:  global
        .offset:         48
        .size:           8
        .value_kind:     global_buffer
      - .offset:         56
        .size:           4
        .value_kind:     by_value
      - .offset:         64
        .size:           8
        .value_kind:     by_value
      - .address_space:  global
        .offset:         72
        .size:           8
        .value_kind:     global_buffer
      - .offset:         80
        .size:           4
        .value_kind:     by_value
      - .offset:         88
        .size:           8
        .value_kind:     by_value
      - .offset:         96
        .size:           4
        .value_kind:     by_value
    .group_segment_fixed_size: 8192
    .kernarg_segment_align: 8
    .kernarg_segment_size: 100
    .language:       OpenCL C
    .language_version:
      - 2
      - 0
    .max_flat_workgroup_size: 1024
    .name:           _ZL26rocblas_syr2k_her2k_kernelIiLb1ELb0ELb1ELi32EPKfPKS1_PKPfEvbiT_T4_T5_S7_lS9_S7_lT6_S7_li
    .private_segment_fixed_size: 0
    .sgpr_count:     32
    .sgpr_spill_count: 0
    .symbol:         _ZL26rocblas_syr2k_her2k_kernelIiLb1ELb0ELb1ELi32EPKfPKS1_PKPfEvbiT_T4_T5_S7_lS9_S7_lT6_S7_li.kd
    .uniform_work_group_size: 1
    .uses_dynamic_stack: false
    .vgpr_count:     43
    .vgpr_spill_count: 0
    .wavefront_size: 64
  - .args:
      - .offset:         0
        .size:           1
        .value_kind:     by_value
      - .offset:         4
        .size:           4
        .value_kind:     by_value
      - .offset:         8
        .size:           4
        .value_kind:     by_value
      - .offset:         16
        .size:           8
        .value_kind:     by_value
      - .address_space:  global
        .offset:         24
        .size:           8
        .value_kind:     global_buffer
      - .offset:         32
        .size:           4
        .value_kind:     by_value
      - .offset:         40
        .size:           8
        .value_kind:     by_value
      - .address_space:  global
        .offset:         48
        .size:           8
        .value_kind:     global_buffer
      - .offset:         56
        .size:           4
        .value_kind:     by_value
      - .offset:         64
        .size:           8
        .value_kind:     by_value
      - .address_space:  global
        .offset:         72
        .size:           8
        .value_kind:     global_buffer
      - .offset:         80
        .size:           4
        .value_kind:     by_value
      - .offset:         88
        .size:           8
        .value_kind:     by_value
      - .offset:         96
        .size:           4
        .value_kind:     by_value
    .group_segment_fixed_size: 16384
    .kernarg_segment_align: 8
    .kernarg_segment_size: 100
    .language:       OpenCL C
    .language_version:
      - 2
      - 0
    .max_flat_workgroup_size: 1024
    .name:           _ZL26rocblas_syr2k_her2k_kernelIiLb1ELb0ELb0ELi32EdPKPKdPKPdEvbiT_T4_T5_S7_lS9_S7_lT6_S7_li
    .private_segment_fixed_size: 0
    .sgpr_count:     33
    .sgpr_spill_count: 0
    .symbol:         _ZL26rocblas_syr2k_her2k_kernelIiLb1ELb0ELb0ELi32EdPKPKdPKPdEvbiT_T4_T5_S7_lS9_S7_lT6_S7_li.kd
    .uniform_work_group_size: 1
    .uses_dynamic_stack: false
    .vgpr_count:     37
    .vgpr_spill_count: 0
    .wavefront_size: 64
  - .args:
      - .offset:         0
        .size:           1
        .value_kind:     by_value
      - .offset:         4
        .size:           4
        .value_kind:     by_value
      - .offset:         8
        .size:           4
        .value_kind:     by_value
      - .offset:         16
        .size:           8
        .value_kind:     by_value
      - .address_space:  global
        .offset:         24
        .size:           8
        .value_kind:     global_buffer
      - .offset:         32
        .size:           4
        .value_kind:     by_value
      - .offset:         40
        .size:           8
        .value_kind:     by_value
      - .address_space:  global
        .offset:         48
        .size:           8
        .value_kind:     global_buffer
      - .offset:         56
        .size:           4
        .value_kind:     by_value
      - .offset:         64
        .size:           8
        .value_kind:     by_value
      - .address_space:  global
        .offset:         72
        .size:           8
        .value_kind:     global_buffer
      - .offset:         80
        .size:           4
        .value_kind:     by_value
      - .offset:         88
        .size:           8
        .value_kind:     by_value
      - .offset:         96
        .size:           4
        .value_kind:     by_value
    .group_segment_fixed_size: 16384
    .kernarg_segment_align: 8
    .kernarg_segment_size: 100
    .language:       OpenCL C
    .language_version:
      - 2
      - 0
    .max_flat_workgroup_size: 1024
    .name:           _ZL26rocblas_syr2k_her2k_kernelIiLb1ELb0ELb1ELi32EdPKPKdPKPdEvbiT_T4_T5_S7_lS9_S7_lT6_S7_li
    .private_segment_fixed_size: 0
    .sgpr_count:     33
    .sgpr_spill_count: 0
    .symbol:         _ZL26rocblas_syr2k_her2k_kernelIiLb1ELb0ELb1ELi32EdPKPKdPKPdEvbiT_T4_T5_S7_lS9_S7_lT6_S7_li.kd
    .uniform_work_group_size: 1
    .uses_dynamic_stack: false
    .vgpr_count:     39
    .vgpr_spill_count: 0
    .wavefront_size: 64
  - .args:
      - .offset:         0
        .size:           1
        .value_kind:     by_value
      - .offset:         4
        .size:           4
        .value_kind:     by_value
      - .offset:         8
        .size:           4
        .value_kind:     by_value
      - .address_space:  global
        .offset:         16
        .size:           8
        .value_kind:     global_buffer
      - .address_space:  global
        .offset:         24
        .size:           8
        .value_kind:     global_buffer
      - .offset:         32
        .size:           4
        .value_kind:     by_value
      - .offset:         40
        .size:           8
        .value_kind:     by_value
      - .address_space:  global
        .offset:         48
        .size:           8
        .value_kind:     global_buffer
      - .offset:         56
        .size:           4
        .value_kind:     by_value
      - .offset:         64
        .size:           8
        .value_kind:     by_value
      - .address_space:  global
        .offset:         72
        .size:           8
        .value_kind:     global_buffer
      - .offset:         80
        .size:           4
        .value_kind:     by_value
      - .offset:         88
        .size:           8
        .value_kind:     by_value
      - .offset:         96
        .size:           4
        .value_kind:     by_value
    .group_segment_fixed_size: 16384
    .kernarg_segment_align: 8
    .kernarg_segment_size: 100
    .language:       OpenCL C
    .language_version:
      - 2
      - 0
    .max_flat_workgroup_size: 1024
    .name:           _ZL26rocblas_syr2k_her2k_kernelIiLb1ELb0ELb0ELi32EPKdPKS1_PKPdEvbiT_T4_T5_S7_lS9_S7_lT6_S7_li
    .private_segment_fixed_size: 0
    .sgpr_count:     32
    .sgpr_spill_count: 0
    .symbol:         _ZL26rocblas_syr2k_her2k_kernelIiLb1ELb0ELb0ELi32EPKdPKS1_PKPdEvbiT_T4_T5_S7_lS9_S7_lT6_S7_li.kd
    .uniform_work_group_size: 1
    .uses_dynamic_stack: false
    .vgpr_count:     37
    .vgpr_spill_count: 0
    .wavefront_size: 64
  - .args:
      - .offset:         0
        .size:           1
        .value_kind:     by_value
      - .offset:         4
        .size:           4
        .value_kind:     by_value
      - .offset:         8
        .size:           4
        .value_kind:     by_value
      - .address_space:  global
        .offset:         16
        .size:           8
        .value_kind:     global_buffer
      - .address_space:  global
        .offset:         24
        .size:           8
        .value_kind:     global_buffer
      - .offset:         32
        .size:           4
        .value_kind:     by_value
      - .offset:         40
        .size:           8
        .value_kind:     by_value
      - .address_space:  global
        .offset:         48
        .size:           8
        .value_kind:     global_buffer
      - .offset:         56
        .size:           4
        .value_kind:     by_value
      - .offset:         64
        .size:           8
        .value_kind:     by_value
      - .address_space:  global
        .offset:         72
        .size:           8
        .value_kind:     global_buffer
      - .offset:         80
        .size:           4
        .value_kind:     by_value
      - .offset:         88
        .size:           8
        .value_kind:     by_value
      - .offset:         96
        .size:           4
        .value_kind:     by_value
    .group_segment_fixed_size: 16384
    .kernarg_segment_align: 8
    .kernarg_segment_size: 100
    .language:       OpenCL C
    .language_version:
      - 2
      - 0
    .max_flat_workgroup_size: 1024
    .name:           _ZL26rocblas_syr2k_her2k_kernelIiLb1ELb0ELb1ELi32EPKdPKS1_PKPdEvbiT_T4_T5_S7_lS9_S7_lT6_S7_li
    .private_segment_fixed_size: 0
    .sgpr_count:     29
    .sgpr_spill_count: 0
    .symbol:         _ZL26rocblas_syr2k_her2k_kernelIiLb1ELb0ELb1ELi32EPKdPKS1_PKPdEvbiT_T4_T5_S7_lS9_S7_lT6_S7_li.kd
    .uniform_work_group_size: 1
    .uses_dynamic_stack: false
    .vgpr_count:     39
    .vgpr_spill_count: 0
    .wavefront_size: 64
  - .args:
      - .offset:         0
        .size:           1
        .value_kind:     by_value
      - .offset:         4
        .size:           4
        .value_kind:     by_value
      - .offset:         8
        .size:           4
        .value_kind:     by_value
      - .offset:         12
        .size:           8
        .value_kind:     by_value
      - .address_space:  global
        .offset:         24
        .size:           8
        .value_kind:     global_buffer
      - .offset:         32
        .size:           4
        .value_kind:     by_value
      - .offset:         40
        .size:           8
        .value_kind:     by_value
      - .address_space:  global
        .offset:         48
        .size:           8
        .value_kind:     global_buffer
      - .offset:         56
        .size:           4
        .value_kind:     by_value
      - .offset:         64
        .size:           8
        .value_kind:     by_value
      - .address_space:  global
        .offset:         72
        .size:           8
        .value_kind:     global_buffer
      - .offset:         80
        .size:           4
        .value_kind:     by_value
      - .offset:         88
        .size:           8
        .value_kind:     by_value
      - .offset:         96
        .size:           4
        .value_kind:     by_value
    .group_segment_fixed_size: 16384
    .kernarg_segment_align: 8
    .kernarg_segment_size: 100
    .language:       OpenCL C
    .language_version:
      - 2
      - 0
    .max_flat_workgroup_size: 1024
    .name:           _ZL26rocblas_syr2k_her2k_kernelIiLb1ELb0ELb0ELi32E19rocblas_complex_numIfEPKPKS1_PKPS1_EvbiT_T4_T5_S9_lSB_S9_lT6_S9_li
    .private_segment_fixed_size: 0
    .sgpr_count:     32
    .sgpr_spill_count: 0
    .symbol:         _ZL26rocblas_syr2k_her2k_kernelIiLb1ELb0ELb0ELi32E19rocblas_complex_numIfEPKPKS1_PKPS1_EvbiT_T4_T5_S9_lSB_S9_lT6_S9_li.kd
    .uniform_work_group_size: 1
    .uses_dynamic_stack: false
    .vgpr_count:     42
    .vgpr_spill_count: 0
    .wavefront_size: 64
  - .args:
      - .offset:         0
        .size:           1
        .value_kind:     by_value
      - .offset:         4
        .size:           4
        .value_kind:     by_value
      - .offset:         8
        .size:           4
        .value_kind:     by_value
      - .offset:         12
        .size:           8
        .value_kind:     by_value
      - .address_space:  global
        .offset:         24
        .size:           8
        .value_kind:     global_buffer
      - .offset:         32
        .size:           4
        .value_kind:     by_value
      - .offset:         40
        .size:           8
        .value_kind:     by_value
      - .address_space:  global
        .offset:         48
        .size:           8
        .value_kind:     global_buffer
      - .offset:         56
        .size:           4
        .value_kind:     by_value
      - .offset:         64
        .size:           8
        .value_kind:     by_value
      - .address_space:  global
        .offset:         72
        .size:           8
        .value_kind:     global_buffer
      - .offset:         80
        .size:           4
        .value_kind:     by_value
      - .offset:         88
        .size:           8
        .value_kind:     by_value
      - .offset:         96
        .size:           4
        .value_kind:     by_value
    .group_segment_fixed_size: 16384
    .kernarg_segment_align: 8
    .kernarg_segment_size: 100
    .language:       OpenCL C
    .language_version:
      - 2
      - 0
    .max_flat_workgroup_size: 1024
    .name:           _ZL26rocblas_syr2k_her2k_kernelIiLb1ELb0ELb1ELi32E19rocblas_complex_numIfEPKPKS1_PKPS1_EvbiT_T4_T5_S9_lSB_S9_lT6_S9_li
    .private_segment_fixed_size: 0
    .sgpr_count:     33
    .sgpr_spill_count: 0
    .symbol:         _ZL26rocblas_syr2k_her2k_kernelIiLb1ELb0ELb1ELi32E19rocblas_complex_numIfEPKPKS1_PKPS1_EvbiT_T4_T5_S9_lSB_S9_lT6_S9_li.kd
    .uniform_work_group_size: 1
    .uses_dynamic_stack: false
    .vgpr_count:     43
    .vgpr_spill_count: 0
    .wavefront_size: 64
  - .args:
      - .offset:         0
        .size:           1
        .value_kind:     by_value
      - .offset:         4
        .size:           4
        .value_kind:     by_value
      - .offset:         8
        .size:           4
        .value_kind:     by_value
      - .address_space:  global
        .offset:         16
        .size:           8
        .value_kind:     global_buffer
      - .address_space:  global
        .offset:         24
        .size:           8
        .value_kind:     global_buffer
      - .offset:         32
        .size:           4
        .value_kind:     by_value
      - .offset:         40
        .size:           8
        .value_kind:     by_value
      - .address_space:  global
        .offset:         48
        .size:           8
        .value_kind:     global_buffer
      - .offset:         56
        .size:           4
        .value_kind:     by_value
      - .offset:         64
        .size:           8
        .value_kind:     by_value
      - .address_space:  global
        .offset:         72
        .size:           8
        .value_kind:     global_buffer
      - .offset:         80
        .size:           4
        .value_kind:     by_value
      - .offset:         88
        .size:           8
        .value_kind:     by_value
      - .offset:         96
        .size:           4
        .value_kind:     by_value
    .group_segment_fixed_size: 16384
    .kernarg_segment_align: 8
    .kernarg_segment_size: 100
    .language:       OpenCL C
    .language_version:
      - 2
      - 0
    .max_flat_workgroup_size: 1024
    .name:           _ZL26rocblas_syr2k_her2k_kernelIiLb1ELb0ELb0ELi32EPK19rocblas_complex_numIfEPKS3_PKPS1_EvbiT_T4_T5_S9_lSB_S9_lT6_S9_li
    .private_segment_fixed_size: 0
    .sgpr_count:     32
    .sgpr_spill_count: 0
    .symbol:         _ZL26rocblas_syr2k_her2k_kernelIiLb1ELb0ELb0ELi32EPK19rocblas_complex_numIfEPKS3_PKPS1_EvbiT_T4_T5_S9_lSB_S9_lT6_S9_li.kd
    .uniform_work_group_size: 1
    .uses_dynamic_stack: false
    .vgpr_count:     42
    .vgpr_spill_count: 0
    .wavefront_size: 64
  - .args:
      - .offset:         0
        .size:           1
        .value_kind:     by_value
      - .offset:         4
        .size:           4
        .value_kind:     by_value
      - .offset:         8
        .size:           4
        .value_kind:     by_value
      - .address_space:  global
        .offset:         16
        .size:           8
        .value_kind:     global_buffer
      - .address_space:  global
        .offset:         24
        .size:           8
        .value_kind:     global_buffer
      - .offset:         32
        .size:           4
        .value_kind:     by_value
      - .offset:         40
        .size:           8
        .value_kind:     by_value
      - .address_space:  global
        .offset:         48
        .size:           8
        .value_kind:     global_buffer
      - .offset:         56
        .size:           4
        .value_kind:     by_value
      - .offset:         64
        .size:           8
        .value_kind:     by_value
      - .address_space:  global
        .offset:         72
        .size:           8
        .value_kind:     global_buffer
      - .offset:         80
        .size:           4
        .value_kind:     by_value
      - .offset:         88
        .size:           8
        .value_kind:     by_value
      - .offset:         96
        .size:           4
        .value_kind:     by_value
    .group_segment_fixed_size: 16384
    .kernarg_segment_align: 8
    .kernarg_segment_size: 100
    .language:       OpenCL C
    .language_version:
      - 2
      - 0
    .max_flat_workgroup_size: 1024
    .name:           _ZL26rocblas_syr2k_her2k_kernelIiLb1ELb0ELb1ELi32EPK19rocblas_complex_numIfEPKS3_PKPS1_EvbiT_T4_T5_S9_lSB_S9_lT6_S9_li
    .private_segment_fixed_size: 0
    .sgpr_count:     29
    .sgpr_spill_count: 0
    .symbol:         _ZL26rocblas_syr2k_her2k_kernelIiLb1ELb0ELb1ELi32EPK19rocblas_complex_numIfEPKS3_PKPS1_EvbiT_T4_T5_S9_lSB_S9_lT6_S9_li.kd
    .uniform_work_group_size: 1
    .uses_dynamic_stack: false
    .vgpr_count:     43
    .vgpr_spill_count: 0
    .wavefront_size: 64
  - .args:
      - .offset:         0
        .size:           1
        .value_kind:     by_value
      - .offset:         4
        .size:           4
        .value_kind:     by_value
      - .offset:         8
        .size:           4
        .value_kind:     by_value
      - .offset:         16
        .size:           16
        .value_kind:     by_value
      - .address_space:  global
        .offset:         32
        .size:           8
        .value_kind:     global_buffer
      - .offset:         40
        .size:           4
        .value_kind:     by_value
      - .offset:         48
        .size:           8
        .value_kind:     by_value
      - .address_space:  global
        .offset:         56
        .size:           8
        .value_kind:     global_buffer
      - .offset:         64
        .size:           4
        .value_kind:     by_value
      - .offset:         72
        .size:           8
        .value_kind:     by_value
      - .address_space:  global
        .offset:         80
        .size:           8
        .value_kind:     global_buffer
      - .offset:         88
        .size:           4
        .value_kind:     by_value
      - .offset:         96
        .size:           8
        .value_kind:     by_value
      - .offset:         104
        .size:           4
        .value_kind:     by_value
    .group_segment_fixed_size: 32768
    .kernarg_segment_align: 8
    .kernarg_segment_size: 108
    .language:       OpenCL C
    .language_version:
      - 2
      - 0
    .max_flat_workgroup_size: 1024
    .name:           _ZL26rocblas_syr2k_her2k_kernelIiLb1ELb0ELb0ELi32E19rocblas_complex_numIdEPKPKS1_PKPS1_EvbiT_T4_T5_S9_lSB_S9_lT6_S9_li
    .private_segment_fixed_size: 0
    .sgpr_count:     36
    .sgpr_spill_count: 0
    .symbol:         _ZL26rocblas_syr2k_her2k_kernelIiLb1ELb0ELb0ELi32E19rocblas_complex_numIdEPKPKS1_PKPS1_EvbiT_T4_T5_S9_lSB_S9_lT6_S9_li.kd
    .uniform_work_group_size: 1
    .uses_dynamic_stack: false
    .vgpr_count:     58
    .vgpr_spill_count: 0
    .wavefront_size: 64
  - .args:
      - .offset:         0
        .size:           1
        .value_kind:     by_value
      - .offset:         4
        .size:           4
        .value_kind:     by_value
      - .offset:         8
        .size:           4
        .value_kind:     by_value
      - .offset:         16
        .size:           16
        .value_kind:     by_value
      - .address_space:  global
        .offset:         32
        .size:           8
        .value_kind:     global_buffer
      - .offset:         40
        .size:           4
        .value_kind:     by_value
      - .offset:         48
        .size:           8
        .value_kind:     by_value
      - .address_space:  global
        .offset:         56
        .size:           8
        .value_kind:     global_buffer
      - .offset:         64
        .size:           4
        .value_kind:     by_value
      - .offset:         72
        .size:           8
        .value_kind:     by_value
      - .address_space:  global
        .offset:         80
        .size:           8
        .value_kind:     global_buffer
      - .offset:         88
        .size:           4
        .value_kind:     by_value
      - .offset:         96
        .size:           8
        .value_kind:     by_value
      - .offset:         104
        .size:           4
        .value_kind:     by_value
    .group_segment_fixed_size: 32768
    .kernarg_segment_align: 8
    .kernarg_segment_size: 108
    .language:       OpenCL C
    .language_version:
      - 2
      - 0
    .max_flat_workgroup_size: 1024
    .name:           _ZL26rocblas_syr2k_her2k_kernelIiLb1ELb0ELb1ELi32E19rocblas_complex_numIdEPKPKS1_PKPS1_EvbiT_T4_T5_S9_lSB_S9_lT6_S9_li
    .private_segment_fixed_size: 0
    .sgpr_count:     33
    .sgpr_spill_count: 0
    .symbol:         _ZL26rocblas_syr2k_her2k_kernelIiLb1ELb0ELb1ELi32E19rocblas_complex_numIdEPKPKS1_PKPS1_EvbiT_T4_T5_S9_lSB_S9_lT6_S9_li.kd
    .uniform_work_group_size: 1
    .uses_dynamic_stack: false
    .vgpr_count:     58
    .vgpr_spill_count: 0
    .wavefront_size: 64
  - .args:
      - .offset:         0
        .size:           1
        .value_kind:     by_value
      - .offset:         4
        .size:           4
        .value_kind:     by_value
      - .offset:         8
        .size:           4
        .value_kind:     by_value
      - .address_space:  global
        .offset:         16
        .size:           8
        .value_kind:     global_buffer
      - .address_space:  global
        .offset:         24
        .size:           8
        .value_kind:     global_buffer
      - .offset:         32
        .size:           4
        .value_kind:     by_value
      - .offset:         40
        .size:           8
        .value_kind:     by_value
      - .address_space:  global
        .offset:         48
        .size:           8
        .value_kind:     global_buffer
      - .offset:         56
        .size:           4
        .value_kind:     by_value
      - .offset:         64
        .size:           8
        .value_kind:     by_value
      - .address_space:  global
        .offset:         72
        .size:           8
        .value_kind:     global_buffer
      - .offset:         80
        .size:           4
        .value_kind:     by_value
      - .offset:         88
        .size:           8
        .value_kind:     by_value
      - .offset:         96
        .size:           4
        .value_kind:     by_value
    .group_segment_fixed_size: 32768
    .kernarg_segment_align: 8
    .kernarg_segment_size: 100
    .language:       OpenCL C
    .language_version:
      - 2
      - 0
    .max_flat_workgroup_size: 1024
    .name:           _ZL26rocblas_syr2k_her2k_kernelIiLb1ELb0ELb0ELi32EPK19rocblas_complex_numIdEPKS3_PKPS1_EvbiT_T4_T5_S9_lSB_S9_lT6_S9_li
    .private_segment_fixed_size: 0
    .sgpr_count:     36
    .sgpr_spill_count: 0
    .symbol:         _ZL26rocblas_syr2k_her2k_kernelIiLb1ELb0ELb0ELi32EPK19rocblas_complex_numIdEPKS3_PKPS1_EvbiT_T4_T5_S9_lSB_S9_lT6_S9_li.kd
    .uniform_work_group_size: 1
    .uses_dynamic_stack: false
    .vgpr_count:     58
    .vgpr_spill_count: 0
    .wavefront_size: 64
  - .args:
      - .offset:         0
        .size:           1
        .value_kind:     by_value
      - .offset:         4
        .size:           4
        .value_kind:     by_value
      - .offset:         8
        .size:           4
        .value_kind:     by_value
      - .address_space:  global
        .offset:         16
        .size:           8
        .value_kind:     global_buffer
      - .address_space:  global
        .offset:         24
        .size:           8
        .value_kind:     global_buffer
      - .offset:         32
        .size:           4
        .value_kind:     by_value
      - .offset:         40
        .size:           8
        .value_kind:     by_value
      - .address_space:  global
        .offset:         48
        .size:           8
        .value_kind:     global_buffer
      - .offset:         56
        .size:           4
        .value_kind:     by_value
      - .offset:         64
        .size:           8
        .value_kind:     by_value
      - .address_space:  global
        .offset:         72
        .size:           8
        .value_kind:     global_buffer
      - .offset:         80
        .size:           4
        .value_kind:     by_value
      - .offset:         88
        .size:           8
        .value_kind:     by_value
      - .offset:         96
        .size:           4
        .value_kind:     by_value
    .group_segment_fixed_size: 32768
    .kernarg_segment_align: 8
    .kernarg_segment_size: 100
    .language:       OpenCL C
    .language_version:
      - 2
      - 0
    .max_flat_workgroup_size: 1024
    .name:           _ZL26rocblas_syr2k_her2k_kernelIiLb1ELb0ELb1ELi32EPK19rocblas_complex_numIdEPKS3_PKPS1_EvbiT_T4_T5_S9_lSB_S9_lT6_S9_li
    .private_segment_fixed_size: 0
    .sgpr_count:     33
    .sgpr_spill_count: 0
    .symbol:         _ZL26rocblas_syr2k_her2k_kernelIiLb1ELb0ELb1ELi32EPK19rocblas_complex_numIdEPKS3_PKPS1_EvbiT_T4_T5_S9_lSB_S9_lT6_S9_li.kd
    .uniform_work_group_size: 1
    .uses_dynamic_stack: false
    .vgpr_count:     58
    .vgpr_spill_count: 0
    .wavefront_size: 64
  - .args:
      - .offset:         0
        .size:           1
        .value_kind:     by_value
      - .offset:         4
        .size:           4
        .value_kind:     by_value
      - .offset:         8
        .size:           4
        .value_kind:     by_value
      - .offset:         12
        .size:           8
        .value_kind:     by_value
      - .address_space:  global
        .offset:         24
        .size:           8
        .value_kind:     global_buffer
      - .offset:         32
        .size:           4
        .value_kind:     by_value
      - .offset:         40
        .size:           8
        .value_kind:     by_value
      - .address_space:  global
        .offset:         48
        .size:           8
        .value_kind:     global_buffer
      - .offset:         56
        .size:           4
        .value_kind:     by_value
      - .offset:         64
        .size:           8
        .value_kind:     by_value
      - .address_space:  global
        .offset:         72
        .size:           8
        .value_kind:     global_buffer
      - .offset:         80
        .size:           4
        .value_kind:     by_value
      - .offset:         88
        .size:           8
        .value_kind:     by_value
      - .offset:         96
        .size:           4
        .value_kind:     by_value
    .group_segment_fixed_size: 16384
    .kernarg_segment_align: 8
    .kernarg_segment_size: 100
    .language:       OpenCL C
    .language_version:
      - 2
      - 0
    .max_flat_workgroup_size: 1024
    .name:           _ZL26rocblas_syr2k_her2k_kernelIiLb1ELb1ELb0ELi32E19rocblas_complex_numIfEPKS1_PS1_EvbiT_T4_T5_S5_lS7_S5_lT6_S5_li
    .private_segment_fixed_size: 0
    .sgpr_count:     32
    .sgpr_spill_count: 0
    .symbol:         _ZL26rocblas_syr2k_her2k_kernelIiLb1ELb1ELb0ELi32E19rocblas_complex_numIfEPKS1_PS1_EvbiT_T4_T5_S5_lS7_S5_lT6_S5_li.kd
    .uniform_work_group_size: 1
    .uses_dynamic_stack: false
    .vgpr_count:     42
    .vgpr_spill_count: 0
    .wavefront_size: 64
  - .args:
      - .offset:         0
        .size:           1
        .value_kind:     by_value
      - .offset:         4
        .size:           4
        .value_kind:     by_value
      - .offset:         8
        .size:           4
        .value_kind:     by_value
      - .offset:         12
        .size:           8
        .value_kind:     by_value
      - .address_space:  global
        .offset:         24
        .size:           8
        .value_kind:     global_buffer
      - .offset:         32
        .size:           4
        .value_kind:     by_value
      - .offset:         40
        .size:           8
        .value_kind:     by_value
      - .address_space:  global
        .offset:         48
        .size:           8
        .value_kind:     global_buffer
      - .offset:         56
        .size:           4
        .value_kind:     by_value
      - .offset:         64
        .size:           8
        .value_kind:     by_value
      - .address_space:  global
        .offset:         72
        .size:           8
        .value_kind:     global_buffer
      - .offset:         80
        .size:           4
        .value_kind:     by_value
      - .offset:         88
        .size:           8
        .value_kind:     by_value
      - .offset:         96
        .size:           4
        .value_kind:     by_value
    .group_segment_fixed_size: 16384
    .kernarg_segment_align: 8
    .kernarg_segment_size: 100
    .language:       OpenCL C
    .language_version:
      - 2
      - 0
    .max_flat_workgroup_size: 1024
    .name:           _ZL26rocblas_syr2k_her2k_kernelIiLb1ELb1ELb1ELi32E19rocblas_complex_numIfEPKS1_PS1_EvbiT_T4_T5_S5_lS7_S5_lT6_S5_li
    .private_segment_fixed_size: 0
    .sgpr_count:     32
    .sgpr_spill_count: 0
    .symbol:         _ZL26rocblas_syr2k_her2k_kernelIiLb1ELb1ELb1ELi32E19rocblas_complex_numIfEPKS1_PS1_EvbiT_T4_T5_S5_lS7_S5_lT6_S5_li.kd
    .uniform_work_group_size: 1
    .uses_dynamic_stack: false
    .vgpr_count:     42
    .vgpr_spill_count: 0
    .wavefront_size: 64
  - .args:
      - .offset:         0
        .size:           1
        .value_kind:     by_value
      - .offset:         4
        .size:           4
        .value_kind:     by_value
      - .offset:         8
        .size:           4
        .value_kind:     by_value
      - .address_space:  global
        .offset:         16
        .size:           8
        .value_kind:     global_buffer
      - .address_space:  global
        .offset:         24
        .size:           8
        .value_kind:     global_buffer
      - .offset:         32
        .size:           4
        .value_kind:     by_value
      - .offset:         40
        .size:           8
        .value_kind:     by_value
      - .address_space:  global
        .offset:         48
        .size:           8
        .value_kind:     global_buffer
      - .offset:         56
        .size:           4
        .value_kind:     by_value
      - .offset:         64
        .size:           8
        .value_kind:     by_value
      - .address_space:  global
        .offset:         72
        .size:           8
        .value_kind:     global_buffer
      - .offset:         80
        .size:           4
        .value_kind:     by_value
      - .offset:         88
        .size:           8
        .value_kind:     by_value
      - .offset:         96
        .size:           4
        .value_kind:     by_value
    .group_segment_fixed_size: 16384
    .kernarg_segment_align: 8
    .kernarg_segment_size: 100
    .language:       OpenCL C
    .language_version:
      - 2
      - 0
    .max_flat_workgroup_size: 1024
    .name:           _ZL26rocblas_syr2k_her2k_kernelIiLb1ELb1ELb0ELi32EPK19rocblas_complex_numIfES3_PS1_EvbiT_T4_T5_S5_lS7_S5_lT6_S5_li
    .private_segment_fixed_size: 0
    .sgpr_count:     32
    .sgpr_spill_count: 0
    .symbol:         _ZL26rocblas_syr2k_her2k_kernelIiLb1ELb1ELb0ELi32EPK19rocblas_complex_numIfES3_PS1_EvbiT_T4_T5_S5_lS7_S5_lT6_S5_li.kd
    .uniform_work_group_size: 1
    .uses_dynamic_stack: false
    .vgpr_count:     42
    .vgpr_spill_count: 0
    .wavefront_size: 64
  - .args:
      - .offset:         0
        .size:           1
        .value_kind:     by_value
      - .offset:         4
        .size:           4
        .value_kind:     by_value
      - .offset:         8
        .size:           4
        .value_kind:     by_value
      - .address_space:  global
        .offset:         16
        .size:           8
        .value_kind:     global_buffer
      - .address_space:  global
        .offset:         24
        .size:           8
        .value_kind:     global_buffer
      - .offset:         32
        .size:           4
        .value_kind:     by_value
      - .offset:         40
        .size:           8
        .value_kind:     by_value
      - .address_space:  global
        .offset:         48
        .size:           8
        .value_kind:     global_buffer
      - .offset:         56
        .size:           4
        .value_kind:     by_value
      - .offset:         64
        .size:           8
        .value_kind:     by_value
      - .address_space:  global
        .offset:         72
        .size:           8
        .value_kind:     global_buffer
      - .offset:         80
        .size:           4
        .value_kind:     by_value
      - .offset:         88
        .size:           8
        .value_kind:     by_value
      - .offset:         96
        .size:           4
        .value_kind:     by_value
    .group_segment_fixed_size: 16384
    .kernarg_segment_align: 8
    .kernarg_segment_size: 100
    .language:       OpenCL C
    .language_version:
      - 2
      - 0
    .max_flat_workgroup_size: 1024
    .name:           _ZL26rocblas_syr2k_her2k_kernelIiLb1ELb1ELb1ELi32EPK19rocblas_complex_numIfES3_PS1_EvbiT_T4_T5_S5_lS7_S5_lT6_S5_li
    .private_segment_fixed_size: 0
    .sgpr_count:     28
    .sgpr_spill_count: 0
    .symbol:         _ZL26rocblas_syr2k_her2k_kernelIiLb1ELb1ELb1ELi32EPK19rocblas_complex_numIfES3_PS1_EvbiT_T4_T5_S5_lS7_S5_lT6_S5_li.kd
    .uniform_work_group_size: 1
    .uses_dynamic_stack: false
    .vgpr_count:     42
    .vgpr_spill_count: 0
    .wavefront_size: 64
  - .args:
      - .offset:         0
        .size:           1
        .value_kind:     by_value
      - .offset:         4
        .size:           4
        .value_kind:     by_value
      - .offset:         8
        .size:           4
        .value_kind:     by_value
      - .offset:         16
        .size:           16
        .value_kind:     by_value
      - .address_space:  global
        .offset:         32
        .size:           8
        .value_kind:     global_buffer
      - .offset:         40
        .size:           4
        .value_kind:     by_value
      - .offset:         48
        .size:           8
        .value_kind:     by_value
      - .address_space:  global
        .offset:         56
        .size:           8
        .value_kind:     global_buffer
      - .offset:         64
        .size:           4
        .value_kind:     by_value
      - .offset:         72
        .size:           8
        .value_kind:     by_value
      - .address_space:  global
        .offset:         80
        .size:           8
        .value_kind:     global_buffer
      - .offset:         88
        .size:           4
        .value_kind:     by_value
      - .offset:         96
        .size:           8
        .value_kind:     by_value
      - .offset:         104
        .size:           4
        .value_kind:     by_value
    .group_segment_fixed_size: 32768
    .kernarg_segment_align: 8
    .kernarg_segment_size: 108
    .language:       OpenCL C
    .language_version:
      - 2
      - 0
    .max_flat_workgroup_size: 1024
    .name:           _ZL26rocblas_syr2k_her2k_kernelIiLb1ELb1ELb0ELi32E19rocblas_complex_numIdEPKS1_PS1_EvbiT_T4_T5_S5_lS7_S5_lT6_S5_li
    .private_segment_fixed_size: 0
    .sgpr_count:     32
    .sgpr_spill_count: 0
    .symbol:         _ZL26rocblas_syr2k_her2k_kernelIiLb1ELb1ELb0ELi32E19rocblas_complex_numIdEPKS1_PS1_EvbiT_T4_T5_S5_lS7_S5_lT6_S5_li.kd
    .uniform_work_group_size: 1
    .uses_dynamic_stack: false
    .vgpr_count:     64
    .vgpr_spill_count: 0
    .wavefront_size: 64
  - .args:
      - .offset:         0
        .size:           1
        .value_kind:     by_value
      - .offset:         4
        .size:           4
        .value_kind:     by_value
      - .offset:         8
        .size:           4
        .value_kind:     by_value
      - .offset:         16
        .size:           16
        .value_kind:     by_value
      - .address_space:  global
        .offset:         32
        .size:           8
        .value_kind:     global_buffer
      - .offset:         40
        .size:           4
        .value_kind:     by_value
      - .offset:         48
        .size:           8
        .value_kind:     by_value
      - .address_space:  global
        .offset:         56
        .size:           8
        .value_kind:     global_buffer
      - .offset:         64
        .size:           4
        .value_kind:     by_value
      - .offset:         72
        .size:           8
        .value_kind:     by_value
      - .address_space:  global
        .offset:         80
        .size:           8
        .value_kind:     global_buffer
      - .offset:         88
        .size:           4
        .value_kind:     by_value
      - .offset:         96
        .size:           8
        .value_kind:     by_value
      - .offset:         104
        .size:           4
        .value_kind:     by_value
    .group_segment_fixed_size: 32768
    .kernarg_segment_align: 8
    .kernarg_segment_size: 108
    .language:       OpenCL C
    .language_version:
      - 2
      - 0
    .max_flat_workgroup_size: 1024
    .name:           _ZL26rocblas_syr2k_her2k_kernelIiLb1ELb1ELb1ELi32E19rocblas_complex_numIdEPKS1_PS1_EvbiT_T4_T5_S5_lS7_S5_lT6_S5_li
    .private_segment_fixed_size: 0
    .sgpr_count:     32
    .sgpr_spill_count: 0
    .symbol:         _ZL26rocblas_syr2k_her2k_kernelIiLb1ELb1ELb1ELi32E19rocblas_complex_numIdEPKS1_PS1_EvbiT_T4_T5_S5_lS7_S5_lT6_S5_li.kd
    .uniform_work_group_size: 1
    .uses_dynamic_stack: false
    .vgpr_count:     64
    .vgpr_spill_count: 0
    .wavefront_size: 64
  - .args:
      - .offset:         0
        .size:           1
        .value_kind:     by_value
      - .offset:         4
        .size:           4
        .value_kind:     by_value
      - .offset:         8
        .size:           4
        .value_kind:     by_value
      - .address_space:  global
        .offset:         16
        .size:           8
        .value_kind:     global_buffer
      - .address_space:  global
        .offset:         24
        .size:           8
        .value_kind:     global_buffer
      - .offset:         32
        .size:           4
        .value_kind:     by_value
      - .offset:         40
        .size:           8
        .value_kind:     by_value
      - .address_space:  global
        .offset:         48
        .size:           8
        .value_kind:     global_buffer
      - .offset:         56
        .size:           4
        .value_kind:     by_value
      - .offset:         64
        .size:           8
        .value_kind:     by_value
      - .address_space:  global
        .offset:         72
        .size:           8
        .value_kind:     global_buffer
      - .offset:         80
        .size:           4
        .value_kind:     by_value
      - .offset:         88
        .size:           8
        .value_kind:     by_value
      - .offset:         96
        .size:           4
        .value_kind:     by_value
    .group_segment_fixed_size: 32768
    .kernarg_segment_align: 8
    .kernarg_segment_size: 100
    .language:       OpenCL C
    .language_version:
      - 2
      - 0
    .max_flat_workgroup_size: 1024
    .name:           _ZL26rocblas_syr2k_her2k_kernelIiLb1ELb1ELb0ELi32EPK19rocblas_complex_numIdES3_PS1_EvbiT_T4_T5_S5_lS7_S5_lT6_S5_li
    .private_segment_fixed_size: 0
    .sgpr_count:     32
    .sgpr_spill_count: 0
    .symbol:         _ZL26rocblas_syr2k_her2k_kernelIiLb1ELb1ELb0ELi32EPK19rocblas_complex_numIdES3_PS1_EvbiT_T4_T5_S5_lS7_S5_lT6_S5_li.kd
    .uniform_work_group_size: 1
    .uses_dynamic_stack: false
    .vgpr_count:     64
    .vgpr_spill_count: 0
    .wavefront_size: 64
  - .args:
      - .offset:         0
        .size:           1
        .value_kind:     by_value
      - .offset:         4
        .size:           4
        .value_kind:     by_value
      - .offset:         8
        .size:           4
        .value_kind:     by_value
      - .address_space:  global
        .offset:         16
        .size:           8
        .value_kind:     global_buffer
      - .address_space:  global
        .offset:         24
        .size:           8
        .value_kind:     global_buffer
      - .offset:         32
        .size:           4
        .value_kind:     by_value
      - .offset:         40
        .size:           8
        .value_kind:     by_value
      - .address_space:  global
        .offset:         48
        .size:           8
        .value_kind:     global_buffer
      - .offset:         56
        .size:           4
        .value_kind:     by_value
      - .offset:         64
        .size:           8
        .value_kind:     by_value
      - .address_space:  global
        .offset:         72
        .size:           8
        .value_kind:     global_buffer
      - .offset:         80
        .size:           4
        .value_kind:     by_value
      - .offset:         88
        .size:           8
        .value_kind:     by_value
      - .offset:         96
        .size:           4
        .value_kind:     by_value
    .group_segment_fixed_size: 32768
    .kernarg_segment_align: 8
    .kernarg_segment_size: 100
    .language:       OpenCL C
    .language_version:
      - 2
      - 0
    .max_flat_workgroup_size: 1024
    .name:           _ZL26rocblas_syr2k_her2k_kernelIiLb1ELb1ELb1ELi32EPK19rocblas_complex_numIdES3_PS1_EvbiT_T4_T5_S5_lS7_S5_lT6_S5_li
    .private_segment_fixed_size: 0
    .sgpr_count:     32
    .sgpr_spill_count: 0
    .symbol:         _ZL26rocblas_syr2k_her2k_kernelIiLb1ELb1ELb1ELi32EPK19rocblas_complex_numIdES3_PS1_EvbiT_T4_T5_S5_lS7_S5_lT6_S5_li.kd
    .uniform_work_group_size: 1
    .uses_dynamic_stack: false
    .vgpr_count:     64
    .vgpr_spill_count: 0
    .wavefront_size: 64
  - .args:
      - .offset:         0
        .size:           1
        .value_kind:     by_value
      - .offset:         4
        .size:           4
        .value_kind:     by_value
      - .offset:         8
        .size:           4
        .value_kind:     by_value
      - .offset:         12
        .size:           8
        .value_kind:     by_value
      - .address_space:  global
        .offset:         24
        .size:           8
        .value_kind:     global_buffer
      - .offset:         32
        .size:           4
        .value_kind:     by_value
      - .offset:         40
        .size:           8
        .value_kind:     by_value
      - .address_space:  global
        .offset:         48
        .size:           8
        .value_kind:     global_buffer
      - .offset:         56
        .size:           4
        .value_kind:     by_value
      - .offset:         64
        .size:           8
        .value_kind:     by_value
      - .address_space:  global
        .offset:         72
        .size:           8
        .value_kind:     global_buffer
      - .offset:         80
        .size:           4
        .value_kind:     by_value
      - .offset:         88
        .size:           8
        .value_kind:     by_value
      - .offset:         96
        .size:           4
        .value_kind:     by_value
    .group_segment_fixed_size: 16384
    .kernarg_segment_align: 8
    .kernarg_segment_size: 100
    .language:       OpenCL C
    .language_version:
      - 2
      - 0
    .max_flat_workgroup_size: 1024
    .name:           _ZL26rocblas_syr2k_her2k_kernelIiLb1ELb1ELb0ELi32E19rocblas_complex_numIfEPKPKS1_PKPS1_EvbiT_T4_T5_S9_lSB_S9_lT6_S9_li
    .private_segment_fixed_size: 0
    .sgpr_count:     32
    .sgpr_spill_count: 0
    .symbol:         _ZL26rocblas_syr2k_her2k_kernelIiLb1ELb1ELb0ELi32E19rocblas_complex_numIfEPKPKS1_PKPS1_EvbiT_T4_T5_S9_lSB_S9_lT6_S9_li.kd
    .uniform_work_group_size: 1
    .uses_dynamic_stack: false
    .vgpr_count:     42
    .vgpr_spill_count: 0
    .wavefront_size: 64
  - .args:
      - .offset:         0
        .size:           1
        .value_kind:     by_value
      - .offset:         4
        .size:           4
        .value_kind:     by_value
      - .offset:         8
        .size:           4
        .value_kind:     by_value
      - .offset:         12
        .size:           8
        .value_kind:     by_value
      - .address_space:  global
        .offset:         24
        .size:           8
        .value_kind:     global_buffer
      - .offset:         32
        .size:           4
        .value_kind:     by_value
      - .offset:         40
        .size:           8
        .value_kind:     by_value
      - .address_space:  global
        .offset:         48
        .size:           8
        .value_kind:     global_buffer
      - .offset:         56
        .size:           4
        .value_kind:     by_value
      - .offset:         64
        .size:           8
        .value_kind:     by_value
      - .address_space:  global
        .offset:         72
        .size:           8
        .value_kind:     global_buffer
      - .offset:         80
        .size:           4
        .value_kind:     by_value
      - .offset:         88
        .size:           8
        .value_kind:     by_value
      - .offset:         96
        .size:           4
        .value_kind:     by_value
    .group_segment_fixed_size: 16384
    .kernarg_segment_align: 8
    .kernarg_segment_size: 100
    .language:       OpenCL C
    .language_version:
      - 2
      - 0
    .max_flat_workgroup_size: 1024
    .name:           _ZL26rocblas_syr2k_her2k_kernelIiLb1ELb1ELb1ELi32E19rocblas_complex_numIfEPKPKS1_PKPS1_EvbiT_T4_T5_S9_lSB_S9_lT6_S9_li
    .private_segment_fixed_size: 0
    .sgpr_count:     33
    .sgpr_spill_count: 0
    .symbol:         _ZL26rocblas_syr2k_her2k_kernelIiLb1ELb1ELb1ELi32E19rocblas_complex_numIfEPKPKS1_PKPS1_EvbiT_T4_T5_S9_lSB_S9_lT6_S9_li.kd
    .uniform_work_group_size: 1
    .uses_dynamic_stack: false
    .vgpr_count:     42
    .vgpr_spill_count: 0
    .wavefront_size: 64
  - .args:
      - .offset:         0
        .size:           1
        .value_kind:     by_value
      - .offset:         4
        .size:           4
        .value_kind:     by_value
      - .offset:         8
        .size:           4
        .value_kind:     by_value
      - .address_space:  global
        .offset:         16
        .size:           8
        .value_kind:     global_buffer
      - .address_space:  global
        .offset:         24
        .size:           8
        .value_kind:     global_buffer
      - .offset:         32
        .size:           4
        .value_kind:     by_value
      - .offset:         40
        .size:           8
        .value_kind:     by_value
      - .address_space:  global
        .offset:         48
        .size:           8
        .value_kind:     global_buffer
      - .offset:         56
        .size:           4
        .value_kind:     by_value
      - .offset:         64
        .size:           8
        .value_kind:     by_value
      - .address_space:  global
        .offset:         72
        .size:           8
        .value_kind:     global_buffer
      - .offset:         80
        .size:           4
        .value_kind:     by_value
      - .offset:         88
        .size:           8
        .value_kind:     by_value
      - .offset:         96
        .size:           4
        .value_kind:     by_value
    .group_segment_fixed_size: 16384
    .kernarg_segment_align: 8
    .kernarg_segment_size: 100
    .language:       OpenCL C
    .language_version:
      - 2
      - 0
    .max_flat_workgroup_size: 1024
    .name:           _ZL26rocblas_syr2k_her2k_kernelIiLb1ELb1ELb0ELi32EPK19rocblas_complex_numIfEPKS3_PKPS1_EvbiT_T4_T5_S9_lSB_S9_lT6_S9_li
    .private_segment_fixed_size: 0
    .sgpr_count:     32
    .sgpr_spill_count: 0
    .symbol:         _ZL26rocblas_syr2k_her2k_kernelIiLb1ELb1ELb0ELi32EPK19rocblas_complex_numIfEPKS3_PKPS1_EvbiT_T4_T5_S9_lSB_S9_lT6_S9_li.kd
    .uniform_work_group_size: 1
    .uses_dynamic_stack: false
    .vgpr_count:     42
    .vgpr_spill_count: 0
    .wavefront_size: 64
  - .args:
      - .offset:         0
        .size:           1
        .value_kind:     by_value
      - .offset:         4
        .size:           4
        .value_kind:     by_value
      - .offset:         8
        .size:           4
        .value_kind:     by_value
      - .address_space:  global
        .offset:         16
        .size:           8
        .value_kind:     global_buffer
      - .address_space:  global
        .offset:         24
        .size:           8
        .value_kind:     global_buffer
      - .offset:         32
        .size:           4
        .value_kind:     by_value
      - .offset:         40
        .size:           8
        .value_kind:     by_value
      - .address_space:  global
        .offset:         48
        .size:           8
        .value_kind:     global_buffer
      - .offset:         56
        .size:           4
        .value_kind:     by_value
      - .offset:         64
        .size:           8
        .value_kind:     by_value
      - .address_space:  global
        .offset:         72
        .size:           8
        .value_kind:     global_buffer
      - .offset:         80
        .size:           4
        .value_kind:     by_value
      - .offset:         88
        .size:           8
        .value_kind:     by_value
      - .offset:         96
        .size:           4
        .value_kind:     by_value
    .group_segment_fixed_size: 16384
    .kernarg_segment_align: 8
    .kernarg_segment_size: 100
    .language:       OpenCL C
    .language_version:
      - 2
      - 0
    .max_flat_workgroup_size: 1024
    .name:           _ZL26rocblas_syr2k_her2k_kernelIiLb1ELb1ELb1ELi32EPK19rocblas_complex_numIfEPKS3_PKPS1_EvbiT_T4_T5_S9_lSB_S9_lT6_S9_li
    .private_segment_fixed_size: 0
    .sgpr_count:     29
    .sgpr_spill_count: 0
    .symbol:         _ZL26rocblas_syr2k_her2k_kernelIiLb1ELb1ELb1ELi32EPK19rocblas_complex_numIfEPKS3_PKPS1_EvbiT_T4_T5_S9_lSB_S9_lT6_S9_li.kd
    .uniform_work_group_size: 1
    .uses_dynamic_stack: false
    .vgpr_count:     42
    .vgpr_spill_count: 0
    .wavefront_size: 64
  - .args:
      - .offset:         0
        .size:           1
        .value_kind:     by_value
      - .offset:         4
        .size:           4
        .value_kind:     by_value
      - .offset:         8
        .size:           4
        .value_kind:     by_value
      - .offset:         16
        .size:           16
        .value_kind:     by_value
      - .address_space:  global
        .offset:         32
        .size:           8
        .value_kind:     global_buffer
      - .offset:         40
        .size:           4
        .value_kind:     by_value
      - .offset:         48
        .size:           8
        .value_kind:     by_value
      - .address_space:  global
        .offset:         56
        .size:           8
        .value_kind:     global_buffer
      - .offset:         64
        .size:           4
        .value_kind:     by_value
      - .offset:         72
        .size:           8
        .value_kind:     by_value
      - .address_space:  global
        .offset:         80
        .size:           8
        .value_kind:     global_buffer
      - .offset:         88
        .size:           4
        .value_kind:     by_value
      - .offset:         96
        .size:           8
        .value_kind:     by_value
      - .offset:         104
        .size:           4
        .value_kind:     by_value
    .group_segment_fixed_size: 32768
    .kernarg_segment_align: 8
    .kernarg_segment_size: 108
    .language:       OpenCL C
    .language_version:
      - 2
      - 0
    .max_flat_workgroup_size: 1024
    .name:           _ZL26rocblas_syr2k_her2k_kernelIiLb1ELb1ELb0ELi32E19rocblas_complex_numIdEPKPKS1_PKPS1_EvbiT_T4_T5_S9_lSB_S9_lT6_S9_li
    .private_segment_fixed_size: 0
    .sgpr_count:     36
    .sgpr_spill_count: 0
    .symbol:         _ZL26rocblas_syr2k_her2k_kernelIiLb1ELb1ELb0ELi32E19rocblas_complex_numIdEPKPKS1_PKPS1_EvbiT_T4_T5_S9_lSB_S9_lT6_S9_li.kd
    .uniform_work_group_size: 1
    .uses_dynamic_stack: false
    .vgpr_count:     64
    .vgpr_spill_count: 0
    .wavefront_size: 64
  - .args:
      - .offset:         0
        .size:           1
        .value_kind:     by_value
      - .offset:         4
        .size:           4
        .value_kind:     by_value
      - .offset:         8
        .size:           4
        .value_kind:     by_value
      - .offset:         16
        .size:           16
        .value_kind:     by_value
      - .address_space:  global
        .offset:         32
        .size:           8
        .value_kind:     global_buffer
      - .offset:         40
        .size:           4
        .value_kind:     by_value
      - .offset:         48
        .size:           8
        .value_kind:     by_value
      - .address_space:  global
        .offset:         56
        .size:           8
        .value_kind:     global_buffer
      - .offset:         64
        .size:           4
        .value_kind:     by_value
      - .offset:         72
        .size:           8
        .value_kind:     by_value
      - .address_space:  global
        .offset:         80
        .size:           8
        .value_kind:     global_buffer
      - .offset:         88
        .size:           4
        .value_kind:     by_value
      - .offset:         96
        .size:           8
        .value_kind:     by_value
      - .offset:         104
        .size:           4
        .value_kind:     by_value
    .group_segment_fixed_size: 32768
    .kernarg_segment_align: 8
    .kernarg_segment_size: 108
    .language:       OpenCL C
    .language_version:
      - 2
      - 0
    .max_flat_workgroup_size: 1024
    .name:           _ZL26rocblas_syr2k_her2k_kernelIiLb1ELb1ELb1ELi32E19rocblas_complex_numIdEPKPKS1_PKPS1_EvbiT_T4_T5_S9_lSB_S9_lT6_S9_li
    .private_segment_fixed_size: 0
    .sgpr_count:     33
    .sgpr_spill_count: 0
    .symbol:         _ZL26rocblas_syr2k_her2k_kernelIiLb1ELb1ELb1ELi32E19rocblas_complex_numIdEPKPKS1_PKPS1_EvbiT_T4_T5_S9_lSB_S9_lT6_S9_li.kd
    .uniform_work_group_size: 1
    .uses_dynamic_stack: false
    .vgpr_count:     64
    .vgpr_spill_count: 0
    .wavefront_size: 64
  - .args:
      - .offset:         0
        .size:           1
        .value_kind:     by_value
      - .offset:         4
        .size:           4
        .value_kind:     by_value
      - .offset:         8
        .size:           4
        .value_kind:     by_value
      - .address_space:  global
        .offset:         16
        .size:           8
        .value_kind:     global_buffer
      - .address_space:  global
        .offset:         24
        .size:           8
        .value_kind:     global_buffer
      - .offset:         32
        .size:           4
        .value_kind:     by_value
      - .offset:         40
        .size:           8
        .value_kind:     by_value
      - .address_space:  global
        .offset:         48
        .size:           8
        .value_kind:     global_buffer
      - .offset:         56
        .size:           4
        .value_kind:     by_value
      - .offset:         64
        .size:           8
        .value_kind:     by_value
      - .address_space:  global
        .offset:         72
        .size:           8
        .value_kind:     global_buffer
      - .offset:         80
        .size:           4
        .value_kind:     by_value
      - .offset:         88
        .size:           8
        .value_kind:     by_value
      - .offset:         96
        .size:           4
        .value_kind:     by_value
    .group_segment_fixed_size: 32768
    .kernarg_segment_align: 8
    .kernarg_segment_size: 100
    .language:       OpenCL C
    .language_version:
      - 2
      - 0
    .max_flat_workgroup_size: 1024
    .name:           _ZL26rocblas_syr2k_her2k_kernelIiLb1ELb1ELb0ELi32EPK19rocblas_complex_numIdEPKS3_PKPS1_EvbiT_T4_T5_S9_lSB_S9_lT6_S9_li
    .private_segment_fixed_size: 0
    .sgpr_count:     36
    .sgpr_spill_count: 0
    .symbol:         _ZL26rocblas_syr2k_her2k_kernelIiLb1ELb1ELb0ELi32EPK19rocblas_complex_numIdEPKS3_PKPS1_EvbiT_T4_T5_S9_lSB_S9_lT6_S9_li.kd
    .uniform_work_group_size: 1
    .uses_dynamic_stack: false
    .vgpr_count:     64
    .vgpr_spill_count: 0
    .wavefront_size: 64
  - .args:
      - .offset:         0
        .size:           1
        .value_kind:     by_value
      - .offset:         4
        .size:           4
        .value_kind:     by_value
      - .offset:         8
        .size:           4
        .value_kind:     by_value
      - .address_space:  global
        .offset:         16
        .size:           8
        .value_kind:     global_buffer
      - .address_space:  global
        .offset:         24
        .size:           8
        .value_kind:     global_buffer
      - .offset:         32
        .size:           4
        .value_kind:     by_value
      - .offset:         40
        .size:           8
        .value_kind:     by_value
      - .address_space:  global
        .offset:         48
        .size:           8
        .value_kind:     global_buffer
      - .offset:         56
        .size:           4
        .value_kind:     by_value
      - .offset:         64
        .size:           8
        .value_kind:     by_value
      - .address_space:  global
        .offset:         72
        .size:           8
        .value_kind:     global_buffer
      - .offset:         80
        .size:           4
        .value_kind:     by_value
      - .offset:         88
        .size:           8
        .value_kind:     by_value
      - .offset:         96
        .size:           4
        .value_kind:     by_value
    .group_segment_fixed_size: 32768
    .kernarg_segment_align: 8
    .kernarg_segment_size: 100
    .language:       OpenCL C
    .language_version:
      - 2
      - 0
    .max_flat_workgroup_size: 1024
    .name:           _ZL26rocblas_syr2k_her2k_kernelIiLb1ELb1ELb1ELi32EPK19rocblas_complex_numIdEPKS3_PKPS1_EvbiT_T4_T5_S9_lSB_S9_lT6_S9_li
    .private_segment_fixed_size: 0
    .sgpr_count:     33
    .sgpr_spill_count: 0
    .symbol:         _ZL26rocblas_syr2k_her2k_kernelIiLb1ELb1ELb1ELi32EPK19rocblas_complex_numIdEPKS3_PKPS1_EvbiT_T4_T5_S9_lSB_S9_lT6_S9_li.kd
    .uniform_work_group_size: 1
    .uses_dynamic_stack: false
    .vgpr_count:     64
    .vgpr_spill_count: 0
    .wavefront_size: 64
amdhsa.target:   amdgcn-amd-amdhsa--gfx906
amdhsa.version:
  - 1
  - 2
...

	.end_amdgpu_metadata
